;; amdgpu-corpus repo=pytorch/pytorch kind=compiled arch=gfx1250 opt=O3
	.amdgcn_target "amdgcn-amd-amdhsa--gfx1250"
	.amdhsa_code_object_version 6
	.section	.text._ZN7rocprim17ROCPRIM_400000_NS6detail44device_merge_sort_compile_time_verifier_archINS1_11comp_targetILNS1_3genE0ELNS1_11target_archE4294967295ELNS1_3gpuE0ELNS1_3repE0EEES8_NS0_14default_configES9_NS1_37merge_sort_block_sort_config_selectorIlNS0_10empty_typeEEENS1_38merge_sort_block_merge_config_selectorIlSB_EEEEvv,"axG",@progbits,_ZN7rocprim17ROCPRIM_400000_NS6detail44device_merge_sort_compile_time_verifier_archINS1_11comp_targetILNS1_3genE0ELNS1_11target_archE4294967295ELNS1_3gpuE0ELNS1_3repE0EEES8_NS0_14default_configES9_NS1_37merge_sort_block_sort_config_selectorIlNS0_10empty_typeEEENS1_38merge_sort_block_merge_config_selectorIlSB_EEEEvv,comdat
	.protected	_ZN7rocprim17ROCPRIM_400000_NS6detail44device_merge_sort_compile_time_verifier_archINS1_11comp_targetILNS1_3genE0ELNS1_11target_archE4294967295ELNS1_3gpuE0ELNS1_3repE0EEES8_NS0_14default_configES9_NS1_37merge_sort_block_sort_config_selectorIlNS0_10empty_typeEEENS1_38merge_sort_block_merge_config_selectorIlSB_EEEEvv ; -- Begin function _ZN7rocprim17ROCPRIM_400000_NS6detail44device_merge_sort_compile_time_verifier_archINS1_11comp_targetILNS1_3genE0ELNS1_11target_archE4294967295ELNS1_3gpuE0ELNS1_3repE0EEES8_NS0_14default_configES9_NS1_37merge_sort_block_sort_config_selectorIlNS0_10empty_typeEEENS1_38merge_sort_block_merge_config_selectorIlSB_EEEEvv
	.globl	_ZN7rocprim17ROCPRIM_400000_NS6detail44device_merge_sort_compile_time_verifier_archINS1_11comp_targetILNS1_3genE0ELNS1_11target_archE4294967295ELNS1_3gpuE0ELNS1_3repE0EEES8_NS0_14default_configES9_NS1_37merge_sort_block_sort_config_selectorIlNS0_10empty_typeEEENS1_38merge_sort_block_merge_config_selectorIlSB_EEEEvv
	.p2align	8
	.type	_ZN7rocprim17ROCPRIM_400000_NS6detail44device_merge_sort_compile_time_verifier_archINS1_11comp_targetILNS1_3genE0ELNS1_11target_archE4294967295ELNS1_3gpuE0ELNS1_3repE0EEES8_NS0_14default_configES9_NS1_37merge_sort_block_sort_config_selectorIlNS0_10empty_typeEEENS1_38merge_sort_block_merge_config_selectorIlSB_EEEEvv,@function
_ZN7rocprim17ROCPRIM_400000_NS6detail44device_merge_sort_compile_time_verifier_archINS1_11comp_targetILNS1_3genE0ELNS1_11target_archE4294967295ELNS1_3gpuE0ELNS1_3repE0EEES8_NS0_14default_configES9_NS1_37merge_sort_block_sort_config_selectorIlNS0_10empty_typeEEENS1_38merge_sort_block_merge_config_selectorIlSB_EEEEvv: ; @_ZN7rocprim17ROCPRIM_400000_NS6detail44device_merge_sort_compile_time_verifier_archINS1_11comp_targetILNS1_3genE0ELNS1_11target_archE4294967295ELNS1_3gpuE0ELNS1_3repE0EEES8_NS0_14default_configES9_NS1_37merge_sort_block_sort_config_selectorIlNS0_10empty_typeEEENS1_38merge_sort_block_merge_config_selectorIlSB_EEEEvv
; %bb.0:
	s_endpgm
	.section	.rodata,"a",@progbits
	.p2align	6, 0x0
	.amdhsa_kernel _ZN7rocprim17ROCPRIM_400000_NS6detail44device_merge_sort_compile_time_verifier_archINS1_11comp_targetILNS1_3genE0ELNS1_11target_archE4294967295ELNS1_3gpuE0ELNS1_3repE0EEES8_NS0_14default_configES9_NS1_37merge_sort_block_sort_config_selectorIlNS0_10empty_typeEEENS1_38merge_sort_block_merge_config_selectorIlSB_EEEEvv
		.amdhsa_group_segment_fixed_size 0
		.amdhsa_private_segment_fixed_size 0
		.amdhsa_kernarg_size 0
		.amdhsa_user_sgpr_count 0
		.amdhsa_user_sgpr_dispatch_ptr 0
		.amdhsa_user_sgpr_queue_ptr 0
		.amdhsa_user_sgpr_kernarg_segment_ptr 0
		.amdhsa_user_sgpr_dispatch_id 0
		.amdhsa_user_sgpr_kernarg_preload_length 0
		.amdhsa_user_sgpr_kernarg_preload_offset 0
		.amdhsa_user_sgpr_private_segment_size 0
		.amdhsa_wavefront_size32 1
		.amdhsa_uses_dynamic_stack 0
		.amdhsa_enable_private_segment 0
		.amdhsa_system_sgpr_workgroup_id_x 1
		.amdhsa_system_sgpr_workgroup_id_y 0
		.amdhsa_system_sgpr_workgroup_id_z 0
		.amdhsa_system_sgpr_workgroup_info 0
		.amdhsa_system_vgpr_workitem_id 0
		.amdhsa_next_free_vgpr 1
		.amdhsa_next_free_sgpr 1
		.amdhsa_named_barrier_count 0
		.amdhsa_reserve_vcc 0
		.amdhsa_float_round_mode_32 0
		.amdhsa_float_round_mode_16_64 0
		.amdhsa_float_denorm_mode_32 3
		.amdhsa_float_denorm_mode_16_64 3
		.amdhsa_fp16_overflow 0
		.amdhsa_memory_ordered 1
		.amdhsa_forward_progress 1
		.amdhsa_inst_pref_size 1
		.amdhsa_round_robin_scheduling 0
		.amdhsa_exception_fp_ieee_invalid_op 0
		.amdhsa_exception_fp_denorm_src 0
		.amdhsa_exception_fp_ieee_div_zero 0
		.amdhsa_exception_fp_ieee_overflow 0
		.amdhsa_exception_fp_ieee_underflow 0
		.amdhsa_exception_fp_ieee_inexact 0
		.amdhsa_exception_int_div_zero 0
	.end_amdhsa_kernel
	.section	.text._ZN7rocprim17ROCPRIM_400000_NS6detail44device_merge_sort_compile_time_verifier_archINS1_11comp_targetILNS1_3genE0ELNS1_11target_archE4294967295ELNS1_3gpuE0ELNS1_3repE0EEES8_NS0_14default_configES9_NS1_37merge_sort_block_sort_config_selectorIlNS0_10empty_typeEEENS1_38merge_sort_block_merge_config_selectorIlSB_EEEEvv,"axG",@progbits,_ZN7rocprim17ROCPRIM_400000_NS6detail44device_merge_sort_compile_time_verifier_archINS1_11comp_targetILNS1_3genE0ELNS1_11target_archE4294967295ELNS1_3gpuE0ELNS1_3repE0EEES8_NS0_14default_configES9_NS1_37merge_sort_block_sort_config_selectorIlNS0_10empty_typeEEENS1_38merge_sort_block_merge_config_selectorIlSB_EEEEvv,comdat
.Lfunc_end0:
	.size	_ZN7rocprim17ROCPRIM_400000_NS6detail44device_merge_sort_compile_time_verifier_archINS1_11comp_targetILNS1_3genE0ELNS1_11target_archE4294967295ELNS1_3gpuE0ELNS1_3repE0EEES8_NS0_14default_configES9_NS1_37merge_sort_block_sort_config_selectorIlNS0_10empty_typeEEENS1_38merge_sort_block_merge_config_selectorIlSB_EEEEvv, .Lfunc_end0-_ZN7rocprim17ROCPRIM_400000_NS6detail44device_merge_sort_compile_time_verifier_archINS1_11comp_targetILNS1_3genE0ELNS1_11target_archE4294967295ELNS1_3gpuE0ELNS1_3repE0EEES8_NS0_14default_configES9_NS1_37merge_sort_block_sort_config_selectorIlNS0_10empty_typeEEENS1_38merge_sort_block_merge_config_selectorIlSB_EEEEvv
                                        ; -- End function
	.set _ZN7rocprim17ROCPRIM_400000_NS6detail44device_merge_sort_compile_time_verifier_archINS1_11comp_targetILNS1_3genE0ELNS1_11target_archE4294967295ELNS1_3gpuE0ELNS1_3repE0EEES8_NS0_14default_configES9_NS1_37merge_sort_block_sort_config_selectorIlNS0_10empty_typeEEENS1_38merge_sort_block_merge_config_selectorIlSB_EEEEvv.num_vgpr, 0
	.set _ZN7rocprim17ROCPRIM_400000_NS6detail44device_merge_sort_compile_time_verifier_archINS1_11comp_targetILNS1_3genE0ELNS1_11target_archE4294967295ELNS1_3gpuE0ELNS1_3repE0EEES8_NS0_14default_configES9_NS1_37merge_sort_block_sort_config_selectorIlNS0_10empty_typeEEENS1_38merge_sort_block_merge_config_selectorIlSB_EEEEvv.num_agpr, 0
	.set _ZN7rocprim17ROCPRIM_400000_NS6detail44device_merge_sort_compile_time_verifier_archINS1_11comp_targetILNS1_3genE0ELNS1_11target_archE4294967295ELNS1_3gpuE0ELNS1_3repE0EEES8_NS0_14default_configES9_NS1_37merge_sort_block_sort_config_selectorIlNS0_10empty_typeEEENS1_38merge_sort_block_merge_config_selectorIlSB_EEEEvv.numbered_sgpr, 0
	.set _ZN7rocprim17ROCPRIM_400000_NS6detail44device_merge_sort_compile_time_verifier_archINS1_11comp_targetILNS1_3genE0ELNS1_11target_archE4294967295ELNS1_3gpuE0ELNS1_3repE0EEES8_NS0_14default_configES9_NS1_37merge_sort_block_sort_config_selectorIlNS0_10empty_typeEEENS1_38merge_sort_block_merge_config_selectorIlSB_EEEEvv.num_named_barrier, 0
	.set _ZN7rocprim17ROCPRIM_400000_NS6detail44device_merge_sort_compile_time_verifier_archINS1_11comp_targetILNS1_3genE0ELNS1_11target_archE4294967295ELNS1_3gpuE0ELNS1_3repE0EEES8_NS0_14default_configES9_NS1_37merge_sort_block_sort_config_selectorIlNS0_10empty_typeEEENS1_38merge_sort_block_merge_config_selectorIlSB_EEEEvv.private_seg_size, 0
	.set _ZN7rocprim17ROCPRIM_400000_NS6detail44device_merge_sort_compile_time_verifier_archINS1_11comp_targetILNS1_3genE0ELNS1_11target_archE4294967295ELNS1_3gpuE0ELNS1_3repE0EEES8_NS0_14default_configES9_NS1_37merge_sort_block_sort_config_selectorIlNS0_10empty_typeEEENS1_38merge_sort_block_merge_config_selectorIlSB_EEEEvv.uses_vcc, 0
	.set _ZN7rocprim17ROCPRIM_400000_NS6detail44device_merge_sort_compile_time_verifier_archINS1_11comp_targetILNS1_3genE0ELNS1_11target_archE4294967295ELNS1_3gpuE0ELNS1_3repE0EEES8_NS0_14default_configES9_NS1_37merge_sort_block_sort_config_selectorIlNS0_10empty_typeEEENS1_38merge_sort_block_merge_config_selectorIlSB_EEEEvv.uses_flat_scratch, 0
	.set _ZN7rocprim17ROCPRIM_400000_NS6detail44device_merge_sort_compile_time_verifier_archINS1_11comp_targetILNS1_3genE0ELNS1_11target_archE4294967295ELNS1_3gpuE0ELNS1_3repE0EEES8_NS0_14default_configES9_NS1_37merge_sort_block_sort_config_selectorIlNS0_10empty_typeEEENS1_38merge_sort_block_merge_config_selectorIlSB_EEEEvv.has_dyn_sized_stack, 0
	.set _ZN7rocprim17ROCPRIM_400000_NS6detail44device_merge_sort_compile_time_verifier_archINS1_11comp_targetILNS1_3genE0ELNS1_11target_archE4294967295ELNS1_3gpuE0ELNS1_3repE0EEES8_NS0_14default_configES9_NS1_37merge_sort_block_sort_config_selectorIlNS0_10empty_typeEEENS1_38merge_sort_block_merge_config_selectorIlSB_EEEEvv.has_recursion, 0
	.set _ZN7rocprim17ROCPRIM_400000_NS6detail44device_merge_sort_compile_time_verifier_archINS1_11comp_targetILNS1_3genE0ELNS1_11target_archE4294967295ELNS1_3gpuE0ELNS1_3repE0EEES8_NS0_14default_configES9_NS1_37merge_sort_block_sort_config_selectorIlNS0_10empty_typeEEENS1_38merge_sort_block_merge_config_selectorIlSB_EEEEvv.has_indirect_call, 0
	.section	.AMDGPU.csdata,"",@progbits
; Kernel info:
; codeLenInByte = 4
; TotalNumSgprs: 0
; NumVgprs: 0
; ScratchSize: 0
; MemoryBound: 0
; FloatMode: 240
; IeeeMode: 1
; LDSByteSize: 0 bytes/workgroup (compile time only)
; SGPRBlocks: 0
; VGPRBlocks: 0
; NumSGPRsForWavesPerEU: 1
; NumVGPRsForWavesPerEU: 1
; NamedBarCnt: 0
; Occupancy: 16
; WaveLimiterHint : 0
; COMPUTE_PGM_RSRC2:SCRATCH_EN: 0
; COMPUTE_PGM_RSRC2:USER_SGPR: 0
; COMPUTE_PGM_RSRC2:TRAP_HANDLER: 0
; COMPUTE_PGM_RSRC2:TGID_X_EN: 1
; COMPUTE_PGM_RSRC2:TGID_Y_EN: 0
; COMPUTE_PGM_RSRC2:TGID_Z_EN: 0
; COMPUTE_PGM_RSRC2:TIDIG_COMP_CNT: 0
	.section	.text._ZN7rocprim17ROCPRIM_400000_NS6detail44device_merge_sort_compile_time_verifier_archINS1_11comp_targetILNS1_3genE5ELNS1_11target_archE942ELNS1_3gpuE9ELNS1_3repE0EEES8_NS0_14default_configES9_NS1_37merge_sort_block_sort_config_selectorIlNS0_10empty_typeEEENS1_38merge_sort_block_merge_config_selectorIlSB_EEEEvv,"axG",@progbits,_ZN7rocprim17ROCPRIM_400000_NS6detail44device_merge_sort_compile_time_verifier_archINS1_11comp_targetILNS1_3genE5ELNS1_11target_archE942ELNS1_3gpuE9ELNS1_3repE0EEES8_NS0_14default_configES9_NS1_37merge_sort_block_sort_config_selectorIlNS0_10empty_typeEEENS1_38merge_sort_block_merge_config_selectorIlSB_EEEEvv,comdat
	.protected	_ZN7rocprim17ROCPRIM_400000_NS6detail44device_merge_sort_compile_time_verifier_archINS1_11comp_targetILNS1_3genE5ELNS1_11target_archE942ELNS1_3gpuE9ELNS1_3repE0EEES8_NS0_14default_configES9_NS1_37merge_sort_block_sort_config_selectorIlNS0_10empty_typeEEENS1_38merge_sort_block_merge_config_selectorIlSB_EEEEvv ; -- Begin function _ZN7rocprim17ROCPRIM_400000_NS6detail44device_merge_sort_compile_time_verifier_archINS1_11comp_targetILNS1_3genE5ELNS1_11target_archE942ELNS1_3gpuE9ELNS1_3repE0EEES8_NS0_14default_configES9_NS1_37merge_sort_block_sort_config_selectorIlNS0_10empty_typeEEENS1_38merge_sort_block_merge_config_selectorIlSB_EEEEvv
	.globl	_ZN7rocprim17ROCPRIM_400000_NS6detail44device_merge_sort_compile_time_verifier_archINS1_11comp_targetILNS1_3genE5ELNS1_11target_archE942ELNS1_3gpuE9ELNS1_3repE0EEES8_NS0_14default_configES9_NS1_37merge_sort_block_sort_config_selectorIlNS0_10empty_typeEEENS1_38merge_sort_block_merge_config_selectorIlSB_EEEEvv
	.p2align	8
	.type	_ZN7rocprim17ROCPRIM_400000_NS6detail44device_merge_sort_compile_time_verifier_archINS1_11comp_targetILNS1_3genE5ELNS1_11target_archE942ELNS1_3gpuE9ELNS1_3repE0EEES8_NS0_14default_configES9_NS1_37merge_sort_block_sort_config_selectorIlNS0_10empty_typeEEENS1_38merge_sort_block_merge_config_selectorIlSB_EEEEvv,@function
_ZN7rocprim17ROCPRIM_400000_NS6detail44device_merge_sort_compile_time_verifier_archINS1_11comp_targetILNS1_3genE5ELNS1_11target_archE942ELNS1_3gpuE9ELNS1_3repE0EEES8_NS0_14default_configES9_NS1_37merge_sort_block_sort_config_selectorIlNS0_10empty_typeEEENS1_38merge_sort_block_merge_config_selectorIlSB_EEEEvv: ; @_ZN7rocprim17ROCPRIM_400000_NS6detail44device_merge_sort_compile_time_verifier_archINS1_11comp_targetILNS1_3genE5ELNS1_11target_archE942ELNS1_3gpuE9ELNS1_3repE0EEES8_NS0_14default_configES9_NS1_37merge_sort_block_sort_config_selectorIlNS0_10empty_typeEEENS1_38merge_sort_block_merge_config_selectorIlSB_EEEEvv
; %bb.0:
	s_endpgm
	.section	.rodata,"a",@progbits
	.p2align	6, 0x0
	.amdhsa_kernel _ZN7rocprim17ROCPRIM_400000_NS6detail44device_merge_sort_compile_time_verifier_archINS1_11comp_targetILNS1_3genE5ELNS1_11target_archE942ELNS1_3gpuE9ELNS1_3repE0EEES8_NS0_14default_configES9_NS1_37merge_sort_block_sort_config_selectorIlNS0_10empty_typeEEENS1_38merge_sort_block_merge_config_selectorIlSB_EEEEvv
		.amdhsa_group_segment_fixed_size 0
		.amdhsa_private_segment_fixed_size 0
		.amdhsa_kernarg_size 0
		.amdhsa_user_sgpr_count 0
		.amdhsa_user_sgpr_dispatch_ptr 0
		.amdhsa_user_sgpr_queue_ptr 0
		.amdhsa_user_sgpr_kernarg_segment_ptr 0
		.amdhsa_user_sgpr_dispatch_id 0
		.amdhsa_user_sgpr_kernarg_preload_length 0
		.amdhsa_user_sgpr_kernarg_preload_offset 0
		.amdhsa_user_sgpr_private_segment_size 0
		.amdhsa_wavefront_size32 1
		.amdhsa_uses_dynamic_stack 0
		.amdhsa_enable_private_segment 0
		.amdhsa_system_sgpr_workgroup_id_x 1
		.amdhsa_system_sgpr_workgroup_id_y 0
		.amdhsa_system_sgpr_workgroup_id_z 0
		.amdhsa_system_sgpr_workgroup_info 0
		.amdhsa_system_vgpr_workitem_id 0
		.amdhsa_next_free_vgpr 1
		.amdhsa_next_free_sgpr 1
		.amdhsa_named_barrier_count 0
		.amdhsa_reserve_vcc 0
		.amdhsa_float_round_mode_32 0
		.amdhsa_float_round_mode_16_64 0
		.amdhsa_float_denorm_mode_32 3
		.amdhsa_float_denorm_mode_16_64 3
		.amdhsa_fp16_overflow 0
		.amdhsa_memory_ordered 1
		.amdhsa_forward_progress 1
		.amdhsa_inst_pref_size 1
		.amdhsa_round_robin_scheduling 0
		.amdhsa_exception_fp_ieee_invalid_op 0
		.amdhsa_exception_fp_denorm_src 0
		.amdhsa_exception_fp_ieee_div_zero 0
		.amdhsa_exception_fp_ieee_overflow 0
		.amdhsa_exception_fp_ieee_underflow 0
		.amdhsa_exception_fp_ieee_inexact 0
		.amdhsa_exception_int_div_zero 0
	.end_amdhsa_kernel
	.section	.text._ZN7rocprim17ROCPRIM_400000_NS6detail44device_merge_sort_compile_time_verifier_archINS1_11comp_targetILNS1_3genE5ELNS1_11target_archE942ELNS1_3gpuE9ELNS1_3repE0EEES8_NS0_14default_configES9_NS1_37merge_sort_block_sort_config_selectorIlNS0_10empty_typeEEENS1_38merge_sort_block_merge_config_selectorIlSB_EEEEvv,"axG",@progbits,_ZN7rocprim17ROCPRIM_400000_NS6detail44device_merge_sort_compile_time_verifier_archINS1_11comp_targetILNS1_3genE5ELNS1_11target_archE942ELNS1_3gpuE9ELNS1_3repE0EEES8_NS0_14default_configES9_NS1_37merge_sort_block_sort_config_selectorIlNS0_10empty_typeEEENS1_38merge_sort_block_merge_config_selectorIlSB_EEEEvv,comdat
.Lfunc_end1:
	.size	_ZN7rocprim17ROCPRIM_400000_NS6detail44device_merge_sort_compile_time_verifier_archINS1_11comp_targetILNS1_3genE5ELNS1_11target_archE942ELNS1_3gpuE9ELNS1_3repE0EEES8_NS0_14default_configES9_NS1_37merge_sort_block_sort_config_selectorIlNS0_10empty_typeEEENS1_38merge_sort_block_merge_config_selectorIlSB_EEEEvv, .Lfunc_end1-_ZN7rocprim17ROCPRIM_400000_NS6detail44device_merge_sort_compile_time_verifier_archINS1_11comp_targetILNS1_3genE5ELNS1_11target_archE942ELNS1_3gpuE9ELNS1_3repE0EEES8_NS0_14default_configES9_NS1_37merge_sort_block_sort_config_selectorIlNS0_10empty_typeEEENS1_38merge_sort_block_merge_config_selectorIlSB_EEEEvv
                                        ; -- End function
	.set _ZN7rocprim17ROCPRIM_400000_NS6detail44device_merge_sort_compile_time_verifier_archINS1_11comp_targetILNS1_3genE5ELNS1_11target_archE942ELNS1_3gpuE9ELNS1_3repE0EEES8_NS0_14default_configES9_NS1_37merge_sort_block_sort_config_selectorIlNS0_10empty_typeEEENS1_38merge_sort_block_merge_config_selectorIlSB_EEEEvv.num_vgpr, 0
	.set _ZN7rocprim17ROCPRIM_400000_NS6detail44device_merge_sort_compile_time_verifier_archINS1_11comp_targetILNS1_3genE5ELNS1_11target_archE942ELNS1_3gpuE9ELNS1_3repE0EEES8_NS0_14default_configES9_NS1_37merge_sort_block_sort_config_selectorIlNS0_10empty_typeEEENS1_38merge_sort_block_merge_config_selectorIlSB_EEEEvv.num_agpr, 0
	.set _ZN7rocprim17ROCPRIM_400000_NS6detail44device_merge_sort_compile_time_verifier_archINS1_11comp_targetILNS1_3genE5ELNS1_11target_archE942ELNS1_3gpuE9ELNS1_3repE0EEES8_NS0_14default_configES9_NS1_37merge_sort_block_sort_config_selectorIlNS0_10empty_typeEEENS1_38merge_sort_block_merge_config_selectorIlSB_EEEEvv.numbered_sgpr, 0
	.set _ZN7rocprim17ROCPRIM_400000_NS6detail44device_merge_sort_compile_time_verifier_archINS1_11comp_targetILNS1_3genE5ELNS1_11target_archE942ELNS1_3gpuE9ELNS1_3repE0EEES8_NS0_14default_configES9_NS1_37merge_sort_block_sort_config_selectorIlNS0_10empty_typeEEENS1_38merge_sort_block_merge_config_selectorIlSB_EEEEvv.num_named_barrier, 0
	.set _ZN7rocprim17ROCPRIM_400000_NS6detail44device_merge_sort_compile_time_verifier_archINS1_11comp_targetILNS1_3genE5ELNS1_11target_archE942ELNS1_3gpuE9ELNS1_3repE0EEES8_NS0_14default_configES9_NS1_37merge_sort_block_sort_config_selectorIlNS0_10empty_typeEEENS1_38merge_sort_block_merge_config_selectorIlSB_EEEEvv.private_seg_size, 0
	.set _ZN7rocprim17ROCPRIM_400000_NS6detail44device_merge_sort_compile_time_verifier_archINS1_11comp_targetILNS1_3genE5ELNS1_11target_archE942ELNS1_3gpuE9ELNS1_3repE0EEES8_NS0_14default_configES9_NS1_37merge_sort_block_sort_config_selectorIlNS0_10empty_typeEEENS1_38merge_sort_block_merge_config_selectorIlSB_EEEEvv.uses_vcc, 0
	.set _ZN7rocprim17ROCPRIM_400000_NS6detail44device_merge_sort_compile_time_verifier_archINS1_11comp_targetILNS1_3genE5ELNS1_11target_archE942ELNS1_3gpuE9ELNS1_3repE0EEES8_NS0_14default_configES9_NS1_37merge_sort_block_sort_config_selectorIlNS0_10empty_typeEEENS1_38merge_sort_block_merge_config_selectorIlSB_EEEEvv.uses_flat_scratch, 0
	.set _ZN7rocprim17ROCPRIM_400000_NS6detail44device_merge_sort_compile_time_verifier_archINS1_11comp_targetILNS1_3genE5ELNS1_11target_archE942ELNS1_3gpuE9ELNS1_3repE0EEES8_NS0_14default_configES9_NS1_37merge_sort_block_sort_config_selectorIlNS0_10empty_typeEEENS1_38merge_sort_block_merge_config_selectorIlSB_EEEEvv.has_dyn_sized_stack, 0
	.set _ZN7rocprim17ROCPRIM_400000_NS6detail44device_merge_sort_compile_time_verifier_archINS1_11comp_targetILNS1_3genE5ELNS1_11target_archE942ELNS1_3gpuE9ELNS1_3repE0EEES8_NS0_14default_configES9_NS1_37merge_sort_block_sort_config_selectorIlNS0_10empty_typeEEENS1_38merge_sort_block_merge_config_selectorIlSB_EEEEvv.has_recursion, 0
	.set _ZN7rocprim17ROCPRIM_400000_NS6detail44device_merge_sort_compile_time_verifier_archINS1_11comp_targetILNS1_3genE5ELNS1_11target_archE942ELNS1_3gpuE9ELNS1_3repE0EEES8_NS0_14default_configES9_NS1_37merge_sort_block_sort_config_selectorIlNS0_10empty_typeEEENS1_38merge_sort_block_merge_config_selectorIlSB_EEEEvv.has_indirect_call, 0
	.section	.AMDGPU.csdata,"",@progbits
; Kernel info:
; codeLenInByte = 4
; TotalNumSgprs: 0
; NumVgprs: 0
; ScratchSize: 0
; MemoryBound: 0
; FloatMode: 240
; IeeeMode: 1
; LDSByteSize: 0 bytes/workgroup (compile time only)
; SGPRBlocks: 0
; VGPRBlocks: 0
; NumSGPRsForWavesPerEU: 1
; NumVGPRsForWavesPerEU: 1
; NamedBarCnt: 0
; Occupancy: 16
; WaveLimiterHint : 0
; COMPUTE_PGM_RSRC2:SCRATCH_EN: 0
; COMPUTE_PGM_RSRC2:USER_SGPR: 0
; COMPUTE_PGM_RSRC2:TRAP_HANDLER: 0
; COMPUTE_PGM_RSRC2:TGID_X_EN: 1
; COMPUTE_PGM_RSRC2:TGID_Y_EN: 0
; COMPUTE_PGM_RSRC2:TGID_Z_EN: 0
; COMPUTE_PGM_RSRC2:TIDIG_COMP_CNT: 0
	.section	.text._ZN7rocprim17ROCPRIM_400000_NS6detail44device_merge_sort_compile_time_verifier_archINS1_11comp_targetILNS1_3genE4ELNS1_11target_archE910ELNS1_3gpuE8ELNS1_3repE0EEES8_NS0_14default_configES9_NS1_37merge_sort_block_sort_config_selectorIlNS0_10empty_typeEEENS1_38merge_sort_block_merge_config_selectorIlSB_EEEEvv,"axG",@progbits,_ZN7rocprim17ROCPRIM_400000_NS6detail44device_merge_sort_compile_time_verifier_archINS1_11comp_targetILNS1_3genE4ELNS1_11target_archE910ELNS1_3gpuE8ELNS1_3repE0EEES8_NS0_14default_configES9_NS1_37merge_sort_block_sort_config_selectorIlNS0_10empty_typeEEENS1_38merge_sort_block_merge_config_selectorIlSB_EEEEvv,comdat
	.protected	_ZN7rocprim17ROCPRIM_400000_NS6detail44device_merge_sort_compile_time_verifier_archINS1_11comp_targetILNS1_3genE4ELNS1_11target_archE910ELNS1_3gpuE8ELNS1_3repE0EEES8_NS0_14default_configES9_NS1_37merge_sort_block_sort_config_selectorIlNS0_10empty_typeEEENS1_38merge_sort_block_merge_config_selectorIlSB_EEEEvv ; -- Begin function _ZN7rocprim17ROCPRIM_400000_NS6detail44device_merge_sort_compile_time_verifier_archINS1_11comp_targetILNS1_3genE4ELNS1_11target_archE910ELNS1_3gpuE8ELNS1_3repE0EEES8_NS0_14default_configES9_NS1_37merge_sort_block_sort_config_selectorIlNS0_10empty_typeEEENS1_38merge_sort_block_merge_config_selectorIlSB_EEEEvv
	.globl	_ZN7rocprim17ROCPRIM_400000_NS6detail44device_merge_sort_compile_time_verifier_archINS1_11comp_targetILNS1_3genE4ELNS1_11target_archE910ELNS1_3gpuE8ELNS1_3repE0EEES8_NS0_14default_configES9_NS1_37merge_sort_block_sort_config_selectorIlNS0_10empty_typeEEENS1_38merge_sort_block_merge_config_selectorIlSB_EEEEvv
	.p2align	8
	.type	_ZN7rocprim17ROCPRIM_400000_NS6detail44device_merge_sort_compile_time_verifier_archINS1_11comp_targetILNS1_3genE4ELNS1_11target_archE910ELNS1_3gpuE8ELNS1_3repE0EEES8_NS0_14default_configES9_NS1_37merge_sort_block_sort_config_selectorIlNS0_10empty_typeEEENS1_38merge_sort_block_merge_config_selectorIlSB_EEEEvv,@function
_ZN7rocprim17ROCPRIM_400000_NS6detail44device_merge_sort_compile_time_verifier_archINS1_11comp_targetILNS1_3genE4ELNS1_11target_archE910ELNS1_3gpuE8ELNS1_3repE0EEES8_NS0_14default_configES9_NS1_37merge_sort_block_sort_config_selectorIlNS0_10empty_typeEEENS1_38merge_sort_block_merge_config_selectorIlSB_EEEEvv: ; @_ZN7rocprim17ROCPRIM_400000_NS6detail44device_merge_sort_compile_time_verifier_archINS1_11comp_targetILNS1_3genE4ELNS1_11target_archE910ELNS1_3gpuE8ELNS1_3repE0EEES8_NS0_14default_configES9_NS1_37merge_sort_block_sort_config_selectorIlNS0_10empty_typeEEENS1_38merge_sort_block_merge_config_selectorIlSB_EEEEvv
; %bb.0:
	s_endpgm
	.section	.rodata,"a",@progbits
	.p2align	6, 0x0
	.amdhsa_kernel _ZN7rocprim17ROCPRIM_400000_NS6detail44device_merge_sort_compile_time_verifier_archINS1_11comp_targetILNS1_3genE4ELNS1_11target_archE910ELNS1_3gpuE8ELNS1_3repE0EEES8_NS0_14default_configES9_NS1_37merge_sort_block_sort_config_selectorIlNS0_10empty_typeEEENS1_38merge_sort_block_merge_config_selectorIlSB_EEEEvv
		.amdhsa_group_segment_fixed_size 0
		.amdhsa_private_segment_fixed_size 0
		.amdhsa_kernarg_size 0
		.amdhsa_user_sgpr_count 0
		.amdhsa_user_sgpr_dispatch_ptr 0
		.amdhsa_user_sgpr_queue_ptr 0
		.amdhsa_user_sgpr_kernarg_segment_ptr 0
		.amdhsa_user_sgpr_dispatch_id 0
		.amdhsa_user_sgpr_kernarg_preload_length 0
		.amdhsa_user_sgpr_kernarg_preload_offset 0
		.amdhsa_user_sgpr_private_segment_size 0
		.amdhsa_wavefront_size32 1
		.amdhsa_uses_dynamic_stack 0
		.amdhsa_enable_private_segment 0
		.amdhsa_system_sgpr_workgroup_id_x 1
		.amdhsa_system_sgpr_workgroup_id_y 0
		.amdhsa_system_sgpr_workgroup_id_z 0
		.amdhsa_system_sgpr_workgroup_info 0
		.amdhsa_system_vgpr_workitem_id 0
		.amdhsa_next_free_vgpr 1
		.amdhsa_next_free_sgpr 1
		.amdhsa_named_barrier_count 0
		.amdhsa_reserve_vcc 0
		.amdhsa_float_round_mode_32 0
		.amdhsa_float_round_mode_16_64 0
		.amdhsa_float_denorm_mode_32 3
		.amdhsa_float_denorm_mode_16_64 3
		.amdhsa_fp16_overflow 0
		.amdhsa_memory_ordered 1
		.amdhsa_forward_progress 1
		.amdhsa_inst_pref_size 1
		.amdhsa_round_robin_scheduling 0
		.amdhsa_exception_fp_ieee_invalid_op 0
		.amdhsa_exception_fp_denorm_src 0
		.amdhsa_exception_fp_ieee_div_zero 0
		.amdhsa_exception_fp_ieee_overflow 0
		.amdhsa_exception_fp_ieee_underflow 0
		.amdhsa_exception_fp_ieee_inexact 0
		.amdhsa_exception_int_div_zero 0
	.end_amdhsa_kernel
	.section	.text._ZN7rocprim17ROCPRIM_400000_NS6detail44device_merge_sort_compile_time_verifier_archINS1_11comp_targetILNS1_3genE4ELNS1_11target_archE910ELNS1_3gpuE8ELNS1_3repE0EEES8_NS0_14default_configES9_NS1_37merge_sort_block_sort_config_selectorIlNS0_10empty_typeEEENS1_38merge_sort_block_merge_config_selectorIlSB_EEEEvv,"axG",@progbits,_ZN7rocprim17ROCPRIM_400000_NS6detail44device_merge_sort_compile_time_verifier_archINS1_11comp_targetILNS1_3genE4ELNS1_11target_archE910ELNS1_3gpuE8ELNS1_3repE0EEES8_NS0_14default_configES9_NS1_37merge_sort_block_sort_config_selectorIlNS0_10empty_typeEEENS1_38merge_sort_block_merge_config_selectorIlSB_EEEEvv,comdat
.Lfunc_end2:
	.size	_ZN7rocprim17ROCPRIM_400000_NS6detail44device_merge_sort_compile_time_verifier_archINS1_11comp_targetILNS1_3genE4ELNS1_11target_archE910ELNS1_3gpuE8ELNS1_3repE0EEES8_NS0_14default_configES9_NS1_37merge_sort_block_sort_config_selectorIlNS0_10empty_typeEEENS1_38merge_sort_block_merge_config_selectorIlSB_EEEEvv, .Lfunc_end2-_ZN7rocprim17ROCPRIM_400000_NS6detail44device_merge_sort_compile_time_verifier_archINS1_11comp_targetILNS1_3genE4ELNS1_11target_archE910ELNS1_3gpuE8ELNS1_3repE0EEES8_NS0_14default_configES9_NS1_37merge_sort_block_sort_config_selectorIlNS0_10empty_typeEEENS1_38merge_sort_block_merge_config_selectorIlSB_EEEEvv
                                        ; -- End function
	.set _ZN7rocprim17ROCPRIM_400000_NS6detail44device_merge_sort_compile_time_verifier_archINS1_11comp_targetILNS1_3genE4ELNS1_11target_archE910ELNS1_3gpuE8ELNS1_3repE0EEES8_NS0_14default_configES9_NS1_37merge_sort_block_sort_config_selectorIlNS0_10empty_typeEEENS1_38merge_sort_block_merge_config_selectorIlSB_EEEEvv.num_vgpr, 0
	.set _ZN7rocprim17ROCPRIM_400000_NS6detail44device_merge_sort_compile_time_verifier_archINS1_11comp_targetILNS1_3genE4ELNS1_11target_archE910ELNS1_3gpuE8ELNS1_3repE0EEES8_NS0_14default_configES9_NS1_37merge_sort_block_sort_config_selectorIlNS0_10empty_typeEEENS1_38merge_sort_block_merge_config_selectorIlSB_EEEEvv.num_agpr, 0
	.set _ZN7rocprim17ROCPRIM_400000_NS6detail44device_merge_sort_compile_time_verifier_archINS1_11comp_targetILNS1_3genE4ELNS1_11target_archE910ELNS1_3gpuE8ELNS1_3repE0EEES8_NS0_14default_configES9_NS1_37merge_sort_block_sort_config_selectorIlNS0_10empty_typeEEENS1_38merge_sort_block_merge_config_selectorIlSB_EEEEvv.numbered_sgpr, 0
	.set _ZN7rocprim17ROCPRIM_400000_NS6detail44device_merge_sort_compile_time_verifier_archINS1_11comp_targetILNS1_3genE4ELNS1_11target_archE910ELNS1_3gpuE8ELNS1_3repE0EEES8_NS0_14default_configES9_NS1_37merge_sort_block_sort_config_selectorIlNS0_10empty_typeEEENS1_38merge_sort_block_merge_config_selectorIlSB_EEEEvv.num_named_barrier, 0
	.set _ZN7rocprim17ROCPRIM_400000_NS6detail44device_merge_sort_compile_time_verifier_archINS1_11comp_targetILNS1_3genE4ELNS1_11target_archE910ELNS1_3gpuE8ELNS1_3repE0EEES8_NS0_14default_configES9_NS1_37merge_sort_block_sort_config_selectorIlNS0_10empty_typeEEENS1_38merge_sort_block_merge_config_selectorIlSB_EEEEvv.private_seg_size, 0
	.set _ZN7rocprim17ROCPRIM_400000_NS6detail44device_merge_sort_compile_time_verifier_archINS1_11comp_targetILNS1_3genE4ELNS1_11target_archE910ELNS1_3gpuE8ELNS1_3repE0EEES8_NS0_14default_configES9_NS1_37merge_sort_block_sort_config_selectorIlNS0_10empty_typeEEENS1_38merge_sort_block_merge_config_selectorIlSB_EEEEvv.uses_vcc, 0
	.set _ZN7rocprim17ROCPRIM_400000_NS6detail44device_merge_sort_compile_time_verifier_archINS1_11comp_targetILNS1_3genE4ELNS1_11target_archE910ELNS1_3gpuE8ELNS1_3repE0EEES8_NS0_14default_configES9_NS1_37merge_sort_block_sort_config_selectorIlNS0_10empty_typeEEENS1_38merge_sort_block_merge_config_selectorIlSB_EEEEvv.uses_flat_scratch, 0
	.set _ZN7rocprim17ROCPRIM_400000_NS6detail44device_merge_sort_compile_time_verifier_archINS1_11comp_targetILNS1_3genE4ELNS1_11target_archE910ELNS1_3gpuE8ELNS1_3repE0EEES8_NS0_14default_configES9_NS1_37merge_sort_block_sort_config_selectorIlNS0_10empty_typeEEENS1_38merge_sort_block_merge_config_selectorIlSB_EEEEvv.has_dyn_sized_stack, 0
	.set _ZN7rocprim17ROCPRIM_400000_NS6detail44device_merge_sort_compile_time_verifier_archINS1_11comp_targetILNS1_3genE4ELNS1_11target_archE910ELNS1_3gpuE8ELNS1_3repE0EEES8_NS0_14default_configES9_NS1_37merge_sort_block_sort_config_selectorIlNS0_10empty_typeEEENS1_38merge_sort_block_merge_config_selectorIlSB_EEEEvv.has_recursion, 0
	.set _ZN7rocprim17ROCPRIM_400000_NS6detail44device_merge_sort_compile_time_verifier_archINS1_11comp_targetILNS1_3genE4ELNS1_11target_archE910ELNS1_3gpuE8ELNS1_3repE0EEES8_NS0_14default_configES9_NS1_37merge_sort_block_sort_config_selectorIlNS0_10empty_typeEEENS1_38merge_sort_block_merge_config_selectorIlSB_EEEEvv.has_indirect_call, 0
	.section	.AMDGPU.csdata,"",@progbits
; Kernel info:
; codeLenInByte = 4
; TotalNumSgprs: 0
; NumVgprs: 0
; ScratchSize: 0
; MemoryBound: 0
; FloatMode: 240
; IeeeMode: 1
; LDSByteSize: 0 bytes/workgroup (compile time only)
; SGPRBlocks: 0
; VGPRBlocks: 0
; NumSGPRsForWavesPerEU: 1
; NumVGPRsForWavesPerEU: 1
; NamedBarCnt: 0
; Occupancy: 16
; WaveLimiterHint : 0
; COMPUTE_PGM_RSRC2:SCRATCH_EN: 0
; COMPUTE_PGM_RSRC2:USER_SGPR: 0
; COMPUTE_PGM_RSRC2:TRAP_HANDLER: 0
; COMPUTE_PGM_RSRC2:TGID_X_EN: 1
; COMPUTE_PGM_RSRC2:TGID_Y_EN: 0
; COMPUTE_PGM_RSRC2:TGID_Z_EN: 0
; COMPUTE_PGM_RSRC2:TIDIG_COMP_CNT: 0
	.section	.text._ZN7rocprim17ROCPRIM_400000_NS6detail44device_merge_sort_compile_time_verifier_archINS1_11comp_targetILNS1_3genE3ELNS1_11target_archE908ELNS1_3gpuE7ELNS1_3repE0EEES8_NS0_14default_configES9_NS1_37merge_sort_block_sort_config_selectorIlNS0_10empty_typeEEENS1_38merge_sort_block_merge_config_selectorIlSB_EEEEvv,"axG",@progbits,_ZN7rocprim17ROCPRIM_400000_NS6detail44device_merge_sort_compile_time_verifier_archINS1_11comp_targetILNS1_3genE3ELNS1_11target_archE908ELNS1_3gpuE7ELNS1_3repE0EEES8_NS0_14default_configES9_NS1_37merge_sort_block_sort_config_selectorIlNS0_10empty_typeEEENS1_38merge_sort_block_merge_config_selectorIlSB_EEEEvv,comdat
	.protected	_ZN7rocprim17ROCPRIM_400000_NS6detail44device_merge_sort_compile_time_verifier_archINS1_11comp_targetILNS1_3genE3ELNS1_11target_archE908ELNS1_3gpuE7ELNS1_3repE0EEES8_NS0_14default_configES9_NS1_37merge_sort_block_sort_config_selectorIlNS0_10empty_typeEEENS1_38merge_sort_block_merge_config_selectorIlSB_EEEEvv ; -- Begin function _ZN7rocprim17ROCPRIM_400000_NS6detail44device_merge_sort_compile_time_verifier_archINS1_11comp_targetILNS1_3genE3ELNS1_11target_archE908ELNS1_3gpuE7ELNS1_3repE0EEES8_NS0_14default_configES9_NS1_37merge_sort_block_sort_config_selectorIlNS0_10empty_typeEEENS1_38merge_sort_block_merge_config_selectorIlSB_EEEEvv
	.globl	_ZN7rocprim17ROCPRIM_400000_NS6detail44device_merge_sort_compile_time_verifier_archINS1_11comp_targetILNS1_3genE3ELNS1_11target_archE908ELNS1_3gpuE7ELNS1_3repE0EEES8_NS0_14default_configES9_NS1_37merge_sort_block_sort_config_selectorIlNS0_10empty_typeEEENS1_38merge_sort_block_merge_config_selectorIlSB_EEEEvv
	.p2align	8
	.type	_ZN7rocprim17ROCPRIM_400000_NS6detail44device_merge_sort_compile_time_verifier_archINS1_11comp_targetILNS1_3genE3ELNS1_11target_archE908ELNS1_3gpuE7ELNS1_3repE0EEES8_NS0_14default_configES9_NS1_37merge_sort_block_sort_config_selectorIlNS0_10empty_typeEEENS1_38merge_sort_block_merge_config_selectorIlSB_EEEEvv,@function
_ZN7rocprim17ROCPRIM_400000_NS6detail44device_merge_sort_compile_time_verifier_archINS1_11comp_targetILNS1_3genE3ELNS1_11target_archE908ELNS1_3gpuE7ELNS1_3repE0EEES8_NS0_14default_configES9_NS1_37merge_sort_block_sort_config_selectorIlNS0_10empty_typeEEENS1_38merge_sort_block_merge_config_selectorIlSB_EEEEvv: ; @_ZN7rocprim17ROCPRIM_400000_NS6detail44device_merge_sort_compile_time_verifier_archINS1_11comp_targetILNS1_3genE3ELNS1_11target_archE908ELNS1_3gpuE7ELNS1_3repE0EEES8_NS0_14default_configES9_NS1_37merge_sort_block_sort_config_selectorIlNS0_10empty_typeEEENS1_38merge_sort_block_merge_config_selectorIlSB_EEEEvv
; %bb.0:
	s_endpgm
	.section	.rodata,"a",@progbits
	.p2align	6, 0x0
	.amdhsa_kernel _ZN7rocprim17ROCPRIM_400000_NS6detail44device_merge_sort_compile_time_verifier_archINS1_11comp_targetILNS1_3genE3ELNS1_11target_archE908ELNS1_3gpuE7ELNS1_3repE0EEES8_NS0_14default_configES9_NS1_37merge_sort_block_sort_config_selectorIlNS0_10empty_typeEEENS1_38merge_sort_block_merge_config_selectorIlSB_EEEEvv
		.amdhsa_group_segment_fixed_size 0
		.amdhsa_private_segment_fixed_size 0
		.amdhsa_kernarg_size 0
		.amdhsa_user_sgpr_count 0
		.amdhsa_user_sgpr_dispatch_ptr 0
		.amdhsa_user_sgpr_queue_ptr 0
		.amdhsa_user_sgpr_kernarg_segment_ptr 0
		.amdhsa_user_sgpr_dispatch_id 0
		.amdhsa_user_sgpr_kernarg_preload_length 0
		.amdhsa_user_sgpr_kernarg_preload_offset 0
		.amdhsa_user_sgpr_private_segment_size 0
		.amdhsa_wavefront_size32 1
		.amdhsa_uses_dynamic_stack 0
		.amdhsa_enable_private_segment 0
		.amdhsa_system_sgpr_workgroup_id_x 1
		.amdhsa_system_sgpr_workgroup_id_y 0
		.amdhsa_system_sgpr_workgroup_id_z 0
		.amdhsa_system_sgpr_workgroup_info 0
		.amdhsa_system_vgpr_workitem_id 0
		.amdhsa_next_free_vgpr 1
		.amdhsa_next_free_sgpr 1
		.amdhsa_named_barrier_count 0
		.amdhsa_reserve_vcc 0
		.amdhsa_float_round_mode_32 0
		.amdhsa_float_round_mode_16_64 0
		.amdhsa_float_denorm_mode_32 3
		.amdhsa_float_denorm_mode_16_64 3
		.amdhsa_fp16_overflow 0
		.amdhsa_memory_ordered 1
		.amdhsa_forward_progress 1
		.amdhsa_inst_pref_size 1
		.amdhsa_round_robin_scheduling 0
		.amdhsa_exception_fp_ieee_invalid_op 0
		.amdhsa_exception_fp_denorm_src 0
		.amdhsa_exception_fp_ieee_div_zero 0
		.amdhsa_exception_fp_ieee_overflow 0
		.amdhsa_exception_fp_ieee_underflow 0
		.amdhsa_exception_fp_ieee_inexact 0
		.amdhsa_exception_int_div_zero 0
	.end_amdhsa_kernel
	.section	.text._ZN7rocprim17ROCPRIM_400000_NS6detail44device_merge_sort_compile_time_verifier_archINS1_11comp_targetILNS1_3genE3ELNS1_11target_archE908ELNS1_3gpuE7ELNS1_3repE0EEES8_NS0_14default_configES9_NS1_37merge_sort_block_sort_config_selectorIlNS0_10empty_typeEEENS1_38merge_sort_block_merge_config_selectorIlSB_EEEEvv,"axG",@progbits,_ZN7rocprim17ROCPRIM_400000_NS6detail44device_merge_sort_compile_time_verifier_archINS1_11comp_targetILNS1_3genE3ELNS1_11target_archE908ELNS1_3gpuE7ELNS1_3repE0EEES8_NS0_14default_configES9_NS1_37merge_sort_block_sort_config_selectorIlNS0_10empty_typeEEENS1_38merge_sort_block_merge_config_selectorIlSB_EEEEvv,comdat
.Lfunc_end3:
	.size	_ZN7rocprim17ROCPRIM_400000_NS6detail44device_merge_sort_compile_time_verifier_archINS1_11comp_targetILNS1_3genE3ELNS1_11target_archE908ELNS1_3gpuE7ELNS1_3repE0EEES8_NS0_14default_configES9_NS1_37merge_sort_block_sort_config_selectorIlNS0_10empty_typeEEENS1_38merge_sort_block_merge_config_selectorIlSB_EEEEvv, .Lfunc_end3-_ZN7rocprim17ROCPRIM_400000_NS6detail44device_merge_sort_compile_time_verifier_archINS1_11comp_targetILNS1_3genE3ELNS1_11target_archE908ELNS1_3gpuE7ELNS1_3repE0EEES8_NS0_14default_configES9_NS1_37merge_sort_block_sort_config_selectorIlNS0_10empty_typeEEENS1_38merge_sort_block_merge_config_selectorIlSB_EEEEvv
                                        ; -- End function
	.set _ZN7rocprim17ROCPRIM_400000_NS6detail44device_merge_sort_compile_time_verifier_archINS1_11comp_targetILNS1_3genE3ELNS1_11target_archE908ELNS1_3gpuE7ELNS1_3repE0EEES8_NS0_14default_configES9_NS1_37merge_sort_block_sort_config_selectorIlNS0_10empty_typeEEENS1_38merge_sort_block_merge_config_selectorIlSB_EEEEvv.num_vgpr, 0
	.set _ZN7rocprim17ROCPRIM_400000_NS6detail44device_merge_sort_compile_time_verifier_archINS1_11comp_targetILNS1_3genE3ELNS1_11target_archE908ELNS1_3gpuE7ELNS1_3repE0EEES8_NS0_14default_configES9_NS1_37merge_sort_block_sort_config_selectorIlNS0_10empty_typeEEENS1_38merge_sort_block_merge_config_selectorIlSB_EEEEvv.num_agpr, 0
	.set _ZN7rocprim17ROCPRIM_400000_NS6detail44device_merge_sort_compile_time_verifier_archINS1_11comp_targetILNS1_3genE3ELNS1_11target_archE908ELNS1_3gpuE7ELNS1_3repE0EEES8_NS0_14default_configES9_NS1_37merge_sort_block_sort_config_selectorIlNS0_10empty_typeEEENS1_38merge_sort_block_merge_config_selectorIlSB_EEEEvv.numbered_sgpr, 0
	.set _ZN7rocprim17ROCPRIM_400000_NS6detail44device_merge_sort_compile_time_verifier_archINS1_11comp_targetILNS1_3genE3ELNS1_11target_archE908ELNS1_3gpuE7ELNS1_3repE0EEES8_NS0_14default_configES9_NS1_37merge_sort_block_sort_config_selectorIlNS0_10empty_typeEEENS1_38merge_sort_block_merge_config_selectorIlSB_EEEEvv.num_named_barrier, 0
	.set _ZN7rocprim17ROCPRIM_400000_NS6detail44device_merge_sort_compile_time_verifier_archINS1_11comp_targetILNS1_3genE3ELNS1_11target_archE908ELNS1_3gpuE7ELNS1_3repE0EEES8_NS0_14default_configES9_NS1_37merge_sort_block_sort_config_selectorIlNS0_10empty_typeEEENS1_38merge_sort_block_merge_config_selectorIlSB_EEEEvv.private_seg_size, 0
	.set _ZN7rocprim17ROCPRIM_400000_NS6detail44device_merge_sort_compile_time_verifier_archINS1_11comp_targetILNS1_3genE3ELNS1_11target_archE908ELNS1_3gpuE7ELNS1_3repE0EEES8_NS0_14default_configES9_NS1_37merge_sort_block_sort_config_selectorIlNS0_10empty_typeEEENS1_38merge_sort_block_merge_config_selectorIlSB_EEEEvv.uses_vcc, 0
	.set _ZN7rocprim17ROCPRIM_400000_NS6detail44device_merge_sort_compile_time_verifier_archINS1_11comp_targetILNS1_3genE3ELNS1_11target_archE908ELNS1_3gpuE7ELNS1_3repE0EEES8_NS0_14default_configES9_NS1_37merge_sort_block_sort_config_selectorIlNS0_10empty_typeEEENS1_38merge_sort_block_merge_config_selectorIlSB_EEEEvv.uses_flat_scratch, 0
	.set _ZN7rocprim17ROCPRIM_400000_NS6detail44device_merge_sort_compile_time_verifier_archINS1_11comp_targetILNS1_3genE3ELNS1_11target_archE908ELNS1_3gpuE7ELNS1_3repE0EEES8_NS0_14default_configES9_NS1_37merge_sort_block_sort_config_selectorIlNS0_10empty_typeEEENS1_38merge_sort_block_merge_config_selectorIlSB_EEEEvv.has_dyn_sized_stack, 0
	.set _ZN7rocprim17ROCPRIM_400000_NS6detail44device_merge_sort_compile_time_verifier_archINS1_11comp_targetILNS1_3genE3ELNS1_11target_archE908ELNS1_3gpuE7ELNS1_3repE0EEES8_NS0_14default_configES9_NS1_37merge_sort_block_sort_config_selectorIlNS0_10empty_typeEEENS1_38merge_sort_block_merge_config_selectorIlSB_EEEEvv.has_recursion, 0
	.set _ZN7rocprim17ROCPRIM_400000_NS6detail44device_merge_sort_compile_time_verifier_archINS1_11comp_targetILNS1_3genE3ELNS1_11target_archE908ELNS1_3gpuE7ELNS1_3repE0EEES8_NS0_14default_configES9_NS1_37merge_sort_block_sort_config_selectorIlNS0_10empty_typeEEENS1_38merge_sort_block_merge_config_selectorIlSB_EEEEvv.has_indirect_call, 0
	.section	.AMDGPU.csdata,"",@progbits
; Kernel info:
; codeLenInByte = 4
; TotalNumSgprs: 0
; NumVgprs: 0
; ScratchSize: 0
; MemoryBound: 0
; FloatMode: 240
; IeeeMode: 1
; LDSByteSize: 0 bytes/workgroup (compile time only)
; SGPRBlocks: 0
; VGPRBlocks: 0
; NumSGPRsForWavesPerEU: 1
; NumVGPRsForWavesPerEU: 1
; NamedBarCnt: 0
; Occupancy: 16
; WaveLimiterHint : 0
; COMPUTE_PGM_RSRC2:SCRATCH_EN: 0
; COMPUTE_PGM_RSRC2:USER_SGPR: 0
; COMPUTE_PGM_RSRC2:TRAP_HANDLER: 0
; COMPUTE_PGM_RSRC2:TGID_X_EN: 1
; COMPUTE_PGM_RSRC2:TGID_Y_EN: 0
; COMPUTE_PGM_RSRC2:TGID_Z_EN: 0
; COMPUTE_PGM_RSRC2:TIDIG_COMP_CNT: 0
	.section	.text._ZN7rocprim17ROCPRIM_400000_NS6detail44device_merge_sort_compile_time_verifier_archINS1_11comp_targetILNS1_3genE2ELNS1_11target_archE906ELNS1_3gpuE6ELNS1_3repE0EEES8_NS0_14default_configES9_NS1_37merge_sort_block_sort_config_selectorIlNS0_10empty_typeEEENS1_38merge_sort_block_merge_config_selectorIlSB_EEEEvv,"axG",@progbits,_ZN7rocprim17ROCPRIM_400000_NS6detail44device_merge_sort_compile_time_verifier_archINS1_11comp_targetILNS1_3genE2ELNS1_11target_archE906ELNS1_3gpuE6ELNS1_3repE0EEES8_NS0_14default_configES9_NS1_37merge_sort_block_sort_config_selectorIlNS0_10empty_typeEEENS1_38merge_sort_block_merge_config_selectorIlSB_EEEEvv,comdat
	.protected	_ZN7rocprim17ROCPRIM_400000_NS6detail44device_merge_sort_compile_time_verifier_archINS1_11comp_targetILNS1_3genE2ELNS1_11target_archE906ELNS1_3gpuE6ELNS1_3repE0EEES8_NS0_14default_configES9_NS1_37merge_sort_block_sort_config_selectorIlNS0_10empty_typeEEENS1_38merge_sort_block_merge_config_selectorIlSB_EEEEvv ; -- Begin function _ZN7rocprim17ROCPRIM_400000_NS6detail44device_merge_sort_compile_time_verifier_archINS1_11comp_targetILNS1_3genE2ELNS1_11target_archE906ELNS1_3gpuE6ELNS1_3repE0EEES8_NS0_14default_configES9_NS1_37merge_sort_block_sort_config_selectorIlNS0_10empty_typeEEENS1_38merge_sort_block_merge_config_selectorIlSB_EEEEvv
	.globl	_ZN7rocprim17ROCPRIM_400000_NS6detail44device_merge_sort_compile_time_verifier_archINS1_11comp_targetILNS1_3genE2ELNS1_11target_archE906ELNS1_3gpuE6ELNS1_3repE0EEES8_NS0_14default_configES9_NS1_37merge_sort_block_sort_config_selectorIlNS0_10empty_typeEEENS1_38merge_sort_block_merge_config_selectorIlSB_EEEEvv
	.p2align	8
	.type	_ZN7rocprim17ROCPRIM_400000_NS6detail44device_merge_sort_compile_time_verifier_archINS1_11comp_targetILNS1_3genE2ELNS1_11target_archE906ELNS1_3gpuE6ELNS1_3repE0EEES8_NS0_14default_configES9_NS1_37merge_sort_block_sort_config_selectorIlNS0_10empty_typeEEENS1_38merge_sort_block_merge_config_selectorIlSB_EEEEvv,@function
_ZN7rocprim17ROCPRIM_400000_NS6detail44device_merge_sort_compile_time_verifier_archINS1_11comp_targetILNS1_3genE2ELNS1_11target_archE906ELNS1_3gpuE6ELNS1_3repE0EEES8_NS0_14default_configES9_NS1_37merge_sort_block_sort_config_selectorIlNS0_10empty_typeEEENS1_38merge_sort_block_merge_config_selectorIlSB_EEEEvv: ; @_ZN7rocprim17ROCPRIM_400000_NS6detail44device_merge_sort_compile_time_verifier_archINS1_11comp_targetILNS1_3genE2ELNS1_11target_archE906ELNS1_3gpuE6ELNS1_3repE0EEES8_NS0_14default_configES9_NS1_37merge_sort_block_sort_config_selectorIlNS0_10empty_typeEEENS1_38merge_sort_block_merge_config_selectorIlSB_EEEEvv
; %bb.0:
	s_endpgm
	.section	.rodata,"a",@progbits
	.p2align	6, 0x0
	.amdhsa_kernel _ZN7rocprim17ROCPRIM_400000_NS6detail44device_merge_sort_compile_time_verifier_archINS1_11comp_targetILNS1_3genE2ELNS1_11target_archE906ELNS1_3gpuE6ELNS1_3repE0EEES8_NS0_14default_configES9_NS1_37merge_sort_block_sort_config_selectorIlNS0_10empty_typeEEENS1_38merge_sort_block_merge_config_selectorIlSB_EEEEvv
		.amdhsa_group_segment_fixed_size 0
		.amdhsa_private_segment_fixed_size 0
		.amdhsa_kernarg_size 0
		.amdhsa_user_sgpr_count 0
		.amdhsa_user_sgpr_dispatch_ptr 0
		.amdhsa_user_sgpr_queue_ptr 0
		.amdhsa_user_sgpr_kernarg_segment_ptr 0
		.amdhsa_user_sgpr_dispatch_id 0
		.amdhsa_user_sgpr_kernarg_preload_length 0
		.amdhsa_user_sgpr_kernarg_preload_offset 0
		.amdhsa_user_sgpr_private_segment_size 0
		.amdhsa_wavefront_size32 1
		.amdhsa_uses_dynamic_stack 0
		.amdhsa_enable_private_segment 0
		.amdhsa_system_sgpr_workgroup_id_x 1
		.amdhsa_system_sgpr_workgroup_id_y 0
		.amdhsa_system_sgpr_workgroup_id_z 0
		.amdhsa_system_sgpr_workgroup_info 0
		.amdhsa_system_vgpr_workitem_id 0
		.amdhsa_next_free_vgpr 1
		.amdhsa_next_free_sgpr 1
		.amdhsa_named_barrier_count 0
		.amdhsa_reserve_vcc 0
		.amdhsa_float_round_mode_32 0
		.amdhsa_float_round_mode_16_64 0
		.amdhsa_float_denorm_mode_32 3
		.amdhsa_float_denorm_mode_16_64 3
		.amdhsa_fp16_overflow 0
		.amdhsa_memory_ordered 1
		.amdhsa_forward_progress 1
		.amdhsa_inst_pref_size 1
		.amdhsa_round_robin_scheduling 0
		.amdhsa_exception_fp_ieee_invalid_op 0
		.amdhsa_exception_fp_denorm_src 0
		.amdhsa_exception_fp_ieee_div_zero 0
		.amdhsa_exception_fp_ieee_overflow 0
		.amdhsa_exception_fp_ieee_underflow 0
		.amdhsa_exception_fp_ieee_inexact 0
		.amdhsa_exception_int_div_zero 0
	.end_amdhsa_kernel
	.section	.text._ZN7rocprim17ROCPRIM_400000_NS6detail44device_merge_sort_compile_time_verifier_archINS1_11comp_targetILNS1_3genE2ELNS1_11target_archE906ELNS1_3gpuE6ELNS1_3repE0EEES8_NS0_14default_configES9_NS1_37merge_sort_block_sort_config_selectorIlNS0_10empty_typeEEENS1_38merge_sort_block_merge_config_selectorIlSB_EEEEvv,"axG",@progbits,_ZN7rocprim17ROCPRIM_400000_NS6detail44device_merge_sort_compile_time_verifier_archINS1_11comp_targetILNS1_3genE2ELNS1_11target_archE906ELNS1_3gpuE6ELNS1_3repE0EEES8_NS0_14default_configES9_NS1_37merge_sort_block_sort_config_selectorIlNS0_10empty_typeEEENS1_38merge_sort_block_merge_config_selectorIlSB_EEEEvv,comdat
.Lfunc_end4:
	.size	_ZN7rocprim17ROCPRIM_400000_NS6detail44device_merge_sort_compile_time_verifier_archINS1_11comp_targetILNS1_3genE2ELNS1_11target_archE906ELNS1_3gpuE6ELNS1_3repE0EEES8_NS0_14default_configES9_NS1_37merge_sort_block_sort_config_selectorIlNS0_10empty_typeEEENS1_38merge_sort_block_merge_config_selectorIlSB_EEEEvv, .Lfunc_end4-_ZN7rocprim17ROCPRIM_400000_NS6detail44device_merge_sort_compile_time_verifier_archINS1_11comp_targetILNS1_3genE2ELNS1_11target_archE906ELNS1_3gpuE6ELNS1_3repE0EEES8_NS0_14default_configES9_NS1_37merge_sort_block_sort_config_selectorIlNS0_10empty_typeEEENS1_38merge_sort_block_merge_config_selectorIlSB_EEEEvv
                                        ; -- End function
	.set _ZN7rocprim17ROCPRIM_400000_NS6detail44device_merge_sort_compile_time_verifier_archINS1_11comp_targetILNS1_3genE2ELNS1_11target_archE906ELNS1_3gpuE6ELNS1_3repE0EEES8_NS0_14default_configES9_NS1_37merge_sort_block_sort_config_selectorIlNS0_10empty_typeEEENS1_38merge_sort_block_merge_config_selectorIlSB_EEEEvv.num_vgpr, 0
	.set _ZN7rocprim17ROCPRIM_400000_NS6detail44device_merge_sort_compile_time_verifier_archINS1_11comp_targetILNS1_3genE2ELNS1_11target_archE906ELNS1_3gpuE6ELNS1_3repE0EEES8_NS0_14default_configES9_NS1_37merge_sort_block_sort_config_selectorIlNS0_10empty_typeEEENS1_38merge_sort_block_merge_config_selectorIlSB_EEEEvv.num_agpr, 0
	.set _ZN7rocprim17ROCPRIM_400000_NS6detail44device_merge_sort_compile_time_verifier_archINS1_11comp_targetILNS1_3genE2ELNS1_11target_archE906ELNS1_3gpuE6ELNS1_3repE0EEES8_NS0_14default_configES9_NS1_37merge_sort_block_sort_config_selectorIlNS0_10empty_typeEEENS1_38merge_sort_block_merge_config_selectorIlSB_EEEEvv.numbered_sgpr, 0
	.set _ZN7rocprim17ROCPRIM_400000_NS6detail44device_merge_sort_compile_time_verifier_archINS1_11comp_targetILNS1_3genE2ELNS1_11target_archE906ELNS1_3gpuE6ELNS1_3repE0EEES8_NS0_14default_configES9_NS1_37merge_sort_block_sort_config_selectorIlNS0_10empty_typeEEENS1_38merge_sort_block_merge_config_selectorIlSB_EEEEvv.num_named_barrier, 0
	.set _ZN7rocprim17ROCPRIM_400000_NS6detail44device_merge_sort_compile_time_verifier_archINS1_11comp_targetILNS1_3genE2ELNS1_11target_archE906ELNS1_3gpuE6ELNS1_3repE0EEES8_NS0_14default_configES9_NS1_37merge_sort_block_sort_config_selectorIlNS0_10empty_typeEEENS1_38merge_sort_block_merge_config_selectorIlSB_EEEEvv.private_seg_size, 0
	.set _ZN7rocprim17ROCPRIM_400000_NS6detail44device_merge_sort_compile_time_verifier_archINS1_11comp_targetILNS1_3genE2ELNS1_11target_archE906ELNS1_3gpuE6ELNS1_3repE0EEES8_NS0_14default_configES9_NS1_37merge_sort_block_sort_config_selectorIlNS0_10empty_typeEEENS1_38merge_sort_block_merge_config_selectorIlSB_EEEEvv.uses_vcc, 0
	.set _ZN7rocprim17ROCPRIM_400000_NS6detail44device_merge_sort_compile_time_verifier_archINS1_11comp_targetILNS1_3genE2ELNS1_11target_archE906ELNS1_3gpuE6ELNS1_3repE0EEES8_NS0_14default_configES9_NS1_37merge_sort_block_sort_config_selectorIlNS0_10empty_typeEEENS1_38merge_sort_block_merge_config_selectorIlSB_EEEEvv.uses_flat_scratch, 0
	.set _ZN7rocprim17ROCPRIM_400000_NS6detail44device_merge_sort_compile_time_verifier_archINS1_11comp_targetILNS1_3genE2ELNS1_11target_archE906ELNS1_3gpuE6ELNS1_3repE0EEES8_NS0_14default_configES9_NS1_37merge_sort_block_sort_config_selectorIlNS0_10empty_typeEEENS1_38merge_sort_block_merge_config_selectorIlSB_EEEEvv.has_dyn_sized_stack, 0
	.set _ZN7rocprim17ROCPRIM_400000_NS6detail44device_merge_sort_compile_time_verifier_archINS1_11comp_targetILNS1_3genE2ELNS1_11target_archE906ELNS1_3gpuE6ELNS1_3repE0EEES8_NS0_14default_configES9_NS1_37merge_sort_block_sort_config_selectorIlNS0_10empty_typeEEENS1_38merge_sort_block_merge_config_selectorIlSB_EEEEvv.has_recursion, 0
	.set _ZN7rocprim17ROCPRIM_400000_NS6detail44device_merge_sort_compile_time_verifier_archINS1_11comp_targetILNS1_3genE2ELNS1_11target_archE906ELNS1_3gpuE6ELNS1_3repE0EEES8_NS0_14default_configES9_NS1_37merge_sort_block_sort_config_selectorIlNS0_10empty_typeEEENS1_38merge_sort_block_merge_config_selectorIlSB_EEEEvv.has_indirect_call, 0
	.section	.AMDGPU.csdata,"",@progbits
; Kernel info:
; codeLenInByte = 4
; TotalNumSgprs: 0
; NumVgprs: 0
; ScratchSize: 0
; MemoryBound: 0
; FloatMode: 240
; IeeeMode: 1
; LDSByteSize: 0 bytes/workgroup (compile time only)
; SGPRBlocks: 0
; VGPRBlocks: 0
; NumSGPRsForWavesPerEU: 1
; NumVGPRsForWavesPerEU: 1
; NamedBarCnt: 0
; Occupancy: 16
; WaveLimiterHint : 0
; COMPUTE_PGM_RSRC2:SCRATCH_EN: 0
; COMPUTE_PGM_RSRC2:USER_SGPR: 0
; COMPUTE_PGM_RSRC2:TRAP_HANDLER: 0
; COMPUTE_PGM_RSRC2:TGID_X_EN: 1
; COMPUTE_PGM_RSRC2:TGID_Y_EN: 0
; COMPUTE_PGM_RSRC2:TGID_Z_EN: 0
; COMPUTE_PGM_RSRC2:TIDIG_COMP_CNT: 0
	.section	.text._ZN7rocprim17ROCPRIM_400000_NS6detail44device_merge_sort_compile_time_verifier_archINS1_11comp_targetILNS1_3genE10ELNS1_11target_archE1201ELNS1_3gpuE5ELNS1_3repE0EEES8_NS0_14default_configES9_NS1_37merge_sort_block_sort_config_selectorIlNS0_10empty_typeEEENS1_38merge_sort_block_merge_config_selectorIlSB_EEEEvv,"axG",@progbits,_ZN7rocprim17ROCPRIM_400000_NS6detail44device_merge_sort_compile_time_verifier_archINS1_11comp_targetILNS1_3genE10ELNS1_11target_archE1201ELNS1_3gpuE5ELNS1_3repE0EEES8_NS0_14default_configES9_NS1_37merge_sort_block_sort_config_selectorIlNS0_10empty_typeEEENS1_38merge_sort_block_merge_config_selectorIlSB_EEEEvv,comdat
	.protected	_ZN7rocprim17ROCPRIM_400000_NS6detail44device_merge_sort_compile_time_verifier_archINS1_11comp_targetILNS1_3genE10ELNS1_11target_archE1201ELNS1_3gpuE5ELNS1_3repE0EEES8_NS0_14default_configES9_NS1_37merge_sort_block_sort_config_selectorIlNS0_10empty_typeEEENS1_38merge_sort_block_merge_config_selectorIlSB_EEEEvv ; -- Begin function _ZN7rocprim17ROCPRIM_400000_NS6detail44device_merge_sort_compile_time_verifier_archINS1_11comp_targetILNS1_3genE10ELNS1_11target_archE1201ELNS1_3gpuE5ELNS1_3repE0EEES8_NS0_14default_configES9_NS1_37merge_sort_block_sort_config_selectorIlNS0_10empty_typeEEENS1_38merge_sort_block_merge_config_selectorIlSB_EEEEvv
	.globl	_ZN7rocprim17ROCPRIM_400000_NS6detail44device_merge_sort_compile_time_verifier_archINS1_11comp_targetILNS1_3genE10ELNS1_11target_archE1201ELNS1_3gpuE5ELNS1_3repE0EEES8_NS0_14default_configES9_NS1_37merge_sort_block_sort_config_selectorIlNS0_10empty_typeEEENS1_38merge_sort_block_merge_config_selectorIlSB_EEEEvv
	.p2align	8
	.type	_ZN7rocprim17ROCPRIM_400000_NS6detail44device_merge_sort_compile_time_verifier_archINS1_11comp_targetILNS1_3genE10ELNS1_11target_archE1201ELNS1_3gpuE5ELNS1_3repE0EEES8_NS0_14default_configES9_NS1_37merge_sort_block_sort_config_selectorIlNS0_10empty_typeEEENS1_38merge_sort_block_merge_config_selectorIlSB_EEEEvv,@function
_ZN7rocprim17ROCPRIM_400000_NS6detail44device_merge_sort_compile_time_verifier_archINS1_11comp_targetILNS1_3genE10ELNS1_11target_archE1201ELNS1_3gpuE5ELNS1_3repE0EEES8_NS0_14default_configES9_NS1_37merge_sort_block_sort_config_selectorIlNS0_10empty_typeEEENS1_38merge_sort_block_merge_config_selectorIlSB_EEEEvv: ; @_ZN7rocprim17ROCPRIM_400000_NS6detail44device_merge_sort_compile_time_verifier_archINS1_11comp_targetILNS1_3genE10ELNS1_11target_archE1201ELNS1_3gpuE5ELNS1_3repE0EEES8_NS0_14default_configES9_NS1_37merge_sort_block_sort_config_selectorIlNS0_10empty_typeEEENS1_38merge_sort_block_merge_config_selectorIlSB_EEEEvv
; %bb.0:
	s_endpgm
	.section	.rodata,"a",@progbits
	.p2align	6, 0x0
	.amdhsa_kernel _ZN7rocprim17ROCPRIM_400000_NS6detail44device_merge_sort_compile_time_verifier_archINS1_11comp_targetILNS1_3genE10ELNS1_11target_archE1201ELNS1_3gpuE5ELNS1_3repE0EEES8_NS0_14default_configES9_NS1_37merge_sort_block_sort_config_selectorIlNS0_10empty_typeEEENS1_38merge_sort_block_merge_config_selectorIlSB_EEEEvv
		.amdhsa_group_segment_fixed_size 0
		.amdhsa_private_segment_fixed_size 0
		.amdhsa_kernarg_size 0
		.amdhsa_user_sgpr_count 0
		.amdhsa_user_sgpr_dispatch_ptr 0
		.amdhsa_user_sgpr_queue_ptr 0
		.amdhsa_user_sgpr_kernarg_segment_ptr 0
		.amdhsa_user_sgpr_dispatch_id 0
		.amdhsa_user_sgpr_kernarg_preload_length 0
		.amdhsa_user_sgpr_kernarg_preload_offset 0
		.amdhsa_user_sgpr_private_segment_size 0
		.amdhsa_wavefront_size32 1
		.amdhsa_uses_dynamic_stack 0
		.amdhsa_enable_private_segment 0
		.amdhsa_system_sgpr_workgroup_id_x 1
		.amdhsa_system_sgpr_workgroup_id_y 0
		.amdhsa_system_sgpr_workgroup_id_z 0
		.amdhsa_system_sgpr_workgroup_info 0
		.amdhsa_system_vgpr_workitem_id 0
		.amdhsa_next_free_vgpr 1
		.amdhsa_next_free_sgpr 1
		.amdhsa_named_barrier_count 0
		.amdhsa_reserve_vcc 0
		.amdhsa_float_round_mode_32 0
		.amdhsa_float_round_mode_16_64 0
		.amdhsa_float_denorm_mode_32 3
		.amdhsa_float_denorm_mode_16_64 3
		.amdhsa_fp16_overflow 0
		.amdhsa_memory_ordered 1
		.amdhsa_forward_progress 1
		.amdhsa_inst_pref_size 1
		.amdhsa_round_robin_scheduling 0
		.amdhsa_exception_fp_ieee_invalid_op 0
		.amdhsa_exception_fp_denorm_src 0
		.amdhsa_exception_fp_ieee_div_zero 0
		.amdhsa_exception_fp_ieee_overflow 0
		.amdhsa_exception_fp_ieee_underflow 0
		.amdhsa_exception_fp_ieee_inexact 0
		.amdhsa_exception_int_div_zero 0
	.end_amdhsa_kernel
	.section	.text._ZN7rocprim17ROCPRIM_400000_NS6detail44device_merge_sort_compile_time_verifier_archINS1_11comp_targetILNS1_3genE10ELNS1_11target_archE1201ELNS1_3gpuE5ELNS1_3repE0EEES8_NS0_14default_configES9_NS1_37merge_sort_block_sort_config_selectorIlNS0_10empty_typeEEENS1_38merge_sort_block_merge_config_selectorIlSB_EEEEvv,"axG",@progbits,_ZN7rocprim17ROCPRIM_400000_NS6detail44device_merge_sort_compile_time_verifier_archINS1_11comp_targetILNS1_3genE10ELNS1_11target_archE1201ELNS1_3gpuE5ELNS1_3repE0EEES8_NS0_14default_configES9_NS1_37merge_sort_block_sort_config_selectorIlNS0_10empty_typeEEENS1_38merge_sort_block_merge_config_selectorIlSB_EEEEvv,comdat
.Lfunc_end5:
	.size	_ZN7rocprim17ROCPRIM_400000_NS6detail44device_merge_sort_compile_time_verifier_archINS1_11comp_targetILNS1_3genE10ELNS1_11target_archE1201ELNS1_3gpuE5ELNS1_3repE0EEES8_NS0_14default_configES9_NS1_37merge_sort_block_sort_config_selectorIlNS0_10empty_typeEEENS1_38merge_sort_block_merge_config_selectorIlSB_EEEEvv, .Lfunc_end5-_ZN7rocprim17ROCPRIM_400000_NS6detail44device_merge_sort_compile_time_verifier_archINS1_11comp_targetILNS1_3genE10ELNS1_11target_archE1201ELNS1_3gpuE5ELNS1_3repE0EEES8_NS0_14default_configES9_NS1_37merge_sort_block_sort_config_selectorIlNS0_10empty_typeEEENS1_38merge_sort_block_merge_config_selectorIlSB_EEEEvv
                                        ; -- End function
	.set _ZN7rocprim17ROCPRIM_400000_NS6detail44device_merge_sort_compile_time_verifier_archINS1_11comp_targetILNS1_3genE10ELNS1_11target_archE1201ELNS1_3gpuE5ELNS1_3repE0EEES8_NS0_14default_configES9_NS1_37merge_sort_block_sort_config_selectorIlNS0_10empty_typeEEENS1_38merge_sort_block_merge_config_selectorIlSB_EEEEvv.num_vgpr, 0
	.set _ZN7rocprim17ROCPRIM_400000_NS6detail44device_merge_sort_compile_time_verifier_archINS1_11comp_targetILNS1_3genE10ELNS1_11target_archE1201ELNS1_3gpuE5ELNS1_3repE0EEES8_NS0_14default_configES9_NS1_37merge_sort_block_sort_config_selectorIlNS0_10empty_typeEEENS1_38merge_sort_block_merge_config_selectorIlSB_EEEEvv.num_agpr, 0
	.set _ZN7rocprim17ROCPRIM_400000_NS6detail44device_merge_sort_compile_time_verifier_archINS1_11comp_targetILNS1_3genE10ELNS1_11target_archE1201ELNS1_3gpuE5ELNS1_3repE0EEES8_NS0_14default_configES9_NS1_37merge_sort_block_sort_config_selectorIlNS0_10empty_typeEEENS1_38merge_sort_block_merge_config_selectorIlSB_EEEEvv.numbered_sgpr, 0
	.set _ZN7rocprim17ROCPRIM_400000_NS6detail44device_merge_sort_compile_time_verifier_archINS1_11comp_targetILNS1_3genE10ELNS1_11target_archE1201ELNS1_3gpuE5ELNS1_3repE0EEES8_NS0_14default_configES9_NS1_37merge_sort_block_sort_config_selectorIlNS0_10empty_typeEEENS1_38merge_sort_block_merge_config_selectorIlSB_EEEEvv.num_named_barrier, 0
	.set _ZN7rocprim17ROCPRIM_400000_NS6detail44device_merge_sort_compile_time_verifier_archINS1_11comp_targetILNS1_3genE10ELNS1_11target_archE1201ELNS1_3gpuE5ELNS1_3repE0EEES8_NS0_14default_configES9_NS1_37merge_sort_block_sort_config_selectorIlNS0_10empty_typeEEENS1_38merge_sort_block_merge_config_selectorIlSB_EEEEvv.private_seg_size, 0
	.set _ZN7rocprim17ROCPRIM_400000_NS6detail44device_merge_sort_compile_time_verifier_archINS1_11comp_targetILNS1_3genE10ELNS1_11target_archE1201ELNS1_3gpuE5ELNS1_3repE0EEES8_NS0_14default_configES9_NS1_37merge_sort_block_sort_config_selectorIlNS0_10empty_typeEEENS1_38merge_sort_block_merge_config_selectorIlSB_EEEEvv.uses_vcc, 0
	.set _ZN7rocprim17ROCPRIM_400000_NS6detail44device_merge_sort_compile_time_verifier_archINS1_11comp_targetILNS1_3genE10ELNS1_11target_archE1201ELNS1_3gpuE5ELNS1_3repE0EEES8_NS0_14default_configES9_NS1_37merge_sort_block_sort_config_selectorIlNS0_10empty_typeEEENS1_38merge_sort_block_merge_config_selectorIlSB_EEEEvv.uses_flat_scratch, 0
	.set _ZN7rocprim17ROCPRIM_400000_NS6detail44device_merge_sort_compile_time_verifier_archINS1_11comp_targetILNS1_3genE10ELNS1_11target_archE1201ELNS1_3gpuE5ELNS1_3repE0EEES8_NS0_14default_configES9_NS1_37merge_sort_block_sort_config_selectorIlNS0_10empty_typeEEENS1_38merge_sort_block_merge_config_selectorIlSB_EEEEvv.has_dyn_sized_stack, 0
	.set _ZN7rocprim17ROCPRIM_400000_NS6detail44device_merge_sort_compile_time_verifier_archINS1_11comp_targetILNS1_3genE10ELNS1_11target_archE1201ELNS1_3gpuE5ELNS1_3repE0EEES8_NS0_14default_configES9_NS1_37merge_sort_block_sort_config_selectorIlNS0_10empty_typeEEENS1_38merge_sort_block_merge_config_selectorIlSB_EEEEvv.has_recursion, 0
	.set _ZN7rocprim17ROCPRIM_400000_NS6detail44device_merge_sort_compile_time_verifier_archINS1_11comp_targetILNS1_3genE10ELNS1_11target_archE1201ELNS1_3gpuE5ELNS1_3repE0EEES8_NS0_14default_configES9_NS1_37merge_sort_block_sort_config_selectorIlNS0_10empty_typeEEENS1_38merge_sort_block_merge_config_selectorIlSB_EEEEvv.has_indirect_call, 0
	.section	.AMDGPU.csdata,"",@progbits
; Kernel info:
; codeLenInByte = 4
; TotalNumSgprs: 0
; NumVgprs: 0
; ScratchSize: 0
; MemoryBound: 0
; FloatMode: 240
; IeeeMode: 1
; LDSByteSize: 0 bytes/workgroup (compile time only)
; SGPRBlocks: 0
; VGPRBlocks: 0
; NumSGPRsForWavesPerEU: 1
; NumVGPRsForWavesPerEU: 1
; NamedBarCnt: 0
; Occupancy: 16
; WaveLimiterHint : 0
; COMPUTE_PGM_RSRC2:SCRATCH_EN: 0
; COMPUTE_PGM_RSRC2:USER_SGPR: 0
; COMPUTE_PGM_RSRC2:TRAP_HANDLER: 0
; COMPUTE_PGM_RSRC2:TGID_X_EN: 1
; COMPUTE_PGM_RSRC2:TGID_Y_EN: 0
; COMPUTE_PGM_RSRC2:TGID_Z_EN: 0
; COMPUTE_PGM_RSRC2:TIDIG_COMP_CNT: 0
	.section	.text._ZN7rocprim17ROCPRIM_400000_NS6detail44device_merge_sort_compile_time_verifier_archINS1_11comp_targetILNS1_3genE10ELNS1_11target_archE1200ELNS1_3gpuE4ELNS1_3repE0EEENS3_ILS4_10ELS5_1201ELS6_5ELS7_0EEENS0_14default_configESA_NS1_37merge_sort_block_sort_config_selectorIlNS0_10empty_typeEEENS1_38merge_sort_block_merge_config_selectorIlSC_EEEEvv,"axG",@progbits,_ZN7rocprim17ROCPRIM_400000_NS6detail44device_merge_sort_compile_time_verifier_archINS1_11comp_targetILNS1_3genE10ELNS1_11target_archE1200ELNS1_3gpuE4ELNS1_3repE0EEENS3_ILS4_10ELS5_1201ELS6_5ELS7_0EEENS0_14default_configESA_NS1_37merge_sort_block_sort_config_selectorIlNS0_10empty_typeEEENS1_38merge_sort_block_merge_config_selectorIlSC_EEEEvv,comdat
	.protected	_ZN7rocprim17ROCPRIM_400000_NS6detail44device_merge_sort_compile_time_verifier_archINS1_11comp_targetILNS1_3genE10ELNS1_11target_archE1200ELNS1_3gpuE4ELNS1_3repE0EEENS3_ILS4_10ELS5_1201ELS6_5ELS7_0EEENS0_14default_configESA_NS1_37merge_sort_block_sort_config_selectorIlNS0_10empty_typeEEENS1_38merge_sort_block_merge_config_selectorIlSC_EEEEvv ; -- Begin function _ZN7rocprim17ROCPRIM_400000_NS6detail44device_merge_sort_compile_time_verifier_archINS1_11comp_targetILNS1_3genE10ELNS1_11target_archE1200ELNS1_3gpuE4ELNS1_3repE0EEENS3_ILS4_10ELS5_1201ELS6_5ELS7_0EEENS0_14default_configESA_NS1_37merge_sort_block_sort_config_selectorIlNS0_10empty_typeEEENS1_38merge_sort_block_merge_config_selectorIlSC_EEEEvv
	.globl	_ZN7rocprim17ROCPRIM_400000_NS6detail44device_merge_sort_compile_time_verifier_archINS1_11comp_targetILNS1_3genE10ELNS1_11target_archE1200ELNS1_3gpuE4ELNS1_3repE0EEENS3_ILS4_10ELS5_1201ELS6_5ELS7_0EEENS0_14default_configESA_NS1_37merge_sort_block_sort_config_selectorIlNS0_10empty_typeEEENS1_38merge_sort_block_merge_config_selectorIlSC_EEEEvv
	.p2align	8
	.type	_ZN7rocprim17ROCPRIM_400000_NS6detail44device_merge_sort_compile_time_verifier_archINS1_11comp_targetILNS1_3genE10ELNS1_11target_archE1200ELNS1_3gpuE4ELNS1_3repE0EEENS3_ILS4_10ELS5_1201ELS6_5ELS7_0EEENS0_14default_configESA_NS1_37merge_sort_block_sort_config_selectorIlNS0_10empty_typeEEENS1_38merge_sort_block_merge_config_selectorIlSC_EEEEvv,@function
_ZN7rocprim17ROCPRIM_400000_NS6detail44device_merge_sort_compile_time_verifier_archINS1_11comp_targetILNS1_3genE10ELNS1_11target_archE1200ELNS1_3gpuE4ELNS1_3repE0EEENS3_ILS4_10ELS5_1201ELS6_5ELS7_0EEENS0_14default_configESA_NS1_37merge_sort_block_sort_config_selectorIlNS0_10empty_typeEEENS1_38merge_sort_block_merge_config_selectorIlSC_EEEEvv: ; @_ZN7rocprim17ROCPRIM_400000_NS6detail44device_merge_sort_compile_time_verifier_archINS1_11comp_targetILNS1_3genE10ELNS1_11target_archE1200ELNS1_3gpuE4ELNS1_3repE0EEENS3_ILS4_10ELS5_1201ELS6_5ELS7_0EEENS0_14default_configESA_NS1_37merge_sort_block_sort_config_selectorIlNS0_10empty_typeEEENS1_38merge_sort_block_merge_config_selectorIlSC_EEEEvv
; %bb.0:
	s_endpgm
	.section	.rodata,"a",@progbits
	.p2align	6, 0x0
	.amdhsa_kernel _ZN7rocprim17ROCPRIM_400000_NS6detail44device_merge_sort_compile_time_verifier_archINS1_11comp_targetILNS1_3genE10ELNS1_11target_archE1200ELNS1_3gpuE4ELNS1_3repE0EEENS3_ILS4_10ELS5_1201ELS6_5ELS7_0EEENS0_14default_configESA_NS1_37merge_sort_block_sort_config_selectorIlNS0_10empty_typeEEENS1_38merge_sort_block_merge_config_selectorIlSC_EEEEvv
		.amdhsa_group_segment_fixed_size 0
		.amdhsa_private_segment_fixed_size 0
		.amdhsa_kernarg_size 0
		.amdhsa_user_sgpr_count 0
		.amdhsa_user_sgpr_dispatch_ptr 0
		.amdhsa_user_sgpr_queue_ptr 0
		.amdhsa_user_sgpr_kernarg_segment_ptr 0
		.amdhsa_user_sgpr_dispatch_id 0
		.amdhsa_user_sgpr_kernarg_preload_length 0
		.amdhsa_user_sgpr_kernarg_preload_offset 0
		.amdhsa_user_sgpr_private_segment_size 0
		.amdhsa_wavefront_size32 1
		.amdhsa_uses_dynamic_stack 0
		.amdhsa_enable_private_segment 0
		.amdhsa_system_sgpr_workgroup_id_x 1
		.amdhsa_system_sgpr_workgroup_id_y 0
		.amdhsa_system_sgpr_workgroup_id_z 0
		.amdhsa_system_sgpr_workgroup_info 0
		.amdhsa_system_vgpr_workitem_id 0
		.amdhsa_next_free_vgpr 1
		.amdhsa_next_free_sgpr 1
		.amdhsa_named_barrier_count 0
		.amdhsa_reserve_vcc 0
		.amdhsa_float_round_mode_32 0
		.amdhsa_float_round_mode_16_64 0
		.amdhsa_float_denorm_mode_32 3
		.amdhsa_float_denorm_mode_16_64 3
		.amdhsa_fp16_overflow 0
		.amdhsa_memory_ordered 1
		.amdhsa_forward_progress 1
		.amdhsa_inst_pref_size 1
		.amdhsa_round_robin_scheduling 0
		.amdhsa_exception_fp_ieee_invalid_op 0
		.amdhsa_exception_fp_denorm_src 0
		.amdhsa_exception_fp_ieee_div_zero 0
		.amdhsa_exception_fp_ieee_overflow 0
		.amdhsa_exception_fp_ieee_underflow 0
		.amdhsa_exception_fp_ieee_inexact 0
		.amdhsa_exception_int_div_zero 0
	.end_amdhsa_kernel
	.section	.text._ZN7rocprim17ROCPRIM_400000_NS6detail44device_merge_sort_compile_time_verifier_archINS1_11comp_targetILNS1_3genE10ELNS1_11target_archE1200ELNS1_3gpuE4ELNS1_3repE0EEENS3_ILS4_10ELS5_1201ELS6_5ELS7_0EEENS0_14default_configESA_NS1_37merge_sort_block_sort_config_selectorIlNS0_10empty_typeEEENS1_38merge_sort_block_merge_config_selectorIlSC_EEEEvv,"axG",@progbits,_ZN7rocprim17ROCPRIM_400000_NS6detail44device_merge_sort_compile_time_verifier_archINS1_11comp_targetILNS1_3genE10ELNS1_11target_archE1200ELNS1_3gpuE4ELNS1_3repE0EEENS3_ILS4_10ELS5_1201ELS6_5ELS7_0EEENS0_14default_configESA_NS1_37merge_sort_block_sort_config_selectorIlNS0_10empty_typeEEENS1_38merge_sort_block_merge_config_selectorIlSC_EEEEvv,comdat
.Lfunc_end6:
	.size	_ZN7rocprim17ROCPRIM_400000_NS6detail44device_merge_sort_compile_time_verifier_archINS1_11comp_targetILNS1_3genE10ELNS1_11target_archE1200ELNS1_3gpuE4ELNS1_3repE0EEENS3_ILS4_10ELS5_1201ELS6_5ELS7_0EEENS0_14default_configESA_NS1_37merge_sort_block_sort_config_selectorIlNS0_10empty_typeEEENS1_38merge_sort_block_merge_config_selectorIlSC_EEEEvv, .Lfunc_end6-_ZN7rocprim17ROCPRIM_400000_NS6detail44device_merge_sort_compile_time_verifier_archINS1_11comp_targetILNS1_3genE10ELNS1_11target_archE1200ELNS1_3gpuE4ELNS1_3repE0EEENS3_ILS4_10ELS5_1201ELS6_5ELS7_0EEENS0_14default_configESA_NS1_37merge_sort_block_sort_config_selectorIlNS0_10empty_typeEEENS1_38merge_sort_block_merge_config_selectorIlSC_EEEEvv
                                        ; -- End function
	.set _ZN7rocprim17ROCPRIM_400000_NS6detail44device_merge_sort_compile_time_verifier_archINS1_11comp_targetILNS1_3genE10ELNS1_11target_archE1200ELNS1_3gpuE4ELNS1_3repE0EEENS3_ILS4_10ELS5_1201ELS6_5ELS7_0EEENS0_14default_configESA_NS1_37merge_sort_block_sort_config_selectorIlNS0_10empty_typeEEENS1_38merge_sort_block_merge_config_selectorIlSC_EEEEvv.num_vgpr, 0
	.set _ZN7rocprim17ROCPRIM_400000_NS6detail44device_merge_sort_compile_time_verifier_archINS1_11comp_targetILNS1_3genE10ELNS1_11target_archE1200ELNS1_3gpuE4ELNS1_3repE0EEENS3_ILS4_10ELS5_1201ELS6_5ELS7_0EEENS0_14default_configESA_NS1_37merge_sort_block_sort_config_selectorIlNS0_10empty_typeEEENS1_38merge_sort_block_merge_config_selectorIlSC_EEEEvv.num_agpr, 0
	.set _ZN7rocprim17ROCPRIM_400000_NS6detail44device_merge_sort_compile_time_verifier_archINS1_11comp_targetILNS1_3genE10ELNS1_11target_archE1200ELNS1_3gpuE4ELNS1_3repE0EEENS3_ILS4_10ELS5_1201ELS6_5ELS7_0EEENS0_14default_configESA_NS1_37merge_sort_block_sort_config_selectorIlNS0_10empty_typeEEENS1_38merge_sort_block_merge_config_selectorIlSC_EEEEvv.numbered_sgpr, 0
	.set _ZN7rocprim17ROCPRIM_400000_NS6detail44device_merge_sort_compile_time_verifier_archINS1_11comp_targetILNS1_3genE10ELNS1_11target_archE1200ELNS1_3gpuE4ELNS1_3repE0EEENS3_ILS4_10ELS5_1201ELS6_5ELS7_0EEENS0_14default_configESA_NS1_37merge_sort_block_sort_config_selectorIlNS0_10empty_typeEEENS1_38merge_sort_block_merge_config_selectorIlSC_EEEEvv.num_named_barrier, 0
	.set _ZN7rocprim17ROCPRIM_400000_NS6detail44device_merge_sort_compile_time_verifier_archINS1_11comp_targetILNS1_3genE10ELNS1_11target_archE1200ELNS1_3gpuE4ELNS1_3repE0EEENS3_ILS4_10ELS5_1201ELS6_5ELS7_0EEENS0_14default_configESA_NS1_37merge_sort_block_sort_config_selectorIlNS0_10empty_typeEEENS1_38merge_sort_block_merge_config_selectorIlSC_EEEEvv.private_seg_size, 0
	.set _ZN7rocprim17ROCPRIM_400000_NS6detail44device_merge_sort_compile_time_verifier_archINS1_11comp_targetILNS1_3genE10ELNS1_11target_archE1200ELNS1_3gpuE4ELNS1_3repE0EEENS3_ILS4_10ELS5_1201ELS6_5ELS7_0EEENS0_14default_configESA_NS1_37merge_sort_block_sort_config_selectorIlNS0_10empty_typeEEENS1_38merge_sort_block_merge_config_selectorIlSC_EEEEvv.uses_vcc, 0
	.set _ZN7rocprim17ROCPRIM_400000_NS6detail44device_merge_sort_compile_time_verifier_archINS1_11comp_targetILNS1_3genE10ELNS1_11target_archE1200ELNS1_3gpuE4ELNS1_3repE0EEENS3_ILS4_10ELS5_1201ELS6_5ELS7_0EEENS0_14default_configESA_NS1_37merge_sort_block_sort_config_selectorIlNS0_10empty_typeEEENS1_38merge_sort_block_merge_config_selectorIlSC_EEEEvv.uses_flat_scratch, 0
	.set _ZN7rocprim17ROCPRIM_400000_NS6detail44device_merge_sort_compile_time_verifier_archINS1_11comp_targetILNS1_3genE10ELNS1_11target_archE1200ELNS1_3gpuE4ELNS1_3repE0EEENS3_ILS4_10ELS5_1201ELS6_5ELS7_0EEENS0_14default_configESA_NS1_37merge_sort_block_sort_config_selectorIlNS0_10empty_typeEEENS1_38merge_sort_block_merge_config_selectorIlSC_EEEEvv.has_dyn_sized_stack, 0
	.set _ZN7rocprim17ROCPRIM_400000_NS6detail44device_merge_sort_compile_time_verifier_archINS1_11comp_targetILNS1_3genE10ELNS1_11target_archE1200ELNS1_3gpuE4ELNS1_3repE0EEENS3_ILS4_10ELS5_1201ELS6_5ELS7_0EEENS0_14default_configESA_NS1_37merge_sort_block_sort_config_selectorIlNS0_10empty_typeEEENS1_38merge_sort_block_merge_config_selectorIlSC_EEEEvv.has_recursion, 0
	.set _ZN7rocprim17ROCPRIM_400000_NS6detail44device_merge_sort_compile_time_verifier_archINS1_11comp_targetILNS1_3genE10ELNS1_11target_archE1200ELNS1_3gpuE4ELNS1_3repE0EEENS3_ILS4_10ELS5_1201ELS6_5ELS7_0EEENS0_14default_configESA_NS1_37merge_sort_block_sort_config_selectorIlNS0_10empty_typeEEENS1_38merge_sort_block_merge_config_selectorIlSC_EEEEvv.has_indirect_call, 0
	.section	.AMDGPU.csdata,"",@progbits
; Kernel info:
; codeLenInByte = 4
; TotalNumSgprs: 0
; NumVgprs: 0
; ScratchSize: 0
; MemoryBound: 0
; FloatMode: 240
; IeeeMode: 1
; LDSByteSize: 0 bytes/workgroup (compile time only)
; SGPRBlocks: 0
; VGPRBlocks: 0
; NumSGPRsForWavesPerEU: 1
; NumVGPRsForWavesPerEU: 1
; NamedBarCnt: 0
; Occupancy: 16
; WaveLimiterHint : 0
; COMPUTE_PGM_RSRC2:SCRATCH_EN: 0
; COMPUTE_PGM_RSRC2:USER_SGPR: 0
; COMPUTE_PGM_RSRC2:TRAP_HANDLER: 0
; COMPUTE_PGM_RSRC2:TGID_X_EN: 1
; COMPUTE_PGM_RSRC2:TGID_Y_EN: 0
; COMPUTE_PGM_RSRC2:TGID_Z_EN: 0
; COMPUTE_PGM_RSRC2:TIDIG_COMP_CNT: 0
	.section	.text._ZN7rocprim17ROCPRIM_400000_NS6detail44device_merge_sort_compile_time_verifier_archINS1_11comp_targetILNS1_3genE9ELNS1_11target_archE1100ELNS1_3gpuE3ELNS1_3repE0EEES8_NS0_14default_configES9_NS1_37merge_sort_block_sort_config_selectorIlNS0_10empty_typeEEENS1_38merge_sort_block_merge_config_selectorIlSB_EEEEvv,"axG",@progbits,_ZN7rocprim17ROCPRIM_400000_NS6detail44device_merge_sort_compile_time_verifier_archINS1_11comp_targetILNS1_3genE9ELNS1_11target_archE1100ELNS1_3gpuE3ELNS1_3repE0EEES8_NS0_14default_configES9_NS1_37merge_sort_block_sort_config_selectorIlNS0_10empty_typeEEENS1_38merge_sort_block_merge_config_selectorIlSB_EEEEvv,comdat
	.protected	_ZN7rocprim17ROCPRIM_400000_NS6detail44device_merge_sort_compile_time_verifier_archINS1_11comp_targetILNS1_3genE9ELNS1_11target_archE1100ELNS1_3gpuE3ELNS1_3repE0EEES8_NS0_14default_configES9_NS1_37merge_sort_block_sort_config_selectorIlNS0_10empty_typeEEENS1_38merge_sort_block_merge_config_selectorIlSB_EEEEvv ; -- Begin function _ZN7rocprim17ROCPRIM_400000_NS6detail44device_merge_sort_compile_time_verifier_archINS1_11comp_targetILNS1_3genE9ELNS1_11target_archE1100ELNS1_3gpuE3ELNS1_3repE0EEES8_NS0_14default_configES9_NS1_37merge_sort_block_sort_config_selectorIlNS0_10empty_typeEEENS1_38merge_sort_block_merge_config_selectorIlSB_EEEEvv
	.globl	_ZN7rocprim17ROCPRIM_400000_NS6detail44device_merge_sort_compile_time_verifier_archINS1_11comp_targetILNS1_3genE9ELNS1_11target_archE1100ELNS1_3gpuE3ELNS1_3repE0EEES8_NS0_14default_configES9_NS1_37merge_sort_block_sort_config_selectorIlNS0_10empty_typeEEENS1_38merge_sort_block_merge_config_selectorIlSB_EEEEvv
	.p2align	8
	.type	_ZN7rocprim17ROCPRIM_400000_NS6detail44device_merge_sort_compile_time_verifier_archINS1_11comp_targetILNS1_3genE9ELNS1_11target_archE1100ELNS1_3gpuE3ELNS1_3repE0EEES8_NS0_14default_configES9_NS1_37merge_sort_block_sort_config_selectorIlNS0_10empty_typeEEENS1_38merge_sort_block_merge_config_selectorIlSB_EEEEvv,@function
_ZN7rocprim17ROCPRIM_400000_NS6detail44device_merge_sort_compile_time_verifier_archINS1_11comp_targetILNS1_3genE9ELNS1_11target_archE1100ELNS1_3gpuE3ELNS1_3repE0EEES8_NS0_14default_configES9_NS1_37merge_sort_block_sort_config_selectorIlNS0_10empty_typeEEENS1_38merge_sort_block_merge_config_selectorIlSB_EEEEvv: ; @_ZN7rocprim17ROCPRIM_400000_NS6detail44device_merge_sort_compile_time_verifier_archINS1_11comp_targetILNS1_3genE9ELNS1_11target_archE1100ELNS1_3gpuE3ELNS1_3repE0EEES8_NS0_14default_configES9_NS1_37merge_sort_block_sort_config_selectorIlNS0_10empty_typeEEENS1_38merge_sort_block_merge_config_selectorIlSB_EEEEvv
; %bb.0:
	s_endpgm
	.section	.rodata,"a",@progbits
	.p2align	6, 0x0
	.amdhsa_kernel _ZN7rocprim17ROCPRIM_400000_NS6detail44device_merge_sort_compile_time_verifier_archINS1_11comp_targetILNS1_3genE9ELNS1_11target_archE1100ELNS1_3gpuE3ELNS1_3repE0EEES8_NS0_14default_configES9_NS1_37merge_sort_block_sort_config_selectorIlNS0_10empty_typeEEENS1_38merge_sort_block_merge_config_selectorIlSB_EEEEvv
		.amdhsa_group_segment_fixed_size 0
		.amdhsa_private_segment_fixed_size 0
		.amdhsa_kernarg_size 0
		.amdhsa_user_sgpr_count 0
		.amdhsa_user_sgpr_dispatch_ptr 0
		.amdhsa_user_sgpr_queue_ptr 0
		.amdhsa_user_sgpr_kernarg_segment_ptr 0
		.amdhsa_user_sgpr_dispatch_id 0
		.amdhsa_user_sgpr_kernarg_preload_length 0
		.amdhsa_user_sgpr_kernarg_preload_offset 0
		.amdhsa_user_sgpr_private_segment_size 0
		.amdhsa_wavefront_size32 1
		.amdhsa_uses_dynamic_stack 0
		.amdhsa_enable_private_segment 0
		.amdhsa_system_sgpr_workgroup_id_x 1
		.amdhsa_system_sgpr_workgroup_id_y 0
		.amdhsa_system_sgpr_workgroup_id_z 0
		.amdhsa_system_sgpr_workgroup_info 0
		.amdhsa_system_vgpr_workitem_id 0
		.amdhsa_next_free_vgpr 1
		.amdhsa_next_free_sgpr 1
		.amdhsa_named_barrier_count 0
		.amdhsa_reserve_vcc 0
		.amdhsa_float_round_mode_32 0
		.amdhsa_float_round_mode_16_64 0
		.amdhsa_float_denorm_mode_32 3
		.amdhsa_float_denorm_mode_16_64 3
		.amdhsa_fp16_overflow 0
		.amdhsa_memory_ordered 1
		.amdhsa_forward_progress 1
		.amdhsa_inst_pref_size 1
		.amdhsa_round_robin_scheduling 0
		.amdhsa_exception_fp_ieee_invalid_op 0
		.amdhsa_exception_fp_denorm_src 0
		.amdhsa_exception_fp_ieee_div_zero 0
		.amdhsa_exception_fp_ieee_overflow 0
		.amdhsa_exception_fp_ieee_underflow 0
		.amdhsa_exception_fp_ieee_inexact 0
		.amdhsa_exception_int_div_zero 0
	.end_amdhsa_kernel
	.section	.text._ZN7rocprim17ROCPRIM_400000_NS6detail44device_merge_sort_compile_time_verifier_archINS1_11comp_targetILNS1_3genE9ELNS1_11target_archE1100ELNS1_3gpuE3ELNS1_3repE0EEES8_NS0_14default_configES9_NS1_37merge_sort_block_sort_config_selectorIlNS0_10empty_typeEEENS1_38merge_sort_block_merge_config_selectorIlSB_EEEEvv,"axG",@progbits,_ZN7rocprim17ROCPRIM_400000_NS6detail44device_merge_sort_compile_time_verifier_archINS1_11comp_targetILNS1_3genE9ELNS1_11target_archE1100ELNS1_3gpuE3ELNS1_3repE0EEES8_NS0_14default_configES9_NS1_37merge_sort_block_sort_config_selectorIlNS0_10empty_typeEEENS1_38merge_sort_block_merge_config_selectorIlSB_EEEEvv,comdat
.Lfunc_end7:
	.size	_ZN7rocprim17ROCPRIM_400000_NS6detail44device_merge_sort_compile_time_verifier_archINS1_11comp_targetILNS1_3genE9ELNS1_11target_archE1100ELNS1_3gpuE3ELNS1_3repE0EEES8_NS0_14default_configES9_NS1_37merge_sort_block_sort_config_selectorIlNS0_10empty_typeEEENS1_38merge_sort_block_merge_config_selectorIlSB_EEEEvv, .Lfunc_end7-_ZN7rocprim17ROCPRIM_400000_NS6detail44device_merge_sort_compile_time_verifier_archINS1_11comp_targetILNS1_3genE9ELNS1_11target_archE1100ELNS1_3gpuE3ELNS1_3repE0EEES8_NS0_14default_configES9_NS1_37merge_sort_block_sort_config_selectorIlNS0_10empty_typeEEENS1_38merge_sort_block_merge_config_selectorIlSB_EEEEvv
                                        ; -- End function
	.set _ZN7rocprim17ROCPRIM_400000_NS6detail44device_merge_sort_compile_time_verifier_archINS1_11comp_targetILNS1_3genE9ELNS1_11target_archE1100ELNS1_3gpuE3ELNS1_3repE0EEES8_NS0_14default_configES9_NS1_37merge_sort_block_sort_config_selectorIlNS0_10empty_typeEEENS1_38merge_sort_block_merge_config_selectorIlSB_EEEEvv.num_vgpr, 0
	.set _ZN7rocprim17ROCPRIM_400000_NS6detail44device_merge_sort_compile_time_verifier_archINS1_11comp_targetILNS1_3genE9ELNS1_11target_archE1100ELNS1_3gpuE3ELNS1_3repE0EEES8_NS0_14default_configES9_NS1_37merge_sort_block_sort_config_selectorIlNS0_10empty_typeEEENS1_38merge_sort_block_merge_config_selectorIlSB_EEEEvv.num_agpr, 0
	.set _ZN7rocprim17ROCPRIM_400000_NS6detail44device_merge_sort_compile_time_verifier_archINS1_11comp_targetILNS1_3genE9ELNS1_11target_archE1100ELNS1_3gpuE3ELNS1_3repE0EEES8_NS0_14default_configES9_NS1_37merge_sort_block_sort_config_selectorIlNS0_10empty_typeEEENS1_38merge_sort_block_merge_config_selectorIlSB_EEEEvv.numbered_sgpr, 0
	.set _ZN7rocprim17ROCPRIM_400000_NS6detail44device_merge_sort_compile_time_verifier_archINS1_11comp_targetILNS1_3genE9ELNS1_11target_archE1100ELNS1_3gpuE3ELNS1_3repE0EEES8_NS0_14default_configES9_NS1_37merge_sort_block_sort_config_selectorIlNS0_10empty_typeEEENS1_38merge_sort_block_merge_config_selectorIlSB_EEEEvv.num_named_barrier, 0
	.set _ZN7rocprim17ROCPRIM_400000_NS6detail44device_merge_sort_compile_time_verifier_archINS1_11comp_targetILNS1_3genE9ELNS1_11target_archE1100ELNS1_3gpuE3ELNS1_3repE0EEES8_NS0_14default_configES9_NS1_37merge_sort_block_sort_config_selectorIlNS0_10empty_typeEEENS1_38merge_sort_block_merge_config_selectorIlSB_EEEEvv.private_seg_size, 0
	.set _ZN7rocprim17ROCPRIM_400000_NS6detail44device_merge_sort_compile_time_verifier_archINS1_11comp_targetILNS1_3genE9ELNS1_11target_archE1100ELNS1_3gpuE3ELNS1_3repE0EEES8_NS0_14default_configES9_NS1_37merge_sort_block_sort_config_selectorIlNS0_10empty_typeEEENS1_38merge_sort_block_merge_config_selectorIlSB_EEEEvv.uses_vcc, 0
	.set _ZN7rocprim17ROCPRIM_400000_NS6detail44device_merge_sort_compile_time_verifier_archINS1_11comp_targetILNS1_3genE9ELNS1_11target_archE1100ELNS1_3gpuE3ELNS1_3repE0EEES8_NS0_14default_configES9_NS1_37merge_sort_block_sort_config_selectorIlNS0_10empty_typeEEENS1_38merge_sort_block_merge_config_selectorIlSB_EEEEvv.uses_flat_scratch, 0
	.set _ZN7rocprim17ROCPRIM_400000_NS6detail44device_merge_sort_compile_time_verifier_archINS1_11comp_targetILNS1_3genE9ELNS1_11target_archE1100ELNS1_3gpuE3ELNS1_3repE0EEES8_NS0_14default_configES9_NS1_37merge_sort_block_sort_config_selectorIlNS0_10empty_typeEEENS1_38merge_sort_block_merge_config_selectorIlSB_EEEEvv.has_dyn_sized_stack, 0
	.set _ZN7rocprim17ROCPRIM_400000_NS6detail44device_merge_sort_compile_time_verifier_archINS1_11comp_targetILNS1_3genE9ELNS1_11target_archE1100ELNS1_3gpuE3ELNS1_3repE0EEES8_NS0_14default_configES9_NS1_37merge_sort_block_sort_config_selectorIlNS0_10empty_typeEEENS1_38merge_sort_block_merge_config_selectorIlSB_EEEEvv.has_recursion, 0
	.set _ZN7rocprim17ROCPRIM_400000_NS6detail44device_merge_sort_compile_time_verifier_archINS1_11comp_targetILNS1_3genE9ELNS1_11target_archE1100ELNS1_3gpuE3ELNS1_3repE0EEES8_NS0_14default_configES9_NS1_37merge_sort_block_sort_config_selectorIlNS0_10empty_typeEEENS1_38merge_sort_block_merge_config_selectorIlSB_EEEEvv.has_indirect_call, 0
	.section	.AMDGPU.csdata,"",@progbits
; Kernel info:
; codeLenInByte = 4
; TotalNumSgprs: 0
; NumVgprs: 0
; ScratchSize: 0
; MemoryBound: 0
; FloatMode: 240
; IeeeMode: 1
; LDSByteSize: 0 bytes/workgroup (compile time only)
; SGPRBlocks: 0
; VGPRBlocks: 0
; NumSGPRsForWavesPerEU: 1
; NumVGPRsForWavesPerEU: 1
; NamedBarCnt: 0
; Occupancy: 16
; WaveLimiterHint : 0
; COMPUTE_PGM_RSRC2:SCRATCH_EN: 0
; COMPUTE_PGM_RSRC2:USER_SGPR: 0
; COMPUTE_PGM_RSRC2:TRAP_HANDLER: 0
; COMPUTE_PGM_RSRC2:TGID_X_EN: 1
; COMPUTE_PGM_RSRC2:TGID_Y_EN: 0
; COMPUTE_PGM_RSRC2:TGID_Z_EN: 0
; COMPUTE_PGM_RSRC2:TIDIG_COMP_CNT: 0
	.section	.text._ZN7rocprim17ROCPRIM_400000_NS6detail44device_merge_sort_compile_time_verifier_archINS1_11comp_targetILNS1_3genE8ELNS1_11target_archE1030ELNS1_3gpuE2ELNS1_3repE0EEES8_NS0_14default_configES9_NS1_37merge_sort_block_sort_config_selectorIlNS0_10empty_typeEEENS1_38merge_sort_block_merge_config_selectorIlSB_EEEEvv,"axG",@progbits,_ZN7rocprim17ROCPRIM_400000_NS6detail44device_merge_sort_compile_time_verifier_archINS1_11comp_targetILNS1_3genE8ELNS1_11target_archE1030ELNS1_3gpuE2ELNS1_3repE0EEES8_NS0_14default_configES9_NS1_37merge_sort_block_sort_config_selectorIlNS0_10empty_typeEEENS1_38merge_sort_block_merge_config_selectorIlSB_EEEEvv,comdat
	.protected	_ZN7rocprim17ROCPRIM_400000_NS6detail44device_merge_sort_compile_time_verifier_archINS1_11comp_targetILNS1_3genE8ELNS1_11target_archE1030ELNS1_3gpuE2ELNS1_3repE0EEES8_NS0_14default_configES9_NS1_37merge_sort_block_sort_config_selectorIlNS0_10empty_typeEEENS1_38merge_sort_block_merge_config_selectorIlSB_EEEEvv ; -- Begin function _ZN7rocprim17ROCPRIM_400000_NS6detail44device_merge_sort_compile_time_verifier_archINS1_11comp_targetILNS1_3genE8ELNS1_11target_archE1030ELNS1_3gpuE2ELNS1_3repE0EEES8_NS0_14default_configES9_NS1_37merge_sort_block_sort_config_selectorIlNS0_10empty_typeEEENS1_38merge_sort_block_merge_config_selectorIlSB_EEEEvv
	.globl	_ZN7rocprim17ROCPRIM_400000_NS6detail44device_merge_sort_compile_time_verifier_archINS1_11comp_targetILNS1_3genE8ELNS1_11target_archE1030ELNS1_3gpuE2ELNS1_3repE0EEES8_NS0_14default_configES9_NS1_37merge_sort_block_sort_config_selectorIlNS0_10empty_typeEEENS1_38merge_sort_block_merge_config_selectorIlSB_EEEEvv
	.p2align	8
	.type	_ZN7rocprim17ROCPRIM_400000_NS6detail44device_merge_sort_compile_time_verifier_archINS1_11comp_targetILNS1_3genE8ELNS1_11target_archE1030ELNS1_3gpuE2ELNS1_3repE0EEES8_NS0_14default_configES9_NS1_37merge_sort_block_sort_config_selectorIlNS0_10empty_typeEEENS1_38merge_sort_block_merge_config_selectorIlSB_EEEEvv,@function
_ZN7rocprim17ROCPRIM_400000_NS6detail44device_merge_sort_compile_time_verifier_archINS1_11comp_targetILNS1_3genE8ELNS1_11target_archE1030ELNS1_3gpuE2ELNS1_3repE0EEES8_NS0_14default_configES9_NS1_37merge_sort_block_sort_config_selectorIlNS0_10empty_typeEEENS1_38merge_sort_block_merge_config_selectorIlSB_EEEEvv: ; @_ZN7rocprim17ROCPRIM_400000_NS6detail44device_merge_sort_compile_time_verifier_archINS1_11comp_targetILNS1_3genE8ELNS1_11target_archE1030ELNS1_3gpuE2ELNS1_3repE0EEES8_NS0_14default_configES9_NS1_37merge_sort_block_sort_config_selectorIlNS0_10empty_typeEEENS1_38merge_sort_block_merge_config_selectorIlSB_EEEEvv
; %bb.0:
	s_endpgm
	.section	.rodata,"a",@progbits
	.p2align	6, 0x0
	.amdhsa_kernel _ZN7rocprim17ROCPRIM_400000_NS6detail44device_merge_sort_compile_time_verifier_archINS1_11comp_targetILNS1_3genE8ELNS1_11target_archE1030ELNS1_3gpuE2ELNS1_3repE0EEES8_NS0_14default_configES9_NS1_37merge_sort_block_sort_config_selectorIlNS0_10empty_typeEEENS1_38merge_sort_block_merge_config_selectorIlSB_EEEEvv
		.amdhsa_group_segment_fixed_size 0
		.amdhsa_private_segment_fixed_size 0
		.amdhsa_kernarg_size 0
		.amdhsa_user_sgpr_count 0
		.amdhsa_user_sgpr_dispatch_ptr 0
		.amdhsa_user_sgpr_queue_ptr 0
		.amdhsa_user_sgpr_kernarg_segment_ptr 0
		.amdhsa_user_sgpr_dispatch_id 0
		.amdhsa_user_sgpr_kernarg_preload_length 0
		.amdhsa_user_sgpr_kernarg_preload_offset 0
		.amdhsa_user_sgpr_private_segment_size 0
		.amdhsa_wavefront_size32 1
		.amdhsa_uses_dynamic_stack 0
		.amdhsa_enable_private_segment 0
		.amdhsa_system_sgpr_workgroup_id_x 1
		.amdhsa_system_sgpr_workgroup_id_y 0
		.amdhsa_system_sgpr_workgroup_id_z 0
		.amdhsa_system_sgpr_workgroup_info 0
		.amdhsa_system_vgpr_workitem_id 0
		.amdhsa_next_free_vgpr 1
		.amdhsa_next_free_sgpr 1
		.amdhsa_named_barrier_count 0
		.amdhsa_reserve_vcc 0
		.amdhsa_float_round_mode_32 0
		.amdhsa_float_round_mode_16_64 0
		.amdhsa_float_denorm_mode_32 3
		.amdhsa_float_denorm_mode_16_64 3
		.amdhsa_fp16_overflow 0
		.amdhsa_memory_ordered 1
		.amdhsa_forward_progress 1
		.amdhsa_inst_pref_size 1
		.amdhsa_round_robin_scheduling 0
		.amdhsa_exception_fp_ieee_invalid_op 0
		.amdhsa_exception_fp_denorm_src 0
		.amdhsa_exception_fp_ieee_div_zero 0
		.amdhsa_exception_fp_ieee_overflow 0
		.amdhsa_exception_fp_ieee_underflow 0
		.amdhsa_exception_fp_ieee_inexact 0
		.amdhsa_exception_int_div_zero 0
	.end_amdhsa_kernel
	.section	.text._ZN7rocprim17ROCPRIM_400000_NS6detail44device_merge_sort_compile_time_verifier_archINS1_11comp_targetILNS1_3genE8ELNS1_11target_archE1030ELNS1_3gpuE2ELNS1_3repE0EEES8_NS0_14default_configES9_NS1_37merge_sort_block_sort_config_selectorIlNS0_10empty_typeEEENS1_38merge_sort_block_merge_config_selectorIlSB_EEEEvv,"axG",@progbits,_ZN7rocprim17ROCPRIM_400000_NS6detail44device_merge_sort_compile_time_verifier_archINS1_11comp_targetILNS1_3genE8ELNS1_11target_archE1030ELNS1_3gpuE2ELNS1_3repE0EEES8_NS0_14default_configES9_NS1_37merge_sort_block_sort_config_selectorIlNS0_10empty_typeEEENS1_38merge_sort_block_merge_config_selectorIlSB_EEEEvv,comdat
.Lfunc_end8:
	.size	_ZN7rocprim17ROCPRIM_400000_NS6detail44device_merge_sort_compile_time_verifier_archINS1_11comp_targetILNS1_3genE8ELNS1_11target_archE1030ELNS1_3gpuE2ELNS1_3repE0EEES8_NS0_14default_configES9_NS1_37merge_sort_block_sort_config_selectorIlNS0_10empty_typeEEENS1_38merge_sort_block_merge_config_selectorIlSB_EEEEvv, .Lfunc_end8-_ZN7rocprim17ROCPRIM_400000_NS6detail44device_merge_sort_compile_time_verifier_archINS1_11comp_targetILNS1_3genE8ELNS1_11target_archE1030ELNS1_3gpuE2ELNS1_3repE0EEES8_NS0_14default_configES9_NS1_37merge_sort_block_sort_config_selectorIlNS0_10empty_typeEEENS1_38merge_sort_block_merge_config_selectorIlSB_EEEEvv
                                        ; -- End function
	.set _ZN7rocprim17ROCPRIM_400000_NS6detail44device_merge_sort_compile_time_verifier_archINS1_11comp_targetILNS1_3genE8ELNS1_11target_archE1030ELNS1_3gpuE2ELNS1_3repE0EEES8_NS0_14default_configES9_NS1_37merge_sort_block_sort_config_selectorIlNS0_10empty_typeEEENS1_38merge_sort_block_merge_config_selectorIlSB_EEEEvv.num_vgpr, 0
	.set _ZN7rocprim17ROCPRIM_400000_NS6detail44device_merge_sort_compile_time_verifier_archINS1_11comp_targetILNS1_3genE8ELNS1_11target_archE1030ELNS1_3gpuE2ELNS1_3repE0EEES8_NS0_14default_configES9_NS1_37merge_sort_block_sort_config_selectorIlNS0_10empty_typeEEENS1_38merge_sort_block_merge_config_selectorIlSB_EEEEvv.num_agpr, 0
	.set _ZN7rocprim17ROCPRIM_400000_NS6detail44device_merge_sort_compile_time_verifier_archINS1_11comp_targetILNS1_3genE8ELNS1_11target_archE1030ELNS1_3gpuE2ELNS1_3repE0EEES8_NS0_14default_configES9_NS1_37merge_sort_block_sort_config_selectorIlNS0_10empty_typeEEENS1_38merge_sort_block_merge_config_selectorIlSB_EEEEvv.numbered_sgpr, 0
	.set _ZN7rocprim17ROCPRIM_400000_NS6detail44device_merge_sort_compile_time_verifier_archINS1_11comp_targetILNS1_3genE8ELNS1_11target_archE1030ELNS1_3gpuE2ELNS1_3repE0EEES8_NS0_14default_configES9_NS1_37merge_sort_block_sort_config_selectorIlNS0_10empty_typeEEENS1_38merge_sort_block_merge_config_selectorIlSB_EEEEvv.num_named_barrier, 0
	.set _ZN7rocprim17ROCPRIM_400000_NS6detail44device_merge_sort_compile_time_verifier_archINS1_11comp_targetILNS1_3genE8ELNS1_11target_archE1030ELNS1_3gpuE2ELNS1_3repE0EEES8_NS0_14default_configES9_NS1_37merge_sort_block_sort_config_selectorIlNS0_10empty_typeEEENS1_38merge_sort_block_merge_config_selectorIlSB_EEEEvv.private_seg_size, 0
	.set _ZN7rocprim17ROCPRIM_400000_NS6detail44device_merge_sort_compile_time_verifier_archINS1_11comp_targetILNS1_3genE8ELNS1_11target_archE1030ELNS1_3gpuE2ELNS1_3repE0EEES8_NS0_14default_configES9_NS1_37merge_sort_block_sort_config_selectorIlNS0_10empty_typeEEENS1_38merge_sort_block_merge_config_selectorIlSB_EEEEvv.uses_vcc, 0
	.set _ZN7rocprim17ROCPRIM_400000_NS6detail44device_merge_sort_compile_time_verifier_archINS1_11comp_targetILNS1_3genE8ELNS1_11target_archE1030ELNS1_3gpuE2ELNS1_3repE0EEES8_NS0_14default_configES9_NS1_37merge_sort_block_sort_config_selectorIlNS0_10empty_typeEEENS1_38merge_sort_block_merge_config_selectorIlSB_EEEEvv.uses_flat_scratch, 0
	.set _ZN7rocprim17ROCPRIM_400000_NS6detail44device_merge_sort_compile_time_verifier_archINS1_11comp_targetILNS1_3genE8ELNS1_11target_archE1030ELNS1_3gpuE2ELNS1_3repE0EEES8_NS0_14default_configES9_NS1_37merge_sort_block_sort_config_selectorIlNS0_10empty_typeEEENS1_38merge_sort_block_merge_config_selectorIlSB_EEEEvv.has_dyn_sized_stack, 0
	.set _ZN7rocprim17ROCPRIM_400000_NS6detail44device_merge_sort_compile_time_verifier_archINS1_11comp_targetILNS1_3genE8ELNS1_11target_archE1030ELNS1_3gpuE2ELNS1_3repE0EEES8_NS0_14default_configES9_NS1_37merge_sort_block_sort_config_selectorIlNS0_10empty_typeEEENS1_38merge_sort_block_merge_config_selectorIlSB_EEEEvv.has_recursion, 0
	.set _ZN7rocprim17ROCPRIM_400000_NS6detail44device_merge_sort_compile_time_verifier_archINS1_11comp_targetILNS1_3genE8ELNS1_11target_archE1030ELNS1_3gpuE2ELNS1_3repE0EEES8_NS0_14default_configES9_NS1_37merge_sort_block_sort_config_selectorIlNS0_10empty_typeEEENS1_38merge_sort_block_merge_config_selectorIlSB_EEEEvv.has_indirect_call, 0
	.section	.AMDGPU.csdata,"",@progbits
; Kernel info:
; codeLenInByte = 4
; TotalNumSgprs: 0
; NumVgprs: 0
; ScratchSize: 0
; MemoryBound: 0
; FloatMode: 240
; IeeeMode: 1
; LDSByteSize: 0 bytes/workgroup (compile time only)
; SGPRBlocks: 0
; VGPRBlocks: 0
; NumSGPRsForWavesPerEU: 1
; NumVGPRsForWavesPerEU: 1
; NamedBarCnt: 0
; Occupancy: 16
; WaveLimiterHint : 0
; COMPUTE_PGM_RSRC2:SCRATCH_EN: 0
; COMPUTE_PGM_RSRC2:USER_SGPR: 0
; COMPUTE_PGM_RSRC2:TRAP_HANDLER: 0
; COMPUTE_PGM_RSRC2:TGID_X_EN: 1
; COMPUTE_PGM_RSRC2:TGID_Y_EN: 0
; COMPUTE_PGM_RSRC2:TGID_Z_EN: 0
; COMPUTE_PGM_RSRC2:TIDIG_COMP_CNT: 0
	.section	.text._ZN7rocprim17ROCPRIM_400000_NS6detail17trampoline_kernelINS0_14default_configENS1_37merge_sort_block_sort_config_selectorIlNS0_10empty_typeEEEZNS1_21merge_sort_block_sortIS3_PlS8_PS5_S9_ZN2at6native12_GLOBAL__N_124unique_dim_cuda_templateIhEESt5tupleIJNSA_6TensorESF_SF_EERKSF_lbbbEUlllE_EE10hipError_tT0_T1_T2_T3_mRjT4_P12ihipStream_tbNS1_7vsmem_tEEUlT_E_NS1_11comp_targetILNS1_3genE0ELNS1_11target_archE4294967295ELNS1_3gpuE0ELNS1_3repE0EEENS1_30default_config_static_selectorELNS0_4arch9wavefront6targetE0EEEvSM_,"axG",@progbits,_ZN7rocprim17ROCPRIM_400000_NS6detail17trampoline_kernelINS0_14default_configENS1_37merge_sort_block_sort_config_selectorIlNS0_10empty_typeEEEZNS1_21merge_sort_block_sortIS3_PlS8_PS5_S9_ZN2at6native12_GLOBAL__N_124unique_dim_cuda_templateIhEESt5tupleIJNSA_6TensorESF_SF_EERKSF_lbbbEUlllE_EE10hipError_tT0_T1_T2_T3_mRjT4_P12ihipStream_tbNS1_7vsmem_tEEUlT_E_NS1_11comp_targetILNS1_3genE0ELNS1_11target_archE4294967295ELNS1_3gpuE0ELNS1_3repE0EEENS1_30default_config_static_selectorELNS0_4arch9wavefront6targetE0EEEvSM_,comdat
	.globl	_ZN7rocprim17ROCPRIM_400000_NS6detail17trampoline_kernelINS0_14default_configENS1_37merge_sort_block_sort_config_selectorIlNS0_10empty_typeEEEZNS1_21merge_sort_block_sortIS3_PlS8_PS5_S9_ZN2at6native12_GLOBAL__N_124unique_dim_cuda_templateIhEESt5tupleIJNSA_6TensorESF_SF_EERKSF_lbbbEUlllE_EE10hipError_tT0_T1_T2_T3_mRjT4_P12ihipStream_tbNS1_7vsmem_tEEUlT_E_NS1_11comp_targetILNS1_3genE0ELNS1_11target_archE4294967295ELNS1_3gpuE0ELNS1_3repE0EEENS1_30default_config_static_selectorELNS0_4arch9wavefront6targetE0EEEvSM_ ; -- Begin function _ZN7rocprim17ROCPRIM_400000_NS6detail17trampoline_kernelINS0_14default_configENS1_37merge_sort_block_sort_config_selectorIlNS0_10empty_typeEEEZNS1_21merge_sort_block_sortIS3_PlS8_PS5_S9_ZN2at6native12_GLOBAL__N_124unique_dim_cuda_templateIhEESt5tupleIJNSA_6TensorESF_SF_EERKSF_lbbbEUlllE_EE10hipError_tT0_T1_T2_T3_mRjT4_P12ihipStream_tbNS1_7vsmem_tEEUlT_E_NS1_11comp_targetILNS1_3genE0ELNS1_11target_archE4294967295ELNS1_3gpuE0ELNS1_3repE0EEENS1_30default_config_static_selectorELNS0_4arch9wavefront6targetE0EEEvSM_
	.p2align	8
	.type	_ZN7rocprim17ROCPRIM_400000_NS6detail17trampoline_kernelINS0_14default_configENS1_37merge_sort_block_sort_config_selectorIlNS0_10empty_typeEEEZNS1_21merge_sort_block_sortIS3_PlS8_PS5_S9_ZN2at6native12_GLOBAL__N_124unique_dim_cuda_templateIhEESt5tupleIJNSA_6TensorESF_SF_EERKSF_lbbbEUlllE_EE10hipError_tT0_T1_T2_T3_mRjT4_P12ihipStream_tbNS1_7vsmem_tEEUlT_E_NS1_11comp_targetILNS1_3genE0ELNS1_11target_archE4294967295ELNS1_3gpuE0ELNS1_3repE0EEENS1_30default_config_static_selectorELNS0_4arch9wavefront6targetE0EEEvSM_,@function
_ZN7rocprim17ROCPRIM_400000_NS6detail17trampoline_kernelINS0_14default_configENS1_37merge_sort_block_sort_config_selectorIlNS0_10empty_typeEEEZNS1_21merge_sort_block_sortIS3_PlS8_PS5_S9_ZN2at6native12_GLOBAL__N_124unique_dim_cuda_templateIhEESt5tupleIJNSA_6TensorESF_SF_EERKSF_lbbbEUlllE_EE10hipError_tT0_T1_T2_T3_mRjT4_P12ihipStream_tbNS1_7vsmem_tEEUlT_E_NS1_11comp_targetILNS1_3genE0ELNS1_11target_archE4294967295ELNS1_3gpuE0ELNS1_3repE0EEENS1_30default_config_static_selectorELNS0_4arch9wavefront6targetE0EEEvSM_: ; @_ZN7rocprim17ROCPRIM_400000_NS6detail17trampoline_kernelINS0_14default_configENS1_37merge_sort_block_sort_config_selectorIlNS0_10empty_typeEEEZNS1_21merge_sort_block_sortIS3_PlS8_PS5_S9_ZN2at6native12_GLOBAL__N_124unique_dim_cuda_templateIhEESt5tupleIJNSA_6TensorESF_SF_EERKSF_lbbbEUlllE_EE10hipError_tT0_T1_T2_T3_mRjT4_P12ihipStream_tbNS1_7vsmem_tEEUlT_E_NS1_11comp_targetILNS1_3genE0ELNS1_11target_archE4294967295ELNS1_3gpuE0ELNS1_3repE0EEENS1_30default_config_static_selectorELNS0_4arch9wavefront6targetE0EEEvSM_
; %bb.0:
	s_clause 0x1
	s_load_b32 s4, s[0:1], 0x0
	s_load_b64 s[8:9], s[0:1], 0x48
	s_bfe_u32 s2, ttmp6, 0x40010
	s_and_b32 s3, ttmp7, 0xffff
	s_add_co_i32 s2, s2, 1
	s_bfe_u32 s6, ttmp6, 0x4000c
	s_mul_i32 s2, s3, s2
	s_bfe_u32 s5, ttmp6, 0x40004
	s_add_co_i32 s6, s6, 1
	s_bfe_u32 s7, ttmp6, 0x40014
	s_add_co_i32 s5, s5, s2
	s_and_b32 s2, ttmp6, 15
	s_mul_i32 s6, ttmp9, s6
	s_lshr_b32 s10, ttmp7, 16
	s_add_co_i32 s7, s7, 1
	s_add_co_i32 s2, s2, s6
	s_mul_i32 s6, s10, s7
	s_bfe_u32 s7, ttmp6, 0x40008
	s_getreg_b32 s11, hwreg(HW_REG_IB_STS2, 6, 4)
	s_add_co_i32 s7, s7, s6
	s_cmp_eq_u32 s11, 0
	s_cselect_b32 s6, s10, s7
	s_cselect_b32 s3, s3, s5
	s_wait_kmcnt 0x0
	s_mul_i32 s6, s9, s6
	s_cselect_b32 s9, ttmp9, s2
	s_add_co_i32 s2, s6, s3
	s_mov_b32 s3, 0
	s_mul_i32 s2, s2, s8
	s_delay_alu instid0(SALU_CYCLE_1) | instskip(NEXT) | instid1(SALU_CYCLE_1)
	s_add_co_i32 s2, s2, s9
	s_cmp_ge_u32 s2, s4
	s_cbranch_scc1 .LBB9_1486
; %bb.1:
	s_clause 0x2
	s_load_b64 s[4:5], s[0:1], 0x8
	s_load_b128 s[12:15], s[0:1], 0x18
	s_load_b128 s[16:19], s[0:1], 0x38
	v_and_b32_e32 v18, 0x3ff, v0
	s_add_nc_u64 s[10:11], s[0:1], 0x48
	s_wait_xcnt 0x0
	s_lshl_b64 s[0:1], s[2:3], 14
	s_wait_kmcnt 0x0
	s_lshr_b64 s[6:7], s[4:5], 11
	s_add_nc_u64 s[12:13], s[12:13], s[0:1]
	s_cmp_lg_u64 s[6:7], s[2:3]
	s_add_nc_u64 s[20:21], s[14:15], s[0:1]
	s_cbranch_scc0 .LBB9_8
; %bb.2:
	s_clause 0x7
	global_load_b64 v[2:3], v18, s[12:13] scale_offset
	global_load_b64 v[4:5], v18, s[12:13] offset:2048 scale_offset
	global_load_b64 v[6:7], v18, s[12:13] offset:4096 scale_offset
	;; [unrolled: 1-line block ×7, first 2 shown]
	v_dual_lshrrev_b32 v19, 2, v18 :: v_dual_lshlrev_b32 v1, 3, v18
	v_add_nc_u32_e32 v20, 0x100, v18
	v_add_nc_u32_e32 v21, 0x200, v18
	;; [unrolled: 1-line block ×3, first 2 shown]
	v_or_b32_e32 v23, 0x400, v18
	v_add_nc_u32_e32 v24, 0x500, v18
	v_add_nc_u32_e32 v25, 0x600, v18
	;; [unrolled: 1-line block ×3, first 2 shown]
	v_dual_lshlrev_b32 v27, 1, v18 :: v_dual_lshrrev_b32 v20, 2, v20
	v_and_b32_e32 v19, 0xf8, v19
	v_dual_lshrrev_b32 v21, 2, v21 :: v_dual_lshrrev_b32 v22, 2, v22
	v_dual_lshrrev_b32 v23, 2, v23 :: v_dual_lshrrev_b32 v24, 2, v24
	;; [unrolled: 1-line block ×3, first 2 shown]
	v_and_b32_e32 v27, 0x7f8, v27
	v_add_nc_u32_e32 v26, v19, v1
	v_and_b32_e32 v19, 0x1f8, v20
	v_and_b32_e32 v20, 0x1f8, v21
	;; [unrolled: 1-line block ×7, first 2 shown]
	v_lshl_add_u32 v34, v18, 6, v27
	v_dual_add_nc_u32 v27, v19, v1 :: v_dual_add_nc_u32 v28, v20, v1
	v_add_nc_u32_e32 v29, v21, v1
	s_cmp_lt_u32 s9, s8
	v_dual_add_nc_u32 v30, v22, v1 :: v_dual_add_nc_u32 v31, v23, v1
	v_dual_add_nc_u32 v32, v24, v1 :: v_dual_add_nc_u32 v33, v25, v1
	s_mov_b32 s1, 0
	s_cselect_b32 s0, 12, 18
	v_bfe_u32 v19, v0, 10, 10
	s_add_nc_u64 s[0:1], s[10:11], s[0:1]
	v_bfe_u32 v20, v0, 20, 10
	v_cmp_gt_i64_e64 s14, s[16:17], 0
	s_wait_loadcnt 0x7
	ds_store_b64 v26, v[2:3]
	s_wait_loadcnt 0x6
	ds_store_b64 v27, v[4:5] offset:2048
	s_wait_loadcnt 0x5
	ds_store_b64 v28, v[6:7] offset:4096
	;; [unrolled: 2-line block ×7, first 2 shown]
	s_wait_dscnt 0x0
	s_barrier_signal -1
	s_barrier_wait -1
	ds_load_2addr_b64 v[14:17], v34 offset1:1
	ds_load_2addr_b64 v[10:13], v34 offset0:2 offset1:3
	ds_load_2addr_b64 v[6:9], v34 offset0:4 offset1:5
	;; [unrolled: 1-line block ×3, first 2 shown]
	s_wait_dscnt 0x0
	s_barrier_signal -1
	s_barrier_wait -1
	s_load_u16 s5, s[10:11], 0xe
	v_cndmask_b32_e64 v35, 0, 1, s14
	s_load_u16 s0, s[0:1], 0x0
	s_wait_kmcnt 0x0
	v_mad_u32_u24 v19, v20, s5, v19
	s_mov_b32 s5, exec_lo
	s_delay_alu instid0(VALU_DEP_1) | instskip(NEXT) | instid1(VALU_DEP_1)
	v_mul_lo_u32 v19, v19, s0
	v_add_lshl_u32 v24, v19, v18, 3
	v_mov_b32_e32 v19, 0
	s_delay_alu instid0(VALU_DEP_2)
	v_cmpx_gt_u32_e32 0x800, v24
	s_cbranch_execz .LBB9_188
; %bb.3:
	s_and_not1_b32 vcc_lo, exec_lo, s14
	s_cbranch_vccnz .LBB9_18
; %bb.4:
	v_mad_nc_u64_u32 v[20:21], v16, s16, s[18:19]
	v_mad_nc_u64_u32 v[22:23], v14, s16, s[18:19]
	s_mov_b32 s22, 0
	s_mov_b64 s[6:7], s[16:17]
                                        ; implicit-def: $sgpr15
                                        ; implicit-def: $sgpr23
                                        ; implicit-def: $sgpr25
                                        ; implicit-def: $sgpr24
                                        ; implicit-def: $sgpr26
	s_delay_alu instid0(VALU_DEP_2) | instskip(NEXT) | instid1(VALU_DEP_2)
	v_mad_u32 v21, v17, s16, v21
	v_mad_u32 v23, v15, s16, v23
	s_delay_alu instid0(VALU_DEP_2) | instskip(NEXT) | instid1(VALU_DEP_2)
	v_mad_u32 v21, v16, s17, v21
	v_mad_u32 v23, v14, s17, v23
	s_branch .LBB9_6
.LBB9_5:                                ;   in Loop: Header=BB9_6 Depth=1
	s_or_b32 exec_lo, exec_lo, s27
	s_and_b32 s0, s0, s26
	s_delay_alu instid0(SALU_CYCLE_1) | instskip(SKIP_1) | instid1(SALU_CYCLE_1)
	s_or_b32 s0, vcc_lo, s0
	s_and_b32 s1, exec_lo, s25
	s_or_b32 s22, s1, s22
	s_and_not1_b32 s1, s26, exec_lo
	s_and_b32 s0, s0, exec_lo
	s_and_not1_b32 s23, s23, exec_lo
	s_and_b32 s27, s24, exec_lo
	s_or_b32 s26, s1, s0
	s_and_not1_b32 s1, s15, exec_lo
	s_or_b32 s23, s23, s27
	s_or_b32 s15, s1, s0
	s_and_not1_b32 exec_lo, exec_lo, s22
	s_cbranch_execz .LBB9_9
.LBB9_6:                                ; =>This Inner Loop Header: Depth=1
	global_load_u8 v25, v[20:21], off
	global_load_u8 v36, v[22:23], off
	s_or_b32 s24, s24, exec_lo
	s_or_b32 s25, s25, exec_lo
	s_mov_b32 s27, exec_lo
	s_wait_loadcnt 0x1
	v_and_b32_e32 v25, 0xff, v25
	s_wait_loadcnt 0x0
	v_and_b32_e32 v36, 0xff, v36
	s_delay_alu instid0(VALU_DEP_1)
	v_cmp_le_u16_e64 s0, v25, v36
	v_cmp_lt_u16_e32 vcc_lo, v25, v36
	v_cmpx_eq_u16_e64 v25, v36
	s_cbranch_execz .LBB9_5
; %bb.7:                                ;   in Loop: Header=BB9_6 Depth=1
	s_add_nc_u64 s[6:7], s[6:7], -1
	v_add_nc_u64_e32 v[20:21], 1, v[20:21]
	s_cmp_eq_u64 s[6:7], 0
	v_add_nc_u64_e32 v[22:23], 1, v[22:23]
	s_cselect_b32 s1, -1, 0
	s_and_not1_b32 s25, s25, exec_lo
	s_and_b32 s1, s1, exec_lo
	s_and_not1_b32 s24, s24, exec_lo
	s_or_b32 s25, s25, s1
	s_branch .LBB9_5
.LBB9_8:
	s_mov_b32 s24, s3
                                        ; implicit-def: $vgpr2_vgpr3
	s_cbranch_execnz .LBB9_698
	s_branch .LBB9_1484
.LBB9_9:
	s_or_b32 exec_lo, exec_lo, s22
	s_and_saveexec_b32 s0, s23
	s_delay_alu instid0(SALU_CYCLE_1)
	s_xor_b32 s0, exec_lo, s0
; %bb.10:
	v_dual_cndmask_b32 v21, v17, v15, s15 :: v_dual_cndmask_b32 v20, v16, v14, s15
	v_dual_cndmask_b32 v15, v15, v17, s15 :: v_dual_cndmask_b32 v14, v14, v16, s15
	s_delay_alu instid0(VALU_DEP_2)
	v_mov_b64_e32 v[16:17], v[20:21]
; %bb.11:
	s_or_b32 exec_lo, exec_lo, s0
	v_mad_nc_u64_u32 v[20:21], v12, s16, s[18:19]
	v_mad_nc_u64_u32 v[22:23], v10, s16, s[18:19]
	s_mov_b32 s22, 0
	s_mov_b64 s[6:7], s[16:17]
                                        ; implicit-def: $sgpr15
                                        ; implicit-def: $sgpr23
                                        ; implicit-def: $sgpr25
                                        ; implicit-def: $sgpr24
                                        ; implicit-def: $sgpr26
	s_delay_alu instid0(VALU_DEP_2) | instskip(NEXT) | instid1(VALU_DEP_2)
	v_mad_u32 v21, v13, s16, v21
	v_mad_u32 v23, v11, s16, v23
	s_delay_alu instid0(VALU_DEP_2) | instskip(NEXT) | instid1(VALU_DEP_2)
	v_mad_u32 v21, v12, s17, v21
	v_mad_u32 v23, v10, s17, v23
	s_branch .LBB9_13
.LBB9_12:                               ;   in Loop: Header=BB9_13 Depth=1
	s_or_b32 exec_lo, exec_lo, s27
	s_and_b32 s0, s0, s26
	s_delay_alu instid0(SALU_CYCLE_1) | instskip(SKIP_1) | instid1(SALU_CYCLE_1)
	s_or_b32 s0, vcc_lo, s0
	s_and_b32 s1, exec_lo, s25
	s_or_b32 s22, s1, s22
	s_and_not1_b32 s1, s26, exec_lo
	s_and_b32 s0, s0, exec_lo
	s_and_not1_b32 s23, s23, exec_lo
	s_and_b32 s27, s24, exec_lo
	s_or_b32 s26, s1, s0
	s_and_not1_b32 s1, s15, exec_lo
	s_or_b32 s23, s23, s27
	s_or_b32 s15, s1, s0
	s_and_not1_b32 exec_lo, exec_lo, s22
	s_cbranch_execz .LBB9_15
.LBB9_13:                               ; =>This Inner Loop Header: Depth=1
	global_load_u8 v25, v[20:21], off
	global_load_u8 v36, v[22:23], off
	s_or_b32 s24, s24, exec_lo
	s_or_b32 s25, s25, exec_lo
	s_mov_b32 s27, exec_lo
	s_wait_loadcnt 0x1
	v_and_b32_e32 v25, 0xff, v25
	s_wait_loadcnt 0x0
	v_and_b32_e32 v36, 0xff, v36
	s_delay_alu instid0(VALU_DEP_1)
	v_cmp_le_u16_e64 s0, v25, v36
	v_cmp_lt_u16_e32 vcc_lo, v25, v36
	v_cmpx_eq_u16_e64 v25, v36
	s_cbranch_execz .LBB9_12
; %bb.14:                               ;   in Loop: Header=BB9_13 Depth=1
	s_add_nc_u64 s[6:7], s[6:7], -1
	v_add_nc_u64_e32 v[20:21], 1, v[20:21]
	s_cmp_eq_u64 s[6:7], 0
	v_add_nc_u64_e32 v[22:23], 1, v[22:23]
	s_cselect_b32 s1, -1, 0
	s_and_not1_b32 s25, s25, exec_lo
	s_and_b32 s1, s1, exec_lo
	s_and_not1_b32 s24, s24, exec_lo
	s_or_b32 s25, s25, s1
	s_branch .LBB9_12
.LBB9_15:
	s_or_b32 exec_lo, exec_lo, s22
	s_and_saveexec_b32 s0, s23
	s_delay_alu instid0(SALU_CYCLE_1)
	s_xor_b32 s0, exec_lo, s0
; %bb.16:
	v_dual_cndmask_b32 v21, v11, v13, s15 :: v_dual_cndmask_b32 v20, v10, v12, s15
	v_dual_cndmask_b32 v13, v13, v11, s15 :: v_dual_cndmask_b32 v12, v12, v10, s15
	s_delay_alu instid0(VALU_DEP_2)
	v_mov_b64_e32 v[10:11], v[20:21]
; %bb.17:
	s_or_b32 exec_lo, exec_lo, s0
.LBB9_18:
	s_delay_alu instid0(SALU_CYCLE_1)
	s_and_not1_b32 vcc_lo, exec_lo, s14
	s_cbranch_vccnz .LBB9_32
; %bb.19:
	v_mad_nc_u64_u32 v[20:21], v8, s16, s[18:19]
	v_mad_nc_u64_u32 v[22:23], v6, s16, s[18:19]
	s_mov_b32 s22, 0
	s_mov_b64 s[6:7], s[16:17]
                                        ; implicit-def: $sgpr15
                                        ; implicit-def: $sgpr23
                                        ; implicit-def: $sgpr25
                                        ; implicit-def: $sgpr24
                                        ; implicit-def: $sgpr26
	s_delay_alu instid0(VALU_DEP_2) | instskip(NEXT) | instid1(VALU_DEP_2)
	v_mad_u32 v21, v9, s16, v21
	v_mad_u32 v23, v7, s16, v23
	s_delay_alu instid0(VALU_DEP_2) | instskip(NEXT) | instid1(VALU_DEP_2)
	v_mad_u32 v21, v8, s17, v21
	v_mad_u32 v23, v6, s17, v23
	s_branch .LBB9_21
.LBB9_20:                               ;   in Loop: Header=BB9_21 Depth=1
	s_or_b32 exec_lo, exec_lo, s27
	s_and_b32 s0, s0, s26
	s_delay_alu instid0(SALU_CYCLE_1) | instskip(SKIP_1) | instid1(SALU_CYCLE_1)
	s_or_b32 s0, vcc_lo, s0
	s_and_b32 s1, exec_lo, s25
	s_or_b32 s22, s1, s22
	s_and_not1_b32 s1, s26, exec_lo
	s_and_b32 s0, s0, exec_lo
	s_and_not1_b32 s23, s23, exec_lo
	s_and_b32 s27, s24, exec_lo
	s_or_b32 s26, s1, s0
	s_and_not1_b32 s1, s15, exec_lo
	s_or_b32 s23, s23, s27
	s_or_b32 s15, s1, s0
	s_and_not1_b32 exec_lo, exec_lo, s22
	s_cbranch_execz .LBB9_23
.LBB9_21:                               ; =>This Inner Loop Header: Depth=1
	global_load_u8 v25, v[20:21], off
	global_load_u8 v36, v[22:23], off
	s_or_b32 s24, s24, exec_lo
	s_or_b32 s25, s25, exec_lo
	s_mov_b32 s27, exec_lo
	s_wait_loadcnt 0x1
	v_and_b32_e32 v25, 0xff, v25
	s_wait_loadcnt 0x0
	v_and_b32_e32 v36, 0xff, v36
	s_delay_alu instid0(VALU_DEP_1)
	v_cmp_le_u16_e64 s0, v25, v36
	v_cmp_lt_u16_e32 vcc_lo, v25, v36
	v_cmpx_eq_u16_e64 v25, v36
	s_cbranch_execz .LBB9_20
; %bb.22:                               ;   in Loop: Header=BB9_21 Depth=1
	s_add_nc_u64 s[6:7], s[6:7], -1
	v_add_nc_u64_e32 v[20:21], 1, v[20:21]
	s_cmp_eq_u64 s[6:7], 0
	v_add_nc_u64_e32 v[22:23], 1, v[22:23]
	s_cselect_b32 s1, -1, 0
	s_and_not1_b32 s25, s25, exec_lo
	s_and_b32 s1, s1, exec_lo
	s_and_not1_b32 s24, s24, exec_lo
	s_or_b32 s25, s25, s1
	s_branch .LBB9_20
.LBB9_23:
	s_or_b32 exec_lo, exec_lo, s22
	s_and_saveexec_b32 s0, s23
	s_delay_alu instid0(SALU_CYCLE_1)
	s_xor_b32 s0, exec_lo, s0
; %bb.24:
	v_dual_cndmask_b32 v21, v7, v9, s15 :: v_dual_cndmask_b32 v20, v6, v8, s15
	v_dual_cndmask_b32 v9, v9, v7, s15 :: v_dual_cndmask_b32 v8, v8, v6, s15
	s_delay_alu instid0(VALU_DEP_2)
	v_mov_b64_e32 v[6:7], v[20:21]
; %bb.25:
	s_or_b32 exec_lo, exec_lo, s0
	v_mad_nc_u64_u32 v[20:21], v4, s16, s[18:19]
	v_mad_nc_u64_u32 v[22:23], v2, s16, s[18:19]
	s_mov_b32 s22, 0
	s_mov_b64 s[6:7], s[16:17]
                                        ; implicit-def: $sgpr15
                                        ; implicit-def: $sgpr23
                                        ; implicit-def: $sgpr25
                                        ; implicit-def: $sgpr24
                                        ; implicit-def: $sgpr26
	s_delay_alu instid0(VALU_DEP_2) | instskip(NEXT) | instid1(VALU_DEP_2)
	v_mad_u32 v21, v5, s16, v21
	v_mad_u32 v23, v3, s16, v23
	s_delay_alu instid0(VALU_DEP_2) | instskip(NEXT) | instid1(VALU_DEP_2)
	v_mad_u32 v21, v4, s17, v21
	v_mad_u32 v23, v2, s17, v23
	s_branch .LBB9_27
.LBB9_26:                               ;   in Loop: Header=BB9_27 Depth=1
	s_or_b32 exec_lo, exec_lo, s27
	s_and_b32 s0, s0, s26
	s_delay_alu instid0(SALU_CYCLE_1) | instskip(SKIP_1) | instid1(SALU_CYCLE_1)
	s_or_b32 s0, vcc_lo, s0
	s_and_b32 s1, exec_lo, s25
	s_or_b32 s22, s1, s22
	s_and_not1_b32 s1, s26, exec_lo
	s_and_b32 s0, s0, exec_lo
	s_and_not1_b32 s23, s23, exec_lo
	s_and_b32 s27, s24, exec_lo
	s_or_b32 s26, s1, s0
	s_and_not1_b32 s1, s15, exec_lo
	s_or_b32 s23, s23, s27
	s_or_b32 s15, s1, s0
	s_and_not1_b32 exec_lo, exec_lo, s22
	s_cbranch_execz .LBB9_29
.LBB9_27:                               ; =>This Inner Loop Header: Depth=1
	global_load_u8 v25, v[20:21], off
	global_load_u8 v36, v[22:23], off
	s_or_b32 s24, s24, exec_lo
	s_or_b32 s25, s25, exec_lo
	s_mov_b32 s27, exec_lo
	s_wait_loadcnt 0x1
	v_and_b32_e32 v25, 0xff, v25
	s_wait_loadcnt 0x0
	v_and_b32_e32 v36, 0xff, v36
	s_delay_alu instid0(VALU_DEP_1)
	v_cmp_le_u16_e64 s0, v25, v36
	v_cmp_lt_u16_e32 vcc_lo, v25, v36
	v_cmpx_eq_u16_e64 v25, v36
	s_cbranch_execz .LBB9_26
; %bb.28:                               ;   in Loop: Header=BB9_27 Depth=1
	s_add_nc_u64 s[6:7], s[6:7], -1
	v_add_nc_u64_e32 v[20:21], 1, v[20:21]
	s_cmp_eq_u64 s[6:7], 0
	v_add_nc_u64_e32 v[22:23], 1, v[22:23]
	s_cselect_b32 s1, -1, 0
	s_and_not1_b32 s25, s25, exec_lo
	s_and_b32 s1, s1, exec_lo
	s_and_not1_b32 s24, s24, exec_lo
	s_or_b32 s25, s25, s1
	s_branch .LBB9_26
.LBB9_29:
	s_or_b32 exec_lo, exec_lo, s22
	s_and_saveexec_b32 s0, s23
	s_delay_alu instid0(SALU_CYCLE_1)
	s_xor_b32 s0, exec_lo, s0
; %bb.30:
	v_dual_cndmask_b32 v21, v3, v5, s15 :: v_dual_cndmask_b32 v20, v2, v4, s15
	v_dual_cndmask_b32 v5, v5, v3, s15 :: v_dual_cndmask_b32 v4, v4, v2, s15
	s_delay_alu instid0(VALU_DEP_2)
	v_mov_b64_e32 v[2:3], v[20:21]
; %bb.31:
	s_or_b32 exec_lo, exec_lo, s0
.LBB9_32:
	s_delay_alu instid0(SALU_CYCLE_1)
	s_and_b32 vcc_lo, exec_lo, s14
	s_cbranch_vccz .LBB9_46
; %bb.33:
	s_delay_alu instid0(VALU_DEP_1) | instskip(SKIP_3) | instid1(VALU_DEP_2)
	v_mad_nc_u64_u32 v[20:21], v10, s16, s[18:19]
	v_mad_nc_u64_u32 v[22:23], v16, s16, s[18:19]
	s_mov_b32 s15, 0
	s_mov_b64 s[6:7], s[16:17]
                                        ; implicit-def: $sgpr14
                                        ; implicit-def: $sgpr22
                                        ; implicit-def: $sgpr24
                                        ; implicit-def: $sgpr23
                                        ; implicit-def: $sgpr25
	v_mad_u32 v21, v11, s16, v21
	s_delay_alu instid0(VALU_DEP_2) | instskip(NEXT) | instid1(VALU_DEP_2)
	v_mad_u32 v23, v17, s16, v23
	v_mad_u32 v21, v10, s17, v21
	s_delay_alu instid0(VALU_DEP_2)
	v_mad_u32 v23, v16, s17, v23
	s_branch .LBB9_35
.LBB9_34:                               ;   in Loop: Header=BB9_35 Depth=1
	s_or_b32 exec_lo, exec_lo, s26
	s_and_b32 s0, s0, s25
	s_delay_alu instid0(SALU_CYCLE_1) | instskip(SKIP_1) | instid1(SALU_CYCLE_1)
	s_or_b32 s0, vcc_lo, s0
	s_and_b32 s1, exec_lo, s24
	s_or_b32 s15, s1, s15
	s_and_not1_b32 s1, s25, exec_lo
	s_and_b32 s0, s0, exec_lo
	s_and_not1_b32 s22, s22, exec_lo
	s_and_b32 s26, s23, exec_lo
	s_or_b32 s25, s1, s0
	s_and_not1_b32 s1, s14, exec_lo
	s_or_b32 s22, s22, s26
	s_or_b32 s14, s1, s0
	s_and_not1_b32 exec_lo, exec_lo, s15
	s_cbranch_execz .LBB9_37
.LBB9_35:                               ; =>This Inner Loop Header: Depth=1
	global_load_u8 v25, v[20:21], off
	global_load_u8 v36, v[22:23], off
	s_or_b32 s23, s23, exec_lo
	s_or_b32 s24, s24, exec_lo
	s_mov_b32 s26, exec_lo
	s_wait_loadcnt 0x1
	v_and_b32_e32 v25, 0xff, v25
	s_wait_loadcnt 0x0
	v_and_b32_e32 v36, 0xff, v36
	s_delay_alu instid0(VALU_DEP_1)
	v_cmp_le_u16_e64 s0, v25, v36
	v_cmp_lt_u16_e32 vcc_lo, v25, v36
	v_cmpx_eq_u16_e64 v25, v36
	s_cbranch_execz .LBB9_34
; %bb.36:                               ;   in Loop: Header=BB9_35 Depth=1
	s_add_nc_u64 s[6:7], s[6:7], -1
	v_add_nc_u64_e32 v[20:21], 1, v[20:21]
	s_cmp_eq_u64 s[6:7], 0
	v_add_nc_u64_e32 v[22:23], 1, v[22:23]
	s_cselect_b32 s1, -1, 0
	s_and_not1_b32 s24, s24, exec_lo
	s_and_b32 s1, s1, exec_lo
	s_and_not1_b32 s23, s23, exec_lo
	s_or_b32 s24, s24, s1
	s_branch .LBB9_34
.LBB9_37:
	s_or_b32 exec_lo, exec_lo, s15
	s_and_saveexec_b32 s0, s22
	s_delay_alu instid0(SALU_CYCLE_1)
	s_xor_b32 s0, exec_lo, s0
; %bb.38:
	v_dual_cndmask_b32 v21, v17, v11, s14 :: v_dual_cndmask_b32 v20, v16, v10, s14
	v_dual_cndmask_b32 v11, v11, v17, s14 :: v_dual_cndmask_b32 v10, v10, v16, s14
	s_delay_alu instid0(VALU_DEP_2)
	v_mov_b64_e32 v[16:17], v[20:21]
; %bb.39:
	s_or_b32 exec_lo, exec_lo, s0
	v_mad_nc_u64_u32 v[20:21], v6, s16, s[18:19]
	v_mad_nc_u64_u32 v[22:23], v12, s16, s[18:19]
	s_mov_b32 s15, 0
	s_mov_b64 s[6:7], s[16:17]
                                        ; implicit-def: $sgpr14
                                        ; implicit-def: $sgpr22
                                        ; implicit-def: $sgpr24
                                        ; implicit-def: $sgpr23
                                        ; implicit-def: $sgpr25
	s_delay_alu instid0(VALU_DEP_2) | instskip(NEXT) | instid1(VALU_DEP_2)
	v_mad_u32 v21, v7, s16, v21
	v_mad_u32 v23, v13, s16, v23
	s_delay_alu instid0(VALU_DEP_2) | instskip(NEXT) | instid1(VALU_DEP_2)
	v_mad_u32 v21, v6, s17, v21
	v_mad_u32 v23, v12, s17, v23
	s_branch .LBB9_41
.LBB9_40:                               ;   in Loop: Header=BB9_41 Depth=1
	s_or_b32 exec_lo, exec_lo, s26
	s_and_b32 s0, s0, s25
	s_delay_alu instid0(SALU_CYCLE_1) | instskip(SKIP_1) | instid1(SALU_CYCLE_1)
	s_or_b32 s0, vcc_lo, s0
	s_and_b32 s1, exec_lo, s24
	s_or_b32 s15, s1, s15
	s_and_not1_b32 s1, s25, exec_lo
	s_and_b32 s0, s0, exec_lo
	s_and_not1_b32 s22, s22, exec_lo
	s_and_b32 s26, s23, exec_lo
	s_or_b32 s25, s1, s0
	s_and_not1_b32 s1, s14, exec_lo
	s_or_b32 s22, s22, s26
	s_or_b32 s14, s1, s0
	s_and_not1_b32 exec_lo, exec_lo, s15
	s_cbranch_execz .LBB9_43
.LBB9_41:                               ; =>This Inner Loop Header: Depth=1
	global_load_u8 v25, v[20:21], off
	global_load_u8 v36, v[22:23], off
	s_or_b32 s23, s23, exec_lo
	s_or_b32 s24, s24, exec_lo
	s_mov_b32 s26, exec_lo
	s_wait_loadcnt 0x1
	v_and_b32_e32 v25, 0xff, v25
	s_wait_loadcnt 0x0
	v_and_b32_e32 v36, 0xff, v36
	s_delay_alu instid0(VALU_DEP_1)
	v_cmp_le_u16_e64 s0, v25, v36
	v_cmp_lt_u16_e32 vcc_lo, v25, v36
	v_cmpx_eq_u16_e64 v25, v36
	s_cbranch_execz .LBB9_40
; %bb.42:                               ;   in Loop: Header=BB9_41 Depth=1
	s_add_nc_u64 s[6:7], s[6:7], -1
	v_add_nc_u64_e32 v[20:21], 1, v[20:21]
	s_cmp_eq_u64 s[6:7], 0
	v_add_nc_u64_e32 v[22:23], 1, v[22:23]
	s_cselect_b32 s1, -1, 0
	s_and_not1_b32 s24, s24, exec_lo
	s_and_b32 s1, s1, exec_lo
	s_and_not1_b32 s23, s23, exec_lo
	s_or_b32 s24, s24, s1
	s_branch .LBB9_40
.LBB9_43:
	s_or_b32 exec_lo, exec_lo, s15
	s_and_saveexec_b32 s0, s22
	s_delay_alu instid0(SALU_CYCLE_1)
	s_xor_b32 s0, exec_lo, s0
; %bb.44:
	v_dual_cndmask_b32 v21, v13, v7, s14 :: v_dual_cndmask_b32 v20, v12, v6, s14
	v_dual_cndmask_b32 v7, v7, v13, s14 :: v_dual_cndmask_b32 v6, v6, v12, s14
	s_delay_alu instid0(VALU_DEP_2)
	v_mov_b64_e32 v[12:13], v[20:21]
; %bb.45:
	s_or_b32 exec_lo, exec_lo, s0
.LBB9_46:
	v_cmp_ne_u32_e32 vcc_lo, 1, v35
	s_cbranch_vccnz .LBB9_72
; %bb.47:
	s_delay_alu instid0(VALU_DEP_2) | instskip(SKIP_3) | instid1(VALU_DEP_2)
	v_mad_nc_u64_u32 v[20:21], v2, s16, s[18:19]
	v_mad_nc_u64_u32 v[22:23], v8, s16, s[18:19]
	s_mov_b32 s15, 0
	s_mov_b64 s[6:7], s[16:17]
                                        ; implicit-def: $sgpr14
                                        ; implicit-def: $sgpr22
                                        ; implicit-def: $sgpr24
                                        ; implicit-def: $sgpr23
                                        ; implicit-def: $sgpr25
	v_mad_u32 v21, v3, s16, v21
	s_delay_alu instid0(VALU_DEP_2) | instskip(NEXT) | instid1(VALU_DEP_2)
	v_mad_u32 v23, v9, s16, v23
	v_mad_u32 v21, v2, s17, v21
	s_delay_alu instid0(VALU_DEP_2)
	v_mad_u32 v23, v8, s17, v23
	s_branch .LBB9_49
.LBB9_48:                               ;   in Loop: Header=BB9_49 Depth=1
	s_or_b32 exec_lo, exec_lo, s26
	s_and_b32 s0, s0, s25
	s_delay_alu instid0(SALU_CYCLE_1) | instskip(SKIP_1) | instid1(SALU_CYCLE_1)
	s_or_b32 s0, vcc_lo, s0
	s_and_b32 s1, exec_lo, s24
	s_or_b32 s15, s1, s15
	s_and_not1_b32 s1, s25, exec_lo
	s_and_b32 s0, s0, exec_lo
	s_and_not1_b32 s22, s22, exec_lo
	s_and_b32 s26, s23, exec_lo
	s_or_b32 s25, s1, s0
	s_and_not1_b32 s1, s14, exec_lo
	s_or_b32 s22, s22, s26
	s_or_b32 s14, s1, s0
	s_and_not1_b32 exec_lo, exec_lo, s15
	s_cbranch_execz .LBB9_51
.LBB9_49:                               ; =>This Inner Loop Header: Depth=1
	global_load_u8 v25, v[20:21], off
	global_load_u8 v36, v[22:23], off
	s_or_b32 s23, s23, exec_lo
	s_or_b32 s24, s24, exec_lo
	s_mov_b32 s26, exec_lo
	s_wait_loadcnt 0x1
	v_and_b32_e32 v25, 0xff, v25
	s_wait_loadcnt 0x0
	v_and_b32_e32 v36, 0xff, v36
	s_delay_alu instid0(VALU_DEP_1)
	v_cmp_le_u16_e64 s0, v25, v36
	v_cmp_lt_u16_e32 vcc_lo, v25, v36
	v_cmpx_eq_u16_e64 v25, v36
	s_cbranch_execz .LBB9_48
; %bb.50:                               ;   in Loop: Header=BB9_49 Depth=1
	s_add_nc_u64 s[6:7], s[6:7], -1
	v_add_nc_u64_e32 v[20:21], 1, v[20:21]
	s_cmp_eq_u64 s[6:7], 0
	v_add_nc_u64_e32 v[22:23], 1, v[22:23]
	s_cselect_b32 s1, -1, 0
	s_and_not1_b32 s24, s24, exec_lo
	s_and_b32 s1, s1, exec_lo
	s_and_not1_b32 s23, s23, exec_lo
	s_or_b32 s24, s24, s1
	s_branch .LBB9_48
.LBB9_51:
	s_or_b32 exec_lo, exec_lo, s15
	s_and_saveexec_b32 s0, s22
	s_delay_alu instid0(SALU_CYCLE_1)
	s_xor_b32 s0, exec_lo, s0
; %bb.52:
	v_dual_cndmask_b32 v21, v9, v3, s14 :: v_dual_cndmask_b32 v20, v8, v2, s14
	v_dual_cndmask_b32 v3, v3, v9, s14 :: v_dual_cndmask_b32 v2, v2, v8, s14
	s_delay_alu instid0(VALU_DEP_2)
	v_mov_b64_e32 v[8:9], v[20:21]
; %bb.53:
	s_or_b32 exec_lo, exec_lo, s0
	v_mad_nc_u64_u32 v[20:21], v16, s16, s[18:19]
	v_mad_nc_u64_u32 v[22:23], v14, s16, s[18:19]
	s_mov_b32 s15, 0
	s_mov_b64 s[6:7], s[16:17]
                                        ; implicit-def: $sgpr14
                                        ; implicit-def: $sgpr22
                                        ; implicit-def: $sgpr24
                                        ; implicit-def: $sgpr23
                                        ; implicit-def: $sgpr25
	s_delay_alu instid0(VALU_DEP_2) | instskip(NEXT) | instid1(VALU_DEP_2)
	v_mad_u32 v21, v17, s16, v21
	v_mad_u32 v23, v15, s16, v23
	s_delay_alu instid0(VALU_DEP_2) | instskip(NEXT) | instid1(VALU_DEP_2)
	v_mad_u32 v21, v16, s17, v21
	v_mad_u32 v23, v14, s17, v23
	s_branch .LBB9_55
.LBB9_54:                               ;   in Loop: Header=BB9_55 Depth=1
	s_or_b32 exec_lo, exec_lo, s26
	s_and_b32 s0, s0, s25
	s_delay_alu instid0(SALU_CYCLE_1) | instskip(SKIP_1) | instid1(SALU_CYCLE_1)
	s_or_b32 s0, vcc_lo, s0
	s_and_b32 s1, exec_lo, s24
	s_or_b32 s15, s1, s15
	s_and_not1_b32 s1, s25, exec_lo
	s_and_b32 s0, s0, exec_lo
	s_and_not1_b32 s22, s22, exec_lo
	s_and_b32 s26, s23, exec_lo
	s_or_b32 s25, s1, s0
	s_and_not1_b32 s1, s14, exec_lo
	s_or_b32 s22, s22, s26
	s_or_b32 s14, s1, s0
	s_and_not1_b32 exec_lo, exec_lo, s15
	s_cbranch_execz .LBB9_57
.LBB9_55:                               ; =>This Inner Loop Header: Depth=1
	global_load_u8 v25, v[20:21], off
	global_load_u8 v36, v[22:23], off
	s_or_b32 s23, s23, exec_lo
	s_or_b32 s24, s24, exec_lo
	s_mov_b32 s26, exec_lo
	s_wait_loadcnt 0x1
	v_and_b32_e32 v25, 0xff, v25
	s_wait_loadcnt 0x0
	v_and_b32_e32 v36, 0xff, v36
	s_delay_alu instid0(VALU_DEP_1)
	v_cmp_le_u16_e64 s0, v25, v36
	v_cmp_lt_u16_e32 vcc_lo, v25, v36
	v_cmpx_eq_u16_e64 v25, v36
	s_cbranch_execz .LBB9_54
; %bb.56:                               ;   in Loop: Header=BB9_55 Depth=1
	s_add_nc_u64 s[6:7], s[6:7], -1
	v_add_nc_u64_e32 v[20:21], 1, v[20:21]
	s_cmp_eq_u64 s[6:7], 0
	v_add_nc_u64_e32 v[22:23], 1, v[22:23]
	s_cselect_b32 s1, -1, 0
	s_and_not1_b32 s24, s24, exec_lo
	s_and_b32 s1, s1, exec_lo
	s_and_not1_b32 s23, s23, exec_lo
	s_or_b32 s24, s24, s1
	s_branch .LBB9_54
.LBB9_57:
	s_or_b32 exec_lo, exec_lo, s15
	s_and_saveexec_b32 s0, s22
	s_delay_alu instid0(SALU_CYCLE_1)
	s_xor_b32 s0, exec_lo, s0
; %bb.58:
	v_dual_cndmask_b32 v21, v17, v15, s14 :: v_dual_cndmask_b32 v20, v16, v14, s14
	v_dual_cndmask_b32 v15, v15, v17, s14 :: v_dual_cndmask_b32 v14, v14, v16, s14
	s_delay_alu instid0(VALU_DEP_2)
	v_mov_b64_e32 v[16:17], v[20:21]
; %bb.59:
	s_or_b32 exec_lo, exec_lo, s0
	v_mad_nc_u64_u32 v[20:21], v12, s16, s[18:19]
	v_mad_nc_u64_u32 v[22:23], v10, s16, s[18:19]
	s_mov_b32 s15, 0
	s_mov_b64 s[6:7], s[16:17]
                                        ; implicit-def: $sgpr14
                                        ; implicit-def: $sgpr22
                                        ; implicit-def: $sgpr24
                                        ; implicit-def: $sgpr23
                                        ; implicit-def: $sgpr25
	s_delay_alu instid0(VALU_DEP_2) | instskip(NEXT) | instid1(VALU_DEP_2)
	v_mad_u32 v21, v13, s16, v21
	v_mad_u32 v23, v11, s16, v23
	s_delay_alu instid0(VALU_DEP_2) | instskip(NEXT) | instid1(VALU_DEP_2)
	v_mad_u32 v21, v12, s17, v21
	v_mad_u32 v23, v10, s17, v23
	s_branch .LBB9_61
.LBB9_60:                               ;   in Loop: Header=BB9_61 Depth=1
	s_or_b32 exec_lo, exec_lo, s26
	s_and_b32 s0, s0, s25
	s_delay_alu instid0(SALU_CYCLE_1) | instskip(SKIP_1) | instid1(SALU_CYCLE_1)
	s_or_b32 s0, vcc_lo, s0
	s_and_b32 s1, exec_lo, s24
	s_or_b32 s15, s1, s15
	s_and_not1_b32 s1, s25, exec_lo
	s_and_b32 s0, s0, exec_lo
	s_and_not1_b32 s22, s22, exec_lo
	s_and_b32 s26, s23, exec_lo
	s_or_b32 s25, s1, s0
	s_and_not1_b32 s1, s14, exec_lo
	s_or_b32 s22, s22, s26
	s_or_b32 s14, s1, s0
	s_and_not1_b32 exec_lo, exec_lo, s15
	s_cbranch_execz .LBB9_63
.LBB9_61:                               ; =>This Inner Loop Header: Depth=1
	global_load_u8 v25, v[20:21], off
	global_load_u8 v36, v[22:23], off
	s_or_b32 s23, s23, exec_lo
	s_or_b32 s24, s24, exec_lo
	s_mov_b32 s26, exec_lo
	s_wait_loadcnt 0x1
	v_and_b32_e32 v25, 0xff, v25
	s_wait_loadcnt 0x0
	v_and_b32_e32 v36, 0xff, v36
	s_delay_alu instid0(VALU_DEP_1)
	v_cmp_le_u16_e64 s0, v25, v36
	v_cmp_lt_u16_e32 vcc_lo, v25, v36
	v_cmpx_eq_u16_e64 v25, v36
	s_cbranch_execz .LBB9_60
; %bb.62:                               ;   in Loop: Header=BB9_61 Depth=1
	s_add_nc_u64 s[6:7], s[6:7], -1
	v_add_nc_u64_e32 v[20:21], 1, v[20:21]
	s_cmp_eq_u64 s[6:7], 0
	v_add_nc_u64_e32 v[22:23], 1, v[22:23]
	s_cselect_b32 s1, -1, 0
	s_and_not1_b32 s24, s24, exec_lo
	s_and_b32 s1, s1, exec_lo
	s_and_not1_b32 s23, s23, exec_lo
	s_or_b32 s24, s24, s1
	s_branch .LBB9_60
.LBB9_63:
	s_or_b32 exec_lo, exec_lo, s15
	s_and_saveexec_b32 s0, s22
	s_delay_alu instid0(SALU_CYCLE_1)
	s_xor_b32 s0, exec_lo, s0
; %bb.64:
	v_dual_cndmask_b32 v21, v11, v13, s14 :: v_dual_cndmask_b32 v20, v10, v12, s14
	v_dual_cndmask_b32 v13, v13, v11, s14 :: v_dual_cndmask_b32 v12, v12, v10, s14
	s_delay_alu instid0(VALU_DEP_2)
	v_mov_b64_e32 v[10:11], v[20:21]
; %bb.65:
	s_or_b32 exec_lo, exec_lo, s0
	v_mad_nc_u64_u32 v[20:21], v8, s16, s[18:19]
	v_mad_nc_u64_u32 v[22:23], v6, s16, s[18:19]
	s_mov_b32 s15, 0
	s_mov_b64 s[6:7], s[16:17]
                                        ; implicit-def: $sgpr14
                                        ; implicit-def: $sgpr22
                                        ; implicit-def: $sgpr24
                                        ; implicit-def: $sgpr23
                                        ; implicit-def: $sgpr25
	s_delay_alu instid0(VALU_DEP_2) | instskip(NEXT) | instid1(VALU_DEP_2)
	v_mad_u32 v21, v9, s16, v21
	v_mad_u32 v23, v7, s16, v23
	s_delay_alu instid0(VALU_DEP_2) | instskip(NEXT) | instid1(VALU_DEP_2)
	v_mad_u32 v21, v8, s17, v21
	v_mad_u32 v23, v6, s17, v23
	s_branch .LBB9_67
.LBB9_66:                               ;   in Loop: Header=BB9_67 Depth=1
	s_or_b32 exec_lo, exec_lo, s26
	s_and_b32 s0, s0, s25
	s_delay_alu instid0(SALU_CYCLE_1) | instskip(SKIP_1) | instid1(SALU_CYCLE_1)
	s_or_b32 s0, vcc_lo, s0
	s_and_b32 s1, exec_lo, s24
	s_or_b32 s15, s1, s15
	s_and_not1_b32 s1, s25, exec_lo
	s_and_b32 s0, s0, exec_lo
	s_and_not1_b32 s22, s22, exec_lo
	s_and_b32 s26, s23, exec_lo
	s_or_b32 s25, s1, s0
	s_and_not1_b32 s1, s14, exec_lo
	s_or_b32 s22, s22, s26
	s_or_b32 s14, s1, s0
	s_and_not1_b32 exec_lo, exec_lo, s15
	s_cbranch_execz .LBB9_69
.LBB9_67:                               ; =>This Inner Loop Header: Depth=1
	global_load_u8 v25, v[20:21], off
	global_load_u8 v36, v[22:23], off
	s_or_b32 s23, s23, exec_lo
	s_or_b32 s24, s24, exec_lo
	s_mov_b32 s26, exec_lo
	s_wait_loadcnt 0x1
	v_and_b32_e32 v25, 0xff, v25
	s_wait_loadcnt 0x0
	v_and_b32_e32 v36, 0xff, v36
	s_delay_alu instid0(VALU_DEP_1)
	v_cmp_le_u16_e64 s0, v25, v36
	v_cmp_lt_u16_e32 vcc_lo, v25, v36
	v_cmpx_eq_u16_e64 v25, v36
	s_cbranch_execz .LBB9_66
; %bb.68:                               ;   in Loop: Header=BB9_67 Depth=1
	s_add_nc_u64 s[6:7], s[6:7], -1
	v_add_nc_u64_e32 v[20:21], 1, v[20:21]
	s_cmp_eq_u64 s[6:7], 0
	v_add_nc_u64_e32 v[22:23], 1, v[22:23]
	s_cselect_b32 s1, -1, 0
	s_and_not1_b32 s24, s24, exec_lo
	s_and_b32 s1, s1, exec_lo
	s_and_not1_b32 s23, s23, exec_lo
	s_or_b32 s24, s24, s1
	s_branch .LBB9_66
.LBB9_69:
	s_or_b32 exec_lo, exec_lo, s15
	s_and_saveexec_b32 s0, s22
	s_delay_alu instid0(SALU_CYCLE_1)
	s_xor_b32 s0, exec_lo, s0
; %bb.70:
	v_dual_cndmask_b32 v21, v7, v9, s14 :: v_dual_cndmask_b32 v20, v6, v8, s14
	v_dual_cndmask_b32 v9, v9, v7, s14 :: v_dual_cndmask_b32 v8, v8, v6, s14
	s_delay_alu instid0(VALU_DEP_2)
	v_mov_b64_e32 v[6:7], v[20:21]
; %bb.71:
	s_or_b32 exec_lo, exec_lo, s0
.LBB9_72:
	v_cmp_ne_u32_e32 vcc_lo, 1, v35
	s_cbranch_vccnz .LBB9_86
; %bb.73:
	v_mad_nc_u64_u32 v[20:21], v4, s16, s[18:19]
	v_mad_nc_u64_u32 v[22:23], v2, s16, s[18:19]
	s_mov_b32 s15, 0
	s_mov_b64 s[6:7], s[16:17]
                                        ; implicit-def: $sgpr14
                                        ; implicit-def: $sgpr22
                                        ; implicit-def: $sgpr24
                                        ; implicit-def: $sgpr23
                                        ; implicit-def: $sgpr25
	s_delay_alu instid0(VALU_DEP_2) | instskip(NEXT) | instid1(VALU_DEP_2)
	v_mad_u32 v21, v5, s16, v21
	v_mad_u32 v23, v3, s16, v23
	s_delay_alu instid0(VALU_DEP_2) | instskip(NEXT) | instid1(VALU_DEP_2)
	v_mad_u32 v21, v4, s17, v21
	v_mad_u32 v23, v2, s17, v23
	s_branch .LBB9_75
.LBB9_74:                               ;   in Loop: Header=BB9_75 Depth=1
	s_or_b32 exec_lo, exec_lo, s26
	s_and_b32 s0, s0, s25
	s_delay_alu instid0(SALU_CYCLE_1) | instskip(SKIP_1) | instid1(SALU_CYCLE_1)
	s_or_b32 s0, vcc_lo, s0
	s_and_b32 s1, exec_lo, s24
	s_or_b32 s15, s1, s15
	s_and_not1_b32 s1, s25, exec_lo
	s_and_b32 s0, s0, exec_lo
	s_and_not1_b32 s22, s22, exec_lo
	s_and_b32 s26, s23, exec_lo
	s_or_b32 s25, s1, s0
	s_and_not1_b32 s1, s14, exec_lo
	s_or_b32 s22, s22, s26
	s_or_b32 s14, s1, s0
	s_and_not1_b32 exec_lo, exec_lo, s15
	s_cbranch_execz .LBB9_77
.LBB9_75:                               ; =>This Inner Loop Header: Depth=1
	global_load_u8 v25, v[20:21], off
	global_load_u8 v36, v[22:23], off
	s_or_b32 s23, s23, exec_lo
	s_or_b32 s24, s24, exec_lo
	s_mov_b32 s26, exec_lo
	s_wait_loadcnt 0x1
	v_and_b32_e32 v25, 0xff, v25
	s_wait_loadcnt 0x0
	v_and_b32_e32 v36, 0xff, v36
	s_delay_alu instid0(VALU_DEP_1)
	v_cmp_le_u16_e64 s0, v25, v36
	v_cmp_lt_u16_e32 vcc_lo, v25, v36
	v_cmpx_eq_u16_e64 v25, v36
	s_cbranch_execz .LBB9_74
; %bb.76:                               ;   in Loop: Header=BB9_75 Depth=1
	s_add_nc_u64 s[6:7], s[6:7], -1
	v_add_nc_u64_e32 v[20:21], 1, v[20:21]
	s_cmp_eq_u64 s[6:7], 0
	v_add_nc_u64_e32 v[22:23], 1, v[22:23]
	s_cselect_b32 s1, -1, 0
	s_and_not1_b32 s24, s24, exec_lo
	s_and_b32 s1, s1, exec_lo
	s_and_not1_b32 s23, s23, exec_lo
	s_or_b32 s24, s24, s1
	s_branch .LBB9_74
.LBB9_77:
	s_or_b32 exec_lo, exec_lo, s15
	s_and_saveexec_b32 s0, s22
	s_delay_alu instid0(SALU_CYCLE_1)
	s_xor_b32 s0, exec_lo, s0
; %bb.78:
	v_dual_cndmask_b32 v21, v3, v5, s14 :: v_dual_cndmask_b32 v20, v2, v4, s14
	v_dual_cndmask_b32 v5, v5, v3, s14 :: v_dual_cndmask_b32 v4, v4, v2, s14
	s_delay_alu instid0(VALU_DEP_2)
	v_mov_b64_e32 v[2:3], v[20:21]
; %bb.79:
	s_or_b32 exec_lo, exec_lo, s0
	v_mad_nc_u64_u32 v[20:21], v10, s16, s[18:19]
	v_mad_nc_u64_u32 v[22:23], v16, s16, s[18:19]
	s_mov_b32 s15, 0
	s_mov_b64 s[6:7], s[16:17]
                                        ; implicit-def: $sgpr14
                                        ; implicit-def: $sgpr22
                                        ; implicit-def: $sgpr24
                                        ; implicit-def: $sgpr23
                                        ; implicit-def: $sgpr25
	s_delay_alu instid0(VALU_DEP_2) | instskip(NEXT) | instid1(VALU_DEP_2)
	v_mad_u32 v21, v11, s16, v21
	v_mad_u32 v23, v17, s16, v23
	s_delay_alu instid0(VALU_DEP_2) | instskip(NEXT) | instid1(VALU_DEP_2)
	v_mad_u32 v21, v10, s17, v21
	v_mad_u32 v23, v16, s17, v23
	s_branch .LBB9_81
.LBB9_80:                               ;   in Loop: Header=BB9_81 Depth=1
	s_or_b32 exec_lo, exec_lo, s26
	s_and_b32 s0, s0, s25
	s_delay_alu instid0(SALU_CYCLE_1) | instskip(SKIP_1) | instid1(SALU_CYCLE_1)
	s_or_b32 s0, vcc_lo, s0
	s_and_b32 s1, exec_lo, s24
	s_or_b32 s15, s1, s15
	s_and_not1_b32 s1, s25, exec_lo
	s_and_b32 s0, s0, exec_lo
	s_and_not1_b32 s22, s22, exec_lo
	s_and_b32 s26, s23, exec_lo
	s_or_b32 s25, s1, s0
	s_and_not1_b32 s1, s14, exec_lo
	s_or_b32 s22, s22, s26
	s_or_b32 s14, s1, s0
	s_and_not1_b32 exec_lo, exec_lo, s15
	s_cbranch_execz .LBB9_83
.LBB9_81:                               ; =>This Inner Loop Header: Depth=1
	global_load_u8 v25, v[20:21], off
	global_load_u8 v36, v[22:23], off
	s_or_b32 s23, s23, exec_lo
	s_or_b32 s24, s24, exec_lo
	s_mov_b32 s26, exec_lo
	s_wait_loadcnt 0x1
	v_and_b32_e32 v25, 0xff, v25
	s_wait_loadcnt 0x0
	v_and_b32_e32 v36, 0xff, v36
	s_delay_alu instid0(VALU_DEP_1)
	v_cmp_le_u16_e64 s0, v25, v36
	v_cmp_lt_u16_e32 vcc_lo, v25, v36
	v_cmpx_eq_u16_e64 v25, v36
	s_cbranch_execz .LBB9_80
; %bb.82:                               ;   in Loop: Header=BB9_81 Depth=1
	s_add_nc_u64 s[6:7], s[6:7], -1
	v_add_nc_u64_e32 v[20:21], 1, v[20:21]
	s_cmp_eq_u64 s[6:7], 0
	v_add_nc_u64_e32 v[22:23], 1, v[22:23]
	s_cselect_b32 s1, -1, 0
	s_and_not1_b32 s24, s24, exec_lo
	s_and_b32 s1, s1, exec_lo
	s_and_not1_b32 s23, s23, exec_lo
	s_or_b32 s24, s24, s1
	s_branch .LBB9_80
.LBB9_83:
	s_or_b32 exec_lo, exec_lo, s15
	s_and_saveexec_b32 s0, s22
	s_delay_alu instid0(SALU_CYCLE_1)
	s_xor_b32 s0, exec_lo, s0
; %bb.84:
	v_dual_cndmask_b32 v21, v17, v11, s14 :: v_dual_cndmask_b32 v20, v16, v10, s14
	v_dual_cndmask_b32 v11, v11, v17, s14 :: v_dual_cndmask_b32 v10, v10, v16, s14
	s_delay_alu instid0(VALU_DEP_2)
	v_mov_b64_e32 v[16:17], v[20:21]
; %bb.85:
	s_or_b32 exec_lo, exec_lo, s0
.LBB9_86:
	v_cmp_ne_u32_e32 vcc_lo, 1, v35
	s_cbranch_vccnz .LBB9_100
; %bb.87:
	s_delay_alu instid0(VALU_DEP_3) | instskip(SKIP_3) | instid1(VALU_DEP_2)
	v_mad_nc_u64_u32 v[20:21], v6, s16, s[18:19]
	v_mad_nc_u64_u32 v[22:23], v12, s16, s[18:19]
	s_mov_b32 s15, 0
	s_mov_b64 s[6:7], s[16:17]
                                        ; implicit-def: $sgpr14
                                        ; implicit-def: $sgpr22
                                        ; implicit-def: $sgpr24
                                        ; implicit-def: $sgpr23
                                        ; implicit-def: $sgpr25
	v_mad_u32 v21, v7, s16, v21
	s_delay_alu instid0(VALU_DEP_2) | instskip(NEXT) | instid1(VALU_DEP_2)
	v_mad_u32 v23, v13, s16, v23
	v_mad_u32 v21, v6, s17, v21
	s_delay_alu instid0(VALU_DEP_2)
	v_mad_u32 v23, v12, s17, v23
	s_branch .LBB9_89
.LBB9_88:                               ;   in Loop: Header=BB9_89 Depth=1
	s_or_b32 exec_lo, exec_lo, s26
	s_and_b32 s0, s0, s25
	s_delay_alu instid0(SALU_CYCLE_1) | instskip(SKIP_1) | instid1(SALU_CYCLE_1)
	s_or_b32 s0, vcc_lo, s0
	s_and_b32 s1, exec_lo, s24
	s_or_b32 s15, s1, s15
	s_and_not1_b32 s1, s25, exec_lo
	s_and_b32 s0, s0, exec_lo
	s_and_not1_b32 s22, s22, exec_lo
	s_and_b32 s26, s23, exec_lo
	s_or_b32 s25, s1, s0
	s_and_not1_b32 s1, s14, exec_lo
	s_or_b32 s22, s22, s26
	s_or_b32 s14, s1, s0
	s_and_not1_b32 exec_lo, exec_lo, s15
	s_cbranch_execz .LBB9_91
.LBB9_89:                               ; =>This Inner Loop Header: Depth=1
	global_load_u8 v25, v[20:21], off
	global_load_u8 v36, v[22:23], off
	s_or_b32 s23, s23, exec_lo
	s_or_b32 s24, s24, exec_lo
	s_mov_b32 s26, exec_lo
	s_wait_loadcnt 0x1
	v_and_b32_e32 v25, 0xff, v25
	s_wait_loadcnt 0x0
	v_and_b32_e32 v36, 0xff, v36
	s_delay_alu instid0(VALU_DEP_1)
	v_cmp_le_u16_e64 s0, v25, v36
	v_cmp_lt_u16_e32 vcc_lo, v25, v36
	v_cmpx_eq_u16_e64 v25, v36
	s_cbranch_execz .LBB9_88
; %bb.90:                               ;   in Loop: Header=BB9_89 Depth=1
	s_add_nc_u64 s[6:7], s[6:7], -1
	v_add_nc_u64_e32 v[20:21], 1, v[20:21]
	s_cmp_eq_u64 s[6:7], 0
	v_add_nc_u64_e32 v[22:23], 1, v[22:23]
	s_cselect_b32 s1, -1, 0
	s_and_not1_b32 s24, s24, exec_lo
	s_and_b32 s1, s1, exec_lo
	s_and_not1_b32 s23, s23, exec_lo
	s_or_b32 s24, s24, s1
	s_branch .LBB9_88
.LBB9_91:
	s_or_b32 exec_lo, exec_lo, s15
	s_and_saveexec_b32 s0, s22
	s_delay_alu instid0(SALU_CYCLE_1)
	s_xor_b32 s0, exec_lo, s0
; %bb.92:
	v_dual_cndmask_b32 v21, v13, v7, s14 :: v_dual_cndmask_b32 v20, v12, v6, s14
	v_dual_cndmask_b32 v7, v7, v13, s14 :: v_dual_cndmask_b32 v6, v6, v12, s14
	s_delay_alu instid0(VALU_DEP_2)
	v_mov_b64_e32 v[12:13], v[20:21]
; %bb.93:
	s_or_b32 exec_lo, exec_lo, s0
	v_mad_nc_u64_u32 v[20:21], v2, s16, s[18:19]
	v_mad_nc_u64_u32 v[22:23], v8, s16, s[18:19]
	s_mov_b32 s15, 0
	s_mov_b64 s[6:7], s[16:17]
                                        ; implicit-def: $sgpr14
                                        ; implicit-def: $sgpr22
                                        ; implicit-def: $sgpr24
                                        ; implicit-def: $sgpr23
                                        ; implicit-def: $sgpr25
	s_delay_alu instid0(VALU_DEP_2) | instskip(NEXT) | instid1(VALU_DEP_2)
	v_mad_u32 v21, v3, s16, v21
	v_mad_u32 v23, v9, s16, v23
	s_delay_alu instid0(VALU_DEP_2) | instskip(NEXT) | instid1(VALU_DEP_2)
	v_mad_u32 v21, v2, s17, v21
	v_mad_u32 v23, v8, s17, v23
	s_branch .LBB9_95
.LBB9_94:                               ;   in Loop: Header=BB9_95 Depth=1
	s_or_b32 exec_lo, exec_lo, s26
	s_and_b32 s0, s0, s25
	s_delay_alu instid0(SALU_CYCLE_1) | instskip(SKIP_1) | instid1(SALU_CYCLE_1)
	s_or_b32 s0, vcc_lo, s0
	s_and_b32 s1, exec_lo, s24
	s_or_b32 s15, s1, s15
	s_and_not1_b32 s1, s25, exec_lo
	s_and_b32 s0, s0, exec_lo
	s_and_not1_b32 s22, s22, exec_lo
	s_and_b32 s26, s23, exec_lo
	s_or_b32 s25, s1, s0
	s_and_not1_b32 s1, s14, exec_lo
	s_or_b32 s22, s22, s26
	s_or_b32 s14, s1, s0
	s_and_not1_b32 exec_lo, exec_lo, s15
	s_cbranch_execz .LBB9_97
.LBB9_95:                               ; =>This Inner Loop Header: Depth=1
	global_load_u8 v25, v[20:21], off
	global_load_u8 v36, v[22:23], off
	s_or_b32 s23, s23, exec_lo
	s_or_b32 s24, s24, exec_lo
	s_mov_b32 s26, exec_lo
	s_wait_loadcnt 0x1
	v_and_b32_e32 v25, 0xff, v25
	s_wait_loadcnt 0x0
	v_and_b32_e32 v36, 0xff, v36
	s_delay_alu instid0(VALU_DEP_1)
	v_cmp_le_u16_e64 s0, v25, v36
	v_cmp_lt_u16_e32 vcc_lo, v25, v36
	v_cmpx_eq_u16_e64 v25, v36
	s_cbranch_execz .LBB9_94
; %bb.96:                               ;   in Loop: Header=BB9_95 Depth=1
	s_add_nc_u64 s[6:7], s[6:7], -1
	v_add_nc_u64_e32 v[20:21], 1, v[20:21]
	s_cmp_eq_u64 s[6:7], 0
	v_add_nc_u64_e32 v[22:23], 1, v[22:23]
	s_cselect_b32 s1, -1, 0
	s_and_not1_b32 s24, s24, exec_lo
	s_and_b32 s1, s1, exec_lo
	s_and_not1_b32 s23, s23, exec_lo
	s_or_b32 s24, s24, s1
	s_branch .LBB9_94
.LBB9_97:
	s_or_b32 exec_lo, exec_lo, s15
	s_and_saveexec_b32 s0, s22
	s_delay_alu instid0(SALU_CYCLE_1)
	s_xor_b32 s0, exec_lo, s0
; %bb.98:
	v_dual_cndmask_b32 v21, v9, v3, s14 :: v_dual_cndmask_b32 v20, v8, v2, s14
	v_dual_cndmask_b32 v3, v3, v9, s14 :: v_dual_cndmask_b32 v2, v2, v8, s14
	s_delay_alu instid0(VALU_DEP_2)
	v_mov_b64_e32 v[8:9], v[20:21]
; %bb.99:
	s_or_b32 exec_lo, exec_lo, s0
.LBB9_100:
	v_cmp_ne_u32_e32 vcc_lo, 1, v35
	s_cbranch_vccnz .LBB9_114
; %bb.101:
	s_delay_alu instid0(VALU_DEP_3) | instskip(SKIP_3) | instid1(VALU_DEP_2)
	v_mad_nc_u64_u32 v[20:21], v16, s16, s[18:19]
	v_mad_nc_u64_u32 v[22:23], v14, s16, s[18:19]
	s_mov_b32 s15, 0
	s_mov_b64 s[6:7], s[16:17]
                                        ; implicit-def: $sgpr14
                                        ; implicit-def: $sgpr22
                                        ; implicit-def: $sgpr24
                                        ; implicit-def: $sgpr23
                                        ; implicit-def: $sgpr25
	v_mad_u32 v21, v17, s16, v21
	s_delay_alu instid0(VALU_DEP_2) | instskip(NEXT) | instid1(VALU_DEP_2)
	v_mad_u32 v23, v15, s16, v23
	v_mad_u32 v21, v16, s17, v21
	s_delay_alu instid0(VALU_DEP_2)
	v_mad_u32 v23, v14, s17, v23
	s_branch .LBB9_103
.LBB9_102:                              ;   in Loop: Header=BB9_103 Depth=1
	s_or_b32 exec_lo, exec_lo, s26
	s_and_b32 s0, s0, s25
	s_delay_alu instid0(SALU_CYCLE_1) | instskip(SKIP_1) | instid1(SALU_CYCLE_1)
	s_or_b32 s0, vcc_lo, s0
	s_and_b32 s1, exec_lo, s24
	s_or_b32 s15, s1, s15
	s_and_not1_b32 s1, s25, exec_lo
	s_and_b32 s0, s0, exec_lo
	s_and_not1_b32 s22, s22, exec_lo
	s_and_b32 s26, s23, exec_lo
	s_or_b32 s25, s1, s0
	s_and_not1_b32 s1, s14, exec_lo
	s_or_b32 s22, s22, s26
	s_or_b32 s14, s1, s0
	s_and_not1_b32 exec_lo, exec_lo, s15
	s_cbranch_execz .LBB9_105
.LBB9_103:                              ; =>This Inner Loop Header: Depth=1
	global_load_u8 v25, v[20:21], off
	global_load_u8 v36, v[22:23], off
	s_or_b32 s23, s23, exec_lo
	s_or_b32 s24, s24, exec_lo
	s_mov_b32 s26, exec_lo
	s_wait_loadcnt 0x1
	v_and_b32_e32 v25, 0xff, v25
	s_wait_loadcnt 0x0
	v_and_b32_e32 v36, 0xff, v36
	s_delay_alu instid0(VALU_DEP_1)
	v_cmp_le_u16_e64 s0, v25, v36
	v_cmp_lt_u16_e32 vcc_lo, v25, v36
	v_cmpx_eq_u16_e64 v25, v36
	s_cbranch_execz .LBB9_102
; %bb.104:                              ;   in Loop: Header=BB9_103 Depth=1
	s_add_nc_u64 s[6:7], s[6:7], -1
	v_add_nc_u64_e32 v[20:21], 1, v[20:21]
	s_cmp_eq_u64 s[6:7], 0
	v_add_nc_u64_e32 v[22:23], 1, v[22:23]
	s_cselect_b32 s1, -1, 0
	s_and_not1_b32 s24, s24, exec_lo
	s_and_b32 s1, s1, exec_lo
	s_and_not1_b32 s23, s23, exec_lo
	s_or_b32 s24, s24, s1
	s_branch .LBB9_102
.LBB9_105:
	s_or_b32 exec_lo, exec_lo, s15
	s_and_saveexec_b32 s0, s22
	s_delay_alu instid0(SALU_CYCLE_1)
	s_xor_b32 s0, exec_lo, s0
; %bb.106:
	v_dual_cndmask_b32 v21, v17, v15, s14 :: v_dual_cndmask_b32 v20, v16, v14, s14
	v_dual_cndmask_b32 v15, v15, v17, s14 :: v_dual_cndmask_b32 v14, v14, v16, s14
	s_delay_alu instid0(VALU_DEP_2)
	v_mov_b64_e32 v[16:17], v[20:21]
; %bb.107:
	s_or_b32 exec_lo, exec_lo, s0
	v_mad_nc_u64_u32 v[20:21], v12, s16, s[18:19]
	v_mad_nc_u64_u32 v[22:23], v10, s16, s[18:19]
	s_mov_b32 s15, 0
	s_mov_b64 s[6:7], s[16:17]
                                        ; implicit-def: $sgpr14
                                        ; implicit-def: $sgpr22
                                        ; implicit-def: $sgpr24
                                        ; implicit-def: $sgpr23
                                        ; implicit-def: $sgpr25
	s_delay_alu instid0(VALU_DEP_2) | instskip(NEXT) | instid1(VALU_DEP_2)
	v_mad_u32 v21, v13, s16, v21
	v_mad_u32 v23, v11, s16, v23
	s_delay_alu instid0(VALU_DEP_2) | instskip(NEXT) | instid1(VALU_DEP_2)
	v_mad_u32 v21, v12, s17, v21
	v_mad_u32 v23, v10, s17, v23
	s_branch .LBB9_109
.LBB9_108:                              ;   in Loop: Header=BB9_109 Depth=1
	s_or_b32 exec_lo, exec_lo, s26
	s_and_b32 s0, s0, s25
	s_delay_alu instid0(SALU_CYCLE_1) | instskip(SKIP_1) | instid1(SALU_CYCLE_1)
	s_or_b32 s0, vcc_lo, s0
	s_and_b32 s1, exec_lo, s24
	s_or_b32 s15, s1, s15
	s_and_not1_b32 s1, s25, exec_lo
	s_and_b32 s0, s0, exec_lo
	s_and_not1_b32 s22, s22, exec_lo
	s_and_b32 s26, s23, exec_lo
	s_or_b32 s25, s1, s0
	s_and_not1_b32 s1, s14, exec_lo
	s_or_b32 s22, s22, s26
	s_or_b32 s14, s1, s0
	s_and_not1_b32 exec_lo, exec_lo, s15
	s_cbranch_execz .LBB9_111
.LBB9_109:                              ; =>This Inner Loop Header: Depth=1
	global_load_u8 v25, v[20:21], off
	global_load_u8 v36, v[22:23], off
	s_or_b32 s23, s23, exec_lo
	s_or_b32 s24, s24, exec_lo
	s_mov_b32 s26, exec_lo
	s_wait_loadcnt 0x1
	v_and_b32_e32 v25, 0xff, v25
	s_wait_loadcnt 0x0
	v_and_b32_e32 v36, 0xff, v36
	s_delay_alu instid0(VALU_DEP_1)
	v_cmp_le_u16_e64 s0, v25, v36
	v_cmp_lt_u16_e32 vcc_lo, v25, v36
	v_cmpx_eq_u16_e64 v25, v36
	s_cbranch_execz .LBB9_108
; %bb.110:                              ;   in Loop: Header=BB9_109 Depth=1
	s_add_nc_u64 s[6:7], s[6:7], -1
	v_add_nc_u64_e32 v[20:21], 1, v[20:21]
	s_cmp_eq_u64 s[6:7], 0
	v_add_nc_u64_e32 v[22:23], 1, v[22:23]
	s_cselect_b32 s1, -1, 0
	s_and_not1_b32 s24, s24, exec_lo
	s_and_b32 s1, s1, exec_lo
	s_and_not1_b32 s23, s23, exec_lo
	s_or_b32 s24, s24, s1
	s_branch .LBB9_108
.LBB9_111:
	s_or_b32 exec_lo, exec_lo, s15
	s_and_saveexec_b32 s0, s22
	s_delay_alu instid0(SALU_CYCLE_1)
	s_xor_b32 s0, exec_lo, s0
; %bb.112:
	v_dual_cndmask_b32 v21, v11, v13, s14 :: v_dual_cndmask_b32 v20, v10, v12, s14
	v_dual_cndmask_b32 v13, v13, v11, s14 :: v_dual_cndmask_b32 v12, v12, v10, s14
	s_delay_alu instid0(VALU_DEP_2)
	v_mov_b64_e32 v[10:11], v[20:21]
; %bb.113:
	s_or_b32 exec_lo, exec_lo, s0
.LBB9_114:
	v_cmp_ne_u32_e32 vcc_lo, 1, v35
	s_cbranch_vccnz .LBB9_188
; %bb.115:
	s_delay_alu instid0(VALU_DEP_3) | instskip(SKIP_3) | instid1(VALU_DEP_2)
	v_mad_nc_u64_u32 v[20:21], v8, s16, s[18:19]
	v_mad_nc_u64_u32 v[22:23], v6, s16, s[18:19]
	s_mov_b32 s15, 0
	s_mov_b64 s[6:7], s[16:17]
                                        ; implicit-def: $sgpr14
                                        ; implicit-def: $sgpr22
                                        ; implicit-def: $sgpr24
                                        ; implicit-def: $sgpr23
                                        ; implicit-def: $sgpr25
	v_mad_u32 v21, v9, s16, v21
	s_delay_alu instid0(VALU_DEP_2) | instskip(NEXT) | instid1(VALU_DEP_2)
	v_mad_u32 v23, v7, s16, v23
	v_mad_u32 v21, v8, s17, v21
	s_delay_alu instid0(VALU_DEP_2)
	v_mad_u32 v23, v6, s17, v23
	s_branch .LBB9_117
.LBB9_116:                              ;   in Loop: Header=BB9_117 Depth=1
	s_or_b32 exec_lo, exec_lo, s26
	s_and_b32 s0, s0, s25
	s_delay_alu instid0(SALU_CYCLE_1) | instskip(SKIP_1) | instid1(SALU_CYCLE_1)
	s_or_b32 s0, vcc_lo, s0
	s_and_b32 s1, exec_lo, s24
	s_or_b32 s15, s1, s15
	s_and_not1_b32 s1, s25, exec_lo
	s_and_b32 s0, s0, exec_lo
	s_and_not1_b32 s22, s22, exec_lo
	s_and_b32 s26, s23, exec_lo
	s_or_b32 s25, s1, s0
	s_and_not1_b32 s1, s14, exec_lo
	s_or_b32 s22, s22, s26
	s_or_b32 s14, s1, s0
	s_and_not1_b32 exec_lo, exec_lo, s15
	s_cbranch_execz .LBB9_119
.LBB9_117:                              ; =>This Inner Loop Header: Depth=1
	global_load_u8 v25, v[20:21], off
	global_load_u8 v36, v[22:23], off
	s_or_b32 s23, s23, exec_lo
	s_or_b32 s24, s24, exec_lo
	s_mov_b32 s26, exec_lo
	s_wait_loadcnt 0x1
	v_and_b32_e32 v25, 0xff, v25
	s_wait_loadcnt 0x0
	v_and_b32_e32 v36, 0xff, v36
	s_delay_alu instid0(VALU_DEP_1)
	v_cmp_le_u16_e64 s0, v25, v36
	v_cmp_lt_u16_e32 vcc_lo, v25, v36
	v_cmpx_eq_u16_e64 v25, v36
	s_cbranch_execz .LBB9_116
; %bb.118:                              ;   in Loop: Header=BB9_117 Depth=1
	s_add_nc_u64 s[6:7], s[6:7], -1
	v_add_nc_u64_e32 v[20:21], 1, v[20:21]
	s_cmp_eq_u64 s[6:7], 0
	v_add_nc_u64_e32 v[22:23], 1, v[22:23]
	s_cselect_b32 s1, -1, 0
	s_and_not1_b32 s24, s24, exec_lo
	s_and_b32 s1, s1, exec_lo
	s_and_not1_b32 s23, s23, exec_lo
	s_or_b32 s24, s24, s1
	s_branch .LBB9_116
.LBB9_119:
	s_or_b32 exec_lo, exec_lo, s15
	s_and_saveexec_b32 s0, s22
	s_delay_alu instid0(SALU_CYCLE_1)
	s_xor_b32 s0, exec_lo, s0
; %bb.120:
	v_dual_cndmask_b32 v21, v7, v9, s14 :: v_dual_cndmask_b32 v20, v6, v8, s14
	v_dual_cndmask_b32 v9, v9, v7, s14 :: v_dual_cndmask_b32 v8, v8, v6, s14
	s_delay_alu instid0(VALU_DEP_2)
	v_mov_b64_e32 v[6:7], v[20:21]
; %bb.121:
	s_or_b32 exec_lo, exec_lo, s0
	v_mad_nc_u64_u32 v[20:21], v4, s16, s[18:19]
	v_mad_nc_u64_u32 v[22:23], v2, s16, s[18:19]
	s_mov_b32 s15, 0
	s_mov_b64 s[6:7], s[16:17]
                                        ; implicit-def: $sgpr14
                                        ; implicit-def: $sgpr22
                                        ; implicit-def: $sgpr24
                                        ; implicit-def: $sgpr23
                                        ; implicit-def: $sgpr25
	s_delay_alu instid0(VALU_DEP_2) | instskip(NEXT) | instid1(VALU_DEP_2)
	v_mad_u32 v21, v5, s16, v21
	v_mad_u32 v23, v3, s16, v23
	s_delay_alu instid0(VALU_DEP_2) | instskip(NEXT) | instid1(VALU_DEP_2)
	v_mad_u32 v21, v4, s17, v21
	v_mad_u32 v23, v2, s17, v23
	s_branch .LBB9_123
.LBB9_122:                              ;   in Loop: Header=BB9_123 Depth=1
	s_or_b32 exec_lo, exec_lo, s26
	s_and_b32 s0, s0, s25
	s_delay_alu instid0(SALU_CYCLE_1) | instskip(SKIP_1) | instid1(SALU_CYCLE_1)
	s_or_b32 s0, vcc_lo, s0
	s_and_b32 s1, exec_lo, s24
	s_or_b32 s15, s1, s15
	s_and_not1_b32 s1, s25, exec_lo
	s_and_b32 s0, s0, exec_lo
	s_and_not1_b32 s22, s22, exec_lo
	s_and_b32 s26, s23, exec_lo
	s_or_b32 s25, s1, s0
	s_and_not1_b32 s1, s14, exec_lo
	s_or_b32 s22, s22, s26
	s_or_b32 s14, s1, s0
	s_and_not1_b32 exec_lo, exec_lo, s15
	s_cbranch_execz .LBB9_125
.LBB9_123:                              ; =>This Inner Loop Header: Depth=1
	global_load_u8 v25, v[20:21], off
	global_load_u8 v36, v[22:23], off
	s_or_b32 s23, s23, exec_lo
	s_or_b32 s24, s24, exec_lo
	s_mov_b32 s26, exec_lo
	s_wait_loadcnt 0x1
	v_and_b32_e32 v25, 0xff, v25
	s_wait_loadcnt 0x0
	v_and_b32_e32 v36, 0xff, v36
	s_delay_alu instid0(VALU_DEP_1)
	v_cmp_le_u16_e64 s0, v25, v36
	v_cmp_lt_u16_e32 vcc_lo, v25, v36
	v_cmpx_eq_u16_e64 v25, v36
	s_cbranch_execz .LBB9_122
; %bb.124:                              ;   in Loop: Header=BB9_123 Depth=1
	s_add_nc_u64 s[6:7], s[6:7], -1
	v_add_nc_u64_e32 v[20:21], 1, v[20:21]
	s_cmp_eq_u64 s[6:7], 0
	v_add_nc_u64_e32 v[22:23], 1, v[22:23]
	s_cselect_b32 s1, -1, 0
	s_and_not1_b32 s24, s24, exec_lo
	s_and_b32 s1, s1, exec_lo
	s_and_not1_b32 s23, s23, exec_lo
	s_or_b32 s24, s24, s1
	s_branch .LBB9_122
.LBB9_125:
	s_or_b32 exec_lo, exec_lo, s15
	s_and_saveexec_b32 s0, s22
	s_delay_alu instid0(SALU_CYCLE_1)
	s_xor_b32 s0, exec_lo, s0
; %bb.126:
	v_dual_cndmask_b32 v21, v3, v5, s14 :: v_dual_cndmask_b32 v20, v2, v4, s14
	v_dual_cndmask_b32 v5, v5, v3, s14 :: v_dual_cndmask_b32 v4, v4, v2, s14
	s_delay_alu instid0(VALU_DEP_2)
	v_mov_b64_e32 v[2:3], v[20:21]
; %bb.127:
	s_or_b32 exec_lo, exec_lo, s0
	v_mad_nc_u64_u32 v[20:21], v10, s16, s[18:19]
	v_mad_nc_u64_u32 v[22:23], v16, s16, s[18:19]
	s_mov_b32 s15, 0
	s_mov_b64 s[6:7], s[16:17]
                                        ; implicit-def: $sgpr14
                                        ; implicit-def: $sgpr22
                                        ; implicit-def: $sgpr24
                                        ; implicit-def: $sgpr23
                                        ; implicit-def: $sgpr25
	s_delay_alu instid0(VALU_DEP_2) | instskip(NEXT) | instid1(VALU_DEP_2)
	v_mad_u32 v21, v11, s16, v21
	v_mad_u32 v23, v17, s16, v23
	s_delay_alu instid0(VALU_DEP_2) | instskip(NEXT) | instid1(VALU_DEP_2)
	v_mad_u32 v21, v10, s17, v21
	v_mad_u32 v23, v16, s17, v23
	s_branch .LBB9_129
.LBB9_128:                              ;   in Loop: Header=BB9_129 Depth=1
	s_or_b32 exec_lo, exec_lo, s26
	s_and_b32 s0, s0, s25
	s_delay_alu instid0(SALU_CYCLE_1) | instskip(SKIP_1) | instid1(SALU_CYCLE_1)
	s_or_b32 s0, vcc_lo, s0
	s_and_b32 s1, exec_lo, s24
	s_or_b32 s15, s1, s15
	s_and_not1_b32 s1, s25, exec_lo
	s_and_b32 s0, s0, exec_lo
	s_and_not1_b32 s22, s22, exec_lo
	s_and_b32 s26, s23, exec_lo
	s_or_b32 s25, s1, s0
	s_and_not1_b32 s1, s14, exec_lo
	s_or_b32 s22, s22, s26
	s_or_b32 s14, s1, s0
	s_and_not1_b32 exec_lo, exec_lo, s15
	s_cbranch_execz .LBB9_131
.LBB9_129:                              ; =>This Inner Loop Header: Depth=1
	global_load_u8 v25, v[20:21], off
	global_load_u8 v36, v[22:23], off
	s_or_b32 s23, s23, exec_lo
	s_or_b32 s24, s24, exec_lo
	s_mov_b32 s26, exec_lo
	s_wait_loadcnt 0x1
	v_and_b32_e32 v25, 0xff, v25
	s_wait_loadcnt 0x0
	v_and_b32_e32 v36, 0xff, v36
	s_delay_alu instid0(VALU_DEP_1)
	v_cmp_le_u16_e64 s0, v25, v36
	v_cmp_lt_u16_e32 vcc_lo, v25, v36
	v_cmpx_eq_u16_e64 v25, v36
	s_cbranch_execz .LBB9_128
; %bb.130:                              ;   in Loop: Header=BB9_129 Depth=1
	s_add_nc_u64 s[6:7], s[6:7], -1
	v_add_nc_u64_e32 v[20:21], 1, v[20:21]
	s_cmp_eq_u64 s[6:7], 0
	v_add_nc_u64_e32 v[22:23], 1, v[22:23]
	s_cselect_b32 s1, -1, 0
	s_and_not1_b32 s24, s24, exec_lo
	s_and_b32 s1, s1, exec_lo
	s_and_not1_b32 s23, s23, exec_lo
	s_or_b32 s24, s24, s1
	s_branch .LBB9_128
.LBB9_131:
	s_or_b32 exec_lo, exec_lo, s15
	s_and_saveexec_b32 s0, s22
	s_delay_alu instid0(SALU_CYCLE_1)
	s_xor_b32 s0, exec_lo, s0
; %bb.132:
	v_dual_cndmask_b32 v21, v17, v11, s14 :: v_dual_cndmask_b32 v20, v16, v10, s14
	v_dual_cndmask_b32 v11, v11, v17, s14 :: v_dual_cndmask_b32 v10, v10, v16, s14
	s_delay_alu instid0(VALU_DEP_2)
	v_mov_b64_e32 v[16:17], v[20:21]
; %bb.133:
	s_or_b32 exec_lo, exec_lo, s0
	v_mad_nc_u64_u32 v[20:21], v6, s16, s[18:19]
	v_mad_nc_u64_u32 v[22:23], v12, s16, s[18:19]
	s_mov_b32 s15, 0
	s_mov_b64 s[6:7], s[16:17]
                                        ; implicit-def: $sgpr14
                                        ; implicit-def: $sgpr22
                                        ; implicit-def: $sgpr24
                                        ; implicit-def: $sgpr23
                                        ; implicit-def: $sgpr25
	s_delay_alu instid0(VALU_DEP_2) | instskip(NEXT) | instid1(VALU_DEP_2)
	v_mad_u32 v21, v7, s16, v21
	v_mad_u32 v23, v13, s16, v23
	s_delay_alu instid0(VALU_DEP_2) | instskip(NEXT) | instid1(VALU_DEP_2)
	v_mad_u32 v21, v6, s17, v21
	v_mad_u32 v23, v12, s17, v23
	s_branch .LBB9_135
.LBB9_134:                              ;   in Loop: Header=BB9_135 Depth=1
	s_or_b32 exec_lo, exec_lo, s26
	s_and_b32 s0, s0, s25
	s_delay_alu instid0(SALU_CYCLE_1) | instskip(SKIP_1) | instid1(SALU_CYCLE_1)
	s_or_b32 s0, vcc_lo, s0
	s_and_b32 s1, exec_lo, s24
	s_or_b32 s15, s1, s15
	s_and_not1_b32 s1, s25, exec_lo
	s_and_b32 s0, s0, exec_lo
	s_and_not1_b32 s22, s22, exec_lo
	s_and_b32 s26, s23, exec_lo
	s_or_b32 s25, s1, s0
	s_and_not1_b32 s1, s14, exec_lo
	s_or_b32 s22, s22, s26
	s_or_b32 s14, s1, s0
	s_and_not1_b32 exec_lo, exec_lo, s15
	s_cbranch_execz .LBB9_137
.LBB9_135:                              ; =>This Inner Loop Header: Depth=1
	global_load_u8 v25, v[20:21], off
	global_load_u8 v36, v[22:23], off
	s_or_b32 s23, s23, exec_lo
	s_or_b32 s24, s24, exec_lo
	s_mov_b32 s26, exec_lo
	s_wait_loadcnt 0x1
	v_and_b32_e32 v25, 0xff, v25
	s_wait_loadcnt 0x0
	v_and_b32_e32 v36, 0xff, v36
	s_delay_alu instid0(VALU_DEP_1)
	v_cmp_le_u16_e64 s0, v25, v36
	v_cmp_lt_u16_e32 vcc_lo, v25, v36
	v_cmpx_eq_u16_e64 v25, v36
	s_cbranch_execz .LBB9_134
; %bb.136:                              ;   in Loop: Header=BB9_135 Depth=1
	s_add_nc_u64 s[6:7], s[6:7], -1
	v_add_nc_u64_e32 v[20:21], 1, v[20:21]
	s_cmp_eq_u64 s[6:7], 0
	v_add_nc_u64_e32 v[22:23], 1, v[22:23]
	s_cselect_b32 s1, -1, 0
	s_and_not1_b32 s24, s24, exec_lo
	s_and_b32 s1, s1, exec_lo
	s_and_not1_b32 s23, s23, exec_lo
	s_or_b32 s24, s24, s1
	s_branch .LBB9_134
.LBB9_137:
	s_or_b32 exec_lo, exec_lo, s15
	s_and_saveexec_b32 s0, s22
	s_delay_alu instid0(SALU_CYCLE_1)
	s_xor_b32 s0, exec_lo, s0
; %bb.138:
	v_dual_cndmask_b32 v21, v13, v7, s14 :: v_dual_cndmask_b32 v20, v12, v6, s14
	v_dual_cndmask_b32 v7, v7, v13, s14 :: v_dual_cndmask_b32 v6, v6, v12, s14
	s_delay_alu instid0(VALU_DEP_2)
	v_mov_b64_e32 v[12:13], v[20:21]
; %bb.139:
	s_or_b32 exec_lo, exec_lo, s0
	v_mad_nc_u64_u32 v[20:21], v2, s16, s[18:19]
	v_mad_nc_u64_u32 v[22:23], v8, s16, s[18:19]
	s_mov_b32 s15, 0
	s_mov_b64 s[6:7], s[16:17]
                                        ; implicit-def: $sgpr14
                                        ; implicit-def: $sgpr22
                                        ; implicit-def: $sgpr24
                                        ; implicit-def: $sgpr23
                                        ; implicit-def: $sgpr25
	s_delay_alu instid0(VALU_DEP_2) | instskip(NEXT) | instid1(VALU_DEP_2)
	v_mad_u32 v21, v3, s16, v21
	v_mad_u32 v23, v9, s16, v23
	s_delay_alu instid0(VALU_DEP_2) | instskip(NEXT) | instid1(VALU_DEP_2)
	v_mad_u32 v21, v2, s17, v21
	v_mad_u32 v23, v8, s17, v23
	s_branch .LBB9_141
.LBB9_140:                              ;   in Loop: Header=BB9_141 Depth=1
	s_or_b32 exec_lo, exec_lo, s26
	s_and_b32 s0, s0, s25
	s_delay_alu instid0(SALU_CYCLE_1) | instskip(SKIP_1) | instid1(SALU_CYCLE_1)
	s_or_b32 s0, vcc_lo, s0
	s_and_b32 s1, exec_lo, s24
	s_or_b32 s15, s1, s15
	s_and_not1_b32 s1, s25, exec_lo
	s_and_b32 s0, s0, exec_lo
	s_and_not1_b32 s22, s22, exec_lo
	s_and_b32 s26, s23, exec_lo
	s_or_b32 s25, s1, s0
	s_and_not1_b32 s1, s14, exec_lo
	s_or_b32 s22, s22, s26
	s_or_b32 s14, s1, s0
	s_and_not1_b32 exec_lo, exec_lo, s15
	s_cbranch_execz .LBB9_143
.LBB9_141:                              ; =>This Inner Loop Header: Depth=1
	global_load_u8 v25, v[20:21], off
	global_load_u8 v36, v[22:23], off
	s_or_b32 s23, s23, exec_lo
	s_or_b32 s24, s24, exec_lo
	s_mov_b32 s26, exec_lo
	s_wait_loadcnt 0x1
	v_and_b32_e32 v25, 0xff, v25
	s_wait_loadcnt 0x0
	v_and_b32_e32 v36, 0xff, v36
	s_delay_alu instid0(VALU_DEP_1)
	v_cmp_le_u16_e64 s0, v25, v36
	v_cmp_lt_u16_e32 vcc_lo, v25, v36
	v_cmpx_eq_u16_e64 v25, v36
	s_cbranch_execz .LBB9_140
; %bb.142:                              ;   in Loop: Header=BB9_141 Depth=1
	s_add_nc_u64 s[6:7], s[6:7], -1
	v_add_nc_u64_e32 v[20:21], 1, v[20:21]
	s_cmp_eq_u64 s[6:7], 0
	v_add_nc_u64_e32 v[22:23], 1, v[22:23]
	s_cselect_b32 s1, -1, 0
	s_and_not1_b32 s24, s24, exec_lo
	s_and_b32 s1, s1, exec_lo
	s_and_not1_b32 s23, s23, exec_lo
	s_or_b32 s24, s24, s1
	s_branch .LBB9_140
.LBB9_143:
	s_or_b32 exec_lo, exec_lo, s15
	s_and_saveexec_b32 s0, s22
	s_delay_alu instid0(SALU_CYCLE_1)
	s_xor_b32 s0, exec_lo, s0
; %bb.144:
	v_dual_cndmask_b32 v21, v9, v3, s14 :: v_dual_cndmask_b32 v20, v8, v2, s14
	v_dual_cndmask_b32 v3, v3, v9, s14 :: v_dual_cndmask_b32 v2, v2, v8, s14
	s_delay_alu instid0(VALU_DEP_2)
	v_mov_b64_e32 v[8:9], v[20:21]
; %bb.145:
	s_or_b32 exec_lo, exec_lo, s0
	v_mad_nc_u64_u32 v[20:21], v16, s16, s[18:19]
	v_mad_nc_u64_u32 v[22:23], v14, s16, s[18:19]
	s_mov_b32 s15, 0
	s_mov_b64 s[6:7], s[16:17]
                                        ; implicit-def: $sgpr14
                                        ; implicit-def: $sgpr22
                                        ; implicit-def: $sgpr24
                                        ; implicit-def: $sgpr23
                                        ; implicit-def: $sgpr25
	s_delay_alu instid0(VALU_DEP_2) | instskip(NEXT) | instid1(VALU_DEP_2)
	v_mad_u32 v21, v17, s16, v21
	v_mad_u32 v23, v15, s16, v23
	s_delay_alu instid0(VALU_DEP_2) | instskip(NEXT) | instid1(VALU_DEP_2)
	v_mad_u32 v21, v16, s17, v21
	v_mad_u32 v23, v14, s17, v23
	s_branch .LBB9_147
.LBB9_146:                              ;   in Loop: Header=BB9_147 Depth=1
	s_or_b32 exec_lo, exec_lo, s26
	s_and_b32 s0, s0, s25
	s_delay_alu instid0(SALU_CYCLE_1) | instskip(SKIP_1) | instid1(SALU_CYCLE_1)
	s_or_b32 s0, vcc_lo, s0
	s_and_b32 s1, exec_lo, s24
	s_or_b32 s15, s1, s15
	s_and_not1_b32 s1, s25, exec_lo
	s_and_b32 s0, s0, exec_lo
	s_and_not1_b32 s22, s22, exec_lo
	s_and_b32 s26, s23, exec_lo
	s_or_b32 s25, s1, s0
	s_and_not1_b32 s1, s14, exec_lo
	s_or_b32 s22, s22, s26
	s_or_b32 s14, s1, s0
	s_and_not1_b32 exec_lo, exec_lo, s15
	s_cbranch_execz .LBB9_149
.LBB9_147:                              ; =>This Inner Loop Header: Depth=1
	global_load_u8 v25, v[20:21], off
	global_load_u8 v36, v[22:23], off
	s_or_b32 s23, s23, exec_lo
	s_or_b32 s24, s24, exec_lo
	s_mov_b32 s26, exec_lo
	s_wait_loadcnt 0x1
	v_and_b32_e32 v25, 0xff, v25
	s_wait_loadcnt 0x0
	v_and_b32_e32 v36, 0xff, v36
	s_delay_alu instid0(VALU_DEP_1)
	v_cmp_le_u16_e64 s0, v25, v36
	v_cmp_lt_u16_e32 vcc_lo, v25, v36
	v_cmpx_eq_u16_e64 v25, v36
	s_cbranch_execz .LBB9_146
; %bb.148:                              ;   in Loop: Header=BB9_147 Depth=1
	s_add_nc_u64 s[6:7], s[6:7], -1
	v_add_nc_u64_e32 v[20:21], 1, v[20:21]
	s_cmp_eq_u64 s[6:7], 0
	v_add_nc_u64_e32 v[22:23], 1, v[22:23]
	s_cselect_b32 s1, -1, 0
	s_and_not1_b32 s24, s24, exec_lo
	s_and_b32 s1, s1, exec_lo
	s_and_not1_b32 s23, s23, exec_lo
	s_or_b32 s24, s24, s1
	s_branch .LBB9_146
.LBB9_149:
	s_or_b32 exec_lo, exec_lo, s15
	s_and_saveexec_b32 s0, s22
	s_delay_alu instid0(SALU_CYCLE_1)
	s_xor_b32 s0, exec_lo, s0
; %bb.150:
	v_dual_cndmask_b32 v21, v17, v15, s14 :: v_dual_cndmask_b32 v20, v16, v14, s14
	v_dual_cndmask_b32 v15, v15, v17, s14 :: v_dual_cndmask_b32 v14, v14, v16, s14
	s_delay_alu instid0(VALU_DEP_2)
	v_mov_b64_e32 v[16:17], v[20:21]
; %bb.151:
	s_or_b32 exec_lo, exec_lo, s0
	v_mad_nc_u64_u32 v[20:21], v12, s16, s[18:19]
	v_mad_nc_u64_u32 v[22:23], v10, s16, s[18:19]
	s_mov_b32 s15, 0
	s_mov_b64 s[6:7], s[16:17]
                                        ; implicit-def: $sgpr14
                                        ; implicit-def: $sgpr22
                                        ; implicit-def: $sgpr24
                                        ; implicit-def: $sgpr23
                                        ; implicit-def: $sgpr25
	s_delay_alu instid0(VALU_DEP_2) | instskip(NEXT) | instid1(VALU_DEP_2)
	v_mad_u32 v21, v13, s16, v21
	v_mad_u32 v23, v11, s16, v23
	s_delay_alu instid0(VALU_DEP_2) | instskip(NEXT) | instid1(VALU_DEP_2)
	v_mad_u32 v21, v12, s17, v21
	v_mad_u32 v23, v10, s17, v23
	s_branch .LBB9_153
.LBB9_152:                              ;   in Loop: Header=BB9_153 Depth=1
	s_or_b32 exec_lo, exec_lo, s26
	s_and_b32 s0, s0, s25
	s_delay_alu instid0(SALU_CYCLE_1) | instskip(SKIP_1) | instid1(SALU_CYCLE_1)
	s_or_b32 s0, vcc_lo, s0
	s_and_b32 s1, exec_lo, s24
	s_or_b32 s15, s1, s15
	s_and_not1_b32 s1, s25, exec_lo
	s_and_b32 s0, s0, exec_lo
	s_and_not1_b32 s22, s22, exec_lo
	s_and_b32 s26, s23, exec_lo
	s_or_b32 s25, s1, s0
	s_and_not1_b32 s1, s14, exec_lo
	s_or_b32 s22, s22, s26
	s_or_b32 s14, s1, s0
	s_and_not1_b32 exec_lo, exec_lo, s15
	s_cbranch_execz .LBB9_155
.LBB9_153:                              ; =>This Inner Loop Header: Depth=1
	global_load_u8 v25, v[20:21], off
	global_load_u8 v36, v[22:23], off
	s_or_b32 s23, s23, exec_lo
	s_or_b32 s24, s24, exec_lo
	s_mov_b32 s26, exec_lo
	s_wait_loadcnt 0x1
	v_and_b32_e32 v25, 0xff, v25
	s_wait_loadcnt 0x0
	v_and_b32_e32 v36, 0xff, v36
	s_delay_alu instid0(VALU_DEP_1)
	v_cmp_le_u16_e64 s0, v25, v36
	v_cmp_lt_u16_e32 vcc_lo, v25, v36
	v_cmpx_eq_u16_e64 v25, v36
	s_cbranch_execz .LBB9_152
; %bb.154:                              ;   in Loop: Header=BB9_153 Depth=1
	s_add_nc_u64 s[6:7], s[6:7], -1
	v_add_nc_u64_e32 v[20:21], 1, v[20:21]
	s_cmp_eq_u64 s[6:7], 0
	v_add_nc_u64_e32 v[22:23], 1, v[22:23]
	s_cselect_b32 s1, -1, 0
	s_and_not1_b32 s24, s24, exec_lo
	s_and_b32 s1, s1, exec_lo
	s_and_not1_b32 s23, s23, exec_lo
	s_or_b32 s24, s24, s1
	s_branch .LBB9_152
.LBB9_155:
	s_or_b32 exec_lo, exec_lo, s15
	s_and_saveexec_b32 s0, s22
	s_delay_alu instid0(SALU_CYCLE_1)
	s_xor_b32 s0, exec_lo, s0
; %bb.156:
	v_dual_cndmask_b32 v21, v11, v13, s14 :: v_dual_cndmask_b32 v20, v10, v12, s14
	v_dual_cndmask_b32 v13, v13, v11, s14 :: v_dual_cndmask_b32 v12, v12, v10, s14
	s_delay_alu instid0(VALU_DEP_2)
	v_mov_b64_e32 v[10:11], v[20:21]
; %bb.157:
	s_or_b32 exec_lo, exec_lo, s0
	v_mad_nc_u64_u32 v[20:21], v8, s16, s[18:19]
	v_mad_nc_u64_u32 v[22:23], v6, s16, s[18:19]
	s_mov_b32 s15, 0
	s_mov_b64 s[6:7], s[16:17]
                                        ; implicit-def: $sgpr14
                                        ; implicit-def: $sgpr22
                                        ; implicit-def: $sgpr24
                                        ; implicit-def: $sgpr23
                                        ; implicit-def: $sgpr25
	s_delay_alu instid0(VALU_DEP_2) | instskip(NEXT) | instid1(VALU_DEP_2)
	v_mad_u32 v21, v9, s16, v21
	v_mad_u32 v23, v7, s16, v23
	s_delay_alu instid0(VALU_DEP_2) | instskip(NEXT) | instid1(VALU_DEP_2)
	v_mad_u32 v21, v8, s17, v21
	v_mad_u32 v23, v6, s17, v23
	s_branch .LBB9_159
.LBB9_158:                              ;   in Loop: Header=BB9_159 Depth=1
	s_or_b32 exec_lo, exec_lo, s26
	s_and_b32 s0, s0, s25
	s_delay_alu instid0(SALU_CYCLE_1) | instskip(SKIP_1) | instid1(SALU_CYCLE_1)
	s_or_b32 s0, vcc_lo, s0
	s_and_b32 s1, exec_lo, s24
	s_or_b32 s15, s1, s15
	s_and_not1_b32 s1, s25, exec_lo
	s_and_b32 s0, s0, exec_lo
	s_and_not1_b32 s22, s22, exec_lo
	s_and_b32 s26, s23, exec_lo
	s_or_b32 s25, s1, s0
	s_and_not1_b32 s1, s14, exec_lo
	s_or_b32 s22, s22, s26
	s_or_b32 s14, s1, s0
	s_and_not1_b32 exec_lo, exec_lo, s15
	s_cbranch_execz .LBB9_161
.LBB9_159:                              ; =>This Inner Loop Header: Depth=1
	global_load_u8 v25, v[20:21], off
	global_load_u8 v36, v[22:23], off
	s_or_b32 s23, s23, exec_lo
	s_or_b32 s24, s24, exec_lo
	s_mov_b32 s26, exec_lo
	s_wait_loadcnt 0x1
	v_and_b32_e32 v25, 0xff, v25
	s_wait_loadcnt 0x0
	v_and_b32_e32 v36, 0xff, v36
	s_delay_alu instid0(VALU_DEP_1)
	v_cmp_le_u16_e64 s0, v25, v36
	v_cmp_lt_u16_e32 vcc_lo, v25, v36
	v_cmpx_eq_u16_e64 v25, v36
	s_cbranch_execz .LBB9_158
; %bb.160:                              ;   in Loop: Header=BB9_159 Depth=1
	s_add_nc_u64 s[6:7], s[6:7], -1
	v_add_nc_u64_e32 v[20:21], 1, v[20:21]
	s_cmp_eq_u64 s[6:7], 0
	v_add_nc_u64_e32 v[22:23], 1, v[22:23]
	s_cselect_b32 s1, -1, 0
	s_and_not1_b32 s24, s24, exec_lo
	s_and_b32 s1, s1, exec_lo
	s_and_not1_b32 s23, s23, exec_lo
	s_or_b32 s24, s24, s1
	s_branch .LBB9_158
.LBB9_161:
	s_or_b32 exec_lo, exec_lo, s15
	s_and_saveexec_b32 s0, s22
	s_delay_alu instid0(SALU_CYCLE_1)
	s_xor_b32 s0, exec_lo, s0
; %bb.162:
	v_dual_cndmask_b32 v21, v7, v9, s14 :: v_dual_cndmask_b32 v20, v6, v8, s14
	v_dual_cndmask_b32 v9, v9, v7, s14 :: v_dual_cndmask_b32 v8, v8, v6, s14
	s_delay_alu instid0(VALU_DEP_2)
	v_mov_b64_e32 v[6:7], v[20:21]
; %bb.163:
	s_or_b32 exec_lo, exec_lo, s0
	v_mad_nc_u64_u32 v[20:21], v4, s16, s[18:19]
	v_mad_nc_u64_u32 v[22:23], v2, s16, s[18:19]
	s_mov_b32 s15, 0
	s_mov_b64 s[6:7], s[16:17]
                                        ; implicit-def: $sgpr14
                                        ; implicit-def: $sgpr22
                                        ; implicit-def: $sgpr24
                                        ; implicit-def: $sgpr23
                                        ; implicit-def: $sgpr25
	s_delay_alu instid0(VALU_DEP_2) | instskip(NEXT) | instid1(VALU_DEP_2)
	v_mad_u32 v21, v5, s16, v21
	v_mad_u32 v23, v3, s16, v23
	s_delay_alu instid0(VALU_DEP_2) | instskip(NEXT) | instid1(VALU_DEP_2)
	v_mad_u32 v21, v4, s17, v21
	v_mad_u32 v23, v2, s17, v23
	s_branch .LBB9_165
.LBB9_164:                              ;   in Loop: Header=BB9_165 Depth=1
	s_or_b32 exec_lo, exec_lo, s26
	s_and_b32 s0, s0, s25
	s_delay_alu instid0(SALU_CYCLE_1) | instskip(SKIP_1) | instid1(SALU_CYCLE_1)
	s_or_b32 s0, vcc_lo, s0
	s_and_b32 s1, exec_lo, s24
	s_or_b32 s15, s1, s15
	s_and_not1_b32 s1, s25, exec_lo
	s_and_b32 s0, s0, exec_lo
	s_and_not1_b32 s22, s22, exec_lo
	s_and_b32 s26, s23, exec_lo
	s_or_b32 s25, s1, s0
	s_and_not1_b32 s1, s14, exec_lo
	s_or_b32 s22, s22, s26
	s_or_b32 s14, s1, s0
	s_and_not1_b32 exec_lo, exec_lo, s15
	s_cbranch_execz .LBB9_167
.LBB9_165:                              ; =>This Inner Loop Header: Depth=1
	global_load_u8 v25, v[20:21], off
	global_load_u8 v36, v[22:23], off
	s_or_b32 s23, s23, exec_lo
	s_or_b32 s24, s24, exec_lo
	s_mov_b32 s26, exec_lo
	s_wait_loadcnt 0x1
	v_and_b32_e32 v25, 0xff, v25
	s_wait_loadcnt 0x0
	v_and_b32_e32 v36, 0xff, v36
	s_delay_alu instid0(VALU_DEP_1)
	v_cmp_le_u16_e64 s0, v25, v36
	v_cmp_lt_u16_e32 vcc_lo, v25, v36
	v_cmpx_eq_u16_e64 v25, v36
	s_cbranch_execz .LBB9_164
; %bb.166:                              ;   in Loop: Header=BB9_165 Depth=1
	s_add_nc_u64 s[6:7], s[6:7], -1
	v_add_nc_u64_e32 v[20:21], 1, v[20:21]
	s_cmp_eq_u64 s[6:7], 0
	v_add_nc_u64_e32 v[22:23], 1, v[22:23]
	s_cselect_b32 s1, -1, 0
	s_and_not1_b32 s24, s24, exec_lo
	s_and_b32 s1, s1, exec_lo
	s_and_not1_b32 s23, s23, exec_lo
	s_or_b32 s24, s24, s1
	s_branch .LBB9_164
.LBB9_167:
	s_or_b32 exec_lo, exec_lo, s15
	s_and_saveexec_b32 s0, s22
	s_delay_alu instid0(SALU_CYCLE_1)
	s_xor_b32 s0, exec_lo, s0
; %bb.168:
	v_dual_cndmask_b32 v21, v3, v5, s14 :: v_dual_cndmask_b32 v20, v2, v4, s14
	v_dual_cndmask_b32 v5, v5, v3, s14 :: v_dual_cndmask_b32 v4, v4, v2, s14
	s_delay_alu instid0(VALU_DEP_2)
	v_mov_b64_e32 v[2:3], v[20:21]
; %bb.169:
	s_or_b32 exec_lo, exec_lo, s0
	v_mad_nc_u64_u32 v[20:21], v10, s16, s[18:19]
	v_mad_nc_u64_u32 v[22:23], v16, s16, s[18:19]
	s_mov_b32 s15, 0
	s_mov_b64 s[6:7], s[16:17]
                                        ; implicit-def: $sgpr14
                                        ; implicit-def: $sgpr22
                                        ; implicit-def: $sgpr24
                                        ; implicit-def: $sgpr23
                                        ; implicit-def: $sgpr25
	s_delay_alu instid0(VALU_DEP_2) | instskip(NEXT) | instid1(VALU_DEP_2)
	v_mad_u32 v21, v11, s16, v21
	v_mad_u32 v23, v17, s16, v23
	s_delay_alu instid0(VALU_DEP_2) | instskip(NEXT) | instid1(VALU_DEP_2)
	v_mad_u32 v21, v10, s17, v21
	v_mad_u32 v23, v16, s17, v23
	s_branch .LBB9_171
.LBB9_170:                              ;   in Loop: Header=BB9_171 Depth=1
	s_or_b32 exec_lo, exec_lo, s26
	s_and_b32 s0, s0, s25
	s_delay_alu instid0(SALU_CYCLE_1) | instskip(SKIP_1) | instid1(SALU_CYCLE_1)
	s_or_b32 s0, vcc_lo, s0
	s_and_b32 s1, exec_lo, s24
	s_or_b32 s15, s1, s15
	s_and_not1_b32 s1, s25, exec_lo
	s_and_b32 s0, s0, exec_lo
	s_and_not1_b32 s22, s22, exec_lo
	s_and_b32 s26, s23, exec_lo
	s_or_b32 s25, s1, s0
	s_and_not1_b32 s1, s14, exec_lo
	s_or_b32 s22, s22, s26
	s_or_b32 s14, s1, s0
	s_and_not1_b32 exec_lo, exec_lo, s15
	s_cbranch_execz .LBB9_173
.LBB9_171:                              ; =>This Inner Loop Header: Depth=1
	global_load_u8 v25, v[20:21], off
	global_load_u8 v36, v[22:23], off
	s_or_b32 s23, s23, exec_lo
	s_or_b32 s24, s24, exec_lo
	s_mov_b32 s26, exec_lo
	s_wait_loadcnt 0x1
	v_and_b32_e32 v25, 0xff, v25
	s_wait_loadcnt 0x0
	v_and_b32_e32 v36, 0xff, v36
	s_delay_alu instid0(VALU_DEP_1)
	v_cmp_le_u16_e64 s0, v25, v36
	v_cmp_lt_u16_e32 vcc_lo, v25, v36
	v_cmpx_eq_u16_e64 v25, v36
	s_cbranch_execz .LBB9_170
; %bb.172:                              ;   in Loop: Header=BB9_171 Depth=1
	s_add_nc_u64 s[6:7], s[6:7], -1
	v_add_nc_u64_e32 v[20:21], 1, v[20:21]
	s_cmp_eq_u64 s[6:7], 0
	v_add_nc_u64_e32 v[22:23], 1, v[22:23]
	s_cselect_b32 s1, -1, 0
	s_and_not1_b32 s24, s24, exec_lo
	s_and_b32 s1, s1, exec_lo
	s_and_not1_b32 s23, s23, exec_lo
	s_or_b32 s24, s24, s1
	s_branch .LBB9_170
.LBB9_173:
	s_or_b32 exec_lo, exec_lo, s15
	s_and_saveexec_b32 s0, s22
	s_delay_alu instid0(SALU_CYCLE_1)
	s_xor_b32 s0, exec_lo, s0
; %bb.174:
	v_dual_cndmask_b32 v21, v17, v11, s14 :: v_dual_cndmask_b32 v20, v16, v10, s14
	v_dual_cndmask_b32 v11, v11, v17, s14 :: v_dual_cndmask_b32 v10, v10, v16, s14
	s_delay_alu instid0(VALU_DEP_2)
	v_mov_b64_e32 v[16:17], v[20:21]
; %bb.175:
	s_or_b32 exec_lo, exec_lo, s0
	v_mad_nc_u64_u32 v[20:21], v6, s16, s[18:19]
	v_mad_nc_u64_u32 v[22:23], v12, s16, s[18:19]
	s_mov_b32 s15, 0
	s_mov_b64 s[6:7], s[16:17]
                                        ; implicit-def: $sgpr14
                                        ; implicit-def: $sgpr22
                                        ; implicit-def: $sgpr24
                                        ; implicit-def: $sgpr23
                                        ; implicit-def: $sgpr25
	s_delay_alu instid0(VALU_DEP_2) | instskip(NEXT) | instid1(VALU_DEP_2)
	v_mad_u32 v21, v7, s16, v21
	v_mad_u32 v23, v13, s16, v23
	s_delay_alu instid0(VALU_DEP_2) | instskip(NEXT) | instid1(VALU_DEP_2)
	v_mad_u32 v21, v6, s17, v21
	v_mad_u32 v23, v12, s17, v23
	s_branch .LBB9_177
.LBB9_176:                              ;   in Loop: Header=BB9_177 Depth=1
	s_or_b32 exec_lo, exec_lo, s26
	s_and_b32 s0, s0, s25
	s_delay_alu instid0(SALU_CYCLE_1) | instskip(SKIP_1) | instid1(SALU_CYCLE_1)
	s_or_b32 s0, vcc_lo, s0
	s_and_b32 s1, exec_lo, s24
	s_or_b32 s15, s1, s15
	s_and_not1_b32 s1, s25, exec_lo
	s_and_b32 s0, s0, exec_lo
	s_and_not1_b32 s22, s22, exec_lo
	s_and_b32 s26, s23, exec_lo
	s_or_b32 s25, s1, s0
	s_and_not1_b32 s1, s14, exec_lo
	s_or_b32 s22, s22, s26
	s_or_b32 s14, s1, s0
	s_and_not1_b32 exec_lo, exec_lo, s15
	s_cbranch_execz .LBB9_179
.LBB9_177:                              ; =>This Inner Loop Header: Depth=1
	global_load_u8 v25, v[20:21], off
	global_load_u8 v36, v[22:23], off
	s_or_b32 s23, s23, exec_lo
	s_or_b32 s24, s24, exec_lo
	s_mov_b32 s26, exec_lo
	s_wait_loadcnt 0x1
	v_and_b32_e32 v25, 0xff, v25
	s_wait_loadcnt 0x0
	v_and_b32_e32 v36, 0xff, v36
	s_delay_alu instid0(VALU_DEP_1)
	v_cmp_le_u16_e64 s0, v25, v36
	v_cmp_lt_u16_e32 vcc_lo, v25, v36
	v_cmpx_eq_u16_e64 v25, v36
	s_cbranch_execz .LBB9_176
; %bb.178:                              ;   in Loop: Header=BB9_177 Depth=1
	s_add_nc_u64 s[6:7], s[6:7], -1
	v_add_nc_u64_e32 v[20:21], 1, v[20:21]
	s_cmp_eq_u64 s[6:7], 0
	v_add_nc_u64_e32 v[22:23], 1, v[22:23]
	s_cselect_b32 s1, -1, 0
	s_and_not1_b32 s24, s24, exec_lo
	s_and_b32 s1, s1, exec_lo
	s_and_not1_b32 s23, s23, exec_lo
	s_or_b32 s24, s24, s1
	s_branch .LBB9_176
.LBB9_179:
	s_or_b32 exec_lo, exec_lo, s15
	s_and_saveexec_b32 s0, s22
	s_delay_alu instid0(SALU_CYCLE_1)
	s_xor_b32 s0, exec_lo, s0
; %bb.180:
	v_dual_cndmask_b32 v21, v13, v7, s14 :: v_dual_cndmask_b32 v20, v12, v6, s14
	v_dual_cndmask_b32 v7, v7, v13, s14 :: v_dual_cndmask_b32 v6, v6, v12, s14
	s_delay_alu instid0(VALU_DEP_2)
	v_mov_b64_e32 v[12:13], v[20:21]
; %bb.181:
	s_or_b32 exec_lo, exec_lo, s0
	v_mad_nc_u64_u32 v[20:21], v2, s16, s[18:19]
	v_mad_nc_u64_u32 v[22:23], v8, s16, s[18:19]
	s_mov_b32 s15, 0
	s_mov_b64 s[6:7], s[16:17]
                                        ; implicit-def: $sgpr14
                                        ; implicit-def: $sgpr22
                                        ; implicit-def: $sgpr24
                                        ; implicit-def: $sgpr23
                                        ; implicit-def: $sgpr25
	s_delay_alu instid0(VALU_DEP_2) | instskip(NEXT) | instid1(VALU_DEP_2)
	v_mad_u32 v21, v3, s16, v21
	v_mad_u32 v23, v9, s16, v23
	s_delay_alu instid0(VALU_DEP_2) | instskip(NEXT) | instid1(VALU_DEP_2)
	v_mad_u32 v21, v2, s17, v21
	v_mad_u32 v23, v8, s17, v23
	s_branch .LBB9_183
.LBB9_182:                              ;   in Loop: Header=BB9_183 Depth=1
	s_or_b32 exec_lo, exec_lo, s26
	s_and_b32 s0, s0, s25
	s_delay_alu instid0(SALU_CYCLE_1) | instskip(SKIP_1) | instid1(SALU_CYCLE_1)
	s_or_b32 s0, vcc_lo, s0
	s_and_b32 s1, exec_lo, s24
	s_or_b32 s15, s1, s15
	s_and_not1_b32 s1, s25, exec_lo
	s_and_b32 s0, s0, exec_lo
	s_and_not1_b32 s22, s22, exec_lo
	s_and_b32 s26, s23, exec_lo
	s_or_b32 s25, s1, s0
	s_and_not1_b32 s1, s14, exec_lo
	s_or_b32 s22, s22, s26
	s_or_b32 s14, s1, s0
	s_and_not1_b32 exec_lo, exec_lo, s15
	s_cbranch_execz .LBB9_185
.LBB9_183:                              ; =>This Inner Loop Header: Depth=1
	global_load_u8 v25, v[20:21], off
	global_load_u8 v36, v[22:23], off
	s_or_b32 s23, s23, exec_lo
	s_or_b32 s24, s24, exec_lo
	s_mov_b32 s26, exec_lo
	s_wait_loadcnt 0x1
	v_and_b32_e32 v25, 0xff, v25
	s_wait_loadcnt 0x0
	v_and_b32_e32 v36, 0xff, v36
	s_delay_alu instid0(VALU_DEP_1)
	v_cmp_le_u16_e64 s0, v25, v36
	v_cmp_lt_u16_e32 vcc_lo, v25, v36
	v_cmpx_eq_u16_e64 v25, v36
	s_cbranch_execz .LBB9_182
; %bb.184:                              ;   in Loop: Header=BB9_183 Depth=1
	s_add_nc_u64 s[6:7], s[6:7], -1
	v_add_nc_u64_e32 v[20:21], 1, v[20:21]
	s_cmp_eq_u64 s[6:7], 0
	v_add_nc_u64_e32 v[22:23], 1, v[22:23]
	s_cselect_b32 s1, -1, 0
	s_and_not1_b32 s24, s24, exec_lo
	s_and_b32 s1, s1, exec_lo
	s_and_not1_b32 s23, s23, exec_lo
	s_or_b32 s24, s24, s1
	s_branch .LBB9_182
.LBB9_185:
	s_or_b32 exec_lo, exec_lo, s15
	s_and_saveexec_b32 s0, s22
	s_delay_alu instid0(SALU_CYCLE_1)
	s_xor_b32 s0, exec_lo, s0
; %bb.186:
	v_dual_cndmask_b32 v21, v9, v3, s14 :: v_dual_cndmask_b32 v20, v8, v2, s14
	v_dual_cndmask_b32 v3, v3, v9, s14 :: v_dual_cndmask_b32 v2, v2, v8, s14
	s_delay_alu instid0(VALU_DEP_2)
	v_mov_b64_e32 v[8:9], v[20:21]
; %bb.187:
	s_or_b32 exec_lo, exec_lo, s0
.LBB9_188:
	s_delay_alu instid0(SALU_CYCLE_1) | instskip(SKIP_4) | instid1(VALU_DEP_1)
	s_or_b32 exec_lo, exec_lo, s5
	v_mbcnt_lo_u32_b32 v20, -1, 0
	v_and_b32_e32 v21, 0xffffff00, v24
	s_mov_b32 s1, 0
	s_mov_b32 s5, exec_lo
	v_dual_lshlrev_b32 v38, 3, v20 :: v_dual_lshlrev_b32 v36, 3, v21
	v_sub_nc_u32_e64 v37, 0x800, v21 clamp
	s_delay_alu instid0(VALU_DEP_2) | instskip(SKIP_1) | instid1(VALU_DEP_4)
	v_or_b32_e32 v22, 8, v38
	v_and_b32_e32 v42, 0xf0, v38
	v_lshl_or_b32 v39, v20, 6, v36
	ds_store_b128 v39, v[14:17]
	ds_store_b128 v39, v[10:13] offset:16
	v_min_u32_e32 v24, v37, v22
	v_and_b32_e32 v22, 8, v38
	v_lshl_or_b32 v41, v42, 3, v36
	ds_store_b128 v39, v[6:9] offset:32
	ds_store_b128 v39, v[2:5] offset:48
	v_add_min_u32_e64 v25, v24, 8, v37
	v_min_u32_e32 v43, v37, v22
	v_sub_nc_u32_e32 v22, v24, v42
	; wave barrier
	s_delay_alu instid0(VALU_DEP_3) | instskip(NEXT) | instid1(VALU_DEP_2)
	v_sub_nc_u32_e32 v21, v25, v24
	v_min_u32_e32 v44, v43, v22
	s_delay_alu instid0(VALU_DEP_2) | instskip(NEXT) | instid1(VALU_DEP_1)
	v_sub_nc_u32_e64 v40, v43, v21 clamp
	v_cmpx_lt_u32_e64 v40, v44
	s_cbranch_execz .LBB9_199
; %bb.189:
	v_dual_lshlrev_b32 v20, 3, v24 :: v_dual_lshlrev_b32 v21, 3, v43
	s_delay_alu instid0(VALU_DEP_1)
	v_add3_u32 v45, v36, v20, v21
	s_branch .LBB9_192
.LBB9_190:                              ;   in Loop: Header=BB9_192 Depth=1
	s_or_b32 exec_lo, exec_lo, s15
.LBB9_191:                              ;   in Loop: Header=BB9_192 Depth=1
	s_delay_alu instid0(VALU_DEP_1) | instskip(NEXT) | instid1(VALU_DEP_1)
	v_dual_add_nc_u32 v20, 1, v46 :: v_dual_cndmask_b32 v44, v44, v46, s14
	v_cndmask_b32_e64 v40, v20, v40, s14
	s_delay_alu instid0(VALU_DEP_1) | instskip(SKIP_1) | instid1(SALU_CYCLE_1)
	v_cmp_ge_u32_e32 vcc_lo, v40, v44
	s_or_b32 s1, vcc_lo, s1
	s_and_not1_b32 exec_lo, exec_lo, s1
	s_cbranch_execz .LBB9_198
.LBB9_192:                              ; =>This Loop Header: Depth=1
                                        ;     Child Loop BB9_195 Depth 2
	v_add_nc_u32_e32 v20, v44, v40
	v_cmp_ne_u32_e32 vcc_lo, 1, v35
	s_delay_alu instid0(VALU_DEP_2)
	v_lshrrev_b32_e32 v46, 1, v20
	s_cbranch_vccnz .LBB9_197
; %bb.193:                              ;   in Loop: Header=BB9_192 Depth=1
	s_delay_alu instid0(VALU_DEP_1) | instskip(SKIP_3) | instid1(VALU_DEP_2)
	v_not_b32_e32 v20, v46
	v_lshl_add_u32 v21, v46, 3, v41
	s_mov_b32 s15, 0
	s_mov_b64 s[6:7], s[16:17]
                                        ; implicit-def: $sgpr14
                                        ; implicit-def: $sgpr22
                                        ; implicit-def: $sgpr23
                                        ; implicit-def: $sgpr24
	v_lshl_add_u32 v20, v20, 3, v45
	ds_load_b64 v[48:49], v20
	ds_load_b64 v[50:51], v21
	s_wait_dscnt 0x1
	v_mad_nc_u64_u32 v[20:21], v48, s16, s[18:19]
	s_wait_dscnt 0x0
	v_mad_nc_u64_u32 v[22:23], v50, s16, s[18:19]
	s_delay_alu instid0(VALU_DEP_2) | instskip(NEXT) | instid1(VALU_DEP_2)
	v_mad_u32 v21, v49, s16, v21
	v_mad_u32 v23, v51, s16, v23
	s_delay_alu instid0(VALU_DEP_2) | instskip(NEXT) | instid1(VALU_DEP_2)
	v_mad_u32 v21, v48, s17, v21
	v_mad_u32 v23, v50, s17, v23
	s_branch .LBB9_195
.LBB9_194:                              ;   in Loop: Header=BB9_195 Depth=2
	s_or_b32 exec_lo, exec_lo, s25
	s_delay_alu instid0(SALU_CYCLE_1) | instskip(NEXT) | instid1(SALU_CYCLE_1)
	s_and_b32 s25, exec_lo, s22
	s_or_b32 s15, s25, s15
	s_and_not1_b32 s24, s24, exec_lo
	s_and_b32 s0, s0, exec_lo
	s_and_not1_b32 s14, s14, exec_lo
	s_and_b32 s25, s23, exec_lo
	s_or_b32 s24, s24, s0
	s_or_b32 s14, s14, s25
	s_and_not1_b32 exec_lo, exec_lo, s15
	s_cbranch_execz .LBB9_190
.LBB9_195:                              ;   Parent Loop BB9_192 Depth=1
                                        ; =>  This Inner Loop Header: Depth=2
	global_load_u8 v47, v[20:21], off
	global_load_u8 v48, v[22:23], off
	s_and_not1_b32 s23, s23, exec_lo
	s_or_b32 s22, s22, exec_lo
	s_wait_loadcnt 0x1
	v_and_b32_e32 v47, 0xff, v47
	s_wait_loadcnt 0x0
	v_and_b32_e32 v48, 0xff, v48
	s_delay_alu instid0(VALU_DEP_1) | instskip(SKIP_2) | instid1(SALU_CYCLE_1)
	v_cmp_le_u16_e32 vcc_lo, v47, v48
	v_cmp_lt_u16_e64 s0, v47, v48
	s_and_b32 s25, vcc_lo, s24
	s_or_b32 s0, s0, s25
	s_delay_alu instid0(SALU_CYCLE_1) | instskip(NEXT) | instid1(SALU_CYCLE_1)
	s_and_b32 s25, s0, exec_lo
	s_or_b32 s23, s23, s25
	s_mov_b32 s25, exec_lo
	v_cmpx_eq_u16_e64 v47, v48
	s_cbranch_execz .LBB9_194
; %bb.196:                              ;   in Loop: Header=BB9_195 Depth=2
	s_add_nc_u64 s[6:7], s[6:7], -1
	v_add_nc_u64_e32 v[20:21], 1, v[20:21]
	s_cmp_eq_u64 s[6:7], 0
	v_add_nc_u64_e32 v[22:23], 1, v[22:23]
	s_cselect_b32 s24, -1, 0
	s_and_not1_b32 s22, s22, exec_lo
	s_and_b32 s24, s24, exec_lo
	s_and_not1_b32 s23, s23, exec_lo
	s_or_b32 s22, s22, s24
                                        ; implicit-def: $sgpr24
	s_branch .LBB9_194
.LBB9_197:                              ;   in Loop: Header=BB9_192 Depth=1
	s_mov_b32 s14, 0
	s_branch .LBB9_191
.LBB9_198:
	s_or_b32 exec_lo, exec_lo, s1
.LBB9_199:
	s_delay_alu instid0(SALU_CYCLE_1) | instskip(SKIP_1) | instid1(VALU_DEP_1)
	s_or_b32 exec_lo, exec_lo, s5
	v_add_nc_u32_e32 v21, v24, v43
	v_dual_add_nc_u32 v20, v40, v42 :: v_dual_sub_nc_u32 v21, v21, v40
	s_delay_alu instid0(VALU_DEP_1) | instskip(NEXT) | instid1(VALU_DEP_2)
	v_cmp_le_u32_e32 vcc_lo, v20, v24
	v_cmp_le_u32_e64 s0, v21, v25
	s_or_b32 s0, vcc_lo, s0
	s_delay_alu instid0(SALU_CYCLE_1)
	s_and_saveexec_b32 s1, s0
	s_cbranch_execz .LBB9_290
; %bb.200:
	s_mov_b32 s5, exec_lo
	v_cmp_ge_u32_e32 vcc_lo, v20, v24
                                        ; implicit-def: $vgpr2_vgpr3
	v_cmpx_lt_u32_e64 v20, v24
; %bb.201:
	v_lshl_add_u32 v2, v40, 3, v41
	ds_load_b64 v[2:3], v2
; %bb.202:
	s_or_b32 exec_lo, exec_lo, s5
	v_cmp_ge_u32_e64 s5, v21, v25
	s_mov_b32 s6, exec_lo
                                        ; implicit-def: $vgpr4_vgpr5
	v_cmpx_lt_u32_e64 v21, v25
; %bb.203:
	v_lshl_add_u32 v4, v21, 3, v36
	ds_load_b64 v[4:5], v4
; %bb.204:
	s_or_b32 exec_lo, exec_lo, s6
	s_nor_b32 s0, vcc_lo, s5
	s_delay_alu instid0(SALU_CYCLE_1)
	s_and_saveexec_b32 s14, s0
	s_cbranch_execz .LBB9_213
; %bb.205:
	v_cmp_ne_u32_e32 vcc_lo, 1, v35
	s_cbranch_vccnz .LBB9_211
; %bb.206:
	s_wait_dscnt 0x0
	v_mad_nc_u64_u32 v[6:7], v4, s16, s[18:19]
	v_mad_nc_u64_u32 v[8:9], v2, s16, s[18:19]
	s_mov_b32 s15, 0
	s_mov_b64 s[6:7], s[16:17]
                                        ; implicit-def: $sgpr22
                                        ; implicit-def: $sgpr23
                                        ; implicit-def: $sgpr24
                                        ; implicit-def: $sgpr25
	s_delay_alu instid0(VALU_DEP_2) | instskip(NEXT) | instid1(VALU_DEP_2)
	v_mad_u32 v7, v5, s16, v7
	v_mad_u32 v9, v3, s16, v9
	s_delay_alu instid0(VALU_DEP_2) | instskip(NEXT) | instid1(VALU_DEP_2)
	v_mad_u32 v7, v4, s17, v7
	v_mad_u32 v9, v2, s17, v9
	s_branch .LBB9_208
.LBB9_207:                              ;   in Loop: Header=BB9_208 Depth=1
	s_or_b32 exec_lo, exec_lo, s26
	s_delay_alu instid0(SALU_CYCLE_1) | instskip(NEXT) | instid1(SALU_CYCLE_1)
	s_and_b32 s26, exec_lo, s23
	s_or_b32 s15, s26, s15
	s_and_not1_b32 s25, s25, exec_lo
	s_and_b32 s0, s0, exec_lo
	s_and_not1_b32 s22, s22, exec_lo
	s_and_b32 s26, s24, exec_lo
	s_or_b32 s25, s25, s0
	s_or_b32 s22, s22, s26
	s_and_not1_b32 exec_lo, exec_lo, s15
	s_cbranch_execz .LBB9_210
.LBB9_208:                              ; =>This Inner Loop Header: Depth=1
	global_load_u8 v10, v[6:7], off
	global_load_u8 v11, v[8:9], off
	s_and_not1_b32 s24, s24, exec_lo
	s_or_b32 s23, s23, exec_lo
	s_wait_loadcnt 0x1
	v_and_b32_e32 v10, 0xff, v10
	s_wait_loadcnt 0x0
	v_and_b32_e32 v11, 0xff, v11
	s_delay_alu instid0(VALU_DEP_1) | instskip(SKIP_2) | instid1(SALU_CYCLE_1)
	v_cmp_le_u16_e32 vcc_lo, v10, v11
	v_cmp_lt_u16_e64 s0, v10, v11
	s_and_b32 s26, vcc_lo, s25
	s_or_b32 s0, s0, s26
	s_delay_alu instid0(SALU_CYCLE_1) | instskip(NEXT) | instid1(SALU_CYCLE_1)
	s_and_b32 s26, s0, exec_lo
	s_or_b32 s24, s24, s26
	s_mov_b32 s26, exec_lo
	v_cmpx_eq_u16_e64 v10, v11
	s_cbranch_execz .LBB9_207
; %bb.209:                              ;   in Loop: Header=BB9_208 Depth=1
	s_add_nc_u64 s[6:7], s[6:7], -1
	v_add_nc_u64_e32 v[6:7], 1, v[6:7]
	s_cmp_eq_u64 s[6:7], 0
	v_add_nc_u64_e32 v[8:9], 1, v[8:9]
	s_cselect_b32 s25, -1, 0
	s_and_not1_b32 s23, s23, exec_lo
	s_and_b32 s25, s25, exec_lo
	s_and_not1_b32 s24, s24, exec_lo
	s_or_b32 s23, s23, s25
                                        ; implicit-def: $sgpr25
	s_branch .LBB9_207
.LBB9_210:
	s_or_b32 exec_lo, exec_lo, s15
	s_xor_b32 s0, s22, -1
	s_branch .LBB9_212
.LBB9_211:
	s_mov_b32 s0, -1
.LBB9_212:
	s_and_not1_b32 s5, s5, exec_lo
	s_and_b32 s0, s0, exec_lo
	s_delay_alu instid0(SALU_CYCLE_1)
	s_or_b32 s5, s5, s0
.LBB9_213:
	s_or_b32 exec_lo, exec_lo, s14
	v_cndmask_b32_e64 v6, v21, v20, s5
	v_cndmask_b32_e64 v7, v25, v24, s5
	s_mov_b32 s15, -1
	s_mov_b32 s14, -1
	s_mov_b32 s22, exec_lo
	v_add_nc_u32_e32 v8, 1, v6
	s_delay_alu instid0(VALU_DEP_1) | instskip(SKIP_1) | instid1(VALU_DEP_2)
	v_add_min_u32_e64 v6, v7, -1, v8
	v_cndmask_b32_e64 v10, v8, v21, s5
	v_lshl_add_u32 v6, v6, 3, v36
	ds_load_b64 v[6:7], v6
	s_wait_dscnt 0x0
	v_dual_cndmask_b32 v11, v20, v8, s5 :: v_dual_cndmask_b32 v14, v7, v5, s5
	v_dual_cndmask_b32 v15, v6, v4, s5 :: v_dual_cndmask_b32 v16, v3, v7, s5
	v_cndmask_b32_e64 v22, v2, v6, s5
	v_cmpx_lt_u32_e64 v10, v25
	s_cbranch_execz .LBB9_224
; %bb.214:
	s_mov_b32 s0, 0
	s_mov_b32 s14, exec_lo
	v_cmpx_lt_u32_e64 v11, v24
	s_cbranch_execz .LBB9_223
; %bb.215:
	v_cmp_ne_u32_e32 vcc_lo, 1, v35
	s_cbranch_vccnz .LBB9_221
; %bb.216:
	v_mad_nc_u64_u32 v[6:7], v15, s16, s[18:19]
	v_mad_nc_u64_u32 v[8:9], v22, s16, s[18:19]
	s_mov_b32 s23, 0
	s_mov_b64 s[6:7], s[16:17]
                                        ; implicit-def: $sgpr24
                                        ; implicit-def: $sgpr25
                                        ; implicit-def: $sgpr26
                                        ; implicit-def: $sgpr27
	s_delay_alu instid0(VALU_DEP_2) | instskip(NEXT) | instid1(VALU_DEP_2)
	v_mad_u32 v7, v14, s16, v7
	v_mad_u32 v9, v16, s16, v9
	s_delay_alu instid0(VALU_DEP_2) | instskip(NEXT) | instid1(VALU_DEP_2)
	v_mad_u32 v7, v15, s17, v7
	v_mad_u32 v9, v22, s17, v9
	s_branch .LBB9_218
.LBB9_217:                              ;   in Loop: Header=BB9_218 Depth=1
	s_or_b32 exec_lo, exec_lo, s28
	s_delay_alu instid0(SALU_CYCLE_1) | instskip(NEXT) | instid1(SALU_CYCLE_1)
	s_and_b32 s28, exec_lo, s25
	s_or_b32 s23, s28, s23
	s_and_not1_b32 s27, s27, exec_lo
	s_and_b32 s0, s0, exec_lo
	s_and_not1_b32 s24, s24, exec_lo
	s_and_b32 s28, s26, exec_lo
	s_or_b32 s27, s27, s0
	s_or_b32 s24, s24, s28
	s_and_not1_b32 exec_lo, exec_lo, s23
	s_cbranch_execz .LBB9_220
.LBB9_218:                              ; =>This Inner Loop Header: Depth=1
	global_load_u8 v12, v[6:7], off
	global_load_u8 v13, v[8:9], off
	s_and_not1_b32 s26, s26, exec_lo
	s_or_b32 s25, s25, exec_lo
	s_wait_loadcnt 0x1
	v_and_b32_e32 v12, 0xff, v12
	s_wait_loadcnt 0x0
	v_and_b32_e32 v13, 0xff, v13
	s_delay_alu instid0(VALU_DEP_1) | instskip(SKIP_2) | instid1(SALU_CYCLE_1)
	v_cmp_le_u16_e32 vcc_lo, v12, v13
	v_cmp_lt_u16_e64 s0, v12, v13
	s_and_b32 s28, vcc_lo, s27
	s_or_b32 s0, s0, s28
	s_delay_alu instid0(SALU_CYCLE_1) | instskip(NEXT) | instid1(SALU_CYCLE_1)
	s_and_b32 s28, s0, exec_lo
	s_or_b32 s26, s26, s28
	s_mov_b32 s28, exec_lo
	v_cmpx_eq_u16_e64 v12, v13
	s_cbranch_execz .LBB9_217
; %bb.219:                              ;   in Loop: Header=BB9_218 Depth=1
	s_add_nc_u64 s[6:7], s[6:7], -1
	v_add_nc_u64_e32 v[6:7], 1, v[6:7]
	s_cmp_eq_u64 s[6:7], 0
	v_add_nc_u64_e32 v[8:9], 1, v[8:9]
	s_cselect_b32 s27, -1, 0
	s_and_not1_b32 s25, s25, exec_lo
	s_and_b32 s27, s27, exec_lo
	s_and_not1_b32 s26, s26, exec_lo
	s_or_b32 s25, s25, s27
                                        ; implicit-def: $sgpr27
	s_branch .LBB9_217
.LBB9_220:
	s_or_b32 exec_lo, exec_lo, s23
	s_xor_b32 s0, s24, -1
	s_branch .LBB9_222
.LBB9_221:
	s_mov_b32 s0, -1
.LBB9_222:
	s_delay_alu instid0(SALU_CYCLE_1)
	s_and_b32 s0, s0, exec_lo
.LBB9_223:
	s_or_b32 exec_lo, exec_lo, s14
	s_delay_alu instid0(SALU_CYCLE_1)
	s_or_not1_b32 s14, s0, exec_lo
.LBB9_224:
	s_or_b32 exec_lo, exec_lo, s22
	v_dual_cndmask_b32 v6, v10, v11, s14 :: v_dual_cndmask_b32 v7, v25, v24, s14
	s_mov_b32 s22, exec_lo
	s_delay_alu instid0(VALU_DEP_1) | instskip(NEXT) | instid1(VALU_DEP_1)
	v_add_nc_u32_e32 v8, 1, v6
	v_add_min_u32_e64 v6, v7, -1, v8
	s_delay_alu instid0(VALU_DEP_1)
	v_lshl_add_u32 v6, v6, 3, v36
	ds_load_b64 v[6:7], v6
	s_wait_dscnt 0x0
	v_dual_cndmask_b32 v17, v6, v15, s14 :: v_dual_cndmask_b32 v12, v8, v10, s14
	v_cndmask_b32_e64 v13, v11, v8, s14
	v_dual_cndmask_b32 v10, v7, v14, s14 :: v_dual_cndmask_b32 v11, v16, v7, s14
	v_cndmask_b32_e64 v23, v22, v6, s14
	s_delay_alu instid0(VALU_DEP_4)
	v_cmpx_lt_u32_e64 v12, v25
	s_cbranch_execz .LBB9_235
; %bb.225:
	s_mov_b32 s0, 0
	s_mov_b32 s15, exec_lo
	v_cmpx_lt_u32_e64 v13, v24
	s_cbranch_execz .LBB9_234
; %bb.226:
	v_cmp_ne_u32_e32 vcc_lo, 1, v35
	s_cbranch_vccnz .LBB9_232
; %bb.227:
	v_mad_nc_u64_u32 v[6:7], v17, s16, s[18:19]
	v_mad_nc_u64_u32 v[8:9], v23, s16, s[18:19]
	s_mov_b32 s23, 0
	s_mov_b64 s[6:7], s[16:17]
                                        ; implicit-def: $sgpr24
                                        ; implicit-def: $sgpr25
                                        ; implicit-def: $sgpr26
                                        ; implicit-def: $sgpr27
	s_delay_alu instid0(VALU_DEP_2) | instskip(NEXT) | instid1(VALU_DEP_2)
	v_mad_u32 v7, v10, s16, v7
	v_mad_u32 v9, v11, s16, v9
	s_delay_alu instid0(VALU_DEP_2) | instskip(NEXT) | instid1(VALU_DEP_2)
	v_mad_u32 v7, v17, s17, v7
	v_mad_u32 v9, v23, s17, v9
	s_branch .LBB9_229
.LBB9_228:                              ;   in Loop: Header=BB9_229 Depth=1
	s_or_b32 exec_lo, exec_lo, s28
	s_delay_alu instid0(SALU_CYCLE_1) | instskip(NEXT) | instid1(SALU_CYCLE_1)
	s_and_b32 s28, exec_lo, s25
	s_or_b32 s23, s28, s23
	s_and_not1_b32 s27, s27, exec_lo
	s_and_b32 s0, s0, exec_lo
	s_and_not1_b32 s24, s24, exec_lo
	s_and_b32 s28, s26, exec_lo
	s_or_b32 s27, s27, s0
	s_or_b32 s24, s24, s28
	s_and_not1_b32 exec_lo, exec_lo, s23
	s_cbranch_execz .LBB9_231
.LBB9_229:                              ; =>This Inner Loop Header: Depth=1
	global_load_u8 v20, v[6:7], off
	global_load_u8 v21, v[8:9], off
	s_and_not1_b32 s26, s26, exec_lo
	s_or_b32 s25, s25, exec_lo
	s_wait_loadcnt 0x1
	v_and_b32_e32 v20, 0xff, v20
	s_wait_loadcnt 0x0
	v_and_b32_e32 v21, 0xff, v21
	s_delay_alu instid0(VALU_DEP_1) | instskip(SKIP_2) | instid1(SALU_CYCLE_1)
	v_cmp_le_u16_e32 vcc_lo, v20, v21
	v_cmp_lt_u16_e64 s0, v20, v21
	s_and_b32 s28, vcc_lo, s27
	s_or_b32 s0, s0, s28
	s_delay_alu instid0(SALU_CYCLE_1) | instskip(NEXT) | instid1(SALU_CYCLE_1)
	s_and_b32 s28, s0, exec_lo
	s_or_b32 s26, s26, s28
	s_mov_b32 s28, exec_lo
	v_cmpx_eq_u16_e64 v20, v21
	s_cbranch_execz .LBB9_228
; %bb.230:                              ;   in Loop: Header=BB9_229 Depth=1
	s_add_nc_u64 s[6:7], s[6:7], -1
	v_add_nc_u64_e32 v[6:7], 1, v[6:7]
	s_cmp_eq_u64 s[6:7], 0
	v_add_nc_u64_e32 v[8:9], 1, v[8:9]
	s_cselect_b32 s27, -1, 0
	s_and_not1_b32 s25, s25, exec_lo
	s_and_b32 s27, s27, exec_lo
	s_and_not1_b32 s26, s26, exec_lo
	s_or_b32 s25, s25, s27
                                        ; implicit-def: $sgpr27
	s_branch .LBB9_228
.LBB9_231:
	s_or_b32 exec_lo, exec_lo, s23
	s_xor_b32 s0, s24, -1
	s_branch .LBB9_233
.LBB9_232:
	s_mov_b32 s0, -1
.LBB9_233:
	s_delay_alu instid0(SALU_CYCLE_1)
	s_and_b32 s0, s0, exec_lo
.LBB9_234:
	s_or_b32 exec_lo, exec_lo, s15
	s_delay_alu instid0(SALU_CYCLE_1)
	s_or_not1_b32 s15, s0, exec_lo
.LBB9_235:
	s_or_b32 exec_lo, exec_lo, s22
	v_dual_cndmask_b32 v6, v12, v13, s15 :: v_dual_cndmask_b32 v7, v25, v24, s15
	s_mov_b32 s23, -1
	s_mov_b32 s22, -1
	s_mov_b32 s24, exec_lo
	s_delay_alu instid0(VALU_DEP_1) | instskip(NEXT) | instid1(VALU_DEP_1)
	v_add_nc_u32_e32 v8, 1, v6
	v_add_min_u32_e64 v6, v7, -1, v8
	s_delay_alu instid0(VALU_DEP_1)
	v_lshl_add_u32 v6, v6, 3, v36
	ds_load_b64 v[6:7], v6
	s_wait_dscnt 0x0
	v_dual_cndmask_b32 v40, v6, v17, s15 :: v_dual_cndmask_b32 v20, v8, v12, s15
	v_dual_cndmask_b32 v12, v7, v10, s15 :: v_dual_cndmask_b32 v21, v13, v8, s15
	v_cndmask_b32_e64 v13, v11, v7, s15
	v_cndmask_b32_e64 v41, v23, v6, s15
	s_delay_alu instid0(VALU_DEP_4)
	v_cmpx_lt_u32_e64 v20, v25
	s_cbranch_execz .LBB9_246
; %bb.236:
	s_mov_b32 s0, 0
	s_mov_b32 s22, exec_lo
	v_cmpx_lt_u32_e64 v21, v24
	s_cbranch_execz .LBB9_245
; %bb.237:
	v_cmp_ne_u32_e32 vcc_lo, 1, v35
	s_cbranch_vccnz .LBB9_243
; %bb.238:
	v_mad_nc_u64_u32 v[6:7], v40, s16, s[18:19]
	v_mad_nc_u64_u32 v[8:9], v41, s16, s[18:19]
	s_mov_b32 s25, 0
	s_mov_b64 s[6:7], s[16:17]
                                        ; implicit-def: $sgpr26
                                        ; implicit-def: $sgpr27
                                        ; implicit-def: $sgpr28
                                        ; implicit-def: $sgpr29
	s_delay_alu instid0(VALU_DEP_2) | instskip(NEXT) | instid1(VALU_DEP_2)
	v_mad_u32 v7, v12, s16, v7
	v_mad_u32 v9, v13, s16, v9
	s_delay_alu instid0(VALU_DEP_2) | instskip(NEXT) | instid1(VALU_DEP_2)
	v_mad_u32 v7, v40, s17, v7
	v_mad_u32 v9, v41, s17, v9
	s_branch .LBB9_240
.LBB9_239:                              ;   in Loop: Header=BB9_240 Depth=1
	s_or_b32 exec_lo, exec_lo, s30
	s_delay_alu instid0(SALU_CYCLE_1) | instskip(NEXT) | instid1(SALU_CYCLE_1)
	s_and_b32 s30, exec_lo, s27
	s_or_b32 s25, s30, s25
	s_and_not1_b32 s29, s29, exec_lo
	s_and_b32 s0, s0, exec_lo
	s_and_not1_b32 s26, s26, exec_lo
	s_and_b32 s30, s28, exec_lo
	s_or_b32 s29, s29, s0
	s_or_b32 s26, s26, s30
	s_and_not1_b32 exec_lo, exec_lo, s25
	s_cbranch_execz .LBB9_242
.LBB9_240:                              ; =>This Inner Loop Header: Depth=1
	global_load_u8 v42, v[6:7], off
	global_load_u8 v43, v[8:9], off
	s_and_not1_b32 s28, s28, exec_lo
	s_or_b32 s27, s27, exec_lo
	s_wait_loadcnt 0x1
	v_and_b32_e32 v42, 0xff, v42
	s_wait_loadcnt 0x0
	v_and_b32_e32 v43, 0xff, v43
	s_delay_alu instid0(VALU_DEP_1) | instskip(SKIP_2) | instid1(SALU_CYCLE_1)
	v_cmp_le_u16_e32 vcc_lo, v42, v43
	v_cmp_lt_u16_e64 s0, v42, v43
	s_and_b32 s30, vcc_lo, s29
	s_or_b32 s0, s0, s30
	s_delay_alu instid0(SALU_CYCLE_1) | instskip(NEXT) | instid1(SALU_CYCLE_1)
	s_and_b32 s30, s0, exec_lo
	s_or_b32 s28, s28, s30
	s_mov_b32 s30, exec_lo
	v_cmpx_eq_u16_e64 v42, v43
	s_cbranch_execz .LBB9_239
; %bb.241:                              ;   in Loop: Header=BB9_240 Depth=1
	s_add_nc_u64 s[6:7], s[6:7], -1
	v_add_nc_u64_e32 v[6:7], 1, v[6:7]
	s_cmp_eq_u64 s[6:7], 0
	v_add_nc_u64_e32 v[8:9], 1, v[8:9]
	s_cselect_b32 s29, -1, 0
	s_and_not1_b32 s27, s27, exec_lo
	s_and_b32 s29, s29, exec_lo
	s_and_not1_b32 s28, s28, exec_lo
	s_or_b32 s27, s27, s29
                                        ; implicit-def: $sgpr29
	s_branch .LBB9_239
.LBB9_242:
	s_or_b32 exec_lo, exec_lo, s25
	s_xor_b32 s0, s26, -1
	s_branch .LBB9_244
.LBB9_243:
	s_mov_b32 s0, -1
.LBB9_244:
	s_delay_alu instid0(SALU_CYCLE_1)
	s_and_b32 s0, s0, exec_lo
.LBB9_245:
	s_or_b32 exec_lo, exec_lo, s22
	s_delay_alu instid0(SALU_CYCLE_1)
	s_or_not1_b32 s22, s0, exec_lo
.LBB9_246:
	s_or_b32 exec_lo, exec_lo, s24
	v_dual_cndmask_b32 v6, v20, v21, s22 :: v_dual_cndmask_b32 v7, v25, v24, s22
	s_mov_b32 s24, exec_lo
	s_delay_alu instid0(VALU_DEP_1) | instskip(NEXT) | instid1(VALU_DEP_1)
	v_add_nc_u32_e32 v8, 1, v6
	v_add_min_u32_e64 v6, v7, -1, v8
	s_delay_alu instid0(VALU_DEP_1)
	v_lshl_add_u32 v6, v6, 3, v36
	ds_load_b64 v[6:7], v6
	s_wait_dscnt 0x0
	v_cndmask_b32_e64 v42, v7, v12, s22
	v_dual_cndmask_b32 v20, v8, v20, s22 :: v_dual_cndmask_b32 v44, v13, v7, s22
	v_cndmask_b32_e64 v21, v21, v8, s22
	v_dual_cndmask_b32 v43, v6, v40, s22 :: v_dual_cndmask_b32 v45, v41, v6, s22
	s_delay_alu instid0(VALU_DEP_3)
	v_cmpx_lt_u32_e64 v20, v25
	s_cbranch_execz .LBB9_257
; %bb.247:
	s_mov_b32 s0, 0
	s_mov_b32 s23, exec_lo
	v_cmpx_lt_u32_e64 v21, v24
	s_cbranch_execz .LBB9_256
; %bb.248:
	v_cmp_ne_u32_e32 vcc_lo, 1, v35
	s_cbranch_vccnz .LBB9_254
; %bb.249:
	v_mad_nc_u64_u32 v[6:7], v43, s16, s[18:19]
	v_mad_nc_u64_u32 v[8:9], v45, s16, s[18:19]
	s_mov_b32 s25, 0
	s_mov_b64 s[6:7], s[16:17]
                                        ; implicit-def: $sgpr26
                                        ; implicit-def: $sgpr27
                                        ; implicit-def: $sgpr28
                                        ; implicit-def: $sgpr29
	s_delay_alu instid0(VALU_DEP_2) | instskip(NEXT) | instid1(VALU_DEP_2)
	v_mad_u32 v7, v42, s16, v7
	v_mad_u32 v9, v44, s16, v9
	s_delay_alu instid0(VALU_DEP_2) | instskip(NEXT) | instid1(VALU_DEP_2)
	v_mad_u32 v7, v43, s17, v7
	v_mad_u32 v9, v45, s17, v9
	s_branch .LBB9_251
.LBB9_250:                              ;   in Loop: Header=BB9_251 Depth=1
	s_or_b32 exec_lo, exec_lo, s30
	s_delay_alu instid0(SALU_CYCLE_1) | instskip(NEXT) | instid1(SALU_CYCLE_1)
	s_and_b32 s30, exec_lo, s27
	s_or_b32 s25, s30, s25
	s_and_not1_b32 s29, s29, exec_lo
	s_and_b32 s0, s0, exec_lo
	s_and_not1_b32 s26, s26, exec_lo
	s_and_b32 s30, s28, exec_lo
	s_or_b32 s29, s29, s0
	s_or_b32 s26, s26, s30
	s_and_not1_b32 exec_lo, exec_lo, s25
	s_cbranch_execz .LBB9_253
.LBB9_251:                              ; =>This Inner Loop Header: Depth=1
	global_load_u8 v46, v[6:7], off
	global_load_u8 v47, v[8:9], off
	s_and_not1_b32 s28, s28, exec_lo
	s_or_b32 s27, s27, exec_lo
	s_wait_loadcnt 0x1
	v_and_b32_e32 v46, 0xff, v46
	s_wait_loadcnt 0x0
	v_and_b32_e32 v47, 0xff, v47
	s_delay_alu instid0(VALU_DEP_1) | instskip(SKIP_2) | instid1(SALU_CYCLE_1)
	v_cmp_le_u16_e32 vcc_lo, v46, v47
	v_cmp_lt_u16_e64 s0, v46, v47
	s_and_b32 s30, vcc_lo, s29
	s_or_b32 s0, s0, s30
	s_delay_alu instid0(SALU_CYCLE_1) | instskip(NEXT) | instid1(SALU_CYCLE_1)
	s_and_b32 s30, s0, exec_lo
	s_or_b32 s28, s28, s30
	s_mov_b32 s30, exec_lo
	v_cmpx_eq_u16_e64 v46, v47
	s_cbranch_execz .LBB9_250
; %bb.252:                              ;   in Loop: Header=BB9_251 Depth=1
	s_add_nc_u64 s[6:7], s[6:7], -1
	v_add_nc_u64_e32 v[6:7], 1, v[6:7]
	s_cmp_eq_u64 s[6:7], 0
	v_add_nc_u64_e32 v[8:9], 1, v[8:9]
	s_cselect_b32 s29, -1, 0
	s_and_not1_b32 s27, s27, exec_lo
	s_and_b32 s29, s29, exec_lo
	s_and_not1_b32 s28, s28, exec_lo
	s_or_b32 s27, s27, s29
                                        ; implicit-def: $sgpr29
	s_branch .LBB9_250
.LBB9_253:
	s_or_b32 exec_lo, exec_lo, s25
	s_xor_b32 s0, s26, -1
	s_branch .LBB9_255
.LBB9_254:
	s_mov_b32 s0, -1
.LBB9_255:
	s_delay_alu instid0(SALU_CYCLE_1)
	s_and_b32 s0, s0, exec_lo
.LBB9_256:
	s_or_b32 exec_lo, exec_lo, s23
	s_delay_alu instid0(SALU_CYCLE_1)
	s_or_not1_b32 s23, s0, exec_lo
.LBB9_257:
	s_or_b32 exec_lo, exec_lo, s24
	v_dual_cndmask_b32 v6, v20, v21, s23 :: v_dual_cndmask_b32 v7, v25, v24, s23
	s_mov_b32 s24, -1
	s_mov_b32 s25, -1
	s_mov_b32 s26, exec_lo
	s_delay_alu instid0(VALU_DEP_1) | instskip(NEXT) | instid1(VALU_DEP_1)
	v_add_nc_u32_e32 v8, 1, v6
	v_add_min_u32_e64 v6, v7, -1, v8
	s_delay_alu instid0(VALU_DEP_1)
	v_lshl_add_u32 v6, v6, 3, v36
	ds_load_b64 v[6:7], v6
	s_wait_dscnt 0x0
	v_dual_cndmask_b32 v46, v7, v42, s23 :: v_dual_cndmask_b32 v47, v6, v43, s23
	v_cndmask_b32_e64 v20, v8, v20, s23
	v_dual_cndmask_b32 v21, v21, v8, s23 :: v_dual_cndmask_b32 v48, v44, v7, s23
	v_cndmask_b32_e64 v49, v45, v6, s23
	s_delay_alu instid0(VALU_DEP_3)
	v_cmpx_lt_u32_e64 v20, v25
	s_cbranch_execz .LBB9_268
; %bb.258:
	s_mov_b32 s0, 0
	s_mov_b32 s25, exec_lo
	v_cmpx_lt_u32_e64 v21, v24
	s_cbranch_execz .LBB9_267
; %bb.259:
	v_cmp_ne_u32_e32 vcc_lo, 1, v35
	s_cbranch_vccnz .LBB9_265
; %bb.260:
	v_mad_nc_u64_u32 v[6:7], v47, s16, s[18:19]
	v_mad_nc_u64_u32 v[8:9], v49, s16, s[18:19]
	s_mov_b32 s27, 0
	s_mov_b64 s[6:7], s[16:17]
                                        ; implicit-def: $sgpr28
                                        ; implicit-def: $sgpr29
                                        ; implicit-def: $sgpr30
                                        ; implicit-def: $sgpr31
	s_delay_alu instid0(VALU_DEP_2) | instskip(NEXT) | instid1(VALU_DEP_2)
	v_mad_u32 v7, v46, s16, v7
	v_mad_u32 v9, v48, s16, v9
	s_delay_alu instid0(VALU_DEP_2) | instskip(NEXT) | instid1(VALU_DEP_2)
	v_mad_u32 v7, v47, s17, v7
	v_mad_u32 v9, v49, s17, v9
	s_branch .LBB9_262
.LBB9_261:                              ;   in Loop: Header=BB9_262 Depth=1
	s_or_b32 exec_lo, exec_lo, s33
	s_delay_alu instid0(SALU_CYCLE_1) | instskip(NEXT) | instid1(SALU_CYCLE_1)
	s_and_b32 s33, exec_lo, s29
	s_or_b32 s27, s33, s27
	s_and_not1_b32 s31, s31, exec_lo
	s_and_b32 s0, s0, exec_lo
	s_and_not1_b32 s28, s28, exec_lo
	s_and_b32 s33, s30, exec_lo
	s_or_b32 s31, s31, s0
	s_or_b32 s28, s28, s33
	s_and_not1_b32 exec_lo, exec_lo, s27
	s_cbranch_execz .LBB9_264
.LBB9_262:                              ; =>This Inner Loop Header: Depth=1
	global_load_u8 v50, v[6:7], off
	global_load_u8 v51, v[8:9], off
	s_and_not1_b32 s30, s30, exec_lo
	s_or_b32 s29, s29, exec_lo
	s_wait_loadcnt 0x1
	v_and_b32_e32 v50, 0xff, v50
	s_wait_loadcnt 0x0
	v_and_b32_e32 v51, 0xff, v51
	s_delay_alu instid0(VALU_DEP_1) | instskip(SKIP_2) | instid1(SALU_CYCLE_1)
	v_cmp_le_u16_e32 vcc_lo, v50, v51
	v_cmp_lt_u16_e64 s0, v50, v51
	s_and_b32 s33, vcc_lo, s31
	s_or_b32 s0, s0, s33
	s_delay_alu instid0(SALU_CYCLE_1) | instskip(NEXT) | instid1(SALU_CYCLE_1)
	s_and_b32 s33, s0, exec_lo
	s_or_b32 s30, s30, s33
	s_mov_b32 s33, exec_lo
	v_cmpx_eq_u16_e64 v50, v51
	s_cbranch_execz .LBB9_261
; %bb.263:                              ;   in Loop: Header=BB9_262 Depth=1
	s_add_nc_u64 s[6:7], s[6:7], -1
	v_add_nc_u64_e32 v[6:7], 1, v[6:7]
	s_cmp_eq_u64 s[6:7], 0
	v_add_nc_u64_e32 v[8:9], 1, v[8:9]
	s_cselect_b32 s31, -1, 0
	s_and_not1_b32 s29, s29, exec_lo
	s_and_b32 s31, s31, exec_lo
	s_and_not1_b32 s30, s30, exec_lo
	s_or_b32 s29, s29, s31
                                        ; implicit-def: $sgpr31
	s_branch .LBB9_261
.LBB9_264:
	s_or_b32 exec_lo, exec_lo, s27
	s_xor_b32 s0, s28, -1
	s_branch .LBB9_266
.LBB9_265:
	s_mov_b32 s0, -1
.LBB9_266:
	s_delay_alu instid0(SALU_CYCLE_1)
	s_and_b32 s0, s0, exec_lo
.LBB9_267:
	s_or_b32 exec_lo, exec_lo, s25
	s_delay_alu instid0(SALU_CYCLE_1)
	s_or_not1_b32 s25, s0, exec_lo
.LBB9_268:
	s_or_b32 exec_lo, exec_lo, s26
	v_dual_cndmask_b32 v6, v20, v21, s25 :: v_dual_cndmask_b32 v7, v25, v24, s25
	s_mov_b32 s26, exec_lo
	s_delay_alu instid0(VALU_DEP_1) | instskip(NEXT) | instid1(VALU_DEP_1)
	v_add_nc_u32_e32 v8, 1, v6
	v_add_min_u32_e64 v6, v7, -1, v8
	s_delay_alu instid0(VALU_DEP_1)
	v_lshl_add_u32 v6, v6, 3, v36
	ds_load_b64 v[6:7], v6
	s_wait_dscnt 0x0
	v_dual_cndmask_b32 v51, v7, v46, s25 :: v_dual_cndmask_b32 v52, v6, v47, s25
	v_cndmask_b32_e64 v53, v8, v20, s25
	v_dual_cndmask_b32 v50, v21, v8, s25 :: v_dual_cndmask_b32 v54, v48, v7, s25
	v_cndmask_b32_e64 v55, v49, v6, s25
	s_delay_alu instid0(VALU_DEP_3)
	v_cmpx_lt_u32_e64 v53, v25
	s_cbranch_execz .LBB9_279
; %bb.269:
	s_mov_b32 s0, 0
	s_mov_b32 s24, exec_lo
	v_cmpx_lt_u32_e64 v50, v24
	s_cbranch_execz .LBB9_278
; %bb.270:
	v_cmp_ne_u32_e32 vcc_lo, 1, v35
	s_cbranch_vccnz .LBB9_276
; %bb.271:
	v_mad_nc_u64_u32 v[6:7], v52, s16, s[18:19]
	v_mad_nc_u64_u32 v[8:9], v55, s16, s[18:19]
	s_mov_b32 s27, 0
	s_mov_b64 s[6:7], s[16:17]
                                        ; implicit-def: $sgpr28
                                        ; implicit-def: $sgpr29
                                        ; implicit-def: $sgpr30
                                        ; implicit-def: $sgpr31
	s_delay_alu instid0(VALU_DEP_2) | instskip(NEXT) | instid1(VALU_DEP_2)
	v_mad_u32 v7, v51, s16, v7
	v_mad_u32 v9, v54, s16, v9
	s_delay_alu instid0(VALU_DEP_2) | instskip(NEXT) | instid1(VALU_DEP_2)
	v_mad_u32 v7, v52, s17, v7
	v_mad_u32 v9, v55, s17, v9
	s_branch .LBB9_273
.LBB9_272:                              ;   in Loop: Header=BB9_273 Depth=1
	s_or_b32 exec_lo, exec_lo, s33
	s_delay_alu instid0(SALU_CYCLE_1) | instskip(NEXT) | instid1(SALU_CYCLE_1)
	s_and_b32 s33, exec_lo, s29
	s_or_b32 s27, s33, s27
	s_and_not1_b32 s31, s31, exec_lo
	s_and_b32 s0, s0, exec_lo
	s_and_not1_b32 s28, s28, exec_lo
	s_and_b32 s33, s30, exec_lo
	s_or_b32 s31, s31, s0
	s_or_b32 s28, s28, s33
	s_and_not1_b32 exec_lo, exec_lo, s27
	s_cbranch_execz .LBB9_275
.LBB9_273:                              ; =>This Inner Loop Header: Depth=1
	global_load_u8 v20, v[6:7], off
	global_load_u8 v21, v[8:9], off
	s_and_not1_b32 s30, s30, exec_lo
	s_or_b32 s29, s29, exec_lo
	s_wait_loadcnt 0x1
	v_and_b32_e32 v20, 0xff, v20
	s_wait_loadcnt 0x0
	v_and_b32_e32 v21, 0xff, v21
	s_delay_alu instid0(VALU_DEP_1) | instskip(SKIP_2) | instid1(SALU_CYCLE_1)
	v_cmp_le_u16_e32 vcc_lo, v20, v21
	v_cmp_lt_u16_e64 s0, v20, v21
	s_and_b32 s33, vcc_lo, s31
	s_or_b32 s0, s0, s33
	s_delay_alu instid0(SALU_CYCLE_1) | instskip(NEXT) | instid1(SALU_CYCLE_1)
	s_and_b32 s33, s0, exec_lo
	s_or_b32 s30, s30, s33
	s_mov_b32 s33, exec_lo
	v_cmpx_eq_u16_e64 v20, v21
	s_cbranch_execz .LBB9_272
; %bb.274:                              ;   in Loop: Header=BB9_273 Depth=1
	s_add_nc_u64 s[6:7], s[6:7], -1
	v_add_nc_u64_e32 v[6:7], 1, v[6:7]
	s_cmp_eq_u64 s[6:7], 0
	v_add_nc_u64_e32 v[8:9], 1, v[8:9]
	s_cselect_b32 s31, -1, 0
	s_and_not1_b32 s29, s29, exec_lo
	s_and_b32 s31, s31, exec_lo
	s_and_not1_b32 s30, s30, exec_lo
	s_or_b32 s29, s29, s31
                                        ; implicit-def: $sgpr31
	s_branch .LBB9_272
.LBB9_275:
	s_or_b32 exec_lo, exec_lo, s27
	s_xor_b32 s0, s28, -1
	s_branch .LBB9_277
.LBB9_276:
	s_mov_b32 s0, -1
.LBB9_277:
	s_delay_alu instid0(SALU_CYCLE_1)
	s_and_b32 s0, s0, exec_lo
.LBB9_278:
	s_or_b32 exec_lo, exec_lo, s24
	s_delay_alu instid0(SALU_CYCLE_1)
	s_or_not1_b32 s24, s0, exec_lo
.LBB9_279:
	s_or_b32 exec_lo, exec_lo, s26
	v_dual_cndmask_b32 v6, v53, v50, s24 :: v_dual_cndmask_b32 v9, v46, v48, s25
	v_dual_cndmask_b32 v7, v25, v24, s24 :: v_dual_cndmask_b32 v8, v47, v49, s25
	s_delay_alu instid0(VALU_DEP_2) | instskip(SKIP_2) | instid1(VALU_DEP_3)
	v_dual_cndmask_b32 v13, v12, v13, s22 :: v_dual_add_nc_u32 v56, 1, v6
	v_dual_cndmask_b32 v12, v40, v41, s22 :: v_dual_cndmask_b32 v11, v10, v11, s15
	v_dual_cndmask_b32 v10, v17, v23, s15 :: v_dual_cndmask_b32 v17, v14, v16, s14
	v_add_min_u32_e64 v6, v7, -1, v56
	v_dual_cndmask_b32 v7, v42, v44, s23 :: v_dual_cndmask_b32 v16, v15, v22, s14
	v_dual_cndmask_b32 v15, v5, v3, s5 :: v_dual_cndmask_b32 v22, v56, v53, s24
	v_cndmask_b32_e64 v3, v51, v54, s24
	s_delay_alu instid0(VALU_DEP_4)
	v_lshl_add_u32 v6, v6, 3, v36
	ds_load_b64 v[20:21], v6
	v_dual_cndmask_b32 v6, v43, v45, s23 :: v_dual_cndmask_b32 v14, v4, v2, s5
	v_cndmask_b32_e64 v2, v52, v55, s24
	s_mov_b32 s5, exec_lo
	s_wait_dscnt 0x0
	v_dual_cndmask_b32 v5, v54, v21, s24 :: v_dual_cndmask_b32 v4, v55, v20, s24
	v_cmpx_lt_u32_e64 v22, v25
	s_cbranch_execz .LBB9_289
; %bb.280:
	v_dual_cndmask_b32 v22, v50, v56, s24 :: v_dual_cndmask_b32 v21, v21, v51, s24
	v_cndmask_b32_e64 v20, v20, v52, s24
	s_mov_b32 s14, exec_lo
	s_delay_alu instid0(VALU_DEP_2)
	v_cmpx_lt_u32_e64 v22, v24
	s_cbranch_execz .LBB9_288
; %bb.281:
	v_cmp_ne_u32_e32 vcc_lo, 1, v35
	s_cbranch_vccnz .LBB9_287
; %bb.282:
	v_mad_nc_u64_u32 v[22:23], v20, s16, s[18:19]
	v_mad_nc_u64_u32 v[24:25], v4, s16, s[18:19]
	s_mov_b32 s15, 0
	s_mov_b64 s[6:7], s[16:17]
                                        ; implicit-def: $sgpr22
                                        ; implicit-def: $sgpr23
                                        ; implicit-def: $sgpr24
                                        ; implicit-def: $sgpr25
	s_delay_alu instid0(VALU_DEP_2) | instskip(NEXT) | instid1(VALU_DEP_2)
	v_mad_u32 v23, v21, s16, v23
	v_mad_u32 v25, v5, s16, v25
	s_delay_alu instid0(VALU_DEP_2) | instskip(NEXT) | instid1(VALU_DEP_2)
	v_mad_u32 v23, v20, s17, v23
	v_mad_u32 v25, v4, s17, v25
	s_branch .LBB9_284
.LBB9_283:                              ;   in Loop: Header=BB9_284 Depth=1
	s_or_b32 exec_lo, exec_lo, s26
	s_delay_alu instid0(SALU_CYCLE_1) | instskip(NEXT) | instid1(SALU_CYCLE_1)
	s_and_b32 s26, exec_lo, s23
	s_or_b32 s15, s26, s15
	s_and_not1_b32 s25, s25, exec_lo
	s_and_b32 s0, s0, exec_lo
	s_and_not1_b32 s22, s22, exec_lo
	s_and_b32 s26, s24, exec_lo
	s_or_b32 s25, s25, s0
	s_or_b32 s22, s22, s26
	s_and_not1_b32 exec_lo, exec_lo, s15
	s_cbranch_execz .LBB9_286
.LBB9_284:                              ; =>This Inner Loop Header: Depth=1
	global_load_u8 v40, v[22:23], off
	global_load_u8 v41, v[24:25], off
	s_and_not1_b32 s24, s24, exec_lo
	s_or_b32 s23, s23, exec_lo
	s_wait_loadcnt 0x1
	v_and_b32_e32 v40, 0xff, v40
	s_wait_loadcnt 0x0
	v_and_b32_e32 v41, 0xff, v41
	s_delay_alu instid0(VALU_DEP_1) | instskip(SKIP_2) | instid1(SALU_CYCLE_1)
	v_cmp_le_u16_e32 vcc_lo, v40, v41
	v_cmp_lt_u16_e64 s0, v40, v41
	s_and_b32 s26, vcc_lo, s25
	s_or_b32 s0, s0, s26
	s_delay_alu instid0(SALU_CYCLE_1) | instskip(NEXT) | instid1(SALU_CYCLE_1)
	s_and_b32 s26, s0, exec_lo
	s_or_b32 s24, s24, s26
	s_mov_b32 s26, exec_lo
	v_cmpx_eq_u16_e64 v40, v41
	s_cbranch_execz .LBB9_283
; %bb.285:                              ;   in Loop: Header=BB9_284 Depth=1
	s_add_nc_u64 s[6:7], s[6:7], -1
	v_add_nc_u64_e32 v[22:23], 1, v[22:23]
	s_cmp_eq_u64 s[6:7], 0
	v_add_nc_u64_e32 v[24:25], 1, v[24:25]
	s_cselect_b32 s25, -1, 0
	s_and_not1_b32 s23, s23, exec_lo
	s_and_b32 s25, s25, exec_lo
	s_and_not1_b32 s24, s24, exec_lo
	s_or_b32 s23, s23, s25
                                        ; implicit-def: $sgpr25
	s_branch .LBB9_283
.LBB9_286:
	s_or_b32 exec_lo, exec_lo, s15
	v_dual_cndmask_b32 v5, v5, v21, s22 :: v_dual_cndmask_b32 v4, v4, v20, s22
.LBB9_287:
	s_delay_alu instid0(VALU_DEP_1)
	v_mov_b64_e32 v[20:21], v[4:5]
.LBB9_288:
	s_or_b32 exec_lo, exec_lo, s14
	s_delay_alu instid0(VALU_DEP_1)
	v_mov_b64_e32 v[4:5], v[20:21]
.LBB9_289:
	s_or_b32 exec_lo, exec_lo, s5
.LBB9_290:
	s_delay_alu instid0(SALU_CYCLE_1)
	s_or_b32 exec_lo, exec_lo, s1
	v_and_b32_e32 v42, 0xe0, v38
	s_mov_b32 s1, exec_lo
	; wave barrier
	ds_store_b128 v39, v[14:17]
	ds_store_b128 v39, v[10:13] offset:16
	v_or_b32_e32 v20, 16, v42
	v_lshl_add_u32 v41, v42, 3, v36
	ds_store_b128 v39, v[6:9] offset:32
	ds_store_b128 v39, v[2:5] offset:48
	; wave barrier
	v_min_u32_e32 v24, v37, v20
	v_and_b32_e32 v20, 24, v38
	s_delay_alu instid0(VALU_DEP_2) | instskip(NEXT) | instid1(VALU_DEP_2)
	v_add_min_u32_e64 v25, v24, 16, v37
	v_min_u32_e32 v43, v37, v20
	s_delay_alu instid0(VALU_DEP_2) | instskip(NEXT) | instid1(VALU_DEP_1)
	v_dual_sub_nc_u32 v21, v24, v42 :: v_dual_sub_nc_u32 v20, v25, v24
	v_min_u32_e32 v44, v43, v21
	s_delay_alu instid0(VALU_DEP_2) | instskip(NEXT) | instid1(VALU_DEP_1)
	v_sub_nc_u32_e64 v40, v43, v20 clamp
	v_cmpx_lt_u32_e64 v40, v44
	s_cbranch_execz .LBB9_300
; %bb.291:
	v_dual_lshlrev_b32 v20, 3, v24 :: v_dual_lshlrev_b32 v21, 3, v43
	s_mov_b32 s5, 0
	s_delay_alu instid0(VALU_DEP_1)
	v_add3_u32 v45, v36, v20, v21
	s_branch .LBB9_294
.LBB9_292:                              ;   in Loop: Header=BB9_294 Depth=1
	s_or_b32 exec_lo, exec_lo, s15
.LBB9_293:                              ;   in Loop: Header=BB9_294 Depth=1
	s_delay_alu instid0(VALU_DEP_1) | instskip(NEXT) | instid1(VALU_DEP_1)
	v_dual_add_nc_u32 v20, 1, v46 :: v_dual_cndmask_b32 v44, v44, v46, s14
	v_cndmask_b32_e64 v40, v20, v40, s14
	s_delay_alu instid0(VALU_DEP_1) | instskip(SKIP_1) | instid1(SALU_CYCLE_1)
	v_cmp_ge_u32_e32 vcc_lo, v40, v44
	s_or_b32 s5, vcc_lo, s5
	s_and_not1_b32 exec_lo, exec_lo, s5
	s_cbranch_execz .LBB9_299
.LBB9_294:                              ; =>This Loop Header: Depth=1
                                        ;     Child Loop BB9_297 Depth 2
	v_add_nc_u32_e32 v20, v44, v40
	v_cmp_ne_u32_e32 vcc_lo, 1, v35
	s_mov_b32 s14, 0
	s_delay_alu instid0(VALU_DEP_2)
	v_lshrrev_b32_e32 v46, 1, v20
	s_cbranch_vccnz .LBB9_293
; %bb.295:                              ;   in Loop: Header=BB9_294 Depth=1
	s_delay_alu instid0(VALU_DEP_1) | instskip(SKIP_3) | instid1(VALU_DEP_2)
	v_not_b32_e32 v20, v46
	v_lshl_add_u32 v21, v46, 3, v41
	s_mov_b32 s15, 0
	s_mov_b64 s[6:7], s[16:17]
                                        ; implicit-def: $sgpr14
                                        ; implicit-def: $sgpr22
                                        ; implicit-def: $sgpr23
                                        ; implicit-def: $sgpr24
	v_lshl_add_u32 v20, v20, 3, v45
	ds_load_b64 v[48:49], v20
	ds_load_b64 v[50:51], v21
	s_wait_dscnt 0x1
	v_mad_nc_u64_u32 v[20:21], v48, s16, s[18:19]
	s_wait_dscnt 0x0
	v_mad_nc_u64_u32 v[22:23], v50, s16, s[18:19]
	s_delay_alu instid0(VALU_DEP_2) | instskip(NEXT) | instid1(VALU_DEP_2)
	v_mad_u32 v21, v49, s16, v21
	v_mad_u32 v23, v51, s16, v23
	s_delay_alu instid0(VALU_DEP_2) | instskip(NEXT) | instid1(VALU_DEP_2)
	v_mad_u32 v21, v48, s17, v21
	v_mad_u32 v23, v50, s17, v23
	s_branch .LBB9_297
.LBB9_296:                              ;   in Loop: Header=BB9_297 Depth=2
	s_or_b32 exec_lo, exec_lo, s25
	s_delay_alu instid0(SALU_CYCLE_1) | instskip(NEXT) | instid1(SALU_CYCLE_1)
	s_and_b32 s25, exec_lo, s22
	s_or_b32 s15, s25, s15
	s_and_not1_b32 s24, s24, exec_lo
	s_and_b32 s0, s0, exec_lo
	s_and_not1_b32 s14, s14, exec_lo
	s_and_b32 s25, s23, exec_lo
	s_or_b32 s24, s24, s0
	s_or_b32 s14, s14, s25
	s_and_not1_b32 exec_lo, exec_lo, s15
	s_cbranch_execz .LBB9_292
.LBB9_297:                              ;   Parent Loop BB9_294 Depth=1
                                        ; =>  This Inner Loop Header: Depth=2
	global_load_u8 v47, v[20:21], off
	global_load_u8 v48, v[22:23], off
	s_and_not1_b32 s23, s23, exec_lo
	s_or_b32 s22, s22, exec_lo
	s_wait_loadcnt 0x1
	v_and_b32_e32 v47, 0xff, v47
	s_wait_loadcnt 0x0
	v_and_b32_e32 v48, 0xff, v48
	s_delay_alu instid0(VALU_DEP_1) | instskip(SKIP_2) | instid1(SALU_CYCLE_1)
	v_cmp_le_u16_e32 vcc_lo, v47, v48
	v_cmp_lt_u16_e64 s0, v47, v48
	s_and_b32 s25, vcc_lo, s24
	s_or_b32 s0, s0, s25
	s_delay_alu instid0(SALU_CYCLE_1) | instskip(NEXT) | instid1(SALU_CYCLE_1)
	s_and_b32 s25, s0, exec_lo
	s_or_b32 s23, s23, s25
	s_mov_b32 s25, exec_lo
	v_cmpx_eq_u16_e64 v47, v48
	s_cbranch_execz .LBB9_296
; %bb.298:                              ;   in Loop: Header=BB9_297 Depth=2
	s_add_nc_u64 s[6:7], s[6:7], -1
	v_add_nc_u64_e32 v[20:21], 1, v[20:21]
	s_cmp_eq_u64 s[6:7], 0
	v_add_nc_u64_e32 v[22:23], 1, v[22:23]
	s_cselect_b32 s24, -1, 0
	s_and_not1_b32 s22, s22, exec_lo
	s_and_b32 s24, s24, exec_lo
	s_and_not1_b32 s23, s23, exec_lo
	s_or_b32 s22, s22, s24
                                        ; implicit-def: $sgpr24
	s_branch .LBB9_296
.LBB9_299:
	s_or_b32 exec_lo, exec_lo, s5
.LBB9_300:
	s_delay_alu instid0(SALU_CYCLE_1) | instskip(SKIP_1) | instid1(VALU_DEP_1)
	s_or_b32 exec_lo, exec_lo, s1
	v_add_nc_u32_e32 v21, v24, v43
	v_dual_add_nc_u32 v20, v40, v42 :: v_dual_sub_nc_u32 v21, v21, v40
	s_delay_alu instid0(VALU_DEP_1) | instskip(NEXT) | instid1(VALU_DEP_2)
	v_cmp_le_u32_e32 vcc_lo, v20, v24
	v_cmp_le_u32_e64 s0, v21, v25
	s_or_b32 s0, vcc_lo, s0
	s_delay_alu instid0(SALU_CYCLE_1)
	s_and_saveexec_b32 s1, s0
	s_cbranch_execz .LBB9_391
; %bb.301:
	s_mov_b32 s5, exec_lo
	v_cmp_ge_u32_e32 vcc_lo, v20, v24
                                        ; implicit-def: $vgpr2_vgpr3
	v_cmpx_lt_u32_e64 v20, v24
; %bb.302:
	v_lshl_add_u32 v2, v40, 3, v41
	ds_load_b64 v[2:3], v2
; %bb.303:
	s_or_b32 exec_lo, exec_lo, s5
	v_cmp_ge_u32_e64 s5, v21, v25
	s_mov_b32 s6, exec_lo
                                        ; implicit-def: $vgpr4_vgpr5
	v_cmpx_lt_u32_e64 v21, v25
; %bb.304:
	v_lshl_add_u32 v4, v21, 3, v36
	ds_load_b64 v[4:5], v4
; %bb.305:
	s_or_b32 exec_lo, exec_lo, s6
	s_nor_b32 s0, vcc_lo, s5
	s_delay_alu instid0(SALU_CYCLE_1)
	s_and_saveexec_b32 s14, s0
	s_cbranch_execz .LBB9_314
; %bb.306:
	v_cmp_ne_u32_e32 vcc_lo, 1, v35
	s_cbranch_vccnz .LBB9_312
; %bb.307:
	s_wait_dscnt 0x0
	v_mad_nc_u64_u32 v[6:7], v4, s16, s[18:19]
	v_mad_nc_u64_u32 v[8:9], v2, s16, s[18:19]
	s_mov_b32 s15, 0
	s_mov_b64 s[6:7], s[16:17]
                                        ; implicit-def: $sgpr22
                                        ; implicit-def: $sgpr23
                                        ; implicit-def: $sgpr24
                                        ; implicit-def: $sgpr25
	s_delay_alu instid0(VALU_DEP_2) | instskip(NEXT) | instid1(VALU_DEP_2)
	v_mad_u32 v7, v5, s16, v7
	v_mad_u32 v9, v3, s16, v9
	s_delay_alu instid0(VALU_DEP_2) | instskip(NEXT) | instid1(VALU_DEP_2)
	v_mad_u32 v7, v4, s17, v7
	v_mad_u32 v9, v2, s17, v9
	s_branch .LBB9_309
.LBB9_308:                              ;   in Loop: Header=BB9_309 Depth=1
	s_or_b32 exec_lo, exec_lo, s26
	s_delay_alu instid0(SALU_CYCLE_1) | instskip(NEXT) | instid1(SALU_CYCLE_1)
	s_and_b32 s26, exec_lo, s23
	s_or_b32 s15, s26, s15
	s_and_not1_b32 s25, s25, exec_lo
	s_and_b32 s0, s0, exec_lo
	s_and_not1_b32 s22, s22, exec_lo
	s_and_b32 s26, s24, exec_lo
	s_or_b32 s25, s25, s0
	s_or_b32 s22, s22, s26
	s_and_not1_b32 exec_lo, exec_lo, s15
	s_cbranch_execz .LBB9_311
.LBB9_309:                              ; =>This Inner Loop Header: Depth=1
	global_load_u8 v10, v[6:7], off
	global_load_u8 v11, v[8:9], off
	s_and_not1_b32 s24, s24, exec_lo
	s_or_b32 s23, s23, exec_lo
	s_wait_loadcnt 0x1
	v_and_b32_e32 v10, 0xff, v10
	s_wait_loadcnt 0x0
	v_and_b32_e32 v11, 0xff, v11
	s_delay_alu instid0(VALU_DEP_1) | instskip(SKIP_2) | instid1(SALU_CYCLE_1)
	v_cmp_le_u16_e32 vcc_lo, v10, v11
	v_cmp_lt_u16_e64 s0, v10, v11
	s_and_b32 s26, vcc_lo, s25
	s_or_b32 s0, s0, s26
	s_delay_alu instid0(SALU_CYCLE_1) | instskip(NEXT) | instid1(SALU_CYCLE_1)
	s_and_b32 s26, s0, exec_lo
	s_or_b32 s24, s24, s26
	s_mov_b32 s26, exec_lo
	v_cmpx_eq_u16_e64 v10, v11
	s_cbranch_execz .LBB9_308
; %bb.310:                              ;   in Loop: Header=BB9_309 Depth=1
	s_add_nc_u64 s[6:7], s[6:7], -1
	v_add_nc_u64_e32 v[6:7], 1, v[6:7]
	s_cmp_eq_u64 s[6:7], 0
	v_add_nc_u64_e32 v[8:9], 1, v[8:9]
	s_cselect_b32 s25, -1, 0
	s_and_not1_b32 s23, s23, exec_lo
	s_and_b32 s25, s25, exec_lo
	s_and_not1_b32 s24, s24, exec_lo
	s_or_b32 s23, s23, s25
                                        ; implicit-def: $sgpr25
	s_branch .LBB9_308
.LBB9_311:
	s_or_b32 exec_lo, exec_lo, s15
	s_xor_b32 s0, s22, -1
	s_branch .LBB9_313
.LBB9_312:
	s_mov_b32 s0, -1
.LBB9_313:
	s_and_not1_b32 s5, s5, exec_lo
	s_and_b32 s0, s0, exec_lo
	s_delay_alu instid0(SALU_CYCLE_1)
	s_or_b32 s5, s5, s0
.LBB9_314:
	s_or_b32 exec_lo, exec_lo, s14
	v_cndmask_b32_e64 v6, v21, v20, s5
	v_cndmask_b32_e64 v7, v25, v24, s5
	s_mov_b32 s15, -1
	s_mov_b32 s14, -1
	s_mov_b32 s22, exec_lo
	v_add_nc_u32_e32 v8, 1, v6
	s_delay_alu instid0(VALU_DEP_1) | instskip(SKIP_1) | instid1(VALU_DEP_2)
	v_add_min_u32_e64 v6, v7, -1, v8
	v_cndmask_b32_e64 v10, v8, v21, s5
	v_lshl_add_u32 v6, v6, 3, v36
	ds_load_b64 v[6:7], v6
	s_wait_dscnt 0x0
	v_dual_cndmask_b32 v11, v20, v8, s5 :: v_dual_cndmask_b32 v14, v7, v5, s5
	v_dual_cndmask_b32 v15, v6, v4, s5 :: v_dual_cndmask_b32 v16, v3, v7, s5
	v_cndmask_b32_e64 v22, v2, v6, s5
	v_cmpx_lt_u32_e64 v10, v25
	s_cbranch_execz .LBB9_325
; %bb.315:
	s_mov_b32 s0, 0
	s_mov_b32 s14, exec_lo
	v_cmpx_lt_u32_e64 v11, v24
	s_cbranch_execz .LBB9_324
; %bb.316:
	v_cmp_ne_u32_e32 vcc_lo, 1, v35
	s_cbranch_vccnz .LBB9_322
; %bb.317:
	v_mad_nc_u64_u32 v[6:7], v15, s16, s[18:19]
	v_mad_nc_u64_u32 v[8:9], v22, s16, s[18:19]
	s_mov_b32 s23, 0
	s_mov_b64 s[6:7], s[16:17]
                                        ; implicit-def: $sgpr24
                                        ; implicit-def: $sgpr25
                                        ; implicit-def: $sgpr26
                                        ; implicit-def: $sgpr27
	s_delay_alu instid0(VALU_DEP_2) | instskip(NEXT) | instid1(VALU_DEP_2)
	v_mad_u32 v7, v14, s16, v7
	v_mad_u32 v9, v16, s16, v9
	s_delay_alu instid0(VALU_DEP_2) | instskip(NEXT) | instid1(VALU_DEP_2)
	v_mad_u32 v7, v15, s17, v7
	v_mad_u32 v9, v22, s17, v9
	s_branch .LBB9_319
.LBB9_318:                              ;   in Loop: Header=BB9_319 Depth=1
	s_or_b32 exec_lo, exec_lo, s28
	s_delay_alu instid0(SALU_CYCLE_1) | instskip(NEXT) | instid1(SALU_CYCLE_1)
	s_and_b32 s28, exec_lo, s25
	s_or_b32 s23, s28, s23
	s_and_not1_b32 s27, s27, exec_lo
	s_and_b32 s0, s0, exec_lo
	s_and_not1_b32 s24, s24, exec_lo
	s_and_b32 s28, s26, exec_lo
	s_or_b32 s27, s27, s0
	s_or_b32 s24, s24, s28
	s_and_not1_b32 exec_lo, exec_lo, s23
	s_cbranch_execz .LBB9_321
.LBB9_319:                              ; =>This Inner Loop Header: Depth=1
	global_load_u8 v12, v[6:7], off
	global_load_u8 v13, v[8:9], off
	s_and_not1_b32 s26, s26, exec_lo
	s_or_b32 s25, s25, exec_lo
	s_wait_loadcnt 0x1
	v_and_b32_e32 v12, 0xff, v12
	s_wait_loadcnt 0x0
	v_and_b32_e32 v13, 0xff, v13
	s_delay_alu instid0(VALU_DEP_1) | instskip(SKIP_2) | instid1(SALU_CYCLE_1)
	v_cmp_le_u16_e32 vcc_lo, v12, v13
	v_cmp_lt_u16_e64 s0, v12, v13
	s_and_b32 s28, vcc_lo, s27
	s_or_b32 s0, s0, s28
	s_delay_alu instid0(SALU_CYCLE_1) | instskip(NEXT) | instid1(SALU_CYCLE_1)
	s_and_b32 s28, s0, exec_lo
	s_or_b32 s26, s26, s28
	s_mov_b32 s28, exec_lo
	v_cmpx_eq_u16_e64 v12, v13
	s_cbranch_execz .LBB9_318
; %bb.320:                              ;   in Loop: Header=BB9_319 Depth=1
	s_add_nc_u64 s[6:7], s[6:7], -1
	v_add_nc_u64_e32 v[6:7], 1, v[6:7]
	s_cmp_eq_u64 s[6:7], 0
	v_add_nc_u64_e32 v[8:9], 1, v[8:9]
	s_cselect_b32 s27, -1, 0
	s_and_not1_b32 s25, s25, exec_lo
	s_and_b32 s27, s27, exec_lo
	s_and_not1_b32 s26, s26, exec_lo
	s_or_b32 s25, s25, s27
                                        ; implicit-def: $sgpr27
	s_branch .LBB9_318
.LBB9_321:
	s_or_b32 exec_lo, exec_lo, s23
	s_xor_b32 s0, s24, -1
	s_branch .LBB9_323
.LBB9_322:
	s_mov_b32 s0, -1
.LBB9_323:
	s_delay_alu instid0(SALU_CYCLE_1)
	s_and_b32 s0, s0, exec_lo
.LBB9_324:
	s_or_b32 exec_lo, exec_lo, s14
	s_delay_alu instid0(SALU_CYCLE_1)
	s_or_not1_b32 s14, s0, exec_lo
.LBB9_325:
	s_or_b32 exec_lo, exec_lo, s22
	v_dual_cndmask_b32 v6, v10, v11, s14 :: v_dual_cndmask_b32 v7, v25, v24, s14
	s_mov_b32 s22, exec_lo
	s_delay_alu instid0(VALU_DEP_1) | instskip(NEXT) | instid1(VALU_DEP_1)
	v_add_nc_u32_e32 v8, 1, v6
	v_add_min_u32_e64 v6, v7, -1, v8
	s_delay_alu instid0(VALU_DEP_1)
	v_lshl_add_u32 v6, v6, 3, v36
	ds_load_b64 v[6:7], v6
	s_wait_dscnt 0x0
	v_dual_cndmask_b32 v17, v6, v15, s14 :: v_dual_cndmask_b32 v12, v8, v10, s14
	v_cndmask_b32_e64 v13, v11, v8, s14
	v_dual_cndmask_b32 v10, v7, v14, s14 :: v_dual_cndmask_b32 v11, v16, v7, s14
	v_cndmask_b32_e64 v23, v22, v6, s14
	s_delay_alu instid0(VALU_DEP_4)
	v_cmpx_lt_u32_e64 v12, v25
	s_cbranch_execz .LBB9_336
; %bb.326:
	s_mov_b32 s0, 0
	s_mov_b32 s15, exec_lo
	v_cmpx_lt_u32_e64 v13, v24
	s_cbranch_execz .LBB9_335
; %bb.327:
	v_cmp_ne_u32_e32 vcc_lo, 1, v35
	s_cbranch_vccnz .LBB9_333
; %bb.328:
	v_mad_nc_u64_u32 v[6:7], v17, s16, s[18:19]
	v_mad_nc_u64_u32 v[8:9], v23, s16, s[18:19]
	s_mov_b32 s23, 0
	s_mov_b64 s[6:7], s[16:17]
                                        ; implicit-def: $sgpr24
                                        ; implicit-def: $sgpr25
                                        ; implicit-def: $sgpr26
                                        ; implicit-def: $sgpr27
	s_delay_alu instid0(VALU_DEP_2) | instskip(NEXT) | instid1(VALU_DEP_2)
	v_mad_u32 v7, v10, s16, v7
	v_mad_u32 v9, v11, s16, v9
	s_delay_alu instid0(VALU_DEP_2) | instskip(NEXT) | instid1(VALU_DEP_2)
	v_mad_u32 v7, v17, s17, v7
	v_mad_u32 v9, v23, s17, v9
	s_branch .LBB9_330
.LBB9_329:                              ;   in Loop: Header=BB9_330 Depth=1
	s_or_b32 exec_lo, exec_lo, s28
	s_delay_alu instid0(SALU_CYCLE_1) | instskip(NEXT) | instid1(SALU_CYCLE_1)
	s_and_b32 s28, exec_lo, s25
	s_or_b32 s23, s28, s23
	s_and_not1_b32 s27, s27, exec_lo
	s_and_b32 s0, s0, exec_lo
	s_and_not1_b32 s24, s24, exec_lo
	s_and_b32 s28, s26, exec_lo
	s_or_b32 s27, s27, s0
	s_or_b32 s24, s24, s28
	s_and_not1_b32 exec_lo, exec_lo, s23
	s_cbranch_execz .LBB9_332
.LBB9_330:                              ; =>This Inner Loop Header: Depth=1
	global_load_u8 v20, v[6:7], off
	global_load_u8 v21, v[8:9], off
	s_and_not1_b32 s26, s26, exec_lo
	s_or_b32 s25, s25, exec_lo
	s_wait_loadcnt 0x1
	v_and_b32_e32 v20, 0xff, v20
	s_wait_loadcnt 0x0
	v_and_b32_e32 v21, 0xff, v21
	s_delay_alu instid0(VALU_DEP_1) | instskip(SKIP_2) | instid1(SALU_CYCLE_1)
	v_cmp_le_u16_e32 vcc_lo, v20, v21
	v_cmp_lt_u16_e64 s0, v20, v21
	s_and_b32 s28, vcc_lo, s27
	s_or_b32 s0, s0, s28
	s_delay_alu instid0(SALU_CYCLE_1) | instskip(NEXT) | instid1(SALU_CYCLE_1)
	s_and_b32 s28, s0, exec_lo
	s_or_b32 s26, s26, s28
	s_mov_b32 s28, exec_lo
	v_cmpx_eq_u16_e64 v20, v21
	s_cbranch_execz .LBB9_329
; %bb.331:                              ;   in Loop: Header=BB9_330 Depth=1
	s_add_nc_u64 s[6:7], s[6:7], -1
	v_add_nc_u64_e32 v[6:7], 1, v[6:7]
	s_cmp_eq_u64 s[6:7], 0
	v_add_nc_u64_e32 v[8:9], 1, v[8:9]
	s_cselect_b32 s27, -1, 0
	s_and_not1_b32 s25, s25, exec_lo
	s_and_b32 s27, s27, exec_lo
	s_and_not1_b32 s26, s26, exec_lo
	s_or_b32 s25, s25, s27
                                        ; implicit-def: $sgpr27
	s_branch .LBB9_329
.LBB9_332:
	s_or_b32 exec_lo, exec_lo, s23
	s_xor_b32 s0, s24, -1
	s_branch .LBB9_334
.LBB9_333:
	s_mov_b32 s0, -1
.LBB9_334:
	s_delay_alu instid0(SALU_CYCLE_1)
	s_and_b32 s0, s0, exec_lo
.LBB9_335:
	s_or_b32 exec_lo, exec_lo, s15
	s_delay_alu instid0(SALU_CYCLE_1)
	s_or_not1_b32 s15, s0, exec_lo
.LBB9_336:
	s_or_b32 exec_lo, exec_lo, s22
	v_dual_cndmask_b32 v6, v12, v13, s15 :: v_dual_cndmask_b32 v7, v25, v24, s15
	s_mov_b32 s23, -1
	s_mov_b32 s22, -1
	s_mov_b32 s24, exec_lo
	s_delay_alu instid0(VALU_DEP_1) | instskip(NEXT) | instid1(VALU_DEP_1)
	v_add_nc_u32_e32 v8, 1, v6
	v_add_min_u32_e64 v6, v7, -1, v8
	s_delay_alu instid0(VALU_DEP_1)
	v_lshl_add_u32 v6, v6, 3, v36
	ds_load_b64 v[6:7], v6
	s_wait_dscnt 0x0
	v_dual_cndmask_b32 v40, v6, v17, s15 :: v_dual_cndmask_b32 v20, v8, v12, s15
	v_dual_cndmask_b32 v12, v7, v10, s15 :: v_dual_cndmask_b32 v21, v13, v8, s15
	v_cndmask_b32_e64 v13, v11, v7, s15
	v_cndmask_b32_e64 v41, v23, v6, s15
	s_delay_alu instid0(VALU_DEP_4)
	v_cmpx_lt_u32_e64 v20, v25
	s_cbranch_execz .LBB9_347
; %bb.337:
	s_mov_b32 s0, 0
	s_mov_b32 s22, exec_lo
	v_cmpx_lt_u32_e64 v21, v24
	s_cbranch_execz .LBB9_346
; %bb.338:
	v_cmp_ne_u32_e32 vcc_lo, 1, v35
	s_cbranch_vccnz .LBB9_344
; %bb.339:
	v_mad_nc_u64_u32 v[6:7], v40, s16, s[18:19]
	v_mad_nc_u64_u32 v[8:9], v41, s16, s[18:19]
	s_mov_b32 s25, 0
	s_mov_b64 s[6:7], s[16:17]
                                        ; implicit-def: $sgpr26
                                        ; implicit-def: $sgpr27
                                        ; implicit-def: $sgpr28
                                        ; implicit-def: $sgpr29
	s_delay_alu instid0(VALU_DEP_2) | instskip(NEXT) | instid1(VALU_DEP_2)
	v_mad_u32 v7, v12, s16, v7
	v_mad_u32 v9, v13, s16, v9
	s_delay_alu instid0(VALU_DEP_2) | instskip(NEXT) | instid1(VALU_DEP_2)
	v_mad_u32 v7, v40, s17, v7
	v_mad_u32 v9, v41, s17, v9
	s_branch .LBB9_341
.LBB9_340:                              ;   in Loop: Header=BB9_341 Depth=1
	s_or_b32 exec_lo, exec_lo, s30
	s_delay_alu instid0(SALU_CYCLE_1) | instskip(NEXT) | instid1(SALU_CYCLE_1)
	s_and_b32 s30, exec_lo, s27
	s_or_b32 s25, s30, s25
	s_and_not1_b32 s29, s29, exec_lo
	s_and_b32 s0, s0, exec_lo
	s_and_not1_b32 s26, s26, exec_lo
	s_and_b32 s30, s28, exec_lo
	s_or_b32 s29, s29, s0
	s_or_b32 s26, s26, s30
	s_and_not1_b32 exec_lo, exec_lo, s25
	s_cbranch_execz .LBB9_343
.LBB9_341:                              ; =>This Inner Loop Header: Depth=1
	global_load_u8 v42, v[6:7], off
	global_load_u8 v43, v[8:9], off
	s_and_not1_b32 s28, s28, exec_lo
	s_or_b32 s27, s27, exec_lo
	s_wait_loadcnt 0x1
	v_and_b32_e32 v42, 0xff, v42
	s_wait_loadcnt 0x0
	v_and_b32_e32 v43, 0xff, v43
	s_delay_alu instid0(VALU_DEP_1) | instskip(SKIP_2) | instid1(SALU_CYCLE_1)
	v_cmp_le_u16_e32 vcc_lo, v42, v43
	v_cmp_lt_u16_e64 s0, v42, v43
	s_and_b32 s30, vcc_lo, s29
	s_or_b32 s0, s0, s30
	s_delay_alu instid0(SALU_CYCLE_1) | instskip(NEXT) | instid1(SALU_CYCLE_1)
	s_and_b32 s30, s0, exec_lo
	s_or_b32 s28, s28, s30
	s_mov_b32 s30, exec_lo
	v_cmpx_eq_u16_e64 v42, v43
	s_cbranch_execz .LBB9_340
; %bb.342:                              ;   in Loop: Header=BB9_341 Depth=1
	s_add_nc_u64 s[6:7], s[6:7], -1
	v_add_nc_u64_e32 v[6:7], 1, v[6:7]
	s_cmp_eq_u64 s[6:7], 0
	v_add_nc_u64_e32 v[8:9], 1, v[8:9]
	s_cselect_b32 s29, -1, 0
	s_and_not1_b32 s27, s27, exec_lo
	s_and_b32 s29, s29, exec_lo
	s_and_not1_b32 s28, s28, exec_lo
	s_or_b32 s27, s27, s29
                                        ; implicit-def: $sgpr29
	s_branch .LBB9_340
.LBB9_343:
	s_or_b32 exec_lo, exec_lo, s25
	s_xor_b32 s0, s26, -1
	s_branch .LBB9_345
.LBB9_344:
	s_mov_b32 s0, -1
.LBB9_345:
	s_delay_alu instid0(SALU_CYCLE_1)
	s_and_b32 s0, s0, exec_lo
.LBB9_346:
	s_or_b32 exec_lo, exec_lo, s22
	s_delay_alu instid0(SALU_CYCLE_1)
	s_or_not1_b32 s22, s0, exec_lo
.LBB9_347:
	s_or_b32 exec_lo, exec_lo, s24
	v_dual_cndmask_b32 v6, v20, v21, s22 :: v_dual_cndmask_b32 v7, v25, v24, s22
	s_mov_b32 s24, exec_lo
	s_delay_alu instid0(VALU_DEP_1) | instskip(NEXT) | instid1(VALU_DEP_1)
	v_add_nc_u32_e32 v8, 1, v6
	v_add_min_u32_e64 v6, v7, -1, v8
	s_delay_alu instid0(VALU_DEP_1)
	v_lshl_add_u32 v6, v6, 3, v36
	ds_load_b64 v[6:7], v6
	s_wait_dscnt 0x0
	v_cndmask_b32_e64 v42, v7, v12, s22
	v_dual_cndmask_b32 v20, v8, v20, s22 :: v_dual_cndmask_b32 v44, v13, v7, s22
	v_cndmask_b32_e64 v21, v21, v8, s22
	v_dual_cndmask_b32 v43, v6, v40, s22 :: v_dual_cndmask_b32 v45, v41, v6, s22
	s_delay_alu instid0(VALU_DEP_3)
	v_cmpx_lt_u32_e64 v20, v25
	s_cbranch_execz .LBB9_358
; %bb.348:
	s_mov_b32 s0, 0
	s_mov_b32 s23, exec_lo
	v_cmpx_lt_u32_e64 v21, v24
	s_cbranch_execz .LBB9_357
; %bb.349:
	v_cmp_ne_u32_e32 vcc_lo, 1, v35
	s_cbranch_vccnz .LBB9_355
; %bb.350:
	v_mad_nc_u64_u32 v[6:7], v43, s16, s[18:19]
	v_mad_nc_u64_u32 v[8:9], v45, s16, s[18:19]
	s_mov_b32 s25, 0
	s_mov_b64 s[6:7], s[16:17]
                                        ; implicit-def: $sgpr26
                                        ; implicit-def: $sgpr27
                                        ; implicit-def: $sgpr28
                                        ; implicit-def: $sgpr29
	s_delay_alu instid0(VALU_DEP_2) | instskip(NEXT) | instid1(VALU_DEP_2)
	v_mad_u32 v7, v42, s16, v7
	v_mad_u32 v9, v44, s16, v9
	s_delay_alu instid0(VALU_DEP_2) | instskip(NEXT) | instid1(VALU_DEP_2)
	v_mad_u32 v7, v43, s17, v7
	v_mad_u32 v9, v45, s17, v9
	s_branch .LBB9_352
.LBB9_351:                              ;   in Loop: Header=BB9_352 Depth=1
	s_or_b32 exec_lo, exec_lo, s30
	s_delay_alu instid0(SALU_CYCLE_1) | instskip(NEXT) | instid1(SALU_CYCLE_1)
	s_and_b32 s30, exec_lo, s27
	s_or_b32 s25, s30, s25
	s_and_not1_b32 s29, s29, exec_lo
	s_and_b32 s0, s0, exec_lo
	s_and_not1_b32 s26, s26, exec_lo
	s_and_b32 s30, s28, exec_lo
	s_or_b32 s29, s29, s0
	s_or_b32 s26, s26, s30
	s_and_not1_b32 exec_lo, exec_lo, s25
	s_cbranch_execz .LBB9_354
.LBB9_352:                              ; =>This Inner Loop Header: Depth=1
	global_load_u8 v46, v[6:7], off
	global_load_u8 v47, v[8:9], off
	s_and_not1_b32 s28, s28, exec_lo
	s_or_b32 s27, s27, exec_lo
	s_wait_loadcnt 0x1
	v_and_b32_e32 v46, 0xff, v46
	s_wait_loadcnt 0x0
	v_and_b32_e32 v47, 0xff, v47
	s_delay_alu instid0(VALU_DEP_1) | instskip(SKIP_2) | instid1(SALU_CYCLE_1)
	v_cmp_le_u16_e32 vcc_lo, v46, v47
	v_cmp_lt_u16_e64 s0, v46, v47
	s_and_b32 s30, vcc_lo, s29
	s_or_b32 s0, s0, s30
	s_delay_alu instid0(SALU_CYCLE_1) | instskip(NEXT) | instid1(SALU_CYCLE_1)
	s_and_b32 s30, s0, exec_lo
	s_or_b32 s28, s28, s30
	s_mov_b32 s30, exec_lo
	v_cmpx_eq_u16_e64 v46, v47
	s_cbranch_execz .LBB9_351
; %bb.353:                              ;   in Loop: Header=BB9_352 Depth=1
	s_add_nc_u64 s[6:7], s[6:7], -1
	v_add_nc_u64_e32 v[6:7], 1, v[6:7]
	s_cmp_eq_u64 s[6:7], 0
	v_add_nc_u64_e32 v[8:9], 1, v[8:9]
	s_cselect_b32 s29, -1, 0
	s_and_not1_b32 s27, s27, exec_lo
	s_and_b32 s29, s29, exec_lo
	s_and_not1_b32 s28, s28, exec_lo
	s_or_b32 s27, s27, s29
                                        ; implicit-def: $sgpr29
	s_branch .LBB9_351
.LBB9_354:
	s_or_b32 exec_lo, exec_lo, s25
	s_xor_b32 s0, s26, -1
	s_branch .LBB9_356
.LBB9_355:
	s_mov_b32 s0, -1
.LBB9_356:
	s_delay_alu instid0(SALU_CYCLE_1)
	s_and_b32 s0, s0, exec_lo
.LBB9_357:
	s_or_b32 exec_lo, exec_lo, s23
	s_delay_alu instid0(SALU_CYCLE_1)
	s_or_not1_b32 s23, s0, exec_lo
.LBB9_358:
	s_or_b32 exec_lo, exec_lo, s24
	v_dual_cndmask_b32 v6, v20, v21, s23 :: v_dual_cndmask_b32 v7, v25, v24, s23
	s_mov_b32 s24, -1
	s_mov_b32 s25, -1
	s_mov_b32 s26, exec_lo
	s_delay_alu instid0(VALU_DEP_1) | instskip(NEXT) | instid1(VALU_DEP_1)
	v_add_nc_u32_e32 v8, 1, v6
	v_add_min_u32_e64 v6, v7, -1, v8
	s_delay_alu instid0(VALU_DEP_1)
	v_lshl_add_u32 v6, v6, 3, v36
	ds_load_b64 v[6:7], v6
	s_wait_dscnt 0x0
	v_dual_cndmask_b32 v46, v7, v42, s23 :: v_dual_cndmask_b32 v47, v6, v43, s23
	v_cndmask_b32_e64 v20, v8, v20, s23
	v_dual_cndmask_b32 v21, v21, v8, s23 :: v_dual_cndmask_b32 v48, v44, v7, s23
	v_cndmask_b32_e64 v49, v45, v6, s23
	s_delay_alu instid0(VALU_DEP_3)
	v_cmpx_lt_u32_e64 v20, v25
	s_cbranch_execz .LBB9_369
; %bb.359:
	s_mov_b32 s0, 0
	s_mov_b32 s25, exec_lo
	v_cmpx_lt_u32_e64 v21, v24
	s_cbranch_execz .LBB9_368
; %bb.360:
	v_cmp_ne_u32_e32 vcc_lo, 1, v35
	s_cbranch_vccnz .LBB9_366
; %bb.361:
	v_mad_nc_u64_u32 v[6:7], v47, s16, s[18:19]
	v_mad_nc_u64_u32 v[8:9], v49, s16, s[18:19]
	s_mov_b32 s27, 0
	s_mov_b64 s[6:7], s[16:17]
                                        ; implicit-def: $sgpr28
                                        ; implicit-def: $sgpr29
                                        ; implicit-def: $sgpr30
                                        ; implicit-def: $sgpr31
	s_delay_alu instid0(VALU_DEP_2) | instskip(NEXT) | instid1(VALU_DEP_2)
	v_mad_u32 v7, v46, s16, v7
	v_mad_u32 v9, v48, s16, v9
	s_delay_alu instid0(VALU_DEP_2) | instskip(NEXT) | instid1(VALU_DEP_2)
	v_mad_u32 v7, v47, s17, v7
	v_mad_u32 v9, v49, s17, v9
	s_branch .LBB9_363
.LBB9_362:                              ;   in Loop: Header=BB9_363 Depth=1
	s_or_b32 exec_lo, exec_lo, s33
	s_delay_alu instid0(SALU_CYCLE_1) | instskip(NEXT) | instid1(SALU_CYCLE_1)
	s_and_b32 s33, exec_lo, s29
	s_or_b32 s27, s33, s27
	s_and_not1_b32 s31, s31, exec_lo
	s_and_b32 s0, s0, exec_lo
	s_and_not1_b32 s28, s28, exec_lo
	s_and_b32 s33, s30, exec_lo
	s_or_b32 s31, s31, s0
	s_or_b32 s28, s28, s33
	s_and_not1_b32 exec_lo, exec_lo, s27
	s_cbranch_execz .LBB9_365
.LBB9_363:                              ; =>This Inner Loop Header: Depth=1
	global_load_u8 v50, v[6:7], off
	global_load_u8 v51, v[8:9], off
	s_and_not1_b32 s30, s30, exec_lo
	s_or_b32 s29, s29, exec_lo
	s_wait_loadcnt 0x1
	v_and_b32_e32 v50, 0xff, v50
	s_wait_loadcnt 0x0
	v_and_b32_e32 v51, 0xff, v51
	s_delay_alu instid0(VALU_DEP_1) | instskip(SKIP_2) | instid1(SALU_CYCLE_1)
	v_cmp_le_u16_e32 vcc_lo, v50, v51
	v_cmp_lt_u16_e64 s0, v50, v51
	s_and_b32 s33, vcc_lo, s31
	s_or_b32 s0, s0, s33
	s_delay_alu instid0(SALU_CYCLE_1) | instskip(NEXT) | instid1(SALU_CYCLE_1)
	s_and_b32 s33, s0, exec_lo
	s_or_b32 s30, s30, s33
	s_mov_b32 s33, exec_lo
	v_cmpx_eq_u16_e64 v50, v51
	s_cbranch_execz .LBB9_362
; %bb.364:                              ;   in Loop: Header=BB9_363 Depth=1
	s_add_nc_u64 s[6:7], s[6:7], -1
	v_add_nc_u64_e32 v[6:7], 1, v[6:7]
	s_cmp_eq_u64 s[6:7], 0
	v_add_nc_u64_e32 v[8:9], 1, v[8:9]
	s_cselect_b32 s31, -1, 0
	s_and_not1_b32 s29, s29, exec_lo
	s_and_b32 s31, s31, exec_lo
	s_and_not1_b32 s30, s30, exec_lo
	s_or_b32 s29, s29, s31
                                        ; implicit-def: $sgpr31
	s_branch .LBB9_362
.LBB9_365:
	s_or_b32 exec_lo, exec_lo, s27
	s_xor_b32 s0, s28, -1
	s_branch .LBB9_367
.LBB9_366:
	s_mov_b32 s0, -1
.LBB9_367:
	s_delay_alu instid0(SALU_CYCLE_1)
	s_and_b32 s0, s0, exec_lo
.LBB9_368:
	s_or_b32 exec_lo, exec_lo, s25
	s_delay_alu instid0(SALU_CYCLE_1)
	s_or_not1_b32 s25, s0, exec_lo
.LBB9_369:
	s_or_b32 exec_lo, exec_lo, s26
	v_dual_cndmask_b32 v6, v20, v21, s25 :: v_dual_cndmask_b32 v7, v25, v24, s25
	s_mov_b32 s26, exec_lo
	s_delay_alu instid0(VALU_DEP_1) | instskip(NEXT) | instid1(VALU_DEP_1)
	v_add_nc_u32_e32 v8, 1, v6
	v_add_min_u32_e64 v6, v7, -1, v8
	s_delay_alu instid0(VALU_DEP_1)
	v_lshl_add_u32 v6, v6, 3, v36
	ds_load_b64 v[6:7], v6
	s_wait_dscnt 0x0
	v_dual_cndmask_b32 v51, v7, v46, s25 :: v_dual_cndmask_b32 v52, v6, v47, s25
	v_cndmask_b32_e64 v53, v8, v20, s25
	v_dual_cndmask_b32 v50, v21, v8, s25 :: v_dual_cndmask_b32 v54, v48, v7, s25
	v_cndmask_b32_e64 v55, v49, v6, s25
	s_delay_alu instid0(VALU_DEP_3)
	v_cmpx_lt_u32_e64 v53, v25
	s_cbranch_execz .LBB9_380
; %bb.370:
	s_mov_b32 s0, 0
	s_mov_b32 s24, exec_lo
	v_cmpx_lt_u32_e64 v50, v24
	s_cbranch_execz .LBB9_379
; %bb.371:
	v_cmp_ne_u32_e32 vcc_lo, 1, v35
	s_cbranch_vccnz .LBB9_377
; %bb.372:
	v_mad_nc_u64_u32 v[6:7], v52, s16, s[18:19]
	v_mad_nc_u64_u32 v[8:9], v55, s16, s[18:19]
	s_mov_b32 s27, 0
	s_mov_b64 s[6:7], s[16:17]
                                        ; implicit-def: $sgpr28
                                        ; implicit-def: $sgpr29
                                        ; implicit-def: $sgpr30
                                        ; implicit-def: $sgpr31
	s_delay_alu instid0(VALU_DEP_2) | instskip(NEXT) | instid1(VALU_DEP_2)
	v_mad_u32 v7, v51, s16, v7
	v_mad_u32 v9, v54, s16, v9
	s_delay_alu instid0(VALU_DEP_2) | instskip(NEXT) | instid1(VALU_DEP_2)
	v_mad_u32 v7, v52, s17, v7
	v_mad_u32 v9, v55, s17, v9
	s_branch .LBB9_374
.LBB9_373:                              ;   in Loop: Header=BB9_374 Depth=1
	s_or_b32 exec_lo, exec_lo, s33
	s_delay_alu instid0(SALU_CYCLE_1) | instskip(NEXT) | instid1(SALU_CYCLE_1)
	s_and_b32 s33, exec_lo, s29
	s_or_b32 s27, s33, s27
	s_and_not1_b32 s31, s31, exec_lo
	s_and_b32 s0, s0, exec_lo
	s_and_not1_b32 s28, s28, exec_lo
	s_and_b32 s33, s30, exec_lo
	s_or_b32 s31, s31, s0
	s_or_b32 s28, s28, s33
	s_and_not1_b32 exec_lo, exec_lo, s27
	s_cbranch_execz .LBB9_376
.LBB9_374:                              ; =>This Inner Loop Header: Depth=1
	global_load_u8 v20, v[6:7], off
	global_load_u8 v21, v[8:9], off
	s_and_not1_b32 s30, s30, exec_lo
	s_or_b32 s29, s29, exec_lo
	s_wait_loadcnt 0x1
	v_and_b32_e32 v20, 0xff, v20
	s_wait_loadcnt 0x0
	v_and_b32_e32 v21, 0xff, v21
	s_delay_alu instid0(VALU_DEP_1) | instskip(SKIP_2) | instid1(SALU_CYCLE_1)
	v_cmp_le_u16_e32 vcc_lo, v20, v21
	v_cmp_lt_u16_e64 s0, v20, v21
	s_and_b32 s33, vcc_lo, s31
	s_or_b32 s0, s0, s33
	s_delay_alu instid0(SALU_CYCLE_1) | instskip(NEXT) | instid1(SALU_CYCLE_1)
	s_and_b32 s33, s0, exec_lo
	s_or_b32 s30, s30, s33
	s_mov_b32 s33, exec_lo
	v_cmpx_eq_u16_e64 v20, v21
	s_cbranch_execz .LBB9_373
; %bb.375:                              ;   in Loop: Header=BB9_374 Depth=1
	s_add_nc_u64 s[6:7], s[6:7], -1
	v_add_nc_u64_e32 v[6:7], 1, v[6:7]
	s_cmp_eq_u64 s[6:7], 0
	v_add_nc_u64_e32 v[8:9], 1, v[8:9]
	s_cselect_b32 s31, -1, 0
	s_and_not1_b32 s29, s29, exec_lo
	s_and_b32 s31, s31, exec_lo
	s_and_not1_b32 s30, s30, exec_lo
	s_or_b32 s29, s29, s31
                                        ; implicit-def: $sgpr31
	s_branch .LBB9_373
.LBB9_376:
	s_or_b32 exec_lo, exec_lo, s27
	s_xor_b32 s0, s28, -1
	s_branch .LBB9_378
.LBB9_377:
	s_mov_b32 s0, -1
.LBB9_378:
	s_delay_alu instid0(SALU_CYCLE_1)
	s_and_b32 s0, s0, exec_lo
.LBB9_379:
	s_or_b32 exec_lo, exec_lo, s24
	s_delay_alu instid0(SALU_CYCLE_1)
	s_or_not1_b32 s24, s0, exec_lo
.LBB9_380:
	s_or_b32 exec_lo, exec_lo, s26
	v_dual_cndmask_b32 v6, v53, v50, s24 :: v_dual_cndmask_b32 v9, v46, v48, s25
	v_dual_cndmask_b32 v7, v25, v24, s24 :: v_dual_cndmask_b32 v8, v47, v49, s25
	s_delay_alu instid0(VALU_DEP_2) | instskip(SKIP_2) | instid1(VALU_DEP_3)
	v_dual_cndmask_b32 v13, v12, v13, s22 :: v_dual_add_nc_u32 v56, 1, v6
	v_dual_cndmask_b32 v12, v40, v41, s22 :: v_dual_cndmask_b32 v11, v10, v11, s15
	v_dual_cndmask_b32 v10, v17, v23, s15 :: v_dual_cndmask_b32 v17, v14, v16, s14
	v_add_min_u32_e64 v6, v7, -1, v56
	v_dual_cndmask_b32 v7, v42, v44, s23 :: v_dual_cndmask_b32 v16, v15, v22, s14
	v_dual_cndmask_b32 v15, v5, v3, s5 :: v_dual_cndmask_b32 v22, v56, v53, s24
	v_cndmask_b32_e64 v3, v51, v54, s24
	s_delay_alu instid0(VALU_DEP_4)
	v_lshl_add_u32 v6, v6, 3, v36
	ds_load_b64 v[20:21], v6
	v_dual_cndmask_b32 v6, v43, v45, s23 :: v_dual_cndmask_b32 v14, v4, v2, s5
	v_cndmask_b32_e64 v2, v52, v55, s24
	s_mov_b32 s5, exec_lo
	s_wait_dscnt 0x0
	v_dual_cndmask_b32 v5, v54, v21, s24 :: v_dual_cndmask_b32 v4, v55, v20, s24
	v_cmpx_lt_u32_e64 v22, v25
	s_cbranch_execz .LBB9_390
; %bb.381:
	v_dual_cndmask_b32 v22, v50, v56, s24 :: v_dual_cndmask_b32 v21, v21, v51, s24
	v_cndmask_b32_e64 v20, v20, v52, s24
	s_mov_b32 s14, exec_lo
	s_delay_alu instid0(VALU_DEP_2)
	v_cmpx_lt_u32_e64 v22, v24
	s_cbranch_execz .LBB9_389
; %bb.382:
	v_cmp_ne_u32_e32 vcc_lo, 1, v35
	s_cbranch_vccnz .LBB9_388
; %bb.383:
	v_mad_nc_u64_u32 v[22:23], v20, s16, s[18:19]
	v_mad_nc_u64_u32 v[24:25], v4, s16, s[18:19]
	s_mov_b32 s15, 0
	s_mov_b64 s[6:7], s[16:17]
                                        ; implicit-def: $sgpr22
                                        ; implicit-def: $sgpr23
                                        ; implicit-def: $sgpr24
                                        ; implicit-def: $sgpr25
	s_delay_alu instid0(VALU_DEP_2) | instskip(NEXT) | instid1(VALU_DEP_2)
	v_mad_u32 v23, v21, s16, v23
	v_mad_u32 v25, v5, s16, v25
	s_delay_alu instid0(VALU_DEP_2) | instskip(NEXT) | instid1(VALU_DEP_2)
	v_mad_u32 v23, v20, s17, v23
	v_mad_u32 v25, v4, s17, v25
	s_branch .LBB9_385
.LBB9_384:                              ;   in Loop: Header=BB9_385 Depth=1
	s_or_b32 exec_lo, exec_lo, s26
	s_delay_alu instid0(SALU_CYCLE_1) | instskip(NEXT) | instid1(SALU_CYCLE_1)
	s_and_b32 s26, exec_lo, s23
	s_or_b32 s15, s26, s15
	s_and_not1_b32 s25, s25, exec_lo
	s_and_b32 s0, s0, exec_lo
	s_and_not1_b32 s22, s22, exec_lo
	s_and_b32 s26, s24, exec_lo
	s_or_b32 s25, s25, s0
	s_or_b32 s22, s22, s26
	s_and_not1_b32 exec_lo, exec_lo, s15
	s_cbranch_execz .LBB9_387
.LBB9_385:                              ; =>This Inner Loop Header: Depth=1
	global_load_u8 v40, v[22:23], off
	global_load_u8 v41, v[24:25], off
	s_and_not1_b32 s24, s24, exec_lo
	s_or_b32 s23, s23, exec_lo
	s_wait_loadcnt 0x1
	v_and_b32_e32 v40, 0xff, v40
	s_wait_loadcnt 0x0
	v_and_b32_e32 v41, 0xff, v41
	s_delay_alu instid0(VALU_DEP_1) | instskip(SKIP_2) | instid1(SALU_CYCLE_1)
	v_cmp_le_u16_e32 vcc_lo, v40, v41
	v_cmp_lt_u16_e64 s0, v40, v41
	s_and_b32 s26, vcc_lo, s25
	s_or_b32 s0, s0, s26
	s_delay_alu instid0(SALU_CYCLE_1) | instskip(NEXT) | instid1(SALU_CYCLE_1)
	s_and_b32 s26, s0, exec_lo
	s_or_b32 s24, s24, s26
	s_mov_b32 s26, exec_lo
	v_cmpx_eq_u16_e64 v40, v41
	s_cbranch_execz .LBB9_384
; %bb.386:                              ;   in Loop: Header=BB9_385 Depth=1
	s_add_nc_u64 s[6:7], s[6:7], -1
	v_add_nc_u64_e32 v[22:23], 1, v[22:23]
	s_cmp_eq_u64 s[6:7], 0
	v_add_nc_u64_e32 v[24:25], 1, v[24:25]
	s_cselect_b32 s25, -1, 0
	s_and_not1_b32 s23, s23, exec_lo
	s_and_b32 s25, s25, exec_lo
	s_and_not1_b32 s24, s24, exec_lo
	s_or_b32 s23, s23, s25
                                        ; implicit-def: $sgpr25
	s_branch .LBB9_384
.LBB9_387:
	s_or_b32 exec_lo, exec_lo, s15
	v_dual_cndmask_b32 v5, v5, v21, s22 :: v_dual_cndmask_b32 v4, v4, v20, s22
.LBB9_388:
	s_delay_alu instid0(VALU_DEP_1)
	v_mov_b64_e32 v[20:21], v[4:5]
.LBB9_389:
	s_or_b32 exec_lo, exec_lo, s14
	s_delay_alu instid0(VALU_DEP_1)
	v_mov_b64_e32 v[4:5], v[20:21]
.LBB9_390:
	s_or_b32 exec_lo, exec_lo, s5
.LBB9_391:
	s_delay_alu instid0(SALU_CYCLE_1)
	s_or_b32 exec_lo, exec_lo, s1
	v_and_b32_e32 v42, 0xc0, v38
	s_mov_b32 s1, exec_lo
	; wave barrier
	ds_store_b128 v39, v[14:17]
	ds_store_b128 v39, v[10:13] offset:16
	v_or_b32_e32 v20, 32, v42
	v_lshl_add_u32 v41, v42, 3, v36
	ds_store_b128 v39, v[6:9] offset:32
	ds_store_b128 v39, v[2:5] offset:48
	; wave barrier
	v_min_u32_e32 v24, v37, v20
	v_and_b32_e32 v20, 56, v38
	s_delay_alu instid0(VALU_DEP_2) | instskip(NEXT) | instid1(VALU_DEP_2)
	v_add_min_u32_e64 v25, v24, 32, v37
	v_min_u32_e32 v43, v37, v20
	s_delay_alu instid0(VALU_DEP_2) | instskip(NEXT) | instid1(VALU_DEP_1)
	v_dual_sub_nc_u32 v21, v24, v42 :: v_dual_sub_nc_u32 v20, v25, v24
	v_min_u32_e32 v44, v43, v21
	s_delay_alu instid0(VALU_DEP_2) | instskip(NEXT) | instid1(VALU_DEP_1)
	v_sub_nc_u32_e64 v40, v43, v20 clamp
	v_cmpx_lt_u32_e64 v40, v44
	s_cbranch_execz .LBB9_401
; %bb.392:
	v_dual_lshlrev_b32 v20, 3, v24 :: v_dual_lshlrev_b32 v21, 3, v43
	s_mov_b32 s5, 0
	s_delay_alu instid0(VALU_DEP_1)
	v_add3_u32 v45, v36, v20, v21
	s_branch .LBB9_395
.LBB9_393:                              ;   in Loop: Header=BB9_395 Depth=1
	s_or_b32 exec_lo, exec_lo, s15
.LBB9_394:                              ;   in Loop: Header=BB9_395 Depth=1
	s_delay_alu instid0(VALU_DEP_1) | instskip(NEXT) | instid1(VALU_DEP_1)
	v_dual_add_nc_u32 v20, 1, v46 :: v_dual_cndmask_b32 v44, v44, v46, s14
	v_cndmask_b32_e64 v40, v20, v40, s14
	s_delay_alu instid0(VALU_DEP_1) | instskip(SKIP_1) | instid1(SALU_CYCLE_1)
	v_cmp_ge_u32_e32 vcc_lo, v40, v44
	s_or_b32 s5, vcc_lo, s5
	s_and_not1_b32 exec_lo, exec_lo, s5
	s_cbranch_execz .LBB9_400
.LBB9_395:                              ; =>This Loop Header: Depth=1
                                        ;     Child Loop BB9_398 Depth 2
	v_add_nc_u32_e32 v20, v44, v40
	v_cmp_ne_u32_e32 vcc_lo, 1, v35
	s_mov_b32 s14, 0
	s_delay_alu instid0(VALU_DEP_2)
	v_lshrrev_b32_e32 v46, 1, v20
	s_cbranch_vccnz .LBB9_394
; %bb.396:                              ;   in Loop: Header=BB9_395 Depth=1
	s_delay_alu instid0(VALU_DEP_1) | instskip(SKIP_3) | instid1(VALU_DEP_2)
	v_not_b32_e32 v20, v46
	v_lshl_add_u32 v21, v46, 3, v41
	s_mov_b32 s15, 0
	s_mov_b64 s[6:7], s[16:17]
                                        ; implicit-def: $sgpr14
                                        ; implicit-def: $sgpr22
                                        ; implicit-def: $sgpr23
                                        ; implicit-def: $sgpr24
	v_lshl_add_u32 v20, v20, 3, v45
	ds_load_b64 v[48:49], v20
	ds_load_b64 v[50:51], v21
	s_wait_dscnt 0x1
	v_mad_nc_u64_u32 v[20:21], v48, s16, s[18:19]
	s_wait_dscnt 0x0
	v_mad_nc_u64_u32 v[22:23], v50, s16, s[18:19]
	s_delay_alu instid0(VALU_DEP_2) | instskip(NEXT) | instid1(VALU_DEP_2)
	v_mad_u32 v21, v49, s16, v21
	v_mad_u32 v23, v51, s16, v23
	s_delay_alu instid0(VALU_DEP_2) | instskip(NEXT) | instid1(VALU_DEP_2)
	v_mad_u32 v21, v48, s17, v21
	v_mad_u32 v23, v50, s17, v23
	s_branch .LBB9_398
.LBB9_397:                              ;   in Loop: Header=BB9_398 Depth=2
	s_or_b32 exec_lo, exec_lo, s25
	s_delay_alu instid0(SALU_CYCLE_1) | instskip(NEXT) | instid1(SALU_CYCLE_1)
	s_and_b32 s25, exec_lo, s22
	s_or_b32 s15, s25, s15
	s_and_not1_b32 s24, s24, exec_lo
	s_and_b32 s0, s0, exec_lo
	s_and_not1_b32 s14, s14, exec_lo
	s_and_b32 s25, s23, exec_lo
	s_or_b32 s24, s24, s0
	s_or_b32 s14, s14, s25
	s_and_not1_b32 exec_lo, exec_lo, s15
	s_cbranch_execz .LBB9_393
.LBB9_398:                              ;   Parent Loop BB9_395 Depth=1
                                        ; =>  This Inner Loop Header: Depth=2
	global_load_u8 v47, v[20:21], off
	global_load_u8 v48, v[22:23], off
	s_and_not1_b32 s23, s23, exec_lo
	s_or_b32 s22, s22, exec_lo
	s_wait_loadcnt 0x1
	v_and_b32_e32 v47, 0xff, v47
	s_wait_loadcnt 0x0
	v_and_b32_e32 v48, 0xff, v48
	s_delay_alu instid0(VALU_DEP_1) | instskip(SKIP_2) | instid1(SALU_CYCLE_1)
	v_cmp_le_u16_e32 vcc_lo, v47, v48
	v_cmp_lt_u16_e64 s0, v47, v48
	s_and_b32 s25, vcc_lo, s24
	s_or_b32 s0, s0, s25
	s_delay_alu instid0(SALU_CYCLE_1) | instskip(NEXT) | instid1(SALU_CYCLE_1)
	s_and_b32 s25, s0, exec_lo
	s_or_b32 s23, s23, s25
	s_mov_b32 s25, exec_lo
	v_cmpx_eq_u16_e64 v47, v48
	s_cbranch_execz .LBB9_397
; %bb.399:                              ;   in Loop: Header=BB9_398 Depth=2
	s_add_nc_u64 s[6:7], s[6:7], -1
	v_add_nc_u64_e32 v[20:21], 1, v[20:21]
	s_cmp_eq_u64 s[6:7], 0
	v_add_nc_u64_e32 v[22:23], 1, v[22:23]
	s_cselect_b32 s24, -1, 0
	s_and_not1_b32 s22, s22, exec_lo
	s_and_b32 s24, s24, exec_lo
	s_and_not1_b32 s23, s23, exec_lo
	s_or_b32 s22, s22, s24
                                        ; implicit-def: $sgpr24
	s_branch .LBB9_397
.LBB9_400:
	s_or_b32 exec_lo, exec_lo, s5
.LBB9_401:
	s_delay_alu instid0(SALU_CYCLE_1) | instskip(SKIP_1) | instid1(VALU_DEP_1)
	s_or_b32 exec_lo, exec_lo, s1
	v_add_nc_u32_e32 v21, v24, v43
	v_dual_add_nc_u32 v20, v40, v42 :: v_dual_sub_nc_u32 v21, v21, v40
	s_delay_alu instid0(VALU_DEP_1) | instskip(NEXT) | instid1(VALU_DEP_2)
	v_cmp_le_u32_e32 vcc_lo, v20, v24
	v_cmp_le_u32_e64 s0, v21, v25
	s_or_b32 s0, vcc_lo, s0
	s_delay_alu instid0(SALU_CYCLE_1)
	s_and_saveexec_b32 s1, s0
	s_cbranch_execz .LBB9_492
; %bb.402:
	s_mov_b32 s5, exec_lo
	v_cmp_ge_u32_e32 vcc_lo, v20, v24
                                        ; implicit-def: $vgpr2_vgpr3
	v_cmpx_lt_u32_e64 v20, v24
; %bb.403:
	v_lshl_add_u32 v2, v40, 3, v41
	ds_load_b64 v[2:3], v2
; %bb.404:
	s_or_b32 exec_lo, exec_lo, s5
	v_cmp_ge_u32_e64 s5, v21, v25
	s_mov_b32 s6, exec_lo
                                        ; implicit-def: $vgpr4_vgpr5
	v_cmpx_lt_u32_e64 v21, v25
; %bb.405:
	v_lshl_add_u32 v4, v21, 3, v36
	ds_load_b64 v[4:5], v4
; %bb.406:
	s_or_b32 exec_lo, exec_lo, s6
	s_nor_b32 s0, vcc_lo, s5
	s_delay_alu instid0(SALU_CYCLE_1)
	s_and_saveexec_b32 s14, s0
	s_cbranch_execz .LBB9_415
; %bb.407:
	v_cmp_ne_u32_e32 vcc_lo, 1, v35
	s_cbranch_vccnz .LBB9_413
; %bb.408:
	s_wait_dscnt 0x0
	v_mad_nc_u64_u32 v[6:7], v4, s16, s[18:19]
	v_mad_nc_u64_u32 v[8:9], v2, s16, s[18:19]
	s_mov_b32 s15, 0
	s_mov_b64 s[6:7], s[16:17]
                                        ; implicit-def: $sgpr22
                                        ; implicit-def: $sgpr23
                                        ; implicit-def: $sgpr24
                                        ; implicit-def: $sgpr25
	s_delay_alu instid0(VALU_DEP_2) | instskip(NEXT) | instid1(VALU_DEP_2)
	v_mad_u32 v7, v5, s16, v7
	v_mad_u32 v9, v3, s16, v9
	s_delay_alu instid0(VALU_DEP_2) | instskip(NEXT) | instid1(VALU_DEP_2)
	v_mad_u32 v7, v4, s17, v7
	v_mad_u32 v9, v2, s17, v9
	s_branch .LBB9_410
.LBB9_409:                              ;   in Loop: Header=BB9_410 Depth=1
	s_or_b32 exec_lo, exec_lo, s26
	s_delay_alu instid0(SALU_CYCLE_1) | instskip(NEXT) | instid1(SALU_CYCLE_1)
	s_and_b32 s26, exec_lo, s23
	s_or_b32 s15, s26, s15
	s_and_not1_b32 s25, s25, exec_lo
	s_and_b32 s0, s0, exec_lo
	s_and_not1_b32 s22, s22, exec_lo
	s_and_b32 s26, s24, exec_lo
	s_or_b32 s25, s25, s0
	s_or_b32 s22, s22, s26
	s_and_not1_b32 exec_lo, exec_lo, s15
	s_cbranch_execz .LBB9_412
.LBB9_410:                              ; =>This Inner Loop Header: Depth=1
	global_load_u8 v10, v[6:7], off
	global_load_u8 v11, v[8:9], off
	s_and_not1_b32 s24, s24, exec_lo
	s_or_b32 s23, s23, exec_lo
	s_wait_loadcnt 0x1
	v_and_b32_e32 v10, 0xff, v10
	s_wait_loadcnt 0x0
	v_and_b32_e32 v11, 0xff, v11
	s_delay_alu instid0(VALU_DEP_1) | instskip(SKIP_2) | instid1(SALU_CYCLE_1)
	v_cmp_le_u16_e32 vcc_lo, v10, v11
	v_cmp_lt_u16_e64 s0, v10, v11
	s_and_b32 s26, vcc_lo, s25
	s_or_b32 s0, s0, s26
	s_delay_alu instid0(SALU_CYCLE_1) | instskip(NEXT) | instid1(SALU_CYCLE_1)
	s_and_b32 s26, s0, exec_lo
	s_or_b32 s24, s24, s26
	s_mov_b32 s26, exec_lo
	v_cmpx_eq_u16_e64 v10, v11
	s_cbranch_execz .LBB9_409
; %bb.411:                              ;   in Loop: Header=BB9_410 Depth=1
	s_add_nc_u64 s[6:7], s[6:7], -1
	v_add_nc_u64_e32 v[6:7], 1, v[6:7]
	s_cmp_eq_u64 s[6:7], 0
	v_add_nc_u64_e32 v[8:9], 1, v[8:9]
	s_cselect_b32 s25, -1, 0
	s_and_not1_b32 s23, s23, exec_lo
	s_and_b32 s25, s25, exec_lo
	s_and_not1_b32 s24, s24, exec_lo
	s_or_b32 s23, s23, s25
                                        ; implicit-def: $sgpr25
	s_branch .LBB9_409
.LBB9_412:
	s_or_b32 exec_lo, exec_lo, s15
	s_xor_b32 s0, s22, -1
	s_branch .LBB9_414
.LBB9_413:
	s_mov_b32 s0, -1
.LBB9_414:
	s_and_not1_b32 s5, s5, exec_lo
	s_and_b32 s0, s0, exec_lo
	s_delay_alu instid0(SALU_CYCLE_1)
	s_or_b32 s5, s5, s0
.LBB9_415:
	s_or_b32 exec_lo, exec_lo, s14
	v_cndmask_b32_e64 v6, v21, v20, s5
	v_cndmask_b32_e64 v7, v25, v24, s5
	s_mov_b32 s15, -1
	s_mov_b32 s14, -1
	s_mov_b32 s22, exec_lo
	v_add_nc_u32_e32 v8, 1, v6
	s_delay_alu instid0(VALU_DEP_1) | instskip(SKIP_1) | instid1(VALU_DEP_2)
	v_add_min_u32_e64 v6, v7, -1, v8
	v_cndmask_b32_e64 v10, v8, v21, s5
	v_lshl_add_u32 v6, v6, 3, v36
	ds_load_b64 v[6:7], v6
	s_wait_dscnt 0x0
	v_dual_cndmask_b32 v11, v20, v8, s5 :: v_dual_cndmask_b32 v14, v7, v5, s5
	v_dual_cndmask_b32 v15, v6, v4, s5 :: v_dual_cndmask_b32 v16, v3, v7, s5
	v_cndmask_b32_e64 v22, v2, v6, s5
	v_cmpx_lt_u32_e64 v10, v25
	s_cbranch_execz .LBB9_426
; %bb.416:
	s_mov_b32 s0, 0
	s_mov_b32 s14, exec_lo
	v_cmpx_lt_u32_e64 v11, v24
	s_cbranch_execz .LBB9_425
; %bb.417:
	v_cmp_ne_u32_e32 vcc_lo, 1, v35
	s_cbranch_vccnz .LBB9_423
; %bb.418:
	v_mad_nc_u64_u32 v[6:7], v15, s16, s[18:19]
	v_mad_nc_u64_u32 v[8:9], v22, s16, s[18:19]
	s_mov_b32 s23, 0
	s_mov_b64 s[6:7], s[16:17]
                                        ; implicit-def: $sgpr24
                                        ; implicit-def: $sgpr25
                                        ; implicit-def: $sgpr26
                                        ; implicit-def: $sgpr27
	s_delay_alu instid0(VALU_DEP_2) | instskip(NEXT) | instid1(VALU_DEP_2)
	v_mad_u32 v7, v14, s16, v7
	v_mad_u32 v9, v16, s16, v9
	s_delay_alu instid0(VALU_DEP_2) | instskip(NEXT) | instid1(VALU_DEP_2)
	v_mad_u32 v7, v15, s17, v7
	v_mad_u32 v9, v22, s17, v9
	s_branch .LBB9_420
.LBB9_419:                              ;   in Loop: Header=BB9_420 Depth=1
	s_or_b32 exec_lo, exec_lo, s28
	s_delay_alu instid0(SALU_CYCLE_1) | instskip(NEXT) | instid1(SALU_CYCLE_1)
	s_and_b32 s28, exec_lo, s25
	s_or_b32 s23, s28, s23
	s_and_not1_b32 s27, s27, exec_lo
	s_and_b32 s0, s0, exec_lo
	s_and_not1_b32 s24, s24, exec_lo
	s_and_b32 s28, s26, exec_lo
	s_or_b32 s27, s27, s0
	s_or_b32 s24, s24, s28
	s_and_not1_b32 exec_lo, exec_lo, s23
	s_cbranch_execz .LBB9_422
.LBB9_420:                              ; =>This Inner Loop Header: Depth=1
	global_load_u8 v12, v[6:7], off
	global_load_u8 v13, v[8:9], off
	s_and_not1_b32 s26, s26, exec_lo
	s_or_b32 s25, s25, exec_lo
	s_wait_loadcnt 0x1
	v_and_b32_e32 v12, 0xff, v12
	s_wait_loadcnt 0x0
	v_and_b32_e32 v13, 0xff, v13
	s_delay_alu instid0(VALU_DEP_1) | instskip(SKIP_2) | instid1(SALU_CYCLE_1)
	v_cmp_le_u16_e32 vcc_lo, v12, v13
	v_cmp_lt_u16_e64 s0, v12, v13
	s_and_b32 s28, vcc_lo, s27
	s_or_b32 s0, s0, s28
	s_delay_alu instid0(SALU_CYCLE_1) | instskip(NEXT) | instid1(SALU_CYCLE_1)
	s_and_b32 s28, s0, exec_lo
	s_or_b32 s26, s26, s28
	s_mov_b32 s28, exec_lo
	v_cmpx_eq_u16_e64 v12, v13
	s_cbranch_execz .LBB9_419
; %bb.421:                              ;   in Loop: Header=BB9_420 Depth=1
	s_add_nc_u64 s[6:7], s[6:7], -1
	v_add_nc_u64_e32 v[6:7], 1, v[6:7]
	s_cmp_eq_u64 s[6:7], 0
	v_add_nc_u64_e32 v[8:9], 1, v[8:9]
	s_cselect_b32 s27, -1, 0
	s_and_not1_b32 s25, s25, exec_lo
	s_and_b32 s27, s27, exec_lo
	s_and_not1_b32 s26, s26, exec_lo
	s_or_b32 s25, s25, s27
                                        ; implicit-def: $sgpr27
	s_branch .LBB9_419
.LBB9_422:
	s_or_b32 exec_lo, exec_lo, s23
	s_xor_b32 s0, s24, -1
	s_branch .LBB9_424
.LBB9_423:
	s_mov_b32 s0, -1
.LBB9_424:
	s_delay_alu instid0(SALU_CYCLE_1)
	s_and_b32 s0, s0, exec_lo
.LBB9_425:
	s_or_b32 exec_lo, exec_lo, s14
	s_delay_alu instid0(SALU_CYCLE_1)
	s_or_not1_b32 s14, s0, exec_lo
.LBB9_426:
	s_or_b32 exec_lo, exec_lo, s22
	v_dual_cndmask_b32 v6, v10, v11, s14 :: v_dual_cndmask_b32 v7, v25, v24, s14
	s_mov_b32 s22, exec_lo
	s_delay_alu instid0(VALU_DEP_1) | instskip(NEXT) | instid1(VALU_DEP_1)
	v_add_nc_u32_e32 v8, 1, v6
	v_add_min_u32_e64 v6, v7, -1, v8
	s_delay_alu instid0(VALU_DEP_1)
	v_lshl_add_u32 v6, v6, 3, v36
	ds_load_b64 v[6:7], v6
	s_wait_dscnt 0x0
	v_dual_cndmask_b32 v17, v6, v15, s14 :: v_dual_cndmask_b32 v12, v8, v10, s14
	v_cndmask_b32_e64 v13, v11, v8, s14
	v_dual_cndmask_b32 v10, v7, v14, s14 :: v_dual_cndmask_b32 v11, v16, v7, s14
	v_cndmask_b32_e64 v23, v22, v6, s14
	s_delay_alu instid0(VALU_DEP_4)
	v_cmpx_lt_u32_e64 v12, v25
	s_cbranch_execz .LBB9_437
; %bb.427:
	s_mov_b32 s0, 0
	s_mov_b32 s15, exec_lo
	v_cmpx_lt_u32_e64 v13, v24
	s_cbranch_execz .LBB9_436
; %bb.428:
	v_cmp_ne_u32_e32 vcc_lo, 1, v35
	s_cbranch_vccnz .LBB9_434
; %bb.429:
	v_mad_nc_u64_u32 v[6:7], v17, s16, s[18:19]
	v_mad_nc_u64_u32 v[8:9], v23, s16, s[18:19]
	s_mov_b32 s23, 0
	s_mov_b64 s[6:7], s[16:17]
                                        ; implicit-def: $sgpr24
                                        ; implicit-def: $sgpr25
                                        ; implicit-def: $sgpr26
                                        ; implicit-def: $sgpr27
	s_delay_alu instid0(VALU_DEP_2) | instskip(NEXT) | instid1(VALU_DEP_2)
	v_mad_u32 v7, v10, s16, v7
	v_mad_u32 v9, v11, s16, v9
	s_delay_alu instid0(VALU_DEP_2) | instskip(NEXT) | instid1(VALU_DEP_2)
	v_mad_u32 v7, v17, s17, v7
	v_mad_u32 v9, v23, s17, v9
	s_branch .LBB9_431
.LBB9_430:                              ;   in Loop: Header=BB9_431 Depth=1
	s_or_b32 exec_lo, exec_lo, s28
	s_delay_alu instid0(SALU_CYCLE_1) | instskip(NEXT) | instid1(SALU_CYCLE_1)
	s_and_b32 s28, exec_lo, s25
	s_or_b32 s23, s28, s23
	s_and_not1_b32 s27, s27, exec_lo
	s_and_b32 s0, s0, exec_lo
	s_and_not1_b32 s24, s24, exec_lo
	s_and_b32 s28, s26, exec_lo
	s_or_b32 s27, s27, s0
	s_or_b32 s24, s24, s28
	s_and_not1_b32 exec_lo, exec_lo, s23
	s_cbranch_execz .LBB9_433
.LBB9_431:                              ; =>This Inner Loop Header: Depth=1
	global_load_u8 v20, v[6:7], off
	global_load_u8 v21, v[8:9], off
	s_and_not1_b32 s26, s26, exec_lo
	s_or_b32 s25, s25, exec_lo
	s_wait_loadcnt 0x1
	v_and_b32_e32 v20, 0xff, v20
	s_wait_loadcnt 0x0
	v_and_b32_e32 v21, 0xff, v21
	s_delay_alu instid0(VALU_DEP_1) | instskip(SKIP_2) | instid1(SALU_CYCLE_1)
	v_cmp_le_u16_e32 vcc_lo, v20, v21
	v_cmp_lt_u16_e64 s0, v20, v21
	s_and_b32 s28, vcc_lo, s27
	s_or_b32 s0, s0, s28
	s_delay_alu instid0(SALU_CYCLE_1) | instskip(NEXT) | instid1(SALU_CYCLE_1)
	s_and_b32 s28, s0, exec_lo
	s_or_b32 s26, s26, s28
	s_mov_b32 s28, exec_lo
	v_cmpx_eq_u16_e64 v20, v21
	s_cbranch_execz .LBB9_430
; %bb.432:                              ;   in Loop: Header=BB9_431 Depth=1
	s_add_nc_u64 s[6:7], s[6:7], -1
	v_add_nc_u64_e32 v[6:7], 1, v[6:7]
	s_cmp_eq_u64 s[6:7], 0
	v_add_nc_u64_e32 v[8:9], 1, v[8:9]
	s_cselect_b32 s27, -1, 0
	s_and_not1_b32 s25, s25, exec_lo
	s_and_b32 s27, s27, exec_lo
	s_and_not1_b32 s26, s26, exec_lo
	s_or_b32 s25, s25, s27
                                        ; implicit-def: $sgpr27
	s_branch .LBB9_430
.LBB9_433:
	s_or_b32 exec_lo, exec_lo, s23
	s_xor_b32 s0, s24, -1
	s_branch .LBB9_435
.LBB9_434:
	s_mov_b32 s0, -1
.LBB9_435:
	s_delay_alu instid0(SALU_CYCLE_1)
	s_and_b32 s0, s0, exec_lo
.LBB9_436:
	s_or_b32 exec_lo, exec_lo, s15
	s_delay_alu instid0(SALU_CYCLE_1)
	s_or_not1_b32 s15, s0, exec_lo
.LBB9_437:
	s_or_b32 exec_lo, exec_lo, s22
	v_dual_cndmask_b32 v6, v12, v13, s15 :: v_dual_cndmask_b32 v7, v25, v24, s15
	s_mov_b32 s23, -1
	s_mov_b32 s22, -1
	s_mov_b32 s24, exec_lo
	s_delay_alu instid0(VALU_DEP_1) | instskip(NEXT) | instid1(VALU_DEP_1)
	v_add_nc_u32_e32 v8, 1, v6
	v_add_min_u32_e64 v6, v7, -1, v8
	s_delay_alu instid0(VALU_DEP_1)
	v_lshl_add_u32 v6, v6, 3, v36
	ds_load_b64 v[6:7], v6
	s_wait_dscnt 0x0
	v_dual_cndmask_b32 v40, v6, v17, s15 :: v_dual_cndmask_b32 v20, v8, v12, s15
	v_dual_cndmask_b32 v12, v7, v10, s15 :: v_dual_cndmask_b32 v21, v13, v8, s15
	v_cndmask_b32_e64 v13, v11, v7, s15
	v_cndmask_b32_e64 v41, v23, v6, s15
	s_delay_alu instid0(VALU_DEP_4)
	v_cmpx_lt_u32_e64 v20, v25
	s_cbranch_execz .LBB9_448
; %bb.438:
	s_mov_b32 s0, 0
	s_mov_b32 s22, exec_lo
	v_cmpx_lt_u32_e64 v21, v24
	s_cbranch_execz .LBB9_447
; %bb.439:
	v_cmp_ne_u32_e32 vcc_lo, 1, v35
	s_cbranch_vccnz .LBB9_445
; %bb.440:
	v_mad_nc_u64_u32 v[6:7], v40, s16, s[18:19]
	v_mad_nc_u64_u32 v[8:9], v41, s16, s[18:19]
	s_mov_b32 s25, 0
	s_mov_b64 s[6:7], s[16:17]
                                        ; implicit-def: $sgpr26
                                        ; implicit-def: $sgpr27
                                        ; implicit-def: $sgpr28
                                        ; implicit-def: $sgpr29
	s_delay_alu instid0(VALU_DEP_2) | instskip(NEXT) | instid1(VALU_DEP_2)
	v_mad_u32 v7, v12, s16, v7
	v_mad_u32 v9, v13, s16, v9
	s_delay_alu instid0(VALU_DEP_2) | instskip(NEXT) | instid1(VALU_DEP_2)
	v_mad_u32 v7, v40, s17, v7
	v_mad_u32 v9, v41, s17, v9
	s_branch .LBB9_442
.LBB9_441:                              ;   in Loop: Header=BB9_442 Depth=1
	s_or_b32 exec_lo, exec_lo, s30
	s_delay_alu instid0(SALU_CYCLE_1) | instskip(NEXT) | instid1(SALU_CYCLE_1)
	s_and_b32 s30, exec_lo, s27
	s_or_b32 s25, s30, s25
	s_and_not1_b32 s29, s29, exec_lo
	s_and_b32 s0, s0, exec_lo
	s_and_not1_b32 s26, s26, exec_lo
	s_and_b32 s30, s28, exec_lo
	s_or_b32 s29, s29, s0
	s_or_b32 s26, s26, s30
	s_and_not1_b32 exec_lo, exec_lo, s25
	s_cbranch_execz .LBB9_444
.LBB9_442:                              ; =>This Inner Loop Header: Depth=1
	global_load_u8 v42, v[6:7], off
	global_load_u8 v43, v[8:9], off
	s_and_not1_b32 s28, s28, exec_lo
	s_or_b32 s27, s27, exec_lo
	s_wait_loadcnt 0x1
	v_and_b32_e32 v42, 0xff, v42
	s_wait_loadcnt 0x0
	v_and_b32_e32 v43, 0xff, v43
	s_delay_alu instid0(VALU_DEP_1) | instskip(SKIP_2) | instid1(SALU_CYCLE_1)
	v_cmp_le_u16_e32 vcc_lo, v42, v43
	v_cmp_lt_u16_e64 s0, v42, v43
	s_and_b32 s30, vcc_lo, s29
	s_or_b32 s0, s0, s30
	s_delay_alu instid0(SALU_CYCLE_1) | instskip(NEXT) | instid1(SALU_CYCLE_1)
	s_and_b32 s30, s0, exec_lo
	s_or_b32 s28, s28, s30
	s_mov_b32 s30, exec_lo
	v_cmpx_eq_u16_e64 v42, v43
	s_cbranch_execz .LBB9_441
; %bb.443:                              ;   in Loop: Header=BB9_442 Depth=1
	s_add_nc_u64 s[6:7], s[6:7], -1
	v_add_nc_u64_e32 v[6:7], 1, v[6:7]
	s_cmp_eq_u64 s[6:7], 0
	v_add_nc_u64_e32 v[8:9], 1, v[8:9]
	s_cselect_b32 s29, -1, 0
	s_and_not1_b32 s27, s27, exec_lo
	s_and_b32 s29, s29, exec_lo
	s_and_not1_b32 s28, s28, exec_lo
	s_or_b32 s27, s27, s29
                                        ; implicit-def: $sgpr29
	s_branch .LBB9_441
.LBB9_444:
	s_or_b32 exec_lo, exec_lo, s25
	s_xor_b32 s0, s26, -1
	s_branch .LBB9_446
.LBB9_445:
	s_mov_b32 s0, -1
.LBB9_446:
	s_delay_alu instid0(SALU_CYCLE_1)
	s_and_b32 s0, s0, exec_lo
.LBB9_447:
	s_or_b32 exec_lo, exec_lo, s22
	s_delay_alu instid0(SALU_CYCLE_1)
	s_or_not1_b32 s22, s0, exec_lo
.LBB9_448:
	s_or_b32 exec_lo, exec_lo, s24
	v_dual_cndmask_b32 v6, v20, v21, s22 :: v_dual_cndmask_b32 v7, v25, v24, s22
	s_mov_b32 s24, exec_lo
	s_delay_alu instid0(VALU_DEP_1) | instskip(NEXT) | instid1(VALU_DEP_1)
	v_add_nc_u32_e32 v8, 1, v6
	v_add_min_u32_e64 v6, v7, -1, v8
	s_delay_alu instid0(VALU_DEP_1)
	v_lshl_add_u32 v6, v6, 3, v36
	ds_load_b64 v[6:7], v6
	s_wait_dscnt 0x0
	v_cndmask_b32_e64 v42, v7, v12, s22
	v_dual_cndmask_b32 v20, v8, v20, s22 :: v_dual_cndmask_b32 v44, v13, v7, s22
	v_cndmask_b32_e64 v21, v21, v8, s22
	v_dual_cndmask_b32 v43, v6, v40, s22 :: v_dual_cndmask_b32 v45, v41, v6, s22
	s_delay_alu instid0(VALU_DEP_3)
	v_cmpx_lt_u32_e64 v20, v25
	s_cbranch_execz .LBB9_459
; %bb.449:
	s_mov_b32 s0, 0
	s_mov_b32 s23, exec_lo
	v_cmpx_lt_u32_e64 v21, v24
	s_cbranch_execz .LBB9_458
; %bb.450:
	v_cmp_ne_u32_e32 vcc_lo, 1, v35
	s_cbranch_vccnz .LBB9_456
; %bb.451:
	v_mad_nc_u64_u32 v[6:7], v43, s16, s[18:19]
	v_mad_nc_u64_u32 v[8:9], v45, s16, s[18:19]
	s_mov_b32 s25, 0
	s_mov_b64 s[6:7], s[16:17]
                                        ; implicit-def: $sgpr26
                                        ; implicit-def: $sgpr27
                                        ; implicit-def: $sgpr28
                                        ; implicit-def: $sgpr29
	s_delay_alu instid0(VALU_DEP_2) | instskip(NEXT) | instid1(VALU_DEP_2)
	v_mad_u32 v7, v42, s16, v7
	v_mad_u32 v9, v44, s16, v9
	s_delay_alu instid0(VALU_DEP_2) | instskip(NEXT) | instid1(VALU_DEP_2)
	v_mad_u32 v7, v43, s17, v7
	v_mad_u32 v9, v45, s17, v9
	s_branch .LBB9_453
.LBB9_452:                              ;   in Loop: Header=BB9_453 Depth=1
	s_or_b32 exec_lo, exec_lo, s30
	s_delay_alu instid0(SALU_CYCLE_1) | instskip(NEXT) | instid1(SALU_CYCLE_1)
	s_and_b32 s30, exec_lo, s27
	s_or_b32 s25, s30, s25
	s_and_not1_b32 s29, s29, exec_lo
	s_and_b32 s0, s0, exec_lo
	s_and_not1_b32 s26, s26, exec_lo
	s_and_b32 s30, s28, exec_lo
	s_or_b32 s29, s29, s0
	s_or_b32 s26, s26, s30
	s_and_not1_b32 exec_lo, exec_lo, s25
	s_cbranch_execz .LBB9_455
.LBB9_453:                              ; =>This Inner Loop Header: Depth=1
	global_load_u8 v46, v[6:7], off
	global_load_u8 v47, v[8:9], off
	s_and_not1_b32 s28, s28, exec_lo
	s_or_b32 s27, s27, exec_lo
	s_wait_loadcnt 0x1
	v_and_b32_e32 v46, 0xff, v46
	s_wait_loadcnt 0x0
	v_and_b32_e32 v47, 0xff, v47
	s_delay_alu instid0(VALU_DEP_1) | instskip(SKIP_2) | instid1(SALU_CYCLE_1)
	v_cmp_le_u16_e32 vcc_lo, v46, v47
	v_cmp_lt_u16_e64 s0, v46, v47
	s_and_b32 s30, vcc_lo, s29
	s_or_b32 s0, s0, s30
	s_delay_alu instid0(SALU_CYCLE_1) | instskip(NEXT) | instid1(SALU_CYCLE_1)
	s_and_b32 s30, s0, exec_lo
	s_or_b32 s28, s28, s30
	s_mov_b32 s30, exec_lo
	v_cmpx_eq_u16_e64 v46, v47
	s_cbranch_execz .LBB9_452
; %bb.454:                              ;   in Loop: Header=BB9_453 Depth=1
	s_add_nc_u64 s[6:7], s[6:7], -1
	v_add_nc_u64_e32 v[6:7], 1, v[6:7]
	s_cmp_eq_u64 s[6:7], 0
	v_add_nc_u64_e32 v[8:9], 1, v[8:9]
	s_cselect_b32 s29, -1, 0
	s_and_not1_b32 s27, s27, exec_lo
	s_and_b32 s29, s29, exec_lo
	s_and_not1_b32 s28, s28, exec_lo
	s_or_b32 s27, s27, s29
                                        ; implicit-def: $sgpr29
	s_branch .LBB9_452
.LBB9_455:
	s_or_b32 exec_lo, exec_lo, s25
	s_xor_b32 s0, s26, -1
	s_branch .LBB9_457
.LBB9_456:
	s_mov_b32 s0, -1
.LBB9_457:
	s_delay_alu instid0(SALU_CYCLE_1)
	s_and_b32 s0, s0, exec_lo
.LBB9_458:
	s_or_b32 exec_lo, exec_lo, s23
	s_delay_alu instid0(SALU_CYCLE_1)
	s_or_not1_b32 s23, s0, exec_lo
.LBB9_459:
	s_or_b32 exec_lo, exec_lo, s24
	v_dual_cndmask_b32 v6, v20, v21, s23 :: v_dual_cndmask_b32 v7, v25, v24, s23
	s_mov_b32 s24, -1
	s_mov_b32 s25, -1
	s_mov_b32 s26, exec_lo
	s_delay_alu instid0(VALU_DEP_1) | instskip(NEXT) | instid1(VALU_DEP_1)
	v_add_nc_u32_e32 v8, 1, v6
	v_add_min_u32_e64 v6, v7, -1, v8
	s_delay_alu instid0(VALU_DEP_1)
	v_lshl_add_u32 v6, v6, 3, v36
	ds_load_b64 v[6:7], v6
	s_wait_dscnt 0x0
	v_dual_cndmask_b32 v46, v7, v42, s23 :: v_dual_cndmask_b32 v47, v6, v43, s23
	v_cndmask_b32_e64 v20, v8, v20, s23
	v_dual_cndmask_b32 v21, v21, v8, s23 :: v_dual_cndmask_b32 v48, v44, v7, s23
	v_cndmask_b32_e64 v49, v45, v6, s23
	s_delay_alu instid0(VALU_DEP_3)
	v_cmpx_lt_u32_e64 v20, v25
	s_cbranch_execz .LBB9_470
; %bb.460:
	s_mov_b32 s0, 0
	s_mov_b32 s25, exec_lo
	v_cmpx_lt_u32_e64 v21, v24
	s_cbranch_execz .LBB9_469
; %bb.461:
	v_cmp_ne_u32_e32 vcc_lo, 1, v35
	s_cbranch_vccnz .LBB9_467
; %bb.462:
	v_mad_nc_u64_u32 v[6:7], v47, s16, s[18:19]
	v_mad_nc_u64_u32 v[8:9], v49, s16, s[18:19]
	s_mov_b32 s27, 0
	s_mov_b64 s[6:7], s[16:17]
                                        ; implicit-def: $sgpr28
                                        ; implicit-def: $sgpr29
                                        ; implicit-def: $sgpr30
                                        ; implicit-def: $sgpr31
	s_delay_alu instid0(VALU_DEP_2) | instskip(NEXT) | instid1(VALU_DEP_2)
	v_mad_u32 v7, v46, s16, v7
	v_mad_u32 v9, v48, s16, v9
	s_delay_alu instid0(VALU_DEP_2) | instskip(NEXT) | instid1(VALU_DEP_2)
	v_mad_u32 v7, v47, s17, v7
	v_mad_u32 v9, v49, s17, v9
	s_branch .LBB9_464
.LBB9_463:                              ;   in Loop: Header=BB9_464 Depth=1
	s_or_b32 exec_lo, exec_lo, s33
	s_delay_alu instid0(SALU_CYCLE_1) | instskip(NEXT) | instid1(SALU_CYCLE_1)
	s_and_b32 s33, exec_lo, s29
	s_or_b32 s27, s33, s27
	s_and_not1_b32 s31, s31, exec_lo
	s_and_b32 s0, s0, exec_lo
	s_and_not1_b32 s28, s28, exec_lo
	s_and_b32 s33, s30, exec_lo
	s_or_b32 s31, s31, s0
	s_or_b32 s28, s28, s33
	s_and_not1_b32 exec_lo, exec_lo, s27
	s_cbranch_execz .LBB9_466
.LBB9_464:                              ; =>This Inner Loop Header: Depth=1
	global_load_u8 v50, v[6:7], off
	global_load_u8 v51, v[8:9], off
	s_and_not1_b32 s30, s30, exec_lo
	s_or_b32 s29, s29, exec_lo
	s_wait_loadcnt 0x1
	v_and_b32_e32 v50, 0xff, v50
	s_wait_loadcnt 0x0
	v_and_b32_e32 v51, 0xff, v51
	s_delay_alu instid0(VALU_DEP_1) | instskip(SKIP_2) | instid1(SALU_CYCLE_1)
	v_cmp_le_u16_e32 vcc_lo, v50, v51
	v_cmp_lt_u16_e64 s0, v50, v51
	s_and_b32 s33, vcc_lo, s31
	s_or_b32 s0, s0, s33
	s_delay_alu instid0(SALU_CYCLE_1) | instskip(NEXT) | instid1(SALU_CYCLE_1)
	s_and_b32 s33, s0, exec_lo
	s_or_b32 s30, s30, s33
	s_mov_b32 s33, exec_lo
	v_cmpx_eq_u16_e64 v50, v51
	s_cbranch_execz .LBB9_463
; %bb.465:                              ;   in Loop: Header=BB9_464 Depth=1
	s_add_nc_u64 s[6:7], s[6:7], -1
	v_add_nc_u64_e32 v[6:7], 1, v[6:7]
	s_cmp_eq_u64 s[6:7], 0
	v_add_nc_u64_e32 v[8:9], 1, v[8:9]
	s_cselect_b32 s31, -1, 0
	s_and_not1_b32 s29, s29, exec_lo
	s_and_b32 s31, s31, exec_lo
	s_and_not1_b32 s30, s30, exec_lo
	s_or_b32 s29, s29, s31
                                        ; implicit-def: $sgpr31
	s_branch .LBB9_463
.LBB9_466:
	s_or_b32 exec_lo, exec_lo, s27
	s_xor_b32 s0, s28, -1
	s_branch .LBB9_468
.LBB9_467:
	s_mov_b32 s0, -1
.LBB9_468:
	s_delay_alu instid0(SALU_CYCLE_1)
	s_and_b32 s0, s0, exec_lo
.LBB9_469:
	s_or_b32 exec_lo, exec_lo, s25
	s_delay_alu instid0(SALU_CYCLE_1)
	s_or_not1_b32 s25, s0, exec_lo
.LBB9_470:
	s_or_b32 exec_lo, exec_lo, s26
	v_dual_cndmask_b32 v6, v20, v21, s25 :: v_dual_cndmask_b32 v7, v25, v24, s25
	s_mov_b32 s26, exec_lo
	s_delay_alu instid0(VALU_DEP_1) | instskip(NEXT) | instid1(VALU_DEP_1)
	v_add_nc_u32_e32 v8, 1, v6
	v_add_min_u32_e64 v6, v7, -1, v8
	s_delay_alu instid0(VALU_DEP_1)
	v_lshl_add_u32 v6, v6, 3, v36
	ds_load_b64 v[6:7], v6
	s_wait_dscnt 0x0
	v_dual_cndmask_b32 v51, v7, v46, s25 :: v_dual_cndmask_b32 v52, v6, v47, s25
	v_cndmask_b32_e64 v53, v8, v20, s25
	v_dual_cndmask_b32 v50, v21, v8, s25 :: v_dual_cndmask_b32 v54, v48, v7, s25
	v_cndmask_b32_e64 v55, v49, v6, s25
	s_delay_alu instid0(VALU_DEP_3)
	v_cmpx_lt_u32_e64 v53, v25
	s_cbranch_execz .LBB9_481
; %bb.471:
	s_mov_b32 s0, 0
	s_mov_b32 s24, exec_lo
	v_cmpx_lt_u32_e64 v50, v24
	s_cbranch_execz .LBB9_480
; %bb.472:
	v_cmp_ne_u32_e32 vcc_lo, 1, v35
	s_cbranch_vccnz .LBB9_478
; %bb.473:
	v_mad_nc_u64_u32 v[6:7], v52, s16, s[18:19]
	v_mad_nc_u64_u32 v[8:9], v55, s16, s[18:19]
	s_mov_b32 s27, 0
	s_mov_b64 s[6:7], s[16:17]
                                        ; implicit-def: $sgpr28
                                        ; implicit-def: $sgpr29
                                        ; implicit-def: $sgpr30
                                        ; implicit-def: $sgpr31
	s_delay_alu instid0(VALU_DEP_2) | instskip(NEXT) | instid1(VALU_DEP_2)
	v_mad_u32 v7, v51, s16, v7
	v_mad_u32 v9, v54, s16, v9
	s_delay_alu instid0(VALU_DEP_2) | instskip(NEXT) | instid1(VALU_DEP_2)
	v_mad_u32 v7, v52, s17, v7
	v_mad_u32 v9, v55, s17, v9
	s_branch .LBB9_475
.LBB9_474:                              ;   in Loop: Header=BB9_475 Depth=1
	s_or_b32 exec_lo, exec_lo, s33
	s_delay_alu instid0(SALU_CYCLE_1) | instskip(NEXT) | instid1(SALU_CYCLE_1)
	s_and_b32 s33, exec_lo, s29
	s_or_b32 s27, s33, s27
	s_and_not1_b32 s31, s31, exec_lo
	s_and_b32 s0, s0, exec_lo
	s_and_not1_b32 s28, s28, exec_lo
	s_and_b32 s33, s30, exec_lo
	s_or_b32 s31, s31, s0
	s_or_b32 s28, s28, s33
	s_and_not1_b32 exec_lo, exec_lo, s27
	s_cbranch_execz .LBB9_477
.LBB9_475:                              ; =>This Inner Loop Header: Depth=1
	global_load_u8 v20, v[6:7], off
	global_load_u8 v21, v[8:9], off
	s_and_not1_b32 s30, s30, exec_lo
	s_or_b32 s29, s29, exec_lo
	s_wait_loadcnt 0x1
	v_and_b32_e32 v20, 0xff, v20
	s_wait_loadcnt 0x0
	v_and_b32_e32 v21, 0xff, v21
	s_delay_alu instid0(VALU_DEP_1) | instskip(SKIP_2) | instid1(SALU_CYCLE_1)
	v_cmp_le_u16_e32 vcc_lo, v20, v21
	v_cmp_lt_u16_e64 s0, v20, v21
	s_and_b32 s33, vcc_lo, s31
	s_or_b32 s0, s0, s33
	s_delay_alu instid0(SALU_CYCLE_1) | instskip(NEXT) | instid1(SALU_CYCLE_1)
	s_and_b32 s33, s0, exec_lo
	s_or_b32 s30, s30, s33
	s_mov_b32 s33, exec_lo
	v_cmpx_eq_u16_e64 v20, v21
	s_cbranch_execz .LBB9_474
; %bb.476:                              ;   in Loop: Header=BB9_475 Depth=1
	s_add_nc_u64 s[6:7], s[6:7], -1
	v_add_nc_u64_e32 v[6:7], 1, v[6:7]
	s_cmp_eq_u64 s[6:7], 0
	v_add_nc_u64_e32 v[8:9], 1, v[8:9]
	s_cselect_b32 s31, -1, 0
	s_and_not1_b32 s29, s29, exec_lo
	s_and_b32 s31, s31, exec_lo
	s_and_not1_b32 s30, s30, exec_lo
	s_or_b32 s29, s29, s31
                                        ; implicit-def: $sgpr31
	s_branch .LBB9_474
.LBB9_477:
	s_or_b32 exec_lo, exec_lo, s27
	s_xor_b32 s0, s28, -1
	s_branch .LBB9_479
.LBB9_478:
	s_mov_b32 s0, -1
.LBB9_479:
	s_delay_alu instid0(SALU_CYCLE_1)
	s_and_b32 s0, s0, exec_lo
.LBB9_480:
	s_or_b32 exec_lo, exec_lo, s24
	s_delay_alu instid0(SALU_CYCLE_1)
	s_or_not1_b32 s24, s0, exec_lo
.LBB9_481:
	s_or_b32 exec_lo, exec_lo, s26
	v_dual_cndmask_b32 v6, v53, v50, s24 :: v_dual_cndmask_b32 v9, v46, v48, s25
	v_dual_cndmask_b32 v7, v25, v24, s24 :: v_dual_cndmask_b32 v8, v47, v49, s25
	s_delay_alu instid0(VALU_DEP_2) | instskip(SKIP_2) | instid1(VALU_DEP_3)
	v_dual_cndmask_b32 v13, v12, v13, s22 :: v_dual_add_nc_u32 v56, 1, v6
	v_dual_cndmask_b32 v12, v40, v41, s22 :: v_dual_cndmask_b32 v11, v10, v11, s15
	v_dual_cndmask_b32 v10, v17, v23, s15 :: v_dual_cndmask_b32 v17, v14, v16, s14
	v_add_min_u32_e64 v6, v7, -1, v56
	v_dual_cndmask_b32 v7, v42, v44, s23 :: v_dual_cndmask_b32 v16, v15, v22, s14
	v_dual_cndmask_b32 v15, v5, v3, s5 :: v_dual_cndmask_b32 v22, v56, v53, s24
	v_cndmask_b32_e64 v3, v51, v54, s24
	s_delay_alu instid0(VALU_DEP_4)
	v_lshl_add_u32 v6, v6, 3, v36
	ds_load_b64 v[20:21], v6
	v_dual_cndmask_b32 v6, v43, v45, s23 :: v_dual_cndmask_b32 v14, v4, v2, s5
	v_cndmask_b32_e64 v2, v52, v55, s24
	s_mov_b32 s5, exec_lo
	s_wait_dscnt 0x0
	v_dual_cndmask_b32 v5, v54, v21, s24 :: v_dual_cndmask_b32 v4, v55, v20, s24
	v_cmpx_lt_u32_e64 v22, v25
	s_cbranch_execz .LBB9_491
; %bb.482:
	v_dual_cndmask_b32 v22, v50, v56, s24 :: v_dual_cndmask_b32 v21, v21, v51, s24
	v_cndmask_b32_e64 v20, v20, v52, s24
	s_mov_b32 s14, exec_lo
	s_delay_alu instid0(VALU_DEP_2)
	v_cmpx_lt_u32_e64 v22, v24
	s_cbranch_execz .LBB9_490
; %bb.483:
	v_cmp_ne_u32_e32 vcc_lo, 1, v35
	s_cbranch_vccnz .LBB9_489
; %bb.484:
	v_mad_nc_u64_u32 v[22:23], v20, s16, s[18:19]
	v_mad_nc_u64_u32 v[24:25], v4, s16, s[18:19]
	s_mov_b32 s15, 0
	s_mov_b64 s[6:7], s[16:17]
                                        ; implicit-def: $sgpr22
                                        ; implicit-def: $sgpr23
                                        ; implicit-def: $sgpr24
                                        ; implicit-def: $sgpr25
	s_delay_alu instid0(VALU_DEP_2) | instskip(NEXT) | instid1(VALU_DEP_2)
	v_mad_u32 v23, v21, s16, v23
	v_mad_u32 v25, v5, s16, v25
	s_delay_alu instid0(VALU_DEP_2) | instskip(NEXT) | instid1(VALU_DEP_2)
	v_mad_u32 v23, v20, s17, v23
	v_mad_u32 v25, v4, s17, v25
	s_branch .LBB9_486
.LBB9_485:                              ;   in Loop: Header=BB9_486 Depth=1
	s_or_b32 exec_lo, exec_lo, s26
	s_delay_alu instid0(SALU_CYCLE_1) | instskip(NEXT) | instid1(SALU_CYCLE_1)
	s_and_b32 s26, exec_lo, s23
	s_or_b32 s15, s26, s15
	s_and_not1_b32 s25, s25, exec_lo
	s_and_b32 s0, s0, exec_lo
	s_and_not1_b32 s22, s22, exec_lo
	s_and_b32 s26, s24, exec_lo
	s_or_b32 s25, s25, s0
	s_or_b32 s22, s22, s26
	s_and_not1_b32 exec_lo, exec_lo, s15
	s_cbranch_execz .LBB9_488
.LBB9_486:                              ; =>This Inner Loop Header: Depth=1
	global_load_u8 v40, v[22:23], off
	global_load_u8 v41, v[24:25], off
	s_and_not1_b32 s24, s24, exec_lo
	s_or_b32 s23, s23, exec_lo
	s_wait_loadcnt 0x1
	v_and_b32_e32 v40, 0xff, v40
	s_wait_loadcnt 0x0
	v_and_b32_e32 v41, 0xff, v41
	s_delay_alu instid0(VALU_DEP_1) | instskip(SKIP_2) | instid1(SALU_CYCLE_1)
	v_cmp_le_u16_e32 vcc_lo, v40, v41
	v_cmp_lt_u16_e64 s0, v40, v41
	s_and_b32 s26, vcc_lo, s25
	s_or_b32 s0, s0, s26
	s_delay_alu instid0(SALU_CYCLE_1) | instskip(NEXT) | instid1(SALU_CYCLE_1)
	s_and_b32 s26, s0, exec_lo
	s_or_b32 s24, s24, s26
	s_mov_b32 s26, exec_lo
	v_cmpx_eq_u16_e64 v40, v41
	s_cbranch_execz .LBB9_485
; %bb.487:                              ;   in Loop: Header=BB9_486 Depth=1
	s_add_nc_u64 s[6:7], s[6:7], -1
	v_add_nc_u64_e32 v[22:23], 1, v[22:23]
	s_cmp_eq_u64 s[6:7], 0
	v_add_nc_u64_e32 v[24:25], 1, v[24:25]
	s_cselect_b32 s25, -1, 0
	s_and_not1_b32 s23, s23, exec_lo
	s_and_b32 s25, s25, exec_lo
	s_and_not1_b32 s24, s24, exec_lo
	s_or_b32 s23, s23, s25
                                        ; implicit-def: $sgpr25
	s_branch .LBB9_485
.LBB9_488:
	s_or_b32 exec_lo, exec_lo, s15
	v_dual_cndmask_b32 v5, v5, v21, s22 :: v_dual_cndmask_b32 v4, v4, v20, s22
.LBB9_489:
	s_delay_alu instid0(VALU_DEP_1)
	v_mov_b64_e32 v[20:21], v[4:5]
.LBB9_490:
	s_or_b32 exec_lo, exec_lo, s14
	s_delay_alu instid0(VALU_DEP_1)
	v_mov_b64_e32 v[4:5], v[20:21]
.LBB9_491:
	s_or_b32 exec_lo, exec_lo, s5
.LBB9_492:
	s_delay_alu instid0(SALU_CYCLE_1)
	s_or_b32 exec_lo, exec_lo, s1
	v_and_b32_e32 v40, 0x80, v38
	s_mov_b32 s1, exec_lo
	; wave barrier
	ds_store_b128 v39, v[14:17]
	ds_store_b128 v39, v[10:13] offset:16
	v_or_b32_e32 v20, 64, v40
	ds_store_b128 v39, v[6:9] offset:32
	ds_store_b128 v39, v[2:5] offset:48
	; wave barrier
	v_min_u32_e32 v24, v37, v20
	v_and_b32_e32 v20, 0x78, v38
	v_lshl_add_u32 v38, v40, 3, v36
	s_delay_alu instid0(VALU_DEP_3) | instskip(NEXT) | instid1(VALU_DEP_3)
	v_add_min_u32_e64 v25, v24, 64, v37
	v_min_u32_e32 v41, v37, v20
	v_sub_nc_u32_e32 v21, v24, v40
	s_delay_alu instid0(VALU_DEP_3) | instskip(NEXT) | instid1(VALU_DEP_2)
	v_sub_nc_u32_e32 v20, v25, v24
	v_min_u32_e32 v42, v41, v21
	s_delay_alu instid0(VALU_DEP_2) | instskip(NEXT) | instid1(VALU_DEP_1)
	v_sub_nc_u32_e64 v37, v41, v20 clamp
	v_cmpx_lt_u32_e64 v37, v42
	s_cbranch_execz .LBB9_502
; %bb.493:
	v_dual_lshlrev_b32 v20, 3, v24 :: v_dual_lshlrev_b32 v21, 3, v41
	s_mov_b32 s5, 0
	s_delay_alu instid0(VALU_DEP_1)
	v_add3_u32 v39, v36, v20, v21
	s_branch .LBB9_496
.LBB9_494:                              ;   in Loop: Header=BB9_496 Depth=1
	s_or_b32 exec_lo, exec_lo, s15
.LBB9_495:                              ;   in Loop: Header=BB9_496 Depth=1
	s_delay_alu instid0(VALU_DEP_1) | instskip(NEXT) | instid1(VALU_DEP_1)
	v_dual_add_nc_u32 v20, 1, v43 :: v_dual_cndmask_b32 v42, v42, v43, s14
	v_cndmask_b32_e64 v37, v20, v37, s14
	s_delay_alu instid0(VALU_DEP_1) | instskip(SKIP_1) | instid1(SALU_CYCLE_1)
	v_cmp_ge_u32_e32 vcc_lo, v37, v42
	s_or_b32 s5, vcc_lo, s5
	s_and_not1_b32 exec_lo, exec_lo, s5
	s_cbranch_execz .LBB9_501
.LBB9_496:                              ; =>This Loop Header: Depth=1
                                        ;     Child Loop BB9_499 Depth 2
	v_add_nc_u32_e32 v20, v42, v37
	v_cmp_ne_u32_e32 vcc_lo, 1, v35
	s_mov_b32 s14, 0
	s_delay_alu instid0(VALU_DEP_2)
	v_lshrrev_b32_e32 v43, 1, v20
	s_cbranch_vccnz .LBB9_495
; %bb.497:                              ;   in Loop: Header=BB9_496 Depth=1
	s_delay_alu instid0(VALU_DEP_1) | instskip(SKIP_3) | instid1(VALU_DEP_2)
	v_not_b32_e32 v20, v43
	v_lshl_add_u32 v21, v43, 3, v38
	s_mov_b32 s15, 0
	s_mov_b64 s[6:7], s[16:17]
                                        ; implicit-def: $sgpr14
                                        ; implicit-def: $sgpr22
                                        ; implicit-def: $sgpr23
                                        ; implicit-def: $sgpr24
	v_lshl_add_u32 v20, v20, 3, v39
	ds_load_b64 v[44:45], v20
	ds_load_b64 v[46:47], v21
	s_wait_dscnt 0x1
	v_mad_nc_u64_u32 v[20:21], v44, s16, s[18:19]
	s_wait_dscnt 0x0
	v_mad_nc_u64_u32 v[22:23], v46, s16, s[18:19]
	s_delay_alu instid0(VALU_DEP_2) | instskip(NEXT) | instid1(VALU_DEP_2)
	v_mad_u32 v21, v45, s16, v21
	v_mad_u32 v23, v47, s16, v23
	s_delay_alu instid0(VALU_DEP_2) | instskip(NEXT) | instid1(VALU_DEP_2)
	v_mad_u32 v21, v44, s17, v21
	v_mad_u32 v23, v46, s17, v23
	s_branch .LBB9_499
.LBB9_498:                              ;   in Loop: Header=BB9_499 Depth=2
	s_or_b32 exec_lo, exec_lo, s25
	s_delay_alu instid0(SALU_CYCLE_1) | instskip(NEXT) | instid1(SALU_CYCLE_1)
	s_and_b32 s25, exec_lo, s22
	s_or_b32 s15, s25, s15
	s_and_not1_b32 s24, s24, exec_lo
	s_and_b32 s0, s0, exec_lo
	s_and_not1_b32 s14, s14, exec_lo
	s_and_b32 s25, s23, exec_lo
	s_or_b32 s24, s24, s0
	s_or_b32 s14, s14, s25
	s_and_not1_b32 exec_lo, exec_lo, s15
	s_cbranch_execz .LBB9_494
.LBB9_499:                              ;   Parent Loop BB9_496 Depth=1
                                        ; =>  This Inner Loop Header: Depth=2
	global_load_u8 v44, v[20:21], off
	global_load_u8 v45, v[22:23], off
	s_and_not1_b32 s23, s23, exec_lo
	s_or_b32 s22, s22, exec_lo
	s_wait_loadcnt 0x1
	v_and_b32_e32 v44, 0xff, v44
	s_wait_loadcnt 0x0
	v_and_b32_e32 v45, 0xff, v45
	s_delay_alu instid0(VALU_DEP_1) | instskip(SKIP_2) | instid1(SALU_CYCLE_1)
	v_cmp_le_u16_e32 vcc_lo, v44, v45
	v_cmp_lt_u16_e64 s0, v44, v45
	s_and_b32 s25, vcc_lo, s24
	s_or_b32 s0, s0, s25
	s_delay_alu instid0(SALU_CYCLE_1) | instskip(NEXT) | instid1(SALU_CYCLE_1)
	s_and_b32 s25, s0, exec_lo
	s_or_b32 s23, s23, s25
	s_mov_b32 s25, exec_lo
	v_cmpx_eq_u16_e64 v44, v45
	s_cbranch_execz .LBB9_498
; %bb.500:                              ;   in Loop: Header=BB9_499 Depth=2
	s_add_nc_u64 s[6:7], s[6:7], -1
	v_add_nc_u64_e32 v[20:21], 1, v[20:21]
	s_cmp_eq_u64 s[6:7], 0
	v_add_nc_u64_e32 v[22:23], 1, v[22:23]
	s_cselect_b32 s24, -1, 0
	s_and_not1_b32 s22, s22, exec_lo
	s_and_b32 s24, s24, exec_lo
	s_and_not1_b32 s23, s23, exec_lo
	s_or_b32 s22, s22, s24
                                        ; implicit-def: $sgpr24
	s_branch .LBB9_498
.LBB9_501:
	s_or_b32 exec_lo, exec_lo, s5
.LBB9_502:
	s_delay_alu instid0(SALU_CYCLE_1) | instskip(SKIP_1) | instid1(VALU_DEP_1)
	s_or_b32 exec_lo, exec_lo, s1
	v_dual_add_nc_u32 v21, v24, v41 :: v_dual_add_nc_u32 v20, v37, v40
	v_sub_nc_u32_e32 v21, v21, v37
	s_delay_alu instid0(VALU_DEP_2) | instskip(NEXT) | instid1(VALU_DEP_2)
	v_cmp_le_u32_e32 vcc_lo, v20, v24
	v_cmp_le_u32_e64 s0, v21, v25
	s_or_b32 s0, vcc_lo, s0
	s_delay_alu instid0(SALU_CYCLE_1)
	s_and_saveexec_b32 s1, s0
	s_cbranch_execz .LBB9_593
; %bb.503:
	s_mov_b32 s5, exec_lo
	v_cmp_ge_u32_e32 vcc_lo, v20, v24
                                        ; implicit-def: $vgpr2_vgpr3
	v_cmpx_lt_u32_e64 v20, v24
; %bb.504:
	v_lshl_add_u32 v2, v37, 3, v38
	ds_load_b64 v[2:3], v2
; %bb.505:
	s_or_b32 exec_lo, exec_lo, s5
	v_cmp_ge_u32_e64 s5, v21, v25
	s_mov_b32 s6, exec_lo
                                        ; implicit-def: $vgpr4_vgpr5
	v_cmpx_lt_u32_e64 v21, v25
; %bb.506:
	v_lshl_add_u32 v4, v21, 3, v36
	ds_load_b64 v[4:5], v4
; %bb.507:
	s_or_b32 exec_lo, exec_lo, s6
	s_nor_b32 s0, vcc_lo, s5
	s_delay_alu instid0(SALU_CYCLE_1)
	s_and_saveexec_b32 s14, s0
	s_cbranch_execz .LBB9_516
; %bb.508:
	v_cmp_ne_u32_e32 vcc_lo, 1, v35
	s_cbranch_vccnz .LBB9_514
; %bb.509:
	s_wait_dscnt 0x0
	v_mad_nc_u64_u32 v[6:7], v4, s16, s[18:19]
	v_mad_nc_u64_u32 v[8:9], v2, s16, s[18:19]
	s_mov_b32 s15, 0
	s_mov_b64 s[6:7], s[16:17]
                                        ; implicit-def: $sgpr22
                                        ; implicit-def: $sgpr23
                                        ; implicit-def: $sgpr24
                                        ; implicit-def: $sgpr25
	s_delay_alu instid0(VALU_DEP_2) | instskip(NEXT) | instid1(VALU_DEP_2)
	v_mad_u32 v7, v5, s16, v7
	v_mad_u32 v9, v3, s16, v9
	s_delay_alu instid0(VALU_DEP_2) | instskip(NEXT) | instid1(VALU_DEP_2)
	v_mad_u32 v7, v4, s17, v7
	v_mad_u32 v9, v2, s17, v9
	s_branch .LBB9_511
.LBB9_510:                              ;   in Loop: Header=BB9_511 Depth=1
	s_or_b32 exec_lo, exec_lo, s26
	s_delay_alu instid0(SALU_CYCLE_1) | instskip(NEXT) | instid1(SALU_CYCLE_1)
	s_and_b32 s26, exec_lo, s23
	s_or_b32 s15, s26, s15
	s_and_not1_b32 s25, s25, exec_lo
	s_and_b32 s0, s0, exec_lo
	s_and_not1_b32 s22, s22, exec_lo
	s_and_b32 s26, s24, exec_lo
	s_or_b32 s25, s25, s0
	s_or_b32 s22, s22, s26
	s_and_not1_b32 exec_lo, exec_lo, s15
	s_cbranch_execz .LBB9_513
.LBB9_511:                              ; =>This Inner Loop Header: Depth=1
	global_load_u8 v10, v[6:7], off
	global_load_u8 v11, v[8:9], off
	s_and_not1_b32 s24, s24, exec_lo
	s_or_b32 s23, s23, exec_lo
	s_wait_loadcnt 0x1
	v_and_b32_e32 v10, 0xff, v10
	s_wait_loadcnt 0x0
	v_and_b32_e32 v11, 0xff, v11
	s_delay_alu instid0(VALU_DEP_1) | instskip(SKIP_2) | instid1(SALU_CYCLE_1)
	v_cmp_le_u16_e32 vcc_lo, v10, v11
	v_cmp_lt_u16_e64 s0, v10, v11
	s_and_b32 s26, vcc_lo, s25
	s_or_b32 s0, s0, s26
	s_delay_alu instid0(SALU_CYCLE_1) | instskip(NEXT) | instid1(SALU_CYCLE_1)
	s_and_b32 s26, s0, exec_lo
	s_or_b32 s24, s24, s26
	s_mov_b32 s26, exec_lo
	v_cmpx_eq_u16_e64 v10, v11
	s_cbranch_execz .LBB9_510
; %bb.512:                              ;   in Loop: Header=BB9_511 Depth=1
	s_add_nc_u64 s[6:7], s[6:7], -1
	v_add_nc_u64_e32 v[6:7], 1, v[6:7]
	s_cmp_eq_u64 s[6:7], 0
	v_add_nc_u64_e32 v[8:9], 1, v[8:9]
	s_cselect_b32 s25, -1, 0
	s_and_not1_b32 s23, s23, exec_lo
	s_and_b32 s25, s25, exec_lo
	s_and_not1_b32 s24, s24, exec_lo
	s_or_b32 s23, s23, s25
                                        ; implicit-def: $sgpr25
	s_branch .LBB9_510
.LBB9_513:
	s_or_b32 exec_lo, exec_lo, s15
	s_xor_b32 s0, s22, -1
	s_branch .LBB9_515
.LBB9_514:
	s_mov_b32 s0, -1
.LBB9_515:
	s_and_not1_b32 s5, s5, exec_lo
	s_and_b32 s0, s0, exec_lo
	s_delay_alu instid0(SALU_CYCLE_1)
	s_or_b32 s5, s5, s0
.LBB9_516:
	s_or_b32 exec_lo, exec_lo, s14
	v_cndmask_b32_e64 v6, v21, v20, s5
	v_cndmask_b32_e64 v7, v25, v24, s5
	s_mov_b32 s15, -1
	s_mov_b32 s14, -1
	s_mov_b32 s22, exec_lo
	v_add_nc_u32_e32 v8, 1, v6
	s_delay_alu instid0(VALU_DEP_1) | instskip(SKIP_1) | instid1(VALU_DEP_2)
	v_add_min_u32_e64 v6, v7, -1, v8
	v_cndmask_b32_e64 v10, v8, v21, s5
	v_lshl_add_u32 v6, v6, 3, v36
	ds_load_b64 v[6:7], v6
	s_wait_dscnt 0x0
	v_dual_cndmask_b32 v11, v20, v8, s5 :: v_dual_cndmask_b32 v14, v7, v5, s5
	v_dual_cndmask_b32 v15, v6, v4, s5 :: v_dual_cndmask_b32 v16, v3, v7, s5
	v_cndmask_b32_e64 v22, v2, v6, s5
	v_cmpx_lt_u32_e64 v10, v25
	s_cbranch_execz .LBB9_527
; %bb.517:
	s_mov_b32 s0, 0
	s_mov_b32 s14, exec_lo
	v_cmpx_lt_u32_e64 v11, v24
	s_cbranch_execz .LBB9_526
; %bb.518:
	v_cmp_ne_u32_e32 vcc_lo, 1, v35
	s_cbranch_vccnz .LBB9_524
; %bb.519:
	v_mad_nc_u64_u32 v[6:7], v15, s16, s[18:19]
	v_mad_nc_u64_u32 v[8:9], v22, s16, s[18:19]
	s_mov_b32 s23, 0
	s_mov_b64 s[6:7], s[16:17]
                                        ; implicit-def: $sgpr24
                                        ; implicit-def: $sgpr25
                                        ; implicit-def: $sgpr26
                                        ; implicit-def: $sgpr27
	s_delay_alu instid0(VALU_DEP_2) | instskip(NEXT) | instid1(VALU_DEP_2)
	v_mad_u32 v7, v14, s16, v7
	v_mad_u32 v9, v16, s16, v9
	s_delay_alu instid0(VALU_DEP_2) | instskip(NEXT) | instid1(VALU_DEP_2)
	v_mad_u32 v7, v15, s17, v7
	v_mad_u32 v9, v22, s17, v9
	s_branch .LBB9_521
.LBB9_520:                              ;   in Loop: Header=BB9_521 Depth=1
	s_or_b32 exec_lo, exec_lo, s28
	s_delay_alu instid0(SALU_CYCLE_1) | instskip(NEXT) | instid1(SALU_CYCLE_1)
	s_and_b32 s28, exec_lo, s25
	s_or_b32 s23, s28, s23
	s_and_not1_b32 s27, s27, exec_lo
	s_and_b32 s0, s0, exec_lo
	s_and_not1_b32 s24, s24, exec_lo
	s_and_b32 s28, s26, exec_lo
	s_or_b32 s27, s27, s0
	s_or_b32 s24, s24, s28
	s_and_not1_b32 exec_lo, exec_lo, s23
	s_cbranch_execz .LBB9_523
.LBB9_521:                              ; =>This Inner Loop Header: Depth=1
	global_load_u8 v12, v[6:7], off
	global_load_u8 v13, v[8:9], off
	s_and_not1_b32 s26, s26, exec_lo
	s_or_b32 s25, s25, exec_lo
	s_wait_loadcnt 0x1
	v_and_b32_e32 v12, 0xff, v12
	s_wait_loadcnt 0x0
	v_and_b32_e32 v13, 0xff, v13
	s_delay_alu instid0(VALU_DEP_1) | instskip(SKIP_2) | instid1(SALU_CYCLE_1)
	v_cmp_le_u16_e32 vcc_lo, v12, v13
	v_cmp_lt_u16_e64 s0, v12, v13
	s_and_b32 s28, vcc_lo, s27
	s_or_b32 s0, s0, s28
	s_delay_alu instid0(SALU_CYCLE_1) | instskip(NEXT) | instid1(SALU_CYCLE_1)
	s_and_b32 s28, s0, exec_lo
	s_or_b32 s26, s26, s28
	s_mov_b32 s28, exec_lo
	v_cmpx_eq_u16_e64 v12, v13
	s_cbranch_execz .LBB9_520
; %bb.522:                              ;   in Loop: Header=BB9_521 Depth=1
	s_add_nc_u64 s[6:7], s[6:7], -1
	v_add_nc_u64_e32 v[6:7], 1, v[6:7]
	s_cmp_eq_u64 s[6:7], 0
	v_add_nc_u64_e32 v[8:9], 1, v[8:9]
	s_cselect_b32 s27, -1, 0
	s_and_not1_b32 s25, s25, exec_lo
	s_and_b32 s27, s27, exec_lo
	s_and_not1_b32 s26, s26, exec_lo
	s_or_b32 s25, s25, s27
                                        ; implicit-def: $sgpr27
	s_branch .LBB9_520
.LBB9_523:
	s_or_b32 exec_lo, exec_lo, s23
	s_xor_b32 s0, s24, -1
	s_branch .LBB9_525
.LBB9_524:
	s_mov_b32 s0, -1
.LBB9_525:
	s_delay_alu instid0(SALU_CYCLE_1)
	s_and_b32 s0, s0, exec_lo
.LBB9_526:
	s_or_b32 exec_lo, exec_lo, s14
	s_delay_alu instid0(SALU_CYCLE_1)
	s_or_not1_b32 s14, s0, exec_lo
.LBB9_527:
	s_or_b32 exec_lo, exec_lo, s22
	v_dual_cndmask_b32 v6, v10, v11, s14 :: v_dual_cndmask_b32 v7, v25, v24, s14
	s_mov_b32 s22, exec_lo
	s_delay_alu instid0(VALU_DEP_1) | instskip(NEXT) | instid1(VALU_DEP_1)
	v_add_nc_u32_e32 v8, 1, v6
	v_add_min_u32_e64 v6, v7, -1, v8
	s_delay_alu instid0(VALU_DEP_1)
	v_lshl_add_u32 v6, v6, 3, v36
	ds_load_b64 v[6:7], v6
	s_wait_dscnt 0x0
	v_dual_cndmask_b32 v17, v6, v15, s14 :: v_dual_cndmask_b32 v12, v8, v10, s14
	v_cndmask_b32_e64 v13, v11, v8, s14
	v_dual_cndmask_b32 v10, v7, v14, s14 :: v_dual_cndmask_b32 v11, v16, v7, s14
	v_cndmask_b32_e64 v23, v22, v6, s14
	s_delay_alu instid0(VALU_DEP_4)
	v_cmpx_lt_u32_e64 v12, v25
	s_cbranch_execz .LBB9_538
; %bb.528:
	s_mov_b32 s0, 0
	s_mov_b32 s15, exec_lo
	v_cmpx_lt_u32_e64 v13, v24
	s_cbranch_execz .LBB9_537
; %bb.529:
	v_cmp_ne_u32_e32 vcc_lo, 1, v35
	s_cbranch_vccnz .LBB9_535
; %bb.530:
	v_mad_nc_u64_u32 v[6:7], v17, s16, s[18:19]
	v_mad_nc_u64_u32 v[8:9], v23, s16, s[18:19]
	s_mov_b32 s23, 0
	s_mov_b64 s[6:7], s[16:17]
                                        ; implicit-def: $sgpr24
                                        ; implicit-def: $sgpr25
                                        ; implicit-def: $sgpr26
                                        ; implicit-def: $sgpr27
	s_delay_alu instid0(VALU_DEP_2) | instskip(NEXT) | instid1(VALU_DEP_2)
	v_mad_u32 v7, v10, s16, v7
	v_mad_u32 v9, v11, s16, v9
	s_delay_alu instid0(VALU_DEP_2) | instskip(NEXT) | instid1(VALU_DEP_2)
	v_mad_u32 v7, v17, s17, v7
	v_mad_u32 v9, v23, s17, v9
	s_branch .LBB9_532
.LBB9_531:                              ;   in Loop: Header=BB9_532 Depth=1
	s_or_b32 exec_lo, exec_lo, s28
	s_delay_alu instid0(SALU_CYCLE_1) | instskip(NEXT) | instid1(SALU_CYCLE_1)
	s_and_b32 s28, exec_lo, s25
	s_or_b32 s23, s28, s23
	s_and_not1_b32 s27, s27, exec_lo
	s_and_b32 s0, s0, exec_lo
	s_and_not1_b32 s24, s24, exec_lo
	s_and_b32 s28, s26, exec_lo
	s_or_b32 s27, s27, s0
	s_or_b32 s24, s24, s28
	s_and_not1_b32 exec_lo, exec_lo, s23
	s_cbranch_execz .LBB9_534
.LBB9_532:                              ; =>This Inner Loop Header: Depth=1
	global_load_u8 v20, v[6:7], off
	global_load_u8 v21, v[8:9], off
	s_and_not1_b32 s26, s26, exec_lo
	s_or_b32 s25, s25, exec_lo
	s_wait_loadcnt 0x1
	v_and_b32_e32 v20, 0xff, v20
	s_wait_loadcnt 0x0
	v_and_b32_e32 v21, 0xff, v21
	s_delay_alu instid0(VALU_DEP_1) | instskip(SKIP_2) | instid1(SALU_CYCLE_1)
	v_cmp_le_u16_e32 vcc_lo, v20, v21
	v_cmp_lt_u16_e64 s0, v20, v21
	s_and_b32 s28, vcc_lo, s27
	s_or_b32 s0, s0, s28
	s_delay_alu instid0(SALU_CYCLE_1) | instskip(NEXT) | instid1(SALU_CYCLE_1)
	s_and_b32 s28, s0, exec_lo
	s_or_b32 s26, s26, s28
	s_mov_b32 s28, exec_lo
	v_cmpx_eq_u16_e64 v20, v21
	s_cbranch_execz .LBB9_531
; %bb.533:                              ;   in Loop: Header=BB9_532 Depth=1
	s_add_nc_u64 s[6:7], s[6:7], -1
	v_add_nc_u64_e32 v[6:7], 1, v[6:7]
	s_cmp_eq_u64 s[6:7], 0
	v_add_nc_u64_e32 v[8:9], 1, v[8:9]
	s_cselect_b32 s27, -1, 0
	s_and_not1_b32 s25, s25, exec_lo
	s_and_b32 s27, s27, exec_lo
	s_and_not1_b32 s26, s26, exec_lo
	s_or_b32 s25, s25, s27
                                        ; implicit-def: $sgpr27
	s_branch .LBB9_531
.LBB9_534:
	s_or_b32 exec_lo, exec_lo, s23
	s_xor_b32 s0, s24, -1
	s_branch .LBB9_536
.LBB9_535:
	s_mov_b32 s0, -1
.LBB9_536:
	s_delay_alu instid0(SALU_CYCLE_1)
	s_and_b32 s0, s0, exec_lo
.LBB9_537:
	s_or_b32 exec_lo, exec_lo, s15
	s_delay_alu instid0(SALU_CYCLE_1)
	s_or_not1_b32 s15, s0, exec_lo
.LBB9_538:
	s_or_b32 exec_lo, exec_lo, s22
	v_dual_cndmask_b32 v6, v12, v13, s15 :: v_dual_cndmask_b32 v7, v25, v24, s15
	s_mov_b32 s23, -1
	s_mov_b32 s22, -1
	s_mov_b32 s24, exec_lo
	s_delay_alu instid0(VALU_DEP_1) | instskip(NEXT) | instid1(VALU_DEP_1)
	v_add_nc_u32_e32 v8, 1, v6
	v_add_min_u32_e64 v6, v7, -1, v8
	s_delay_alu instid0(VALU_DEP_1)
	v_lshl_add_u32 v6, v6, 3, v36
	ds_load_b64 v[6:7], v6
	s_wait_dscnt 0x0
	v_dual_cndmask_b32 v37, v6, v17, s15 :: v_dual_cndmask_b32 v20, v8, v12, s15
	v_dual_cndmask_b32 v12, v7, v10, s15 :: v_dual_cndmask_b32 v21, v13, v8, s15
	v_cndmask_b32_e64 v13, v11, v7, s15
	v_cndmask_b32_e64 v38, v23, v6, s15
	s_delay_alu instid0(VALU_DEP_4)
	v_cmpx_lt_u32_e64 v20, v25
	s_cbranch_execz .LBB9_549
; %bb.539:
	s_mov_b32 s0, 0
	s_mov_b32 s22, exec_lo
	v_cmpx_lt_u32_e64 v21, v24
	s_cbranch_execz .LBB9_548
; %bb.540:
	v_cmp_ne_u32_e32 vcc_lo, 1, v35
	s_cbranch_vccnz .LBB9_546
; %bb.541:
	v_mad_nc_u64_u32 v[6:7], v37, s16, s[18:19]
	v_mad_nc_u64_u32 v[8:9], v38, s16, s[18:19]
	s_mov_b32 s25, 0
	s_mov_b64 s[6:7], s[16:17]
                                        ; implicit-def: $sgpr26
                                        ; implicit-def: $sgpr27
                                        ; implicit-def: $sgpr28
                                        ; implicit-def: $sgpr29
	s_delay_alu instid0(VALU_DEP_2) | instskip(NEXT) | instid1(VALU_DEP_2)
	v_mad_u32 v7, v12, s16, v7
	v_mad_u32 v9, v13, s16, v9
	s_delay_alu instid0(VALU_DEP_2) | instskip(NEXT) | instid1(VALU_DEP_2)
	v_mad_u32 v7, v37, s17, v7
	v_mad_u32 v9, v38, s17, v9
	s_branch .LBB9_543
.LBB9_542:                              ;   in Loop: Header=BB9_543 Depth=1
	s_or_b32 exec_lo, exec_lo, s30
	s_delay_alu instid0(SALU_CYCLE_1) | instskip(NEXT) | instid1(SALU_CYCLE_1)
	s_and_b32 s30, exec_lo, s27
	s_or_b32 s25, s30, s25
	s_and_not1_b32 s29, s29, exec_lo
	s_and_b32 s0, s0, exec_lo
	s_and_not1_b32 s26, s26, exec_lo
	s_and_b32 s30, s28, exec_lo
	s_or_b32 s29, s29, s0
	s_or_b32 s26, s26, s30
	s_and_not1_b32 exec_lo, exec_lo, s25
	s_cbranch_execz .LBB9_545
.LBB9_543:                              ; =>This Inner Loop Header: Depth=1
	global_load_u8 v39, v[6:7], off
	global_load_u8 v40, v[8:9], off
	s_and_not1_b32 s28, s28, exec_lo
	s_or_b32 s27, s27, exec_lo
	s_wait_loadcnt 0x1
	v_and_b32_e32 v39, 0xff, v39
	s_wait_loadcnt 0x0
	v_and_b32_e32 v40, 0xff, v40
	s_delay_alu instid0(VALU_DEP_1) | instskip(SKIP_2) | instid1(SALU_CYCLE_1)
	v_cmp_le_u16_e32 vcc_lo, v39, v40
	v_cmp_lt_u16_e64 s0, v39, v40
	s_and_b32 s30, vcc_lo, s29
	s_or_b32 s0, s0, s30
	s_delay_alu instid0(SALU_CYCLE_1) | instskip(NEXT) | instid1(SALU_CYCLE_1)
	s_and_b32 s30, s0, exec_lo
	s_or_b32 s28, s28, s30
	s_mov_b32 s30, exec_lo
	v_cmpx_eq_u16_e64 v39, v40
	s_cbranch_execz .LBB9_542
; %bb.544:                              ;   in Loop: Header=BB9_543 Depth=1
	s_add_nc_u64 s[6:7], s[6:7], -1
	v_add_nc_u64_e32 v[6:7], 1, v[6:7]
	s_cmp_eq_u64 s[6:7], 0
	v_add_nc_u64_e32 v[8:9], 1, v[8:9]
	s_cselect_b32 s29, -1, 0
	s_and_not1_b32 s27, s27, exec_lo
	s_and_b32 s29, s29, exec_lo
	s_and_not1_b32 s28, s28, exec_lo
	s_or_b32 s27, s27, s29
                                        ; implicit-def: $sgpr29
	s_branch .LBB9_542
.LBB9_545:
	s_or_b32 exec_lo, exec_lo, s25
	s_xor_b32 s0, s26, -1
	s_branch .LBB9_547
.LBB9_546:
	s_mov_b32 s0, -1
.LBB9_547:
	s_delay_alu instid0(SALU_CYCLE_1)
	s_and_b32 s0, s0, exec_lo
.LBB9_548:
	s_or_b32 exec_lo, exec_lo, s22
	s_delay_alu instid0(SALU_CYCLE_1)
	s_or_not1_b32 s22, s0, exec_lo
.LBB9_549:
	s_or_b32 exec_lo, exec_lo, s24
	v_dual_cndmask_b32 v6, v20, v21, s22 :: v_dual_cndmask_b32 v7, v25, v24, s22
	s_mov_b32 s24, exec_lo
	s_delay_alu instid0(VALU_DEP_1) | instskip(NEXT) | instid1(VALU_DEP_1)
	v_add_nc_u32_e32 v8, 1, v6
	v_add_min_u32_e64 v6, v7, -1, v8
	s_delay_alu instid0(VALU_DEP_1)
	v_lshl_add_u32 v6, v6, 3, v36
	ds_load_b64 v[6:7], v6
	s_wait_dscnt 0x0
	v_cndmask_b32_e64 v39, v7, v12, s22
	v_dual_cndmask_b32 v20, v8, v20, s22 :: v_dual_cndmask_b32 v40, v6, v37, s22
	v_dual_cndmask_b32 v21, v21, v8, s22 :: v_dual_cndmask_b32 v42, v38, v6, s22
	v_cndmask_b32_e64 v41, v13, v7, s22
	s_delay_alu instid0(VALU_DEP_3)
	v_cmpx_lt_u32_e64 v20, v25
	s_cbranch_execz .LBB9_560
; %bb.550:
	s_mov_b32 s0, 0
	s_mov_b32 s23, exec_lo
	v_cmpx_lt_u32_e64 v21, v24
	s_cbranch_execz .LBB9_559
; %bb.551:
	v_cmp_ne_u32_e32 vcc_lo, 1, v35
	s_cbranch_vccnz .LBB9_557
; %bb.552:
	v_mad_nc_u64_u32 v[6:7], v40, s16, s[18:19]
	v_mad_nc_u64_u32 v[8:9], v42, s16, s[18:19]
	s_mov_b32 s25, 0
	s_mov_b64 s[6:7], s[16:17]
                                        ; implicit-def: $sgpr26
                                        ; implicit-def: $sgpr27
                                        ; implicit-def: $sgpr28
                                        ; implicit-def: $sgpr29
	s_delay_alu instid0(VALU_DEP_2) | instskip(NEXT) | instid1(VALU_DEP_2)
	v_mad_u32 v7, v39, s16, v7
	v_mad_u32 v9, v41, s16, v9
	s_delay_alu instid0(VALU_DEP_2) | instskip(NEXT) | instid1(VALU_DEP_2)
	v_mad_u32 v7, v40, s17, v7
	v_mad_u32 v9, v42, s17, v9
	s_branch .LBB9_554
.LBB9_553:                              ;   in Loop: Header=BB9_554 Depth=1
	s_or_b32 exec_lo, exec_lo, s30
	s_delay_alu instid0(SALU_CYCLE_1) | instskip(NEXT) | instid1(SALU_CYCLE_1)
	s_and_b32 s30, exec_lo, s27
	s_or_b32 s25, s30, s25
	s_and_not1_b32 s29, s29, exec_lo
	s_and_b32 s0, s0, exec_lo
	s_and_not1_b32 s26, s26, exec_lo
	s_and_b32 s30, s28, exec_lo
	s_or_b32 s29, s29, s0
	s_or_b32 s26, s26, s30
	s_and_not1_b32 exec_lo, exec_lo, s25
	s_cbranch_execz .LBB9_556
.LBB9_554:                              ; =>This Inner Loop Header: Depth=1
	global_load_u8 v43, v[6:7], off
	global_load_u8 v44, v[8:9], off
	s_and_not1_b32 s28, s28, exec_lo
	s_or_b32 s27, s27, exec_lo
	s_wait_loadcnt 0x1
	v_and_b32_e32 v43, 0xff, v43
	s_wait_loadcnt 0x0
	v_and_b32_e32 v44, 0xff, v44
	s_delay_alu instid0(VALU_DEP_1) | instskip(SKIP_2) | instid1(SALU_CYCLE_1)
	v_cmp_le_u16_e32 vcc_lo, v43, v44
	v_cmp_lt_u16_e64 s0, v43, v44
	s_and_b32 s30, vcc_lo, s29
	s_or_b32 s0, s0, s30
	s_delay_alu instid0(SALU_CYCLE_1) | instskip(NEXT) | instid1(SALU_CYCLE_1)
	s_and_b32 s30, s0, exec_lo
	s_or_b32 s28, s28, s30
	s_mov_b32 s30, exec_lo
	v_cmpx_eq_u16_e64 v43, v44
	s_cbranch_execz .LBB9_553
; %bb.555:                              ;   in Loop: Header=BB9_554 Depth=1
	s_add_nc_u64 s[6:7], s[6:7], -1
	v_add_nc_u64_e32 v[6:7], 1, v[6:7]
	s_cmp_eq_u64 s[6:7], 0
	v_add_nc_u64_e32 v[8:9], 1, v[8:9]
	s_cselect_b32 s29, -1, 0
	s_and_not1_b32 s27, s27, exec_lo
	s_and_b32 s29, s29, exec_lo
	s_and_not1_b32 s28, s28, exec_lo
	s_or_b32 s27, s27, s29
                                        ; implicit-def: $sgpr29
	s_branch .LBB9_553
.LBB9_556:
	s_or_b32 exec_lo, exec_lo, s25
	s_xor_b32 s0, s26, -1
	s_branch .LBB9_558
.LBB9_557:
	s_mov_b32 s0, -1
.LBB9_558:
	s_delay_alu instid0(SALU_CYCLE_1)
	s_and_b32 s0, s0, exec_lo
.LBB9_559:
	s_or_b32 exec_lo, exec_lo, s23
	s_delay_alu instid0(SALU_CYCLE_1)
	s_or_not1_b32 s23, s0, exec_lo
.LBB9_560:
	s_or_b32 exec_lo, exec_lo, s24
	v_dual_cndmask_b32 v6, v20, v21, s23 :: v_dual_cndmask_b32 v7, v25, v24, s23
	s_mov_b32 s24, -1
	s_mov_b32 s25, -1
	s_mov_b32 s26, exec_lo
	s_delay_alu instid0(VALU_DEP_1) | instskip(NEXT) | instid1(VALU_DEP_1)
	v_add_nc_u32_e32 v8, 1, v6
	v_add_min_u32_e64 v6, v7, -1, v8
	s_delay_alu instid0(VALU_DEP_1)
	v_lshl_add_u32 v6, v6, 3, v36
	ds_load_b64 v[6:7], v6
	s_wait_dscnt 0x0
	v_dual_cndmask_b32 v43, v7, v39, s23 :: v_dual_cndmask_b32 v20, v8, v20, s23
	v_cndmask_b32_e64 v45, v41, v7, s23
	v_dual_cndmask_b32 v21, v21, v8, s23 :: v_dual_cndmask_b32 v46, v42, v6, s23
	v_cndmask_b32_e64 v44, v6, v40, s23
	s_delay_alu instid0(VALU_DEP_4)
	v_cmpx_lt_u32_e64 v20, v25
	s_cbranch_execz .LBB9_571
; %bb.561:
	s_mov_b32 s0, 0
	s_mov_b32 s25, exec_lo
	v_cmpx_lt_u32_e64 v21, v24
	s_cbranch_execz .LBB9_570
; %bb.562:
	v_cmp_ne_u32_e32 vcc_lo, 1, v35
	s_cbranch_vccnz .LBB9_568
; %bb.563:
	v_mad_nc_u64_u32 v[6:7], v44, s16, s[18:19]
	v_mad_nc_u64_u32 v[8:9], v46, s16, s[18:19]
	s_mov_b32 s27, 0
	s_mov_b64 s[6:7], s[16:17]
                                        ; implicit-def: $sgpr28
                                        ; implicit-def: $sgpr29
                                        ; implicit-def: $sgpr30
                                        ; implicit-def: $sgpr31
	s_delay_alu instid0(VALU_DEP_2) | instskip(NEXT) | instid1(VALU_DEP_2)
	v_mad_u32 v7, v43, s16, v7
	v_mad_u32 v9, v45, s16, v9
	s_delay_alu instid0(VALU_DEP_2) | instskip(NEXT) | instid1(VALU_DEP_2)
	v_mad_u32 v7, v44, s17, v7
	v_mad_u32 v9, v46, s17, v9
	s_branch .LBB9_565
.LBB9_564:                              ;   in Loop: Header=BB9_565 Depth=1
	s_or_b32 exec_lo, exec_lo, s33
	s_delay_alu instid0(SALU_CYCLE_1) | instskip(NEXT) | instid1(SALU_CYCLE_1)
	s_and_b32 s33, exec_lo, s29
	s_or_b32 s27, s33, s27
	s_and_not1_b32 s31, s31, exec_lo
	s_and_b32 s0, s0, exec_lo
	s_and_not1_b32 s28, s28, exec_lo
	s_and_b32 s33, s30, exec_lo
	s_or_b32 s31, s31, s0
	s_or_b32 s28, s28, s33
	s_and_not1_b32 exec_lo, exec_lo, s27
	s_cbranch_execz .LBB9_567
.LBB9_565:                              ; =>This Inner Loop Header: Depth=1
	global_load_u8 v47, v[6:7], off
	global_load_u8 v48, v[8:9], off
	s_and_not1_b32 s30, s30, exec_lo
	s_or_b32 s29, s29, exec_lo
	s_wait_loadcnt 0x1
	v_and_b32_e32 v47, 0xff, v47
	s_wait_loadcnt 0x0
	v_and_b32_e32 v48, 0xff, v48
	s_delay_alu instid0(VALU_DEP_1) | instskip(SKIP_2) | instid1(SALU_CYCLE_1)
	v_cmp_le_u16_e32 vcc_lo, v47, v48
	v_cmp_lt_u16_e64 s0, v47, v48
	s_and_b32 s33, vcc_lo, s31
	s_or_b32 s0, s0, s33
	s_delay_alu instid0(SALU_CYCLE_1) | instskip(NEXT) | instid1(SALU_CYCLE_1)
	s_and_b32 s33, s0, exec_lo
	s_or_b32 s30, s30, s33
	s_mov_b32 s33, exec_lo
	v_cmpx_eq_u16_e64 v47, v48
	s_cbranch_execz .LBB9_564
; %bb.566:                              ;   in Loop: Header=BB9_565 Depth=1
	s_add_nc_u64 s[6:7], s[6:7], -1
	v_add_nc_u64_e32 v[6:7], 1, v[6:7]
	s_cmp_eq_u64 s[6:7], 0
	v_add_nc_u64_e32 v[8:9], 1, v[8:9]
	s_cselect_b32 s31, -1, 0
	s_and_not1_b32 s29, s29, exec_lo
	s_and_b32 s31, s31, exec_lo
	s_and_not1_b32 s30, s30, exec_lo
	s_or_b32 s29, s29, s31
                                        ; implicit-def: $sgpr31
	s_branch .LBB9_564
.LBB9_567:
	s_or_b32 exec_lo, exec_lo, s27
	s_xor_b32 s0, s28, -1
	s_branch .LBB9_569
.LBB9_568:
	s_mov_b32 s0, -1
.LBB9_569:
	s_delay_alu instid0(SALU_CYCLE_1)
	s_and_b32 s0, s0, exec_lo
.LBB9_570:
	s_or_b32 exec_lo, exec_lo, s25
	s_delay_alu instid0(SALU_CYCLE_1)
	s_or_not1_b32 s25, s0, exec_lo
.LBB9_571:
	s_or_b32 exec_lo, exec_lo, s26
	v_dual_cndmask_b32 v6, v20, v21, s25 :: v_dual_cndmask_b32 v7, v25, v24, s25
	s_mov_b32 s26, exec_lo
	s_delay_alu instid0(VALU_DEP_1) | instskip(NEXT) | instid1(VALU_DEP_1)
	v_add_nc_u32_e32 v8, 1, v6
	v_add_min_u32_e64 v6, v7, -1, v8
	s_delay_alu instid0(VALU_DEP_1)
	v_lshl_add_u32 v6, v6, 3, v36
	ds_load_b64 v[6:7], v6
	s_wait_dscnt 0x0
	v_dual_cndmask_b32 v48, v7, v43, s25 :: v_dual_cndmask_b32 v50, v8, v20, s25
	v_cndmask_b32_e64 v51, v45, v7, s25
	v_dual_cndmask_b32 v47, v21, v8, s25 :: v_dual_cndmask_b32 v52, v46, v6, s25
	v_cndmask_b32_e64 v49, v6, v44, s25
	s_delay_alu instid0(VALU_DEP_4)
	v_cmpx_lt_u32_e64 v50, v25
	s_cbranch_execz .LBB9_582
; %bb.572:
	s_mov_b32 s0, 0
	s_mov_b32 s24, exec_lo
	v_cmpx_lt_u32_e64 v47, v24
	s_cbranch_execz .LBB9_581
; %bb.573:
	v_cmp_ne_u32_e32 vcc_lo, 1, v35
	s_cbranch_vccnz .LBB9_579
; %bb.574:
	v_mad_nc_u64_u32 v[6:7], v49, s16, s[18:19]
	v_mad_nc_u64_u32 v[8:9], v52, s16, s[18:19]
	s_mov_b32 s27, 0
	s_mov_b64 s[6:7], s[16:17]
                                        ; implicit-def: $sgpr28
                                        ; implicit-def: $sgpr29
                                        ; implicit-def: $sgpr30
                                        ; implicit-def: $sgpr31
	s_delay_alu instid0(VALU_DEP_2) | instskip(NEXT) | instid1(VALU_DEP_2)
	v_mad_u32 v7, v48, s16, v7
	v_mad_u32 v9, v51, s16, v9
	s_delay_alu instid0(VALU_DEP_2) | instskip(NEXT) | instid1(VALU_DEP_2)
	v_mad_u32 v7, v49, s17, v7
	v_mad_u32 v9, v52, s17, v9
	s_branch .LBB9_576
.LBB9_575:                              ;   in Loop: Header=BB9_576 Depth=1
	s_or_b32 exec_lo, exec_lo, s33
	s_delay_alu instid0(SALU_CYCLE_1) | instskip(NEXT) | instid1(SALU_CYCLE_1)
	s_and_b32 s33, exec_lo, s29
	s_or_b32 s27, s33, s27
	s_and_not1_b32 s31, s31, exec_lo
	s_and_b32 s0, s0, exec_lo
	s_and_not1_b32 s28, s28, exec_lo
	s_and_b32 s33, s30, exec_lo
	s_or_b32 s31, s31, s0
	s_or_b32 s28, s28, s33
	s_and_not1_b32 exec_lo, exec_lo, s27
	s_cbranch_execz .LBB9_578
.LBB9_576:                              ; =>This Inner Loop Header: Depth=1
	global_load_u8 v20, v[6:7], off
	global_load_u8 v21, v[8:9], off
	s_and_not1_b32 s30, s30, exec_lo
	s_or_b32 s29, s29, exec_lo
	s_wait_loadcnt 0x1
	v_and_b32_e32 v20, 0xff, v20
	s_wait_loadcnt 0x0
	v_and_b32_e32 v21, 0xff, v21
	s_delay_alu instid0(VALU_DEP_1) | instskip(SKIP_2) | instid1(SALU_CYCLE_1)
	v_cmp_le_u16_e32 vcc_lo, v20, v21
	v_cmp_lt_u16_e64 s0, v20, v21
	s_and_b32 s33, vcc_lo, s31
	s_or_b32 s0, s0, s33
	s_delay_alu instid0(SALU_CYCLE_1) | instskip(NEXT) | instid1(SALU_CYCLE_1)
	s_and_b32 s33, s0, exec_lo
	s_or_b32 s30, s30, s33
	s_mov_b32 s33, exec_lo
	v_cmpx_eq_u16_e64 v20, v21
	s_cbranch_execz .LBB9_575
; %bb.577:                              ;   in Loop: Header=BB9_576 Depth=1
	s_add_nc_u64 s[6:7], s[6:7], -1
	v_add_nc_u64_e32 v[6:7], 1, v[6:7]
	s_cmp_eq_u64 s[6:7], 0
	v_add_nc_u64_e32 v[8:9], 1, v[8:9]
	s_cselect_b32 s31, -1, 0
	s_and_not1_b32 s29, s29, exec_lo
	s_and_b32 s31, s31, exec_lo
	s_and_not1_b32 s30, s30, exec_lo
	s_or_b32 s29, s29, s31
                                        ; implicit-def: $sgpr31
	s_branch .LBB9_575
.LBB9_578:
	s_or_b32 exec_lo, exec_lo, s27
	s_xor_b32 s0, s28, -1
	s_branch .LBB9_580
.LBB9_579:
	s_mov_b32 s0, -1
.LBB9_580:
	s_delay_alu instid0(SALU_CYCLE_1)
	s_and_b32 s0, s0, exec_lo
.LBB9_581:
	s_or_b32 exec_lo, exec_lo, s24
	s_delay_alu instid0(SALU_CYCLE_1)
	s_or_not1_b32 s24, s0, exec_lo
.LBB9_582:
	s_or_b32 exec_lo, exec_lo, s26
	v_dual_cndmask_b32 v6, v50, v47, s24 :: v_dual_cndmask_b32 v7, v25, v24, s24
	v_cndmask_b32_e64 v8, v44, v46, s25
	v_dual_cndmask_b32 v13, v12, v13, s22 :: v_dual_cndmask_b32 v12, v37, v38, s22
	s_delay_alu instid0(VALU_DEP_3) | instskip(SKIP_2) | instid1(VALU_DEP_3)
	v_dual_add_nc_u32 v53, 1, v6 :: v_dual_cndmask_b32 v9, v43, v45, s25
	v_cndmask_b32_e64 v11, v10, v11, s15
	v_dual_cndmask_b32 v10, v17, v23, s15 :: v_dual_cndmask_b32 v17, v14, v16, s14
	v_add_min_u32_e64 v6, v7, -1, v53
	v_cndmask_b32_e64 v7, v39, v41, s23
	v_dual_cndmask_b32 v16, v15, v22, s14 :: v_dual_cndmask_b32 v15, v5, v3, s5
	v_dual_cndmask_b32 v14, v4, v2, s5 :: v_dual_cndmask_b32 v2, v49, v52, s24
	s_delay_alu instid0(VALU_DEP_4)
	v_lshl_add_u32 v6, v6, 3, v36
	v_dual_cndmask_b32 v22, v53, v50, s24 :: v_dual_cndmask_b32 v3, v48, v51, s24
	s_mov_b32 s5, exec_lo
	ds_load_b64 v[20:21], v6
	s_wait_dscnt 0x0
	v_dual_cndmask_b32 v6, v40, v42, s23 :: v_dual_cndmask_b32 v5, v51, v21, s24
	v_cndmask_b32_e64 v4, v52, v20, s24
	v_cmpx_lt_u32_e64 v22, v25
	s_cbranch_execz .LBB9_592
; %bb.583:
	v_dual_cndmask_b32 v22, v47, v53, s24 :: v_dual_cndmask_b32 v21, v21, v48, s24
	v_cndmask_b32_e64 v20, v20, v49, s24
	s_mov_b32 s14, exec_lo
	s_delay_alu instid0(VALU_DEP_2)
	v_cmpx_lt_u32_e64 v22, v24
	s_cbranch_execz .LBB9_591
; %bb.584:
	v_cmp_ne_u32_e32 vcc_lo, 1, v35
	s_cbranch_vccnz .LBB9_590
; %bb.585:
	v_mad_nc_u64_u32 v[22:23], v20, s16, s[18:19]
	v_mad_nc_u64_u32 v[24:25], v4, s16, s[18:19]
	s_mov_b32 s15, 0
	s_mov_b64 s[6:7], s[16:17]
                                        ; implicit-def: $sgpr22
                                        ; implicit-def: $sgpr23
                                        ; implicit-def: $sgpr24
                                        ; implicit-def: $sgpr25
	s_delay_alu instid0(VALU_DEP_2) | instskip(NEXT) | instid1(VALU_DEP_2)
	v_mad_u32 v23, v21, s16, v23
	v_mad_u32 v25, v5, s16, v25
	s_delay_alu instid0(VALU_DEP_2) | instskip(NEXT) | instid1(VALU_DEP_2)
	v_mad_u32 v23, v20, s17, v23
	v_mad_u32 v25, v4, s17, v25
	s_branch .LBB9_587
.LBB9_586:                              ;   in Loop: Header=BB9_587 Depth=1
	s_or_b32 exec_lo, exec_lo, s26
	s_delay_alu instid0(SALU_CYCLE_1) | instskip(NEXT) | instid1(SALU_CYCLE_1)
	s_and_b32 s26, exec_lo, s23
	s_or_b32 s15, s26, s15
	s_and_not1_b32 s25, s25, exec_lo
	s_and_b32 s0, s0, exec_lo
	s_and_not1_b32 s22, s22, exec_lo
	s_and_b32 s26, s24, exec_lo
	s_or_b32 s25, s25, s0
	s_or_b32 s22, s22, s26
	s_and_not1_b32 exec_lo, exec_lo, s15
	s_cbranch_execz .LBB9_589
.LBB9_587:                              ; =>This Inner Loop Header: Depth=1
	global_load_u8 v36, v[22:23], off
	global_load_u8 v37, v[24:25], off
	s_and_not1_b32 s24, s24, exec_lo
	s_or_b32 s23, s23, exec_lo
	s_wait_loadcnt 0x1
	v_and_b32_e32 v36, 0xff, v36
	s_wait_loadcnt 0x0
	v_and_b32_e32 v37, 0xff, v37
	s_delay_alu instid0(VALU_DEP_1) | instskip(SKIP_2) | instid1(SALU_CYCLE_1)
	v_cmp_le_u16_e32 vcc_lo, v36, v37
	v_cmp_lt_u16_e64 s0, v36, v37
	s_and_b32 s26, vcc_lo, s25
	s_or_b32 s0, s0, s26
	s_delay_alu instid0(SALU_CYCLE_1) | instskip(NEXT) | instid1(SALU_CYCLE_1)
	s_and_b32 s26, s0, exec_lo
	s_or_b32 s24, s24, s26
	s_mov_b32 s26, exec_lo
	v_cmpx_eq_u16_e64 v36, v37
	s_cbranch_execz .LBB9_586
; %bb.588:                              ;   in Loop: Header=BB9_587 Depth=1
	s_add_nc_u64 s[6:7], s[6:7], -1
	v_add_nc_u64_e32 v[22:23], 1, v[22:23]
	s_cmp_eq_u64 s[6:7], 0
	v_add_nc_u64_e32 v[24:25], 1, v[24:25]
	s_cselect_b32 s25, -1, 0
	s_and_not1_b32 s23, s23, exec_lo
	s_and_b32 s25, s25, exec_lo
	s_and_not1_b32 s24, s24, exec_lo
	s_or_b32 s23, s23, s25
                                        ; implicit-def: $sgpr25
	s_branch .LBB9_586
.LBB9_589:
	s_or_b32 exec_lo, exec_lo, s15
	v_dual_cndmask_b32 v5, v5, v21, s22 :: v_dual_cndmask_b32 v4, v4, v20, s22
.LBB9_590:
	s_delay_alu instid0(VALU_DEP_1)
	v_mov_b64_e32 v[20:21], v[4:5]
.LBB9_591:
	s_or_b32 exec_lo, exec_lo, s14
	s_delay_alu instid0(VALU_DEP_1)
	v_mov_b64_e32 v[4:5], v[20:21]
.LBB9_592:
	s_or_b32 exec_lo, exec_lo, s5
.LBB9_593:
	s_delay_alu instid0(SALU_CYCLE_1)
	s_or_b32 exec_lo, exec_lo, s1
	v_lshlrev_b32_e32 v24, 3, v1
	s_movk_i32 s1, 0x80
	; wave barrier
	s_wait_dscnt 0x0
	s_barrier_signal -1
	s_barrier_wait -1
.LBB9_594:                              ; =>This Loop Header: Depth=1
                                        ;     Child Loop BB9_598 Depth 2
                                        ;       Child Loop BB9_601 Depth 3
                                        ;     Child Loop BB9_613 Depth 2
                                        ;     Child Loop BB9_623 Depth 2
	;; [unrolled: 1-line block ×8, first 2 shown]
	s_lshl_b32 s5, s1, 1
	s_mov_b32 s14, exec_lo
	s_sub_co_i32 s0, 0, s5
	ds_store_b128 v24, v[14:17]
	ds_store_b128 v24, v[10:13] offset:16
	ds_store_b128 v24, v[6:9] offset:32
	;; [unrolled: 1-line block ×3, first 2 shown]
	v_and_b32_e32 v39, s0, v1
	s_add_co_i32 s0, s5, -1
	s_wait_dscnt 0x0
	v_and_b32_e32 v20, s0, v1
	s_barrier_signal -1
	v_add_min_u32_e64 v25, v39, s1, 0x800
	v_lshlrev_b32_e32 v38, 3, v39
	s_barrier_wait -1
	v_min_u32_e32 v40, 0x800, v20
	s_delay_alu instid0(VALU_DEP_3) | instskip(NEXT) | instid1(VALU_DEP_1)
	v_add_min_u32_e64 v36, v25, s1, 0x800
	v_dual_sub_nc_u32 v20, v25, v39 :: v_dual_sub_nc_u32 v21, v36, v25
	s_delay_alu instid0(VALU_DEP_1) | instskip(NEXT) | instid1(VALU_DEP_2)
	v_min_u32_e32 v41, v40, v20
	v_sub_nc_u32_e64 v37, v40, v21 clamp
	s_delay_alu instid0(VALU_DEP_1)
	v_cmpx_lt_u32_e64 v37, v41
	s_cbranch_execz .LBB9_604
; %bb.595:                              ;   in Loop: Header=BB9_594 Depth=1
	v_lshlrev_b32_e32 v20, 3, v40
	s_mov_b32 s15, 0
	s_delay_alu instid0(VALU_DEP_1)
	v_lshl_add_u32 v42, v25, 3, v20
	s_branch .LBB9_598
.LBB9_596:                              ;   in Loop: Header=BB9_598 Depth=2
	s_or_b32 exec_lo, exec_lo, s23
.LBB9_597:                              ;   in Loop: Header=BB9_598 Depth=2
	s_delay_alu instid0(VALU_DEP_1) | instskip(NEXT) | instid1(VALU_DEP_1)
	v_dual_add_nc_u32 v20, 1, v43 :: v_dual_cndmask_b32 v41, v41, v43, s22
	v_cndmask_b32_e64 v37, v20, v37, s22
	s_delay_alu instid0(VALU_DEP_1) | instskip(SKIP_1) | instid1(SALU_CYCLE_1)
	v_cmp_ge_u32_e32 vcc_lo, v37, v41
	s_or_b32 s15, vcc_lo, s15
	s_and_not1_b32 exec_lo, exec_lo, s15
	s_cbranch_execz .LBB9_603
.LBB9_598:                              ;   Parent Loop BB9_594 Depth=1
                                        ; =>  This Loop Header: Depth=2
                                        ;       Child Loop BB9_601 Depth 3
	v_add_nc_u32_e32 v20, v41, v37
	v_cmp_ne_u32_e32 vcc_lo, 1, v35
	s_mov_b32 s22, 0
	s_delay_alu instid0(VALU_DEP_2)
	v_lshrrev_b32_e32 v43, 1, v20
	s_cbranch_vccnz .LBB9_597
; %bb.599:                              ;   in Loop: Header=BB9_598 Depth=2
	s_delay_alu instid0(VALU_DEP_1) | instskip(SKIP_3) | instid1(VALU_DEP_2)
	v_not_b32_e32 v20, v43
	v_lshl_add_u32 v21, v43, 3, v38
	s_mov_b32 s23, 0
	s_mov_b64 s[6:7], s[16:17]
                                        ; implicit-def: $sgpr22
                                        ; implicit-def: $sgpr24
                                        ; implicit-def: $sgpr25
                                        ; implicit-def: $sgpr26
	v_lshl_add_u32 v20, v20, 3, v42
	ds_load_b64 v[44:45], v20
	ds_load_b64 v[46:47], v21
	s_wait_dscnt 0x1
	v_mad_nc_u64_u32 v[20:21], v44, s16, s[18:19]
	s_wait_dscnt 0x0
	v_mad_nc_u64_u32 v[22:23], v46, s16, s[18:19]
	s_delay_alu instid0(VALU_DEP_2) | instskip(NEXT) | instid1(VALU_DEP_2)
	v_mad_u32 v21, v45, s16, v21
	v_mad_u32 v23, v47, s16, v23
	s_delay_alu instid0(VALU_DEP_2) | instskip(NEXT) | instid1(VALU_DEP_2)
	v_mad_u32 v21, v44, s17, v21
	v_mad_u32 v23, v46, s17, v23
	s_branch .LBB9_601
.LBB9_600:                              ;   in Loop: Header=BB9_601 Depth=3
	s_or_b32 exec_lo, exec_lo, s27
	s_delay_alu instid0(SALU_CYCLE_1) | instskip(NEXT) | instid1(SALU_CYCLE_1)
	s_and_b32 s27, exec_lo, s24
	s_or_b32 s23, s27, s23
	s_and_not1_b32 s26, s26, exec_lo
	s_and_b32 s0, s0, exec_lo
	s_and_not1_b32 s22, s22, exec_lo
	s_and_b32 s27, s25, exec_lo
	s_or_b32 s26, s26, s0
	s_or_b32 s22, s22, s27
	s_and_not1_b32 exec_lo, exec_lo, s23
	s_cbranch_execz .LBB9_596
.LBB9_601:                              ;   Parent Loop BB9_594 Depth=1
                                        ;     Parent Loop BB9_598 Depth=2
                                        ; =>    This Inner Loop Header: Depth=3
	global_load_u8 v44, v[20:21], off
	global_load_u8 v45, v[22:23], off
	s_and_not1_b32 s25, s25, exec_lo
	s_or_b32 s24, s24, exec_lo
	s_wait_loadcnt 0x1
	v_and_b32_e32 v44, 0xff, v44
	s_wait_loadcnt 0x0
	v_and_b32_e32 v45, 0xff, v45
	s_delay_alu instid0(VALU_DEP_1) | instskip(SKIP_2) | instid1(SALU_CYCLE_1)
	v_cmp_le_u16_e32 vcc_lo, v44, v45
	v_cmp_lt_u16_e64 s0, v44, v45
	s_and_b32 s27, vcc_lo, s26
	s_or_b32 s0, s0, s27
	s_delay_alu instid0(SALU_CYCLE_1) | instskip(NEXT) | instid1(SALU_CYCLE_1)
	s_and_b32 s27, s0, exec_lo
	s_or_b32 s25, s25, s27
	s_mov_b32 s27, exec_lo
	v_cmpx_eq_u16_e64 v44, v45
	s_cbranch_execz .LBB9_600
; %bb.602:                              ;   in Loop: Header=BB9_601 Depth=3
	s_add_nc_u64 s[6:7], s[6:7], -1
	v_add_nc_u64_e32 v[20:21], 1, v[20:21]
	s_cmp_eq_u64 s[6:7], 0
	v_add_nc_u64_e32 v[22:23], 1, v[22:23]
	s_cselect_b32 s26, -1, 0
	s_and_not1_b32 s24, s24, exec_lo
	s_and_b32 s26, s26, exec_lo
	s_and_not1_b32 s25, s25, exec_lo
	s_or_b32 s24, s24, s26
                                        ; implicit-def: $sgpr26
	s_branch .LBB9_600
.LBB9_603:                              ;   in Loop: Header=BB9_594 Depth=1
	s_or_b32 exec_lo, exec_lo, s15
.LBB9_604:                              ;   in Loop: Header=BB9_594 Depth=1
	s_delay_alu instid0(SALU_CYCLE_1) | instskip(SKIP_1) | instid1(VALU_DEP_1)
	s_or_b32 exec_lo, exec_lo, s14
	v_dual_sub_nc_u32 v21, v40, v37 :: v_dual_add_nc_u32 v20, v37, v39
	v_add_nc_u32_e32 v21, v21, v25
	s_delay_alu instid0(VALU_DEP_2) | instskip(NEXT) | instid1(VALU_DEP_2)
	v_cmp_le_u32_e32 vcc_lo, v20, v25
	v_cmp_le_u32_e64 s0, v21, v36
	s_or_b32 s0, vcc_lo, s0
	s_delay_alu instid0(SALU_CYCLE_1)
	s_and_saveexec_b32 s14, s0
	s_cbranch_execz .LBB9_695
; %bb.605:                              ;   in Loop: Header=BB9_594 Depth=1
	s_mov_b32 s6, exec_lo
	v_cmp_ge_u32_e32 vcc_lo, v20, v25
                                        ; implicit-def: $vgpr2_vgpr3
	v_cmpx_lt_u32_e64 v20, v25
; %bb.606:                              ;   in Loop: Header=BB9_594 Depth=1
	v_lshl_add_u32 v2, v37, 3, v38
	ds_load_b64 v[2:3], v2
; %bb.607:                              ;   in Loop: Header=BB9_594 Depth=1
	s_or_b32 exec_lo, exec_lo, s6
	v_cmp_ge_u32_e64 s15, v21, v36
	s_mov_b32 s6, exec_lo
                                        ; implicit-def: $vgpr14_vgpr15
	v_cmpx_lt_u32_e64 v21, v36
; %bb.608:                              ;   in Loop: Header=BB9_594 Depth=1
	v_lshlrev_b32_e32 v4, 3, v21
	ds_load_b64 v[14:15], v4
; %bb.609:                              ;   in Loop: Header=BB9_594 Depth=1
	s_or_b32 exec_lo, exec_lo, s6
	s_nor_b32 s0, vcc_lo, s15
	s_delay_alu instid0(SALU_CYCLE_1)
	s_and_saveexec_b32 s22, s0
	s_cbranch_execz .LBB9_618
; %bb.610:                              ;   in Loop: Header=BB9_594 Depth=1
	v_cmp_ne_u32_e32 vcc_lo, 1, v35
	s_cbranch_vccnz .LBB9_616
; %bb.611:                              ;   in Loop: Header=BB9_594 Depth=1
	s_wait_dscnt 0x0
	v_mad_nc_u64_u32 v[4:5], v14, s16, s[18:19]
	v_mad_nc_u64_u32 v[6:7], v2, s16, s[18:19]
	s_mov_b32 s23, 0
	s_mov_b64 s[6:7], s[16:17]
                                        ; implicit-def: $sgpr24
                                        ; implicit-def: $sgpr25
                                        ; implicit-def: $sgpr26
                                        ; implicit-def: $sgpr27
	s_delay_alu instid0(VALU_DEP_2) | instskip(NEXT) | instid1(VALU_DEP_2)
	v_mad_u32 v5, v15, s16, v5
	v_mad_u32 v7, v3, s16, v7
	s_delay_alu instid0(VALU_DEP_2) | instskip(NEXT) | instid1(VALU_DEP_2)
	v_mad_u32 v5, v14, s17, v5
	v_mad_u32 v7, v2, s17, v7
	s_branch .LBB9_613
.LBB9_612:                              ;   in Loop: Header=BB9_613 Depth=2
	s_or_b32 exec_lo, exec_lo, s28
	s_delay_alu instid0(SALU_CYCLE_1) | instskip(NEXT) | instid1(SALU_CYCLE_1)
	s_and_b32 s28, exec_lo, s25
	s_or_b32 s23, s28, s23
	s_and_not1_b32 s27, s27, exec_lo
	s_and_b32 s0, s0, exec_lo
	s_and_not1_b32 s24, s24, exec_lo
	s_and_b32 s28, s26, exec_lo
	s_or_b32 s27, s27, s0
	s_or_b32 s24, s24, s28
	s_and_not1_b32 exec_lo, exec_lo, s23
	s_cbranch_execz .LBB9_615
.LBB9_613:                              ;   Parent Loop BB9_594 Depth=1
                                        ; =>  This Inner Loop Header: Depth=2
	global_load_u8 v8, v[4:5], off
	global_load_u8 v9, v[6:7], off
	s_and_not1_b32 s26, s26, exec_lo
	s_or_b32 s25, s25, exec_lo
	s_wait_loadcnt 0x1
	v_and_b32_e32 v8, 0xff, v8
	s_wait_loadcnt 0x0
	v_and_b32_e32 v9, 0xff, v9
	s_delay_alu instid0(VALU_DEP_1) | instskip(SKIP_2) | instid1(SALU_CYCLE_1)
	v_cmp_le_u16_e32 vcc_lo, v8, v9
	v_cmp_lt_u16_e64 s0, v8, v9
	s_and_b32 s28, vcc_lo, s27
	s_or_b32 s0, s0, s28
	s_delay_alu instid0(SALU_CYCLE_1) | instskip(NEXT) | instid1(SALU_CYCLE_1)
	s_and_b32 s28, s0, exec_lo
	s_or_b32 s26, s26, s28
	s_mov_b32 s28, exec_lo
	v_cmpx_eq_u16_e64 v8, v9
	s_cbranch_execz .LBB9_612
; %bb.614:                              ;   in Loop: Header=BB9_613 Depth=2
	s_add_nc_u64 s[6:7], s[6:7], -1
	v_add_nc_u64_e32 v[4:5], 1, v[4:5]
	s_cmp_eq_u64 s[6:7], 0
	v_add_nc_u64_e32 v[6:7], 1, v[6:7]
	s_cselect_b32 s27, -1, 0
	s_and_not1_b32 s25, s25, exec_lo
	s_and_b32 s27, s27, exec_lo
	s_and_not1_b32 s26, s26, exec_lo
	s_or_b32 s25, s25, s27
                                        ; implicit-def: $sgpr27
	s_branch .LBB9_612
.LBB9_615:                              ;   in Loop: Header=BB9_594 Depth=1
	s_or_b32 exec_lo, exec_lo, s23
	s_xor_b32 s0, s24, -1
	s_branch .LBB9_617
.LBB9_616:                              ;   in Loop: Header=BB9_594 Depth=1
	s_mov_b32 s0, -1
.LBB9_617:                              ;   in Loop: Header=BB9_594 Depth=1
	s_and_not1_b32 s6, s15, exec_lo
	s_and_b32 s0, s0, exec_lo
	s_delay_alu instid0(SALU_CYCLE_1)
	s_or_b32 s15, s6, s0
.LBB9_618:                              ;   in Loop: Header=BB9_594 Depth=1
	s_or_b32 exec_lo, exec_lo, s22
	v_dual_cndmask_b32 v4, v21, v20, s15 :: v_dual_cndmask_b32 v5, v36, v25, s15
	s_mov_b32 s23, -1
	s_mov_b32 s22, -1
	s_mov_b32 s24, exec_lo
	s_delay_alu instid0(VALU_DEP_1) | instskip(NEXT) | instid1(VALU_DEP_1)
	v_add_nc_u32_e32 v6, 1, v4
	v_add_min_u32_e64 v4, v5, -1, v6
	s_delay_alu instid0(VALU_DEP_1)
	v_dual_lshlrev_b32 v4, 3, v4 :: v_dual_cndmask_b32 v8, v6, v21, s15
	v_cndmask_b32_e64 v9, v20, v6, s15
	ds_load_b64 v[4:5], v4
	s_wait_dscnt 0x0
	v_dual_cndmask_b32 v16, v5, v15, s15 :: v_dual_cndmask_b32 v20, v4, v14, s15
	v_dual_cndmask_b32 v17, v3, v5, s15 :: v_dual_cndmask_b32 v21, v2, v4, s15
	v_cmpx_lt_u32_e64 v8, v36
	s_cbranch_execz .LBB9_629
; %bb.619:                              ;   in Loop: Header=BB9_594 Depth=1
	s_mov_b32 s0, 0
	s_mov_b32 s22, exec_lo
	v_cmpx_lt_u32_e64 v9, v25
	s_cbranch_execz .LBB9_628
; %bb.620:                              ;   in Loop: Header=BB9_594 Depth=1
	v_cmp_ne_u32_e32 vcc_lo, 1, v35
	s_cbranch_vccnz .LBB9_626
; %bb.621:                              ;   in Loop: Header=BB9_594 Depth=1
	v_mad_nc_u64_u32 v[4:5], v20, s16, s[18:19]
	v_mad_nc_u64_u32 v[6:7], v21, s16, s[18:19]
	s_mov_b32 s25, 0
	s_mov_b64 s[6:7], s[16:17]
                                        ; implicit-def: $sgpr26
                                        ; implicit-def: $sgpr27
                                        ; implicit-def: $sgpr28
                                        ; implicit-def: $sgpr29
	s_delay_alu instid0(VALU_DEP_2) | instskip(NEXT) | instid1(VALU_DEP_2)
	v_mad_u32 v5, v16, s16, v5
	v_mad_u32 v7, v17, s16, v7
	s_delay_alu instid0(VALU_DEP_2) | instskip(NEXT) | instid1(VALU_DEP_2)
	v_mad_u32 v5, v20, s17, v5
	v_mad_u32 v7, v21, s17, v7
	s_branch .LBB9_623
.LBB9_622:                              ;   in Loop: Header=BB9_623 Depth=2
	s_or_b32 exec_lo, exec_lo, s30
	s_delay_alu instid0(SALU_CYCLE_1) | instskip(NEXT) | instid1(SALU_CYCLE_1)
	s_and_b32 s30, exec_lo, s27
	s_or_b32 s25, s30, s25
	s_and_not1_b32 s29, s29, exec_lo
	s_and_b32 s0, s0, exec_lo
	s_and_not1_b32 s26, s26, exec_lo
	s_and_b32 s30, s28, exec_lo
	s_or_b32 s29, s29, s0
	s_or_b32 s26, s26, s30
	s_and_not1_b32 exec_lo, exec_lo, s25
	s_cbranch_execz .LBB9_625
.LBB9_623:                              ;   Parent Loop BB9_594 Depth=1
                                        ; =>  This Inner Loop Header: Depth=2
	global_load_u8 v10, v[4:5], off
	global_load_u8 v11, v[6:7], off
	s_and_not1_b32 s28, s28, exec_lo
	s_or_b32 s27, s27, exec_lo
	s_wait_loadcnt 0x1
	v_and_b32_e32 v10, 0xff, v10
	s_wait_loadcnt 0x0
	v_and_b32_e32 v11, 0xff, v11
	s_delay_alu instid0(VALU_DEP_1) | instskip(SKIP_2) | instid1(SALU_CYCLE_1)
	v_cmp_le_u16_e32 vcc_lo, v10, v11
	v_cmp_lt_u16_e64 s0, v10, v11
	s_and_b32 s30, vcc_lo, s29
	s_or_b32 s0, s0, s30
	s_delay_alu instid0(SALU_CYCLE_1) | instskip(NEXT) | instid1(SALU_CYCLE_1)
	s_and_b32 s30, s0, exec_lo
	s_or_b32 s28, s28, s30
	s_mov_b32 s30, exec_lo
	v_cmpx_eq_u16_e64 v10, v11
	s_cbranch_execz .LBB9_622
; %bb.624:                              ;   in Loop: Header=BB9_623 Depth=2
	s_add_nc_u64 s[6:7], s[6:7], -1
	v_add_nc_u64_e32 v[4:5], 1, v[4:5]
	s_cmp_eq_u64 s[6:7], 0
	v_add_nc_u64_e32 v[6:7], 1, v[6:7]
	s_cselect_b32 s29, -1, 0
	s_and_not1_b32 s27, s27, exec_lo
	s_and_b32 s29, s29, exec_lo
	s_and_not1_b32 s28, s28, exec_lo
	s_or_b32 s27, s27, s29
                                        ; implicit-def: $sgpr29
	s_branch .LBB9_622
.LBB9_625:                              ;   in Loop: Header=BB9_594 Depth=1
	s_or_b32 exec_lo, exec_lo, s25
	s_xor_b32 s0, s26, -1
	s_branch .LBB9_627
.LBB9_626:                              ;   in Loop: Header=BB9_594 Depth=1
	s_mov_b32 s0, -1
.LBB9_627:                              ;   in Loop: Header=BB9_594 Depth=1
	s_delay_alu instid0(SALU_CYCLE_1)
	s_and_b32 s0, s0, exec_lo
.LBB9_628:                              ;   in Loop: Header=BB9_594 Depth=1
	s_or_b32 exec_lo, exec_lo, s22
	s_delay_alu instid0(SALU_CYCLE_1)
	s_or_not1_b32 s22, s0, exec_lo
.LBB9_629:                              ;   in Loop: Header=BB9_594 Depth=1
	s_or_b32 exec_lo, exec_lo, s24
	v_cndmask_b32_e64 v4, v8, v9, s22
	v_cndmask_b32_e64 v5, v36, v25, s22
	s_mov_b32 s24, exec_lo
	s_delay_alu instid0(VALU_DEP_2) | instskip(NEXT) | instid1(VALU_DEP_1)
	v_add_nc_u32_e32 v6, 1, v4
	v_add_min_u32_e64 v4, v5, -1, v6
	v_dual_cndmask_b32 v8, v6, v8, s22 :: v_dual_cndmask_b32 v9, v9, v6, s22
	s_delay_alu instid0(VALU_DEP_2)
	v_lshlrev_b32_e32 v4, 3, v4
	ds_load_b64 v[4:5], v4
	s_wait_dscnt 0x0
	v_cndmask_b32_e64 v22, v5, v16, s22
	v_dual_cndmask_b32 v23, v4, v20, s22 :: v_dual_cndmask_b32 v37, v17, v5, s22
	v_cndmask_b32_e64 v38, v21, v4, s22
	v_cmpx_lt_u32_e64 v8, v36
	s_cbranch_execz .LBB9_640
; %bb.630:                              ;   in Loop: Header=BB9_594 Depth=1
	s_mov_b32 s0, 0
	s_mov_b32 s23, exec_lo
	v_cmpx_lt_u32_e64 v9, v25
	s_cbranch_execz .LBB9_639
; %bb.631:                              ;   in Loop: Header=BB9_594 Depth=1
	v_cmp_ne_u32_e32 vcc_lo, 1, v35
	s_cbranch_vccnz .LBB9_637
; %bb.632:                              ;   in Loop: Header=BB9_594 Depth=1
	v_mad_nc_u64_u32 v[4:5], v23, s16, s[18:19]
	v_mad_nc_u64_u32 v[6:7], v38, s16, s[18:19]
	s_mov_b32 s25, 0
	s_mov_b64 s[6:7], s[16:17]
                                        ; implicit-def: $sgpr26
                                        ; implicit-def: $sgpr27
                                        ; implicit-def: $sgpr28
                                        ; implicit-def: $sgpr29
	s_delay_alu instid0(VALU_DEP_2) | instskip(NEXT) | instid1(VALU_DEP_2)
	v_mad_u32 v5, v22, s16, v5
	v_mad_u32 v7, v37, s16, v7
	s_delay_alu instid0(VALU_DEP_2) | instskip(NEXT) | instid1(VALU_DEP_2)
	v_mad_u32 v5, v23, s17, v5
	v_mad_u32 v7, v38, s17, v7
	s_branch .LBB9_634
.LBB9_633:                              ;   in Loop: Header=BB9_634 Depth=2
	s_or_b32 exec_lo, exec_lo, s30
	s_delay_alu instid0(SALU_CYCLE_1) | instskip(NEXT) | instid1(SALU_CYCLE_1)
	s_and_b32 s30, exec_lo, s27
	s_or_b32 s25, s30, s25
	s_and_not1_b32 s29, s29, exec_lo
	s_and_b32 s0, s0, exec_lo
	s_and_not1_b32 s26, s26, exec_lo
	s_and_b32 s30, s28, exec_lo
	s_or_b32 s29, s29, s0
	s_or_b32 s26, s26, s30
	s_and_not1_b32 exec_lo, exec_lo, s25
	s_cbranch_execz .LBB9_636
.LBB9_634:                              ;   Parent Loop BB9_594 Depth=1
                                        ; =>  This Inner Loop Header: Depth=2
	global_load_u8 v10, v[4:5], off
	global_load_u8 v11, v[6:7], off
	s_and_not1_b32 s28, s28, exec_lo
	s_or_b32 s27, s27, exec_lo
	s_wait_loadcnt 0x1
	v_and_b32_e32 v10, 0xff, v10
	s_wait_loadcnt 0x0
	v_and_b32_e32 v11, 0xff, v11
	s_delay_alu instid0(VALU_DEP_1) | instskip(SKIP_2) | instid1(SALU_CYCLE_1)
	v_cmp_le_u16_e32 vcc_lo, v10, v11
	v_cmp_lt_u16_e64 s0, v10, v11
	s_and_b32 s30, vcc_lo, s29
	s_or_b32 s0, s0, s30
	s_delay_alu instid0(SALU_CYCLE_1) | instskip(NEXT) | instid1(SALU_CYCLE_1)
	s_and_b32 s30, s0, exec_lo
	s_or_b32 s28, s28, s30
	s_mov_b32 s30, exec_lo
	v_cmpx_eq_u16_e64 v10, v11
	s_cbranch_execz .LBB9_633
; %bb.635:                              ;   in Loop: Header=BB9_634 Depth=2
	s_add_nc_u64 s[6:7], s[6:7], -1
	v_add_nc_u64_e32 v[4:5], 1, v[4:5]
	s_cmp_eq_u64 s[6:7], 0
	v_add_nc_u64_e32 v[6:7], 1, v[6:7]
	s_cselect_b32 s29, -1, 0
	s_and_not1_b32 s27, s27, exec_lo
	s_and_b32 s29, s29, exec_lo
	s_and_not1_b32 s28, s28, exec_lo
	s_or_b32 s27, s27, s29
                                        ; implicit-def: $sgpr29
	s_branch .LBB9_633
.LBB9_636:                              ;   in Loop: Header=BB9_594 Depth=1
	s_or_b32 exec_lo, exec_lo, s25
	s_xor_b32 s0, s26, -1
	s_branch .LBB9_638
.LBB9_637:                              ;   in Loop: Header=BB9_594 Depth=1
	s_mov_b32 s0, -1
.LBB9_638:                              ;   in Loop: Header=BB9_594 Depth=1
	s_delay_alu instid0(SALU_CYCLE_1)
	s_and_b32 s0, s0, exec_lo
.LBB9_639:                              ;   in Loop: Header=BB9_594 Depth=1
	s_or_b32 exec_lo, exec_lo, s23
	s_delay_alu instid0(SALU_CYCLE_1)
	s_or_not1_b32 s23, s0, exec_lo
.LBB9_640:                              ;   in Loop: Header=BB9_594 Depth=1
	s_or_b32 exec_lo, exec_lo, s24
	v_cndmask_b32_e64 v4, v8, v9, s23
	v_cndmask_b32_e64 v5, v36, v25, s23
	s_mov_b32 s25, -1
	s_mov_b32 s24, -1
	s_mov_b32 s26, exec_lo
	v_add_nc_u32_e32 v6, 1, v4
	s_delay_alu instid0(VALU_DEP_1) | instskip(SKIP_1) | instid1(VALU_DEP_2)
	v_add_min_u32_e64 v4, v5, -1, v6
	v_dual_cndmask_b32 v8, v6, v8, s23 :: v_dual_cndmask_b32 v9, v9, v6, s23
	v_lshlrev_b32_e32 v4, 3, v4
	ds_load_b64 v[4:5], v4
	s_wait_dscnt 0x0
	v_dual_cndmask_b32 v12, v5, v22, s23 :: v_dual_cndmask_b32 v39, v4, v23, s23
	v_dual_cndmask_b32 v13, v37, v5, s23 :: v_dual_cndmask_b32 v40, v38, v4, s23
	v_cmpx_lt_u32_e64 v8, v36
	s_cbranch_execz .LBB9_651
; %bb.641:                              ;   in Loop: Header=BB9_594 Depth=1
	s_mov_b32 s0, 0
	s_mov_b32 s24, exec_lo
	v_cmpx_lt_u32_e64 v9, v25
	s_cbranch_execz .LBB9_650
; %bb.642:                              ;   in Loop: Header=BB9_594 Depth=1
	v_cmp_ne_u32_e32 vcc_lo, 1, v35
	s_cbranch_vccnz .LBB9_648
; %bb.643:                              ;   in Loop: Header=BB9_594 Depth=1
	v_mad_nc_u64_u32 v[4:5], v39, s16, s[18:19]
	v_mad_nc_u64_u32 v[6:7], v40, s16, s[18:19]
	s_mov_b32 s27, 0
	s_mov_b64 s[6:7], s[16:17]
                                        ; implicit-def: $sgpr28
                                        ; implicit-def: $sgpr29
                                        ; implicit-def: $sgpr30
                                        ; implicit-def: $sgpr31
	s_delay_alu instid0(VALU_DEP_2) | instskip(NEXT) | instid1(VALU_DEP_2)
	v_mad_u32 v5, v12, s16, v5
	v_mad_u32 v7, v13, s16, v7
	s_delay_alu instid0(VALU_DEP_2) | instskip(NEXT) | instid1(VALU_DEP_2)
	v_mad_u32 v5, v39, s17, v5
	v_mad_u32 v7, v40, s17, v7
	s_branch .LBB9_645
.LBB9_644:                              ;   in Loop: Header=BB9_645 Depth=2
	s_or_b32 exec_lo, exec_lo, s33
	s_delay_alu instid0(SALU_CYCLE_1) | instskip(NEXT) | instid1(SALU_CYCLE_1)
	s_and_b32 s33, exec_lo, s29
	s_or_b32 s27, s33, s27
	s_and_not1_b32 s31, s31, exec_lo
	s_and_b32 s0, s0, exec_lo
	s_and_not1_b32 s28, s28, exec_lo
	s_and_b32 s33, s30, exec_lo
	s_or_b32 s31, s31, s0
	s_or_b32 s28, s28, s33
	s_and_not1_b32 exec_lo, exec_lo, s27
	s_cbranch_execz .LBB9_647
.LBB9_645:                              ;   Parent Loop BB9_594 Depth=1
                                        ; =>  This Inner Loop Header: Depth=2
	global_load_u8 v10, v[4:5], off
	global_load_u8 v11, v[6:7], off
	s_and_not1_b32 s30, s30, exec_lo
	s_or_b32 s29, s29, exec_lo
	s_wait_loadcnt 0x1
	v_and_b32_e32 v10, 0xff, v10
	s_wait_loadcnt 0x0
	v_and_b32_e32 v11, 0xff, v11
	s_delay_alu instid0(VALU_DEP_1) | instskip(SKIP_2) | instid1(SALU_CYCLE_1)
	v_cmp_le_u16_e32 vcc_lo, v10, v11
	v_cmp_lt_u16_e64 s0, v10, v11
	s_and_b32 s33, vcc_lo, s31
	s_or_b32 s0, s0, s33
	s_delay_alu instid0(SALU_CYCLE_1) | instskip(NEXT) | instid1(SALU_CYCLE_1)
	s_and_b32 s33, s0, exec_lo
	s_or_b32 s30, s30, s33
	s_mov_b32 s33, exec_lo
	v_cmpx_eq_u16_e64 v10, v11
	s_cbranch_execz .LBB9_644
; %bb.646:                              ;   in Loop: Header=BB9_645 Depth=2
	s_add_nc_u64 s[6:7], s[6:7], -1
	v_add_nc_u64_e32 v[4:5], 1, v[4:5]
	s_cmp_eq_u64 s[6:7], 0
	v_add_nc_u64_e32 v[6:7], 1, v[6:7]
	s_cselect_b32 s31, -1, 0
	s_and_not1_b32 s29, s29, exec_lo
	s_and_b32 s31, s31, exec_lo
	s_and_not1_b32 s30, s30, exec_lo
	s_or_b32 s29, s29, s31
                                        ; implicit-def: $sgpr31
	s_branch .LBB9_644
.LBB9_647:                              ;   in Loop: Header=BB9_594 Depth=1
	s_or_b32 exec_lo, exec_lo, s27
	s_xor_b32 s0, s28, -1
	s_branch .LBB9_649
.LBB9_648:                              ;   in Loop: Header=BB9_594 Depth=1
	s_mov_b32 s0, -1
.LBB9_649:                              ;   in Loop: Header=BB9_594 Depth=1
	s_delay_alu instid0(SALU_CYCLE_1)
	s_and_b32 s0, s0, exec_lo
.LBB9_650:                              ;   in Loop: Header=BB9_594 Depth=1
	s_or_b32 exec_lo, exec_lo, s24
	s_delay_alu instid0(SALU_CYCLE_1)
	s_or_not1_b32 s24, s0, exec_lo
.LBB9_651:                              ;   in Loop: Header=BB9_594 Depth=1
	s_or_b32 exec_lo, exec_lo, s26
	v_cndmask_b32_e64 v4, v8, v9, s24
	v_cndmask_b32_e64 v5, v36, v25, s24
	s_mov_b32 s26, exec_lo
	s_delay_alu instid0(VALU_DEP_2) | instskip(NEXT) | instid1(VALU_DEP_1)
	v_add_nc_u32_e32 v6, 1, v4
	v_add_min_u32_e64 v4, v5, -1, v6
	v_dual_cndmask_b32 v8, v6, v8, s24 :: v_dual_cndmask_b32 v9, v9, v6, s24
	s_delay_alu instid0(VALU_DEP_2)
	v_lshlrev_b32_e32 v4, 3, v4
	ds_load_b64 v[4:5], v4
	s_wait_dscnt 0x0
	v_dual_cndmask_b32 v41, v5, v12, s24 :: v_dual_cndmask_b32 v42, v4, v39, s24
	v_dual_cndmask_b32 v43, v13, v5, s24 :: v_dual_cndmask_b32 v44, v40, v4, s24
	v_cmpx_lt_u32_e64 v8, v36
	s_cbranch_execz .LBB9_662
; %bb.652:                              ;   in Loop: Header=BB9_594 Depth=1
	s_mov_b32 s0, 0
	s_mov_b32 s25, exec_lo
	v_cmpx_lt_u32_e64 v9, v25
	s_cbranch_execz .LBB9_661
; %bb.653:                              ;   in Loop: Header=BB9_594 Depth=1
	v_cmp_ne_u32_e32 vcc_lo, 1, v35
	s_cbranch_vccnz .LBB9_659
; %bb.654:                              ;   in Loop: Header=BB9_594 Depth=1
	v_mad_nc_u64_u32 v[4:5], v42, s16, s[18:19]
	v_mad_nc_u64_u32 v[6:7], v44, s16, s[18:19]
	s_mov_b32 s27, 0
	s_mov_b64 s[6:7], s[16:17]
                                        ; implicit-def: $sgpr28
                                        ; implicit-def: $sgpr29
                                        ; implicit-def: $sgpr30
                                        ; implicit-def: $sgpr31
	s_delay_alu instid0(VALU_DEP_2) | instskip(NEXT) | instid1(VALU_DEP_2)
	v_mad_u32 v5, v41, s16, v5
	v_mad_u32 v7, v43, s16, v7
	s_delay_alu instid0(VALU_DEP_2) | instskip(NEXT) | instid1(VALU_DEP_2)
	v_mad_u32 v5, v42, s17, v5
	v_mad_u32 v7, v44, s17, v7
	s_branch .LBB9_656
.LBB9_655:                              ;   in Loop: Header=BB9_656 Depth=2
	s_or_b32 exec_lo, exec_lo, s33
	s_delay_alu instid0(SALU_CYCLE_1) | instskip(NEXT) | instid1(SALU_CYCLE_1)
	s_and_b32 s33, exec_lo, s29
	s_or_b32 s27, s33, s27
	s_and_not1_b32 s31, s31, exec_lo
	s_and_b32 s0, s0, exec_lo
	s_and_not1_b32 s28, s28, exec_lo
	s_and_b32 s33, s30, exec_lo
	s_or_b32 s31, s31, s0
	s_or_b32 s28, s28, s33
	s_and_not1_b32 exec_lo, exec_lo, s27
	s_cbranch_execz .LBB9_658
.LBB9_656:                              ;   Parent Loop BB9_594 Depth=1
                                        ; =>  This Inner Loop Header: Depth=2
	global_load_u8 v10, v[4:5], off
	global_load_u8 v11, v[6:7], off
	s_and_not1_b32 s30, s30, exec_lo
	s_or_b32 s29, s29, exec_lo
	s_wait_loadcnt 0x1
	v_and_b32_e32 v10, 0xff, v10
	s_wait_loadcnt 0x0
	v_and_b32_e32 v11, 0xff, v11
	s_delay_alu instid0(VALU_DEP_1) | instskip(SKIP_2) | instid1(SALU_CYCLE_1)
	v_cmp_le_u16_e32 vcc_lo, v10, v11
	v_cmp_lt_u16_e64 s0, v10, v11
	s_and_b32 s33, vcc_lo, s31
	s_or_b32 s0, s0, s33
	s_delay_alu instid0(SALU_CYCLE_1) | instskip(NEXT) | instid1(SALU_CYCLE_1)
	s_and_b32 s33, s0, exec_lo
	s_or_b32 s30, s30, s33
	s_mov_b32 s33, exec_lo
	v_cmpx_eq_u16_e64 v10, v11
	s_cbranch_execz .LBB9_655
; %bb.657:                              ;   in Loop: Header=BB9_656 Depth=2
	s_add_nc_u64 s[6:7], s[6:7], -1
	v_add_nc_u64_e32 v[4:5], 1, v[4:5]
	s_cmp_eq_u64 s[6:7], 0
	v_add_nc_u64_e32 v[6:7], 1, v[6:7]
	s_cselect_b32 s31, -1, 0
	s_and_not1_b32 s29, s29, exec_lo
	s_and_b32 s31, s31, exec_lo
	s_and_not1_b32 s30, s30, exec_lo
	s_or_b32 s29, s29, s31
                                        ; implicit-def: $sgpr31
	s_branch .LBB9_655
.LBB9_658:                              ;   in Loop: Header=BB9_594 Depth=1
	s_or_b32 exec_lo, exec_lo, s27
	s_xor_b32 s0, s28, -1
	s_branch .LBB9_660
.LBB9_659:                              ;   in Loop: Header=BB9_594 Depth=1
	s_mov_b32 s0, -1
.LBB9_660:                              ;   in Loop: Header=BB9_594 Depth=1
	s_delay_alu instid0(SALU_CYCLE_1)
	s_and_b32 s0, s0, exec_lo
.LBB9_661:                              ;   in Loop: Header=BB9_594 Depth=1
	s_or_b32 exec_lo, exec_lo, s25
	s_delay_alu instid0(SALU_CYCLE_1)
	s_or_not1_b32 s25, s0, exec_lo
.LBB9_662:                              ;   in Loop: Header=BB9_594 Depth=1
	s_or_b32 exec_lo, exec_lo, s26
	v_cndmask_b32_e64 v4, v8, v9, s25
	v_cndmask_b32_e64 v5, v36, v25, s25
	s_mov_b32 s26, -1
	s_mov_b32 s27, -1
	s_mov_b32 s28, exec_lo
	v_add_nc_u32_e32 v6, 1, v4
	s_delay_alu instid0(VALU_DEP_1) | instskip(SKIP_1) | instid1(VALU_DEP_2)
	v_add_min_u32_e64 v4, v5, -1, v6
	v_dual_cndmask_b32 v8, v6, v8, s25 :: v_dual_cndmask_b32 v9, v9, v6, s25
	v_lshlrev_b32_e32 v4, 3, v4
	ds_load_b64 v[4:5], v4
	s_wait_dscnt 0x0
	v_dual_cndmask_b32 v45, v5, v41, s25 :: v_dual_cndmask_b32 v46, v4, v42, s25
	v_dual_cndmask_b32 v47, v43, v5, s25 :: v_dual_cndmask_b32 v48, v44, v4, s25
	v_cmpx_lt_u32_e64 v8, v36
	s_cbranch_execz .LBB9_673
; %bb.663:                              ;   in Loop: Header=BB9_594 Depth=1
	s_mov_b32 s0, 0
	s_mov_b32 s27, exec_lo
	v_cmpx_lt_u32_e64 v9, v25
	s_cbranch_execz .LBB9_672
; %bb.664:                              ;   in Loop: Header=BB9_594 Depth=1
	v_cmp_ne_u32_e32 vcc_lo, 1, v35
	s_cbranch_vccnz .LBB9_670
; %bb.665:                              ;   in Loop: Header=BB9_594 Depth=1
	v_mad_nc_u64_u32 v[4:5], v46, s16, s[18:19]
	v_mad_nc_u64_u32 v[6:7], v48, s16, s[18:19]
	s_mov_b32 s29, 0
	s_mov_b64 s[6:7], s[16:17]
                                        ; implicit-def: $sgpr30
                                        ; implicit-def: $sgpr31
                                        ; implicit-def: $sgpr33
                                        ; implicit-def: $sgpr34
	s_delay_alu instid0(VALU_DEP_2) | instskip(NEXT) | instid1(VALU_DEP_2)
	v_mad_u32 v5, v45, s16, v5
	v_mad_u32 v7, v47, s16, v7
	s_delay_alu instid0(VALU_DEP_2) | instskip(NEXT) | instid1(VALU_DEP_2)
	v_mad_u32 v5, v46, s17, v5
	v_mad_u32 v7, v48, s17, v7
	s_branch .LBB9_667
.LBB9_666:                              ;   in Loop: Header=BB9_667 Depth=2
	s_or_b32 exec_lo, exec_lo, s35
	s_delay_alu instid0(SALU_CYCLE_1) | instskip(NEXT) | instid1(SALU_CYCLE_1)
	s_and_b32 s35, exec_lo, s31
	s_or_b32 s29, s35, s29
	s_and_not1_b32 s34, s34, exec_lo
	s_and_b32 s0, s0, exec_lo
	s_and_not1_b32 s30, s30, exec_lo
	s_and_b32 s35, s33, exec_lo
	s_or_b32 s34, s34, s0
	s_or_b32 s30, s30, s35
	s_and_not1_b32 exec_lo, exec_lo, s29
	s_cbranch_execz .LBB9_669
.LBB9_667:                              ;   Parent Loop BB9_594 Depth=1
                                        ; =>  This Inner Loop Header: Depth=2
	global_load_u8 v10, v[4:5], off
	global_load_u8 v11, v[6:7], off
	s_and_not1_b32 s33, s33, exec_lo
	s_or_b32 s31, s31, exec_lo
	s_wait_loadcnt 0x1
	v_and_b32_e32 v10, 0xff, v10
	s_wait_loadcnt 0x0
	v_and_b32_e32 v11, 0xff, v11
	s_delay_alu instid0(VALU_DEP_1) | instskip(SKIP_2) | instid1(SALU_CYCLE_1)
	v_cmp_le_u16_e32 vcc_lo, v10, v11
	v_cmp_lt_u16_e64 s0, v10, v11
	s_and_b32 s35, vcc_lo, s34
	s_or_b32 s0, s0, s35
	s_delay_alu instid0(SALU_CYCLE_1) | instskip(NEXT) | instid1(SALU_CYCLE_1)
	s_and_b32 s35, s0, exec_lo
	s_or_b32 s33, s33, s35
	s_mov_b32 s35, exec_lo
	v_cmpx_eq_u16_e64 v10, v11
	s_cbranch_execz .LBB9_666
; %bb.668:                              ;   in Loop: Header=BB9_667 Depth=2
	s_add_nc_u64 s[6:7], s[6:7], -1
	v_add_nc_u64_e32 v[4:5], 1, v[4:5]
	s_cmp_eq_u64 s[6:7], 0
	v_add_nc_u64_e32 v[6:7], 1, v[6:7]
	s_cselect_b32 s34, -1, 0
	s_and_not1_b32 s31, s31, exec_lo
	s_and_b32 s34, s34, exec_lo
	s_and_not1_b32 s33, s33, exec_lo
	s_or_b32 s31, s31, s34
                                        ; implicit-def: $sgpr34
	s_branch .LBB9_666
.LBB9_669:                              ;   in Loop: Header=BB9_594 Depth=1
	s_or_b32 exec_lo, exec_lo, s29
	s_xor_b32 s0, s30, -1
	s_branch .LBB9_671
.LBB9_670:                              ;   in Loop: Header=BB9_594 Depth=1
	s_mov_b32 s0, -1
.LBB9_671:                              ;   in Loop: Header=BB9_594 Depth=1
	s_delay_alu instid0(SALU_CYCLE_1)
	s_and_b32 s0, s0, exec_lo
.LBB9_672:                              ;   in Loop: Header=BB9_594 Depth=1
	s_or_b32 exec_lo, exec_lo, s27
	s_delay_alu instid0(SALU_CYCLE_1)
	s_or_not1_b32 s27, s0, exec_lo
.LBB9_673:                              ;   in Loop: Header=BB9_594 Depth=1
	s_or_b32 exec_lo, exec_lo, s28
	v_cndmask_b32_e64 v4, v8, v9, s27
	v_cndmask_b32_e64 v5, v36, v25, s27
	s_mov_b32 s28, exec_lo
	s_delay_alu instid0(VALU_DEP_2) | instskip(NEXT) | instid1(VALU_DEP_1)
	v_add_nc_u32_e32 v6, 1, v4
	v_add_min_u32_e64 v4, v5, -1, v6
	v_dual_cndmask_b32 v10, v6, v8, s27 :: v_dual_cndmask_b32 v8, v9, v6, s27
	s_delay_alu instid0(VALU_DEP_2)
	v_lshlrev_b32_e32 v4, 3, v4
	ds_load_b64 v[4:5], v4
	s_wait_dscnt 0x0
	v_dual_cndmask_b32 v49, v5, v45, s27 :: v_dual_cndmask_b32 v50, v4, v46, s27
	v_dual_cndmask_b32 v51, v47, v5, s27 :: v_dual_cndmask_b32 v52, v48, v4, s27
	v_cmpx_lt_u32_e64 v10, v36
	s_cbranch_execz .LBB9_684
; %bb.674:                              ;   in Loop: Header=BB9_594 Depth=1
	s_mov_b32 s0, 0
	s_mov_b32 s26, exec_lo
	v_cmpx_lt_u32_e64 v8, v25
	s_cbranch_execz .LBB9_683
; %bb.675:                              ;   in Loop: Header=BB9_594 Depth=1
	v_cmp_ne_u32_e32 vcc_lo, 1, v35
	s_cbranch_vccnz .LBB9_681
; %bb.676:                              ;   in Loop: Header=BB9_594 Depth=1
	v_mad_nc_u64_u32 v[4:5], v50, s16, s[18:19]
	v_mad_nc_u64_u32 v[6:7], v52, s16, s[18:19]
	s_mov_b32 s29, 0
	s_mov_b64 s[6:7], s[16:17]
                                        ; implicit-def: $sgpr30
                                        ; implicit-def: $sgpr31
                                        ; implicit-def: $sgpr33
                                        ; implicit-def: $sgpr34
	s_delay_alu instid0(VALU_DEP_2) | instskip(NEXT) | instid1(VALU_DEP_2)
	v_mad_u32 v5, v49, s16, v5
	v_mad_u32 v7, v51, s16, v7
	s_delay_alu instid0(VALU_DEP_2) | instskip(NEXT) | instid1(VALU_DEP_2)
	v_mad_u32 v5, v50, s17, v5
	v_mad_u32 v7, v52, s17, v7
	s_branch .LBB9_678
.LBB9_677:                              ;   in Loop: Header=BB9_678 Depth=2
	s_or_b32 exec_lo, exec_lo, s35
	s_delay_alu instid0(SALU_CYCLE_1) | instskip(NEXT) | instid1(SALU_CYCLE_1)
	s_and_b32 s35, exec_lo, s31
	s_or_b32 s29, s35, s29
	s_and_not1_b32 s34, s34, exec_lo
	s_and_b32 s0, s0, exec_lo
	s_and_not1_b32 s30, s30, exec_lo
	s_and_b32 s35, s33, exec_lo
	s_or_b32 s34, s34, s0
	s_or_b32 s30, s30, s35
	s_and_not1_b32 exec_lo, exec_lo, s29
	s_cbranch_execz .LBB9_680
.LBB9_678:                              ;   Parent Loop BB9_594 Depth=1
                                        ; =>  This Inner Loop Header: Depth=2
	global_load_u8 v9, v[4:5], off
	global_load_u8 v11, v[6:7], off
	s_and_not1_b32 s33, s33, exec_lo
	s_or_b32 s31, s31, exec_lo
	s_wait_loadcnt 0x1
	v_and_b32_e32 v9, 0xff, v9
	s_wait_loadcnt 0x0
	v_and_b32_e32 v11, 0xff, v11
	s_delay_alu instid0(VALU_DEP_1) | instskip(SKIP_2) | instid1(SALU_CYCLE_1)
	v_cmp_le_u16_e32 vcc_lo, v9, v11
	v_cmp_lt_u16_e64 s0, v9, v11
	s_and_b32 s35, vcc_lo, s34
	s_or_b32 s0, s0, s35
	s_delay_alu instid0(SALU_CYCLE_1) | instskip(NEXT) | instid1(SALU_CYCLE_1)
	s_and_b32 s35, s0, exec_lo
	s_or_b32 s33, s33, s35
	s_mov_b32 s35, exec_lo
	v_cmpx_eq_u16_e64 v9, v11
	s_cbranch_execz .LBB9_677
; %bb.679:                              ;   in Loop: Header=BB9_678 Depth=2
	s_add_nc_u64 s[6:7], s[6:7], -1
	v_add_nc_u64_e32 v[4:5], 1, v[4:5]
	s_cmp_eq_u64 s[6:7], 0
	v_add_nc_u64_e32 v[6:7], 1, v[6:7]
	s_cselect_b32 s34, -1, 0
	s_and_not1_b32 s31, s31, exec_lo
	s_and_b32 s34, s34, exec_lo
	s_and_not1_b32 s33, s33, exec_lo
	s_or_b32 s31, s31, s34
                                        ; implicit-def: $sgpr34
	s_branch .LBB9_677
.LBB9_680:                              ;   in Loop: Header=BB9_594 Depth=1
	s_or_b32 exec_lo, exec_lo, s29
	s_xor_b32 s0, s30, -1
	s_branch .LBB9_682
.LBB9_681:                              ;   in Loop: Header=BB9_594 Depth=1
	s_mov_b32 s0, -1
.LBB9_682:                              ;   in Loop: Header=BB9_594 Depth=1
	s_delay_alu instid0(SALU_CYCLE_1)
	s_and_b32 s0, s0, exec_lo
.LBB9_683:                              ;   in Loop: Header=BB9_594 Depth=1
	s_or_b32 exec_lo, exec_lo, s26
	s_delay_alu instid0(SALU_CYCLE_1)
	s_or_not1_b32 s26, s0, exec_lo
.LBB9_684:                              ;   in Loop: Header=BB9_594 Depth=1
	s_or_b32 exec_lo, exec_lo, s28
	v_dual_cndmask_b32 v4, v10, v8, s26 :: v_dual_cndmask_b32 v5, v36, v25, s26
	s_mov_b32 s28, exec_lo
	s_delay_alu instid0(VALU_DEP_1) | instskip(NEXT) | instid1(VALU_DEP_1)
	v_add_nc_u32_e32 v9, 1, v4
	v_add_min_u32_e64 v4, v5, -1, v9
	s_delay_alu instid0(VALU_DEP_1) | instskip(SKIP_4) | instid1(VALU_DEP_2)
	v_lshlrev_b32_e32 v4, 3, v4
	ds_load_b64 v[6:7], v4
	s_wait_dscnt 0x0
	v_dual_cndmask_b32 v10, v9, v10, s26 :: v_dual_cndmask_b32 v5, v51, v7, s26
	v_cndmask_b32_e64 v4, v52, v6, s26
	v_cmpx_lt_u32_e64 v10, v36
	s_cbranch_execz .LBB9_694
; %bb.685:                              ;   in Loop: Header=BB9_594 Depth=1
	v_dual_cndmask_b32 v8, v8, v9, s26 :: v_dual_cndmask_b32 v6, v6, v50, s26
	v_cndmask_b32_e64 v7, v7, v49, s26
	s_mov_b32 s29, exec_lo
	s_delay_alu instid0(VALU_DEP_2)
	v_cmpx_lt_u32_e64 v8, v25
	s_cbranch_execz .LBB9_693
; %bb.686:                              ;   in Loop: Header=BB9_594 Depth=1
	v_cmp_ne_u32_e32 vcc_lo, 1, v35
	s_cbranch_vccnz .LBB9_692
; %bb.687:                              ;   in Loop: Header=BB9_594 Depth=1
	v_mad_nc_u64_u32 v[8:9], v6, s16, s[18:19]
	v_mad_nc_u64_u32 v[10:11], v4, s16, s[18:19]
	s_mov_b32 s30, 0
	s_mov_b64 s[6:7], s[16:17]
                                        ; implicit-def: $sgpr31
                                        ; implicit-def: $sgpr33
                                        ; implicit-def: $sgpr34
                                        ; implicit-def: $sgpr35
	s_delay_alu instid0(VALU_DEP_2) | instskip(NEXT) | instid1(VALU_DEP_2)
	v_mad_u32 v9, v7, s16, v9
	v_mad_u32 v11, v5, s16, v11
	s_delay_alu instid0(VALU_DEP_2) | instskip(NEXT) | instid1(VALU_DEP_2)
	v_mad_u32 v9, v6, s17, v9
	v_mad_u32 v11, v4, s17, v11
	s_branch .LBB9_689
.LBB9_688:                              ;   in Loop: Header=BB9_689 Depth=2
	s_or_b32 exec_lo, exec_lo, s36
	s_delay_alu instid0(SALU_CYCLE_1) | instskip(NEXT) | instid1(SALU_CYCLE_1)
	s_and_b32 s36, exec_lo, s33
	s_or_b32 s30, s36, s30
	s_and_not1_b32 s35, s35, exec_lo
	s_and_b32 s0, s0, exec_lo
	s_and_not1_b32 s31, s31, exec_lo
	s_and_b32 s36, s34, exec_lo
	s_or_b32 s35, s35, s0
	s_or_b32 s31, s31, s36
	s_and_not1_b32 exec_lo, exec_lo, s30
	s_cbranch_execz .LBB9_691
.LBB9_689:                              ;   Parent Loop BB9_594 Depth=1
                                        ; =>  This Inner Loop Header: Depth=2
	global_load_u8 v25, v[8:9], off
	global_load_u8 v36, v[10:11], off
	s_and_not1_b32 s34, s34, exec_lo
	s_or_b32 s33, s33, exec_lo
	s_wait_loadcnt 0x1
	v_and_b32_e32 v25, 0xff, v25
	s_wait_loadcnt 0x0
	v_and_b32_e32 v36, 0xff, v36
	s_delay_alu instid0(VALU_DEP_1) | instskip(SKIP_2) | instid1(SALU_CYCLE_1)
	v_cmp_le_u16_e32 vcc_lo, v25, v36
	v_cmp_lt_u16_e64 s0, v25, v36
	s_and_b32 s36, vcc_lo, s35
	s_or_b32 s0, s0, s36
	s_delay_alu instid0(SALU_CYCLE_1) | instskip(NEXT) | instid1(SALU_CYCLE_1)
	s_and_b32 s36, s0, exec_lo
	s_or_b32 s34, s34, s36
	s_mov_b32 s36, exec_lo
	v_cmpx_eq_u16_e64 v25, v36
	s_cbranch_execz .LBB9_688
; %bb.690:                              ;   in Loop: Header=BB9_689 Depth=2
	s_add_nc_u64 s[6:7], s[6:7], -1
	v_add_nc_u64_e32 v[8:9], 1, v[8:9]
	s_cmp_eq_u64 s[6:7], 0
	v_add_nc_u64_e32 v[10:11], 1, v[10:11]
	s_cselect_b32 s35, -1, 0
	s_and_not1_b32 s33, s33, exec_lo
	s_and_b32 s35, s35, exec_lo
	s_and_not1_b32 s34, s34, exec_lo
	s_or_b32 s33, s33, s35
                                        ; implicit-def: $sgpr35
	s_branch .LBB9_688
.LBB9_691:                              ;   in Loop: Header=BB9_594 Depth=1
	s_or_b32 exec_lo, exec_lo, s30
	v_dual_cndmask_b32 v5, v5, v7, s31 :: v_dual_cndmask_b32 v4, v4, v6, s31
.LBB9_692:                              ;   in Loop: Header=BB9_594 Depth=1
	s_delay_alu instid0(VALU_DEP_1)
	v_mov_b64_e32 v[6:7], v[4:5]
.LBB9_693:                              ;   in Loop: Header=BB9_594 Depth=1
	s_or_b32 exec_lo, exec_lo, s29
	s_delay_alu instid0(VALU_DEP_1)
	v_mov_b64_e32 v[4:5], v[6:7]
.LBB9_694:                              ;   in Loop: Header=BB9_594 Depth=1
	s_or_b32 exec_lo, exec_lo, s28
	v_dual_cndmask_b32 v9, v45, v47, s27 :: v_dual_cndmask_b32 v8, v46, v48, s27
	v_dual_cndmask_b32 v7, v41, v43, s25 :: v_dual_cndmask_b32 v6, v42, v44, s25
	v_dual_cndmask_b32 v13, v12, v13, s24 :: v_dual_cndmask_b32 v12, v39, v40, s24
	v_dual_cndmask_b32 v11, v22, v37, s23 :: v_dual_cndmask_b32 v10, v23, v38, s23
	v_dual_cndmask_b32 v17, v16, v17, s22 :: v_dual_cndmask_b32 v15, v15, v3, s15
	v_dual_cndmask_b32 v16, v20, v21, s22 :: v_dual_cndmask_b32 v14, v14, v2, s15
	v_dual_cndmask_b32 v3, v49, v51, s26 :: v_dual_cndmask_b32 v2, v50, v52, s26
.LBB9_695:                              ;   in Loop: Header=BB9_594 Depth=1
	s_or_b32 exec_lo, exec_lo, s14
	s_cmp_lt_u32 s1, 0x400
	s_barrier_signal -1
	s_barrier_wait -1
	s_cbranch_scc0 .LBB9_697
; %bb.696:                              ;   in Loop: Header=BB9_594 Depth=1
	s_mov_b32 s1, s5
	s_branch .LBB9_594
.LBB9_697:
	s_barrier_signal -1
	s_barrier_wait -1
	ds_store_2addr_b64 v34, v[14:15], v[16:17] offset1:1
	ds_store_2addr_b64 v34, v[10:11], v[12:13] offset0:2 offset1:3
	ds_store_2addr_b64 v34, v[6:7], v[8:9] offset0:4 offset1:5
	;; [unrolled: 1-line block ×3, first 2 shown]
	s_wait_dscnt 0x0
	s_barrier_signal -1
	s_barrier_wait -1
	ds_load_b64 v[4:5], v26
	ds_load_b64 v[6:7], v27 offset:2048
	ds_load_b64 v[8:9], v28 offset:4096
	;; [unrolled: 1-line block ×7, first 2 shown]
	s_mov_b32 s24, -1
	s_wait_dscnt 0x7
	global_store_b64 v18, v[4:5], s[20:21] scale_offset
	s_wait_dscnt 0x6
	global_store_b64 v18, v[6:7], s[20:21] offset:2048 scale_offset
	s_wait_dscnt 0x5
	global_store_b64 v18, v[8:9], s[20:21] offset:4096 scale_offset
	;; [unrolled: 2-line block ×6, first 2 shown]
	s_branch .LBB9_1484
.LBB9_698:
	s_lshl_b64 s[0:1], s[2:3], 11
                                        ; implicit-def: $vgpr2_vgpr3
	s_delay_alu instid0(SALU_CYCLE_1) | instskip(NEXT) | instid1(SALU_CYCLE_1)
	s_sub_co_i32 s25, s4, s0
	v_cmp_gt_u32_e64 s0, s25, v18
	s_wait_xcnt 0x0
	s_and_saveexec_b32 s1, s0
	s_cbranch_execz .LBB9_700
; %bb.699:
	s_wait_dscnt 0x0
	global_load_b64 v[2:3], v18, s[12:13] scale_offset
.LBB9_700:
	s_wait_xcnt 0x0
	s_or_b32 exec_lo, exec_lo, s1
	v_add_nc_u32_e32 v1, 0x100, v18
                                        ; implicit-def: $vgpr4_vgpr5
	s_delay_alu instid0(VALU_DEP_1)
	v_cmp_gt_u32_e64 s1, s25, v1
	s_and_saveexec_b32 s2, s1
	s_cbranch_execz .LBB9_702
; %bb.701:
	global_load_b64 v[4:5], v18, s[12:13] offset:2048 scale_offset
.LBB9_702:
	s_wait_xcnt 0x0
	s_or_b32 exec_lo, exec_lo, s2
	v_add_nc_u32_e32 v19, 0x200, v18
                                        ; implicit-def: $vgpr6_vgpr7
	s_delay_alu instid0(VALU_DEP_1)
	v_cmp_gt_u32_e64 s2, s25, v19
	s_and_saveexec_b32 s3, s2
	s_cbranch_execz .LBB9_704
; %bb.703:
	global_load_b64 v[6:7], v18, s[12:13] offset:4096 scale_offset
.LBB9_704:
	s_wait_xcnt 0x0
	s_or_b32 exec_lo, exec_lo, s3
	v_add_nc_u32_e32 v20, 0x300, v18
                                        ; implicit-def: $vgpr10_vgpr11
	s_delay_alu instid0(VALU_DEP_1)
	v_cmp_gt_u32_e64 s3, s25, v20
	s_and_saveexec_b32 s4, s3
	s_cbranch_execz .LBB9_706
; %bb.705:
	global_load_b64 v[10:11], v18, s[12:13] offset:6144 scale_offset
.LBB9_706:
	s_wait_xcnt 0x0
	s_or_b32 exec_lo, exec_lo, s4
	v_or_b32_e32 v22, 0x400, v18
                                        ; implicit-def: $vgpr8_vgpr9
	s_delay_alu instid0(VALU_DEP_1)
	v_cmp_gt_u32_e64 s4, s25, v22
	s_and_saveexec_b32 s5, s4
	s_cbranch_execz .LBB9_708
; %bb.707:
	global_load_b64 v[8:9], v18, s[12:13] offset:8192 scale_offset
.LBB9_708:
	s_wait_xcnt 0x0
	s_or_b32 exec_lo, exec_lo, s5
	v_add_nc_u32_e32 v23, 0x500, v18
                                        ; implicit-def: $vgpr12_vgpr13
	s_delay_alu instid0(VALU_DEP_1)
	v_cmp_gt_u32_e64 s5, s25, v23
	s_and_saveexec_b32 s6, s5
	s_cbranch_execz .LBB9_710
; %bb.709:
	global_load_b64 v[12:13], v18, s[12:13] offset:10240 scale_offset
.LBB9_710:
	s_wait_xcnt 0x0
	s_or_b32 exec_lo, exec_lo, s6
	v_add_nc_u32_e32 v24, 0x600, v18
                                        ; implicit-def: $vgpr14_vgpr15
	s_delay_alu instid0(VALU_DEP_1)
	v_cmp_gt_u32_e64 s6, s25, v24
	s_and_saveexec_b32 s7, s6
	s_cbranch_execz .LBB9_712
; %bb.711:
	global_load_b64 v[14:15], v18, s[12:13] offset:12288 scale_offset
.LBB9_712:
	s_wait_xcnt 0x0
	s_or_b32 exec_lo, exec_lo, s7
	v_add_nc_u32_e32 v25, 0x700, v18
                                        ; implicit-def: $vgpr16_vgpr17
	s_delay_alu instid0(VALU_DEP_1)
	v_cmp_gt_u32_e64 s24, s25, v25
	s_and_saveexec_b32 s7, s24
	s_cbranch_execz .LBB9_714
; %bb.713:
	global_load_b64 v[16:17], v18, s[12:13] offset:14336 scale_offset
.LBB9_714:
	s_wait_xcnt 0x0
	s_or_b32 exec_lo, exec_lo, s7
	v_dual_lshrrev_b32 v21, 2, v18 :: v_dual_lshrrev_b32 v1, 2, v1
	v_dual_lshrrev_b32 v19, 2, v19 :: v_dual_lshrrev_b32 v26, 2, v20
	v_lshlrev_b32_e32 v20, 3, v18
	s_delay_alu instid0(VALU_DEP_3) | instskip(NEXT) | instid1(VALU_DEP_4)
	v_and_b32_e32 v21, 0xf8, v21
	v_and_b32_e32 v1, 0x1f8, v1
	s_delay_alu instid0(VALU_DEP_4)
	v_and_b32_e32 v27, 0x1f8, v19
	v_and_b32_e32 v28, 0x1f8, v26
	s_cmp_lt_u32 s9, s8
	v_add_nc_u32_e32 v19, v21, v20
	v_dual_add_nc_u32 v21, v1, v20 :: v_dual_lshrrev_b32 v1, 2, v22
	v_dual_lshrrev_b32 v22, 2, v23 :: v_dual_add_nc_u32 v26, v27, v20
	v_add_nc_u32_e32 v27, v28, v20
	v_dual_lshrrev_b32 v23, 2, v24 :: v_dual_lshrrev_b32 v24, 2, v25
	s_wait_loadcnt_dscnt 0x0
	ds_store_b64 v19, v[2:3]
	ds_store_b64 v21, v[4:5] offset:2048
	ds_store_b64 v26, v[6:7] offset:4096
	;; [unrolled: 1-line block ×3, first 2 shown]
	v_and_b32_e32 v1, 0x1f8, v1
	v_lshlrev_b32_e32 v5, 1, v18
	v_and_b32_e32 v2, 0x3f8, v22
	v_and_b32_e32 v3, 0x3f8, v23
	;; [unrolled: 1-line block ×3, first 2 shown]
	v_add_nc_u32_e32 v28, v1, v20
	v_and_b32_e32 v1, 0x7f8, v5
	s_delay_alu instid0(VALU_DEP_4) | instskip(NEXT) | instid1(VALU_DEP_4)
	v_dual_add_nc_u32 v29, v2, v20 :: v_dual_add_nc_u32 v30, v3, v20
	v_add_nc_u32_e32 v31, v4, v20
	ds_store_b64 v28, v[8:9] offset:8192
	ds_store_b64 v29, v[12:13] offset:10240
	;; [unrolled: 1-line block ×4, first 2 shown]
	v_lshl_add_u32 v32, v18, 6, v1
	s_wait_storecnt_dscnt 0x0
	s_barrier_signal -1
	s_barrier_wait -1
	ds_load_2addr_b64 v[14:17], v32 offset1:1
	ds_load_2addr_b64 v[10:13], v32 offset0:2 offset1:3
	ds_load_2addr_b64 v[6:9], v32 offset0:4 offset1:5
	;; [unrolled: 1-line block ×3, first 2 shown]
	s_wait_dscnt 0x0
	s_barrier_signal -1
	s_barrier_wait -1
	s_load_u16 s7, s[10:11], 0xe
	s_cselect_b32 s8, 12, 18
	s_mov_b32 s9, 0
	v_bfe_u32 v1, v0, 10, 10
	s_add_nc_u64 s[8:9], s[10:11], s[8:9]
	v_bfe_u32 v0, v0, 20, 10
	s_load_u16 s8, s[8:9], 0x0
	v_cmp_gt_i64_e64 s26, s[16:17], 0
	s_wait_kmcnt 0x0
	s_delay_alu instid0(VALU_DEP_2) | instskip(NEXT) | instid1(VALU_DEP_1)
	v_mad_u32_u24 v0, v0, s7, v1
	v_mul_lo_u32 v0, v0, s8
	s_delay_alu instid0(VALU_DEP_1) | instskip(NEXT) | instid1(VALU_DEP_1)
	v_add_lshl_u32 v24, v0, v18, 3
	v_sub_nc_u32_e64 v25, s25, v24 clamp
	s_delay_alu instid0(VALU_DEP_1)
	v_cmp_lt_u32_e64 s7, 1, v25
	s_and_saveexec_b32 s12, s7
	s_cbranch_execz .LBB9_723
; %bb.715:
	s_and_not1_b32 vcc_lo, exec_lo, s26
	s_cbranch_vccnz .LBB9_723
; %bb.716:
	v_mad_nc_u64_u32 v[0:1], v16, s16, s[18:19]
	v_mad_nc_u64_u32 v[22:23], v14, s16, s[18:19]
	s_mov_b32 s14, 0
	s_mov_b64 s[10:11], s[16:17]
                                        ; implicit-def: $sgpr13
                                        ; implicit-def: $sgpr15
                                        ; implicit-def: $sgpr23
                                        ; implicit-def: $sgpr22
                                        ; implicit-def: $sgpr27
	s_delay_alu instid0(VALU_DEP_2) | instskip(NEXT) | instid1(VALU_DEP_2)
	v_mad_u32 v1, v17, s16, v1
	v_mad_u32 v23, v15, s16, v23
	s_delay_alu instid0(VALU_DEP_2) | instskip(NEXT) | instid1(VALU_DEP_2)
	v_mad_u32 v1, v16, s17, v1
	v_mad_u32 v23, v14, s17, v23
	s_branch .LBB9_718
.LBB9_717:                              ;   in Loop: Header=BB9_718 Depth=1
	s_or_b32 exec_lo, exec_lo, s28
	s_and_b32 s8, s8, s27
	s_delay_alu instid0(SALU_CYCLE_1) | instskip(SKIP_1) | instid1(SALU_CYCLE_1)
	s_or_b32 s8, vcc_lo, s8
	s_and_b32 s9, exec_lo, s23
	s_or_b32 s14, s9, s14
	s_and_not1_b32 s9, s27, exec_lo
	s_and_b32 s8, s8, exec_lo
	s_and_not1_b32 s15, s15, exec_lo
	s_and_b32 s28, s22, exec_lo
	s_or_b32 s27, s9, s8
	s_and_not1_b32 s9, s13, exec_lo
	s_or_b32 s15, s15, s28
	s_or_b32 s13, s9, s8
	s_and_not1_b32 exec_lo, exec_lo, s14
	s_cbranch_execz .LBB9_720
.LBB9_718:                              ; =>This Inner Loop Header: Depth=1
	global_load_u8 v33, v[0:1], off
	global_load_u8 v34, v[22:23], off
	s_or_b32 s22, s22, exec_lo
	s_or_b32 s23, s23, exec_lo
	s_mov_b32 s28, exec_lo
	s_wait_loadcnt 0x1
	v_and_b32_e32 v33, 0xff, v33
	s_wait_loadcnt 0x0
	v_and_b32_e32 v34, 0xff, v34
	s_delay_alu instid0(VALU_DEP_1)
	v_cmp_le_u16_e64 s8, v33, v34
	v_cmp_lt_u16_e32 vcc_lo, v33, v34
	v_cmpx_eq_u16_e64 v33, v34
	s_cbranch_execz .LBB9_717
; %bb.719:                              ;   in Loop: Header=BB9_718 Depth=1
	s_add_nc_u64 s[10:11], s[10:11], -1
	v_add_nc_u64_e32 v[0:1], 1, v[0:1]
	s_cmp_eq_u64 s[10:11], 0
	v_add_nc_u64_e32 v[22:23], 1, v[22:23]
	s_cselect_b32 s9, -1, 0
	s_and_not1_b32 s23, s23, exec_lo
	s_and_b32 s9, s9, exec_lo
	s_and_not1_b32 s22, s22, exec_lo
	s_or_b32 s23, s23, s9
	s_branch .LBB9_717
.LBB9_720:
	s_or_b32 exec_lo, exec_lo, s14
	s_and_saveexec_b32 s8, s15
	s_delay_alu instid0(SALU_CYCLE_1)
	s_xor_b32 s8, exec_lo, s8
; %bb.721:
	v_dual_cndmask_b32 v1, v17, v15, s13 :: v_dual_cndmask_b32 v0, v16, v14, s13
	v_dual_cndmask_b32 v15, v15, v17, s13 :: v_dual_cndmask_b32 v14, v14, v16, s13
	s_delay_alu instid0(VALU_DEP_2)
	v_mov_b64_e32 v[16:17], v[0:1]
; %bb.722:
	s_or_b32 exec_lo, exec_lo, s8
.LBB9_723:
	s_delay_alu instid0(SALU_CYCLE_1)
	s_or_b32 exec_lo, exec_lo, s12
	v_cmp_lt_u32_e64 s8, 3, v25
	s_and_saveexec_b32 s11, s8
	s_cbranch_execz .LBB9_732
; %bb.724:
	s_and_not1_b32 vcc_lo, exec_lo, s26
	s_cbranch_vccnz .LBB9_732
; %bb.725:
	v_mad_nc_u64_u32 v[0:1], v12, s16, s[18:19]
	v_mad_nc_u64_u32 v[22:23], v10, s16, s[18:19]
	s_mov_b32 s15, 0
	s_mov_b64 s[12:13], s[16:17]
                                        ; implicit-def: $sgpr14
                                        ; implicit-def: $sgpr22
                                        ; implicit-def: $sgpr27
                                        ; implicit-def: $sgpr23
                                        ; implicit-def: $sgpr28
	s_delay_alu instid0(VALU_DEP_2) | instskip(NEXT) | instid1(VALU_DEP_2)
	v_mad_u32 v1, v13, s16, v1
	v_mad_u32 v23, v11, s16, v23
	s_delay_alu instid0(VALU_DEP_2) | instskip(NEXT) | instid1(VALU_DEP_2)
	v_mad_u32 v1, v12, s17, v1
	v_mad_u32 v23, v10, s17, v23
	s_branch .LBB9_727
.LBB9_726:                              ;   in Loop: Header=BB9_727 Depth=1
	s_or_b32 exec_lo, exec_lo, s29
	s_and_b32 s9, s9, s28
	s_delay_alu instid0(SALU_CYCLE_1) | instskip(SKIP_1) | instid1(SALU_CYCLE_1)
	s_or_b32 s9, vcc_lo, s9
	s_and_b32 s10, exec_lo, s27
	s_or_b32 s15, s10, s15
	s_and_not1_b32 s10, s28, exec_lo
	s_and_b32 s9, s9, exec_lo
	s_and_not1_b32 s22, s22, exec_lo
	s_and_b32 s29, s23, exec_lo
	s_or_b32 s28, s10, s9
	s_and_not1_b32 s10, s14, exec_lo
	s_or_b32 s22, s22, s29
	s_or_b32 s14, s10, s9
	s_and_not1_b32 exec_lo, exec_lo, s15
	s_cbranch_execz .LBB9_729
.LBB9_727:                              ; =>This Inner Loop Header: Depth=1
	global_load_u8 v33, v[0:1], off
	global_load_u8 v34, v[22:23], off
	s_or_b32 s23, s23, exec_lo
	s_or_b32 s27, s27, exec_lo
	s_mov_b32 s29, exec_lo
	s_wait_loadcnt 0x1
	v_and_b32_e32 v33, 0xff, v33
	s_wait_loadcnt 0x0
	v_and_b32_e32 v34, 0xff, v34
	s_delay_alu instid0(VALU_DEP_1)
	v_cmp_le_u16_e64 s9, v33, v34
	v_cmp_lt_u16_e32 vcc_lo, v33, v34
	v_cmpx_eq_u16_e64 v33, v34
	s_cbranch_execz .LBB9_726
; %bb.728:                              ;   in Loop: Header=BB9_727 Depth=1
	s_add_nc_u64 s[12:13], s[12:13], -1
	v_add_nc_u64_e32 v[0:1], 1, v[0:1]
	s_cmp_eq_u64 s[12:13], 0
	v_add_nc_u64_e32 v[22:23], 1, v[22:23]
	s_cselect_b32 s10, -1, 0
	s_and_not1_b32 s27, s27, exec_lo
	s_and_b32 s10, s10, exec_lo
	s_and_not1_b32 s23, s23, exec_lo
	s_or_b32 s27, s27, s10
	s_branch .LBB9_726
.LBB9_729:
	s_or_b32 exec_lo, exec_lo, s15
	s_and_saveexec_b32 s9, s22
	s_delay_alu instid0(SALU_CYCLE_1)
	s_xor_b32 s9, exec_lo, s9
; %bb.730:
	v_dual_cndmask_b32 v1, v11, v13, s14 :: v_dual_cndmask_b32 v0, v10, v12, s14
	v_dual_cndmask_b32 v13, v13, v11, s14 :: v_dual_cndmask_b32 v12, v12, v10, s14
	s_delay_alu instid0(VALU_DEP_2)
	v_mov_b64_e32 v[10:11], v[0:1]
; %bb.731:
	s_or_b32 exec_lo, exec_lo, s9
.LBB9_732:
	s_delay_alu instid0(SALU_CYCLE_1)
	s_or_b32 exec_lo, exec_lo, s11
	v_cmp_lt_u32_e64 s9, 5, v25
	s_and_saveexec_b32 s14, s9
	s_cbranch_execz .LBB9_741
; %bb.733:
	s_and_not1_b32 vcc_lo, exec_lo, s26
	s_cbranch_vccnz .LBB9_741
; %bb.734:
	v_mad_nc_u64_u32 v[0:1], v8, s16, s[18:19]
	v_mad_nc_u64_u32 v[22:23], v6, s16, s[18:19]
	s_mov_b32 s22, 0
	s_mov_b64 s[12:13], s[16:17]
                                        ; implicit-def: $sgpr15
                                        ; implicit-def: $sgpr23
                                        ; implicit-def: $sgpr28
                                        ; implicit-def: $sgpr27
                                        ; implicit-def: $sgpr29
	s_delay_alu instid0(VALU_DEP_2) | instskip(NEXT) | instid1(VALU_DEP_2)
	v_mad_u32 v1, v9, s16, v1
	v_mad_u32 v23, v7, s16, v23
	s_delay_alu instid0(VALU_DEP_2) | instskip(NEXT) | instid1(VALU_DEP_2)
	v_mad_u32 v1, v8, s17, v1
	v_mad_u32 v23, v6, s17, v23
	s_branch .LBB9_736
.LBB9_735:                              ;   in Loop: Header=BB9_736 Depth=1
	s_or_b32 exec_lo, exec_lo, s30
	s_and_b32 s10, s10, s29
	s_delay_alu instid0(SALU_CYCLE_1) | instskip(SKIP_1) | instid1(SALU_CYCLE_1)
	s_or_b32 s10, vcc_lo, s10
	s_and_b32 s11, exec_lo, s28
	s_or_b32 s22, s11, s22
	s_and_not1_b32 s11, s29, exec_lo
	s_and_b32 s10, s10, exec_lo
	s_and_not1_b32 s23, s23, exec_lo
	s_and_b32 s30, s27, exec_lo
	s_or_b32 s29, s11, s10
	s_and_not1_b32 s11, s15, exec_lo
	s_or_b32 s23, s23, s30
	s_or_b32 s15, s11, s10
	s_and_not1_b32 exec_lo, exec_lo, s22
	s_cbranch_execz .LBB9_738
.LBB9_736:                              ; =>This Inner Loop Header: Depth=1
	global_load_u8 v33, v[0:1], off
	global_load_u8 v34, v[22:23], off
	s_or_b32 s27, s27, exec_lo
	s_or_b32 s28, s28, exec_lo
	s_mov_b32 s30, exec_lo
	s_wait_loadcnt 0x1
	v_and_b32_e32 v33, 0xff, v33
	s_wait_loadcnt 0x0
	v_and_b32_e32 v34, 0xff, v34
	s_delay_alu instid0(VALU_DEP_1)
	v_cmp_le_u16_e64 s10, v33, v34
	v_cmp_lt_u16_e32 vcc_lo, v33, v34
	v_cmpx_eq_u16_e64 v33, v34
	s_cbranch_execz .LBB9_735
; %bb.737:                              ;   in Loop: Header=BB9_736 Depth=1
	s_add_nc_u64 s[12:13], s[12:13], -1
	v_add_nc_u64_e32 v[0:1], 1, v[0:1]
	s_cmp_eq_u64 s[12:13], 0
	v_add_nc_u64_e32 v[22:23], 1, v[22:23]
	s_cselect_b32 s11, -1, 0
	s_and_not1_b32 s28, s28, exec_lo
	s_and_b32 s11, s11, exec_lo
	s_and_not1_b32 s27, s27, exec_lo
	s_or_b32 s28, s28, s11
	s_branch .LBB9_735
.LBB9_738:
	s_or_b32 exec_lo, exec_lo, s22
	s_and_saveexec_b32 s10, s23
	s_delay_alu instid0(SALU_CYCLE_1)
	s_xor_b32 s10, exec_lo, s10
; %bb.739:
	v_dual_cndmask_b32 v1, v7, v9, s15 :: v_dual_cndmask_b32 v0, v6, v8, s15
	v_dual_cndmask_b32 v9, v9, v7, s15 :: v_dual_cndmask_b32 v8, v8, v6, s15
	s_delay_alu instid0(VALU_DEP_2)
	v_mov_b64_e32 v[6:7], v[0:1]
; %bb.740:
	s_or_b32 exec_lo, exec_lo, s10
.LBB9_741:
	s_delay_alu instid0(SALU_CYCLE_1)
	s_or_b32 exec_lo, exec_lo, s14
	v_cmp_lt_u32_e64 s10, 7, v25
	s_and_saveexec_b32 s13, s10
	s_cbranch_execz .LBB9_750
; %bb.742:
	s_and_not1_b32 vcc_lo, exec_lo, s26
	s_cbranch_vccnz .LBB9_750
; %bb.743:
	v_mad_nc_u64_u32 v[0:1], v4, s16, s[18:19]
	v_mad_nc_u64_u32 v[22:23], v2, s16, s[18:19]
	s_mov_b32 s23, 0
	s_mov_b64 s[14:15], s[16:17]
                                        ; implicit-def: $sgpr22
                                        ; implicit-def: $sgpr27
                                        ; implicit-def: $sgpr29
                                        ; implicit-def: $sgpr28
                                        ; implicit-def: $sgpr30
	s_delay_alu instid0(VALU_DEP_2) | instskip(NEXT) | instid1(VALU_DEP_2)
	v_mad_u32 v1, v5, s16, v1
	v_mad_u32 v23, v3, s16, v23
	s_delay_alu instid0(VALU_DEP_2) | instskip(NEXT) | instid1(VALU_DEP_2)
	v_mad_u32 v1, v4, s17, v1
	v_mad_u32 v23, v2, s17, v23
	s_branch .LBB9_745
.LBB9_744:                              ;   in Loop: Header=BB9_745 Depth=1
	s_or_b32 exec_lo, exec_lo, s31
	s_and_b32 s11, s11, s30
	s_delay_alu instid0(SALU_CYCLE_1) | instskip(SKIP_1) | instid1(SALU_CYCLE_1)
	s_or_b32 s11, vcc_lo, s11
	s_and_b32 s12, exec_lo, s29
	s_or_b32 s23, s12, s23
	s_and_not1_b32 s12, s30, exec_lo
	s_and_b32 s11, s11, exec_lo
	s_and_not1_b32 s27, s27, exec_lo
	s_and_b32 s31, s28, exec_lo
	s_or_b32 s30, s12, s11
	s_and_not1_b32 s12, s22, exec_lo
	s_or_b32 s27, s27, s31
	s_or_b32 s22, s12, s11
	s_and_not1_b32 exec_lo, exec_lo, s23
	s_cbranch_execz .LBB9_747
.LBB9_745:                              ; =>This Inner Loop Header: Depth=1
	global_load_u8 v33, v[0:1], off
	global_load_u8 v34, v[22:23], off
	s_or_b32 s28, s28, exec_lo
	s_or_b32 s29, s29, exec_lo
	s_mov_b32 s31, exec_lo
	s_wait_loadcnt 0x1
	v_and_b32_e32 v33, 0xff, v33
	s_wait_loadcnt 0x0
	v_and_b32_e32 v34, 0xff, v34
	s_delay_alu instid0(VALU_DEP_1)
	v_cmp_le_u16_e64 s11, v33, v34
	v_cmp_lt_u16_e32 vcc_lo, v33, v34
	v_cmpx_eq_u16_e64 v33, v34
	s_cbranch_execz .LBB9_744
; %bb.746:                              ;   in Loop: Header=BB9_745 Depth=1
	s_add_nc_u64 s[14:15], s[14:15], -1
	v_add_nc_u64_e32 v[0:1], 1, v[0:1]
	s_cmp_eq_u64 s[14:15], 0
	v_add_nc_u64_e32 v[22:23], 1, v[22:23]
	s_cselect_b32 s12, -1, 0
	s_and_not1_b32 s29, s29, exec_lo
	s_and_b32 s12, s12, exec_lo
	s_and_not1_b32 s28, s28, exec_lo
	s_or_b32 s29, s29, s12
	s_branch .LBB9_744
.LBB9_747:
	s_or_b32 exec_lo, exec_lo, s23
	s_and_saveexec_b32 s11, s27
	s_delay_alu instid0(SALU_CYCLE_1)
	s_xor_b32 s11, exec_lo, s11
; %bb.748:
	v_dual_cndmask_b32 v1, v3, v5, s22 :: v_dual_cndmask_b32 v0, v2, v4, s22
	v_dual_cndmask_b32 v5, v5, v3, s22 :: v_dual_cndmask_b32 v4, v4, v2, s22
	s_delay_alu instid0(VALU_DEP_2)
	v_mov_b64_e32 v[2:3], v[0:1]
; %bb.749:
	s_or_b32 exec_lo, exec_lo, s11
.LBB9_750:
	s_delay_alu instid0(SALU_CYCLE_1) | instskip(SKIP_2) | instid1(SALU_CYCLE_1)
	s_or_b32 exec_lo, exec_lo, s13
	v_cmp_lt_u32_e64 s11, 2, v25
	s_and_saveexec_b32 s12, s11
	s_xor_b32 s22, exec_lo, s12
	s_cbranch_execz .LBB9_759
; %bb.751:
	s_and_not1_b32 vcc_lo, exec_lo, s26
	s_cbranch_vccnz .LBB9_759
; %bb.752:
	v_mad_nc_u64_u32 v[0:1], v10, s16, s[18:19]
	v_mad_nc_u64_u32 v[22:23], v16, s16, s[18:19]
	s_mov_b32 s27, 0
	s_mov_b64 s[14:15], s[16:17]
                                        ; implicit-def: $sgpr23
                                        ; implicit-def: $sgpr28
                                        ; implicit-def: $sgpr30
                                        ; implicit-def: $sgpr29
                                        ; implicit-def: $sgpr31
	s_delay_alu instid0(VALU_DEP_2) | instskip(NEXT) | instid1(VALU_DEP_2)
	v_mad_u32 v1, v11, s16, v1
	v_mad_u32 v23, v17, s16, v23
	s_delay_alu instid0(VALU_DEP_2) | instskip(NEXT) | instid1(VALU_DEP_2)
	v_mad_u32 v1, v10, s17, v1
	v_mad_u32 v23, v16, s17, v23
	s_branch .LBB9_754
.LBB9_753:                              ;   in Loop: Header=BB9_754 Depth=1
	s_or_b32 exec_lo, exec_lo, s33
	s_and_b32 s12, s12, s31
	s_delay_alu instid0(SALU_CYCLE_1) | instskip(SKIP_1) | instid1(SALU_CYCLE_1)
	s_or_b32 s12, vcc_lo, s12
	s_and_b32 s13, exec_lo, s30
	s_or_b32 s27, s13, s27
	s_and_not1_b32 s13, s31, exec_lo
	s_and_b32 s12, s12, exec_lo
	s_and_not1_b32 s28, s28, exec_lo
	s_and_b32 s33, s29, exec_lo
	s_or_b32 s31, s13, s12
	s_and_not1_b32 s13, s23, exec_lo
	s_or_b32 s28, s28, s33
	s_or_b32 s23, s13, s12
	s_and_not1_b32 exec_lo, exec_lo, s27
	s_cbranch_execz .LBB9_756
.LBB9_754:                              ; =>This Inner Loop Header: Depth=1
	global_load_u8 v33, v[0:1], off
	global_load_u8 v34, v[22:23], off
	s_or_b32 s29, s29, exec_lo
	s_or_b32 s30, s30, exec_lo
	s_mov_b32 s33, exec_lo
	s_wait_loadcnt 0x1
	v_and_b32_e32 v33, 0xff, v33
	s_wait_loadcnt 0x0
	v_and_b32_e32 v34, 0xff, v34
	s_delay_alu instid0(VALU_DEP_1)
	v_cmp_le_u16_e64 s12, v33, v34
	v_cmp_lt_u16_e32 vcc_lo, v33, v34
	v_cmpx_eq_u16_e64 v33, v34
	s_cbranch_execz .LBB9_753
; %bb.755:                              ;   in Loop: Header=BB9_754 Depth=1
	s_add_nc_u64 s[14:15], s[14:15], -1
	v_add_nc_u64_e32 v[0:1], 1, v[0:1]
	s_cmp_eq_u64 s[14:15], 0
	v_add_nc_u64_e32 v[22:23], 1, v[22:23]
	s_cselect_b32 s13, -1, 0
	s_and_not1_b32 s30, s30, exec_lo
	s_and_b32 s13, s13, exec_lo
	s_and_not1_b32 s29, s29, exec_lo
	s_or_b32 s30, s30, s13
	s_branch .LBB9_753
.LBB9_756:
	s_or_b32 exec_lo, exec_lo, s27
	s_and_saveexec_b32 s12, s28
	s_delay_alu instid0(SALU_CYCLE_1)
	s_xor_b32 s12, exec_lo, s12
; %bb.757:
	v_dual_cndmask_b32 v1, v17, v11, s23 :: v_dual_cndmask_b32 v0, v16, v10, s23
	v_dual_cndmask_b32 v11, v11, v17, s23 :: v_dual_cndmask_b32 v10, v10, v16, s23
	s_delay_alu instid0(VALU_DEP_2)
	v_mov_b64_e32 v[16:17], v[0:1]
; %bb.758:
	s_or_b32 exec_lo, exec_lo, s12
.LBB9_759:
	s_delay_alu instid0(SALU_CYCLE_1)
	s_or_b32 exec_lo, exec_lo, s22
	v_cmp_lt_u32_e64 s12, 4, v25
	s_and_saveexec_b32 s15, s12
	s_cbranch_execz .LBB9_768
; %bb.760:
	s_and_not1_b32 vcc_lo, exec_lo, s26
	s_cbranch_vccnz .LBB9_768
; %bb.761:
	v_mad_nc_u64_u32 v[0:1], v6, s16, s[18:19]
	v_mad_nc_u64_u32 v[22:23], v12, s16, s[18:19]
	s_mov_b32 s28, 0
	s_mov_b64 s[22:23], s[16:17]
                                        ; implicit-def: $sgpr27
                                        ; implicit-def: $sgpr29
                                        ; implicit-def: $sgpr31
                                        ; implicit-def: $sgpr30
                                        ; implicit-def: $sgpr33
	s_delay_alu instid0(VALU_DEP_2) | instskip(NEXT) | instid1(VALU_DEP_2)
	v_mad_u32 v1, v7, s16, v1
	v_mad_u32 v23, v13, s16, v23
	s_delay_alu instid0(VALU_DEP_2) | instskip(NEXT) | instid1(VALU_DEP_2)
	v_mad_u32 v1, v6, s17, v1
	v_mad_u32 v23, v12, s17, v23
	s_branch .LBB9_763
.LBB9_762:                              ;   in Loop: Header=BB9_763 Depth=1
	s_or_b32 exec_lo, exec_lo, s34
	s_and_b32 s13, s13, s33
	s_delay_alu instid0(SALU_CYCLE_1) | instskip(SKIP_1) | instid1(SALU_CYCLE_1)
	s_or_b32 s13, vcc_lo, s13
	s_and_b32 s14, exec_lo, s31
	s_or_b32 s28, s14, s28
	s_and_not1_b32 s14, s33, exec_lo
	s_and_b32 s13, s13, exec_lo
	s_and_not1_b32 s29, s29, exec_lo
	s_and_b32 s34, s30, exec_lo
	s_or_b32 s33, s14, s13
	s_and_not1_b32 s14, s27, exec_lo
	s_or_b32 s29, s29, s34
	s_or_b32 s27, s14, s13
	s_and_not1_b32 exec_lo, exec_lo, s28
	s_cbranch_execz .LBB9_765
.LBB9_763:                              ; =>This Inner Loop Header: Depth=1
	global_load_u8 v33, v[0:1], off
	global_load_u8 v34, v[22:23], off
	s_or_b32 s30, s30, exec_lo
	s_or_b32 s31, s31, exec_lo
	s_mov_b32 s34, exec_lo
	s_wait_loadcnt 0x1
	v_and_b32_e32 v33, 0xff, v33
	s_wait_loadcnt 0x0
	v_and_b32_e32 v34, 0xff, v34
	s_delay_alu instid0(VALU_DEP_1)
	v_cmp_le_u16_e64 s13, v33, v34
	v_cmp_lt_u16_e32 vcc_lo, v33, v34
	v_cmpx_eq_u16_e64 v33, v34
	s_cbranch_execz .LBB9_762
; %bb.764:                              ;   in Loop: Header=BB9_763 Depth=1
	s_add_nc_u64 s[22:23], s[22:23], -1
	v_add_nc_u64_e32 v[0:1], 1, v[0:1]
	s_cmp_eq_u64 s[22:23], 0
	v_add_nc_u64_e32 v[22:23], 1, v[22:23]
	s_cselect_b32 s14, -1, 0
	s_and_not1_b32 s31, s31, exec_lo
	s_and_b32 s14, s14, exec_lo
	s_and_not1_b32 s30, s30, exec_lo
	s_or_b32 s31, s31, s14
	s_branch .LBB9_762
.LBB9_765:
	s_or_b32 exec_lo, exec_lo, s28
	s_and_saveexec_b32 s13, s29
	s_delay_alu instid0(SALU_CYCLE_1)
	s_xor_b32 s13, exec_lo, s13
; %bb.766:
	v_dual_cndmask_b32 v1, v13, v7, s27 :: v_dual_cndmask_b32 v0, v12, v6, s27
	v_dual_cndmask_b32 v7, v7, v13, s27 :: v_dual_cndmask_b32 v6, v6, v12, s27
	s_delay_alu instid0(VALU_DEP_2)
	v_mov_b64_e32 v[12:13], v[0:1]
; %bb.767:
	s_or_b32 exec_lo, exec_lo, s13
.LBB9_768:
	s_delay_alu instid0(SALU_CYCLE_1)
	s_or_b32 exec_lo, exec_lo, s15
	v_cmp_lt_u32_e64 s13, 6, v25
	s_and_saveexec_b32 s27, s13
	s_cbranch_execz .LBB9_777
; %bb.769:
	s_and_not1_b32 vcc_lo, exec_lo, s26
	s_cbranch_vccnz .LBB9_777
; %bb.770:
	v_mad_nc_u64_u32 v[0:1], v2, s16, s[18:19]
	v_mad_nc_u64_u32 v[22:23], v8, s16, s[18:19]
	s_mov_b32 s29, 0
	s_mov_b64 s[22:23], s[16:17]
                                        ; implicit-def: $sgpr28
                                        ; implicit-def: $sgpr30
                                        ; implicit-def: $sgpr33
                                        ; implicit-def: $sgpr31
                                        ; implicit-def: $sgpr34
	s_delay_alu instid0(VALU_DEP_2) | instskip(NEXT) | instid1(VALU_DEP_2)
	v_mad_u32 v1, v3, s16, v1
	v_mad_u32 v23, v9, s16, v23
	s_delay_alu instid0(VALU_DEP_2) | instskip(NEXT) | instid1(VALU_DEP_2)
	v_mad_u32 v1, v2, s17, v1
	v_mad_u32 v23, v8, s17, v23
	s_branch .LBB9_772
.LBB9_771:                              ;   in Loop: Header=BB9_772 Depth=1
	s_or_b32 exec_lo, exec_lo, s35
	s_and_b32 s14, s14, s34
	s_delay_alu instid0(SALU_CYCLE_1) | instskip(SKIP_1) | instid1(SALU_CYCLE_1)
	s_or_b32 s14, vcc_lo, s14
	s_and_b32 s15, exec_lo, s33
	s_or_b32 s29, s15, s29
	s_and_not1_b32 s15, s34, exec_lo
	s_and_b32 s14, s14, exec_lo
	s_and_not1_b32 s30, s30, exec_lo
	s_and_b32 s35, s31, exec_lo
	s_or_b32 s34, s15, s14
	s_and_not1_b32 s15, s28, exec_lo
	s_or_b32 s30, s30, s35
	s_or_b32 s28, s15, s14
	s_and_not1_b32 exec_lo, exec_lo, s29
	s_cbranch_execz .LBB9_774
.LBB9_772:                              ; =>This Inner Loop Header: Depth=1
	global_load_u8 v25, v[0:1], off
	global_load_u8 v33, v[22:23], off
	s_or_b32 s31, s31, exec_lo
	s_or_b32 s33, s33, exec_lo
	s_mov_b32 s35, exec_lo
	s_wait_loadcnt 0x1
	v_and_b32_e32 v25, 0xff, v25
	s_wait_loadcnt 0x0
	v_and_b32_e32 v33, 0xff, v33
	s_delay_alu instid0(VALU_DEP_1)
	v_cmp_le_u16_e64 s14, v25, v33
	v_cmp_lt_u16_e32 vcc_lo, v25, v33
	v_cmpx_eq_u16_e64 v25, v33
	s_cbranch_execz .LBB9_771
; %bb.773:                              ;   in Loop: Header=BB9_772 Depth=1
	s_add_nc_u64 s[22:23], s[22:23], -1
	v_add_nc_u64_e32 v[0:1], 1, v[0:1]
	s_cmp_eq_u64 s[22:23], 0
	v_add_nc_u64_e32 v[22:23], 1, v[22:23]
	s_cselect_b32 s15, -1, 0
	s_and_not1_b32 s33, s33, exec_lo
	s_and_b32 s15, s15, exec_lo
	s_and_not1_b32 s31, s31, exec_lo
	s_or_b32 s33, s33, s15
	s_branch .LBB9_771
.LBB9_774:
	s_or_b32 exec_lo, exec_lo, s29
	s_and_saveexec_b32 s14, s30
	s_delay_alu instid0(SALU_CYCLE_1)
	s_xor_b32 s14, exec_lo, s14
; %bb.775:
	v_dual_cndmask_b32 v1, v9, v3, s28 :: v_dual_cndmask_b32 v0, v8, v2, s28
	v_dual_cndmask_b32 v3, v3, v9, s28 :: v_dual_cndmask_b32 v2, v2, v8, s28
	s_delay_alu instid0(VALU_DEP_2)
	v_mov_b64_e32 v[8:9], v[0:1]
; %bb.776:
	s_or_b32 exec_lo, exec_lo, s14
.LBB9_777:
	s_delay_alu instid0(SALU_CYCLE_1)
	s_or_b32 exec_lo, exec_lo, s27
	s_and_saveexec_b32 s27, s7
	s_cbranch_execz .LBB9_786
; %bb.778:
	s_and_not1_b32 vcc_lo, exec_lo, s26
	s_cbranch_vccnz .LBB9_786
; %bb.779:
	v_mad_nc_u64_u32 v[0:1], v16, s16, s[18:19]
	v_mad_nc_u64_u32 v[22:23], v14, s16, s[18:19]
	s_mov_b32 s29, 0
	s_mov_b64 s[22:23], s[16:17]
                                        ; implicit-def: $sgpr28
                                        ; implicit-def: $sgpr30
                                        ; implicit-def: $sgpr33
                                        ; implicit-def: $sgpr31
                                        ; implicit-def: $sgpr34
	s_delay_alu instid0(VALU_DEP_2) | instskip(NEXT) | instid1(VALU_DEP_2)
	v_mad_u32 v1, v17, s16, v1
	v_mad_u32 v23, v15, s16, v23
	s_delay_alu instid0(VALU_DEP_2) | instskip(NEXT) | instid1(VALU_DEP_2)
	v_mad_u32 v1, v16, s17, v1
	v_mad_u32 v23, v14, s17, v23
	s_branch .LBB9_781
.LBB9_780:                              ;   in Loop: Header=BB9_781 Depth=1
	s_or_b32 exec_lo, exec_lo, s35
	s_and_b32 s14, s14, s34
	s_delay_alu instid0(SALU_CYCLE_1) | instskip(SKIP_1) | instid1(SALU_CYCLE_1)
	s_or_b32 s14, vcc_lo, s14
	s_and_b32 s15, exec_lo, s33
	s_or_b32 s29, s15, s29
	s_and_not1_b32 s15, s34, exec_lo
	s_and_b32 s14, s14, exec_lo
	s_and_not1_b32 s30, s30, exec_lo
	s_and_b32 s35, s31, exec_lo
	s_or_b32 s34, s15, s14
	s_and_not1_b32 s15, s28, exec_lo
	s_or_b32 s30, s30, s35
	s_or_b32 s28, s15, s14
	s_and_not1_b32 exec_lo, exec_lo, s29
	s_cbranch_execz .LBB9_783
.LBB9_781:                              ; =>This Inner Loop Header: Depth=1
	global_load_u8 v25, v[0:1], off
	global_load_u8 v33, v[22:23], off
	s_or_b32 s31, s31, exec_lo
	s_or_b32 s33, s33, exec_lo
	s_mov_b32 s35, exec_lo
	s_wait_loadcnt 0x1
	v_and_b32_e32 v25, 0xff, v25
	s_wait_loadcnt 0x0
	v_and_b32_e32 v33, 0xff, v33
	s_delay_alu instid0(VALU_DEP_1)
	v_cmp_le_u16_e64 s14, v25, v33
	v_cmp_lt_u16_e32 vcc_lo, v25, v33
	v_cmpx_eq_u16_e64 v25, v33
	s_cbranch_execz .LBB9_780
; %bb.782:                              ;   in Loop: Header=BB9_781 Depth=1
	s_add_nc_u64 s[22:23], s[22:23], -1
	v_add_nc_u64_e32 v[0:1], 1, v[0:1]
	s_cmp_eq_u64 s[22:23], 0
	v_add_nc_u64_e32 v[22:23], 1, v[22:23]
	s_cselect_b32 s15, -1, 0
	s_and_not1_b32 s33, s33, exec_lo
	s_and_b32 s15, s15, exec_lo
	s_and_not1_b32 s31, s31, exec_lo
	s_or_b32 s33, s33, s15
	s_branch .LBB9_780
.LBB9_783:
	s_or_b32 exec_lo, exec_lo, s29
	s_and_saveexec_b32 s14, s30
	s_delay_alu instid0(SALU_CYCLE_1)
	s_xor_b32 s14, exec_lo, s14
; %bb.784:
	v_dual_cndmask_b32 v1, v17, v15, s28 :: v_dual_cndmask_b32 v0, v16, v14, s28
	v_dual_cndmask_b32 v15, v15, v17, s28 :: v_dual_cndmask_b32 v14, v14, v16, s28
	s_delay_alu instid0(VALU_DEP_2)
	v_mov_b64_e32 v[16:17], v[0:1]
; %bb.785:
	s_or_b32 exec_lo, exec_lo, s14
.LBB9_786:
	s_delay_alu instid0(SALU_CYCLE_1)
	s_or_b32 exec_lo, exec_lo, s27
	s_and_saveexec_b32 s27, s8
	s_cbranch_execz .LBB9_795
; %bb.787:
	s_and_not1_b32 vcc_lo, exec_lo, s26
	s_cbranch_vccnz .LBB9_795
; %bb.788:
	v_mad_nc_u64_u32 v[0:1], v12, s16, s[18:19]
	v_mad_nc_u64_u32 v[22:23], v10, s16, s[18:19]
	s_mov_b32 s29, 0
	s_mov_b64 s[22:23], s[16:17]
                                        ; implicit-def: $sgpr28
                                        ; implicit-def: $sgpr30
                                        ; implicit-def: $sgpr33
                                        ; implicit-def: $sgpr31
                                        ; implicit-def: $sgpr34
	s_delay_alu instid0(VALU_DEP_2) | instskip(NEXT) | instid1(VALU_DEP_2)
	v_mad_u32 v1, v13, s16, v1
	v_mad_u32 v23, v11, s16, v23
	s_delay_alu instid0(VALU_DEP_2) | instskip(NEXT) | instid1(VALU_DEP_2)
	v_mad_u32 v1, v12, s17, v1
	v_mad_u32 v23, v10, s17, v23
	s_branch .LBB9_790
.LBB9_789:                              ;   in Loop: Header=BB9_790 Depth=1
	s_or_b32 exec_lo, exec_lo, s35
	s_and_b32 s14, s14, s34
	s_delay_alu instid0(SALU_CYCLE_1) | instskip(SKIP_1) | instid1(SALU_CYCLE_1)
	s_or_b32 s14, vcc_lo, s14
	s_and_b32 s15, exec_lo, s33
	s_or_b32 s29, s15, s29
	s_and_not1_b32 s15, s34, exec_lo
	s_and_b32 s14, s14, exec_lo
	s_and_not1_b32 s30, s30, exec_lo
	s_and_b32 s35, s31, exec_lo
	s_or_b32 s34, s15, s14
	s_and_not1_b32 s15, s28, exec_lo
	s_or_b32 s30, s30, s35
	s_or_b32 s28, s15, s14
	s_and_not1_b32 exec_lo, exec_lo, s29
	s_cbranch_execz .LBB9_792
.LBB9_790:                              ; =>This Inner Loop Header: Depth=1
	global_load_u8 v25, v[0:1], off
	global_load_u8 v33, v[22:23], off
	s_or_b32 s31, s31, exec_lo
	s_or_b32 s33, s33, exec_lo
	s_mov_b32 s35, exec_lo
	s_wait_loadcnt 0x1
	v_and_b32_e32 v25, 0xff, v25
	s_wait_loadcnt 0x0
	v_and_b32_e32 v33, 0xff, v33
	s_delay_alu instid0(VALU_DEP_1)
	v_cmp_le_u16_e64 s14, v25, v33
	v_cmp_lt_u16_e32 vcc_lo, v25, v33
	v_cmpx_eq_u16_e64 v25, v33
	s_cbranch_execz .LBB9_789
; %bb.791:                              ;   in Loop: Header=BB9_790 Depth=1
	s_add_nc_u64 s[22:23], s[22:23], -1
	v_add_nc_u64_e32 v[0:1], 1, v[0:1]
	s_cmp_eq_u64 s[22:23], 0
	v_add_nc_u64_e32 v[22:23], 1, v[22:23]
	s_cselect_b32 s15, -1, 0
	s_and_not1_b32 s33, s33, exec_lo
	s_and_b32 s15, s15, exec_lo
	s_and_not1_b32 s31, s31, exec_lo
	s_or_b32 s33, s33, s15
	s_branch .LBB9_789
.LBB9_792:
	s_or_b32 exec_lo, exec_lo, s29
	s_and_saveexec_b32 s14, s30
	s_delay_alu instid0(SALU_CYCLE_1)
	s_xor_b32 s14, exec_lo, s14
; %bb.793:
	v_dual_cndmask_b32 v1, v11, v13, s28 :: v_dual_cndmask_b32 v0, v10, v12, s28
	v_dual_cndmask_b32 v13, v13, v11, s28 :: v_dual_cndmask_b32 v12, v12, v10, s28
	s_delay_alu instid0(VALU_DEP_2)
	v_mov_b64_e32 v[10:11], v[0:1]
; %bb.794:
	s_or_b32 exec_lo, exec_lo, s14
.LBB9_795:
	s_delay_alu instid0(SALU_CYCLE_1)
	s_or_b32 exec_lo, exec_lo, s27
	s_and_saveexec_b32 s27, s9
	s_cbranch_execz .LBB9_804
; %bb.796:
	s_and_not1_b32 vcc_lo, exec_lo, s26
	s_cbranch_vccnz .LBB9_804
; %bb.797:
	v_mad_nc_u64_u32 v[0:1], v8, s16, s[18:19]
	v_mad_nc_u64_u32 v[22:23], v6, s16, s[18:19]
	s_mov_b32 s29, 0
	s_mov_b64 s[22:23], s[16:17]
                                        ; implicit-def: $sgpr28
                                        ; implicit-def: $sgpr30
                                        ; implicit-def: $sgpr33
                                        ; implicit-def: $sgpr31
                                        ; implicit-def: $sgpr34
	s_delay_alu instid0(VALU_DEP_2) | instskip(NEXT) | instid1(VALU_DEP_2)
	v_mad_u32 v1, v9, s16, v1
	v_mad_u32 v23, v7, s16, v23
	s_delay_alu instid0(VALU_DEP_2) | instskip(NEXT) | instid1(VALU_DEP_2)
	v_mad_u32 v1, v8, s17, v1
	v_mad_u32 v23, v6, s17, v23
	s_branch .LBB9_799
.LBB9_798:                              ;   in Loop: Header=BB9_799 Depth=1
	s_or_b32 exec_lo, exec_lo, s35
	s_and_b32 s14, s14, s34
	s_delay_alu instid0(SALU_CYCLE_1) | instskip(SKIP_1) | instid1(SALU_CYCLE_1)
	s_or_b32 s14, vcc_lo, s14
	s_and_b32 s15, exec_lo, s33
	s_or_b32 s29, s15, s29
	s_and_not1_b32 s15, s34, exec_lo
	s_and_b32 s14, s14, exec_lo
	s_and_not1_b32 s30, s30, exec_lo
	s_and_b32 s35, s31, exec_lo
	s_or_b32 s34, s15, s14
	s_and_not1_b32 s15, s28, exec_lo
	s_or_b32 s30, s30, s35
	s_or_b32 s28, s15, s14
	s_and_not1_b32 exec_lo, exec_lo, s29
	s_cbranch_execz .LBB9_801
.LBB9_799:                              ; =>This Inner Loop Header: Depth=1
	global_load_u8 v25, v[0:1], off
	global_load_u8 v33, v[22:23], off
	s_or_b32 s31, s31, exec_lo
	s_or_b32 s33, s33, exec_lo
	s_mov_b32 s35, exec_lo
	s_wait_loadcnt 0x1
	v_and_b32_e32 v25, 0xff, v25
	s_wait_loadcnt 0x0
	v_and_b32_e32 v33, 0xff, v33
	s_delay_alu instid0(VALU_DEP_1)
	v_cmp_le_u16_e64 s14, v25, v33
	v_cmp_lt_u16_e32 vcc_lo, v25, v33
	v_cmpx_eq_u16_e64 v25, v33
	s_cbranch_execz .LBB9_798
; %bb.800:                              ;   in Loop: Header=BB9_799 Depth=1
	s_add_nc_u64 s[22:23], s[22:23], -1
	v_add_nc_u64_e32 v[0:1], 1, v[0:1]
	s_cmp_eq_u64 s[22:23], 0
	v_add_nc_u64_e32 v[22:23], 1, v[22:23]
	s_cselect_b32 s15, -1, 0
	s_and_not1_b32 s33, s33, exec_lo
	s_and_b32 s15, s15, exec_lo
	s_and_not1_b32 s31, s31, exec_lo
	s_or_b32 s33, s33, s15
	s_branch .LBB9_798
.LBB9_801:
	s_or_b32 exec_lo, exec_lo, s29
	s_and_saveexec_b32 s14, s30
	s_delay_alu instid0(SALU_CYCLE_1)
	s_xor_b32 s14, exec_lo, s14
; %bb.802:
	v_dual_cndmask_b32 v1, v7, v9, s28 :: v_dual_cndmask_b32 v0, v6, v8, s28
	v_dual_cndmask_b32 v9, v9, v7, s28 :: v_dual_cndmask_b32 v8, v8, v6, s28
	s_delay_alu instid0(VALU_DEP_2)
	v_mov_b64_e32 v[6:7], v[0:1]
; %bb.803:
	s_or_b32 exec_lo, exec_lo, s14
.LBB9_804:
	s_delay_alu instid0(SALU_CYCLE_1)
	s_or_b32 exec_lo, exec_lo, s27
	s_and_saveexec_b32 s27, s10
	s_cbranch_execz .LBB9_813
; %bb.805:
	s_and_not1_b32 vcc_lo, exec_lo, s26
	s_cbranch_vccnz .LBB9_813
; %bb.806:
	v_mad_nc_u64_u32 v[0:1], v4, s16, s[18:19]
	v_mad_nc_u64_u32 v[22:23], v2, s16, s[18:19]
	s_mov_b32 s29, 0
	s_mov_b64 s[22:23], s[16:17]
                                        ; implicit-def: $sgpr28
                                        ; implicit-def: $sgpr30
                                        ; implicit-def: $sgpr33
                                        ; implicit-def: $sgpr31
                                        ; implicit-def: $sgpr34
	s_delay_alu instid0(VALU_DEP_2) | instskip(NEXT) | instid1(VALU_DEP_2)
	v_mad_u32 v1, v5, s16, v1
	v_mad_u32 v23, v3, s16, v23
	s_delay_alu instid0(VALU_DEP_2) | instskip(NEXT) | instid1(VALU_DEP_2)
	v_mad_u32 v1, v4, s17, v1
	v_mad_u32 v23, v2, s17, v23
	s_branch .LBB9_808
.LBB9_807:                              ;   in Loop: Header=BB9_808 Depth=1
	s_or_b32 exec_lo, exec_lo, s35
	s_and_b32 s14, s14, s34
	s_delay_alu instid0(SALU_CYCLE_1) | instskip(SKIP_1) | instid1(SALU_CYCLE_1)
	s_or_b32 s14, vcc_lo, s14
	s_and_b32 s15, exec_lo, s33
	s_or_b32 s29, s15, s29
	s_and_not1_b32 s15, s34, exec_lo
	s_and_b32 s14, s14, exec_lo
	s_and_not1_b32 s30, s30, exec_lo
	s_and_b32 s35, s31, exec_lo
	s_or_b32 s34, s15, s14
	s_and_not1_b32 s15, s28, exec_lo
	s_or_b32 s30, s30, s35
	s_or_b32 s28, s15, s14
	s_and_not1_b32 exec_lo, exec_lo, s29
	s_cbranch_execz .LBB9_810
.LBB9_808:                              ; =>This Inner Loop Header: Depth=1
	global_load_u8 v25, v[0:1], off
	global_load_u8 v33, v[22:23], off
	s_or_b32 s31, s31, exec_lo
	s_or_b32 s33, s33, exec_lo
	s_mov_b32 s35, exec_lo
	s_wait_loadcnt 0x1
	v_and_b32_e32 v25, 0xff, v25
	s_wait_loadcnt 0x0
	v_and_b32_e32 v33, 0xff, v33
	s_delay_alu instid0(VALU_DEP_1)
	v_cmp_le_u16_e64 s14, v25, v33
	v_cmp_lt_u16_e32 vcc_lo, v25, v33
	v_cmpx_eq_u16_e64 v25, v33
	s_cbranch_execz .LBB9_807
; %bb.809:                              ;   in Loop: Header=BB9_808 Depth=1
	s_add_nc_u64 s[22:23], s[22:23], -1
	v_add_nc_u64_e32 v[0:1], 1, v[0:1]
	s_cmp_eq_u64 s[22:23], 0
	v_add_nc_u64_e32 v[22:23], 1, v[22:23]
	s_cselect_b32 s15, -1, 0
	s_and_not1_b32 s33, s33, exec_lo
	s_and_b32 s15, s15, exec_lo
	s_and_not1_b32 s31, s31, exec_lo
	s_or_b32 s33, s33, s15
	s_branch .LBB9_807
.LBB9_810:
	s_or_b32 exec_lo, exec_lo, s29
	s_and_saveexec_b32 s14, s30
	s_delay_alu instid0(SALU_CYCLE_1)
	s_xor_b32 s14, exec_lo, s14
; %bb.811:
	v_dual_cndmask_b32 v1, v3, v5, s28 :: v_dual_cndmask_b32 v0, v2, v4, s28
	v_dual_cndmask_b32 v5, v5, v3, s28 :: v_dual_cndmask_b32 v4, v4, v2, s28
	s_delay_alu instid0(VALU_DEP_2)
	v_mov_b64_e32 v[2:3], v[0:1]
; %bb.812:
	s_or_b32 exec_lo, exec_lo, s14
.LBB9_813:
	s_delay_alu instid0(SALU_CYCLE_1)
	s_or_b32 exec_lo, exec_lo, s27
	s_and_saveexec_b32 s27, s11
	s_cbranch_execz .LBB9_822
; %bb.814:
	s_and_not1_b32 vcc_lo, exec_lo, s26
	s_cbranch_vccnz .LBB9_822
; %bb.815:
	v_mad_nc_u64_u32 v[0:1], v10, s16, s[18:19]
	v_mad_nc_u64_u32 v[22:23], v16, s16, s[18:19]
	s_mov_b32 s29, 0
	s_mov_b64 s[22:23], s[16:17]
                                        ; implicit-def: $sgpr28
                                        ; implicit-def: $sgpr30
                                        ; implicit-def: $sgpr33
                                        ; implicit-def: $sgpr31
                                        ; implicit-def: $sgpr34
	s_delay_alu instid0(VALU_DEP_2) | instskip(NEXT) | instid1(VALU_DEP_2)
	v_mad_u32 v1, v11, s16, v1
	v_mad_u32 v23, v17, s16, v23
	s_delay_alu instid0(VALU_DEP_2) | instskip(NEXT) | instid1(VALU_DEP_2)
	v_mad_u32 v1, v10, s17, v1
	v_mad_u32 v23, v16, s17, v23
	s_branch .LBB9_817
.LBB9_816:                              ;   in Loop: Header=BB9_817 Depth=1
	s_or_b32 exec_lo, exec_lo, s35
	s_and_b32 s14, s14, s34
	s_delay_alu instid0(SALU_CYCLE_1) | instskip(SKIP_1) | instid1(SALU_CYCLE_1)
	s_or_b32 s14, vcc_lo, s14
	s_and_b32 s15, exec_lo, s33
	s_or_b32 s29, s15, s29
	s_and_not1_b32 s15, s34, exec_lo
	s_and_b32 s14, s14, exec_lo
	s_and_not1_b32 s30, s30, exec_lo
	s_and_b32 s35, s31, exec_lo
	s_or_b32 s34, s15, s14
	s_and_not1_b32 s15, s28, exec_lo
	s_or_b32 s30, s30, s35
	s_or_b32 s28, s15, s14
	s_and_not1_b32 exec_lo, exec_lo, s29
	s_cbranch_execz .LBB9_819
.LBB9_817:                              ; =>This Inner Loop Header: Depth=1
	global_load_u8 v25, v[0:1], off
	global_load_u8 v33, v[22:23], off
	s_or_b32 s31, s31, exec_lo
	s_or_b32 s33, s33, exec_lo
	s_mov_b32 s35, exec_lo
	s_wait_loadcnt 0x1
	v_and_b32_e32 v25, 0xff, v25
	s_wait_loadcnt 0x0
	v_and_b32_e32 v33, 0xff, v33
	s_delay_alu instid0(VALU_DEP_1)
	v_cmp_le_u16_e64 s14, v25, v33
	v_cmp_lt_u16_e32 vcc_lo, v25, v33
	v_cmpx_eq_u16_e64 v25, v33
	s_cbranch_execz .LBB9_816
; %bb.818:                              ;   in Loop: Header=BB9_817 Depth=1
	s_add_nc_u64 s[22:23], s[22:23], -1
	v_add_nc_u64_e32 v[0:1], 1, v[0:1]
	s_cmp_eq_u64 s[22:23], 0
	v_add_nc_u64_e32 v[22:23], 1, v[22:23]
	s_cselect_b32 s15, -1, 0
	s_and_not1_b32 s33, s33, exec_lo
	s_and_b32 s15, s15, exec_lo
	s_and_not1_b32 s31, s31, exec_lo
	s_or_b32 s33, s33, s15
	s_branch .LBB9_816
.LBB9_819:
	s_or_b32 exec_lo, exec_lo, s29
	s_and_saveexec_b32 s14, s30
	s_delay_alu instid0(SALU_CYCLE_1)
	s_xor_b32 s14, exec_lo, s14
; %bb.820:
	v_dual_cndmask_b32 v1, v17, v11, s28 :: v_dual_cndmask_b32 v0, v16, v10, s28
	v_dual_cndmask_b32 v11, v11, v17, s28 :: v_dual_cndmask_b32 v10, v10, v16, s28
	s_delay_alu instid0(VALU_DEP_2)
	v_mov_b64_e32 v[16:17], v[0:1]
; %bb.821:
	s_or_b32 exec_lo, exec_lo, s14
.LBB9_822:
	s_delay_alu instid0(SALU_CYCLE_1)
	s_or_b32 exec_lo, exec_lo, s27
	s_and_saveexec_b32 s27, s12
	s_cbranch_execz .LBB9_831
; %bb.823:
	s_and_not1_b32 vcc_lo, exec_lo, s26
	s_cbranch_vccnz .LBB9_831
; %bb.824:
	v_mad_nc_u64_u32 v[0:1], v6, s16, s[18:19]
	v_mad_nc_u64_u32 v[22:23], v12, s16, s[18:19]
	s_mov_b32 s29, 0
	s_mov_b64 s[22:23], s[16:17]
                                        ; implicit-def: $sgpr28
                                        ; implicit-def: $sgpr30
                                        ; implicit-def: $sgpr33
                                        ; implicit-def: $sgpr31
                                        ; implicit-def: $sgpr34
	s_delay_alu instid0(VALU_DEP_2) | instskip(NEXT) | instid1(VALU_DEP_2)
	v_mad_u32 v1, v7, s16, v1
	v_mad_u32 v23, v13, s16, v23
	s_delay_alu instid0(VALU_DEP_2) | instskip(NEXT) | instid1(VALU_DEP_2)
	v_mad_u32 v1, v6, s17, v1
	v_mad_u32 v23, v12, s17, v23
	s_branch .LBB9_826
.LBB9_825:                              ;   in Loop: Header=BB9_826 Depth=1
	s_or_b32 exec_lo, exec_lo, s35
	s_and_b32 s14, s14, s34
	s_delay_alu instid0(SALU_CYCLE_1) | instskip(SKIP_1) | instid1(SALU_CYCLE_1)
	s_or_b32 s14, vcc_lo, s14
	s_and_b32 s15, exec_lo, s33
	s_or_b32 s29, s15, s29
	s_and_not1_b32 s15, s34, exec_lo
	s_and_b32 s14, s14, exec_lo
	s_and_not1_b32 s30, s30, exec_lo
	s_and_b32 s35, s31, exec_lo
	s_or_b32 s34, s15, s14
	s_and_not1_b32 s15, s28, exec_lo
	s_or_b32 s30, s30, s35
	s_or_b32 s28, s15, s14
	s_and_not1_b32 exec_lo, exec_lo, s29
	s_cbranch_execz .LBB9_828
.LBB9_826:                              ; =>This Inner Loop Header: Depth=1
	global_load_u8 v25, v[0:1], off
	global_load_u8 v33, v[22:23], off
	s_or_b32 s31, s31, exec_lo
	s_or_b32 s33, s33, exec_lo
	s_mov_b32 s35, exec_lo
	s_wait_loadcnt 0x1
	v_and_b32_e32 v25, 0xff, v25
	s_wait_loadcnt 0x0
	v_and_b32_e32 v33, 0xff, v33
	s_delay_alu instid0(VALU_DEP_1)
	v_cmp_le_u16_e64 s14, v25, v33
	v_cmp_lt_u16_e32 vcc_lo, v25, v33
	v_cmpx_eq_u16_e64 v25, v33
	s_cbranch_execz .LBB9_825
; %bb.827:                              ;   in Loop: Header=BB9_826 Depth=1
	s_add_nc_u64 s[22:23], s[22:23], -1
	v_add_nc_u64_e32 v[0:1], 1, v[0:1]
	s_cmp_eq_u64 s[22:23], 0
	v_add_nc_u64_e32 v[22:23], 1, v[22:23]
	s_cselect_b32 s15, -1, 0
	s_and_not1_b32 s33, s33, exec_lo
	s_and_b32 s15, s15, exec_lo
	s_and_not1_b32 s31, s31, exec_lo
	s_or_b32 s33, s33, s15
	s_branch .LBB9_825
.LBB9_828:
	s_or_b32 exec_lo, exec_lo, s29
	s_and_saveexec_b32 s14, s30
	s_delay_alu instid0(SALU_CYCLE_1)
	s_xor_b32 s14, exec_lo, s14
; %bb.829:
	v_dual_cndmask_b32 v1, v13, v7, s28 :: v_dual_cndmask_b32 v0, v12, v6, s28
	v_dual_cndmask_b32 v7, v7, v13, s28 :: v_dual_cndmask_b32 v6, v6, v12, s28
	s_delay_alu instid0(VALU_DEP_2)
	v_mov_b64_e32 v[12:13], v[0:1]
; %bb.830:
	s_or_b32 exec_lo, exec_lo, s14
.LBB9_831:
	s_delay_alu instid0(SALU_CYCLE_1)
	s_or_b32 exec_lo, exec_lo, s27
	s_and_saveexec_b32 s27, s13
	s_cbranch_execz .LBB9_840
; %bb.832:
	s_and_not1_b32 vcc_lo, exec_lo, s26
	s_cbranch_vccnz .LBB9_840
; %bb.833:
	v_mad_nc_u64_u32 v[0:1], v2, s16, s[18:19]
	v_mad_nc_u64_u32 v[22:23], v8, s16, s[18:19]
	s_mov_b32 s29, 0
	s_mov_b64 s[22:23], s[16:17]
                                        ; implicit-def: $sgpr28
                                        ; implicit-def: $sgpr30
                                        ; implicit-def: $sgpr33
                                        ; implicit-def: $sgpr31
                                        ; implicit-def: $sgpr34
	s_delay_alu instid0(VALU_DEP_2) | instskip(NEXT) | instid1(VALU_DEP_2)
	v_mad_u32 v1, v3, s16, v1
	v_mad_u32 v23, v9, s16, v23
	s_delay_alu instid0(VALU_DEP_2) | instskip(NEXT) | instid1(VALU_DEP_2)
	v_mad_u32 v1, v2, s17, v1
	v_mad_u32 v23, v8, s17, v23
	s_branch .LBB9_835
.LBB9_834:                              ;   in Loop: Header=BB9_835 Depth=1
	s_or_b32 exec_lo, exec_lo, s35
	s_and_b32 s14, s14, s34
	s_delay_alu instid0(SALU_CYCLE_1) | instskip(SKIP_1) | instid1(SALU_CYCLE_1)
	s_or_b32 s14, vcc_lo, s14
	s_and_b32 s15, exec_lo, s33
	s_or_b32 s29, s15, s29
	s_and_not1_b32 s15, s34, exec_lo
	s_and_b32 s14, s14, exec_lo
	s_and_not1_b32 s30, s30, exec_lo
	s_and_b32 s35, s31, exec_lo
	s_or_b32 s34, s15, s14
	s_and_not1_b32 s15, s28, exec_lo
	s_or_b32 s30, s30, s35
	s_or_b32 s28, s15, s14
	s_and_not1_b32 exec_lo, exec_lo, s29
	s_cbranch_execz .LBB9_837
.LBB9_835:                              ; =>This Inner Loop Header: Depth=1
	global_load_u8 v25, v[0:1], off
	global_load_u8 v33, v[22:23], off
	s_or_b32 s31, s31, exec_lo
	s_or_b32 s33, s33, exec_lo
	s_mov_b32 s35, exec_lo
	s_wait_loadcnt 0x1
	v_and_b32_e32 v25, 0xff, v25
	s_wait_loadcnt 0x0
	v_and_b32_e32 v33, 0xff, v33
	s_delay_alu instid0(VALU_DEP_1)
	v_cmp_le_u16_e64 s14, v25, v33
	v_cmp_lt_u16_e32 vcc_lo, v25, v33
	v_cmpx_eq_u16_e64 v25, v33
	s_cbranch_execz .LBB9_834
; %bb.836:                              ;   in Loop: Header=BB9_835 Depth=1
	s_add_nc_u64 s[22:23], s[22:23], -1
	v_add_nc_u64_e32 v[0:1], 1, v[0:1]
	s_cmp_eq_u64 s[22:23], 0
	v_add_nc_u64_e32 v[22:23], 1, v[22:23]
	s_cselect_b32 s15, -1, 0
	s_and_not1_b32 s33, s33, exec_lo
	s_and_b32 s15, s15, exec_lo
	s_and_not1_b32 s31, s31, exec_lo
	s_or_b32 s33, s33, s15
	s_branch .LBB9_834
.LBB9_837:
	s_or_b32 exec_lo, exec_lo, s29
	s_and_saveexec_b32 s14, s30
	s_delay_alu instid0(SALU_CYCLE_1)
	s_xor_b32 s14, exec_lo, s14
; %bb.838:
	v_dual_cndmask_b32 v1, v9, v3, s28 :: v_dual_cndmask_b32 v0, v8, v2, s28
	v_dual_cndmask_b32 v3, v3, v9, s28 :: v_dual_cndmask_b32 v2, v2, v8, s28
	s_delay_alu instid0(VALU_DEP_2)
	v_mov_b64_e32 v[8:9], v[0:1]
; %bb.839:
	s_or_b32 exec_lo, exec_lo, s14
.LBB9_840:
	s_delay_alu instid0(SALU_CYCLE_1)
	s_or_b32 exec_lo, exec_lo, s27
	s_and_saveexec_b32 s27, s7
	s_cbranch_execz .LBB9_849
; %bb.841:
	s_and_not1_b32 vcc_lo, exec_lo, s26
	s_cbranch_vccnz .LBB9_849
; %bb.842:
	v_mad_nc_u64_u32 v[0:1], v16, s16, s[18:19]
	v_mad_nc_u64_u32 v[22:23], v14, s16, s[18:19]
	s_mov_b32 s29, 0
	s_mov_b64 s[22:23], s[16:17]
                                        ; implicit-def: $sgpr28
                                        ; implicit-def: $sgpr30
                                        ; implicit-def: $sgpr33
                                        ; implicit-def: $sgpr31
                                        ; implicit-def: $sgpr34
	s_delay_alu instid0(VALU_DEP_2) | instskip(NEXT) | instid1(VALU_DEP_2)
	v_mad_u32 v1, v17, s16, v1
	v_mad_u32 v23, v15, s16, v23
	s_delay_alu instid0(VALU_DEP_2) | instskip(NEXT) | instid1(VALU_DEP_2)
	v_mad_u32 v1, v16, s17, v1
	v_mad_u32 v23, v14, s17, v23
	s_branch .LBB9_844
.LBB9_843:                              ;   in Loop: Header=BB9_844 Depth=1
	s_or_b32 exec_lo, exec_lo, s35
	s_and_b32 s14, s14, s34
	s_delay_alu instid0(SALU_CYCLE_1) | instskip(SKIP_1) | instid1(SALU_CYCLE_1)
	s_or_b32 s14, vcc_lo, s14
	s_and_b32 s15, exec_lo, s33
	s_or_b32 s29, s15, s29
	s_and_not1_b32 s15, s34, exec_lo
	s_and_b32 s14, s14, exec_lo
	s_and_not1_b32 s30, s30, exec_lo
	s_and_b32 s35, s31, exec_lo
	s_or_b32 s34, s15, s14
	s_and_not1_b32 s15, s28, exec_lo
	s_or_b32 s30, s30, s35
	s_or_b32 s28, s15, s14
	s_and_not1_b32 exec_lo, exec_lo, s29
	s_cbranch_execz .LBB9_846
.LBB9_844:                              ; =>This Inner Loop Header: Depth=1
	global_load_u8 v25, v[0:1], off
	global_load_u8 v33, v[22:23], off
	s_or_b32 s31, s31, exec_lo
	s_or_b32 s33, s33, exec_lo
	s_mov_b32 s35, exec_lo
	s_wait_loadcnt 0x1
	v_and_b32_e32 v25, 0xff, v25
	s_wait_loadcnt 0x0
	v_and_b32_e32 v33, 0xff, v33
	s_delay_alu instid0(VALU_DEP_1)
	v_cmp_le_u16_e64 s14, v25, v33
	v_cmp_lt_u16_e32 vcc_lo, v25, v33
	v_cmpx_eq_u16_e64 v25, v33
	s_cbranch_execz .LBB9_843
; %bb.845:                              ;   in Loop: Header=BB9_844 Depth=1
	s_add_nc_u64 s[22:23], s[22:23], -1
	v_add_nc_u64_e32 v[0:1], 1, v[0:1]
	s_cmp_eq_u64 s[22:23], 0
	v_add_nc_u64_e32 v[22:23], 1, v[22:23]
	s_cselect_b32 s15, -1, 0
	s_and_not1_b32 s33, s33, exec_lo
	s_and_b32 s15, s15, exec_lo
	s_and_not1_b32 s31, s31, exec_lo
	s_or_b32 s33, s33, s15
	s_branch .LBB9_843
.LBB9_846:
	s_or_b32 exec_lo, exec_lo, s29
	s_and_saveexec_b32 s14, s30
	s_delay_alu instid0(SALU_CYCLE_1)
	s_xor_b32 s14, exec_lo, s14
; %bb.847:
	v_dual_cndmask_b32 v1, v17, v15, s28 :: v_dual_cndmask_b32 v0, v16, v14, s28
	v_dual_cndmask_b32 v15, v15, v17, s28 :: v_dual_cndmask_b32 v14, v14, v16, s28
	s_delay_alu instid0(VALU_DEP_2)
	v_mov_b64_e32 v[16:17], v[0:1]
; %bb.848:
	s_or_b32 exec_lo, exec_lo, s14
.LBB9_849:
	s_delay_alu instid0(SALU_CYCLE_1)
	s_or_b32 exec_lo, exec_lo, s27
	s_and_saveexec_b32 s27, s8
	s_cbranch_execz .LBB9_858
; %bb.850:
	s_and_not1_b32 vcc_lo, exec_lo, s26
	s_cbranch_vccnz .LBB9_858
; %bb.851:
	v_mad_nc_u64_u32 v[0:1], v12, s16, s[18:19]
	v_mad_nc_u64_u32 v[22:23], v10, s16, s[18:19]
	s_mov_b32 s29, 0
	s_mov_b64 s[22:23], s[16:17]
                                        ; implicit-def: $sgpr28
                                        ; implicit-def: $sgpr30
                                        ; implicit-def: $sgpr33
                                        ; implicit-def: $sgpr31
                                        ; implicit-def: $sgpr34
	s_delay_alu instid0(VALU_DEP_2) | instskip(NEXT) | instid1(VALU_DEP_2)
	v_mad_u32 v1, v13, s16, v1
	v_mad_u32 v23, v11, s16, v23
	s_delay_alu instid0(VALU_DEP_2) | instskip(NEXT) | instid1(VALU_DEP_2)
	v_mad_u32 v1, v12, s17, v1
	v_mad_u32 v23, v10, s17, v23
	s_branch .LBB9_853
.LBB9_852:                              ;   in Loop: Header=BB9_853 Depth=1
	s_or_b32 exec_lo, exec_lo, s35
	s_and_b32 s14, s14, s34
	s_delay_alu instid0(SALU_CYCLE_1) | instskip(SKIP_1) | instid1(SALU_CYCLE_1)
	s_or_b32 s14, vcc_lo, s14
	s_and_b32 s15, exec_lo, s33
	s_or_b32 s29, s15, s29
	s_and_not1_b32 s15, s34, exec_lo
	s_and_b32 s14, s14, exec_lo
	s_and_not1_b32 s30, s30, exec_lo
	s_and_b32 s35, s31, exec_lo
	s_or_b32 s34, s15, s14
	s_and_not1_b32 s15, s28, exec_lo
	s_or_b32 s30, s30, s35
	s_or_b32 s28, s15, s14
	s_and_not1_b32 exec_lo, exec_lo, s29
	s_cbranch_execz .LBB9_855
.LBB9_853:                              ; =>This Inner Loop Header: Depth=1
	global_load_u8 v25, v[0:1], off
	global_load_u8 v33, v[22:23], off
	s_or_b32 s31, s31, exec_lo
	s_or_b32 s33, s33, exec_lo
	s_mov_b32 s35, exec_lo
	s_wait_loadcnt 0x1
	v_and_b32_e32 v25, 0xff, v25
	s_wait_loadcnt 0x0
	v_and_b32_e32 v33, 0xff, v33
	s_delay_alu instid0(VALU_DEP_1)
	v_cmp_le_u16_e64 s14, v25, v33
	v_cmp_lt_u16_e32 vcc_lo, v25, v33
	v_cmpx_eq_u16_e64 v25, v33
	s_cbranch_execz .LBB9_852
; %bb.854:                              ;   in Loop: Header=BB9_853 Depth=1
	s_add_nc_u64 s[22:23], s[22:23], -1
	v_add_nc_u64_e32 v[0:1], 1, v[0:1]
	s_cmp_eq_u64 s[22:23], 0
	v_add_nc_u64_e32 v[22:23], 1, v[22:23]
	s_cselect_b32 s15, -1, 0
	s_and_not1_b32 s33, s33, exec_lo
	s_and_b32 s15, s15, exec_lo
	s_and_not1_b32 s31, s31, exec_lo
	s_or_b32 s33, s33, s15
	s_branch .LBB9_852
.LBB9_855:
	s_or_b32 exec_lo, exec_lo, s29
	s_and_saveexec_b32 s14, s30
	s_delay_alu instid0(SALU_CYCLE_1)
	s_xor_b32 s14, exec_lo, s14
; %bb.856:
	v_dual_cndmask_b32 v1, v11, v13, s28 :: v_dual_cndmask_b32 v0, v10, v12, s28
	v_dual_cndmask_b32 v13, v13, v11, s28 :: v_dual_cndmask_b32 v12, v12, v10, s28
	s_delay_alu instid0(VALU_DEP_2)
	v_mov_b64_e32 v[10:11], v[0:1]
; %bb.857:
	s_or_b32 exec_lo, exec_lo, s14
.LBB9_858:
	s_delay_alu instid0(SALU_CYCLE_1)
	s_or_b32 exec_lo, exec_lo, s27
	s_and_saveexec_b32 s27, s9
	s_cbranch_execz .LBB9_867
; %bb.859:
	s_and_not1_b32 vcc_lo, exec_lo, s26
	s_cbranch_vccnz .LBB9_867
; %bb.860:
	v_mad_nc_u64_u32 v[0:1], v8, s16, s[18:19]
	v_mad_nc_u64_u32 v[22:23], v6, s16, s[18:19]
	s_mov_b32 s29, 0
	s_mov_b64 s[22:23], s[16:17]
                                        ; implicit-def: $sgpr28
                                        ; implicit-def: $sgpr30
                                        ; implicit-def: $sgpr33
                                        ; implicit-def: $sgpr31
                                        ; implicit-def: $sgpr34
	s_delay_alu instid0(VALU_DEP_2) | instskip(NEXT) | instid1(VALU_DEP_2)
	v_mad_u32 v1, v9, s16, v1
	v_mad_u32 v23, v7, s16, v23
	s_delay_alu instid0(VALU_DEP_2) | instskip(NEXT) | instid1(VALU_DEP_2)
	v_mad_u32 v1, v8, s17, v1
	v_mad_u32 v23, v6, s17, v23
	s_branch .LBB9_862
.LBB9_861:                              ;   in Loop: Header=BB9_862 Depth=1
	s_or_b32 exec_lo, exec_lo, s35
	s_and_b32 s14, s14, s34
	s_delay_alu instid0(SALU_CYCLE_1) | instskip(SKIP_1) | instid1(SALU_CYCLE_1)
	s_or_b32 s14, vcc_lo, s14
	s_and_b32 s15, exec_lo, s33
	s_or_b32 s29, s15, s29
	s_and_not1_b32 s15, s34, exec_lo
	s_and_b32 s14, s14, exec_lo
	s_and_not1_b32 s30, s30, exec_lo
	s_and_b32 s35, s31, exec_lo
	s_or_b32 s34, s15, s14
	s_and_not1_b32 s15, s28, exec_lo
	s_or_b32 s30, s30, s35
	s_or_b32 s28, s15, s14
	s_and_not1_b32 exec_lo, exec_lo, s29
	s_cbranch_execz .LBB9_864
.LBB9_862:                              ; =>This Inner Loop Header: Depth=1
	global_load_u8 v25, v[0:1], off
	global_load_u8 v33, v[22:23], off
	s_or_b32 s31, s31, exec_lo
	s_or_b32 s33, s33, exec_lo
	s_mov_b32 s35, exec_lo
	s_wait_loadcnt 0x1
	v_and_b32_e32 v25, 0xff, v25
	s_wait_loadcnt 0x0
	v_and_b32_e32 v33, 0xff, v33
	s_delay_alu instid0(VALU_DEP_1)
	v_cmp_le_u16_e64 s14, v25, v33
	v_cmp_lt_u16_e32 vcc_lo, v25, v33
	v_cmpx_eq_u16_e64 v25, v33
	s_cbranch_execz .LBB9_861
; %bb.863:                              ;   in Loop: Header=BB9_862 Depth=1
	s_add_nc_u64 s[22:23], s[22:23], -1
	v_add_nc_u64_e32 v[0:1], 1, v[0:1]
	s_cmp_eq_u64 s[22:23], 0
	v_add_nc_u64_e32 v[22:23], 1, v[22:23]
	s_cselect_b32 s15, -1, 0
	s_and_not1_b32 s33, s33, exec_lo
	s_and_b32 s15, s15, exec_lo
	s_and_not1_b32 s31, s31, exec_lo
	s_or_b32 s33, s33, s15
	s_branch .LBB9_861
.LBB9_864:
	s_or_b32 exec_lo, exec_lo, s29
	s_and_saveexec_b32 s14, s30
	s_delay_alu instid0(SALU_CYCLE_1)
	s_xor_b32 s14, exec_lo, s14
; %bb.865:
	v_dual_cndmask_b32 v1, v7, v9, s28 :: v_dual_cndmask_b32 v0, v6, v8, s28
	v_dual_cndmask_b32 v9, v9, v7, s28 :: v_dual_cndmask_b32 v8, v8, v6, s28
	s_delay_alu instid0(VALU_DEP_2)
	v_mov_b64_e32 v[6:7], v[0:1]
; %bb.866:
	s_or_b32 exec_lo, exec_lo, s14
.LBB9_867:
	s_delay_alu instid0(SALU_CYCLE_1)
	s_or_b32 exec_lo, exec_lo, s27
	s_and_saveexec_b32 s27, s10
	s_cbranch_execz .LBB9_876
; %bb.868:
	s_and_not1_b32 vcc_lo, exec_lo, s26
	s_cbranch_vccnz .LBB9_876
; %bb.869:
	v_mad_nc_u64_u32 v[0:1], v4, s16, s[18:19]
	v_mad_nc_u64_u32 v[22:23], v2, s16, s[18:19]
	s_mov_b32 s29, 0
	s_mov_b64 s[22:23], s[16:17]
                                        ; implicit-def: $sgpr28
                                        ; implicit-def: $sgpr30
                                        ; implicit-def: $sgpr33
                                        ; implicit-def: $sgpr31
                                        ; implicit-def: $sgpr34
	s_delay_alu instid0(VALU_DEP_2) | instskip(NEXT) | instid1(VALU_DEP_2)
	v_mad_u32 v1, v5, s16, v1
	v_mad_u32 v23, v3, s16, v23
	s_delay_alu instid0(VALU_DEP_2) | instskip(NEXT) | instid1(VALU_DEP_2)
	v_mad_u32 v1, v4, s17, v1
	v_mad_u32 v23, v2, s17, v23
	s_branch .LBB9_871
.LBB9_870:                              ;   in Loop: Header=BB9_871 Depth=1
	s_or_b32 exec_lo, exec_lo, s35
	s_and_b32 s14, s14, s34
	s_delay_alu instid0(SALU_CYCLE_1) | instskip(SKIP_1) | instid1(SALU_CYCLE_1)
	s_or_b32 s14, vcc_lo, s14
	s_and_b32 s15, exec_lo, s33
	s_or_b32 s29, s15, s29
	s_and_not1_b32 s15, s34, exec_lo
	s_and_b32 s14, s14, exec_lo
	s_and_not1_b32 s30, s30, exec_lo
	s_and_b32 s35, s31, exec_lo
	s_or_b32 s34, s15, s14
	s_and_not1_b32 s15, s28, exec_lo
	s_or_b32 s30, s30, s35
	s_or_b32 s28, s15, s14
	s_and_not1_b32 exec_lo, exec_lo, s29
	s_cbranch_execz .LBB9_873
.LBB9_871:                              ; =>This Inner Loop Header: Depth=1
	global_load_u8 v25, v[0:1], off
	global_load_u8 v33, v[22:23], off
	s_or_b32 s31, s31, exec_lo
	s_or_b32 s33, s33, exec_lo
	s_mov_b32 s35, exec_lo
	s_wait_loadcnt 0x1
	v_and_b32_e32 v25, 0xff, v25
	s_wait_loadcnt 0x0
	v_and_b32_e32 v33, 0xff, v33
	s_delay_alu instid0(VALU_DEP_1)
	v_cmp_le_u16_e64 s14, v25, v33
	v_cmp_lt_u16_e32 vcc_lo, v25, v33
	v_cmpx_eq_u16_e64 v25, v33
	s_cbranch_execz .LBB9_870
; %bb.872:                              ;   in Loop: Header=BB9_871 Depth=1
	s_add_nc_u64 s[22:23], s[22:23], -1
	v_add_nc_u64_e32 v[0:1], 1, v[0:1]
	s_cmp_eq_u64 s[22:23], 0
	v_add_nc_u64_e32 v[22:23], 1, v[22:23]
	s_cselect_b32 s15, -1, 0
	s_and_not1_b32 s33, s33, exec_lo
	s_and_b32 s15, s15, exec_lo
	s_and_not1_b32 s31, s31, exec_lo
	s_or_b32 s33, s33, s15
	s_branch .LBB9_870
.LBB9_873:
	s_or_b32 exec_lo, exec_lo, s29
	s_and_saveexec_b32 s14, s30
	s_delay_alu instid0(SALU_CYCLE_1)
	s_xor_b32 s14, exec_lo, s14
; %bb.874:
	v_dual_cndmask_b32 v1, v3, v5, s28 :: v_dual_cndmask_b32 v0, v2, v4, s28
	v_dual_cndmask_b32 v5, v5, v3, s28 :: v_dual_cndmask_b32 v4, v4, v2, s28
	s_delay_alu instid0(VALU_DEP_2)
	v_mov_b64_e32 v[2:3], v[0:1]
; %bb.875:
	s_or_b32 exec_lo, exec_lo, s14
.LBB9_876:
	s_delay_alu instid0(SALU_CYCLE_1)
	s_or_b32 exec_lo, exec_lo, s27
	s_and_saveexec_b32 s27, s11
	s_cbranch_execz .LBB9_885
; %bb.877:
	s_and_not1_b32 vcc_lo, exec_lo, s26
	s_cbranch_vccnz .LBB9_885
; %bb.878:
	v_mad_nc_u64_u32 v[0:1], v10, s16, s[18:19]
	v_mad_nc_u64_u32 v[22:23], v16, s16, s[18:19]
	s_mov_b32 s29, 0
	s_mov_b64 s[22:23], s[16:17]
                                        ; implicit-def: $sgpr28
                                        ; implicit-def: $sgpr30
                                        ; implicit-def: $sgpr33
                                        ; implicit-def: $sgpr31
                                        ; implicit-def: $sgpr34
	s_delay_alu instid0(VALU_DEP_2) | instskip(NEXT) | instid1(VALU_DEP_2)
	v_mad_u32 v1, v11, s16, v1
	v_mad_u32 v23, v17, s16, v23
	s_delay_alu instid0(VALU_DEP_2) | instskip(NEXT) | instid1(VALU_DEP_2)
	v_mad_u32 v1, v10, s17, v1
	v_mad_u32 v23, v16, s17, v23
	s_branch .LBB9_880
.LBB9_879:                              ;   in Loop: Header=BB9_880 Depth=1
	s_or_b32 exec_lo, exec_lo, s35
	s_and_b32 s14, s14, s34
	s_delay_alu instid0(SALU_CYCLE_1) | instskip(SKIP_1) | instid1(SALU_CYCLE_1)
	s_or_b32 s14, vcc_lo, s14
	s_and_b32 s15, exec_lo, s33
	s_or_b32 s29, s15, s29
	s_and_not1_b32 s15, s34, exec_lo
	s_and_b32 s14, s14, exec_lo
	s_and_not1_b32 s30, s30, exec_lo
	s_and_b32 s35, s31, exec_lo
	s_or_b32 s34, s15, s14
	s_and_not1_b32 s15, s28, exec_lo
	s_or_b32 s30, s30, s35
	s_or_b32 s28, s15, s14
	s_and_not1_b32 exec_lo, exec_lo, s29
	s_cbranch_execz .LBB9_882
.LBB9_880:                              ; =>This Inner Loop Header: Depth=1
	global_load_u8 v25, v[0:1], off
	global_load_u8 v33, v[22:23], off
	s_or_b32 s31, s31, exec_lo
	s_or_b32 s33, s33, exec_lo
	s_mov_b32 s35, exec_lo
	s_wait_loadcnt 0x1
	v_and_b32_e32 v25, 0xff, v25
	s_wait_loadcnt 0x0
	v_and_b32_e32 v33, 0xff, v33
	s_delay_alu instid0(VALU_DEP_1)
	v_cmp_le_u16_e64 s14, v25, v33
	v_cmp_lt_u16_e32 vcc_lo, v25, v33
	v_cmpx_eq_u16_e64 v25, v33
	s_cbranch_execz .LBB9_879
; %bb.881:                              ;   in Loop: Header=BB9_880 Depth=1
	s_add_nc_u64 s[22:23], s[22:23], -1
	v_add_nc_u64_e32 v[0:1], 1, v[0:1]
	s_cmp_eq_u64 s[22:23], 0
	v_add_nc_u64_e32 v[22:23], 1, v[22:23]
	s_cselect_b32 s15, -1, 0
	s_and_not1_b32 s33, s33, exec_lo
	s_and_b32 s15, s15, exec_lo
	s_and_not1_b32 s31, s31, exec_lo
	s_or_b32 s33, s33, s15
	s_branch .LBB9_879
.LBB9_882:
	s_or_b32 exec_lo, exec_lo, s29
	s_and_saveexec_b32 s14, s30
	s_delay_alu instid0(SALU_CYCLE_1)
	s_xor_b32 s14, exec_lo, s14
; %bb.883:
	v_dual_cndmask_b32 v1, v17, v11, s28 :: v_dual_cndmask_b32 v0, v16, v10, s28
	v_dual_cndmask_b32 v11, v11, v17, s28 :: v_dual_cndmask_b32 v10, v10, v16, s28
	s_delay_alu instid0(VALU_DEP_2)
	v_mov_b64_e32 v[16:17], v[0:1]
; %bb.884:
	s_or_b32 exec_lo, exec_lo, s14
.LBB9_885:
	s_delay_alu instid0(SALU_CYCLE_1)
	s_or_b32 exec_lo, exec_lo, s27
	s_and_saveexec_b32 s27, s12
	s_cbranch_execz .LBB9_894
; %bb.886:
	s_and_not1_b32 vcc_lo, exec_lo, s26
	s_cbranch_vccnz .LBB9_894
; %bb.887:
	v_mad_nc_u64_u32 v[0:1], v6, s16, s[18:19]
	v_mad_nc_u64_u32 v[22:23], v12, s16, s[18:19]
	s_mov_b32 s29, 0
	s_mov_b64 s[22:23], s[16:17]
                                        ; implicit-def: $sgpr28
                                        ; implicit-def: $sgpr30
                                        ; implicit-def: $sgpr33
                                        ; implicit-def: $sgpr31
                                        ; implicit-def: $sgpr34
	s_delay_alu instid0(VALU_DEP_2) | instskip(NEXT) | instid1(VALU_DEP_2)
	v_mad_u32 v1, v7, s16, v1
	v_mad_u32 v23, v13, s16, v23
	s_delay_alu instid0(VALU_DEP_2) | instskip(NEXT) | instid1(VALU_DEP_2)
	v_mad_u32 v1, v6, s17, v1
	v_mad_u32 v23, v12, s17, v23
	s_branch .LBB9_889
.LBB9_888:                              ;   in Loop: Header=BB9_889 Depth=1
	s_or_b32 exec_lo, exec_lo, s35
	s_and_b32 s14, s14, s34
	s_delay_alu instid0(SALU_CYCLE_1) | instskip(SKIP_1) | instid1(SALU_CYCLE_1)
	s_or_b32 s14, vcc_lo, s14
	s_and_b32 s15, exec_lo, s33
	s_or_b32 s29, s15, s29
	s_and_not1_b32 s15, s34, exec_lo
	s_and_b32 s14, s14, exec_lo
	s_and_not1_b32 s30, s30, exec_lo
	s_and_b32 s35, s31, exec_lo
	s_or_b32 s34, s15, s14
	s_and_not1_b32 s15, s28, exec_lo
	s_or_b32 s30, s30, s35
	s_or_b32 s28, s15, s14
	s_and_not1_b32 exec_lo, exec_lo, s29
	s_cbranch_execz .LBB9_891
.LBB9_889:                              ; =>This Inner Loop Header: Depth=1
	global_load_u8 v25, v[0:1], off
	global_load_u8 v33, v[22:23], off
	s_or_b32 s31, s31, exec_lo
	s_or_b32 s33, s33, exec_lo
	s_mov_b32 s35, exec_lo
	s_wait_loadcnt 0x1
	v_and_b32_e32 v25, 0xff, v25
	s_wait_loadcnt 0x0
	v_and_b32_e32 v33, 0xff, v33
	s_delay_alu instid0(VALU_DEP_1)
	v_cmp_le_u16_e64 s14, v25, v33
	v_cmp_lt_u16_e32 vcc_lo, v25, v33
	v_cmpx_eq_u16_e64 v25, v33
	s_cbranch_execz .LBB9_888
; %bb.890:                              ;   in Loop: Header=BB9_889 Depth=1
	s_add_nc_u64 s[22:23], s[22:23], -1
	v_add_nc_u64_e32 v[0:1], 1, v[0:1]
	s_cmp_eq_u64 s[22:23], 0
	v_add_nc_u64_e32 v[22:23], 1, v[22:23]
	s_cselect_b32 s15, -1, 0
	s_and_not1_b32 s33, s33, exec_lo
	s_and_b32 s15, s15, exec_lo
	s_and_not1_b32 s31, s31, exec_lo
	s_or_b32 s33, s33, s15
	s_branch .LBB9_888
.LBB9_891:
	s_or_b32 exec_lo, exec_lo, s29
	s_and_saveexec_b32 s14, s30
	s_delay_alu instid0(SALU_CYCLE_1)
	s_xor_b32 s14, exec_lo, s14
; %bb.892:
	v_dual_cndmask_b32 v1, v13, v7, s28 :: v_dual_cndmask_b32 v0, v12, v6, s28
	v_dual_cndmask_b32 v7, v7, v13, s28 :: v_dual_cndmask_b32 v6, v6, v12, s28
	s_delay_alu instid0(VALU_DEP_2)
	v_mov_b64_e32 v[12:13], v[0:1]
; %bb.893:
	s_or_b32 exec_lo, exec_lo, s14
.LBB9_894:
	s_delay_alu instid0(SALU_CYCLE_1)
	s_or_b32 exec_lo, exec_lo, s27
	s_and_saveexec_b32 s27, s13
	s_cbranch_execz .LBB9_903
; %bb.895:
	s_and_not1_b32 vcc_lo, exec_lo, s26
	s_cbranch_vccnz .LBB9_903
; %bb.896:
	v_mad_nc_u64_u32 v[0:1], v2, s16, s[18:19]
	v_mad_nc_u64_u32 v[22:23], v8, s16, s[18:19]
	s_mov_b32 s29, 0
	s_mov_b64 s[22:23], s[16:17]
                                        ; implicit-def: $sgpr28
                                        ; implicit-def: $sgpr30
                                        ; implicit-def: $sgpr33
                                        ; implicit-def: $sgpr31
                                        ; implicit-def: $sgpr34
	s_delay_alu instid0(VALU_DEP_2) | instskip(NEXT) | instid1(VALU_DEP_2)
	v_mad_u32 v1, v3, s16, v1
	v_mad_u32 v23, v9, s16, v23
	s_delay_alu instid0(VALU_DEP_2) | instskip(NEXT) | instid1(VALU_DEP_2)
	v_mad_u32 v1, v2, s17, v1
	v_mad_u32 v23, v8, s17, v23
	s_branch .LBB9_898
.LBB9_897:                              ;   in Loop: Header=BB9_898 Depth=1
	s_or_b32 exec_lo, exec_lo, s35
	s_and_b32 s14, s14, s34
	s_delay_alu instid0(SALU_CYCLE_1) | instskip(SKIP_1) | instid1(SALU_CYCLE_1)
	s_or_b32 s14, vcc_lo, s14
	s_and_b32 s15, exec_lo, s33
	s_or_b32 s29, s15, s29
	s_and_not1_b32 s15, s34, exec_lo
	s_and_b32 s14, s14, exec_lo
	s_and_not1_b32 s30, s30, exec_lo
	s_and_b32 s35, s31, exec_lo
	s_or_b32 s34, s15, s14
	s_and_not1_b32 s15, s28, exec_lo
	s_or_b32 s30, s30, s35
	s_or_b32 s28, s15, s14
	s_and_not1_b32 exec_lo, exec_lo, s29
	s_cbranch_execz .LBB9_900
.LBB9_898:                              ; =>This Inner Loop Header: Depth=1
	global_load_u8 v25, v[0:1], off
	global_load_u8 v33, v[22:23], off
	s_or_b32 s31, s31, exec_lo
	s_or_b32 s33, s33, exec_lo
	s_mov_b32 s35, exec_lo
	s_wait_loadcnt 0x1
	v_and_b32_e32 v25, 0xff, v25
	s_wait_loadcnt 0x0
	v_and_b32_e32 v33, 0xff, v33
	s_delay_alu instid0(VALU_DEP_1)
	v_cmp_le_u16_e64 s14, v25, v33
	v_cmp_lt_u16_e32 vcc_lo, v25, v33
	v_cmpx_eq_u16_e64 v25, v33
	s_cbranch_execz .LBB9_897
; %bb.899:                              ;   in Loop: Header=BB9_898 Depth=1
	s_add_nc_u64 s[22:23], s[22:23], -1
	v_add_nc_u64_e32 v[0:1], 1, v[0:1]
	s_cmp_eq_u64 s[22:23], 0
	v_add_nc_u64_e32 v[22:23], 1, v[22:23]
	s_cselect_b32 s15, -1, 0
	s_and_not1_b32 s33, s33, exec_lo
	s_and_b32 s15, s15, exec_lo
	s_and_not1_b32 s31, s31, exec_lo
	s_or_b32 s33, s33, s15
	s_branch .LBB9_897
.LBB9_900:
	s_or_b32 exec_lo, exec_lo, s29
	s_and_saveexec_b32 s14, s30
	s_delay_alu instid0(SALU_CYCLE_1)
	s_xor_b32 s14, exec_lo, s14
; %bb.901:
	v_dual_cndmask_b32 v1, v9, v3, s28 :: v_dual_cndmask_b32 v0, v8, v2, s28
	v_dual_cndmask_b32 v3, v3, v9, s28 :: v_dual_cndmask_b32 v2, v2, v8, s28
	s_delay_alu instid0(VALU_DEP_2)
	v_mov_b64_e32 v[8:9], v[0:1]
; %bb.902:
	s_or_b32 exec_lo, exec_lo, s14
.LBB9_903:
	s_delay_alu instid0(SALU_CYCLE_1)
	s_or_b32 exec_lo, exec_lo, s27
	s_and_saveexec_b32 s15, s7
	s_cbranch_execz .LBB9_912
; %bb.904:
	s_and_not1_b32 vcc_lo, exec_lo, s26
	s_cbranch_vccnz .LBB9_912
; %bb.905:
	v_mad_nc_u64_u32 v[0:1], v16, s16, s[18:19]
	v_mad_nc_u64_u32 v[22:23], v14, s16, s[18:19]
	s_mov_b32 s28, 0
	s_mov_b64 s[22:23], s[16:17]
                                        ; implicit-def: $sgpr27
                                        ; implicit-def: $sgpr29
                                        ; implicit-def: $sgpr31
                                        ; implicit-def: $sgpr30
                                        ; implicit-def: $sgpr33
	s_delay_alu instid0(VALU_DEP_2) | instskip(NEXT) | instid1(VALU_DEP_2)
	v_mad_u32 v1, v17, s16, v1
	v_mad_u32 v23, v15, s16, v23
	s_delay_alu instid0(VALU_DEP_2) | instskip(NEXT) | instid1(VALU_DEP_2)
	v_mad_u32 v1, v16, s17, v1
	v_mad_u32 v23, v14, s17, v23
	s_branch .LBB9_907
.LBB9_906:                              ;   in Loop: Header=BB9_907 Depth=1
	s_or_b32 exec_lo, exec_lo, s34
	s_and_b32 s7, s7, s33
	s_delay_alu instid0(SALU_CYCLE_1) | instskip(SKIP_1) | instid1(SALU_CYCLE_1)
	s_or_b32 s7, vcc_lo, s7
	s_and_b32 s14, exec_lo, s31
	s_or_b32 s28, s14, s28
	s_and_not1_b32 s14, s33, exec_lo
	s_and_b32 s7, s7, exec_lo
	s_and_not1_b32 s29, s29, exec_lo
	s_and_b32 s34, s30, exec_lo
	s_or_b32 s33, s14, s7
	s_and_not1_b32 s14, s27, exec_lo
	s_or_b32 s29, s29, s34
	s_or_b32 s27, s14, s7
	s_and_not1_b32 exec_lo, exec_lo, s28
	s_cbranch_execz .LBB9_909
.LBB9_907:                              ; =>This Inner Loop Header: Depth=1
	global_load_u8 v25, v[0:1], off
	global_load_u8 v33, v[22:23], off
	s_or_b32 s30, s30, exec_lo
	s_or_b32 s31, s31, exec_lo
	s_mov_b32 s34, exec_lo
	s_wait_loadcnt 0x1
	v_and_b32_e32 v25, 0xff, v25
	s_wait_loadcnt 0x0
	v_and_b32_e32 v33, 0xff, v33
	s_delay_alu instid0(VALU_DEP_1)
	v_cmp_le_u16_e64 s7, v25, v33
	v_cmp_lt_u16_e32 vcc_lo, v25, v33
	v_cmpx_eq_u16_e64 v25, v33
	s_cbranch_execz .LBB9_906
; %bb.908:                              ;   in Loop: Header=BB9_907 Depth=1
	s_add_nc_u64 s[22:23], s[22:23], -1
	v_add_nc_u64_e32 v[0:1], 1, v[0:1]
	s_cmp_eq_u64 s[22:23], 0
	v_add_nc_u64_e32 v[22:23], 1, v[22:23]
	s_cselect_b32 s14, -1, 0
	s_and_not1_b32 s31, s31, exec_lo
	s_and_b32 s14, s14, exec_lo
	s_and_not1_b32 s30, s30, exec_lo
	s_or_b32 s31, s31, s14
	s_branch .LBB9_906
.LBB9_909:
	s_or_b32 exec_lo, exec_lo, s28
	s_and_saveexec_b32 s7, s29
	s_delay_alu instid0(SALU_CYCLE_1)
	s_xor_b32 s7, exec_lo, s7
; %bb.910:
	v_dual_cndmask_b32 v1, v17, v15, s27 :: v_dual_cndmask_b32 v0, v16, v14, s27
	v_dual_cndmask_b32 v15, v15, v17, s27 :: v_dual_cndmask_b32 v14, v14, v16, s27
	s_delay_alu instid0(VALU_DEP_2)
	v_mov_b64_e32 v[16:17], v[0:1]
; %bb.911:
	s_or_b32 exec_lo, exec_lo, s7
.LBB9_912:
	s_delay_alu instid0(SALU_CYCLE_1)
	s_or_b32 exec_lo, exec_lo, s15
	s_and_saveexec_b32 s22, s8
	s_cbranch_execz .LBB9_921
; %bb.913:
	s_and_not1_b32 vcc_lo, exec_lo, s26
	s_cbranch_vccnz .LBB9_921
; %bb.914:
	v_mad_nc_u64_u32 v[0:1], v12, s16, s[18:19]
	v_mad_nc_u64_u32 v[22:23], v10, s16, s[18:19]
	s_mov_b32 s27, 0
	s_mov_b64 s[14:15], s[16:17]
                                        ; implicit-def: $sgpr23
                                        ; implicit-def: $sgpr28
                                        ; implicit-def: $sgpr30
                                        ; implicit-def: $sgpr29
                                        ; implicit-def: $sgpr31
	s_delay_alu instid0(VALU_DEP_2) | instskip(NEXT) | instid1(VALU_DEP_2)
	v_mad_u32 v1, v13, s16, v1
	v_mad_u32 v23, v11, s16, v23
	s_delay_alu instid0(VALU_DEP_2) | instskip(NEXT) | instid1(VALU_DEP_2)
	v_mad_u32 v1, v12, s17, v1
	v_mad_u32 v23, v10, s17, v23
	s_branch .LBB9_916
.LBB9_915:                              ;   in Loop: Header=BB9_916 Depth=1
	s_or_b32 exec_lo, exec_lo, s33
	s_and_b32 s7, s7, s31
	s_delay_alu instid0(SALU_CYCLE_1) | instskip(SKIP_1) | instid1(SALU_CYCLE_1)
	s_or_b32 s7, vcc_lo, s7
	s_and_b32 s8, exec_lo, s30
	s_or_b32 s27, s8, s27
	s_and_not1_b32 s8, s31, exec_lo
	s_and_b32 s7, s7, exec_lo
	s_and_not1_b32 s28, s28, exec_lo
	s_and_b32 s33, s29, exec_lo
	s_or_b32 s31, s8, s7
	s_and_not1_b32 s8, s23, exec_lo
	s_or_b32 s28, s28, s33
	s_or_b32 s23, s8, s7
	s_and_not1_b32 exec_lo, exec_lo, s27
	s_cbranch_execz .LBB9_918
.LBB9_916:                              ; =>This Inner Loop Header: Depth=1
	global_load_u8 v25, v[0:1], off
	global_load_u8 v33, v[22:23], off
	s_or_b32 s29, s29, exec_lo
	s_or_b32 s30, s30, exec_lo
	s_mov_b32 s33, exec_lo
	s_wait_loadcnt 0x1
	v_and_b32_e32 v25, 0xff, v25
	s_wait_loadcnt 0x0
	v_and_b32_e32 v33, 0xff, v33
	s_delay_alu instid0(VALU_DEP_1)
	v_cmp_le_u16_e64 s7, v25, v33
	v_cmp_lt_u16_e32 vcc_lo, v25, v33
	v_cmpx_eq_u16_e64 v25, v33
	s_cbranch_execz .LBB9_915
; %bb.917:                              ;   in Loop: Header=BB9_916 Depth=1
	s_add_nc_u64 s[14:15], s[14:15], -1
	v_add_nc_u64_e32 v[0:1], 1, v[0:1]
	s_cmp_eq_u64 s[14:15], 0
	v_add_nc_u64_e32 v[22:23], 1, v[22:23]
	s_cselect_b32 s8, -1, 0
	s_and_not1_b32 s30, s30, exec_lo
	s_and_b32 s8, s8, exec_lo
	s_and_not1_b32 s29, s29, exec_lo
	s_or_b32 s30, s30, s8
	s_branch .LBB9_915
.LBB9_918:
	s_or_b32 exec_lo, exec_lo, s27
	s_and_saveexec_b32 s7, s28
	s_delay_alu instid0(SALU_CYCLE_1)
	s_xor_b32 s7, exec_lo, s7
; %bb.919:
	v_dual_cndmask_b32 v1, v11, v13, s23 :: v_dual_cndmask_b32 v0, v10, v12, s23
	v_dual_cndmask_b32 v13, v13, v11, s23 :: v_dual_cndmask_b32 v12, v12, v10, s23
	s_delay_alu instid0(VALU_DEP_2)
	v_mov_b64_e32 v[10:11], v[0:1]
; %bb.920:
	s_or_b32 exec_lo, exec_lo, s7
.LBB9_921:
	s_delay_alu instid0(SALU_CYCLE_1)
	s_or_b32 exec_lo, exec_lo, s22
	s_and_saveexec_b32 s22, s9
	s_cbranch_execz .LBB9_930
; %bb.922:
	s_and_not1_b32 vcc_lo, exec_lo, s26
	s_cbranch_vccnz .LBB9_930
; %bb.923:
	v_mad_nc_u64_u32 v[0:1], v8, s16, s[18:19]
	v_mad_nc_u64_u32 v[22:23], v6, s16, s[18:19]
	s_mov_b32 s23, 0
	s_mov_b64 s[14:15], s[16:17]
                                        ; implicit-def: $sgpr9
                                        ; implicit-def: $sgpr27
                                        ; implicit-def: $sgpr29
                                        ; implicit-def: $sgpr28
                                        ; implicit-def: $sgpr30
	s_delay_alu instid0(VALU_DEP_2) | instskip(NEXT) | instid1(VALU_DEP_2)
	v_mad_u32 v1, v9, s16, v1
	v_mad_u32 v23, v7, s16, v23
	s_delay_alu instid0(VALU_DEP_2) | instskip(NEXT) | instid1(VALU_DEP_2)
	v_mad_u32 v1, v8, s17, v1
	v_mad_u32 v23, v6, s17, v23
	s_branch .LBB9_925
.LBB9_924:                              ;   in Loop: Header=BB9_925 Depth=1
	s_or_b32 exec_lo, exec_lo, s31
	s_and_b32 s7, s7, s30
	s_delay_alu instid0(SALU_CYCLE_1) | instskip(SKIP_1) | instid1(SALU_CYCLE_1)
	s_or_b32 s7, vcc_lo, s7
	s_and_b32 s8, exec_lo, s29
	s_or_b32 s23, s8, s23
	s_and_not1_b32 s8, s30, exec_lo
	s_and_b32 s7, s7, exec_lo
	s_and_not1_b32 s27, s27, exec_lo
	s_and_b32 s31, s28, exec_lo
	s_or_b32 s30, s8, s7
	s_and_not1_b32 s8, s9, exec_lo
	s_or_b32 s27, s27, s31
	s_or_b32 s9, s8, s7
	s_and_not1_b32 exec_lo, exec_lo, s23
	s_cbranch_execz .LBB9_927
.LBB9_925:                              ; =>This Inner Loop Header: Depth=1
	global_load_u8 v25, v[0:1], off
	global_load_u8 v33, v[22:23], off
	s_or_b32 s28, s28, exec_lo
	s_or_b32 s29, s29, exec_lo
	s_mov_b32 s31, exec_lo
	s_wait_loadcnt 0x1
	v_and_b32_e32 v25, 0xff, v25
	s_wait_loadcnt 0x0
	v_and_b32_e32 v33, 0xff, v33
	s_delay_alu instid0(VALU_DEP_1)
	v_cmp_le_u16_e64 s7, v25, v33
	v_cmp_lt_u16_e32 vcc_lo, v25, v33
	v_cmpx_eq_u16_e64 v25, v33
	s_cbranch_execz .LBB9_924
; %bb.926:                              ;   in Loop: Header=BB9_925 Depth=1
	s_add_nc_u64 s[14:15], s[14:15], -1
	v_add_nc_u64_e32 v[0:1], 1, v[0:1]
	s_cmp_eq_u64 s[14:15], 0
	v_add_nc_u64_e32 v[22:23], 1, v[22:23]
	s_cselect_b32 s8, -1, 0
	s_and_not1_b32 s29, s29, exec_lo
	s_and_b32 s8, s8, exec_lo
	s_and_not1_b32 s28, s28, exec_lo
	s_or_b32 s29, s29, s8
	s_branch .LBB9_924
.LBB9_927:
	s_or_b32 exec_lo, exec_lo, s23
	s_and_saveexec_b32 s7, s27
	s_delay_alu instid0(SALU_CYCLE_1)
	s_xor_b32 s7, exec_lo, s7
; %bb.928:
	v_dual_cndmask_b32 v1, v7, v9, s9 :: v_dual_cndmask_b32 v0, v6, v8, s9
	v_dual_cndmask_b32 v9, v9, v7, s9 :: v_dual_cndmask_b32 v8, v8, v6, s9
	s_delay_alu instid0(VALU_DEP_2)
	v_mov_b64_e32 v[6:7], v[0:1]
; %bb.929:
	s_or_b32 exec_lo, exec_lo, s7
.LBB9_930:
	s_delay_alu instid0(SALU_CYCLE_1)
	s_or_b32 exec_lo, exec_lo, s22
	s_and_saveexec_b32 s9, s10
	s_cbranch_execz .LBB9_939
; %bb.931:
	s_and_not1_b32 vcc_lo, exec_lo, s26
	s_cbranch_vccnz .LBB9_939
; %bb.932:
	v_mad_nc_u64_u32 v[0:1], v4, s16, s[18:19]
	v_mad_nc_u64_u32 v[22:23], v2, s16, s[18:19]
	s_mov_b32 s22, 0
	s_mov_b64 s[14:15], s[16:17]
                                        ; implicit-def: $sgpr10
                                        ; implicit-def: $sgpr23
                                        ; implicit-def: $sgpr28
                                        ; implicit-def: $sgpr27
                                        ; implicit-def: $sgpr29
	s_delay_alu instid0(VALU_DEP_2) | instskip(NEXT) | instid1(VALU_DEP_2)
	v_mad_u32 v1, v5, s16, v1
	v_mad_u32 v23, v3, s16, v23
	s_delay_alu instid0(VALU_DEP_2) | instskip(NEXT) | instid1(VALU_DEP_2)
	v_mad_u32 v1, v4, s17, v1
	v_mad_u32 v23, v2, s17, v23
	s_branch .LBB9_934
.LBB9_933:                              ;   in Loop: Header=BB9_934 Depth=1
	s_or_b32 exec_lo, exec_lo, s30
	s_and_b32 s7, s7, s29
	s_delay_alu instid0(SALU_CYCLE_1) | instskip(SKIP_1) | instid1(SALU_CYCLE_1)
	s_or_b32 s7, vcc_lo, s7
	s_and_b32 s8, exec_lo, s28
	s_or_b32 s22, s8, s22
	s_and_not1_b32 s8, s29, exec_lo
	s_and_b32 s7, s7, exec_lo
	s_and_not1_b32 s23, s23, exec_lo
	s_and_b32 s30, s27, exec_lo
	s_or_b32 s29, s8, s7
	s_and_not1_b32 s8, s10, exec_lo
	s_or_b32 s23, s23, s30
	s_or_b32 s10, s8, s7
	s_and_not1_b32 exec_lo, exec_lo, s22
	s_cbranch_execz .LBB9_936
.LBB9_934:                              ; =>This Inner Loop Header: Depth=1
	global_load_u8 v25, v[0:1], off
	global_load_u8 v33, v[22:23], off
	s_or_b32 s27, s27, exec_lo
	s_or_b32 s28, s28, exec_lo
	s_mov_b32 s30, exec_lo
	s_wait_loadcnt 0x1
	v_and_b32_e32 v25, 0xff, v25
	s_wait_loadcnt 0x0
	v_and_b32_e32 v33, 0xff, v33
	s_delay_alu instid0(VALU_DEP_1)
	v_cmp_le_u16_e64 s7, v25, v33
	v_cmp_lt_u16_e32 vcc_lo, v25, v33
	v_cmpx_eq_u16_e64 v25, v33
	s_cbranch_execz .LBB9_933
; %bb.935:                              ;   in Loop: Header=BB9_934 Depth=1
	s_add_nc_u64 s[14:15], s[14:15], -1
	v_add_nc_u64_e32 v[0:1], 1, v[0:1]
	s_cmp_eq_u64 s[14:15], 0
	v_add_nc_u64_e32 v[22:23], 1, v[22:23]
	s_cselect_b32 s8, -1, 0
	s_and_not1_b32 s28, s28, exec_lo
	s_and_b32 s8, s8, exec_lo
	s_and_not1_b32 s27, s27, exec_lo
	s_or_b32 s28, s28, s8
	s_branch .LBB9_933
.LBB9_936:
	s_or_b32 exec_lo, exec_lo, s22
	s_and_saveexec_b32 s7, s23
	s_delay_alu instid0(SALU_CYCLE_1)
	s_xor_b32 s7, exec_lo, s7
; %bb.937:
	v_dual_cndmask_b32 v1, v3, v5, s10 :: v_dual_cndmask_b32 v0, v2, v4, s10
	v_dual_cndmask_b32 v5, v5, v3, s10 :: v_dual_cndmask_b32 v4, v4, v2, s10
	s_delay_alu instid0(VALU_DEP_2)
	v_mov_b64_e32 v[2:3], v[0:1]
; %bb.938:
	s_or_b32 exec_lo, exec_lo, s7
.LBB9_939:
	s_delay_alu instid0(SALU_CYCLE_1)
	s_or_b32 exec_lo, exec_lo, s9
	s_and_saveexec_b32 s9, s11
	s_cbranch_execz .LBB9_948
; %bb.940:
	s_and_not1_b32 vcc_lo, exec_lo, s26
	s_cbranch_vccnz .LBB9_948
; %bb.941:
	v_mad_nc_u64_u32 v[0:1], v10, s16, s[18:19]
	v_mad_nc_u64_u32 v[22:23], v16, s16, s[18:19]
	s_mov_b32 s15, 0
	s_mov_b64 s[10:11], s[16:17]
                                        ; implicit-def: $sgpr14
                                        ; implicit-def: $sgpr22
                                        ; implicit-def: $sgpr27
                                        ; implicit-def: $sgpr23
                                        ; implicit-def: $sgpr28
	s_delay_alu instid0(VALU_DEP_2) | instskip(NEXT) | instid1(VALU_DEP_2)
	v_mad_u32 v1, v11, s16, v1
	v_mad_u32 v23, v17, s16, v23
	s_delay_alu instid0(VALU_DEP_2) | instskip(NEXT) | instid1(VALU_DEP_2)
	v_mad_u32 v1, v10, s17, v1
	v_mad_u32 v23, v16, s17, v23
	s_branch .LBB9_943
.LBB9_942:                              ;   in Loop: Header=BB9_943 Depth=1
	s_or_b32 exec_lo, exec_lo, s29
	s_and_b32 s7, s7, s28
	s_delay_alu instid0(SALU_CYCLE_1) | instskip(SKIP_1) | instid1(SALU_CYCLE_1)
	s_or_b32 s7, vcc_lo, s7
	s_and_b32 s8, exec_lo, s27
	s_or_b32 s15, s8, s15
	s_and_not1_b32 s8, s28, exec_lo
	s_and_b32 s7, s7, exec_lo
	s_and_not1_b32 s22, s22, exec_lo
	s_and_b32 s29, s23, exec_lo
	s_or_b32 s28, s8, s7
	s_and_not1_b32 s8, s14, exec_lo
	s_or_b32 s22, s22, s29
	s_or_b32 s14, s8, s7
	s_and_not1_b32 exec_lo, exec_lo, s15
	s_cbranch_execz .LBB9_945
.LBB9_943:                              ; =>This Inner Loop Header: Depth=1
	global_load_u8 v25, v[0:1], off
	global_load_u8 v33, v[22:23], off
	s_or_b32 s23, s23, exec_lo
	s_or_b32 s27, s27, exec_lo
	s_mov_b32 s29, exec_lo
	s_wait_loadcnt 0x1
	v_and_b32_e32 v25, 0xff, v25
	s_wait_loadcnt 0x0
	v_and_b32_e32 v33, 0xff, v33
	s_delay_alu instid0(VALU_DEP_1)
	v_cmp_le_u16_e64 s7, v25, v33
	v_cmp_lt_u16_e32 vcc_lo, v25, v33
	v_cmpx_eq_u16_e64 v25, v33
	s_cbranch_execz .LBB9_942
; %bb.944:                              ;   in Loop: Header=BB9_943 Depth=1
	s_add_nc_u64 s[10:11], s[10:11], -1
	v_add_nc_u64_e32 v[0:1], 1, v[0:1]
	s_cmp_eq_u64 s[10:11], 0
	v_add_nc_u64_e32 v[22:23], 1, v[22:23]
	s_cselect_b32 s8, -1, 0
	s_and_not1_b32 s27, s27, exec_lo
	s_and_b32 s8, s8, exec_lo
	s_and_not1_b32 s23, s23, exec_lo
	s_or_b32 s27, s27, s8
	s_branch .LBB9_942
.LBB9_945:
	s_or_b32 exec_lo, exec_lo, s15
	s_and_saveexec_b32 s7, s22
	s_delay_alu instid0(SALU_CYCLE_1)
	s_xor_b32 s7, exec_lo, s7
; %bb.946:
	v_dual_cndmask_b32 v1, v17, v11, s14 :: v_dual_cndmask_b32 v0, v16, v10, s14
	v_dual_cndmask_b32 v11, v11, v17, s14 :: v_dual_cndmask_b32 v10, v10, v16, s14
	s_delay_alu instid0(VALU_DEP_2)
	v_mov_b64_e32 v[16:17], v[0:1]
; %bb.947:
	s_or_b32 exec_lo, exec_lo, s7
.LBB9_948:
	s_delay_alu instid0(SALU_CYCLE_1)
	s_or_b32 exec_lo, exec_lo, s9
	s_and_saveexec_b32 s9, s12
	s_cbranch_execz .LBB9_957
; %bb.949:
	s_and_not1_b32 vcc_lo, exec_lo, s26
	s_cbranch_vccnz .LBB9_957
; %bb.950:
	v_mad_nc_u64_u32 v[0:1], v6, s16, s[18:19]
	v_mad_nc_u64_u32 v[22:23], v12, s16, s[18:19]
	s_mov_b32 s14, 0
	s_mov_b64 s[10:11], s[16:17]
                                        ; implicit-def: $sgpr12
                                        ; implicit-def: $sgpr15
                                        ; implicit-def: $sgpr23
                                        ; implicit-def: $sgpr22
                                        ; implicit-def: $sgpr27
	s_delay_alu instid0(VALU_DEP_2) | instskip(NEXT) | instid1(VALU_DEP_2)
	v_mad_u32 v1, v7, s16, v1
	v_mad_u32 v23, v13, s16, v23
	s_delay_alu instid0(VALU_DEP_2) | instskip(NEXT) | instid1(VALU_DEP_2)
	v_mad_u32 v1, v6, s17, v1
	v_mad_u32 v23, v12, s17, v23
	s_branch .LBB9_952
.LBB9_951:                              ;   in Loop: Header=BB9_952 Depth=1
	s_or_b32 exec_lo, exec_lo, s28
	s_and_b32 s7, s7, s27
	s_delay_alu instid0(SALU_CYCLE_1) | instskip(SKIP_1) | instid1(SALU_CYCLE_1)
	s_or_b32 s7, vcc_lo, s7
	s_and_b32 s8, exec_lo, s23
	s_or_b32 s14, s8, s14
	s_and_not1_b32 s8, s27, exec_lo
	s_and_b32 s7, s7, exec_lo
	s_and_not1_b32 s15, s15, exec_lo
	s_and_b32 s28, s22, exec_lo
	s_or_b32 s27, s8, s7
	s_and_not1_b32 s8, s12, exec_lo
	s_or_b32 s15, s15, s28
	s_or_b32 s12, s8, s7
	s_and_not1_b32 exec_lo, exec_lo, s14
	s_cbranch_execz .LBB9_954
.LBB9_952:                              ; =>This Inner Loop Header: Depth=1
	global_load_u8 v25, v[0:1], off
	global_load_u8 v33, v[22:23], off
	s_or_b32 s22, s22, exec_lo
	s_or_b32 s23, s23, exec_lo
	s_mov_b32 s28, exec_lo
	s_wait_loadcnt 0x1
	v_and_b32_e32 v25, 0xff, v25
	s_wait_loadcnt 0x0
	v_and_b32_e32 v33, 0xff, v33
	s_delay_alu instid0(VALU_DEP_1)
	v_cmp_le_u16_e64 s7, v25, v33
	v_cmp_lt_u16_e32 vcc_lo, v25, v33
	v_cmpx_eq_u16_e64 v25, v33
	s_cbranch_execz .LBB9_951
; %bb.953:                              ;   in Loop: Header=BB9_952 Depth=1
	s_add_nc_u64 s[10:11], s[10:11], -1
	v_add_nc_u64_e32 v[0:1], 1, v[0:1]
	s_cmp_eq_u64 s[10:11], 0
	v_add_nc_u64_e32 v[22:23], 1, v[22:23]
	s_cselect_b32 s8, -1, 0
	s_and_not1_b32 s23, s23, exec_lo
	s_and_b32 s8, s8, exec_lo
	s_and_not1_b32 s22, s22, exec_lo
	s_or_b32 s23, s23, s8
	s_branch .LBB9_951
.LBB9_954:
	s_or_b32 exec_lo, exec_lo, s14
	s_and_saveexec_b32 s7, s15
	s_delay_alu instid0(SALU_CYCLE_1)
	s_xor_b32 s7, exec_lo, s7
; %bb.955:
	v_dual_cndmask_b32 v1, v13, v7, s12 :: v_dual_cndmask_b32 v0, v12, v6, s12
	v_dual_cndmask_b32 v7, v7, v13, s12 :: v_dual_cndmask_b32 v6, v6, v12, s12
	s_delay_alu instid0(VALU_DEP_2)
	v_mov_b64_e32 v[12:13], v[0:1]
; %bb.956:
	s_or_b32 exec_lo, exec_lo, s7
.LBB9_957:
	s_delay_alu instid0(SALU_CYCLE_1)
	s_or_b32 exec_lo, exec_lo, s9
	s_and_saveexec_b32 s9, s13
	s_cbranch_execz .LBB9_966
; %bb.958:
	s_and_not1_b32 vcc_lo, exec_lo, s26
	s_cbranch_vccnz .LBB9_966
; %bb.959:
	v_mad_nc_u64_u32 v[0:1], v2, s16, s[18:19]
	v_mad_nc_u64_u32 v[22:23], v8, s16, s[18:19]
	s_mov_b32 s13, 0
	s_mov_b64 s[10:11], s[16:17]
                                        ; implicit-def: $sgpr12
                                        ; implicit-def: $sgpr14
                                        ; implicit-def: $sgpr22
                                        ; implicit-def: $sgpr15
                                        ; implicit-def: $sgpr23
	s_delay_alu instid0(VALU_DEP_2) | instskip(NEXT) | instid1(VALU_DEP_2)
	v_mad_u32 v1, v3, s16, v1
	v_mad_u32 v23, v9, s16, v23
	s_delay_alu instid0(VALU_DEP_2) | instskip(NEXT) | instid1(VALU_DEP_2)
	v_mad_u32 v1, v2, s17, v1
	v_mad_u32 v23, v8, s17, v23
	s_branch .LBB9_961
.LBB9_960:                              ;   in Loop: Header=BB9_961 Depth=1
	s_or_b32 exec_lo, exec_lo, s27
	s_and_b32 s7, s7, s23
	s_delay_alu instid0(SALU_CYCLE_1) | instskip(SKIP_1) | instid1(SALU_CYCLE_1)
	s_or_b32 s7, vcc_lo, s7
	s_and_b32 s8, exec_lo, s22
	s_or_b32 s13, s8, s13
	s_and_not1_b32 s8, s23, exec_lo
	s_and_b32 s7, s7, exec_lo
	s_and_not1_b32 s14, s14, exec_lo
	s_and_b32 s27, s15, exec_lo
	s_or_b32 s23, s8, s7
	s_and_not1_b32 s8, s12, exec_lo
	s_or_b32 s14, s14, s27
	s_or_b32 s12, s8, s7
	s_and_not1_b32 exec_lo, exec_lo, s13
	s_cbranch_execz .LBB9_963
.LBB9_961:                              ; =>This Inner Loop Header: Depth=1
	global_load_u8 v25, v[0:1], off
	global_load_u8 v33, v[22:23], off
	s_or_b32 s15, s15, exec_lo
	s_or_b32 s22, s22, exec_lo
	s_mov_b32 s27, exec_lo
	s_wait_loadcnt 0x1
	v_and_b32_e32 v25, 0xff, v25
	s_wait_loadcnt 0x0
	v_and_b32_e32 v33, 0xff, v33
	s_delay_alu instid0(VALU_DEP_1)
	v_cmp_le_u16_e64 s7, v25, v33
	v_cmp_lt_u16_e32 vcc_lo, v25, v33
	v_cmpx_eq_u16_e64 v25, v33
	s_cbranch_execz .LBB9_960
; %bb.962:                              ;   in Loop: Header=BB9_961 Depth=1
	s_add_nc_u64 s[10:11], s[10:11], -1
	v_add_nc_u64_e32 v[0:1], 1, v[0:1]
	s_cmp_eq_u64 s[10:11], 0
	v_add_nc_u64_e32 v[22:23], 1, v[22:23]
	s_cselect_b32 s8, -1, 0
	s_and_not1_b32 s22, s22, exec_lo
	s_and_b32 s8, s8, exec_lo
	s_and_not1_b32 s15, s15, exec_lo
	s_or_b32 s22, s22, s8
	s_branch .LBB9_960
.LBB9_963:
	s_or_b32 exec_lo, exec_lo, s13
	s_and_saveexec_b32 s7, s14
	s_delay_alu instid0(SALU_CYCLE_1)
	s_xor_b32 s7, exec_lo, s7
; %bb.964:
	v_dual_cndmask_b32 v1, v9, v3, s12 :: v_dual_cndmask_b32 v0, v8, v2, s12
	v_dual_cndmask_b32 v3, v3, v9, s12 :: v_dual_cndmask_b32 v2, v2, v8, s12
	s_delay_alu instid0(VALU_DEP_2)
	v_mov_b64_e32 v[8:9], v[0:1]
; %bb.965:
	s_or_b32 exec_lo, exec_lo, s7
.LBB9_966:
	s_delay_alu instid0(SALU_CYCLE_1) | instskip(SKIP_4) | instid1(VALU_DEP_1)
	s_or_b32 exec_lo, exec_lo, s9
	v_mbcnt_lo_u32_b32 v0, -1, 0
	v_and_b32_e32 v1, 0xffffff00, v24
	s_mov_b32 s10, 0
	s_mov_b32 s11, exec_lo
	v_dual_lshlrev_b32 v35, 3, v0 :: v_dual_lshlrev_b32 v33, 3, v1
	v_sub_nc_u32_e64 v34, s25, v1 clamp
	s_delay_alu instid0(VALU_DEP_2) | instskip(SKIP_1) | instid1(VALU_DEP_4)
	v_or_b32_e32 v22, 8, v35
	v_and_b32_e32 v39, 0xf0, v35
	v_lshl_or_b32 v36, v0, 6, v33
	ds_store_b128 v36, v[14:17]
	ds_store_b128 v36, v[10:13] offset:16
	v_min_u32_e32 v24, v34, v22
	v_and_b32_e32 v22, 8, v35
	v_lshl_or_b32 v38, v39, 3, v33
	ds_store_b128 v36, v[6:9] offset:32
	ds_store_b128 v36, v[2:5] offset:48
	v_add_min_u32_e64 v25, v24, 8, v34
	v_min_u32_e32 v40, v34, v22
	v_sub_nc_u32_e32 v22, v24, v39
	; wave barrier
	s_delay_alu instid0(VALU_DEP_3) | instskip(NEXT) | instid1(VALU_DEP_2)
	v_sub_nc_u32_e32 v1, v25, v24
	v_min_u32_e32 v41, v40, v22
	s_delay_alu instid0(VALU_DEP_2) | instskip(NEXT) | instid1(VALU_DEP_1)
	v_sub_nc_u32_e64 v37, v40, v1 clamp
	v_cmpx_lt_u32_e64 v37, v41
	s_cbranch_execz .LBB9_977
; %bb.967:
	v_lshlrev_b32_e32 v0, 3, v24
	v_lshlrev_b32_e32 v1, 3, v40
	s_delay_alu instid0(VALU_DEP_1)
	v_add3_u32 v42, v33, v0, v1
	s_branch .LBB9_970
.LBB9_968:                              ;   in Loop: Header=BB9_970 Depth=1
	s_or_b32 exec_lo, exec_lo, s13
.LBB9_969:                              ;   in Loop: Header=BB9_970 Depth=1
	s_delay_alu instid0(VALU_DEP_1) | instskip(NEXT) | instid1(VALU_DEP_1)
	v_dual_add_nc_u32 v0, 1, v43 :: v_dual_cndmask_b32 v41, v41, v43, s12
	v_cndmask_b32_e64 v37, v0, v37, s12
	s_delay_alu instid0(VALU_DEP_1) | instskip(SKIP_1) | instid1(SALU_CYCLE_1)
	v_cmp_ge_u32_e32 vcc_lo, v37, v41
	s_or_b32 s10, vcc_lo, s10
	s_and_not1_b32 exec_lo, exec_lo, s10
	s_cbranch_execz .LBB9_976
.LBB9_970:                              ; =>This Loop Header: Depth=1
                                        ;     Child Loop BB9_973 Depth 2
	v_add_nc_u32_e32 v0, v41, v37
	s_and_not1_b32 vcc_lo, exec_lo, s26
	s_delay_alu instid0(VALU_DEP_1)
	v_lshrrev_b32_e32 v43, 1, v0
	s_cbranch_vccnz .LBB9_975
; %bb.971:                              ;   in Loop: Header=BB9_970 Depth=1
	s_delay_alu instid0(VALU_DEP_1) | instskip(SKIP_3) | instid1(VALU_DEP_2)
	v_not_b32_e32 v0, v43
	v_lshl_add_u32 v1, v43, 3, v38
	s_mov_b32 s13, 0
	s_mov_b64 s[8:9], s[16:17]
                                        ; implicit-def: $sgpr12
                                        ; implicit-def: $sgpr14
                                        ; implicit-def: $sgpr15
                                        ; implicit-def: $sgpr22
	v_lshl_add_u32 v0, v0, 3, v42
	ds_load_b64 v[44:45], v0
	ds_load_b64 v[46:47], v1
	s_wait_dscnt 0x1
	v_mad_nc_u64_u32 v[0:1], v44, s16, s[18:19]
	s_wait_dscnt 0x0
	v_mad_nc_u64_u32 v[22:23], v46, s16, s[18:19]
	s_delay_alu instid0(VALU_DEP_2) | instskip(NEXT) | instid1(VALU_DEP_2)
	v_mad_u32 v1, v45, s16, v1
	v_mad_u32 v23, v47, s16, v23
	s_delay_alu instid0(VALU_DEP_2) | instskip(NEXT) | instid1(VALU_DEP_2)
	v_mad_u32 v1, v44, s17, v1
	v_mad_u32 v23, v46, s17, v23
	s_branch .LBB9_973
.LBB9_972:                              ;   in Loop: Header=BB9_973 Depth=2
	s_or_b32 exec_lo, exec_lo, s23
	s_delay_alu instid0(SALU_CYCLE_1) | instskip(NEXT) | instid1(SALU_CYCLE_1)
	s_and_b32 s23, exec_lo, s14
	s_or_b32 s13, s23, s13
	s_and_not1_b32 s22, s22, exec_lo
	s_and_b32 s7, s7, exec_lo
	s_and_not1_b32 s12, s12, exec_lo
	s_and_b32 s23, s15, exec_lo
	s_or_b32 s22, s22, s7
	s_or_b32 s12, s12, s23
	s_and_not1_b32 exec_lo, exec_lo, s13
	s_cbranch_execz .LBB9_968
.LBB9_973:                              ;   Parent Loop BB9_970 Depth=1
                                        ; =>  This Inner Loop Header: Depth=2
	global_load_u8 v44, v[0:1], off
	global_load_u8 v45, v[22:23], off
	s_and_not1_b32 s15, s15, exec_lo
	s_or_b32 s14, s14, exec_lo
	s_wait_loadcnt 0x1
	v_and_b32_e32 v44, 0xff, v44
	s_wait_loadcnt 0x0
	v_and_b32_e32 v45, 0xff, v45
	s_delay_alu instid0(VALU_DEP_1) | instskip(SKIP_2) | instid1(SALU_CYCLE_1)
	v_cmp_le_u16_e32 vcc_lo, v44, v45
	v_cmp_lt_u16_e64 s7, v44, v45
	s_and_b32 s23, vcc_lo, s22
	s_or_b32 s7, s7, s23
	s_delay_alu instid0(SALU_CYCLE_1) | instskip(NEXT) | instid1(SALU_CYCLE_1)
	s_and_b32 s23, s7, exec_lo
	s_or_b32 s15, s15, s23
	s_mov_b32 s23, exec_lo
	v_cmpx_eq_u16_e64 v44, v45
	s_cbranch_execz .LBB9_972
; %bb.974:                              ;   in Loop: Header=BB9_973 Depth=2
	s_add_nc_u64 s[8:9], s[8:9], -1
	v_add_nc_u64_e32 v[0:1], 1, v[0:1]
	s_cmp_eq_u64 s[8:9], 0
	v_add_nc_u64_e32 v[22:23], 1, v[22:23]
	s_cselect_b32 s22, -1, 0
	s_and_not1_b32 s14, s14, exec_lo
	s_and_b32 s22, s22, exec_lo
	s_and_not1_b32 s15, s15, exec_lo
	s_or_b32 s14, s14, s22
                                        ; implicit-def: $sgpr22
	s_branch .LBB9_972
.LBB9_975:                              ;   in Loop: Header=BB9_970 Depth=1
	s_mov_b32 s12, 0
	s_branch .LBB9_969
.LBB9_976:
	s_or_b32 exec_lo, exec_lo, s10
.LBB9_977:
	s_delay_alu instid0(SALU_CYCLE_1) | instskip(SKIP_1) | instid1(VALU_DEP_1)
	s_or_b32 exec_lo, exec_lo, s11
	v_dual_add_nc_u32 v0, v24, v40 :: v_dual_add_nc_u32 v22, v37, v39
	v_sub_nc_u32_e32 v23, v0, v37
	s_delay_alu instid0(VALU_DEP_2) | instskip(NEXT) | instid1(VALU_DEP_2)
	v_cmp_le_u32_e32 vcc_lo, v22, v24
	v_cmp_le_u32_e64 s7, v23, v25
	s_or_b32 s7, vcc_lo, s7
	s_delay_alu instid0(SALU_CYCLE_1)
	s_and_saveexec_b32 s10, s7
	s_cbranch_execz .LBB9_1068
; %bb.978:
	s_mov_b32 s8, exec_lo
	v_cmp_ge_u32_e32 vcc_lo, v22, v24
                                        ; implicit-def: $vgpr0_vgpr1
	v_cmpx_lt_u32_e64 v22, v24
; %bb.979:
	v_lshl_add_u32 v0, v37, 3, v38
	ds_load_b64 v[0:1], v0
; %bb.980:
	s_or_b32 exec_lo, exec_lo, s8
	v_cmp_ge_u32_e64 s11, v23, v25
	s_mov_b32 s8, exec_lo
                                        ; implicit-def: $vgpr2_vgpr3
	v_cmpx_lt_u32_e64 v23, v25
; %bb.981:
	v_lshl_add_u32 v2, v23, 3, v33
	ds_load_b64 v[2:3], v2
; %bb.982:
	s_or_b32 exec_lo, exec_lo, s8
	s_nor_b32 s7, vcc_lo, s11
	s_delay_alu instid0(SALU_CYCLE_1)
	s_and_saveexec_b32 s12, s7
	s_cbranch_execz .LBB9_991
; %bb.983:
	s_and_not1_b32 vcc_lo, exec_lo, s26
	s_cbranch_vccnz .LBB9_989
; %bb.984:
	s_wait_dscnt 0x0
	v_mad_nc_u64_u32 v[4:5], v2, s16, s[18:19]
	v_mad_nc_u64_u32 v[6:7], v0, s16, s[18:19]
	s_mov_b32 s13, 0
	s_mov_b64 s[8:9], s[16:17]
                                        ; implicit-def: $sgpr14
                                        ; implicit-def: $sgpr15
                                        ; implicit-def: $sgpr22
                                        ; implicit-def: $sgpr23
	s_delay_alu instid0(VALU_DEP_2) | instskip(NEXT) | instid1(VALU_DEP_2)
	v_mad_u32 v5, v3, s16, v5
	v_mad_u32 v7, v1, s16, v7
	s_delay_alu instid0(VALU_DEP_2) | instskip(NEXT) | instid1(VALU_DEP_2)
	v_mad_u32 v5, v2, s17, v5
	v_mad_u32 v7, v0, s17, v7
	s_branch .LBB9_986
.LBB9_985:                              ;   in Loop: Header=BB9_986 Depth=1
	s_or_b32 exec_lo, exec_lo, s27
	s_delay_alu instid0(SALU_CYCLE_1) | instskip(NEXT) | instid1(SALU_CYCLE_1)
	s_and_b32 s27, exec_lo, s15
	s_or_b32 s13, s27, s13
	s_and_not1_b32 s23, s23, exec_lo
	s_and_b32 s7, s7, exec_lo
	s_and_not1_b32 s14, s14, exec_lo
	s_and_b32 s27, s22, exec_lo
	s_or_b32 s23, s23, s7
	s_or_b32 s14, s14, s27
	s_and_not1_b32 exec_lo, exec_lo, s13
	s_cbranch_execz .LBB9_988
.LBB9_986:                              ; =>This Inner Loop Header: Depth=1
	global_load_u8 v8, v[4:5], off
	global_load_u8 v9, v[6:7], off
	s_and_not1_b32 s22, s22, exec_lo
	s_or_b32 s15, s15, exec_lo
	s_wait_loadcnt 0x1
	v_and_b32_e32 v8, 0xff, v8
	s_wait_loadcnt 0x0
	v_and_b32_e32 v9, 0xff, v9
	s_delay_alu instid0(VALU_DEP_1) | instskip(SKIP_2) | instid1(SALU_CYCLE_1)
	v_cmp_le_u16_e32 vcc_lo, v8, v9
	v_cmp_lt_u16_e64 s7, v8, v9
	s_and_b32 s27, vcc_lo, s23
	s_or_b32 s7, s7, s27
	s_delay_alu instid0(SALU_CYCLE_1) | instskip(NEXT) | instid1(SALU_CYCLE_1)
	s_and_b32 s27, s7, exec_lo
	s_or_b32 s22, s22, s27
	s_mov_b32 s27, exec_lo
	v_cmpx_eq_u16_e64 v8, v9
	s_cbranch_execz .LBB9_985
; %bb.987:                              ;   in Loop: Header=BB9_986 Depth=1
	s_add_nc_u64 s[8:9], s[8:9], -1
	v_add_nc_u64_e32 v[4:5], 1, v[4:5]
	s_cmp_eq_u64 s[8:9], 0
	v_add_nc_u64_e32 v[6:7], 1, v[6:7]
	s_cselect_b32 s23, -1, 0
	s_and_not1_b32 s15, s15, exec_lo
	s_and_b32 s23, s23, exec_lo
	s_and_not1_b32 s22, s22, exec_lo
	s_or_b32 s15, s15, s23
                                        ; implicit-def: $sgpr23
	s_branch .LBB9_985
.LBB9_988:
	s_or_b32 exec_lo, exec_lo, s13
	s_xor_b32 s7, s14, -1
	s_branch .LBB9_990
.LBB9_989:
	s_mov_b32 s7, -1
.LBB9_990:
	s_and_not1_b32 s8, s11, exec_lo
	s_and_b32 s7, s7, exec_lo
	s_delay_alu instid0(SALU_CYCLE_1)
	s_or_b32 s11, s8, s7
.LBB9_991:
	s_or_b32 exec_lo, exec_lo, s12
	v_dual_cndmask_b32 v4, v23, v22, s11 :: v_dual_cndmask_b32 v5, v25, v24, s11
	s_mov_b32 s13, -1
	s_mov_b32 s12, -1
	s_mov_b32 s14, exec_lo
	s_delay_alu instid0(VALU_DEP_1) | instskip(NEXT) | instid1(VALU_DEP_1)
	v_add_nc_u32_e32 v6, 1, v4
	v_add_min_u32_e64 v4, v5, -1, v6
	s_delay_alu instid0(VALU_DEP_1)
	v_lshl_add_u32 v4, v4, 3, v33
	ds_load_b64 v[4:5], v4
	s_wait_dscnt 0x0
	v_cndmask_b32_e64 v14, v5, v3, s11
	v_dual_cndmask_b32 v8, v6, v23, s11 :: v_dual_cndmask_b32 v15, v4, v2, s11
	v_dual_cndmask_b32 v9, v22, v6, s11 :: v_dual_cndmask_b32 v16, v1, v5, s11
	v_cndmask_b32_e64 v37, v0, v4, s11
	s_delay_alu instid0(VALU_DEP_3)
	v_cmpx_lt_u32_e64 v8, v25
	s_cbranch_execz .LBB9_1002
; %bb.992:
	s_mov_b32 s7, 0
	s_mov_b32 s12, exec_lo
	v_cmpx_lt_u32_e64 v9, v24
	s_cbranch_execz .LBB9_1001
; %bb.993:
	s_and_not1_b32 vcc_lo, exec_lo, s26
	s_cbranch_vccnz .LBB9_999
; %bb.994:
	v_mad_nc_u64_u32 v[4:5], v15, s16, s[18:19]
	v_mad_nc_u64_u32 v[6:7], v37, s16, s[18:19]
	s_mov_b32 s15, 0
	s_mov_b64 s[8:9], s[16:17]
                                        ; implicit-def: $sgpr22
                                        ; implicit-def: $sgpr23
                                        ; implicit-def: $sgpr27
                                        ; implicit-def: $sgpr28
	s_delay_alu instid0(VALU_DEP_2) | instskip(NEXT) | instid1(VALU_DEP_2)
	v_mad_u32 v5, v14, s16, v5
	v_mad_u32 v7, v16, s16, v7
	s_delay_alu instid0(VALU_DEP_2) | instskip(NEXT) | instid1(VALU_DEP_2)
	v_mad_u32 v5, v15, s17, v5
	v_mad_u32 v7, v37, s17, v7
	s_branch .LBB9_996
.LBB9_995:                              ;   in Loop: Header=BB9_996 Depth=1
	s_or_b32 exec_lo, exec_lo, s29
	s_delay_alu instid0(SALU_CYCLE_1) | instskip(NEXT) | instid1(SALU_CYCLE_1)
	s_and_b32 s29, exec_lo, s23
	s_or_b32 s15, s29, s15
	s_and_not1_b32 s28, s28, exec_lo
	s_and_b32 s7, s7, exec_lo
	s_and_not1_b32 s22, s22, exec_lo
	s_and_b32 s29, s27, exec_lo
	s_or_b32 s28, s28, s7
	s_or_b32 s22, s22, s29
	s_and_not1_b32 exec_lo, exec_lo, s15
	s_cbranch_execz .LBB9_998
.LBB9_996:                              ; =>This Inner Loop Header: Depth=1
	global_load_u8 v10, v[4:5], off
	global_load_u8 v11, v[6:7], off
	s_and_not1_b32 s27, s27, exec_lo
	s_or_b32 s23, s23, exec_lo
	s_wait_loadcnt 0x1
	v_and_b32_e32 v10, 0xff, v10
	s_wait_loadcnt 0x0
	v_and_b32_e32 v11, 0xff, v11
	s_delay_alu instid0(VALU_DEP_1) | instskip(SKIP_2) | instid1(SALU_CYCLE_1)
	v_cmp_le_u16_e32 vcc_lo, v10, v11
	v_cmp_lt_u16_e64 s7, v10, v11
	s_and_b32 s29, vcc_lo, s28
	s_or_b32 s7, s7, s29
	s_delay_alu instid0(SALU_CYCLE_1) | instskip(NEXT) | instid1(SALU_CYCLE_1)
	s_and_b32 s29, s7, exec_lo
	s_or_b32 s27, s27, s29
	s_mov_b32 s29, exec_lo
	v_cmpx_eq_u16_e64 v10, v11
	s_cbranch_execz .LBB9_995
; %bb.997:                              ;   in Loop: Header=BB9_996 Depth=1
	s_add_nc_u64 s[8:9], s[8:9], -1
	v_add_nc_u64_e32 v[4:5], 1, v[4:5]
	s_cmp_eq_u64 s[8:9], 0
	v_add_nc_u64_e32 v[6:7], 1, v[6:7]
	s_cselect_b32 s28, -1, 0
	s_and_not1_b32 s23, s23, exec_lo
	s_and_b32 s28, s28, exec_lo
	s_and_not1_b32 s27, s27, exec_lo
	s_or_b32 s23, s23, s28
                                        ; implicit-def: $sgpr28
	s_branch .LBB9_995
.LBB9_998:
	s_or_b32 exec_lo, exec_lo, s15
	s_xor_b32 s7, s22, -1
	s_branch .LBB9_1000
.LBB9_999:
	s_mov_b32 s7, -1
.LBB9_1000:
	s_delay_alu instid0(SALU_CYCLE_1)
	s_and_b32 s7, s7, exec_lo
.LBB9_1001:
	s_or_b32 exec_lo, exec_lo, s12
	s_delay_alu instid0(SALU_CYCLE_1)
	s_or_not1_b32 s12, s7, exec_lo
.LBB9_1002:
	s_or_b32 exec_lo, exec_lo, s14
	v_dual_cndmask_b32 v4, v8, v9, s12 :: v_dual_cndmask_b32 v5, v25, v24, s12
	s_mov_b32 s14, exec_lo
	s_delay_alu instid0(VALU_DEP_1) | instskip(NEXT) | instid1(VALU_DEP_1)
	v_add_nc_u32_e32 v6, 1, v4
	v_add_min_u32_e64 v4, v5, -1, v6
	s_delay_alu instid0(VALU_DEP_1)
	v_lshl_add_u32 v4, v4, 3, v33
	ds_load_b64 v[4:5], v4
	s_wait_dscnt 0x0
	v_dual_cndmask_b32 v10, v5, v14, s12 :: v_dual_cndmask_b32 v8, v6, v8, s12
	v_dual_cndmask_b32 v9, v9, v6, s12 :: v_dual_cndmask_b32 v17, v4, v15, s12
	;; [unrolled: 1-line block ×3, first 2 shown]
	s_delay_alu instid0(VALU_DEP_3)
	v_cmpx_lt_u32_e64 v8, v25
	s_cbranch_execz .LBB9_1013
; %bb.1003:
	s_mov_b32 s7, 0
	s_mov_b32 s13, exec_lo
	v_cmpx_lt_u32_e64 v9, v24
	s_cbranch_execz .LBB9_1012
; %bb.1004:
	s_and_not1_b32 vcc_lo, exec_lo, s26
	s_cbranch_vccnz .LBB9_1010
; %bb.1005:
	v_mad_nc_u64_u32 v[4:5], v17, s16, s[18:19]
	v_mad_nc_u64_u32 v[6:7], v38, s16, s[18:19]
	s_mov_b32 s15, 0
	s_mov_b64 s[8:9], s[16:17]
                                        ; implicit-def: $sgpr22
                                        ; implicit-def: $sgpr23
                                        ; implicit-def: $sgpr27
                                        ; implicit-def: $sgpr28
	s_delay_alu instid0(VALU_DEP_2) | instskip(NEXT) | instid1(VALU_DEP_2)
	v_mad_u32 v5, v10, s16, v5
	v_mad_u32 v7, v11, s16, v7
	s_delay_alu instid0(VALU_DEP_2) | instskip(NEXT) | instid1(VALU_DEP_2)
	v_mad_u32 v5, v17, s17, v5
	v_mad_u32 v7, v38, s17, v7
	s_branch .LBB9_1007
.LBB9_1006:                             ;   in Loop: Header=BB9_1007 Depth=1
	s_or_b32 exec_lo, exec_lo, s29
	s_delay_alu instid0(SALU_CYCLE_1) | instskip(NEXT) | instid1(SALU_CYCLE_1)
	s_and_b32 s29, exec_lo, s23
	s_or_b32 s15, s29, s15
	s_and_not1_b32 s28, s28, exec_lo
	s_and_b32 s7, s7, exec_lo
	s_and_not1_b32 s22, s22, exec_lo
	s_and_b32 s29, s27, exec_lo
	s_or_b32 s28, s28, s7
	s_or_b32 s22, s22, s29
	s_and_not1_b32 exec_lo, exec_lo, s15
	s_cbranch_execz .LBB9_1009
.LBB9_1007:                             ; =>This Inner Loop Header: Depth=1
	global_load_u8 v12, v[4:5], off
	global_load_u8 v13, v[6:7], off
	s_and_not1_b32 s27, s27, exec_lo
	s_or_b32 s23, s23, exec_lo
	s_wait_loadcnt 0x1
	v_and_b32_e32 v12, 0xff, v12
	s_wait_loadcnt 0x0
	v_and_b32_e32 v13, 0xff, v13
	s_delay_alu instid0(VALU_DEP_1) | instskip(SKIP_2) | instid1(SALU_CYCLE_1)
	v_cmp_le_u16_e32 vcc_lo, v12, v13
	v_cmp_lt_u16_e64 s7, v12, v13
	s_and_b32 s29, vcc_lo, s28
	s_or_b32 s7, s7, s29
	s_delay_alu instid0(SALU_CYCLE_1) | instskip(NEXT) | instid1(SALU_CYCLE_1)
	s_and_b32 s29, s7, exec_lo
	s_or_b32 s27, s27, s29
	s_mov_b32 s29, exec_lo
	v_cmpx_eq_u16_e64 v12, v13
	s_cbranch_execz .LBB9_1006
; %bb.1008:                             ;   in Loop: Header=BB9_1007 Depth=1
	s_add_nc_u64 s[8:9], s[8:9], -1
	v_add_nc_u64_e32 v[4:5], 1, v[4:5]
	s_cmp_eq_u64 s[8:9], 0
	v_add_nc_u64_e32 v[6:7], 1, v[6:7]
	s_cselect_b32 s28, -1, 0
	s_and_not1_b32 s23, s23, exec_lo
	s_and_b32 s28, s28, exec_lo
	s_and_not1_b32 s27, s27, exec_lo
	s_or_b32 s23, s23, s28
                                        ; implicit-def: $sgpr28
	s_branch .LBB9_1006
.LBB9_1009:
	s_or_b32 exec_lo, exec_lo, s15
	s_xor_b32 s7, s22, -1
	s_branch .LBB9_1011
.LBB9_1010:
	s_mov_b32 s7, -1
.LBB9_1011:
	s_delay_alu instid0(SALU_CYCLE_1)
	s_and_b32 s7, s7, exec_lo
.LBB9_1012:
	s_or_b32 exec_lo, exec_lo, s13
	s_delay_alu instid0(SALU_CYCLE_1)
	s_or_not1_b32 s13, s7, exec_lo
.LBB9_1013:
	s_or_b32 exec_lo, exec_lo, s14
	v_dual_cndmask_b32 v4, v8, v9, s13 :: v_dual_cndmask_b32 v5, v25, v24, s13
	s_mov_b32 s15, -1
	s_mov_b32 s14, -1
	s_mov_b32 s22, exec_lo
	s_delay_alu instid0(VALU_DEP_1) | instskip(NEXT) | instid1(VALU_DEP_1)
	v_add_nc_u32_e32 v6, 1, v4
	v_add_min_u32_e64 v4, v5, -1, v6
	s_delay_alu instid0(VALU_DEP_1)
	v_lshl_add_u32 v4, v4, 3, v33
	ds_load_b64 v[4:5], v4
	s_wait_dscnt 0x0
	v_dual_cndmask_b32 v12, v5, v10, s13 :: v_dual_cndmask_b32 v8, v6, v8, s13
	v_dual_cndmask_b32 v9, v9, v6, s13 :: v_dual_cndmask_b32 v39, v4, v17, s13
	;; [unrolled: 1-line block ×3, first 2 shown]
	s_delay_alu instid0(VALU_DEP_3)
	v_cmpx_lt_u32_e64 v8, v25
	s_cbranch_execz .LBB9_1024
; %bb.1014:
	s_mov_b32 s7, 0
	s_mov_b32 s14, exec_lo
	v_cmpx_lt_u32_e64 v9, v24
	s_cbranch_execz .LBB9_1023
; %bb.1015:
	s_and_not1_b32 vcc_lo, exec_lo, s26
	s_cbranch_vccnz .LBB9_1021
; %bb.1016:
	v_mad_nc_u64_u32 v[4:5], v39, s16, s[18:19]
	v_mad_nc_u64_u32 v[6:7], v40, s16, s[18:19]
	s_mov_b32 s23, 0
	s_mov_b64 s[8:9], s[16:17]
                                        ; implicit-def: $sgpr27
                                        ; implicit-def: $sgpr28
                                        ; implicit-def: $sgpr29
                                        ; implicit-def: $sgpr30
	s_delay_alu instid0(VALU_DEP_2) | instskip(NEXT) | instid1(VALU_DEP_2)
	v_mad_u32 v5, v12, s16, v5
	v_mad_u32 v7, v13, s16, v7
	s_delay_alu instid0(VALU_DEP_2) | instskip(NEXT) | instid1(VALU_DEP_2)
	v_mad_u32 v5, v39, s17, v5
	v_mad_u32 v7, v40, s17, v7
	s_branch .LBB9_1018
.LBB9_1017:                             ;   in Loop: Header=BB9_1018 Depth=1
	s_or_b32 exec_lo, exec_lo, s31
	s_delay_alu instid0(SALU_CYCLE_1) | instskip(NEXT) | instid1(SALU_CYCLE_1)
	s_and_b32 s31, exec_lo, s28
	s_or_b32 s23, s31, s23
	s_and_not1_b32 s30, s30, exec_lo
	s_and_b32 s7, s7, exec_lo
	s_and_not1_b32 s27, s27, exec_lo
	s_and_b32 s31, s29, exec_lo
	s_or_b32 s30, s30, s7
	s_or_b32 s27, s27, s31
	s_and_not1_b32 exec_lo, exec_lo, s23
	s_cbranch_execz .LBB9_1020
.LBB9_1018:                             ; =>This Inner Loop Header: Depth=1
	global_load_u8 v22, v[4:5], off
	global_load_u8 v23, v[6:7], off
	s_and_not1_b32 s29, s29, exec_lo
	s_or_b32 s28, s28, exec_lo
	s_wait_loadcnt 0x1
	v_and_b32_e32 v22, 0xff, v22
	s_wait_loadcnt 0x0
	v_and_b32_e32 v23, 0xff, v23
	s_delay_alu instid0(VALU_DEP_1) | instskip(SKIP_2) | instid1(SALU_CYCLE_1)
	v_cmp_le_u16_e32 vcc_lo, v22, v23
	v_cmp_lt_u16_e64 s7, v22, v23
	s_and_b32 s31, vcc_lo, s30
	s_or_b32 s7, s7, s31
	s_delay_alu instid0(SALU_CYCLE_1) | instskip(NEXT) | instid1(SALU_CYCLE_1)
	s_and_b32 s31, s7, exec_lo
	s_or_b32 s29, s29, s31
	s_mov_b32 s31, exec_lo
	v_cmpx_eq_u16_e64 v22, v23
	s_cbranch_execz .LBB9_1017
; %bb.1019:                             ;   in Loop: Header=BB9_1018 Depth=1
	s_add_nc_u64 s[8:9], s[8:9], -1
	v_add_nc_u64_e32 v[4:5], 1, v[4:5]
	s_cmp_eq_u64 s[8:9], 0
	v_add_nc_u64_e32 v[6:7], 1, v[6:7]
	s_cselect_b32 s30, -1, 0
	s_and_not1_b32 s28, s28, exec_lo
	s_and_b32 s30, s30, exec_lo
	s_and_not1_b32 s29, s29, exec_lo
	s_or_b32 s28, s28, s30
                                        ; implicit-def: $sgpr30
	s_branch .LBB9_1017
.LBB9_1020:
	s_or_b32 exec_lo, exec_lo, s23
	s_xor_b32 s7, s27, -1
	s_branch .LBB9_1022
.LBB9_1021:
	s_mov_b32 s7, -1
.LBB9_1022:
	s_delay_alu instid0(SALU_CYCLE_1)
	s_and_b32 s7, s7, exec_lo
.LBB9_1023:
	s_or_b32 exec_lo, exec_lo, s14
	s_delay_alu instid0(SALU_CYCLE_1)
	s_or_not1_b32 s14, s7, exec_lo
.LBB9_1024:
	s_or_b32 exec_lo, exec_lo, s22
	v_dual_cndmask_b32 v4, v8, v9, s14 :: v_dual_cndmask_b32 v5, v25, v24, s14
	s_mov_b32 s22, exec_lo
	s_delay_alu instid0(VALU_DEP_1) | instskip(NEXT) | instid1(VALU_DEP_1)
	v_add_nc_u32_e32 v6, 1, v4
	v_add_min_u32_e64 v4, v5, -1, v6
	s_delay_alu instid0(VALU_DEP_1)
	v_lshl_add_u32 v4, v4, 3, v33
	ds_load_b64 v[4:5], v4
	s_wait_dscnt 0x0
	v_dual_cndmask_b32 v41, v5, v12, s14 :: v_dual_cndmask_b32 v42, v4, v39, s14
	v_dual_cndmask_b32 v8, v6, v8, s14 :: v_dual_cndmask_b32 v9, v9, v6, s14
	;; [unrolled: 1-line block ×3, first 2 shown]
	s_delay_alu instid0(VALU_DEP_2)
	v_cmpx_lt_u32_e64 v8, v25
	s_cbranch_execz .LBB9_1035
; %bb.1025:
	s_mov_b32 s7, 0
	s_mov_b32 s15, exec_lo
	v_cmpx_lt_u32_e64 v9, v24
	s_cbranch_execz .LBB9_1034
; %bb.1026:
	s_and_not1_b32 vcc_lo, exec_lo, s26
	s_cbranch_vccnz .LBB9_1032
; %bb.1027:
	v_mad_nc_u64_u32 v[4:5], v42, s16, s[18:19]
	v_mad_nc_u64_u32 v[6:7], v44, s16, s[18:19]
	s_mov_b32 s23, 0
	s_mov_b64 s[8:9], s[16:17]
                                        ; implicit-def: $sgpr27
                                        ; implicit-def: $sgpr28
                                        ; implicit-def: $sgpr29
                                        ; implicit-def: $sgpr30
	s_delay_alu instid0(VALU_DEP_2) | instskip(NEXT) | instid1(VALU_DEP_2)
	v_mad_u32 v5, v41, s16, v5
	v_mad_u32 v7, v43, s16, v7
	s_delay_alu instid0(VALU_DEP_2) | instskip(NEXT) | instid1(VALU_DEP_2)
	v_mad_u32 v5, v42, s17, v5
	v_mad_u32 v7, v44, s17, v7
	s_branch .LBB9_1029
.LBB9_1028:                             ;   in Loop: Header=BB9_1029 Depth=1
	s_or_b32 exec_lo, exec_lo, s31
	s_delay_alu instid0(SALU_CYCLE_1) | instskip(NEXT) | instid1(SALU_CYCLE_1)
	s_and_b32 s31, exec_lo, s28
	s_or_b32 s23, s31, s23
	s_and_not1_b32 s30, s30, exec_lo
	s_and_b32 s7, s7, exec_lo
	s_and_not1_b32 s27, s27, exec_lo
	s_and_b32 s31, s29, exec_lo
	s_or_b32 s30, s30, s7
	s_or_b32 s27, s27, s31
	s_and_not1_b32 exec_lo, exec_lo, s23
	s_cbranch_execz .LBB9_1031
.LBB9_1029:                             ; =>This Inner Loop Header: Depth=1
	global_load_u8 v22, v[4:5], off
	global_load_u8 v23, v[6:7], off
	s_and_not1_b32 s29, s29, exec_lo
	s_or_b32 s28, s28, exec_lo
	s_wait_loadcnt 0x1
	v_and_b32_e32 v22, 0xff, v22
	s_wait_loadcnt 0x0
	v_and_b32_e32 v23, 0xff, v23
	s_delay_alu instid0(VALU_DEP_1) | instskip(SKIP_2) | instid1(SALU_CYCLE_1)
	v_cmp_le_u16_e32 vcc_lo, v22, v23
	v_cmp_lt_u16_e64 s7, v22, v23
	s_and_b32 s31, vcc_lo, s30
	s_or_b32 s7, s7, s31
	s_delay_alu instid0(SALU_CYCLE_1) | instskip(NEXT) | instid1(SALU_CYCLE_1)
	s_and_b32 s31, s7, exec_lo
	s_or_b32 s29, s29, s31
	s_mov_b32 s31, exec_lo
	v_cmpx_eq_u16_e64 v22, v23
	s_cbranch_execz .LBB9_1028
; %bb.1030:                             ;   in Loop: Header=BB9_1029 Depth=1
	s_add_nc_u64 s[8:9], s[8:9], -1
	v_add_nc_u64_e32 v[4:5], 1, v[4:5]
	s_cmp_eq_u64 s[8:9], 0
	v_add_nc_u64_e32 v[6:7], 1, v[6:7]
	s_cselect_b32 s30, -1, 0
	s_and_not1_b32 s28, s28, exec_lo
	s_and_b32 s30, s30, exec_lo
	s_and_not1_b32 s29, s29, exec_lo
	s_or_b32 s28, s28, s30
                                        ; implicit-def: $sgpr30
	s_branch .LBB9_1028
.LBB9_1031:
	s_or_b32 exec_lo, exec_lo, s23
	s_xor_b32 s7, s27, -1
	s_branch .LBB9_1033
.LBB9_1032:
	s_mov_b32 s7, -1
.LBB9_1033:
	s_delay_alu instid0(SALU_CYCLE_1)
	s_and_b32 s7, s7, exec_lo
.LBB9_1034:
	s_or_b32 exec_lo, exec_lo, s15
	s_delay_alu instid0(SALU_CYCLE_1)
	s_or_not1_b32 s15, s7, exec_lo
.LBB9_1035:
	s_or_b32 exec_lo, exec_lo, s22
	v_dual_cndmask_b32 v4, v8, v9, s15 :: v_dual_cndmask_b32 v5, v25, v24, s15
	s_mov_b32 s22, -1
	s_mov_b32 s23, -1
	s_mov_b32 s27, exec_lo
	s_delay_alu instid0(VALU_DEP_1) | instskip(NEXT) | instid1(VALU_DEP_1)
	v_add_nc_u32_e32 v6, 1, v4
	v_add_min_u32_e64 v4, v5, -1, v6
	v_cndmask_b32_e64 v22, v6, v8, s15
	s_delay_alu instid0(VALU_DEP_2)
	v_lshl_add_u32 v4, v4, 3, v33
	ds_load_b64 v[4:5], v4
	s_wait_dscnt 0x0
	v_cndmask_b32_e64 v8, v5, v41, s15
	v_cndmask_b32_e64 v23, v9, v6, s15
	v_dual_cndmask_b32 v45, v4, v42, s15 :: v_dual_cndmask_b32 v9, v43, v5, s15
	v_cndmask_b32_e64 v46, v44, v4, s15
	v_cmpx_lt_u32_e64 v22, v25
	s_cbranch_execz .LBB9_1046
; %bb.1036:
	s_mov_b32 s7, 0
	s_mov_b32 s23, exec_lo
	v_cmpx_lt_u32_e64 v23, v24
	s_cbranch_execz .LBB9_1045
; %bb.1037:
	s_and_not1_b32 vcc_lo, exec_lo, s26
	s_cbranch_vccnz .LBB9_1043
; %bb.1038:
	v_mad_nc_u64_u32 v[4:5], v45, s16, s[18:19]
	v_mad_nc_u64_u32 v[6:7], v46, s16, s[18:19]
	s_mov_b32 s28, 0
	s_mov_b64 s[8:9], s[16:17]
                                        ; implicit-def: $sgpr29
                                        ; implicit-def: $sgpr30
                                        ; implicit-def: $sgpr31
                                        ; implicit-def: $sgpr33
	s_delay_alu instid0(VALU_DEP_2) | instskip(NEXT) | instid1(VALU_DEP_2)
	v_mad_u32 v5, v8, s16, v5
	v_mad_u32 v7, v9, s16, v7
	s_delay_alu instid0(VALU_DEP_2) | instskip(NEXT) | instid1(VALU_DEP_2)
	v_mad_u32 v5, v45, s17, v5
	v_mad_u32 v7, v46, s17, v7
	s_branch .LBB9_1040
.LBB9_1039:                             ;   in Loop: Header=BB9_1040 Depth=1
	s_or_b32 exec_lo, exec_lo, s34
	s_delay_alu instid0(SALU_CYCLE_1) | instskip(NEXT) | instid1(SALU_CYCLE_1)
	s_and_b32 s34, exec_lo, s30
	s_or_b32 s28, s34, s28
	s_and_not1_b32 s33, s33, exec_lo
	s_and_b32 s7, s7, exec_lo
	s_and_not1_b32 s29, s29, exec_lo
	s_and_b32 s34, s31, exec_lo
	s_or_b32 s33, s33, s7
	s_or_b32 s29, s29, s34
	s_and_not1_b32 exec_lo, exec_lo, s28
	s_cbranch_execz .LBB9_1042
.LBB9_1040:                             ; =>This Inner Loop Header: Depth=1
	global_load_u8 v47, v[4:5], off
	global_load_u8 v48, v[6:7], off
	s_and_not1_b32 s31, s31, exec_lo
	s_or_b32 s30, s30, exec_lo
	s_wait_loadcnt 0x1
	v_and_b32_e32 v47, 0xff, v47
	s_wait_loadcnt 0x0
	v_and_b32_e32 v48, 0xff, v48
	s_delay_alu instid0(VALU_DEP_1) | instskip(SKIP_2) | instid1(SALU_CYCLE_1)
	v_cmp_le_u16_e32 vcc_lo, v47, v48
	v_cmp_lt_u16_e64 s7, v47, v48
	s_and_b32 s34, vcc_lo, s33
	s_or_b32 s7, s7, s34
	s_delay_alu instid0(SALU_CYCLE_1) | instskip(NEXT) | instid1(SALU_CYCLE_1)
	s_and_b32 s34, s7, exec_lo
	s_or_b32 s31, s31, s34
	s_mov_b32 s34, exec_lo
	v_cmpx_eq_u16_e64 v47, v48
	s_cbranch_execz .LBB9_1039
; %bb.1041:                             ;   in Loop: Header=BB9_1040 Depth=1
	s_add_nc_u64 s[8:9], s[8:9], -1
	v_add_nc_u64_e32 v[4:5], 1, v[4:5]
	s_cmp_eq_u64 s[8:9], 0
	v_add_nc_u64_e32 v[6:7], 1, v[6:7]
	s_cselect_b32 s33, -1, 0
	s_and_not1_b32 s30, s30, exec_lo
	s_and_b32 s33, s33, exec_lo
	s_and_not1_b32 s31, s31, exec_lo
	s_or_b32 s30, s30, s33
                                        ; implicit-def: $sgpr33
	s_branch .LBB9_1039
.LBB9_1042:
	s_or_b32 exec_lo, exec_lo, s28
	s_xor_b32 s7, s29, -1
	s_branch .LBB9_1044
.LBB9_1043:
	s_mov_b32 s7, -1
.LBB9_1044:
	s_delay_alu instid0(SALU_CYCLE_1)
	s_and_b32 s7, s7, exec_lo
.LBB9_1045:
	s_or_b32 exec_lo, exec_lo, s23
	s_delay_alu instid0(SALU_CYCLE_1)
	s_or_not1_b32 s23, s7, exec_lo
.LBB9_1046:
	s_or_b32 exec_lo, exec_lo, s27
	v_dual_cndmask_b32 v4, v22, v23, s23 :: v_dual_cndmask_b32 v5, v25, v24, s23
	s_mov_b32 s27, exec_lo
	s_delay_alu instid0(VALU_DEP_1) | instskip(NEXT) | instid1(VALU_DEP_1)
	v_add_nc_u32_e32 v6, 1, v4
	v_add_min_u32_e64 v4, v5, -1, v6
	s_delay_alu instid0(VALU_DEP_1)
	v_lshl_add_u32 v4, v4, 3, v33
	ds_load_b64 v[4:5], v4
	s_wait_dscnt 0x0
	v_dual_cndmask_b32 v48, v5, v8, s23 :: v_dual_cndmask_b32 v49, v4, v45, s23
	v_cndmask_b32_e64 v50, v6, v22, s23
	v_dual_cndmask_b32 v47, v23, v6, s23 :: v_dual_cndmask_b32 v51, v9, v5, s23
	v_cndmask_b32_e64 v52, v46, v4, s23
	s_delay_alu instid0(VALU_DEP_3)
	v_cmpx_lt_u32_e64 v50, v25
	s_cbranch_execz .LBB9_1057
; %bb.1047:
	s_mov_b32 s7, 0
	s_mov_b32 s22, exec_lo
	v_cmpx_lt_u32_e64 v47, v24
	s_cbranch_execz .LBB9_1056
; %bb.1048:
	s_and_not1_b32 vcc_lo, exec_lo, s26
	s_cbranch_vccnz .LBB9_1054
; %bb.1049:
	v_mad_nc_u64_u32 v[4:5], v49, s16, s[18:19]
	v_mad_nc_u64_u32 v[6:7], v52, s16, s[18:19]
	s_mov_b32 s28, 0
	s_mov_b64 s[8:9], s[16:17]
                                        ; implicit-def: $sgpr29
                                        ; implicit-def: $sgpr30
                                        ; implicit-def: $sgpr31
                                        ; implicit-def: $sgpr33
	s_delay_alu instid0(VALU_DEP_2) | instskip(NEXT) | instid1(VALU_DEP_2)
	v_mad_u32 v5, v48, s16, v5
	v_mad_u32 v7, v51, s16, v7
	s_delay_alu instid0(VALU_DEP_2) | instskip(NEXT) | instid1(VALU_DEP_2)
	v_mad_u32 v5, v49, s17, v5
	v_mad_u32 v7, v52, s17, v7
	s_branch .LBB9_1051
.LBB9_1050:                             ;   in Loop: Header=BB9_1051 Depth=1
	s_or_b32 exec_lo, exec_lo, s34
	s_delay_alu instid0(SALU_CYCLE_1) | instskip(NEXT) | instid1(SALU_CYCLE_1)
	s_and_b32 s34, exec_lo, s30
	s_or_b32 s28, s34, s28
	s_and_not1_b32 s33, s33, exec_lo
	s_and_b32 s7, s7, exec_lo
	s_and_not1_b32 s29, s29, exec_lo
	s_and_b32 s34, s31, exec_lo
	s_or_b32 s33, s33, s7
	s_or_b32 s29, s29, s34
	s_and_not1_b32 exec_lo, exec_lo, s28
	s_cbranch_execz .LBB9_1053
.LBB9_1051:                             ; =>This Inner Loop Header: Depth=1
	global_load_u8 v22, v[4:5], off
	global_load_u8 v23, v[6:7], off
	s_and_not1_b32 s31, s31, exec_lo
	s_or_b32 s30, s30, exec_lo
	s_wait_loadcnt 0x1
	v_and_b32_e32 v22, 0xff, v22
	s_wait_loadcnt 0x0
	v_and_b32_e32 v23, 0xff, v23
	s_delay_alu instid0(VALU_DEP_1) | instskip(SKIP_2) | instid1(SALU_CYCLE_1)
	v_cmp_le_u16_e32 vcc_lo, v22, v23
	v_cmp_lt_u16_e64 s7, v22, v23
	s_and_b32 s34, vcc_lo, s33
	s_or_b32 s7, s7, s34
	s_delay_alu instid0(SALU_CYCLE_1) | instskip(NEXT) | instid1(SALU_CYCLE_1)
	s_and_b32 s34, s7, exec_lo
	s_or_b32 s31, s31, s34
	s_mov_b32 s34, exec_lo
	v_cmpx_eq_u16_e64 v22, v23
	s_cbranch_execz .LBB9_1050
; %bb.1052:                             ;   in Loop: Header=BB9_1051 Depth=1
	s_add_nc_u64 s[8:9], s[8:9], -1
	v_add_nc_u64_e32 v[4:5], 1, v[4:5]
	s_cmp_eq_u64 s[8:9], 0
	v_add_nc_u64_e32 v[6:7], 1, v[6:7]
	s_cselect_b32 s33, -1, 0
	s_and_not1_b32 s30, s30, exec_lo
	s_and_b32 s33, s33, exec_lo
	s_and_not1_b32 s31, s31, exec_lo
	s_or_b32 s30, s30, s33
                                        ; implicit-def: $sgpr33
	s_branch .LBB9_1050
.LBB9_1053:
	s_or_b32 exec_lo, exec_lo, s28
	s_xor_b32 s7, s29, -1
	s_branch .LBB9_1055
.LBB9_1054:
	s_mov_b32 s7, -1
.LBB9_1055:
	s_delay_alu instid0(SALU_CYCLE_1)
	s_and_b32 s7, s7, exec_lo
.LBB9_1056:
	s_or_b32 exec_lo, exec_lo, s22
	s_delay_alu instid0(SALU_CYCLE_1)
	s_or_not1_b32 s22, s7, exec_lo
.LBB9_1057:
	s_or_b32 exec_lo, exec_lo, s27
	v_dual_cndmask_b32 v4, v50, v47, s22 :: v_dual_cndmask_b32 v5, v25, v24, s22
	v_dual_cndmask_b32 v7, v41, v43, s15 :: v_dual_cndmask_b32 v13, v12, v13, s14
	;; [unrolled: 1-line block ×3, first 2 shown]
	s_delay_alu instid0(VALU_DEP_3) | instskip(SKIP_2) | instid1(VALU_DEP_3)
	v_dual_add_nc_u32 v53, 1, v4 :: v_dual_cndmask_b32 v9, v8, v9, s23
	v_dual_cndmask_b32 v8, v45, v46, s23 :: v_dual_cndmask_b32 v6, v42, v44, s15
	v_dual_cndmask_b32 v10, v17, v38, s13 :: v_dual_cndmask_b32 v17, v14, v16, s12
	v_add_min_u32_e64 v4, v5, -1, v53
	v_dual_cndmask_b32 v16, v15, v37, s12 :: v_dual_cndmask_b32 v14, v2, v0, s11
	v_dual_cndmask_b32 v15, v3, v1, s11 :: v_dual_cndmask_b32 v0, v53, v50, s22
	s_delay_alu instid0(VALU_DEP_3)
	v_lshl_add_u32 v4, v4, 3, v33
	v_dual_cndmask_b32 v3, v48, v51, s22 :: v_dual_cndmask_b32 v2, v49, v52, s22
	s_mov_b32 s11, exec_lo
	ds_load_b64 v[22:23], v4
	s_wait_dscnt 0x0
	v_dual_cndmask_b32 v5, v51, v23, s22 :: v_dual_cndmask_b32 v4, v52, v22, s22
	v_cmpx_lt_u32_e64 v0, v25
	s_cbranch_execz .LBB9_1067
; %bb.1058:
	v_cndmask_b32_e64 v25, v47, v53, s22
	v_dual_cndmask_b32 v1, v23, v48, s22 :: v_dual_cndmask_b32 v0, v22, v49, s22
	s_mov_b32 s12, exec_lo
	s_delay_alu instid0(VALU_DEP_2)
	v_cmpx_lt_u32_e64 v25, v24
	s_cbranch_execz .LBB9_1066
; %bb.1059:
	s_and_not1_b32 vcc_lo, exec_lo, s26
	s_cbranch_vccnz .LBB9_1065
; %bb.1060:
	v_mad_nc_u64_u32 v[22:23], v0, s16, s[18:19]
	v_mad_nc_u64_u32 v[24:25], v4, s16, s[18:19]
	s_mov_b32 s13, 0
	s_mov_b64 s[8:9], s[16:17]
                                        ; implicit-def: $sgpr14
                                        ; implicit-def: $sgpr15
                                        ; implicit-def: $sgpr22
                                        ; implicit-def: $sgpr23
	s_delay_alu instid0(VALU_DEP_2) | instskip(NEXT) | instid1(VALU_DEP_2)
	v_mad_u32 v23, v1, s16, v23
	v_mad_u32 v25, v5, s16, v25
	s_delay_alu instid0(VALU_DEP_2) | instskip(NEXT) | instid1(VALU_DEP_2)
	v_mad_u32 v23, v0, s17, v23
	v_mad_u32 v25, v4, s17, v25
	s_branch .LBB9_1062
.LBB9_1061:                             ;   in Loop: Header=BB9_1062 Depth=1
	s_or_b32 exec_lo, exec_lo, s27
	s_delay_alu instid0(SALU_CYCLE_1) | instskip(NEXT) | instid1(SALU_CYCLE_1)
	s_and_b32 s27, exec_lo, s15
	s_or_b32 s13, s27, s13
	s_and_not1_b32 s23, s23, exec_lo
	s_and_b32 s7, s7, exec_lo
	s_and_not1_b32 s14, s14, exec_lo
	s_and_b32 s27, s22, exec_lo
	s_or_b32 s23, s23, s7
	s_or_b32 s14, s14, s27
	s_and_not1_b32 exec_lo, exec_lo, s13
	s_cbranch_execz .LBB9_1064
.LBB9_1062:                             ; =>This Inner Loop Header: Depth=1
	global_load_u8 v37, v[22:23], off
	global_load_u8 v38, v[24:25], off
	s_and_not1_b32 s22, s22, exec_lo
	s_or_b32 s15, s15, exec_lo
	s_wait_loadcnt 0x1
	v_and_b32_e32 v37, 0xff, v37
	s_wait_loadcnt 0x0
	v_and_b32_e32 v38, 0xff, v38
	s_delay_alu instid0(VALU_DEP_1) | instskip(SKIP_2) | instid1(SALU_CYCLE_1)
	v_cmp_le_u16_e32 vcc_lo, v37, v38
	v_cmp_lt_u16_e64 s7, v37, v38
	s_and_b32 s27, vcc_lo, s23
	s_or_b32 s7, s7, s27
	s_delay_alu instid0(SALU_CYCLE_1) | instskip(NEXT) | instid1(SALU_CYCLE_1)
	s_and_b32 s27, s7, exec_lo
	s_or_b32 s22, s22, s27
	s_mov_b32 s27, exec_lo
	v_cmpx_eq_u16_e64 v37, v38
	s_cbranch_execz .LBB9_1061
; %bb.1063:                             ;   in Loop: Header=BB9_1062 Depth=1
	s_add_nc_u64 s[8:9], s[8:9], -1
	v_add_nc_u64_e32 v[22:23], 1, v[22:23]
	s_cmp_eq_u64 s[8:9], 0
	v_add_nc_u64_e32 v[24:25], 1, v[24:25]
	s_cselect_b32 s23, -1, 0
	s_and_not1_b32 s15, s15, exec_lo
	s_and_b32 s23, s23, exec_lo
	s_and_not1_b32 s22, s22, exec_lo
	s_or_b32 s15, s15, s23
                                        ; implicit-def: $sgpr23
	s_branch .LBB9_1061
.LBB9_1064:
	s_or_b32 exec_lo, exec_lo, s13
	v_dual_cndmask_b32 v5, v5, v1, s14 :: v_dual_cndmask_b32 v4, v4, v0, s14
.LBB9_1065:
	s_delay_alu instid0(VALU_DEP_1)
	v_mov_b64_e32 v[0:1], v[4:5]
.LBB9_1066:
	s_or_b32 exec_lo, exec_lo, s12
	s_delay_alu instid0(VALU_DEP_1)
	v_mov_b64_e32 v[4:5], v[0:1]
.LBB9_1067:
	s_or_b32 exec_lo, exec_lo, s11
.LBB9_1068:
	s_delay_alu instid0(SALU_CYCLE_1)
	s_or_b32 exec_lo, exec_lo, s10
	v_and_b32_e32 v39, 0xe0, v35
	s_mov_b32 s10, exec_lo
	; wave barrier
	ds_store_b128 v36, v[14:17]
	ds_store_b128 v36, v[10:13] offset:16
	v_or_b32_e32 v0, 16, v39
	v_lshl_add_u32 v38, v39, 3, v33
	ds_store_b128 v36, v[6:9] offset:32
	ds_store_b128 v36, v[2:5] offset:48
	; wave barrier
	v_min_u32_e32 v24, v34, v0
	v_and_b32_e32 v0, 24, v35
	s_delay_alu instid0(VALU_DEP_2) | instskip(NEXT) | instid1(VALU_DEP_2)
	v_add_min_u32_e64 v25, v24, 16, v34
	v_min_u32_e32 v40, v34, v0
	s_delay_alu instid0(VALU_DEP_2) | instskip(NEXT) | instid1(VALU_DEP_1)
	v_dual_sub_nc_u32 v1, v24, v39 :: v_dual_sub_nc_u32 v0, v25, v24
	v_min_u32_e32 v41, v40, v1
	s_delay_alu instid0(VALU_DEP_2) | instskip(NEXT) | instid1(VALU_DEP_1)
	v_sub_nc_u32_e64 v37, v40, v0 clamp
	v_cmpx_lt_u32_e64 v37, v41
	s_cbranch_execz .LBB9_1078
; %bb.1069:
	v_lshlrev_b32_e32 v0, 3, v24
	v_lshlrev_b32_e32 v1, 3, v40
	s_mov_b32 s11, 0
	s_delay_alu instid0(VALU_DEP_1)
	v_add3_u32 v42, v33, v0, v1
	s_branch .LBB9_1072
.LBB9_1070:                             ;   in Loop: Header=BB9_1072 Depth=1
	s_or_b32 exec_lo, exec_lo, s13
.LBB9_1071:                             ;   in Loop: Header=BB9_1072 Depth=1
	s_delay_alu instid0(VALU_DEP_1) | instskip(NEXT) | instid1(VALU_DEP_1)
	v_dual_add_nc_u32 v0, 1, v43 :: v_dual_cndmask_b32 v41, v41, v43, s12
	v_cndmask_b32_e64 v37, v0, v37, s12
	s_delay_alu instid0(VALU_DEP_1) | instskip(SKIP_1) | instid1(SALU_CYCLE_1)
	v_cmp_ge_u32_e32 vcc_lo, v37, v41
	s_or_b32 s11, vcc_lo, s11
	s_and_not1_b32 exec_lo, exec_lo, s11
	s_cbranch_execz .LBB9_1077
.LBB9_1072:                             ; =>This Loop Header: Depth=1
                                        ;     Child Loop BB9_1075 Depth 2
	v_add_nc_u32_e32 v0, v41, v37
	s_and_not1_b32 vcc_lo, exec_lo, s26
	s_mov_b32 s12, 0
	s_delay_alu instid0(VALU_DEP_1)
	v_lshrrev_b32_e32 v43, 1, v0
	s_cbranch_vccnz .LBB9_1071
; %bb.1073:                             ;   in Loop: Header=BB9_1072 Depth=1
	s_delay_alu instid0(VALU_DEP_1) | instskip(SKIP_3) | instid1(VALU_DEP_2)
	v_not_b32_e32 v0, v43
	v_lshl_add_u32 v1, v43, 3, v38
	s_mov_b32 s13, 0
	s_mov_b64 s[8:9], s[16:17]
                                        ; implicit-def: $sgpr12
                                        ; implicit-def: $sgpr14
                                        ; implicit-def: $sgpr15
                                        ; implicit-def: $sgpr22
	v_lshl_add_u32 v0, v0, 3, v42
	ds_load_b64 v[44:45], v0
	ds_load_b64 v[46:47], v1
	s_wait_dscnt 0x1
	v_mad_nc_u64_u32 v[0:1], v44, s16, s[18:19]
	s_wait_dscnt 0x0
	v_mad_nc_u64_u32 v[22:23], v46, s16, s[18:19]
	s_delay_alu instid0(VALU_DEP_2) | instskip(NEXT) | instid1(VALU_DEP_2)
	v_mad_u32 v1, v45, s16, v1
	v_mad_u32 v23, v47, s16, v23
	s_delay_alu instid0(VALU_DEP_2) | instskip(NEXT) | instid1(VALU_DEP_2)
	v_mad_u32 v1, v44, s17, v1
	v_mad_u32 v23, v46, s17, v23
	s_branch .LBB9_1075
.LBB9_1074:                             ;   in Loop: Header=BB9_1075 Depth=2
	s_or_b32 exec_lo, exec_lo, s23
	s_delay_alu instid0(SALU_CYCLE_1) | instskip(NEXT) | instid1(SALU_CYCLE_1)
	s_and_b32 s23, exec_lo, s14
	s_or_b32 s13, s23, s13
	s_and_not1_b32 s22, s22, exec_lo
	s_and_b32 s7, s7, exec_lo
	s_and_not1_b32 s12, s12, exec_lo
	s_and_b32 s23, s15, exec_lo
	s_or_b32 s22, s22, s7
	s_or_b32 s12, s12, s23
	s_and_not1_b32 exec_lo, exec_lo, s13
	s_cbranch_execz .LBB9_1070
.LBB9_1075:                             ;   Parent Loop BB9_1072 Depth=1
                                        ; =>  This Inner Loop Header: Depth=2
	global_load_u8 v44, v[0:1], off
	global_load_u8 v45, v[22:23], off
	s_and_not1_b32 s15, s15, exec_lo
	s_or_b32 s14, s14, exec_lo
	s_wait_loadcnt 0x1
	v_and_b32_e32 v44, 0xff, v44
	s_wait_loadcnt 0x0
	v_and_b32_e32 v45, 0xff, v45
	s_delay_alu instid0(VALU_DEP_1) | instskip(SKIP_2) | instid1(SALU_CYCLE_1)
	v_cmp_le_u16_e32 vcc_lo, v44, v45
	v_cmp_lt_u16_e64 s7, v44, v45
	s_and_b32 s23, vcc_lo, s22
	s_or_b32 s7, s7, s23
	s_delay_alu instid0(SALU_CYCLE_1) | instskip(NEXT) | instid1(SALU_CYCLE_1)
	s_and_b32 s23, s7, exec_lo
	s_or_b32 s15, s15, s23
	s_mov_b32 s23, exec_lo
	v_cmpx_eq_u16_e64 v44, v45
	s_cbranch_execz .LBB9_1074
; %bb.1076:                             ;   in Loop: Header=BB9_1075 Depth=2
	s_add_nc_u64 s[8:9], s[8:9], -1
	v_add_nc_u64_e32 v[0:1], 1, v[0:1]
	s_cmp_eq_u64 s[8:9], 0
	v_add_nc_u64_e32 v[22:23], 1, v[22:23]
	s_cselect_b32 s22, -1, 0
	s_and_not1_b32 s14, s14, exec_lo
	s_and_b32 s22, s22, exec_lo
	s_and_not1_b32 s15, s15, exec_lo
	s_or_b32 s14, s14, s22
                                        ; implicit-def: $sgpr22
	s_branch .LBB9_1074
.LBB9_1077:
	s_or_b32 exec_lo, exec_lo, s11
.LBB9_1078:
	s_delay_alu instid0(SALU_CYCLE_1) | instskip(SKIP_1) | instid1(VALU_DEP_1)
	s_or_b32 exec_lo, exec_lo, s10
	v_dual_add_nc_u32 v0, v24, v40 :: v_dual_add_nc_u32 v22, v37, v39
	v_sub_nc_u32_e32 v23, v0, v37
	s_delay_alu instid0(VALU_DEP_2) | instskip(NEXT) | instid1(VALU_DEP_2)
	v_cmp_le_u32_e32 vcc_lo, v22, v24
	v_cmp_le_u32_e64 s7, v23, v25
	s_or_b32 s7, vcc_lo, s7
	s_delay_alu instid0(SALU_CYCLE_1)
	s_and_saveexec_b32 s10, s7
	s_cbranch_execz .LBB9_1169
; %bb.1079:
	s_mov_b32 s8, exec_lo
	v_cmp_ge_u32_e32 vcc_lo, v22, v24
                                        ; implicit-def: $vgpr0_vgpr1
	v_cmpx_lt_u32_e64 v22, v24
; %bb.1080:
	v_lshl_add_u32 v0, v37, 3, v38
	ds_load_b64 v[0:1], v0
; %bb.1081:
	s_or_b32 exec_lo, exec_lo, s8
	v_cmp_ge_u32_e64 s11, v23, v25
	s_mov_b32 s8, exec_lo
                                        ; implicit-def: $vgpr2_vgpr3
	v_cmpx_lt_u32_e64 v23, v25
; %bb.1082:
	v_lshl_add_u32 v2, v23, 3, v33
	ds_load_b64 v[2:3], v2
; %bb.1083:
	s_or_b32 exec_lo, exec_lo, s8
	s_nor_b32 s7, vcc_lo, s11
	s_delay_alu instid0(SALU_CYCLE_1)
	s_and_saveexec_b32 s12, s7
	s_cbranch_execz .LBB9_1092
; %bb.1084:
	s_and_not1_b32 vcc_lo, exec_lo, s26
	s_cbranch_vccnz .LBB9_1090
; %bb.1085:
	s_wait_dscnt 0x0
	v_mad_nc_u64_u32 v[4:5], v2, s16, s[18:19]
	v_mad_nc_u64_u32 v[6:7], v0, s16, s[18:19]
	s_mov_b32 s13, 0
	s_mov_b64 s[8:9], s[16:17]
                                        ; implicit-def: $sgpr14
                                        ; implicit-def: $sgpr15
                                        ; implicit-def: $sgpr22
                                        ; implicit-def: $sgpr23
	s_delay_alu instid0(VALU_DEP_2) | instskip(NEXT) | instid1(VALU_DEP_2)
	v_mad_u32 v5, v3, s16, v5
	v_mad_u32 v7, v1, s16, v7
	s_delay_alu instid0(VALU_DEP_2) | instskip(NEXT) | instid1(VALU_DEP_2)
	v_mad_u32 v5, v2, s17, v5
	v_mad_u32 v7, v0, s17, v7
	s_branch .LBB9_1087
.LBB9_1086:                             ;   in Loop: Header=BB9_1087 Depth=1
	s_or_b32 exec_lo, exec_lo, s27
	s_delay_alu instid0(SALU_CYCLE_1) | instskip(NEXT) | instid1(SALU_CYCLE_1)
	s_and_b32 s27, exec_lo, s15
	s_or_b32 s13, s27, s13
	s_and_not1_b32 s23, s23, exec_lo
	s_and_b32 s7, s7, exec_lo
	s_and_not1_b32 s14, s14, exec_lo
	s_and_b32 s27, s22, exec_lo
	s_or_b32 s23, s23, s7
	s_or_b32 s14, s14, s27
	s_and_not1_b32 exec_lo, exec_lo, s13
	s_cbranch_execz .LBB9_1089
.LBB9_1087:                             ; =>This Inner Loop Header: Depth=1
	global_load_u8 v8, v[4:5], off
	global_load_u8 v9, v[6:7], off
	s_and_not1_b32 s22, s22, exec_lo
	s_or_b32 s15, s15, exec_lo
	s_wait_loadcnt 0x1
	v_and_b32_e32 v8, 0xff, v8
	s_wait_loadcnt 0x0
	v_and_b32_e32 v9, 0xff, v9
	s_delay_alu instid0(VALU_DEP_1) | instskip(SKIP_2) | instid1(SALU_CYCLE_1)
	v_cmp_le_u16_e32 vcc_lo, v8, v9
	v_cmp_lt_u16_e64 s7, v8, v9
	s_and_b32 s27, vcc_lo, s23
	s_or_b32 s7, s7, s27
	s_delay_alu instid0(SALU_CYCLE_1) | instskip(NEXT) | instid1(SALU_CYCLE_1)
	s_and_b32 s27, s7, exec_lo
	s_or_b32 s22, s22, s27
	s_mov_b32 s27, exec_lo
	v_cmpx_eq_u16_e64 v8, v9
	s_cbranch_execz .LBB9_1086
; %bb.1088:                             ;   in Loop: Header=BB9_1087 Depth=1
	s_add_nc_u64 s[8:9], s[8:9], -1
	v_add_nc_u64_e32 v[4:5], 1, v[4:5]
	s_cmp_eq_u64 s[8:9], 0
	v_add_nc_u64_e32 v[6:7], 1, v[6:7]
	s_cselect_b32 s23, -1, 0
	s_and_not1_b32 s15, s15, exec_lo
	s_and_b32 s23, s23, exec_lo
	s_and_not1_b32 s22, s22, exec_lo
	s_or_b32 s15, s15, s23
                                        ; implicit-def: $sgpr23
	s_branch .LBB9_1086
.LBB9_1089:
	s_or_b32 exec_lo, exec_lo, s13
	s_xor_b32 s7, s14, -1
	s_branch .LBB9_1091
.LBB9_1090:
	s_mov_b32 s7, -1
.LBB9_1091:
	s_and_not1_b32 s8, s11, exec_lo
	s_and_b32 s7, s7, exec_lo
	s_delay_alu instid0(SALU_CYCLE_1)
	s_or_b32 s11, s8, s7
.LBB9_1092:
	s_or_b32 exec_lo, exec_lo, s12
	v_dual_cndmask_b32 v4, v23, v22, s11 :: v_dual_cndmask_b32 v5, v25, v24, s11
	s_mov_b32 s13, -1
	s_mov_b32 s12, -1
	s_mov_b32 s14, exec_lo
	s_delay_alu instid0(VALU_DEP_1) | instskip(NEXT) | instid1(VALU_DEP_1)
	v_add_nc_u32_e32 v6, 1, v4
	v_add_min_u32_e64 v4, v5, -1, v6
	s_delay_alu instid0(VALU_DEP_1)
	v_lshl_add_u32 v4, v4, 3, v33
	ds_load_b64 v[4:5], v4
	s_wait_dscnt 0x0
	v_cndmask_b32_e64 v14, v5, v3, s11
	v_dual_cndmask_b32 v8, v6, v23, s11 :: v_dual_cndmask_b32 v15, v4, v2, s11
	v_dual_cndmask_b32 v9, v22, v6, s11 :: v_dual_cndmask_b32 v16, v1, v5, s11
	v_cndmask_b32_e64 v37, v0, v4, s11
	s_delay_alu instid0(VALU_DEP_3)
	v_cmpx_lt_u32_e64 v8, v25
	s_cbranch_execz .LBB9_1103
; %bb.1093:
	s_mov_b32 s7, 0
	s_mov_b32 s12, exec_lo
	v_cmpx_lt_u32_e64 v9, v24
	s_cbranch_execz .LBB9_1102
; %bb.1094:
	s_and_not1_b32 vcc_lo, exec_lo, s26
	s_cbranch_vccnz .LBB9_1100
; %bb.1095:
	v_mad_nc_u64_u32 v[4:5], v15, s16, s[18:19]
	v_mad_nc_u64_u32 v[6:7], v37, s16, s[18:19]
	s_mov_b32 s15, 0
	s_mov_b64 s[8:9], s[16:17]
                                        ; implicit-def: $sgpr22
                                        ; implicit-def: $sgpr23
                                        ; implicit-def: $sgpr27
                                        ; implicit-def: $sgpr28
	s_delay_alu instid0(VALU_DEP_2) | instskip(NEXT) | instid1(VALU_DEP_2)
	v_mad_u32 v5, v14, s16, v5
	v_mad_u32 v7, v16, s16, v7
	s_delay_alu instid0(VALU_DEP_2) | instskip(NEXT) | instid1(VALU_DEP_2)
	v_mad_u32 v5, v15, s17, v5
	v_mad_u32 v7, v37, s17, v7
	s_branch .LBB9_1097
.LBB9_1096:                             ;   in Loop: Header=BB9_1097 Depth=1
	s_or_b32 exec_lo, exec_lo, s29
	s_delay_alu instid0(SALU_CYCLE_1) | instskip(NEXT) | instid1(SALU_CYCLE_1)
	s_and_b32 s29, exec_lo, s23
	s_or_b32 s15, s29, s15
	s_and_not1_b32 s28, s28, exec_lo
	s_and_b32 s7, s7, exec_lo
	s_and_not1_b32 s22, s22, exec_lo
	s_and_b32 s29, s27, exec_lo
	s_or_b32 s28, s28, s7
	s_or_b32 s22, s22, s29
	s_and_not1_b32 exec_lo, exec_lo, s15
	s_cbranch_execz .LBB9_1099
.LBB9_1097:                             ; =>This Inner Loop Header: Depth=1
	global_load_u8 v10, v[4:5], off
	global_load_u8 v11, v[6:7], off
	s_and_not1_b32 s27, s27, exec_lo
	s_or_b32 s23, s23, exec_lo
	s_wait_loadcnt 0x1
	v_and_b32_e32 v10, 0xff, v10
	s_wait_loadcnt 0x0
	v_and_b32_e32 v11, 0xff, v11
	s_delay_alu instid0(VALU_DEP_1) | instskip(SKIP_2) | instid1(SALU_CYCLE_1)
	v_cmp_le_u16_e32 vcc_lo, v10, v11
	v_cmp_lt_u16_e64 s7, v10, v11
	s_and_b32 s29, vcc_lo, s28
	s_or_b32 s7, s7, s29
	s_delay_alu instid0(SALU_CYCLE_1) | instskip(NEXT) | instid1(SALU_CYCLE_1)
	s_and_b32 s29, s7, exec_lo
	s_or_b32 s27, s27, s29
	s_mov_b32 s29, exec_lo
	v_cmpx_eq_u16_e64 v10, v11
	s_cbranch_execz .LBB9_1096
; %bb.1098:                             ;   in Loop: Header=BB9_1097 Depth=1
	s_add_nc_u64 s[8:9], s[8:9], -1
	v_add_nc_u64_e32 v[4:5], 1, v[4:5]
	s_cmp_eq_u64 s[8:9], 0
	v_add_nc_u64_e32 v[6:7], 1, v[6:7]
	s_cselect_b32 s28, -1, 0
	s_and_not1_b32 s23, s23, exec_lo
	s_and_b32 s28, s28, exec_lo
	s_and_not1_b32 s27, s27, exec_lo
	s_or_b32 s23, s23, s28
                                        ; implicit-def: $sgpr28
	s_branch .LBB9_1096
.LBB9_1099:
	s_or_b32 exec_lo, exec_lo, s15
	s_xor_b32 s7, s22, -1
	s_branch .LBB9_1101
.LBB9_1100:
	s_mov_b32 s7, -1
.LBB9_1101:
	s_delay_alu instid0(SALU_CYCLE_1)
	s_and_b32 s7, s7, exec_lo
.LBB9_1102:
	s_or_b32 exec_lo, exec_lo, s12
	s_delay_alu instid0(SALU_CYCLE_1)
	s_or_not1_b32 s12, s7, exec_lo
.LBB9_1103:
	s_or_b32 exec_lo, exec_lo, s14
	v_dual_cndmask_b32 v4, v8, v9, s12 :: v_dual_cndmask_b32 v5, v25, v24, s12
	s_mov_b32 s14, exec_lo
	s_delay_alu instid0(VALU_DEP_1) | instskip(NEXT) | instid1(VALU_DEP_1)
	v_add_nc_u32_e32 v6, 1, v4
	v_add_min_u32_e64 v4, v5, -1, v6
	s_delay_alu instid0(VALU_DEP_1)
	v_lshl_add_u32 v4, v4, 3, v33
	ds_load_b64 v[4:5], v4
	s_wait_dscnt 0x0
	v_dual_cndmask_b32 v10, v5, v14, s12 :: v_dual_cndmask_b32 v8, v6, v8, s12
	v_dual_cndmask_b32 v9, v9, v6, s12 :: v_dual_cndmask_b32 v17, v4, v15, s12
	;; [unrolled: 1-line block ×3, first 2 shown]
	s_delay_alu instid0(VALU_DEP_3)
	v_cmpx_lt_u32_e64 v8, v25
	s_cbranch_execz .LBB9_1114
; %bb.1104:
	s_mov_b32 s7, 0
	s_mov_b32 s13, exec_lo
	v_cmpx_lt_u32_e64 v9, v24
	s_cbranch_execz .LBB9_1113
; %bb.1105:
	s_and_not1_b32 vcc_lo, exec_lo, s26
	s_cbranch_vccnz .LBB9_1111
; %bb.1106:
	v_mad_nc_u64_u32 v[4:5], v17, s16, s[18:19]
	v_mad_nc_u64_u32 v[6:7], v38, s16, s[18:19]
	s_mov_b32 s15, 0
	s_mov_b64 s[8:9], s[16:17]
                                        ; implicit-def: $sgpr22
                                        ; implicit-def: $sgpr23
                                        ; implicit-def: $sgpr27
                                        ; implicit-def: $sgpr28
	s_delay_alu instid0(VALU_DEP_2) | instskip(NEXT) | instid1(VALU_DEP_2)
	v_mad_u32 v5, v10, s16, v5
	v_mad_u32 v7, v11, s16, v7
	s_delay_alu instid0(VALU_DEP_2) | instskip(NEXT) | instid1(VALU_DEP_2)
	v_mad_u32 v5, v17, s17, v5
	v_mad_u32 v7, v38, s17, v7
	s_branch .LBB9_1108
.LBB9_1107:                             ;   in Loop: Header=BB9_1108 Depth=1
	s_or_b32 exec_lo, exec_lo, s29
	s_delay_alu instid0(SALU_CYCLE_1) | instskip(NEXT) | instid1(SALU_CYCLE_1)
	s_and_b32 s29, exec_lo, s23
	s_or_b32 s15, s29, s15
	s_and_not1_b32 s28, s28, exec_lo
	s_and_b32 s7, s7, exec_lo
	s_and_not1_b32 s22, s22, exec_lo
	s_and_b32 s29, s27, exec_lo
	s_or_b32 s28, s28, s7
	s_or_b32 s22, s22, s29
	s_and_not1_b32 exec_lo, exec_lo, s15
	s_cbranch_execz .LBB9_1110
.LBB9_1108:                             ; =>This Inner Loop Header: Depth=1
	global_load_u8 v12, v[4:5], off
	global_load_u8 v13, v[6:7], off
	s_and_not1_b32 s27, s27, exec_lo
	s_or_b32 s23, s23, exec_lo
	s_wait_loadcnt 0x1
	v_and_b32_e32 v12, 0xff, v12
	s_wait_loadcnt 0x0
	v_and_b32_e32 v13, 0xff, v13
	s_delay_alu instid0(VALU_DEP_1) | instskip(SKIP_2) | instid1(SALU_CYCLE_1)
	v_cmp_le_u16_e32 vcc_lo, v12, v13
	v_cmp_lt_u16_e64 s7, v12, v13
	s_and_b32 s29, vcc_lo, s28
	s_or_b32 s7, s7, s29
	s_delay_alu instid0(SALU_CYCLE_1) | instskip(NEXT) | instid1(SALU_CYCLE_1)
	s_and_b32 s29, s7, exec_lo
	s_or_b32 s27, s27, s29
	s_mov_b32 s29, exec_lo
	v_cmpx_eq_u16_e64 v12, v13
	s_cbranch_execz .LBB9_1107
; %bb.1109:                             ;   in Loop: Header=BB9_1108 Depth=1
	s_add_nc_u64 s[8:9], s[8:9], -1
	v_add_nc_u64_e32 v[4:5], 1, v[4:5]
	s_cmp_eq_u64 s[8:9], 0
	v_add_nc_u64_e32 v[6:7], 1, v[6:7]
	s_cselect_b32 s28, -1, 0
	s_and_not1_b32 s23, s23, exec_lo
	s_and_b32 s28, s28, exec_lo
	s_and_not1_b32 s27, s27, exec_lo
	s_or_b32 s23, s23, s28
                                        ; implicit-def: $sgpr28
	s_branch .LBB9_1107
.LBB9_1110:
	s_or_b32 exec_lo, exec_lo, s15
	s_xor_b32 s7, s22, -1
	s_branch .LBB9_1112
.LBB9_1111:
	s_mov_b32 s7, -1
.LBB9_1112:
	s_delay_alu instid0(SALU_CYCLE_1)
	s_and_b32 s7, s7, exec_lo
.LBB9_1113:
	s_or_b32 exec_lo, exec_lo, s13
	s_delay_alu instid0(SALU_CYCLE_1)
	s_or_not1_b32 s13, s7, exec_lo
.LBB9_1114:
	s_or_b32 exec_lo, exec_lo, s14
	v_dual_cndmask_b32 v4, v8, v9, s13 :: v_dual_cndmask_b32 v5, v25, v24, s13
	s_mov_b32 s15, -1
	s_mov_b32 s14, -1
	s_mov_b32 s22, exec_lo
	s_delay_alu instid0(VALU_DEP_1) | instskip(NEXT) | instid1(VALU_DEP_1)
	v_add_nc_u32_e32 v6, 1, v4
	v_add_min_u32_e64 v4, v5, -1, v6
	s_delay_alu instid0(VALU_DEP_1)
	v_lshl_add_u32 v4, v4, 3, v33
	ds_load_b64 v[4:5], v4
	s_wait_dscnt 0x0
	v_dual_cndmask_b32 v12, v5, v10, s13 :: v_dual_cndmask_b32 v8, v6, v8, s13
	v_dual_cndmask_b32 v9, v9, v6, s13 :: v_dual_cndmask_b32 v39, v4, v17, s13
	;; [unrolled: 1-line block ×3, first 2 shown]
	s_delay_alu instid0(VALU_DEP_3)
	v_cmpx_lt_u32_e64 v8, v25
	s_cbranch_execz .LBB9_1125
; %bb.1115:
	s_mov_b32 s7, 0
	s_mov_b32 s14, exec_lo
	v_cmpx_lt_u32_e64 v9, v24
	s_cbranch_execz .LBB9_1124
; %bb.1116:
	s_and_not1_b32 vcc_lo, exec_lo, s26
	s_cbranch_vccnz .LBB9_1122
; %bb.1117:
	v_mad_nc_u64_u32 v[4:5], v39, s16, s[18:19]
	v_mad_nc_u64_u32 v[6:7], v40, s16, s[18:19]
	s_mov_b32 s23, 0
	s_mov_b64 s[8:9], s[16:17]
                                        ; implicit-def: $sgpr27
                                        ; implicit-def: $sgpr28
                                        ; implicit-def: $sgpr29
                                        ; implicit-def: $sgpr30
	s_delay_alu instid0(VALU_DEP_2) | instskip(NEXT) | instid1(VALU_DEP_2)
	v_mad_u32 v5, v12, s16, v5
	v_mad_u32 v7, v13, s16, v7
	s_delay_alu instid0(VALU_DEP_2) | instskip(NEXT) | instid1(VALU_DEP_2)
	v_mad_u32 v5, v39, s17, v5
	v_mad_u32 v7, v40, s17, v7
	s_branch .LBB9_1119
.LBB9_1118:                             ;   in Loop: Header=BB9_1119 Depth=1
	s_or_b32 exec_lo, exec_lo, s31
	s_delay_alu instid0(SALU_CYCLE_1) | instskip(NEXT) | instid1(SALU_CYCLE_1)
	s_and_b32 s31, exec_lo, s28
	s_or_b32 s23, s31, s23
	s_and_not1_b32 s30, s30, exec_lo
	s_and_b32 s7, s7, exec_lo
	s_and_not1_b32 s27, s27, exec_lo
	s_and_b32 s31, s29, exec_lo
	s_or_b32 s30, s30, s7
	s_or_b32 s27, s27, s31
	s_and_not1_b32 exec_lo, exec_lo, s23
	s_cbranch_execz .LBB9_1121
.LBB9_1119:                             ; =>This Inner Loop Header: Depth=1
	global_load_u8 v22, v[4:5], off
	global_load_u8 v23, v[6:7], off
	s_and_not1_b32 s29, s29, exec_lo
	s_or_b32 s28, s28, exec_lo
	s_wait_loadcnt 0x1
	v_and_b32_e32 v22, 0xff, v22
	s_wait_loadcnt 0x0
	v_and_b32_e32 v23, 0xff, v23
	s_delay_alu instid0(VALU_DEP_1) | instskip(SKIP_2) | instid1(SALU_CYCLE_1)
	v_cmp_le_u16_e32 vcc_lo, v22, v23
	v_cmp_lt_u16_e64 s7, v22, v23
	s_and_b32 s31, vcc_lo, s30
	s_or_b32 s7, s7, s31
	s_delay_alu instid0(SALU_CYCLE_1) | instskip(NEXT) | instid1(SALU_CYCLE_1)
	s_and_b32 s31, s7, exec_lo
	s_or_b32 s29, s29, s31
	s_mov_b32 s31, exec_lo
	v_cmpx_eq_u16_e64 v22, v23
	s_cbranch_execz .LBB9_1118
; %bb.1120:                             ;   in Loop: Header=BB9_1119 Depth=1
	s_add_nc_u64 s[8:9], s[8:9], -1
	v_add_nc_u64_e32 v[4:5], 1, v[4:5]
	s_cmp_eq_u64 s[8:9], 0
	v_add_nc_u64_e32 v[6:7], 1, v[6:7]
	s_cselect_b32 s30, -1, 0
	s_and_not1_b32 s28, s28, exec_lo
	s_and_b32 s30, s30, exec_lo
	s_and_not1_b32 s29, s29, exec_lo
	s_or_b32 s28, s28, s30
                                        ; implicit-def: $sgpr30
	s_branch .LBB9_1118
.LBB9_1121:
	s_or_b32 exec_lo, exec_lo, s23
	s_xor_b32 s7, s27, -1
	s_branch .LBB9_1123
.LBB9_1122:
	s_mov_b32 s7, -1
.LBB9_1123:
	s_delay_alu instid0(SALU_CYCLE_1)
	s_and_b32 s7, s7, exec_lo
.LBB9_1124:
	s_or_b32 exec_lo, exec_lo, s14
	s_delay_alu instid0(SALU_CYCLE_1)
	s_or_not1_b32 s14, s7, exec_lo
.LBB9_1125:
	s_or_b32 exec_lo, exec_lo, s22
	v_dual_cndmask_b32 v4, v8, v9, s14 :: v_dual_cndmask_b32 v5, v25, v24, s14
	s_mov_b32 s22, exec_lo
	s_delay_alu instid0(VALU_DEP_1) | instskip(NEXT) | instid1(VALU_DEP_1)
	v_add_nc_u32_e32 v6, 1, v4
	v_add_min_u32_e64 v4, v5, -1, v6
	s_delay_alu instid0(VALU_DEP_1)
	v_lshl_add_u32 v4, v4, 3, v33
	ds_load_b64 v[4:5], v4
	s_wait_dscnt 0x0
	v_dual_cndmask_b32 v41, v5, v12, s14 :: v_dual_cndmask_b32 v42, v4, v39, s14
	v_dual_cndmask_b32 v8, v6, v8, s14 :: v_dual_cndmask_b32 v9, v9, v6, s14
	;; [unrolled: 1-line block ×3, first 2 shown]
	s_delay_alu instid0(VALU_DEP_2)
	v_cmpx_lt_u32_e64 v8, v25
	s_cbranch_execz .LBB9_1136
; %bb.1126:
	s_mov_b32 s7, 0
	s_mov_b32 s15, exec_lo
	v_cmpx_lt_u32_e64 v9, v24
	s_cbranch_execz .LBB9_1135
; %bb.1127:
	s_and_not1_b32 vcc_lo, exec_lo, s26
	s_cbranch_vccnz .LBB9_1133
; %bb.1128:
	v_mad_nc_u64_u32 v[4:5], v42, s16, s[18:19]
	v_mad_nc_u64_u32 v[6:7], v44, s16, s[18:19]
	s_mov_b32 s23, 0
	s_mov_b64 s[8:9], s[16:17]
                                        ; implicit-def: $sgpr27
                                        ; implicit-def: $sgpr28
                                        ; implicit-def: $sgpr29
                                        ; implicit-def: $sgpr30
	s_delay_alu instid0(VALU_DEP_2) | instskip(NEXT) | instid1(VALU_DEP_2)
	v_mad_u32 v5, v41, s16, v5
	v_mad_u32 v7, v43, s16, v7
	s_delay_alu instid0(VALU_DEP_2) | instskip(NEXT) | instid1(VALU_DEP_2)
	v_mad_u32 v5, v42, s17, v5
	v_mad_u32 v7, v44, s17, v7
	s_branch .LBB9_1130
.LBB9_1129:                             ;   in Loop: Header=BB9_1130 Depth=1
	s_or_b32 exec_lo, exec_lo, s31
	s_delay_alu instid0(SALU_CYCLE_1) | instskip(NEXT) | instid1(SALU_CYCLE_1)
	s_and_b32 s31, exec_lo, s28
	s_or_b32 s23, s31, s23
	s_and_not1_b32 s30, s30, exec_lo
	s_and_b32 s7, s7, exec_lo
	s_and_not1_b32 s27, s27, exec_lo
	s_and_b32 s31, s29, exec_lo
	s_or_b32 s30, s30, s7
	s_or_b32 s27, s27, s31
	s_and_not1_b32 exec_lo, exec_lo, s23
	s_cbranch_execz .LBB9_1132
.LBB9_1130:                             ; =>This Inner Loop Header: Depth=1
	global_load_u8 v22, v[4:5], off
	global_load_u8 v23, v[6:7], off
	s_and_not1_b32 s29, s29, exec_lo
	s_or_b32 s28, s28, exec_lo
	s_wait_loadcnt 0x1
	v_and_b32_e32 v22, 0xff, v22
	s_wait_loadcnt 0x0
	v_and_b32_e32 v23, 0xff, v23
	s_delay_alu instid0(VALU_DEP_1) | instskip(SKIP_2) | instid1(SALU_CYCLE_1)
	v_cmp_le_u16_e32 vcc_lo, v22, v23
	v_cmp_lt_u16_e64 s7, v22, v23
	s_and_b32 s31, vcc_lo, s30
	s_or_b32 s7, s7, s31
	s_delay_alu instid0(SALU_CYCLE_1) | instskip(NEXT) | instid1(SALU_CYCLE_1)
	s_and_b32 s31, s7, exec_lo
	s_or_b32 s29, s29, s31
	s_mov_b32 s31, exec_lo
	v_cmpx_eq_u16_e64 v22, v23
	s_cbranch_execz .LBB9_1129
; %bb.1131:                             ;   in Loop: Header=BB9_1130 Depth=1
	s_add_nc_u64 s[8:9], s[8:9], -1
	v_add_nc_u64_e32 v[4:5], 1, v[4:5]
	s_cmp_eq_u64 s[8:9], 0
	v_add_nc_u64_e32 v[6:7], 1, v[6:7]
	s_cselect_b32 s30, -1, 0
	s_and_not1_b32 s28, s28, exec_lo
	s_and_b32 s30, s30, exec_lo
	s_and_not1_b32 s29, s29, exec_lo
	s_or_b32 s28, s28, s30
                                        ; implicit-def: $sgpr30
	s_branch .LBB9_1129
.LBB9_1132:
	s_or_b32 exec_lo, exec_lo, s23
	s_xor_b32 s7, s27, -1
	s_branch .LBB9_1134
.LBB9_1133:
	s_mov_b32 s7, -1
.LBB9_1134:
	s_delay_alu instid0(SALU_CYCLE_1)
	s_and_b32 s7, s7, exec_lo
.LBB9_1135:
	s_or_b32 exec_lo, exec_lo, s15
	s_delay_alu instid0(SALU_CYCLE_1)
	s_or_not1_b32 s15, s7, exec_lo
.LBB9_1136:
	s_or_b32 exec_lo, exec_lo, s22
	v_dual_cndmask_b32 v4, v8, v9, s15 :: v_dual_cndmask_b32 v5, v25, v24, s15
	s_mov_b32 s22, -1
	s_mov_b32 s23, -1
	s_mov_b32 s27, exec_lo
	s_delay_alu instid0(VALU_DEP_1) | instskip(NEXT) | instid1(VALU_DEP_1)
	v_add_nc_u32_e32 v6, 1, v4
	v_add_min_u32_e64 v4, v5, -1, v6
	v_cndmask_b32_e64 v22, v6, v8, s15
	s_delay_alu instid0(VALU_DEP_2)
	v_lshl_add_u32 v4, v4, 3, v33
	ds_load_b64 v[4:5], v4
	s_wait_dscnt 0x0
	v_cndmask_b32_e64 v8, v5, v41, s15
	v_cndmask_b32_e64 v23, v9, v6, s15
	v_dual_cndmask_b32 v45, v4, v42, s15 :: v_dual_cndmask_b32 v9, v43, v5, s15
	v_cndmask_b32_e64 v46, v44, v4, s15
	v_cmpx_lt_u32_e64 v22, v25
	s_cbranch_execz .LBB9_1147
; %bb.1137:
	s_mov_b32 s7, 0
	s_mov_b32 s23, exec_lo
	v_cmpx_lt_u32_e64 v23, v24
	s_cbranch_execz .LBB9_1146
; %bb.1138:
	s_and_not1_b32 vcc_lo, exec_lo, s26
	s_cbranch_vccnz .LBB9_1144
; %bb.1139:
	v_mad_nc_u64_u32 v[4:5], v45, s16, s[18:19]
	v_mad_nc_u64_u32 v[6:7], v46, s16, s[18:19]
	s_mov_b32 s28, 0
	s_mov_b64 s[8:9], s[16:17]
                                        ; implicit-def: $sgpr29
                                        ; implicit-def: $sgpr30
                                        ; implicit-def: $sgpr31
                                        ; implicit-def: $sgpr33
	s_delay_alu instid0(VALU_DEP_2) | instskip(NEXT) | instid1(VALU_DEP_2)
	v_mad_u32 v5, v8, s16, v5
	v_mad_u32 v7, v9, s16, v7
	s_delay_alu instid0(VALU_DEP_2) | instskip(NEXT) | instid1(VALU_DEP_2)
	v_mad_u32 v5, v45, s17, v5
	v_mad_u32 v7, v46, s17, v7
	s_branch .LBB9_1141
.LBB9_1140:                             ;   in Loop: Header=BB9_1141 Depth=1
	s_or_b32 exec_lo, exec_lo, s34
	s_delay_alu instid0(SALU_CYCLE_1) | instskip(NEXT) | instid1(SALU_CYCLE_1)
	s_and_b32 s34, exec_lo, s30
	s_or_b32 s28, s34, s28
	s_and_not1_b32 s33, s33, exec_lo
	s_and_b32 s7, s7, exec_lo
	s_and_not1_b32 s29, s29, exec_lo
	s_and_b32 s34, s31, exec_lo
	s_or_b32 s33, s33, s7
	s_or_b32 s29, s29, s34
	s_and_not1_b32 exec_lo, exec_lo, s28
	s_cbranch_execz .LBB9_1143
.LBB9_1141:                             ; =>This Inner Loop Header: Depth=1
	global_load_u8 v47, v[4:5], off
	global_load_u8 v48, v[6:7], off
	s_and_not1_b32 s31, s31, exec_lo
	s_or_b32 s30, s30, exec_lo
	s_wait_loadcnt 0x1
	v_and_b32_e32 v47, 0xff, v47
	s_wait_loadcnt 0x0
	v_and_b32_e32 v48, 0xff, v48
	s_delay_alu instid0(VALU_DEP_1) | instskip(SKIP_2) | instid1(SALU_CYCLE_1)
	v_cmp_le_u16_e32 vcc_lo, v47, v48
	v_cmp_lt_u16_e64 s7, v47, v48
	s_and_b32 s34, vcc_lo, s33
	s_or_b32 s7, s7, s34
	s_delay_alu instid0(SALU_CYCLE_1) | instskip(NEXT) | instid1(SALU_CYCLE_1)
	s_and_b32 s34, s7, exec_lo
	s_or_b32 s31, s31, s34
	s_mov_b32 s34, exec_lo
	v_cmpx_eq_u16_e64 v47, v48
	s_cbranch_execz .LBB9_1140
; %bb.1142:                             ;   in Loop: Header=BB9_1141 Depth=1
	s_add_nc_u64 s[8:9], s[8:9], -1
	v_add_nc_u64_e32 v[4:5], 1, v[4:5]
	s_cmp_eq_u64 s[8:9], 0
	v_add_nc_u64_e32 v[6:7], 1, v[6:7]
	s_cselect_b32 s33, -1, 0
	s_and_not1_b32 s30, s30, exec_lo
	s_and_b32 s33, s33, exec_lo
	s_and_not1_b32 s31, s31, exec_lo
	s_or_b32 s30, s30, s33
                                        ; implicit-def: $sgpr33
	s_branch .LBB9_1140
.LBB9_1143:
	s_or_b32 exec_lo, exec_lo, s28
	s_xor_b32 s7, s29, -1
	s_branch .LBB9_1145
.LBB9_1144:
	s_mov_b32 s7, -1
.LBB9_1145:
	s_delay_alu instid0(SALU_CYCLE_1)
	s_and_b32 s7, s7, exec_lo
.LBB9_1146:
	s_or_b32 exec_lo, exec_lo, s23
	s_delay_alu instid0(SALU_CYCLE_1)
	s_or_not1_b32 s23, s7, exec_lo
.LBB9_1147:
	s_or_b32 exec_lo, exec_lo, s27
	v_dual_cndmask_b32 v4, v22, v23, s23 :: v_dual_cndmask_b32 v5, v25, v24, s23
	s_mov_b32 s27, exec_lo
	s_delay_alu instid0(VALU_DEP_1) | instskip(NEXT) | instid1(VALU_DEP_1)
	v_add_nc_u32_e32 v6, 1, v4
	v_add_min_u32_e64 v4, v5, -1, v6
	s_delay_alu instid0(VALU_DEP_1)
	v_lshl_add_u32 v4, v4, 3, v33
	ds_load_b64 v[4:5], v4
	s_wait_dscnt 0x0
	v_dual_cndmask_b32 v48, v5, v8, s23 :: v_dual_cndmask_b32 v49, v4, v45, s23
	v_cndmask_b32_e64 v50, v6, v22, s23
	v_dual_cndmask_b32 v47, v23, v6, s23 :: v_dual_cndmask_b32 v51, v9, v5, s23
	v_cndmask_b32_e64 v52, v46, v4, s23
	s_delay_alu instid0(VALU_DEP_3)
	v_cmpx_lt_u32_e64 v50, v25
	s_cbranch_execz .LBB9_1158
; %bb.1148:
	s_mov_b32 s7, 0
	s_mov_b32 s22, exec_lo
	v_cmpx_lt_u32_e64 v47, v24
	s_cbranch_execz .LBB9_1157
; %bb.1149:
	s_and_not1_b32 vcc_lo, exec_lo, s26
	s_cbranch_vccnz .LBB9_1155
; %bb.1150:
	v_mad_nc_u64_u32 v[4:5], v49, s16, s[18:19]
	v_mad_nc_u64_u32 v[6:7], v52, s16, s[18:19]
	s_mov_b32 s28, 0
	s_mov_b64 s[8:9], s[16:17]
                                        ; implicit-def: $sgpr29
                                        ; implicit-def: $sgpr30
                                        ; implicit-def: $sgpr31
                                        ; implicit-def: $sgpr33
	s_delay_alu instid0(VALU_DEP_2) | instskip(NEXT) | instid1(VALU_DEP_2)
	v_mad_u32 v5, v48, s16, v5
	v_mad_u32 v7, v51, s16, v7
	s_delay_alu instid0(VALU_DEP_2) | instskip(NEXT) | instid1(VALU_DEP_2)
	v_mad_u32 v5, v49, s17, v5
	v_mad_u32 v7, v52, s17, v7
	s_branch .LBB9_1152
.LBB9_1151:                             ;   in Loop: Header=BB9_1152 Depth=1
	s_or_b32 exec_lo, exec_lo, s34
	s_delay_alu instid0(SALU_CYCLE_1) | instskip(NEXT) | instid1(SALU_CYCLE_1)
	s_and_b32 s34, exec_lo, s30
	s_or_b32 s28, s34, s28
	s_and_not1_b32 s33, s33, exec_lo
	s_and_b32 s7, s7, exec_lo
	s_and_not1_b32 s29, s29, exec_lo
	s_and_b32 s34, s31, exec_lo
	s_or_b32 s33, s33, s7
	s_or_b32 s29, s29, s34
	s_and_not1_b32 exec_lo, exec_lo, s28
	s_cbranch_execz .LBB9_1154
.LBB9_1152:                             ; =>This Inner Loop Header: Depth=1
	global_load_u8 v22, v[4:5], off
	global_load_u8 v23, v[6:7], off
	s_and_not1_b32 s31, s31, exec_lo
	s_or_b32 s30, s30, exec_lo
	s_wait_loadcnt 0x1
	v_and_b32_e32 v22, 0xff, v22
	s_wait_loadcnt 0x0
	v_and_b32_e32 v23, 0xff, v23
	s_delay_alu instid0(VALU_DEP_1) | instskip(SKIP_2) | instid1(SALU_CYCLE_1)
	v_cmp_le_u16_e32 vcc_lo, v22, v23
	v_cmp_lt_u16_e64 s7, v22, v23
	s_and_b32 s34, vcc_lo, s33
	s_or_b32 s7, s7, s34
	s_delay_alu instid0(SALU_CYCLE_1) | instskip(NEXT) | instid1(SALU_CYCLE_1)
	s_and_b32 s34, s7, exec_lo
	s_or_b32 s31, s31, s34
	s_mov_b32 s34, exec_lo
	v_cmpx_eq_u16_e64 v22, v23
	s_cbranch_execz .LBB9_1151
; %bb.1153:                             ;   in Loop: Header=BB9_1152 Depth=1
	s_add_nc_u64 s[8:9], s[8:9], -1
	v_add_nc_u64_e32 v[4:5], 1, v[4:5]
	s_cmp_eq_u64 s[8:9], 0
	v_add_nc_u64_e32 v[6:7], 1, v[6:7]
	s_cselect_b32 s33, -1, 0
	s_and_not1_b32 s30, s30, exec_lo
	s_and_b32 s33, s33, exec_lo
	s_and_not1_b32 s31, s31, exec_lo
	s_or_b32 s30, s30, s33
                                        ; implicit-def: $sgpr33
	s_branch .LBB9_1151
.LBB9_1154:
	s_or_b32 exec_lo, exec_lo, s28
	s_xor_b32 s7, s29, -1
	s_branch .LBB9_1156
.LBB9_1155:
	s_mov_b32 s7, -1
.LBB9_1156:
	s_delay_alu instid0(SALU_CYCLE_1)
	s_and_b32 s7, s7, exec_lo
.LBB9_1157:
	s_or_b32 exec_lo, exec_lo, s22
	s_delay_alu instid0(SALU_CYCLE_1)
	s_or_not1_b32 s22, s7, exec_lo
.LBB9_1158:
	s_or_b32 exec_lo, exec_lo, s27
	v_dual_cndmask_b32 v4, v50, v47, s22 :: v_dual_cndmask_b32 v5, v25, v24, s22
	v_dual_cndmask_b32 v7, v41, v43, s15 :: v_dual_cndmask_b32 v13, v12, v13, s14
	;; [unrolled: 1-line block ×3, first 2 shown]
	s_delay_alu instid0(VALU_DEP_3) | instskip(SKIP_2) | instid1(VALU_DEP_3)
	v_dual_add_nc_u32 v53, 1, v4 :: v_dual_cndmask_b32 v9, v8, v9, s23
	v_dual_cndmask_b32 v8, v45, v46, s23 :: v_dual_cndmask_b32 v6, v42, v44, s15
	v_dual_cndmask_b32 v10, v17, v38, s13 :: v_dual_cndmask_b32 v17, v14, v16, s12
	v_add_min_u32_e64 v4, v5, -1, v53
	v_dual_cndmask_b32 v16, v15, v37, s12 :: v_dual_cndmask_b32 v14, v2, v0, s11
	v_dual_cndmask_b32 v15, v3, v1, s11 :: v_dual_cndmask_b32 v0, v53, v50, s22
	s_delay_alu instid0(VALU_DEP_3)
	v_lshl_add_u32 v4, v4, 3, v33
	v_dual_cndmask_b32 v3, v48, v51, s22 :: v_dual_cndmask_b32 v2, v49, v52, s22
	s_mov_b32 s11, exec_lo
	ds_load_b64 v[22:23], v4
	s_wait_dscnt 0x0
	v_dual_cndmask_b32 v5, v51, v23, s22 :: v_dual_cndmask_b32 v4, v52, v22, s22
	v_cmpx_lt_u32_e64 v0, v25
	s_cbranch_execz .LBB9_1168
; %bb.1159:
	v_cndmask_b32_e64 v25, v47, v53, s22
	v_dual_cndmask_b32 v1, v23, v48, s22 :: v_dual_cndmask_b32 v0, v22, v49, s22
	s_mov_b32 s12, exec_lo
	s_delay_alu instid0(VALU_DEP_2)
	v_cmpx_lt_u32_e64 v25, v24
	s_cbranch_execz .LBB9_1167
; %bb.1160:
	s_and_not1_b32 vcc_lo, exec_lo, s26
	s_cbranch_vccnz .LBB9_1166
; %bb.1161:
	v_mad_nc_u64_u32 v[22:23], v0, s16, s[18:19]
	v_mad_nc_u64_u32 v[24:25], v4, s16, s[18:19]
	s_mov_b32 s13, 0
	s_mov_b64 s[8:9], s[16:17]
                                        ; implicit-def: $sgpr14
                                        ; implicit-def: $sgpr15
                                        ; implicit-def: $sgpr22
                                        ; implicit-def: $sgpr23
	s_delay_alu instid0(VALU_DEP_2) | instskip(NEXT) | instid1(VALU_DEP_2)
	v_mad_u32 v23, v1, s16, v23
	v_mad_u32 v25, v5, s16, v25
	s_delay_alu instid0(VALU_DEP_2) | instskip(NEXT) | instid1(VALU_DEP_2)
	v_mad_u32 v23, v0, s17, v23
	v_mad_u32 v25, v4, s17, v25
	s_branch .LBB9_1163
.LBB9_1162:                             ;   in Loop: Header=BB9_1163 Depth=1
	s_or_b32 exec_lo, exec_lo, s27
	s_delay_alu instid0(SALU_CYCLE_1) | instskip(NEXT) | instid1(SALU_CYCLE_1)
	s_and_b32 s27, exec_lo, s15
	s_or_b32 s13, s27, s13
	s_and_not1_b32 s23, s23, exec_lo
	s_and_b32 s7, s7, exec_lo
	s_and_not1_b32 s14, s14, exec_lo
	s_and_b32 s27, s22, exec_lo
	s_or_b32 s23, s23, s7
	s_or_b32 s14, s14, s27
	s_and_not1_b32 exec_lo, exec_lo, s13
	s_cbranch_execz .LBB9_1165
.LBB9_1163:                             ; =>This Inner Loop Header: Depth=1
	global_load_u8 v37, v[22:23], off
	global_load_u8 v38, v[24:25], off
	s_and_not1_b32 s22, s22, exec_lo
	s_or_b32 s15, s15, exec_lo
	s_wait_loadcnt 0x1
	v_and_b32_e32 v37, 0xff, v37
	s_wait_loadcnt 0x0
	v_and_b32_e32 v38, 0xff, v38
	s_delay_alu instid0(VALU_DEP_1) | instskip(SKIP_2) | instid1(SALU_CYCLE_1)
	v_cmp_le_u16_e32 vcc_lo, v37, v38
	v_cmp_lt_u16_e64 s7, v37, v38
	s_and_b32 s27, vcc_lo, s23
	s_or_b32 s7, s7, s27
	s_delay_alu instid0(SALU_CYCLE_1) | instskip(NEXT) | instid1(SALU_CYCLE_1)
	s_and_b32 s27, s7, exec_lo
	s_or_b32 s22, s22, s27
	s_mov_b32 s27, exec_lo
	v_cmpx_eq_u16_e64 v37, v38
	s_cbranch_execz .LBB9_1162
; %bb.1164:                             ;   in Loop: Header=BB9_1163 Depth=1
	s_add_nc_u64 s[8:9], s[8:9], -1
	v_add_nc_u64_e32 v[22:23], 1, v[22:23]
	s_cmp_eq_u64 s[8:9], 0
	v_add_nc_u64_e32 v[24:25], 1, v[24:25]
	s_cselect_b32 s23, -1, 0
	s_and_not1_b32 s15, s15, exec_lo
	s_and_b32 s23, s23, exec_lo
	s_and_not1_b32 s22, s22, exec_lo
	s_or_b32 s15, s15, s23
                                        ; implicit-def: $sgpr23
	s_branch .LBB9_1162
.LBB9_1165:
	s_or_b32 exec_lo, exec_lo, s13
	v_dual_cndmask_b32 v5, v5, v1, s14 :: v_dual_cndmask_b32 v4, v4, v0, s14
.LBB9_1166:
	s_delay_alu instid0(VALU_DEP_1)
	v_mov_b64_e32 v[0:1], v[4:5]
.LBB9_1167:
	s_or_b32 exec_lo, exec_lo, s12
	s_delay_alu instid0(VALU_DEP_1)
	v_mov_b64_e32 v[4:5], v[0:1]
.LBB9_1168:
	s_or_b32 exec_lo, exec_lo, s11
.LBB9_1169:
	s_delay_alu instid0(SALU_CYCLE_1)
	s_or_b32 exec_lo, exec_lo, s10
	v_and_b32_e32 v39, 0xc0, v35
	s_mov_b32 s10, exec_lo
	; wave barrier
	ds_store_b128 v36, v[14:17]
	ds_store_b128 v36, v[10:13] offset:16
	v_or_b32_e32 v0, 32, v39
	v_lshl_add_u32 v38, v39, 3, v33
	ds_store_b128 v36, v[6:9] offset:32
	ds_store_b128 v36, v[2:5] offset:48
	; wave barrier
	v_min_u32_e32 v24, v34, v0
	v_and_b32_e32 v0, 56, v35
	s_delay_alu instid0(VALU_DEP_2) | instskip(NEXT) | instid1(VALU_DEP_2)
	v_add_min_u32_e64 v25, v24, 32, v34
	v_min_u32_e32 v40, v34, v0
	s_delay_alu instid0(VALU_DEP_2) | instskip(NEXT) | instid1(VALU_DEP_1)
	v_dual_sub_nc_u32 v1, v24, v39 :: v_dual_sub_nc_u32 v0, v25, v24
	v_min_u32_e32 v41, v40, v1
	s_delay_alu instid0(VALU_DEP_2) | instskip(NEXT) | instid1(VALU_DEP_1)
	v_sub_nc_u32_e64 v37, v40, v0 clamp
	v_cmpx_lt_u32_e64 v37, v41
	s_cbranch_execz .LBB9_1179
; %bb.1170:
	v_lshlrev_b32_e32 v0, 3, v24
	v_lshlrev_b32_e32 v1, 3, v40
	s_mov_b32 s11, 0
	s_delay_alu instid0(VALU_DEP_1)
	v_add3_u32 v42, v33, v0, v1
	s_branch .LBB9_1173
.LBB9_1171:                             ;   in Loop: Header=BB9_1173 Depth=1
	s_or_b32 exec_lo, exec_lo, s13
.LBB9_1172:                             ;   in Loop: Header=BB9_1173 Depth=1
	s_delay_alu instid0(VALU_DEP_1) | instskip(NEXT) | instid1(VALU_DEP_1)
	v_dual_add_nc_u32 v0, 1, v43 :: v_dual_cndmask_b32 v41, v41, v43, s12
	v_cndmask_b32_e64 v37, v0, v37, s12
	s_delay_alu instid0(VALU_DEP_1) | instskip(SKIP_1) | instid1(SALU_CYCLE_1)
	v_cmp_ge_u32_e32 vcc_lo, v37, v41
	s_or_b32 s11, vcc_lo, s11
	s_and_not1_b32 exec_lo, exec_lo, s11
	s_cbranch_execz .LBB9_1178
.LBB9_1173:                             ; =>This Loop Header: Depth=1
                                        ;     Child Loop BB9_1176 Depth 2
	v_add_nc_u32_e32 v0, v41, v37
	s_and_not1_b32 vcc_lo, exec_lo, s26
	s_mov_b32 s12, 0
	s_delay_alu instid0(VALU_DEP_1)
	v_lshrrev_b32_e32 v43, 1, v0
	s_cbranch_vccnz .LBB9_1172
; %bb.1174:                             ;   in Loop: Header=BB9_1173 Depth=1
	s_delay_alu instid0(VALU_DEP_1) | instskip(SKIP_3) | instid1(VALU_DEP_2)
	v_not_b32_e32 v0, v43
	v_lshl_add_u32 v1, v43, 3, v38
	s_mov_b32 s13, 0
	s_mov_b64 s[8:9], s[16:17]
                                        ; implicit-def: $sgpr12
                                        ; implicit-def: $sgpr14
                                        ; implicit-def: $sgpr15
                                        ; implicit-def: $sgpr22
	v_lshl_add_u32 v0, v0, 3, v42
	ds_load_b64 v[44:45], v0
	ds_load_b64 v[46:47], v1
	s_wait_dscnt 0x1
	v_mad_nc_u64_u32 v[0:1], v44, s16, s[18:19]
	s_wait_dscnt 0x0
	v_mad_nc_u64_u32 v[22:23], v46, s16, s[18:19]
	s_delay_alu instid0(VALU_DEP_2) | instskip(NEXT) | instid1(VALU_DEP_2)
	v_mad_u32 v1, v45, s16, v1
	v_mad_u32 v23, v47, s16, v23
	s_delay_alu instid0(VALU_DEP_2) | instskip(NEXT) | instid1(VALU_DEP_2)
	v_mad_u32 v1, v44, s17, v1
	v_mad_u32 v23, v46, s17, v23
	s_branch .LBB9_1176
.LBB9_1175:                             ;   in Loop: Header=BB9_1176 Depth=2
	s_or_b32 exec_lo, exec_lo, s23
	s_delay_alu instid0(SALU_CYCLE_1) | instskip(NEXT) | instid1(SALU_CYCLE_1)
	s_and_b32 s23, exec_lo, s14
	s_or_b32 s13, s23, s13
	s_and_not1_b32 s22, s22, exec_lo
	s_and_b32 s7, s7, exec_lo
	s_and_not1_b32 s12, s12, exec_lo
	s_and_b32 s23, s15, exec_lo
	s_or_b32 s22, s22, s7
	s_or_b32 s12, s12, s23
	s_and_not1_b32 exec_lo, exec_lo, s13
	s_cbranch_execz .LBB9_1171
.LBB9_1176:                             ;   Parent Loop BB9_1173 Depth=1
                                        ; =>  This Inner Loop Header: Depth=2
	global_load_u8 v44, v[0:1], off
	global_load_u8 v45, v[22:23], off
	s_and_not1_b32 s15, s15, exec_lo
	s_or_b32 s14, s14, exec_lo
	s_wait_loadcnt 0x1
	v_and_b32_e32 v44, 0xff, v44
	s_wait_loadcnt 0x0
	v_and_b32_e32 v45, 0xff, v45
	s_delay_alu instid0(VALU_DEP_1) | instskip(SKIP_2) | instid1(SALU_CYCLE_1)
	v_cmp_le_u16_e32 vcc_lo, v44, v45
	v_cmp_lt_u16_e64 s7, v44, v45
	s_and_b32 s23, vcc_lo, s22
	s_or_b32 s7, s7, s23
	s_delay_alu instid0(SALU_CYCLE_1) | instskip(NEXT) | instid1(SALU_CYCLE_1)
	s_and_b32 s23, s7, exec_lo
	s_or_b32 s15, s15, s23
	s_mov_b32 s23, exec_lo
	v_cmpx_eq_u16_e64 v44, v45
	s_cbranch_execz .LBB9_1175
; %bb.1177:                             ;   in Loop: Header=BB9_1176 Depth=2
	s_add_nc_u64 s[8:9], s[8:9], -1
	v_add_nc_u64_e32 v[0:1], 1, v[0:1]
	s_cmp_eq_u64 s[8:9], 0
	v_add_nc_u64_e32 v[22:23], 1, v[22:23]
	s_cselect_b32 s22, -1, 0
	s_and_not1_b32 s14, s14, exec_lo
	s_and_b32 s22, s22, exec_lo
	s_and_not1_b32 s15, s15, exec_lo
	s_or_b32 s14, s14, s22
                                        ; implicit-def: $sgpr22
	s_branch .LBB9_1175
.LBB9_1178:
	s_or_b32 exec_lo, exec_lo, s11
.LBB9_1179:
	s_delay_alu instid0(SALU_CYCLE_1) | instskip(SKIP_1) | instid1(VALU_DEP_1)
	s_or_b32 exec_lo, exec_lo, s10
	v_dual_add_nc_u32 v0, v24, v40 :: v_dual_add_nc_u32 v22, v37, v39
	v_sub_nc_u32_e32 v23, v0, v37
	s_delay_alu instid0(VALU_DEP_2) | instskip(NEXT) | instid1(VALU_DEP_2)
	v_cmp_le_u32_e32 vcc_lo, v22, v24
	v_cmp_le_u32_e64 s7, v23, v25
	s_or_b32 s7, vcc_lo, s7
	s_delay_alu instid0(SALU_CYCLE_1)
	s_and_saveexec_b32 s10, s7
	s_cbranch_execz .LBB9_1270
; %bb.1180:
	s_mov_b32 s8, exec_lo
	v_cmp_ge_u32_e32 vcc_lo, v22, v24
                                        ; implicit-def: $vgpr0_vgpr1
	v_cmpx_lt_u32_e64 v22, v24
; %bb.1181:
	v_lshl_add_u32 v0, v37, 3, v38
	ds_load_b64 v[0:1], v0
; %bb.1182:
	s_or_b32 exec_lo, exec_lo, s8
	v_cmp_ge_u32_e64 s11, v23, v25
	s_mov_b32 s8, exec_lo
                                        ; implicit-def: $vgpr2_vgpr3
	v_cmpx_lt_u32_e64 v23, v25
; %bb.1183:
	v_lshl_add_u32 v2, v23, 3, v33
	ds_load_b64 v[2:3], v2
; %bb.1184:
	s_or_b32 exec_lo, exec_lo, s8
	s_nor_b32 s7, vcc_lo, s11
	s_delay_alu instid0(SALU_CYCLE_1)
	s_and_saveexec_b32 s12, s7
	s_cbranch_execz .LBB9_1193
; %bb.1185:
	s_and_not1_b32 vcc_lo, exec_lo, s26
	s_cbranch_vccnz .LBB9_1191
; %bb.1186:
	s_wait_dscnt 0x0
	v_mad_nc_u64_u32 v[4:5], v2, s16, s[18:19]
	v_mad_nc_u64_u32 v[6:7], v0, s16, s[18:19]
	s_mov_b32 s13, 0
	s_mov_b64 s[8:9], s[16:17]
                                        ; implicit-def: $sgpr14
                                        ; implicit-def: $sgpr15
                                        ; implicit-def: $sgpr22
                                        ; implicit-def: $sgpr23
	s_delay_alu instid0(VALU_DEP_2) | instskip(NEXT) | instid1(VALU_DEP_2)
	v_mad_u32 v5, v3, s16, v5
	v_mad_u32 v7, v1, s16, v7
	s_delay_alu instid0(VALU_DEP_2) | instskip(NEXT) | instid1(VALU_DEP_2)
	v_mad_u32 v5, v2, s17, v5
	v_mad_u32 v7, v0, s17, v7
	s_branch .LBB9_1188
.LBB9_1187:                             ;   in Loop: Header=BB9_1188 Depth=1
	s_or_b32 exec_lo, exec_lo, s27
	s_delay_alu instid0(SALU_CYCLE_1) | instskip(NEXT) | instid1(SALU_CYCLE_1)
	s_and_b32 s27, exec_lo, s15
	s_or_b32 s13, s27, s13
	s_and_not1_b32 s23, s23, exec_lo
	s_and_b32 s7, s7, exec_lo
	s_and_not1_b32 s14, s14, exec_lo
	s_and_b32 s27, s22, exec_lo
	s_or_b32 s23, s23, s7
	s_or_b32 s14, s14, s27
	s_and_not1_b32 exec_lo, exec_lo, s13
	s_cbranch_execz .LBB9_1190
.LBB9_1188:                             ; =>This Inner Loop Header: Depth=1
	global_load_u8 v8, v[4:5], off
	global_load_u8 v9, v[6:7], off
	s_and_not1_b32 s22, s22, exec_lo
	s_or_b32 s15, s15, exec_lo
	s_wait_loadcnt 0x1
	v_and_b32_e32 v8, 0xff, v8
	s_wait_loadcnt 0x0
	v_and_b32_e32 v9, 0xff, v9
	s_delay_alu instid0(VALU_DEP_1) | instskip(SKIP_2) | instid1(SALU_CYCLE_1)
	v_cmp_le_u16_e32 vcc_lo, v8, v9
	v_cmp_lt_u16_e64 s7, v8, v9
	s_and_b32 s27, vcc_lo, s23
	s_or_b32 s7, s7, s27
	s_delay_alu instid0(SALU_CYCLE_1) | instskip(NEXT) | instid1(SALU_CYCLE_1)
	s_and_b32 s27, s7, exec_lo
	s_or_b32 s22, s22, s27
	s_mov_b32 s27, exec_lo
	v_cmpx_eq_u16_e64 v8, v9
	s_cbranch_execz .LBB9_1187
; %bb.1189:                             ;   in Loop: Header=BB9_1188 Depth=1
	s_add_nc_u64 s[8:9], s[8:9], -1
	v_add_nc_u64_e32 v[4:5], 1, v[4:5]
	s_cmp_eq_u64 s[8:9], 0
	v_add_nc_u64_e32 v[6:7], 1, v[6:7]
	s_cselect_b32 s23, -1, 0
	s_and_not1_b32 s15, s15, exec_lo
	s_and_b32 s23, s23, exec_lo
	s_and_not1_b32 s22, s22, exec_lo
	s_or_b32 s15, s15, s23
                                        ; implicit-def: $sgpr23
	s_branch .LBB9_1187
.LBB9_1190:
	s_or_b32 exec_lo, exec_lo, s13
	s_xor_b32 s7, s14, -1
	s_branch .LBB9_1192
.LBB9_1191:
	s_mov_b32 s7, -1
.LBB9_1192:
	s_and_not1_b32 s8, s11, exec_lo
	s_and_b32 s7, s7, exec_lo
	s_delay_alu instid0(SALU_CYCLE_1)
	s_or_b32 s11, s8, s7
.LBB9_1193:
	s_or_b32 exec_lo, exec_lo, s12
	v_dual_cndmask_b32 v4, v23, v22, s11 :: v_dual_cndmask_b32 v5, v25, v24, s11
	s_mov_b32 s13, -1
	s_mov_b32 s12, -1
	s_mov_b32 s14, exec_lo
	s_delay_alu instid0(VALU_DEP_1) | instskip(NEXT) | instid1(VALU_DEP_1)
	v_add_nc_u32_e32 v6, 1, v4
	v_add_min_u32_e64 v4, v5, -1, v6
	s_delay_alu instid0(VALU_DEP_1)
	v_lshl_add_u32 v4, v4, 3, v33
	ds_load_b64 v[4:5], v4
	s_wait_dscnt 0x0
	v_cndmask_b32_e64 v14, v5, v3, s11
	v_dual_cndmask_b32 v8, v6, v23, s11 :: v_dual_cndmask_b32 v15, v4, v2, s11
	v_dual_cndmask_b32 v9, v22, v6, s11 :: v_dual_cndmask_b32 v16, v1, v5, s11
	v_cndmask_b32_e64 v37, v0, v4, s11
	s_delay_alu instid0(VALU_DEP_3)
	v_cmpx_lt_u32_e64 v8, v25
	s_cbranch_execz .LBB9_1204
; %bb.1194:
	s_mov_b32 s7, 0
	s_mov_b32 s12, exec_lo
	v_cmpx_lt_u32_e64 v9, v24
	s_cbranch_execz .LBB9_1203
; %bb.1195:
	s_and_not1_b32 vcc_lo, exec_lo, s26
	s_cbranch_vccnz .LBB9_1201
; %bb.1196:
	v_mad_nc_u64_u32 v[4:5], v15, s16, s[18:19]
	v_mad_nc_u64_u32 v[6:7], v37, s16, s[18:19]
	s_mov_b32 s15, 0
	s_mov_b64 s[8:9], s[16:17]
                                        ; implicit-def: $sgpr22
                                        ; implicit-def: $sgpr23
                                        ; implicit-def: $sgpr27
                                        ; implicit-def: $sgpr28
	s_delay_alu instid0(VALU_DEP_2) | instskip(NEXT) | instid1(VALU_DEP_2)
	v_mad_u32 v5, v14, s16, v5
	v_mad_u32 v7, v16, s16, v7
	s_delay_alu instid0(VALU_DEP_2) | instskip(NEXT) | instid1(VALU_DEP_2)
	v_mad_u32 v5, v15, s17, v5
	v_mad_u32 v7, v37, s17, v7
	s_branch .LBB9_1198
.LBB9_1197:                             ;   in Loop: Header=BB9_1198 Depth=1
	s_or_b32 exec_lo, exec_lo, s29
	s_delay_alu instid0(SALU_CYCLE_1) | instskip(NEXT) | instid1(SALU_CYCLE_1)
	s_and_b32 s29, exec_lo, s23
	s_or_b32 s15, s29, s15
	s_and_not1_b32 s28, s28, exec_lo
	s_and_b32 s7, s7, exec_lo
	s_and_not1_b32 s22, s22, exec_lo
	s_and_b32 s29, s27, exec_lo
	s_or_b32 s28, s28, s7
	s_or_b32 s22, s22, s29
	s_and_not1_b32 exec_lo, exec_lo, s15
	s_cbranch_execz .LBB9_1200
.LBB9_1198:                             ; =>This Inner Loop Header: Depth=1
	global_load_u8 v10, v[4:5], off
	global_load_u8 v11, v[6:7], off
	s_and_not1_b32 s27, s27, exec_lo
	s_or_b32 s23, s23, exec_lo
	s_wait_loadcnt 0x1
	v_and_b32_e32 v10, 0xff, v10
	s_wait_loadcnt 0x0
	v_and_b32_e32 v11, 0xff, v11
	s_delay_alu instid0(VALU_DEP_1) | instskip(SKIP_2) | instid1(SALU_CYCLE_1)
	v_cmp_le_u16_e32 vcc_lo, v10, v11
	v_cmp_lt_u16_e64 s7, v10, v11
	s_and_b32 s29, vcc_lo, s28
	s_or_b32 s7, s7, s29
	s_delay_alu instid0(SALU_CYCLE_1) | instskip(NEXT) | instid1(SALU_CYCLE_1)
	s_and_b32 s29, s7, exec_lo
	s_or_b32 s27, s27, s29
	s_mov_b32 s29, exec_lo
	v_cmpx_eq_u16_e64 v10, v11
	s_cbranch_execz .LBB9_1197
; %bb.1199:                             ;   in Loop: Header=BB9_1198 Depth=1
	s_add_nc_u64 s[8:9], s[8:9], -1
	v_add_nc_u64_e32 v[4:5], 1, v[4:5]
	s_cmp_eq_u64 s[8:9], 0
	v_add_nc_u64_e32 v[6:7], 1, v[6:7]
	s_cselect_b32 s28, -1, 0
	s_and_not1_b32 s23, s23, exec_lo
	s_and_b32 s28, s28, exec_lo
	s_and_not1_b32 s27, s27, exec_lo
	s_or_b32 s23, s23, s28
                                        ; implicit-def: $sgpr28
	s_branch .LBB9_1197
.LBB9_1200:
	s_or_b32 exec_lo, exec_lo, s15
	s_xor_b32 s7, s22, -1
	s_branch .LBB9_1202
.LBB9_1201:
	s_mov_b32 s7, -1
.LBB9_1202:
	s_delay_alu instid0(SALU_CYCLE_1)
	s_and_b32 s7, s7, exec_lo
.LBB9_1203:
	s_or_b32 exec_lo, exec_lo, s12
	s_delay_alu instid0(SALU_CYCLE_1)
	s_or_not1_b32 s12, s7, exec_lo
.LBB9_1204:
	s_or_b32 exec_lo, exec_lo, s14
	v_dual_cndmask_b32 v4, v8, v9, s12 :: v_dual_cndmask_b32 v5, v25, v24, s12
	s_mov_b32 s14, exec_lo
	s_delay_alu instid0(VALU_DEP_1) | instskip(NEXT) | instid1(VALU_DEP_1)
	v_add_nc_u32_e32 v6, 1, v4
	v_add_min_u32_e64 v4, v5, -1, v6
	s_delay_alu instid0(VALU_DEP_1)
	v_lshl_add_u32 v4, v4, 3, v33
	ds_load_b64 v[4:5], v4
	s_wait_dscnt 0x0
	v_dual_cndmask_b32 v10, v5, v14, s12 :: v_dual_cndmask_b32 v8, v6, v8, s12
	v_dual_cndmask_b32 v9, v9, v6, s12 :: v_dual_cndmask_b32 v17, v4, v15, s12
	;; [unrolled: 1-line block ×3, first 2 shown]
	s_delay_alu instid0(VALU_DEP_3)
	v_cmpx_lt_u32_e64 v8, v25
	s_cbranch_execz .LBB9_1215
; %bb.1205:
	s_mov_b32 s7, 0
	s_mov_b32 s13, exec_lo
	v_cmpx_lt_u32_e64 v9, v24
	s_cbranch_execz .LBB9_1214
; %bb.1206:
	s_and_not1_b32 vcc_lo, exec_lo, s26
	s_cbranch_vccnz .LBB9_1212
; %bb.1207:
	v_mad_nc_u64_u32 v[4:5], v17, s16, s[18:19]
	v_mad_nc_u64_u32 v[6:7], v38, s16, s[18:19]
	s_mov_b32 s15, 0
	s_mov_b64 s[8:9], s[16:17]
                                        ; implicit-def: $sgpr22
                                        ; implicit-def: $sgpr23
                                        ; implicit-def: $sgpr27
                                        ; implicit-def: $sgpr28
	s_delay_alu instid0(VALU_DEP_2) | instskip(NEXT) | instid1(VALU_DEP_2)
	v_mad_u32 v5, v10, s16, v5
	v_mad_u32 v7, v11, s16, v7
	s_delay_alu instid0(VALU_DEP_2) | instskip(NEXT) | instid1(VALU_DEP_2)
	v_mad_u32 v5, v17, s17, v5
	v_mad_u32 v7, v38, s17, v7
	s_branch .LBB9_1209
.LBB9_1208:                             ;   in Loop: Header=BB9_1209 Depth=1
	s_or_b32 exec_lo, exec_lo, s29
	s_delay_alu instid0(SALU_CYCLE_1) | instskip(NEXT) | instid1(SALU_CYCLE_1)
	s_and_b32 s29, exec_lo, s23
	s_or_b32 s15, s29, s15
	s_and_not1_b32 s28, s28, exec_lo
	s_and_b32 s7, s7, exec_lo
	s_and_not1_b32 s22, s22, exec_lo
	s_and_b32 s29, s27, exec_lo
	s_or_b32 s28, s28, s7
	s_or_b32 s22, s22, s29
	s_and_not1_b32 exec_lo, exec_lo, s15
	s_cbranch_execz .LBB9_1211
.LBB9_1209:                             ; =>This Inner Loop Header: Depth=1
	global_load_u8 v12, v[4:5], off
	global_load_u8 v13, v[6:7], off
	s_and_not1_b32 s27, s27, exec_lo
	s_or_b32 s23, s23, exec_lo
	s_wait_loadcnt 0x1
	v_and_b32_e32 v12, 0xff, v12
	s_wait_loadcnt 0x0
	v_and_b32_e32 v13, 0xff, v13
	s_delay_alu instid0(VALU_DEP_1) | instskip(SKIP_2) | instid1(SALU_CYCLE_1)
	v_cmp_le_u16_e32 vcc_lo, v12, v13
	v_cmp_lt_u16_e64 s7, v12, v13
	s_and_b32 s29, vcc_lo, s28
	s_or_b32 s7, s7, s29
	s_delay_alu instid0(SALU_CYCLE_1) | instskip(NEXT) | instid1(SALU_CYCLE_1)
	s_and_b32 s29, s7, exec_lo
	s_or_b32 s27, s27, s29
	s_mov_b32 s29, exec_lo
	v_cmpx_eq_u16_e64 v12, v13
	s_cbranch_execz .LBB9_1208
; %bb.1210:                             ;   in Loop: Header=BB9_1209 Depth=1
	s_add_nc_u64 s[8:9], s[8:9], -1
	v_add_nc_u64_e32 v[4:5], 1, v[4:5]
	s_cmp_eq_u64 s[8:9], 0
	v_add_nc_u64_e32 v[6:7], 1, v[6:7]
	s_cselect_b32 s28, -1, 0
	s_and_not1_b32 s23, s23, exec_lo
	s_and_b32 s28, s28, exec_lo
	s_and_not1_b32 s27, s27, exec_lo
	s_or_b32 s23, s23, s28
                                        ; implicit-def: $sgpr28
	s_branch .LBB9_1208
.LBB9_1211:
	s_or_b32 exec_lo, exec_lo, s15
	s_xor_b32 s7, s22, -1
	s_branch .LBB9_1213
.LBB9_1212:
	s_mov_b32 s7, -1
.LBB9_1213:
	s_delay_alu instid0(SALU_CYCLE_1)
	s_and_b32 s7, s7, exec_lo
.LBB9_1214:
	s_or_b32 exec_lo, exec_lo, s13
	s_delay_alu instid0(SALU_CYCLE_1)
	s_or_not1_b32 s13, s7, exec_lo
.LBB9_1215:
	s_or_b32 exec_lo, exec_lo, s14
	v_dual_cndmask_b32 v4, v8, v9, s13 :: v_dual_cndmask_b32 v5, v25, v24, s13
	s_mov_b32 s15, -1
	s_mov_b32 s14, -1
	s_mov_b32 s22, exec_lo
	s_delay_alu instid0(VALU_DEP_1) | instskip(NEXT) | instid1(VALU_DEP_1)
	v_add_nc_u32_e32 v6, 1, v4
	v_add_min_u32_e64 v4, v5, -1, v6
	s_delay_alu instid0(VALU_DEP_1)
	v_lshl_add_u32 v4, v4, 3, v33
	ds_load_b64 v[4:5], v4
	s_wait_dscnt 0x0
	v_dual_cndmask_b32 v12, v5, v10, s13 :: v_dual_cndmask_b32 v8, v6, v8, s13
	v_dual_cndmask_b32 v9, v9, v6, s13 :: v_dual_cndmask_b32 v39, v4, v17, s13
	;; [unrolled: 1-line block ×3, first 2 shown]
	s_delay_alu instid0(VALU_DEP_3)
	v_cmpx_lt_u32_e64 v8, v25
	s_cbranch_execz .LBB9_1226
; %bb.1216:
	s_mov_b32 s7, 0
	s_mov_b32 s14, exec_lo
	v_cmpx_lt_u32_e64 v9, v24
	s_cbranch_execz .LBB9_1225
; %bb.1217:
	s_and_not1_b32 vcc_lo, exec_lo, s26
	s_cbranch_vccnz .LBB9_1223
; %bb.1218:
	v_mad_nc_u64_u32 v[4:5], v39, s16, s[18:19]
	v_mad_nc_u64_u32 v[6:7], v40, s16, s[18:19]
	s_mov_b32 s23, 0
	s_mov_b64 s[8:9], s[16:17]
                                        ; implicit-def: $sgpr27
                                        ; implicit-def: $sgpr28
                                        ; implicit-def: $sgpr29
                                        ; implicit-def: $sgpr30
	s_delay_alu instid0(VALU_DEP_2) | instskip(NEXT) | instid1(VALU_DEP_2)
	v_mad_u32 v5, v12, s16, v5
	v_mad_u32 v7, v13, s16, v7
	s_delay_alu instid0(VALU_DEP_2) | instskip(NEXT) | instid1(VALU_DEP_2)
	v_mad_u32 v5, v39, s17, v5
	v_mad_u32 v7, v40, s17, v7
	s_branch .LBB9_1220
.LBB9_1219:                             ;   in Loop: Header=BB9_1220 Depth=1
	s_or_b32 exec_lo, exec_lo, s31
	s_delay_alu instid0(SALU_CYCLE_1) | instskip(NEXT) | instid1(SALU_CYCLE_1)
	s_and_b32 s31, exec_lo, s28
	s_or_b32 s23, s31, s23
	s_and_not1_b32 s30, s30, exec_lo
	s_and_b32 s7, s7, exec_lo
	s_and_not1_b32 s27, s27, exec_lo
	s_and_b32 s31, s29, exec_lo
	s_or_b32 s30, s30, s7
	s_or_b32 s27, s27, s31
	s_and_not1_b32 exec_lo, exec_lo, s23
	s_cbranch_execz .LBB9_1222
.LBB9_1220:                             ; =>This Inner Loop Header: Depth=1
	global_load_u8 v22, v[4:5], off
	global_load_u8 v23, v[6:7], off
	s_and_not1_b32 s29, s29, exec_lo
	s_or_b32 s28, s28, exec_lo
	s_wait_loadcnt 0x1
	v_and_b32_e32 v22, 0xff, v22
	s_wait_loadcnt 0x0
	v_and_b32_e32 v23, 0xff, v23
	s_delay_alu instid0(VALU_DEP_1) | instskip(SKIP_2) | instid1(SALU_CYCLE_1)
	v_cmp_le_u16_e32 vcc_lo, v22, v23
	v_cmp_lt_u16_e64 s7, v22, v23
	s_and_b32 s31, vcc_lo, s30
	s_or_b32 s7, s7, s31
	s_delay_alu instid0(SALU_CYCLE_1) | instskip(NEXT) | instid1(SALU_CYCLE_1)
	s_and_b32 s31, s7, exec_lo
	s_or_b32 s29, s29, s31
	s_mov_b32 s31, exec_lo
	v_cmpx_eq_u16_e64 v22, v23
	s_cbranch_execz .LBB9_1219
; %bb.1221:                             ;   in Loop: Header=BB9_1220 Depth=1
	s_add_nc_u64 s[8:9], s[8:9], -1
	v_add_nc_u64_e32 v[4:5], 1, v[4:5]
	s_cmp_eq_u64 s[8:9], 0
	v_add_nc_u64_e32 v[6:7], 1, v[6:7]
	s_cselect_b32 s30, -1, 0
	s_and_not1_b32 s28, s28, exec_lo
	s_and_b32 s30, s30, exec_lo
	s_and_not1_b32 s29, s29, exec_lo
	s_or_b32 s28, s28, s30
                                        ; implicit-def: $sgpr30
	s_branch .LBB9_1219
.LBB9_1222:
	s_or_b32 exec_lo, exec_lo, s23
	s_xor_b32 s7, s27, -1
	s_branch .LBB9_1224
.LBB9_1223:
	s_mov_b32 s7, -1
.LBB9_1224:
	s_delay_alu instid0(SALU_CYCLE_1)
	s_and_b32 s7, s7, exec_lo
.LBB9_1225:
	s_or_b32 exec_lo, exec_lo, s14
	s_delay_alu instid0(SALU_CYCLE_1)
	s_or_not1_b32 s14, s7, exec_lo
.LBB9_1226:
	s_or_b32 exec_lo, exec_lo, s22
	v_dual_cndmask_b32 v4, v8, v9, s14 :: v_dual_cndmask_b32 v5, v25, v24, s14
	s_mov_b32 s22, exec_lo
	s_delay_alu instid0(VALU_DEP_1) | instskip(NEXT) | instid1(VALU_DEP_1)
	v_add_nc_u32_e32 v6, 1, v4
	v_add_min_u32_e64 v4, v5, -1, v6
	s_delay_alu instid0(VALU_DEP_1)
	v_lshl_add_u32 v4, v4, 3, v33
	ds_load_b64 v[4:5], v4
	s_wait_dscnt 0x0
	v_dual_cndmask_b32 v41, v5, v12, s14 :: v_dual_cndmask_b32 v42, v4, v39, s14
	v_dual_cndmask_b32 v8, v6, v8, s14 :: v_dual_cndmask_b32 v9, v9, v6, s14
	;; [unrolled: 1-line block ×3, first 2 shown]
	s_delay_alu instid0(VALU_DEP_2)
	v_cmpx_lt_u32_e64 v8, v25
	s_cbranch_execz .LBB9_1237
; %bb.1227:
	s_mov_b32 s7, 0
	s_mov_b32 s15, exec_lo
	v_cmpx_lt_u32_e64 v9, v24
	s_cbranch_execz .LBB9_1236
; %bb.1228:
	s_and_not1_b32 vcc_lo, exec_lo, s26
	s_cbranch_vccnz .LBB9_1234
; %bb.1229:
	v_mad_nc_u64_u32 v[4:5], v42, s16, s[18:19]
	v_mad_nc_u64_u32 v[6:7], v44, s16, s[18:19]
	s_mov_b32 s23, 0
	s_mov_b64 s[8:9], s[16:17]
                                        ; implicit-def: $sgpr27
                                        ; implicit-def: $sgpr28
                                        ; implicit-def: $sgpr29
                                        ; implicit-def: $sgpr30
	s_delay_alu instid0(VALU_DEP_2) | instskip(NEXT) | instid1(VALU_DEP_2)
	v_mad_u32 v5, v41, s16, v5
	v_mad_u32 v7, v43, s16, v7
	s_delay_alu instid0(VALU_DEP_2) | instskip(NEXT) | instid1(VALU_DEP_2)
	v_mad_u32 v5, v42, s17, v5
	v_mad_u32 v7, v44, s17, v7
	s_branch .LBB9_1231
.LBB9_1230:                             ;   in Loop: Header=BB9_1231 Depth=1
	s_or_b32 exec_lo, exec_lo, s31
	s_delay_alu instid0(SALU_CYCLE_1) | instskip(NEXT) | instid1(SALU_CYCLE_1)
	s_and_b32 s31, exec_lo, s28
	s_or_b32 s23, s31, s23
	s_and_not1_b32 s30, s30, exec_lo
	s_and_b32 s7, s7, exec_lo
	s_and_not1_b32 s27, s27, exec_lo
	s_and_b32 s31, s29, exec_lo
	s_or_b32 s30, s30, s7
	s_or_b32 s27, s27, s31
	s_and_not1_b32 exec_lo, exec_lo, s23
	s_cbranch_execz .LBB9_1233
.LBB9_1231:                             ; =>This Inner Loop Header: Depth=1
	global_load_u8 v22, v[4:5], off
	global_load_u8 v23, v[6:7], off
	s_and_not1_b32 s29, s29, exec_lo
	s_or_b32 s28, s28, exec_lo
	s_wait_loadcnt 0x1
	v_and_b32_e32 v22, 0xff, v22
	s_wait_loadcnt 0x0
	v_and_b32_e32 v23, 0xff, v23
	s_delay_alu instid0(VALU_DEP_1) | instskip(SKIP_2) | instid1(SALU_CYCLE_1)
	v_cmp_le_u16_e32 vcc_lo, v22, v23
	v_cmp_lt_u16_e64 s7, v22, v23
	s_and_b32 s31, vcc_lo, s30
	s_or_b32 s7, s7, s31
	s_delay_alu instid0(SALU_CYCLE_1) | instskip(NEXT) | instid1(SALU_CYCLE_1)
	s_and_b32 s31, s7, exec_lo
	s_or_b32 s29, s29, s31
	s_mov_b32 s31, exec_lo
	v_cmpx_eq_u16_e64 v22, v23
	s_cbranch_execz .LBB9_1230
; %bb.1232:                             ;   in Loop: Header=BB9_1231 Depth=1
	s_add_nc_u64 s[8:9], s[8:9], -1
	v_add_nc_u64_e32 v[4:5], 1, v[4:5]
	s_cmp_eq_u64 s[8:9], 0
	v_add_nc_u64_e32 v[6:7], 1, v[6:7]
	s_cselect_b32 s30, -1, 0
	s_and_not1_b32 s28, s28, exec_lo
	s_and_b32 s30, s30, exec_lo
	s_and_not1_b32 s29, s29, exec_lo
	s_or_b32 s28, s28, s30
                                        ; implicit-def: $sgpr30
	s_branch .LBB9_1230
.LBB9_1233:
	s_or_b32 exec_lo, exec_lo, s23
	s_xor_b32 s7, s27, -1
	s_branch .LBB9_1235
.LBB9_1234:
	s_mov_b32 s7, -1
.LBB9_1235:
	s_delay_alu instid0(SALU_CYCLE_1)
	s_and_b32 s7, s7, exec_lo
.LBB9_1236:
	s_or_b32 exec_lo, exec_lo, s15
	s_delay_alu instid0(SALU_CYCLE_1)
	s_or_not1_b32 s15, s7, exec_lo
.LBB9_1237:
	s_or_b32 exec_lo, exec_lo, s22
	v_dual_cndmask_b32 v4, v8, v9, s15 :: v_dual_cndmask_b32 v5, v25, v24, s15
	s_mov_b32 s22, -1
	s_mov_b32 s23, -1
	s_mov_b32 s27, exec_lo
	s_delay_alu instid0(VALU_DEP_1) | instskip(NEXT) | instid1(VALU_DEP_1)
	v_add_nc_u32_e32 v6, 1, v4
	v_add_min_u32_e64 v4, v5, -1, v6
	v_cndmask_b32_e64 v22, v6, v8, s15
	s_delay_alu instid0(VALU_DEP_2)
	v_lshl_add_u32 v4, v4, 3, v33
	ds_load_b64 v[4:5], v4
	s_wait_dscnt 0x0
	v_cndmask_b32_e64 v8, v5, v41, s15
	v_cndmask_b32_e64 v23, v9, v6, s15
	v_dual_cndmask_b32 v45, v4, v42, s15 :: v_dual_cndmask_b32 v9, v43, v5, s15
	v_cndmask_b32_e64 v46, v44, v4, s15
	v_cmpx_lt_u32_e64 v22, v25
	s_cbranch_execz .LBB9_1248
; %bb.1238:
	s_mov_b32 s7, 0
	s_mov_b32 s23, exec_lo
	v_cmpx_lt_u32_e64 v23, v24
	s_cbranch_execz .LBB9_1247
; %bb.1239:
	s_and_not1_b32 vcc_lo, exec_lo, s26
	s_cbranch_vccnz .LBB9_1245
; %bb.1240:
	v_mad_nc_u64_u32 v[4:5], v45, s16, s[18:19]
	v_mad_nc_u64_u32 v[6:7], v46, s16, s[18:19]
	s_mov_b32 s28, 0
	s_mov_b64 s[8:9], s[16:17]
                                        ; implicit-def: $sgpr29
                                        ; implicit-def: $sgpr30
                                        ; implicit-def: $sgpr31
                                        ; implicit-def: $sgpr33
	s_delay_alu instid0(VALU_DEP_2) | instskip(NEXT) | instid1(VALU_DEP_2)
	v_mad_u32 v5, v8, s16, v5
	v_mad_u32 v7, v9, s16, v7
	s_delay_alu instid0(VALU_DEP_2) | instskip(NEXT) | instid1(VALU_DEP_2)
	v_mad_u32 v5, v45, s17, v5
	v_mad_u32 v7, v46, s17, v7
	s_branch .LBB9_1242
.LBB9_1241:                             ;   in Loop: Header=BB9_1242 Depth=1
	s_or_b32 exec_lo, exec_lo, s34
	s_delay_alu instid0(SALU_CYCLE_1) | instskip(NEXT) | instid1(SALU_CYCLE_1)
	s_and_b32 s34, exec_lo, s30
	s_or_b32 s28, s34, s28
	s_and_not1_b32 s33, s33, exec_lo
	s_and_b32 s7, s7, exec_lo
	s_and_not1_b32 s29, s29, exec_lo
	s_and_b32 s34, s31, exec_lo
	s_or_b32 s33, s33, s7
	s_or_b32 s29, s29, s34
	s_and_not1_b32 exec_lo, exec_lo, s28
	s_cbranch_execz .LBB9_1244
.LBB9_1242:                             ; =>This Inner Loop Header: Depth=1
	global_load_u8 v47, v[4:5], off
	global_load_u8 v48, v[6:7], off
	s_and_not1_b32 s31, s31, exec_lo
	s_or_b32 s30, s30, exec_lo
	s_wait_loadcnt 0x1
	v_and_b32_e32 v47, 0xff, v47
	s_wait_loadcnt 0x0
	v_and_b32_e32 v48, 0xff, v48
	s_delay_alu instid0(VALU_DEP_1) | instskip(SKIP_2) | instid1(SALU_CYCLE_1)
	v_cmp_le_u16_e32 vcc_lo, v47, v48
	v_cmp_lt_u16_e64 s7, v47, v48
	s_and_b32 s34, vcc_lo, s33
	s_or_b32 s7, s7, s34
	s_delay_alu instid0(SALU_CYCLE_1) | instskip(NEXT) | instid1(SALU_CYCLE_1)
	s_and_b32 s34, s7, exec_lo
	s_or_b32 s31, s31, s34
	s_mov_b32 s34, exec_lo
	v_cmpx_eq_u16_e64 v47, v48
	s_cbranch_execz .LBB9_1241
; %bb.1243:                             ;   in Loop: Header=BB9_1242 Depth=1
	s_add_nc_u64 s[8:9], s[8:9], -1
	v_add_nc_u64_e32 v[4:5], 1, v[4:5]
	s_cmp_eq_u64 s[8:9], 0
	v_add_nc_u64_e32 v[6:7], 1, v[6:7]
	s_cselect_b32 s33, -1, 0
	s_and_not1_b32 s30, s30, exec_lo
	s_and_b32 s33, s33, exec_lo
	s_and_not1_b32 s31, s31, exec_lo
	s_or_b32 s30, s30, s33
                                        ; implicit-def: $sgpr33
	s_branch .LBB9_1241
.LBB9_1244:
	s_or_b32 exec_lo, exec_lo, s28
	s_xor_b32 s7, s29, -1
	s_branch .LBB9_1246
.LBB9_1245:
	s_mov_b32 s7, -1
.LBB9_1246:
	s_delay_alu instid0(SALU_CYCLE_1)
	s_and_b32 s7, s7, exec_lo
.LBB9_1247:
	s_or_b32 exec_lo, exec_lo, s23
	s_delay_alu instid0(SALU_CYCLE_1)
	s_or_not1_b32 s23, s7, exec_lo
.LBB9_1248:
	s_or_b32 exec_lo, exec_lo, s27
	v_dual_cndmask_b32 v4, v22, v23, s23 :: v_dual_cndmask_b32 v5, v25, v24, s23
	s_mov_b32 s27, exec_lo
	s_delay_alu instid0(VALU_DEP_1) | instskip(NEXT) | instid1(VALU_DEP_1)
	v_add_nc_u32_e32 v6, 1, v4
	v_add_min_u32_e64 v4, v5, -1, v6
	s_delay_alu instid0(VALU_DEP_1)
	v_lshl_add_u32 v4, v4, 3, v33
	ds_load_b64 v[4:5], v4
	s_wait_dscnt 0x0
	v_dual_cndmask_b32 v48, v5, v8, s23 :: v_dual_cndmask_b32 v49, v4, v45, s23
	v_cndmask_b32_e64 v50, v6, v22, s23
	v_dual_cndmask_b32 v47, v23, v6, s23 :: v_dual_cndmask_b32 v51, v9, v5, s23
	v_cndmask_b32_e64 v52, v46, v4, s23
	s_delay_alu instid0(VALU_DEP_3)
	v_cmpx_lt_u32_e64 v50, v25
	s_cbranch_execz .LBB9_1259
; %bb.1249:
	s_mov_b32 s7, 0
	s_mov_b32 s22, exec_lo
	v_cmpx_lt_u32_e64 v47, v24
	s_cbranch_execz .LBB9_1258
; %bb.1250:
	s_and_not1_b32 vcc_lo, exec_lo, s26
	s_cbranch_vccnz .LBB9_1256
; %bb.1251:
	v_mad_nc_u64_u32 v[4:5], v49, s16, s[18:19]
	v_mad_nc_u64_u32 v[6:7], v52, s16, s[18:19]
	s_mov_b32 s28, 0
	s_mov_b64 s[8:9], s[16:17]
                                        ; implicit-def: $sgpr29
                                        ; implicit-def: $sgpr30
                                        ; implicit-def: $sgpr31
                                        ; implicit-def: $sgpr33
	s_delay_alu instid0(VALU_DEP_2) | instskip(NEXT) | instid1(VALU_DEP_2)
	v_mad_u32 v5, v48, s16, v5
	v_mad_u32 v7, v51, s16, v7
	s_delay_alu instid0(VALU_DEP_2) | instskip(NEXT) | instid1(VALU_DEP_2)
	v_mad_u32 v5, v49, s17, v5
	v_mad_u32 v7, v52, s17, v7
	s_branch .LBB9_1253
.LBB9_1252:                             ;   in Loop: Header=BB9_1253 Depth=1
	s_or_b32 exec_lo, exec_lo, s34
	s_delay_alu instid0(SALU_CYCLE_1) | instskip(NEXT) | instid1(SALU_CYCLE_1)
	s_and_b32 s34, exec_lo, s30
	s_or_b32 s28, s34, s28
	s_and_not1_b32 s33, s33, exec_lo
	s_and_b32 s7, s7, exec_lo
	s_and_not1_b32 s29, s29, exec_lo
	s_and_b32 s34, s31, exec_lo
	s_or_b32 s33, s33, s7
	s_or_b32 s29, s29, s34
	s_and_not1_b32 exec_lo, exec_lo, s28
	s_cbranch_execz .LBB9_1255
.LBB9_1253:                             ; =>This Inner Loop Header: Depth=1
	global_load_u8 v22, v[4:5], off
	global_load_u8 v23, v[6:7], off
	s_and_not1_b32 s31, s31, exec_lo
	s_or_b32 s30, s30, exec_lo
	s_wait_loadcnt 0x1
	v_and_b32_e32 v22, 0xff, v22
	s_wait_loadcnt 0x0
	v_and_b32_e32 v23, 0xff, v23
	s_delay_alu instid0(VALU_DEP_1) | instskip(SKIP_2) | instid1(SALU_CYCLE_1)
	v_cmp_le_u16_e32 vcc_lo, v22, v23
	v_cmp_lt_u16_e64 s7, v22, v23
	s_and_b32 s34, vcc_lo, s33
	s_or_b32 s7, s7, s34
	s_delay_alu instid0(SALU_CYCLE_1) | instskip(NEXT) | instid1(SALU_CYCLE_1)
	s_and_b32 s34, s7, exec_lo
	s_or_b32 s31, s31, s34
	s_mov_b32 s34, exec_lo
	v_cmpx_eq_u16_e64 v22, v23
	s_cbranch_execz .LBB9_1252
; %bb.1254:                             ;   in Loop: Header=BB9_1253 Depth=1
	s_add_nc_u64 s[8:9], s[8:9], -1
	v_add_nc_u64_e32 v[4:5], 1, v[4:5]
	s_cmp_eq_u64 s[8:9], 0
	v_add_nc_u64_e32 v[6:7], 1, v[6:7]
	s_cselect_b32 s33, -1, 0
	s_and_not1_b32 s30, s30, exec_lo
	s_and_b32 s33, s33, exec_lo
	s_and_not1_b32 s31, s31, exec_lo
	s_or_b32 s30, s30, s33
                                        ; implicit-def: $sgpr33
	s_branch .LBB9_1252
.LBB9_1255:
	s_or_b32 exec_lo, exec_lo, s28
	s_xor_b32 s7, s29, -1
	s_branch .LBB9_1257
.LBB9_1256:
	s_mov_b32 s7, -1
.LBB9_1257:
	s_delay_alu instid0(SALU_CYCLE_1)
	s_and_b32 s7, s7, exec_lo
.LBB9_1258:
	s_or_b32 exec_lo, exec_lo, s22
	s_delay_alu instid0(SALU_CYCLE_1)
	s_or_not1_b32 s22, s7, exec_lo
.LBB9_1259:
	s_or_b32 exec_lo, exec_lo, s27
	v_dual_cndmask_b32 v4, v50, v47, s22 :: v_dual_cndmask_b32 v5, v25, v24, s22
	v_dual_cndmask_b32 v7, v41, v43, s15 :: v_dual_cndmask_b32 v13, v12, v13, s14
	;; [unrolled: 1-line block ×3, first 2 shown]
	s_delay_alu instid0(VALU_DEP_3) | instskip(SKIP_2) | instid1(VALU_DEP_3)
	v_dual_add_nc_u32 v53, 1, v4 :: v_dual_cndmask_b32 v9, v8, v9, s23
	v_dual_cndmask_b32 v8, v45, v46, s23 :: v_dual_cndmask_b32 v6, v42, v44, s15
	v_dual_cndmask_b32 v10, v17, v38, s13 :: v_dual_cndmask_b32 v17, v14, v16, s12
	v_add_min_u32_e64 v4, v5, -1, v53
	v_dual_cndmask_b32 v16, v15, v37, s12 :: v_dual_cndmask_b32 v14, v2, v0, s11
	v_dual_cndmask_b32 v15, v3, v1, s11 :: v_dual_cndmask_b32 v0, v53, v50, s22
	s_delay_alu instid0(VALU_DEP_3)
	v_lshl_add_u32 v4, v4, 3, v33
	v_dual_cndmask_b32 v3, v48, v51, s22 :: v_dual_cndmask_b32 v2, v49, v52, s22
	s_mov_b32 s11, exec_lo
	ds_load_b64 v[22:23], v4
	s_wait_dscnt 0x0
	v_dual_cndmask_b32 v5, v51, v23, s22 :: v_dual_cndmask_b32 v4, v52, v22, s22
	v_cmpx_lt_u32_e64 v0, v25
	s_cbranch_execz .LBB9_1269
; %bb.1260:
	v_cndmask_b32_e64 v25, v47, v53, s22
	v_dual_cndmask_b32 v1, v23, v48, s22 :: v_dual_cndmask_b32 v0, v22, v49, s22
	s_mov_b32 s12, exec_lo
	s_delay_alu instid0(VALU_DEP_2)
	v_cmpx_lt_u32_e64 v25, v24
	s_cbranch_execz .LBB9_1268
; %bb.1261:
	s_and_not1_b32 vcc_lo, exec_lo, s26
	s_cbranch_vccnz .LBB9_1267
; %bb.1262:
	v_mad_nc_u64_u32 v[22:23], v0, s16, s[18:19]
	v_mad_nc_u64_u32 v[24:25], v4, s16, s[18:19]
	s_mov_b32 s13, 0
	s_mov_b64 s[8:9], s[16:17]
                                        ; implicit-def: $sgpr14
                                        ; implicit-def: $sgpr15
                                        ; implicit-def: $sgpr22
                                        ; implicit-def: $sgpr23
	s_delay_alu instid0(VALU_DEP_2) | instskip(NEXT) | instid1(VALU_DEP_2)
	v_mad_u32 v23, v1, s16, v23
	v_mad_u32 v25, v5, s16, v25
	s_delay_alu instid0(VALU_DEP_2) | instskip(NEXT) | instid1(VALU_DEP_2)
	v_mad_u32 v23, v0, s17, v23
	v_mad_u32 v25, v4, s17, v25
	s_branch .LBB9_1264
.LBB9_1263:                             ;   in Loop: Header=BB9_1264 Depth=1
	s_or_b32 exec_lo, exec_lo, s27
	s_delay_alu instid0(SALU_CYCLE_1) | instskip(NEXT) | instid1(SALU_CYCLE_1)
	s_and_b32 s27, exec_lo, s15
	s_or_b32 s13, s27, s13
	s_and_not1_b32 s23, s23, exec_lo
	s_and_b32 s7, s7, exec_lo
	s_and_not1_b32 s14, s14, exec_lo
	s_and_b32 s27, s22, exec_lo
	s_or_b32 s23, s23, s7
	s_or_b32 s14, s14, s27
	s_and_not1_b32 exec_lo, exec_lo, s13
	s_cbranch_execz .LBB9_1266
.LBB9_1264:                             ; =>This Inner Loop Header: Depth=1
	global_load_u8 v37, v[22:23], off
	global_load_u8 v38, v[24:25], off
	s_and_not1_b32 s22, s22, exec_lo
	s_or_b32 s15, s15, exec_lo
	s_wait_loadcnt 0x1
	v_and_b32_e32 v37, 0xff, v37
	s_wait_loadcnt 0x0
	v_and_b32_e32 v38, 0xff, v38
	s_delay_alu instid0(VALU_DEP_1) | instskip(SKIP_2) | instid1(SALU_CYCLE_1)
	v_cmp_le_u16_e32 vcc_lo, v37, v38
	v_cmp_lt_u16_e64 s7, v37, v38
	s_and_b32 s27, vcc_lo, s23
	s_or_b32 s7, s7, s27
	s_delay_alu instid0(SALU_CYCLE_1) | instskip(NEXT) | instid1(SALU_CYCLE_1)
	s_and_b32 s27, s7, exec_lo
	s_or_b32 s22, s22, s27
	s_mov_b32 s27, exec_lo
	v_cmpx_eq_u16_e64 v37, v38
	s_cbranch_execz .LBB9_1263
; %bb.1265:                             ;   in Loop: Header=BB9_1264 Depth=1
	s_add_nc_u64 s[8:9], s[8:9], -1
	v_add_nc_u64_e32 v[22:23], 1, v[22:23]
	s_cmp_eq_u64 s[8:9], 0
	v_add_nc_u64_e32 v[24:25], 1, v[24:25]
	s_cselect_b32 s23, -1, 0
	s_and_not1_b32 s15, s15, exec_lo
	s_and_b32 s23, s23, exec_lo
	s_and_not1_b32 s22, s22, exec_lo
	s_or_b32 s15, s15, s23
                                        ; implicit-def: $sgpr23
	s_branch .LBB9_1263
.LBB9_1266:
	s_or_b32 exec_lo, exec_lo, s13
	v_dual_cndmask_b32 v5, v5, v1, s14 :: v_dual_cndmask_b32 v4, v4, v0, s14
.LBB9_1267:
	s_delay_alu instid0(VALU_DEP_1)
	v_mov_b64_e32 v[0:1], v[4:5]
.LBB9_1268:
	s_or_b32 exec_lo, exec_lo, s12
	s_delay_alu instid0(VALU_DEP_1)
	v_mov_b64_e32 v[4:5], v[0:1]
.LBB9_1269:
	s_or_b32 exec_lo, exec_lo, s11
.LBB9_1270:
	s_delay_alu instid0(SALU_CYCLE_1)
	s_or_b32 exec_lo, exec_lo, s10
	v_and_b32_e32 v37, 0x80, v35
	s_mov_b32 s10, exec_lo
	; wave barrier
	ds_store_b128 v36, v[14:17]
	ds_store_b128 v36, v[10:13] offset:16
	v_or_b32_e32 v0, 64, v37
	ds_store_b128 v36, v[6:9] offset:32
	ds_store_b128 v36, v[2:5] offset:48
	; wave barrier
	v_min_u32_e32 v24, v34, v0
	v_and_b32_e32 v0, 0x78, v35
	v_lshl_add_u32 v35, v37, 3, v33
	s_delay_alu instid0(VALU_DEP_3) | instskip(NEXT) | instid1(VALU_DEP_3)
	v_add_min_u32_e64 v25, v24, 64, v34
	v_min_u32_e32 v38, v34, v0
	s_delay_alu instid0(VALU_DEP_2) | instskip(NEXT) | instid1(VALU_DEP_1)
	v_dual_sub_nc_u32 v1, v24, v37 :: v_dual_sub_nc_u32 v0, v25, v24
	v_min_u32_e32 v39, v38, v1
	s_delay_alu instid0(VALU_DEP_2) | instskip(NEXT) | instid1(VALU_DEP_1)
	v_sub_nc_u32_e64 v34, v38, v0 clamp
	v_cmpx_lt_u32_e64 v34, v39
	s_cbranch_execz .LBB9_1280
; %bb.1271:
	v_dual_lshlrev_b32 v0, 3, v24 :: v_dual_lshlrev_b32 v1, 3, v38
	s_mov_b32 s11, 0
	s_delay_alu instid0(VALU_DEP_1)
	v_add3_u32 v36, v33, v0, v1
	s_branch .LBB9_1274
.LBB9_1272:                             ;   in Loop: Header=BB9_1274 Depth=1
	s_or_b32 exec_lo, exec_lo, s13
.LBB9_1273:                             ;   in Loop: Header=BB9_1274 Depth=1
	s_delay_alu instid0(VALU_DEP_1) | instskip(NEXT) | instid1(VALU_DEP_1)
	v_dual_add_nc_u32 v0, 1, v40 :: v_dual_cndmask_b32 v39, v39, v40, s12
	v_cndmask_b32_e64 v34, v0, v34, s12
	s_delay_alu instid0(VALU_DEP_1) | instskip(SKIP_1) | instid1(SALU_CYCLE_1)
	v_cmp_ge_u32_e32 vcc_lo, v34, v39
	s_or_b32 s11, vcc_lo, s11
	s_and_not1_b32 exec_lo, exec_lo, s11
	s_cbranch_execz .LBB9_1279
.LBB9_1274:                             ; =>This Loop Header: Depth=1
                                        ;     Child Loop BB9_1277 Depth 2
	v_add_nc_u32_e32 v0, v39, v34
	s_and_not1_b32 vcc_lo, exec_lo, s26
	s_mov_b32 s12, 0
	s_delay_alu instid0(VALU_DEP_1)
	v_lshrrev_b32_e32 v40, 1, v0
	s_cbranch_vccnz .LBB9_1273
; %bb.1275:                             ;   in Loop: Header=BB9_1274 Depth=1
	s_delay_alu instid0(VALU_DEP_1) | instskip(SKIP_3) | instid1(VALU_DEP_2)
	v_not_b32_e32 v0, v40
	v_lshl_add_u32 v1, v40, 3, v35
	s_mov_b32 s13, 0
	s_mov_b64 s[8:9], s[16:17]
                                        ; implicit-def: $sgpr12
                                        ; implicit-def: $sgpr14
                                        ; implicit-def: $sgpr15
                                        ; implicit-def: $sgpr22
	v_lshl_add_u32 v0, v0, 3, v36
	ds_load_b64 v[42:43], v0
	ds_load_b64 v[44:45], v1
	s_wait_dscnt 0x1
	v_mad_nc_u64_u32 v[0:1], v42, s16, s[18:19]
	s_wait_dscnt 0x0
	v_mad_nc_u64_u32 v[22:23], v44, s16, s[18:19]
	s_delay_alu instid0(VALU_DEP_2) | instskip(NEXT) | instid1(VALU_DEP_2)
	v_mad_u32 v1, v43, s16, v1
	v_mad_u32 v23, v45, s16, v23
	s_delay_alu instid0(VALU_DEP_2) | instskip(NEXT) | instid1(VALU_DEP_2)
	v_mad_u32 v1, v42, s17, v1
	v_mad_u32 v23, v44, s17, v23
	s_branch .LBB9_1277
.LBB9_1276:                             ;   in Loop: Header=BB9_1277 Depth=2
	s_or_b32 exec_lo, exec_lo, s23
	s_delay_alu instid0(SALU_CYCLE_1) | instskip(NEXT) | instid1(SALU_CYCLE_1)
	s_and_b32 s23, exec_lo, s14
	s_or_b32 s13, s23, s13
	s_and_not1_b32 s22, s22, exec_lo
	s_and_b32 s7, s7, exec_lo
	s_and_not1_b32 s12, s12, exec_lo
	s_and_b32 s23, s15, exec_lo
	s_or_b32 s22, s22, s7
	s_or_b32 s12, s12, s23
	s_and_not1_b32 exec_lo, exec_lo, s13
	s_cbranch_execz .LBB9_1272
.LBB9_1277:                             ;   Parent Loop BB9_1274 Depth=1
                                        ; =>  This Inner Loop Header: Depth=2
	global_load_u8 v41, v[0:1], off
	global_load_u8 v42, v[22:23], off
	s_and_not1_b32 s15, s15, exec_lo
	s_or_b32 s14, s14, exec_lo
	s_wait_loadcnt 0x1
	v_and_b32_e32 v41, 0xff, v41
	s_wait_loadcnt 0x0
	v_and_b32_e32 v42, 0xff, v42
	s_delay_alu instid0(VALU_DEP_1) | instskip(SKIP_2) | instid1(SALU_CYCLE_1)
	v_cmp_le_u16_e32 vcc_lo, v41, v42
	v_cmp_lt_u16_e64 s7, v41, v42
	s_and_b32 s23, vcc_lo, s22
	s_or_b32 s7, s7, s23
	s_delay_alu instid0(SALU_CYCLE_1) | instskip(NEXT) | instid1(SALU_CYCLE_1)
	s_and_b32 s23, s7, exec_lo
	s_or_b32 s15, s15, s23
	s_mov_b32 s23, exec_lo
	v_cmpx_eq_u16_e64 v41, v42
	s_cbranch_execz .LBB9_1276
; %bb.1278:                             ;   in Loop: Header=BB9_1277 Depth=2
	s_add_nc_u64 s[8:9], s[8:9], -1
	v_add_nc_u64_e32 v[0:1], 1, v[0:1]
	s_cmp_eq_u64 s[8:9], 0
	v_add_nc_u64_e32 v[22:23], 1, v[22:23]
	s_cselect_b32 s22, -1, 0
	s_and_not1_b32 s14, s14, exec_lo
	s_and_b32 s22, s22, exec_lo
	s_and_not1_b32 s15, s15, exec_lo
	s_or_b32 s14, s14, s22
                                        ; implicit-def: $sgpr22
	s_branch .LBB9_1276
.LBB9_1279:
	s_or_b32 exec_lo, exec_lo, s11
.LBB9_1280:
	s_delay_alu instid0(SALU_CYCLE_1) | instskip(SKIP_1) | instid1(VALU_DEP_1)
	s_or_b32 exec_lo, exec_lo, s10
	v_dual_add_nc_u32 v0, v24, v38 :: v_dual_add_nc_u32 v22, v34, v37
	v_sub_nc_u32_e32 v23, v0, v34
	s_delay_alu instid0(VALU_DEP_2) | instskip(NEXT) | instid1(VALU_DEP_2)
	v_cmp_le_u32_e32 vcc_lo, v22, v24
	v_cmp_le_u32_e64 s7, v23, v25
	s_or_b32 s7, vcc_lo, s7
	s_delay_alu instid0(SALU_CYCLE_1)
	s_and_saveexec_b32 s10, s7
	s_cbranch_execz .LBB9_1371
; %bb.1281:
	s_mov_b32 s8, exec_lo
	v_cmp_ge_u32_e32 vcc_lo, v22, v24
                                        ; implicit-def: $vgpr0_vgpr1
	v_cmpx_lt_u32_e64 v22, v24
; %bb.1282:
	v_lshl_add_u32 v0, v34, 3, v35
	ds_load_b64 v[0:1], v0
; %bb.1283:
	s_or_b32 exec_lo, exec_lo, s8
	v_cmp_ge_u32_e64 s11, v23, v25
	s_mov_b32 s8, exec_lo
                                        ; implicit-def: $vgpr2_vgpr3
	v_cmpx_lt_u32_e64 v23, v25
; %bb.1284:
	v_lshl_add_u32 v2, v23, 3, v33
	ds_load_b64 v[2:3], v2
; %bb.1285:
	s_or_b32 exec_lo, exec_lo, s8
	s_nor_b32 s7, vcc_lo, s11
	s_delay_alu instid0(SALU_CYCLE_1)
	s_and_saveexec_b32 s12, s7
	s_cbranch_execz .LBB9_1294
; %bb.1286:
	s_and_not1_b32 vcc_lo, exec_lo, s26
	s_cbranch_vccnz .LBB9_1292
; %bb.1287:
	s_wait_dscnt 0x0
	v_mad_nc_u64_u32 v[4:5], v2, s16, s[18:19]
	v_mad_nc_u64_u32 v[6:7], v0, s16, s[18:19]
	s_mov_b32 s13, 0
	s_mov_b64 s[8:9], s[16:17]
                                        ; implicit-def: $sgpr14
                                        ; implicit-def: $sgpr15
                                        ; implicit-def: $sgpr22
                                        ; implicit-def: $sgpr23
	s_delay_alu instid0(VALU_DEP_2) | instskip(NEXT) | instid1(VALU_DEP_2)
	v_mad_u32 v5, v3, s16, v5
	v_mad_u32 v7, v1, s16, v7
	s_delay_alu instid0(VALU_DEP_2) | instskip(NEXT) | instid1(VALU_DEP_2)
	v_mad_u32 v5, v2, s17, v5
	v_mad_u32 v7, v0, s17, v7
	s_branch .LBB9_1289
.LBB9_1288:                             ;   in Loop: Header=BB9_1289 Depth=1
	s_or_b32 exec_lo, exec_lo, s27
	s_delay_alu instid0(SALU_CYCLE_1) | instskip(NEXT) | instid1(SALU_CYCLE_1)
	s_and_b32 s27, exec_lo, s15
	s_or_b32 s13, s27, s13
	s_and_not1_b32 s23, s23, exec_lo
	s_and_b32 s7, s7, exec_lo
	s_and_not1_b32 s14, s14, exec_lo
	s_and_b32 s27, s22, exec_lo
	s_or_b32 s23, s23, s7
	s_or_b32 s14, s14, s27
	s_and_not1_b32 exec_lo, exec_lo, s13
	s_cbranch_execz .LBB9_1291
.LBB9_1289:                             ; =>This Inner Loop Header: Depth=1
	global_load_u8 v8, v[4:5], off
	global_load_u8 v9, v[6:7], off
	s_and_not1_b32 s22, s22, exec_lo
	s_or_b32 s15, s15, exec_lo
	s_wait_loadcnt 0x1
	v_and_b32_e32 v8, 0xff, v8
	s_wait_loadcnt 0x0
	v_and_b32_e32 v9, 0xff, v9
	s_delay_alu instid0(VALU_DEP_1) | instskip(SKIP_2) | instid1(SALU_CYCLE_1)
	v_cmp_le_u16_e32 vcc_lo, v8, v9
	v_cmp_lt_u16_e64 s7, v8, v9
	s_and_b32 s27, vcc_lo, s23
	s_or_b32 s7, s7, s27
	s_delay_alu instid0(SALU_CYCLE_1) | instskip(NEXT) | instid1(SALU_CYCLE_1)
	s_and_b32 s27, s7, exec_lo
	s_or_b32 s22, s22, s27
	s_mov_b32 s27, exec_lo
	v_cmpx_eq_u16_e64 v8, v9
	s_cbranch_execz .LBB9_1288
; %bb.1290:                             ;   in Loop: Header=BB9_1289 Depth=1
	s_add_nc_u64 s[8:9], s[8:9], -1
	v_add_nc_u64_e32 v[4:5], 1, v[4:5]
	s_cmp_eq_u64 s[8:9], 0
	v_add_nc_u64_e32 v[6:7], 1, v[6:7]
	s_cselect_b32 s23, -1, 0
	s_and_not1_b32 s15, s15, exec_lo
	s_and_b32 s23, s23, exec_lo
	s_and_not1_b32 s22, s22, exec_lo
	s_or_b32 s15, s15, s23
                                        ; implicit-def: $sgpr23
	s_branch .LBB9_1288
.LBB9_1291:
	s_or_b32 exec_lo, exec_lo, s13
	s_xor_b32 s7, s14, -1
	s_branch .LBB9_1293
.LBB9_1292:
	s_mov_b32 s7, -1
.LBB9_1293:
	s_and_not1_b32 s8, s11, exec_lo
	s_and_b32 s7, s7, exec_lo
	s_delay_alu instid0(SALU_CYCLE_1)
	s_or_b32 s11, s8, s7
.LBB9_1294:
	s_or_b32 exec_lo, exec_lo, s12
	v_dual_cndmask_b32 v4, v23, v22, s11 :: v_dual_cndmask_b32 v5, v25, v24, s11
	s_mov_b32 s13, -1
	s_mov_b32 s12, -1
	s_mov_b32 s14, exec_lo
	s_delay_alu instid0(VALU_DEP_1) | instskip(NEXT) | instid1(VALU_DEP_1)
	v_add_nc_u32_e32 v6, 1, v4
	v_add_min_u32_e64 v4, v5, -1, v6
	s_delay_alu instid0(VALU_DEP_1)
	v_lshl_add_u32 v4, v4, 3, v33
	ds_load_b64 v[4:5], v4
	s_wait_dscnt 0x0
	v_cndmask_b32_e64 v14, v5, v3, s11
	v_dual_cndmask_b32 v8, v6, v23, s11 :: v_dual_cndmask_b32 v15, v4, v2, s11
	v_dual_cndmask_b32 v9, v22, v6, s11 :: v_dual_cndmask_b32 v16, v1, v5, s11
	v_cndmask_b32_e64 v34, v0, v4, s11
	s_delay_alu instid0(VALU_DEP_3)
	v_cmpx_lt_u32_e64 v8, v25
	s_cbranch_execz .LBB9_1305
; %bb.1295:
	s_mov_b32 s7, 0
	s_mov_b32 s12, exec_lo
	v_cmpx_lt_u32_e64 v9, v24
	s_cbranch_execz .LBB9_1304
; %bb.1296:
	s_and_not1_b32 vcc_lo, exec_lo, s26
	s_cbranch_vccnz .LBB9_1302
; %bb.1297:
	v_mad_nc_u64_u32 v[4:5], v15, s16, s[18:19]
	v_mad_nc_u64_u32 v[6:7], v34, s16, s[18:19]
	s_mov_b32 s15, 0
	s_mov_b64 s[8:9], s[16:17]
                                        ; implicit-def: $sgpr22
                                        ; implicit-def: $sgpr23
                                        ; implicit-def: $sgpr27
                                        ; implicit-def: $sgpr28
	s_delay_alu instid0(VALU_DEP_2) | instskip(NEXT) | instid1(VALU_DEP_2)
	v_mad_u32 v5, v14, s16, v5
	v_mad_u32 v7, v16, s16, v7
	s_delay_alu instid0(VALU_DEP_2) | instskip(NEXT) | instid1(VALU_DEP_2)
	v_mad_u32 v5, v15, s17, v5
	v_mad_u32 v7, v34, s17, v7
	s_branch .LBB9_1299
.LBB9_1298:                             ;   in Loop: Header=BB9_1299 Depth=1
	s_or_b32 exec_lo, exec_lo, s29
	s_delay_alu instid0(SALU_CYCLE_1) | instskip(NEXT) | instid1(SALU_CYCLE_1)
	s_and_b32 s29, exec_lo, s23
	s_or_b32 s15, s29, s15
	s_and_not1_b32 s28, s28, exec_lo
	s_and_b32 s7, s7, exec_lo
	s_and_not1_b32 s22, s22, exec_lo
	s_and_b32 s29, s27, exec_lo
	s_or_b32 s28, s28, s7
	s_or_b32 s22, s22, s29
	s_and_not1_b32 exec_lo, exec_lo, s15
	s_cbranch_execz .LBB9_1301
.LBB9_1299:                             ; =>This Inner Loop Header: Depth=1
	global_load_u8 v10, v[4:5], off
	global_load_u8 v11, v[6:7], off
	s_and_not1_b32 s27, s27, exec_lo
	s_or_b32 s23, s23, exec_lo
	s_wait_loadcnt 0x1
	v_and_b32_e32 v10, 0xff, v10
	s_wait_loadcnt 0x0
	v_and_b32_e32 v11, 0xff, v11
	s_delay_alu instid0(VALU_DEP_1) | instskip(SKIP_2) | instid1(SALU_CYCLE_1)
	v_cmp_le_u16_e32 vcc_lo, v10, v11
	v_cmp_lt_u16_e64 s7, v10, v11
	s_and_b32 s29, vcc_lo, s28
	s_or_b32 s7, s7, s29
	s_delay_alu instid0(SALU_CYCLE_1) | instskip(NEXT) | instid1(SALU_CYCLE_1)
	s_and_b32 s29, s7, exec_lo
	s_or_b32 s27, s27, s29
	s_mov_b32 s29, exec_lo
	v_cmpx_eq_u16_e64 v10, v11
	s_cbranch_execz .LBB9_1298
; %bb.1300:                             ;   in Loop: Header=BB9_1299 Depth=1
	s_add_nc_u64 s[8:9], s[8:9], -1
	v_add_nc_u64_e32 v[4:5], 1, v[4:5]
	s_cmp_eq_u64 s[8:9], 0
	v_add_nc_u64_e32 v[6:7], 1, v[6:7]
	s_cselect_b32 s28, -1, 0
	s_and_not1_b32 s23, s23, exec_lo
	s_and_b32 s28, s28, exec_lo
	s_and_not1_b32 s27, s27, exec_lo
	s_or_b32 s23, s23, s28
                                        ; implicit-def: $sgpr28
	s_branch .LBB9_1298
.LBB9_1301:
	s_or_b32 exec_lo, exec_lo, s15
	s_xor_b32 s7, s22, -1
	s_branch .LBB9_1303
.LBB9_1302:
	s_mov_b32 s7, -1
.LBB9_1303:
	s_delay_alu instid0(SALU_CYCLE_1)
	s_and_b32 s7, s7, exec_lo
.LBB9_1304:
	s_or_b32 exec_lo, exec_lo, s12
	s_delay_alu instid0(SALU_CYCLE_1)
	s_or_not1_b32 s12, s7, exec_lo
.LBB9_1305:
	s_or_b32 exec_lo, exec_lo, s14
	v_dual_cndmask_b32 v4, v8, v9, s12 :: v_dual_cndmask_b32 v5, v25, v24, s12
	s_mov_b32 s14, exec_lo
	s_delay_alu instid0(VALU_DEP_1) | instskip(NEXT) | instid1(VALU_DEP_1)
	v_add_nc_u32_e32 v6, 1, v4
	v_add_min_u32_e64 v4, v5, -1, v6
	s_delay_alu instid0(VALU_DEP_1)
	v_lshl_add_u32 v4, v4, 3, v33
	ds_load_b64 v[4:5], v4
	s_wait_dscnt 0x0
	v_dual_cndmask_b32 v10, v5, v14, s12 :: v_dual_cndmask_b32 v8, v6, v8, s12
	v_dual_cndmask_b32 v9, v9, v6, s12 :: v_dual_cndmask_b32 v17, v4, v15, s12
	;; [unrolled: 1-line block ×3, first 2 shown]
	s_delay_alu instid0(VALU_DEP_3)
	v_cmpx_lt_u32_e64 v8, v25
	s_cbranch_execz .LBB9_1316
; %bb.1306:
	s_mov_b32 s7, 0
	s_mov_b32 s13, exec_lo
	v_cmpx_lt_u32_e64 v9, v24
	s_cbranch_execz .LBB9_1315
; %bb.1307:
	s_and_not1_b32 vcc_lo, exec_lo, s26
	s_cbranch_vccnz .LBB9_1313
; %bb.1308:
	v_mad_nc_u64_u32 v[4:5], v17, s16, s[18:19]
	v_mad_nc_u64_u32 v[6:7], v35, s16, s[18:19]
	s_mov_b32 s15, 0
	s_mov_b64 s[8:9], s[16:17]
                                        ; implicit-def: $sgpr22
                                        ; implicit-def: $sgpr23
                                        ; implicit-def: $sgpr27
                                        ; implicit-def: $sgpr28
	s_delay_alu instid0(VALU_DEP_2) | instskip(NEXT) | instid1(VALU_DEP_2)
	v_mad_u32 v5, v10, s16, v5
	v_mad_u32 v7, v11, s16, v7
	s_delay_alu instid0(VALU_DEP_2) | instskip(NEXT) | instid1(VALU_DEP_2)
	v_mad_u32 v5, v17, s17, v5
	v_mad_u32 v7, v35, s17, v7
	s_branch .LBB9_1310
.LBB9_1309:                             ;   in Loop: Header=BB9_1310 Depth=1
	s_or_b32 exec_lo, exec_lo, s29
	s_delay_alu instid0(SALU_CYCLE_1) | instskip(NEXT) | instid1(SALU_CYCLE_1)
	s_and_b32 s29, exec_lo, s23
	s_or_b32 s15, s29, s15
	s_and_not1_b32 s28, s28, exec_lo
	s_and_b32 s7, s7, exec_lo
	s_and_not1_b32 s22, s22, exec_lo
	s_and_b32 s29, s27, exec_lo
	s_or_b32 s28, s28, s7
	s_or_b32 s22, s22, s29
	s_and_not1_b32 exec_lo, exec_lo, s15
	s_cbranch_execz .LBB9_1312
.LBB9_1310:                             ; =>This Inner Loop Header: Depth=1
	global_load_u8 v12, v[4:5], off
	global_load_u8 v13, v[6:7], off
	s_and_not1_b32 s27, s27, exec_lo
	s_or_b32 s23, s23, exec_lo
	s_wait_loadcnt 0x1
	v_and_b32_e32 v12, 0xff, v12
	s_wait_loadcnt 0x0
	v_and_b32_e32 v13, 0xff, v13
	s_delay_alu instid0(VALU_DEP_1) | instskip(SKIP_2) | instid1(SALU_CYCLE_1)
	v_cmp_le_u16_e32 vcc_lo, v12, v13
	v_cmp_lt_u16_e64 s7, v12, v13
	s_and_b32 s29, vcc_lo, s28
	s_or_b32 s7, s7, s29
	s_delay_alu instid0(SALU_CYCLE_1) | instskip(NEXT) | instid1(SALU_CYCLE_1)
	s_and_b32 s29, s7, exec_lo
	s_or_b32 s27, s27, s29
	s_mov_b32 s29, exec_lo
	v_cmpx_eq_u16_e64 v12, v13
	s_cbranch_execz .LBB9_1309
; %bb.1311:                             ;   in Loop: Header=BB9_1310 Depth=1
	s_add_nc_u64 s[8:9], s[8:9], -1
	v_add_nc_u64_e32 v[4:5], 1, v[4:5]
	s_cmp_eq_u64 s[8:9], 0
	v_add_nc_u64_e32 v[6:7], 1, v[6:7]
	s_cselect_b32 s28, -1, 0
	s_and_not1_b32 s23, s23, exec_lo
	s_and_b32 s28, s28, exec_lo
	s_and_not1_b32 s27, s27, exec_lo
	s_or_b32 s23, s23, s28
                                        ; implicit-def: $sgpr28
	s_branch .LBB9_1309
.LBB9_1312:
	s_or_b32 exec_lo, exec_lo, s15
	s_xor_b32 s7, s22, -1
	s_branch .LBB9_1314
.LBB9_1313:
	s_mov_b32 s7, -1
.LBB9_1314:
	s_delay_alu instid0(SALU_CYCLE_1)
	s_and_b32 s7, s7, exec_lo
.LBB9_1315:
	s_or_b32 exec_lo, exec_lo, s13
	s_delay_alu instid0(SALU_CYCLE_1)
	s_or_not1_b32 s13, s7, exec_lo
.LBB9_1316:
	s_or_b32 exec_lo, exec_lo, s14
	v_dual_cndmask_b32 v4, v8, v9, s13 :: v_dual_cndmask_b32 v5, v25, v24, s13
	s_mov_b32 s15, -1
	s_mov_b32 s14, -1
	s_mov_b32 s22, exec_lo
	s_delay_alu instid0(VALU_DEP_1) | instskip(NEXT) | instid1(VALU_DEP_1)
	v_add_nc_u32_e32 v6, 1, v4
	v_add_min_u32_e64 v4, v5, -1, v6
	s_delay_alu instid0(VALU_DEP_1)
	v_lshl_add_u32 v4, v4, 3, v33
	ds_load_b64 v[4:5], v4
	s_wait_dscnt 0x0
	v_dual_cndmask_b32 v12, v5, v10, s13 :: v_dual_cndmask_b32 v8, v6, v8, s13
	v_dual_cndmask_b32 v9, v9, v6, s13 :: v_dual_cndmask_b32 v36, v4, v17, s13
	v_cndmask_b32_e64 v37, v35, v4, s13
	v_cndmask_b32_e64 v13, v11, v5, s13
	s_delay_alu instid0(VALU_DEP_4)
	v_cmpx_lt_u32_e64 v8, v25
	s_cbranch_execz .LBB9_1327
; %bb.1317:
	s_mov_b32 s7, 0
	s_mov_b32 s14, exec_lo
	v_cmpx_lt_u32_e64 v9, v24
	s_cbranch_execz .LBB9_1326
; %bb.1318:
	s_and_not1_b32 vcc_lo, exec_lo, s26
	s_cbranch_vccnz .LBB9_1324
; %bb.1319:
	v_mad_nc_u64_u32 v[4:5], v36, s16, s[18:19]
	v_mad_nc_u64_u32 v[6:7], v37, s16, s[18:19]
	s_mov_b32 s23, 0
	s_mov_b64 s[8:9], s[16:17]
                                        ; implicit-def: $sgpr27
                                        ; implicit-def: $sgpr28
                                        ; implicit-def: $sgpr29
                                        ; implicit-def: $sgpr30
	s_delay_alu instid0(VALU_DEP_2) | instskip(NEXT) | instid1(VALU_DEP_2)
	v_mad_u32 v5, v12, s16, v5
	v_mad_u32 v7, v13, s16, v7
	s_delay_alu instid0(VALU_DEP_2) | instskip(NEXT) | instid1(VALU_DEP_2)
	v_mad_u32 v5, v36, s17, v5
	v_mad_u32 v7, v37, s17, v7
	s_branch .LBB9_1321
.LBB9_1320:                             ;   in Loop: Header=BB9_1321 Depth=1
	s_or_b32 exec_lo, exec_lo, s31
	s_delay_alu instid0(SALU_CYCLE_1) | instskip(NEXT) | instid1(SALU_CYCLE_1)
	s_and_b32 s31, exec_lo, s28
	s_or_b32 s23, s31, s23
	s_and_not1_b32 s30, s30, exec_lo
	s_and_b32 s7, s7, exec_lo
	s_and_not1_b32 s27, s27, exec_lo
	s_and_b32 s31, s29, exec_lo
	s_or_b32 s30, s30, s7
	s_or_b32 s27, s27, s31
	s_and_not1_b32 exec_lo, exec_lo, s23
	s_cbranch_execz .LBB9_1323
.LBB9_1321:                             ; =>This Inner Loop Header: Depth=1
	global_load_u8 v22, v[4:5], off
	global_load_u8 v23, v[6:7], off
	s_and_not1_b32 s29, s29, exec_lo
	s_or_b32 s28, s28, exec_lo
	s_wait_loadcnt 0x1
	v_and_b32_e32 v22, 0xff, v22
	s_wait_loadcnt 0x0
	v_and_b32_e32 v23, 0xff, v23
	s_delay_alu instid0(VALU_DEP_1) | instskip(SKIP_2) | instid1(SALU_CYCLE_1)
	v_cmp_le_u16_e32 vcc_lo, v22, v23
	v_cmp_lt_u16_e64 s7, v22, v23
	s_and_b32 s31, vcc_lo, s30
	s_or_b32 s7, s7, s31
	s_delay_alu instid0(SALU_CYCLE_1) | instskip(NEXT) | instid1(SALU_CYCLE_1)
	s_and_b32 s31, s7, exec_lo
	s_or_b32 s29, s29, s31
	s_mov_b32 s31, exec_lo
	v_cmpx_eq_u16_e64 v22, v23
	s_cbranch_execz .LBB9_1320
; %bb.1322:                             ;   in Loop: Header=BB9_1321 Depth=1
	s_add_nc_u64 s[8:9], s[8:9], -1
	v_add_nc_u64_e32 v[4:5], 1, v[4:5]
	s_cmp_eq_u64 s[8:9], 0
	v_add_nc_u64_e32 v[6:7], 1, v[6:7]
	s_cselect_b32 s30, -1, 0
	s_and_not1_b32 s28, s28, exec_lo
	s_and_b32 s30, s30, exec_lo
	s_and_not1_b32 s29, s29, exec_lo
	s_or_b32 s28, s28, s30
                                        ; implicit-def: $sgpr30
	s_branch .LBB9_1320
.LBB9_1323:
	s_or_b32 exec_lo, exec_lo, s23
	s_xor_b32 s7, s27, -1
	s_branch .LBB9_1325
.LBB9_1324:
	s_mov_b32 s7, -1
.LBB9_1325:
	s_delay_alu instid0(SALU_CYCLE_1)
	s_and_b32 s7, s7, exec_lo
.LBB9_1326:
	s_or_b32 exec_lo, exec_lo, s14
	s_delay_alu instid0(SALU_CYCLE_1)
	s_or_not1_b32 s14, s7, exec_lo
.LBB9_1327:
	s_or_b32 exec_lo, exec_lo, s22
	v_dual_cndmask_b32 v4, v8, v9, s14 :: v_dual_cndmask_b32 v5, v25, v24, s14
	s_mov_b32 s22, exec_lo
	s_delay_alu instid0(VALU_DEP_1) | instskip(NEXT) | instid1(VALU_DEP_1)
	v_add_nc_u32_e32 v6, 1, v4
	v_add_min_u32_e64 v4, v5, -1, v6
	s_delay_alu instid0(VALU_DEP_1)
	v_lshl_add_u32 v4, v4, 3, v33
	ds_load_b64 v[4:5], v4
	s_wait_dscnt 0x0
	v_cndmask_b32_e64 v38, v5, v12, s14
	v_dual_cndmask_b32 v39, v4, v36, s14 :: v_dual_cndmask_b32 v40, v13, v5, s14
	v_dual_cndmask_b32 v8, v6, v8, s14 :: v_dual_cndmask_b32 v9, v9, v6, s14
	v_cndmask_b32_e64 v41, v37, v4, s14
	s_delay_alu instid0(VALU_DEP_2)
	v_cmpx_lt_u32_e64 v8, v25
	s_cbranch_execz .LBB9_1338
; %bb.1328:
	s_mov_b32 s7, 0
	s_mov_b32 s15, exec_lo
	v_cmpx_lt_u32_e64 v9, v24
	s_cbranch_execz .LBB9_1337
; %bb.1329:
	s_and_not1_b32 vcc_lo, exec_lo, s26
	s_cbranch_vccnz .LBB9_1335
; %bb.1330:
	v_mad_nc_u64_u32 v[4:5], v39, s16, s[18:19]
	v_mad_nc_u64_u32 v[6:7], v41, s16, s[18:19]
	s_mov_b32 s23, 0
	s_mov_b64 s[8:9], s[16:17]
                                        ; implicit-def: $sgpr27
                                        ; implicit-def: $sgpr28
                                        ; implicit-def: $sgpr29
                                        ; implicit-def: $sgpr30
	s_delay_alu instid0(VALU_DEP_2) | instskip(NEXT) | instid1(VALU_DEP_2)
	v_mad_u32 v5, v38, s16, v5
	v_mad_u32 v7, v40, s16, v7
	s_delay_alu instid0(VALU_DEP_2) | instskip(NEXT) | instid1(VALU_DEP_2)
	v_mad_u32 v5, v39, s17, v5
	v_mad_u32 v7, v41, s17, v7
	s_branch .LBB9_1332
.LBB9_1331:                             ;   in Loop: Header=BB9_1332 Depth=1
	s_or_b32 exec_lo, exec_lo, s31
	s_delay_alu instid0(SALU_CYCLE_1) | instskip(NEXT) | instid1(SALU_CYCLE_1)
	s_and_b32 s31, exec_lo, s28
	s_or_b32 s23, s31, s23
	s_and_not1_b32 s30, s30, exec_lo
	s_and_b32 s7, s7, exec_lo
	s_and_not1_b32 s27, s27, exec_lo
	s_and_b32 s31, s29, exec_lo
	s_or_b32 s30, s30, s7
	s_or_b32 s27, s27, s31
	s_and_not1_b32 exec_lo, exec_lo, s23
	s_cbranch_execz .LBB9_1334
.LBB9_1332:                             ; =>This Inner Loop Header: Depth=1
	global_load_u8 v22, v[4:5], off
	global_load_u8 v23, v[6:7], off
	s_and_not1_b32 s29, s29, exec_lo
	s_or_b32 s28, s28, exec_lo
	s_wait_loadcnt 0x1
	v_and_b32_e32 v22, 0xff, v22
	s_wait_loadcnt 0x0
	v_and_b32_e32 v23, 0xff, v23
	s_delay_alu instid0(VALU_DEP_1) | instskip(SKIP_2) | instid1(SALU_CYCLE_1)
	v_cmp_le_u16_e32 vcc_lo, v22, v23
	v_cmp_lt_u16_e64 s7, v22, v23
	s_and_b32 s31, vcc_lo, s30
	s_or_b32 s7, s7, s31
	s_delay_alu instid0(SALU_CYCLE_1) | instskip(NEXT) | instid1(SALU_CYCLE_1)
	s_and_b32 s31, s7, exec_lo
	s_or_b32 s29, s29, s31
	s_mov_b32 s31, exec_lo
	v_cmpx_eq_u16_e64 v22, v23
	s_cbranch_execz .LBB9_1331
; %bb.1333:                             ;   in Loop: Header=BB9_1332 Depth=1
	s_add_nc_u64 s[8:9], s[8:9], -1
	v_add_nc_u64_e32 v[4:5], 1, v[4:5]
	s_cmp_eq_u64 s[8:9], 0
	v_add_nc_u64_e32 v[6:7], 1, v[6:7]
	s_cselect_b32 s30, -1, 0
	s_and_not1_b32 s28, s28, exec_lo
	s_and_b32 s30, s30, exec_lo
	s_and_not1_b32 s29, s29, exec_lo
	s_or_b32 s28, s28, s30
                                        ; implicit-def: $sgpr30
	s_branch .LBB9_1331
.LBB9_1334:
	s_or_b32 exec_lo, exec_lo, s23
	s_xor_b32 s7, s27, -1
	s_branch .LBB9_1336
.LBB9_1335:
	s_mov_b32 s7, -1
.LBB9_1336:
	s_delay_alu instid0(SALU_CYCLE_1)
	s_and_b32 s7, s7, exec_lo
.LBB9_1337:
	s_or_b32 exec_lo, exec_lo, s15
	s_delay_alu instid0(SALU_CYCLE_1)
	s_or_not1_b32 s15, s7, exec_lo
.LBB9_1338:
	s_or_b32 exec_lo, exec_lo, s22
	v_dual_cndmask_b32 v4, v8, v9, s15 :: v_dual_cndmask_b32 v5, v25, v24, s15
	s_mov_b32 s22, -1
	s_mov_b32 s23, -1
	s_mov_b32 s27, exec_lo
	s_delay_alu instid0(VALU_DEP_1) | instskip(NEXT) | instid1(VALU_DEP_1)
	v_add_nc_u32_e32 v6, 1, v4
	v_add_min_u32_e64 v4, v5, -1, v6
	v_cndmask_b32_e64 v22, v6, v8, s15
	s_delay_alu instid0(VALU_DEP_2)
	v_lshl_add_u32 v4, v4, 3, v33
	ds_load_b64 v[4:5], v4
	s_wait_dscnt 0x0
	v_cndmask_b32_e64 v8, v5, v38, s15
	v_dual_cndmask_b32 v23, v9, v6, s15 :: v_dual_cndmask_b32 v42, v4, v39, s15
	v_dual_cndmask_b32 v43, v41, v4, s15 :: v_dual_cndmask_b32 v9, v40, v5, s15
	v_cmpx_lt_u32_e64 v22, v25
	s_cbranch_execz .LBB9_1349
; %bb.1339:
	s_mov_b32 s7, 0
	s_mov_b32 s23, exec_lo
	v_cmpx_lt_u32_e64 v23, v24
	s_cbranch_execz .LBB9_1348
; %bb.1340:
	s_and_not1_b32 vcc_lo, exec_lo, s26
	s_cbranch_vccnz .LBB9_1346
; %bb.1341:
	v_mad_nc_u64_u32 v[4:5], v42, s16, s[18:19]
	v_mad_nc_u64_u32 v[6:7], v43, s16, s[18:19]
	s_mov_b32 s28, 0
	s_mov_b64 s[8:9], s[16:17]
                                        ; implicit-def: $sgpr29
                                        ; implicit-def: $sgpr30
                                        ; implicit-def: $sgpr31
                                        ; implicit-def: $sgpr33
	s_delay_alu instid0(VALU_DEP_2) | instskip(NEXT) | instid1(VALU_DEP_2)
	v_mad_u32 v5, v8, s16, v5
	v_mad_u32 v7, v9, s16, v7
	s_delay_alu instid0(VALU_DEP_2) | instskip(NEXT) | instid1(VALU_DEP_2)
	v_mad_u32 v5, v42, s17, v5
	v_mad_u32 v7, v43, s17, v7
	s_branch .LBB9_1343
.LBB9_1342:                             ;   in Loop: Header=BB9_1343 Depth=1
	s_or_b32 exec_lo, exec_lo, s34
	s_delay_alu instid0(SALU_CYCLE_1) | instskip(NEXT) | instid1(SALU_CYCLE_1)
	s_and_b32 s34, exec_lo, s30
	s_or_b32 s28, s34, s28
	s_and_not1_b32 s33, s33, exec_lo
	s_and_b32 s7, s7, exec_lo
	s_and_not1_b32 s29, s29, exec_lo
	s_and_b32 s34, s31, exec_lo
	s_or_b32 s33, s33, s7
	s_or_b32 s29, s29, s34
	s_and_not1_b32 exec_lo, exec_lo, s28
	s_cbranch_execz .LBB9_1345
.LBB9_1343:                             ; =>This Inner Loop Header: Depth=1
	global_load_u8 v44, v[4:5], off
	global_load_u8 v45, v[6:7], off
	s_and_not1_b32 s31, s31, exec_lo
	s_or_b32 s30, s30, exec_lo
	s_wait_loadcnt 0x1
	v_and_b32_e32 v44, 0xff, v44
	s_wait_loadcnt 0x0
	v_and_b32_e32 v45, 0xff, v45
	s_delay_alu instid0(VALU_DEP_1) | instskip(SKIP_2) | instid1(SALU_CYCLE_1)
	v_cmp_le_u16_e32 vcc_lo, v44, v45
	v_cmp_lt_u16_e64 s7, v44, v45
	s_and_b32 s34, vcc_lo, s33
	s_or_b32 s7, s7, s34
	s_delay_alu instid0(SALU_CYCLE_1) | instskip(NEXT) | instid1(SALU_CYCLE_1)
	s_and_b32 s34, s7, exec_lo
	s_or_b32 s31, s31, s34
	s_mov_b32 s34, exec_lo
	v_cmpx_eq_u16_e64 v44, v45
	s_cbranch_execz .LBB9_1342
; %bb.1344:                             ;   in Loop: Header=BB9_1343 Depth=1
	s_add_nc_u64 s[8:9], s[8:9], -1
	v_add_nc_u64_e32 v[4:5], 1, v[4:5]
	s_cmp_eq_u64 s[8:9], 0
	v_add_nc_u64_e32 v[6:7], 1, v[6:7]
	s_cselect_b32 s33, -1, 0
	s_and_not1_b32 s30, s30, exec_lo
	s_and_b32 s33, s33, exec_lo
	s_and_not1_b32 s31, s31, exec_lo
	s_or_b32 s30, s30, s33
                                        ; implicit-def: $sgpr33
	s_branch .LBB9_1342
.LBB9_1345:
	s_or_b32 exec_lo, exec_lo, s28
	s_xor_b32 s7, s29, -1
	s_branch .LBB9_1347
.LBB9_1346:
	s_mov_b32 s7, -1
.LBB9_1347:
	s_delay_alu instid0(SALU_CYCLE_1)
	s_and_b32 s7, s7, exec_lo
.LBB9_1348:
	s_or_b32 exec_lo, exec_lo, s23
	s_delay_alu instid0(SALU_CYCLE_1)
	s_or_not1_b32 s23, s7, exec_lo
.LBB9_1349:
	s_or_b32 exec_lo, exec_lo, s27
	v_dual_cndmask_b32 v4, v22, v23, s23 :: v_dual_cndmask_b32 v5, v25, v24, s23
	s_mov_b32 s27, exec_lo
	s_delay_alu instid0(VALU_DEP_1) | instskip(NEXT) | instid1(VALU_DEP_1)
	v_add_nc_u32_e32 v6, 1, v4
	v_add_min_u32_e64 v4, v5, -1, v6
	s_delay_alu instid0(VALU_DEP_1)
	v_lshl_add_u32 v4, v4, 3, v33
	ds_load_b64 v[4:5], v4
	s_wait_dscnt 0x0
	v_dual_cndmask_b32 v45, v5, v8, s23 :: v_dual_cndmask_b32 v46, v4, v42, s23
	v_cndmask_b32_e64 v47, v6, v22, s23
	v_dual_cndmask_b32 v44, v23, v6, s23 :: v_dual_cndmask_b32 v48, v9, v5, s23
	v_cndmask_b32_e64 v49, v43, v4, s23
	s_delay_alu instid0(VALU_DEP_3)
	v_cmpx_lt_u32_e64 v47, v25
	s_cbranch_execz .LBB9_1360
; %bb.1350:
	s_mov_b32 s7, 0
	s_mov_b32 s22, exec_lo
	v_cmpx_lt_u32_e64 v44, v24
	s_cbranch_execz .LBB9_1359
; %bb.1351:
	s_and_not1_b32 vcc_lo, exec_lo, s26
	s_cbranch_vccnz .LBB9_1357
; %bb.1352:
	v_mad_nc_u64_u32 v[4:5], v46, s16, s[18:19]
	v_mad_nc_u64_u32 v[6:7], v49, s16, s[18:19]
	s_mov_b32 s28, 0
	s_mov_b64 s[8:9], s[16:17]
                                        ; implicit-def: $sgpr29
                                        ; implicit-def: $sgpr30
                                        ; implicit-def: $sgpr31
                                        ; implicit-def: $sgpr33
	s_delay_alu instid0(VALU_DEP_2) | instskip(NEXT) | instid1(VALU_DEP_2)
	v_mad_u32 v5, v45, s16, v5
	v_mad_u32 v7, v48, s16, v7
	s_delay_alu instid0(VALU_DEP_2) | instskip(NEXT) | instid1(VALU_DEP_2)
	v_mad_u32 v5, v46, s17, v5
	v_mad_u32 v7, v49, s17, v7
	s_branch .LBB9_1354
.LBB9_1353:                             ;   in Loop: Header=BB9_1354 Depth=1
	s_or_b32 exec_lo, exec_lo, s34
	s_delay_alu instid0(SALU_CYCLE_1) | instskip(NEXT) | instid1(SALU_CYCLE_1)
	s_and_b32 s34, exec_lo, s30
	s_or_b32 s28, s34, s28
	s_and_not1_b32 s33, s33, exec_lo
	s_and_b32 s7, s7, exec_lo
	s_and_not1_b32 s29, s29, exec_lo
	s_and_b32 s34, s31, exec_lo
	s_or_b32 s33, s33, s7
	s_or_b32 s29, s29, s34
	s_and_not1_b32 exec_lo, exec_lo, s28
	s_cbranch_execz .LBB9_1356
.LBB9_1354:                             ; =>This Inner Loop Header: Depth=1
	global_load_u8 v22, v[4:5], off
	global_load_u8 v23, v[6:7], off
	s_and_not1_b32 s31, s31, exec_lo
	s_or_b32 s30, s30, exec_lo
	s_wait_loadcnt 0x1
	v_and_b32_e32 v22, 0xff, v22
	s_wait_loadcnt 0x0
	v_and_b32_e32 v23, 0xff, v23
	s_delay_alu instid0(VALU_DEP_1) | instskip(SKIP_2) | instid1(SALU_CYCLE_1)
	v_cmp_le_u16_e32 vcc_lo, v22, v23
	v_cmp_lt_u16_e64 s7, v22, v23
	s_and_b32 s34, vcc_lo, s33
	s_or_b32 s7, s7, s34
	s_delay_alu instid0(SALU_CYCLE_1) | instskip(NEXT) | instid1(SALU_CYCLE_1)
	s_and_b32 s34, s7, exec_lo
	s_or_b32 s31, s31, s34
	s_mov_b32 s34, exec_lo
	v_cmpx_eq_u16_e64 v22, v23
	s_cbranch_execz .LBB9_1353
; %bb.1355:                             ;   in Loop: Header=BB9_1354 Depth=1
	s_add_nc_u64 s[8:9], s[8:9], -1
	v_add_nc_u64_e32 v[4:5], 1, v[4:5]
	s_cmp_eq_u64 s[8:9], 0
	v_add_nc_u64_e32 v[6:7], 1, v[6:7]
	s_cselect_b32 s33, -1, 0
	s_and_not1_b32 s30, s30, exec_lo
	s_and_b32 s33, s33, exec_lo
	s_and_not1_b32 s31, s31, exec_lo
	s_or_b32 s30, s30, s33
                                        ; implicit-def: $sgpr33
	s_branch .LBB9_1353
.LBB9_1356:
	s_or_b32 exec_lo, exec_lo, s28
	s_xor_b32 s7, s29, -1
	s_branch .LBB9_1358
.LBB9_1357:
	s_mov_b32 s7, -1
.LBB9_1358:
	s_delay_alu instid0(SALU_CYCLE_1)
	s_and_b32 s7, s7, exec_lo
.LBB9_1359:
	s_or_b32 exec_lo, exec_lo, s22
	s_delay_alu instid0(SALU_CYCLE_1)
	s_or_not1_b32 s22, s7, exec_lo
.LBB9_1360:
	s_or_b32 exec_lo, exec_lo, s27
	v_dual_cndmask_b32 v4, v47, v44, s22 :: v_dual_cndmask_b32 v9, v8, v9, s23
	v_dual_cndmask_b32 v5, v25, v24, s22 :: v_dual_cndmask_b32 v8, v42, v43, s23
	;; [unrolled: 1-line block ×3, first 2 shown]
	s_delay_alu instid0(VALU_DEP_3) | instskip(SKIP_2) | instid1(VALU_DEP_3)
	v_dual_add_nc_u32 v50, 1, v4 :: v_dual_cndmask_b32 v6, v39, v41, s15
	v_dual_cndmask_b32 v12, v36, v37, s14 :: v_dual_cndmask_b32 v11, v10, v11, s13
	v_dual_cndmask_b32 v10, v17, v35, s13 :: v_dual_cndmask_b32 v17, v14, v16, s12
	v_add_min_u32_e64 v4, v5, -1, v50
	v_dual_cndmask_b32 v16, v15, v34, s12 :: v_dual_cndmask_b32 v14, v2, v0, s11
	v_dual_cndmask_b32 v15, v3, v1, s11 :: v_dual_cndmask_b32 v0, v50, v47, s22
	s_delay_alu instid0(VALU_DEP_3)
	v_lshl_add_u32 v4, v4, 3, v33
	v_dual_cndmask_b32 v3, v45, v48, s22 :: v_dual_cndmask_b32 v2, v46, v49, s22
	s_mov_b32 s11, exec_lo
	ds_load_b64 v[22:23], v4
	s_wait_dscnt 0x0
	v_dual_cndmask_b32 v5, v48, v23, s22 :: v_dual_cndmask_b32 v4, v49, v22, s22
	v_cmpx_lt_u32_e64 v0, v25
	s_cbranch_execz .LBB9_1370
; %bb.1361:
	v_dual_cndmask_b32 v25, v44, v50, s22 :: v_dual_cndmask_b32 v1, v23, v45, s22
	v_cndmask_b32_e64 v0, v22, v46, s22
	s_mov_b32 s12, exec_lo
	s_delay_alu instid0(VALU_DEP_2)
	v_cmpx_lt_u32_e64 v25, v24
	s_cbranch_execz .LBB9_1369
; %bb.1362:
	s_and_not1_b32 vcc_lo, exec_lo, s26
	s_cbranch_vccnz .LBB9_1368
; %bb.1363:
	v_mad_nc_u64_u32 v[22:23], v0, s16, s[18:19]
	v_mad_nc_u64_u32 v[24:25], v4, s16, s[18:19]
	s_mov_b32 s13, 0
	s_mov_b64 s[8:9], s[16:17]
                                        ; implicit-def: $sgpr14
                                        ; implicit-def: $sgpr15
                                        ; implicit-def: $sgpr22
                                        ; implicit-def: $sgpr23
	s_delay_alu instid0(VALU_DEP_2) | instskip(NEXT) | instid1(VALU_DEP_2)
	v_mad_u32 v23, v1, s16, v23
	v_mad_u32 v25, v5, s16, v25
	s_delay_alu instid0(VALU_DEP_2) | instskip(NEXT) | instid1(VALU_DEP_2)
	v_mad_u32 v23, v0, s17, v23
	v_mad_u32 v25, v4, s17, v25
	s_branch .LBB9_1365
.LBB9_1364:                             ;   in Loop: Header=BB9_1365 Depth=1
	s_or_b32 exec_lo, exec_lo, s27
	s_delay_alu instid0(SALU_CYCLE_1) | instskip(NEXT) | instid1(SALU_CYCLE_1)
	s_and_b32 s27, exec_lo, s15
	s_or_b32 s13, s27, s13
	s_and_not1_b32 s23, s23, exec_lo
	s_and_b32 s7, s7, exec_lo
	s_and_not1_b32 s14, s14, exec_lo
	s_and_b32 s27, s22, exec_lo
	s_or_b32 s23, s23, s7
	s_or_b32 s14, s14, s27
	s_and_not1_b32 exec_lo, exec_lo, s13
	s_cbranch_execz .LBB9_1367
.LBB9_1365:                             ; =>This Inner Loop Header: Depth=1
	global_load_u8 v33, v[22:23], off
	global_load_u8 v34, v[24:25], off
	s_and_not1_b32 s22, s22, exec_lo
	s_or_b32 s15, s15, exec_lo
	s_wait_loadcnt 0x1
	v_and_b32_e32 v33, 0xff, v33
	s_wait_loadcnt 0x0
	v_and_b32_e32 v34, 0xff, v34
	s_delay_alu instid0(VALU_DEP_1) | instskip(SKIP_2) | instid1(SALU_CYCLE_1)
	v_cmp_le_u16_e32 vcc_lo, v33, v34
	v_cmp_lt_u16_e64 s7, v33, v34
	s_and_b32 s27, vcc_lo, s23
	s_or_b32 s7, s7, s27
	s_delay_alu instid0(SALU_CYCLE_1) | instskip(NEXT) | instid1(SALU_CYCLE_1)
	s_and_b32 s27, s7, exec_lo
	s_or_b32 s22, s22, s27
	s_mov_b32 s27, exec_lo
	v_cmpx_eq_u16_e64 v33, v34
	s_cbranch_execz .LBB9_1364
; %bb.1366:                             ;   in Loop: Header=BB9_1365 Depth=1
	s_add_nc_u64 s[8:9], s[8:9], -1
	v_add_nc_u64_e32 v[22:23], 1, v[22:23]
	s_cmp_eq_u64 s[8:9], 0
	v_add_nc_u64_e32 v[24:25], 1, v[24:25]
	s_cselect_b32 s23, -1, 0
	s_and_not1_b32 s15, s15, exec_lo
	s_and_b32 s23, s23, exec_lo
	s_and_not1_b32 s22, s22, exec_lo
	s_or_b32 s15, s15, s23
                                        ; implicit-def: $sgpr23
	s_branch .LBB9_1364
.LBB9_1367:
	s_or_b32 exec_lo, exec_lo, s13
	v_dual_cndmask_b32 v5, v5, v1, s14 :: v_dual_cndmask_b32 v4, v4, v0, s14
.LBB9_1368:
	s_delay_alu instid0(VALU_DEP_1)
	v_mov_b64_e32 v[0:1], v[4:5]
.LBB9_1369:
	s_or_b32 exec_lo, exec_lo, s12
	s_delay_alu instid0(VALU_DEP_1)
	v_mov_b64_e32 v[4:5], v[0:1]
.LBB9_1370:
	s_or_b32 exec_lo, exec_lo, s11
.LBB9_1371:
	s_delay_alu instid0(SALU_CYCLE_1)
	s_or_b32 exec_lo, exec_lo, s10
	s_cmp_lt_u32 s25, 0x81
	; wave barrier
	s_wait_dscnt 0x0
	s_barrier_signal -1
	s_barrier_wait -1
	s_cbranch_scc1 .LBB9_1475
; %bb.1372:
	v_lshlrev_b32_e32 v24, 3, v20
	s_movk_i32 s10, 0x80
	s_branch .LBB9_1378
.LBB9_1373:                             ;   in Loop: Header=BB9_1378 Depth=1
	s_or_b32 exec_lo, exec_lo, s30
	v_dual_cndmask_b32 v5, v5, v7, s31 :: v_dual_cndmask_b32 v4, v4, v6, s31
.LBB9_1374:                             ;   in Loop: Header=BB9_1378 Depth=1
	s_delay_alu instid0(VALU_DEP_1)
	v_mov_b64_e32 v[6:7], v[4:5]
.LBB9_1375:                             ;   in Loop: Header=BB9_1378 Depth=1
	s_or_b32 exec_lo, exec_lo, s29
	s_delay_alu instid0(VALU_DEP_1)
	v_mov_b64_e32 v[4:5], v[6:7]
.LBB9_1376:                             ;   in Loop: Header=BB9_1378 Depth=1
	s_or_b32 exec_lo, exec_lo, s28
	v_dual_cndmask_b32 v9, v42, v44, s27 :: v_dual_cndmask_b32 v8, v43, v45, s27
	v_dual_cndmask_b32 v7, v38, v40, s22 :: v_dual_cndmask_b32 v6, v39, v41, s22
	;; [unrolled: 1-line block ×7, first 2 shown]
.LBB9_1377:                             ;   in Loop: Header=BB9_1378 Depth=1
	s_or_b32 exec_lo, exec_lo, s11
	s_cmp_lt_u32 s10, s25
	s_barrier_signal -1
	s_barrier_wait -1
	s_cbranch_scc0 .LBB9_1475
.LBB9_1378:                             ; =>This Loop Header: Depth=1
                                        ;     Child Loop BB9_1382 Depth 2
                                        ;       Child Loop BB9_1385 Depth 3
                                        ;     Child Loop BB9_1397 Depth 2
                                        ;     Child Loop BB9_1407 Depth 2
	;; [unrolled: 1-line block ×8, first 2 shown]
	s_mov_b32 s7, s10
	s_lshl_b32 s10, s10, 1
	s_mov_b32 s11, exec_lo
	s_sub_co_i32 s8, 0, s10
	ds_store_b128 v24, v[14:17]
	ds_store_b128 v24, v[10:13] offset:16
	ds_store_b128 v24, v[6:9] offset:32
	ds_store_b128 v24, v[2:5] offset:48
	v_and_b32_e32 v36, s8, v20
	s_add_co_i32 s8, s10, -1
	s_wait_dscnt 0x0
	v_and_b32_e32 v0, s8, v20
	s_barrier_signal -1
	v_add_min_u32_e64 v25, v36, s7, s25
	s_barrier_wait -1
	s_delay_alu instid0(VALU_DEP_2) | instskip(NEXT) | instid1(VALU_DEP_2)
	v_min_u32_e32 v37, s25, v0
	v_add_min_u32_e64 v33, v25, s7, s25
	s_delay_alu instid0(VALU_DEP_1) | instskip(SKIP_1) | instid1(VALU_DEP_2)
	v_sub_nc_u32_e32 v1, v33, v25
	v_dual_sub_nc_u32 v0, v25, v36 :: v_dual_lshlrev_b32 v35, 3, v36
	v_sub_nc_u32_e64 v34, v37, v1 clamp
	s_delay_alu instid0(VALU_DEP_2) | instskip(NEXT) | instid1(VALU_DEP_1)
	v_min_u32_e32 v38, v37, v0
	v_cmpx_lt_u32_e64 v34, v38
	s_cbranch_execz .LBB9_1388
; %bb.1379:                             ;   in Loop: Header=BB9_1378 Depth=1
	v_lshlrev_b32_e32 v0, 3, v37
	s_mov_b32 s12, 0
	s_delay_alu instid0(VALU_DEP_1)
	v_lshl_add_u32 v39, v25, 3, v0
	s_branch .LBB9_1382
.LBB9_1380:                             ;   in Loop: Header=BB9_1382 Depth=2
	s_or_b32 exec_lo, exec_lo, s14
.LBB9_1381:                             ;   in Loop: Header=BB9_1382 Depth=2
	s_delay_alu instid0(VALU_DEP_1) | instskip(NEXT) | instid1(VALU_DEP_1)
	v_dual_add_nc_u32 v0, 1, v40 :: v_dual_cndmask_b32 v38, v38, v40, s13
	v_cndmask_b32_e64 v34, v0, v34, s13
	s_delay_alu instid0(VALU_DEP_1) | instskip(SKIP_1) | instid1(SALU_CYCLE_1)
	v_cmp_ge_u32_e32 vcc_lo, v34, v38
	s_or_b32 s12, vcc_lo, s12
	s_and_not1_b32 exec_lo, exec_lo, s12
	s_cbranch_execz .LBB9_1387
.LBB9_1382:                             ;   Parent Loop BB9_1378 Depth=1
                                        ; =>  This Loop Header: Depth=2
                                        ;       Child Loop BB9_1385 Depth 3
	v_add_nc_u32_e32 v0, v38, v34
	s_and_not1_b32 vcc_lo, exec_lo, s26
	s_mov_b32 s13, 0
	s_delay_alu instid0(VALU_DEP_1)
	v_lshrrev_b32_e32 v40, 1, v0
	s_cbranch_vccnz .LBB9_1381
; %bb.1383:                             ;   in Loop: Header=BB9_1382 Depth=2
	s_delay_alu instid0(VALU_DEP_1) | instskip(SKIP_3) | instid1(VALU_DEP_2)
	v_not_b32_e32 v0, v40
	v_lshl_add_u32 v1, v40, 3, v35
	s_mov_b32 s14, 0
	s_mov_b64 s[8:9], s[16:17]
                                        ; implicit-def: $sgpr13
                                        ; implicit-def: $sgpr15
                                        ; implicit-def: $sgpr22
                                        ; implicit-def: $sgpr23
	v_lshl_add_u32 v0, v0, 3, v39
	ds_load_b64 v[42:43], v0
	ds_load_b64 v[44:45], v1
	s_wait_dscnt 0x1
	v_mad_nc_u64_u32 v[0:1], v42, s16, s[18:19]
	s_wait_dscnt 0x0
	v_mad_nc_u64_u32 v[22:23], v44, s16, s[18:19]
	s_delay_alu instid0(VALU_DEP_2) | instskip(NEXT) | instid1(VALU_DEP_2)
	v_mad_u32 v1, v43, s16, v1
	v_mad_u32 v23, v45, s16, v23
	s_delay_alu instid0(VALU_DEP_2) | instskip(NEXT) | instid1(VALU_DEP_2)
	v_mad_u32 v1, v42, s17, v1
	v_mad_u32 v23, v44, s17, v23
	s_branch .LBB9_1385
.LBB9_1384:                             ;   in Loop: Header=BB9_1385 Depth=3
	s_or_b32 exec_lo, exec_lo, s27
	s_delay_alu instid0(SALU_CYCLE_1) | instskip(NEXT) | instid1(SALU_CYCLE_1)
	s_and_b32 s27, exec_lo, s15
	s_or_b32 s14, s27, s14
	s_and_not1_b32 s23, s23, exec_lo
	s_and_b32 s7, s7, exec_lo
	s_and_not1_b32 s13, s13, exec_lo
	s_and_b32 s27, s22, exec_lo
	s_or_b32 s23, s23, s7
	s_or_b32 s13, s13, s27
	s_and_not1_b32 exec_lo, exec_lo, s14
	s_cbranch_execz .LBB9_1380
.LBB9_1385:                             ;   Parent Loop BB9_1378 Depth=1
                                        ;     Parent Loop BB9_1382 Depth=2
                                        ; =>    This Inner Loop Header: Depth=3
	global_load_u8 v41, v[0:1], off
	global_load_u8 v42, v[22:23], off
	s_and_not1_b32 s22, s22, exec_lo
	s_or_b32 s15, s15, exec_lo
	s_wait_loadcnt 0x1
	v_and_b32_e32 v41, 0xff, v41
	s_wait_loadcnt 0x0
	v_and_b32_e32 v42, 0xff, v42
	s_delay_alu instid0(VALU_DEP_1) | instskip(SKIP_2) | instid1(SALU_CYCLE_1)
	v_cmp_le_u16_e32 vcc_lo, v41, v42
	v_cmp_lt_u16_e64 s7, v41, v42
	s_and_b32 s27, vcc_lo, s23
	s_or_b32 s7, s7, s27
	s_delay_alu instid0(SALU_CYCLE_1) | instskip(NEXT) | instid1(SALU_CYCLE_1)
	s_and_b32 s27, s7, exec_lo
	s_or_b32 s22, s22, s27
	s_mov_b32 s27, exec_lo
	v_cmpx_eq_u16_e64 v41, v42
	s_cbranch_execz .LBB9_1384
; %bb.1386:                             ;   in Loop: Header=BB9_1385 Depth=3
	s_add_nc_u64 s[8:9], s[8:9], -1
	v_add_nc_u64_e32 v[0:1], 1, v[0:1]
	s_cmp_eq_u64 s[8:9], 0
	v_add_nc_u64_e32 v[22:23], 1, v[22:23]
	s_cselect_b32 s23, -1, 0
	s_and_not1_b32 s15, s15, exec_lo
	s_and_b32 s23, s23, exec_lo
	s_and_not1_b32 s22, s22, exec_lo
	s_or_b32 s15, s15, s23
                                        ; implicit-def: $sgpr23
	s_branch .LBB9_1384
.LBB9_1387:                             ;   in Loop: Header=BB9_1378 Depth=1
	s_or_b32 exec_lo, exec_lo, s12
.LBB9_1388:                             ;   in Loop: Header=BB9_1378 Depth=1
	s_delay_alu instid0(SALU_CYCLE_1) | instskip(SKIP_1) | instid1(VALU_DEP_1)
	s_or_b32 exec_lo, exec_lo, s11
	v_dual_sub_nc_u32 v0, v37, v34 :: v_dual_add_nc_u32 v22, v34, v36
	v_add_nc_u32_e32 v23, v0, v25
	s_delay_alu instid0(VALU_DEP_2) | instskip(NEXT) | instid1(VALU_DEP_2)
	v_cmp_le_u32_e32 vcc_lo, v22, v25
	v_cmp_le_u32_e64 s7, v23, v33
	s_or_b32 s7, vcc_lo, s7
	s_delay_alu instid0(SALU_CYCLE_1)
	s_and_saveexec_b32 s11, s7
	s_cbranch_execz .LBB9_1377
; %bb.1389:                             ;   in Loop: Header=BB9_1378 Depth=1
	s_mov_b32 s8, exec_lo
	v_cmp_ge_u32_e32 vcc_lo, v22, v25
                                        ; implicit-def: $vgpr0_vgpr1
	v_cmpx_lt_u32_e64 v22, v25
; %bb.1390:                             ;   in Loop: Header=BB9_1378 Depth=1
	v_lshl_add_u32 v0, v34, 3, v35
	ds_load_b64 v[0:1], v0
; %bb.1391:                             ;   in Loop: Header=BB9_1378 Depth=1
	s_or_b32 exec_lo, exec_lo, s8
	v_cmp_ge_u32_e64 s12, v23, v33
	s_mov_b32 s8, exec_lo
                                        ; implicit-def: $vgpr2_vgpr3
	v_cmpx_lt_u32_e64 v23, v33
; %bb.1392:                             ;   in Loop: Header=BB9_1378 Depth=1
	v_lshlrev_b32_e32 v2, 3, v23
	ds_load_b64 v[2:3], v2
; %bb.1393:                             ;   in Loop: Header=BB9_1378 Depth=1
	s_or_b32 exec_lo, exec_lo, s8
	s_nor_b32 s7, vcc_lo, s12
	s_delay_alu instid0(SALU_CYCLE_1)
	s_and_saveexec_b32 s13, s7
	s_cbranch_execz .LBB9_1402
; %bb.1394:                             ;   in Loop: Header=BB9_1378 Depth=1
	s_and_not1_b32 vcc_lo, exec_lo, s26
	s_cbranch_vccnz .LBB9_1400
; %bb.1395:                             ;   in Loop: Header=BB9_1378 Depth=1
	s_wait_dscnt 0x0
	v_mad_nc_u64_u32 v[4:5], v2, s16, s[18:19]
	v_mad_nc_u64_u32 v[6:7], v0, s16, s[18:19]
	s_mov_b32 s14, 0
	s_mov_b64 s[8:9], s[16:17]
                                        ; implicit-def: $sgpr15
                                        ; implicit-def: $sgpr22
                                        ; implicit-def: $sgpr23
                                        ; implicit-def: $sgpr27
	s_delay_alu instid0(VALU_DEP_2) | instskip(NEXT) | instid1(VALU_DEP_2)
	v_mad_u32 v5, v3, s16, v5
	v_mad_u32 v7, v1, s16, v7
	s_delay_alu instid0(VALU_DEP_2) | instskip(NEXT) | instid1(VALU_DEP_2)
	v_mad_u32 v5, v2, s17, v5
	v_mad_u32 v7, v0, s17, v7
	s_branch .LBB9_1397
.LBB9_1396:                             ;   in Loop: Header=BB9_1397 Depth=2
	s_or_b32 exec_lo, exec_lo, s28
	s_delay_alu instid0(SALU_CYCLE_1) | instskip(NEXT) | instid1(SALU_CYCLE_1)
	s_and_b32 s28, exec_lo, s22
	s_or_b32 s14, s28, s14
	s_and_not1_b32 s27, s27, exec_lo
	s_and_b32 s7, s7, exec_lo
	s_and_not1_b32 s15, s15, exec_lo
	s_and_b32 s28, s23, exec_lo
	s_or_b32 s27, s27, s7
	s_or_b32 s15, s15, s28
	s_and_not1_b32 exec_lo, exec_lo, s14
	s_cbranch_execz .LBB9_1399
.LBB9_1397:                             ;   Parent Loop BB9_1378 Depth=1
                                        ; =>  This Inner Loop Header: Depth=2
	global_load_u8 v8, v[4:5], off
	global_load_u8 v9, v[6:7], off
	s_and_not1_b32 s23, s23, exec_lo
	s_or_b32 s22, s22, exec_lo
	s_wait_loadcnt 0x1
	v_and_b32_e32 v8, 0xff, v8
	s_wait_loadcnt 0x0
	v_and_b32_e32 v9, 0xff, v9
	s_delay_alu instid0(VALU_DEP_1) | instskip(SKIP_2) | instid1(SALU_CYCLE_1)
	v_cmp_le_u16_e32 vcc_lo, v8, v9
	v_cmp_lt_u16_e64 s7, v8, v9
	s_and_b32 s28, vcc_lo, s27
	s_or_b32 s7, s7, s28
	s_delay_alu instid0(SALU_CYCLE_1) | instskip(NEXT) | instid1(SALU_CYCLE_1)
	s_and_b32 s28, s7, exec_lo
	s_or_b32 s23, s23, s28
	s_mov_b32 s28, exec_lo
	v_cmpx_eq_u16_e64 v8, v9
	s_cbranch_execz .LBB9_1396
; %bb.1398:                             ;   in Loop: Header=BB9_1397 Depth=2
	s_add_nc_u64 s[8:9], s[8:9], -1
	v_add_nc_u64_e32 v[4:5], 1, v[4:5]
	s_cmp_eq_u64 s[8:9], 0
	v_add_nc_u64_e32 v[6:7], 1, v[6:7]
	s_cselect_b32 s27, -1, 0
	s_and_not1_b32 s22, s22, exec_lo
	s_and_b32 s27, s27, exec_lo
	s_and_not1_b32 s23, s23, exec_lo
	s_or_b32 s22, s22, s27
                                        ; implicit-def: $sgpr27
	s_branch .LBB9_1396
.LBB9_1399:                             ;   in Loop: Header=BB9_1378 Depth=1
	s_or_b32 exec_lo, exec_lo, s14
	s_xor_b32 s7, s15, -1
	s_branch .LBB9_1401
.LBB9_1400:                             ;   in Loop: Header=BB9_1378 Depth=1
	s_mov_b32 s7, -1
.LBB9_1401:                             ;   in Loop: Header=BB9_1378 Depth=1
	s_and_not1_b32 s8, s12, exec_lo
	s_and_b32 s7, s7, exec_lo
	s_delay_alu instid0(SALU_CYCLE_1)
	s_or_b32 s12, s8, s7
.LBB9_1402:                             ;   in Loop: Header=BB9_1378 Depth=1
	s_or_b32 exec_lo, exec_lo, s13
	v_dual_cndmask_b32 v4, v23, v22, s12 :: v_dual_cndmask_b32 v5, v33, v25, s12
	s_mov_b32 s14, -1
	s_mov_b32 s13, -1
	s_mov_b32 s15, exec_lo
	s_delay_alu instid0(VALU_DEP_1) | instskip(NEXT) | instid1(VALU_DEP_1)
	v_add_nc_u32_e32 v6, 1, v4
	v_add_min_u32_e64 v4, v5, -1, v6
	s_delay_alu instid0(VALU_DEP_1)
	v_lshlrev_b32_e32 v4, 3, v4
	ds_load_b64 v[4:5], v4
	v_cndmask_b32_e64 v8, v6, v23, s12
	s_wait_dscnt 0x0
	v_dual_cndmask_b32 v9, v22, v6, s12 :: v_dual_cndmask_b32 v14, v5, v3, s12
	v_dual_cndmask_b32 v15, v4, v2, s12 :: v_dual_cndmask_b32 v16, v1, v5, s12
	v_cndmask_b32_e64 v22, v0, v4, s12
	v_cmpx_lt_u32_e64 v8, v33
	s_cbranch_execz .LBB9_1413
; %bb.1403:                             ;   in Loop: Header=BB9_1378 Depth=1
	s_mov_b32 s7, 0
	s_mov_b32 s13, exec_lo
	v_cmpx_lt_u32_e64 v9, v25
	s_cbranch_execz .LBB9_1412
; %bb.1404:                             ;   in Loop: Header=BB9_1378 Depth=1
	s_and_not1_b32 vcc_lo, exec_lo, s26
	s_cbranch_vccnz .LBB9_1410
; %bb.1405:                             ;   in Loop: Header=BB9_1378 Depth=1
	v_mad_nc_u64_u32 v[4:5], v15, s16, s[18:19]
	v_mad_nc_u64_u32 v[6:7], v22, s16, s[18:19]
	s_mov_b32 s22, 0
	s_mov_b64 s[8:9], s[16:17]
                                        ; implicit-def: $sgpr23
                                        ; implicit-def: $sgpr27
                                        ; implicit-def: $sgpr28
                                        ; implicit-def: $sgpr29
	s_delay_alu instid0(VALU_DEP_2) | instskip(NEXT) | instid1(VALU_DEP_2)
	v_mad_u32 v5, v14, s16, v5
	v_mad_u32 v7, v16, s16, v7
	s_delay_alu instid0(VALU_DEP_2) | instskip(NEXT) | instid1(VALU_DEP_2)
	v_mad_u32 v5, v15, s17, v5
	v_mad_u32 v7, v22, s17, v7
	s_branch .LBB9_1407
.LBB9_1406:                             ;   in Loop: Header=BB9_1407 Depth=2
	s_or_b32 exec_lo, exec_lo, s30
	s_delay_alu instid0(SALU_CYCLE_1) | instskip(NEXT) | instid1(SALU_CYCLE_1)
	s_and_b32 s30, exec_lo, s27
	s_or_b32 s22, s30, s22
	s_and_not1_b32 s29, s29, exec_lo
	s_and_b32 s7, s7, exec_lo
	s_and_not1_b32 s23, s23, exec_lo
	s_and_b32 s30, s28, exec_lo
	s_or_b32 s29, s29, s7
	s_or_b32 s23, s23, s30
	s_and_not1_b32 exec_lo, exec_lo, s22
	s_cbranch_execz .LBB9_1409
.LBB9_1407:                             ;   Parent Loop BB9_1378 Depth=1
                                        ; =>  This Inner Loop Header: Depth=2
	global_load_u8 v10, v[4:5], off
	global_load_u8 v11, v[6:7], off
	s_and_not1_b32 s28, s28, exec_lo
	s_or_b32 s27, s27, exec_lo
	s_wait_loadcnt 0x1
	v_and_b32_e32 v10, 0xff, v10
	s_wait_loadcnt 0x0
	v_and_b32_e32 v11, 0xff, v11
	s_delay_alu instid0(VALU_DEP_1) | instskip(SKIP_2) | instid1(SALU_CYCLE_1)
	v_cmp_le_u16_e32 vcc_lo, v10, v11
	v_cmp_lt_u16_e64 s7, v10, v11
	s_and_b32 s30, vcc_lo, s29
	s_or_b32 s7, s7, s30
	s_delay_alu instid0(SALU_CYCLE_1) | instskip(NEXT) | instid1(SALU_CYCLE_1)
	s_and_b32 s30, s7, exec_lo
	s_or_b32 s28, s28, s30
	s_mov_b32 s30, exec_lo
	v_cmpx_eq_u16_e64 v10, v11
	s_cbranch_execz .LBB9_1406
; %bb.1408:                             ;   in Loop: Header=BB9_1407 Depth=2
	s_add_nc_u64 s[8:9], s[8:9], -1
	v_add_nc_u64_e32 v[4:5], 1, v[4:5]
	s_cmp_eq_u64 s[8:9], 0
	v_add_nc_u64_e32 v[6:7], 1, v[6:7]
	s_cselect_b32 s29, -1, 0
	s_and_not1_b32 s27, s27, exec_lo
	s_and_b32 s29, s29, exec_lo
	s_and_not1_b32 s28, s28, exec_lo
	s_or_b32 s27, s27, s29
                                        ; implicit-def: $sgpr29
	s_branch .LBB9_1406
.LBB9_1409:                             ;   in Loop: Header=BB9_1378 Depth=1
	s_or_b32 exec_lo, exec_lo, s22
	s_xor_b32 s7, s23, -1
	s_branch .LBB9_1411
.LBB9_1410:                             ;   in Loop: Header=BB9_1378 Depth=1
	s_mov_b32 s7, -1
.LBB9_1411:                             ;   in Loop: Header=BB9_1378 Depth=1
	s_delay_alu instid0(SALU_CYCLE_1)
	s_and_b32 s7, s7, exec_lo
.LBB9_1412:                             ;   in Loop: Header=BB9_1378 Depth=1
	s_or_b32 exec_lo, exec_lo, s13
	s_delay_alu instid0(SALU_CYCLE_1)
	s_or_not1_b32 s13, s7, exec_lo
.LBB9_1413:                             ;   in Loop: Header=BB9_1378 Depth=1
	s_or_b32 exec_lo, exec_lo, s15
	v_cndmask_b32_e64 v4, v8, v9, s13
	v_cndmask_b32_e64 v5, v33, v25, s13
	s_mov_b32 s15, exec_lo
	s_delay_alu instid0(VALU_DEP_2) | instskip(NEXT) | instid1(VALU_DEP_1)
	v_add_nc_u32_e32 v6, 1, v4
	v_add_min_u32_e64 v4, v5, -1, v6
	v_dual_cndmask_b32 v8, v6, v8, s13 :: v_dual_cndmask_b32 v9, v9, v6, s13
	s_delay_alu instid0(VALU_DEP_2)
	v_lshlrev_b32_e32 v4, 3, v4
	ds_load_b64 v[4:5], v4
	s_wait_dscnt 0x0
	v_dual_cndmask_b32 v17, v5, v14, s13 :: v_dual_cndmask_b32 v23, v4, v15, s13
	v_dual_cndmask_b32 v34, v16, v5, s13 :: v_dual_cndmask_b32 v35, v22, v4, s13
	v_cmpx_lt_u32_e64 v8, v33
	s_cbranch_execz .LBB9_1424
; %bb.1414:                             ;   in Loop: Header=BB9_1378 Depth=1
	s_mov_b32 s7, 0
	s_mov_b32 s14, exec_lo
	v_cmpx_lt_u32_e64 v9, v25
	s_cbranch_execz .LBB9_1423
; %bb.1415:                             ;   in Loop: Header=BB9_1378 Depth=1
	s_and_not1_b32 vcc_lo, exec_lo, s26
	s_cbranch_vccnz .LBB9_1421
; %bb.1416:                             ;   in Loop: Header=BB9_1378 Depth=1
	v_mad_nc_u64_u32 v[4:5], v23, s16, s[18:19]
	v_mad_nc_u64_u32 v[6:7], v35, s16, s[18:19]
	s_mov_b32 s22, 0
	s_mov_b64 s[8:9], s[16:17]
                                        ; implicit-def: $sgpr23
                                        ; implicit-def: $sgpr27
                                        ; implicit-def: $sgpr28
                                        ; implicit-def: $sgpr29
	s_delay_alu instid0(VALU_DEP_2) | instskip(NEXT) | instid1(VALU_DEP_2)
	v_mad_u32 v5, v17, s16, v5
	v_mad_u32 v7, v34, s16, v7
	s_delay_alu instid0(VALU_DEP_2) | instskip(NEXT) | instid1(VALU_DEP_2)
	v_mad_u32 v5, v23, s17, v5
	v_mad_u32 v7, v35, s17, v7
	s_branch .LBB9_1418
.LBB9_1417:                             ;   in Loop: Header=BB9_1418 Depth=2
	s_or_b32 exec_lo, exec_lo, s30
	s_delay_alu instid0(SALU_CYCLE_1) | instskip(NEXT) | instid1(SALU_CYCLE_1)
	s_and_b32 s30, exec_lo, s27
	s_or_b32 s22, s30, s22
	s_and_not1_b32 s29, s29, exec_lo
	s_and_b32 s7, s7, exec_lo
	s_and_not1_b32 s23, s23, exec_lo
	s_and_b32 s30, s28, exec_lo
	s_or_b32 s29, s29, s7
	s_or_b32 s23, s23, s30
	s_and_not1_b32 exec_lo, exec_lo, s22
	s_cbranch_execz .LBB9_1420
.LBB9_1418:                             ;   Parent Loop BB9_1378 Depth=1
                                        ; =>  This Inner Loop Header: Depth=2
	global_load_u8 v10, v[4:5], off
	global_load_u8 v11, v[6:7], off
	s_and_not1_b32 s28, s28, exec_lo
	s_or_b32 s27, s27, exec_lo
	s_wait_loadcnt 0x1
	v_and_b32_e32 v10, 0xff, v10
	s_wait_loadcnt 0x0
	v_and_b32_e32 v11, 0xff, v11
	s_delay_alu instid0(VALU_DEP_1) | instskip(SKIP_2) | instid1(SALU_CYCLE_1)
	v_cmp_le_u16_e32 vcc_lo, v10, v11
	v_cmp_lt_u16_e64 s7, v10, v11
	s_and_b32 s30, vcc_lo, s29
	s_or_b32 s7, s7, s30
	s_delay_alu instid0(SALU_CYCLE_1) | instskip(NEXT) | instid1(SALU_CYCLE_1)
	s_and_b32 s30, s7, exec_lo
	s_or_b32 s28, s28, s30
	s_mov_b32 s30, exec_lo
	v_cmpx_eq_u16_e64 v10, v11
	s_cbranch_execz .LBB9_1417
; %bb.1419:                             ;   in Loop: Header=BB9_1418 Depth=2
	s_add_nc_u64 s[8:9], s[8:9], -1
	v_add_nc_u64_e32 v[4:5], 1, v[4:5]
	s_cmp_eq_u64 s[8:9], 0
	v_add_nc_u64_e32 v[6:7], 1, v[6:7]
	s_cselect_b32 s29, -1, 0
	s_and_not1_b32 s27, s27, exec_lo
	s_and_b32 s29, s29, exec_lo
	s_and_not1_b32 s28, s28, exec_lo
	s_or_b32 s27, s27, s29
                                        ; implicit-def: $sgpr29
	s_branch .LBB9_1417
.LBB9_1420:                             ;   in Loop: Header=BB9_1378 Depth=1
	s_or_b32 exec_lo, exec_lo, s22
	s_xor_b32 s7, s23, -1
	s_branch .LBB9_1422
.LBB9_1421:                             ;   in Loop: Header=BB9_1378 Depth=1
	s_mov_b32 s7, -1
.LBB9_1422:                             ;   in Loop: Header=BB9_1378 Depth=1
	s_delay_alu instid0(SALU_CYCLE_1)
	s_and_b32 s7, s7, exec_lo
.LBB9_1423:                             ;   in Loop: Header=BB9_1378 Depth=1
	s_or_b32 exec_lo, exec_lo, s14
	s_delay_alu instid0(SALU_CYCLE_1)
	s_or_not1_b32 s14, s7, exec_lo
.LBB9_1424:                             ;   in Loop: Header=BB9_1378 Depth=1
	s_or_b32 exec_lo, exec_lo, s15
	v_cndmask_b32_e64 v4, v8, v9, s14
	v_cndmask_b32_e64 v5, v33, v25, s14
	s_mov_b32 s22, -1
	s_mov_b32 s15, -1
	s_mov_b32 s23, exec_lo
	v_add_nc_u32_e32 v6, 1, v4
	s_delay_alu instid0(VALU_DEP_1) | instskip(SKIP_1) | instid1(VALU_DEP_2)
	v_add_min_u32_e64 v4, v5, -1, v6
	v_dual_cndmask_b32 v8, v6, v8, s14 :: v_dual_cndmask_b32 v9, v9, v6, s14
	v_lshlrev_b32_e32 v4, 3, v4
	ds_load_b64 v[4:5], v4
	s_wait_dscnt 0x0
	v_dual_cndmask_b32 v12, v5, v17, s14 :: v_dual_cndmask_b32 v36, v4, v23, s14
	v_dual_cndmask_b32 v13, v34, v5, s14 :: v_dual_cndmask_b32 v37, v35, v4, s14
	v_cmpx_lt_u32_e64 v8, v33
	s_cbranch_execz .LBB9_1435
; %bb.1425:                             ;   in Loop: Header=BB9_1378 Depth=1
	s_mov_b32 s7, 0
	s_mov_b32 s15, exec_lo
	v_cmpx_lt_u32_e64 v9, v25
	s_cbranch_execz .LBB9_1434
; %bb.1426:                             ;   in Loop: Header=BB9_1378 Depth=1
	s_and_not1_b32 vcc_lo, exec_lo, s26
	s_cbranch_vccnz .LBB9_1432
; %bb.1427:                             ;   in Loop: Header=BB9_1378 Depth=1
	v_mad_nc_u64_u32 v[4:5], v36, s16, s[18:19]
	v_mad_nc_u64_u32 v[6:7], v37, s16, s[18:19]
	s_mov_b32 s27, 0
	s_mov_b64 s[8:9], s[16:17]
                                        ; implicit-def: $sgpr28
                                        ; implicit-def: $sgpr29
                                        ; implicit-def: $sgpr30
                                        ; implicit-def: $sgpr31
	s_delay_alu instid0(VALU_DEP_2) | instskip(NEXT) | instid1(VALU_DEP_2)
	v_mad_u32 v5, v12, s16, v5
	v_mad_u32 v7, v13, s16, v7
	s_delay_alu instid0(VALU_DEP_2) | instskip(NEXT) | instid1(VALU_DEP_2)
	v_mad_u32 v5, v36, s17, v5
	v_mad_u32 v7, v37, s17, v7
	s_branch .LBB9_1429
.LBB9_1428:                             ;   in Loop: Header=BB9_1429 Depth=2
	s_or_b32 exec_lo, exec_lo, s33
	s_delay_alu instid0(SALU_CYCLE_1) | instskip(NEXT) | instid1(SALU_CYCLE_1)
	s_and_b32 s33, exec_lo, s29
	s_or_b32 s27, s33, s27
	s_and_not1_b32 s31, s31, exec_lo
	s_and_b32 s7, s7, exec_lo
	s_and_not1_b32 s28, s28, exec_lo
	s_and_b32 s33, s30, exec_lo
	s_or_b32 s31, s31, s7
	s_or_b32 s28, s28, s33
	s_and_not1_b32 exec_lo, exec_lo, s27
	s_cbranch_execz .LBB9_1431
.LBB9_1429:                             ;   Parent Loop BB9_1378 Depth=1
                                        ; =>  This Inner Loop Header: Depth=2
	global_load_u8 v10, v[4:5], off
	global_load_u8 v11, v[6:7], off
	s_and_not1_b32 s30, s30, exec_lo
	s_or_b32 s29, s29, exec_lo
	s_wait_loadcnt 0x1
	v_and_b32_e32 v10, 0xff, v10
	s_wait_loadcnt 0x0
	v_and_b32_e32 v11, 0xff, v11
	s_delay_alu instid0(VALU_DEP_1) | instskip(SKIP_2) | instid1(SALU_CYCLE_1)
	v_cmp_le_u16_e32 vcc_lo, v10, v11
	v_cmp_lt_u16_e64 s7, v10, v11
	s_and_b32 s33, vcc_lo, s31
	s_or_b32 s7, s7, s33
	s_delay_alu instid0(SALU_CYCLE_1) | instskip(NEXT) | instid1(SALU_CYCLE_1)
	s_and_b32 s33, s7, exec_lo
	s_or_b32 s30, s30, s33
	s_mov_b32 s33, exec_lo
	v_cmpx_eq_u16_e64 v10, v11
	s_cbranch_execz .LBB9_1428
; %bb.1430:                             ;   in Loop: Header=BB9_1429 Depth=2
	s_add_nc_u64 s[8:9], s[8:9], -1
	v_add_nc_u64_e32 v[4:5], 1, v[4:5]
	s_cmp_eq_u64 s[8:9], 0
	v_add_nc_u64_e32 v[6:7], 1, v[6:7]
	s_cselect_b32 s31, -1, 0
	s_and_not1_b32 s29, s29, exec_lo
	s_and_b32 s31, s31, exec_lo
	s_and_not1_b32 s30, s30, exec_lo
	s_or_b32 s29, s29, s31
                                        ; implicit-def: $sgpr31
	s_branch .LBB9_1428
.LBB9_1431:                             ;   in Loop: Header=BB9_1378 Depth=1
	s_or_b32 exec_lo, exec_lo, s27
	s_xor_b32 s7, s28, -1
	s_branch .LBB9_1433
.LBB9_1432:                             ;   in Loop: Header=BB9_1378 Depth=1
	s_mov_b32 s7, -1
.LBB9_1433:                             ;   in Loop: Header=BB9_1378 Depth=1
	s_delay_alu instid0(SALU_CYCLE_1)
	s_and_b32 s7, s7, exec_lo
.LBB9_1434:                             ;   in Loop: Header=BB9_1378 Depth=1
	s_or_b32 exec_lo, exec_lo, s15
	s_delay_alu instid0(SALU_CYCLE_1)
	s_or_not1_b32 s15, s7, exec_lo
.LBB9_1435:                             ;   in Loop: Header=BB9_1378 Depth=1
	s_or_b32 exec_lo, exec_lo, s23
	v_cndmask_b32_e64 v4, v8, v9, s15
	v_cndmask_b32_e64 v5, v33, v25, s15
	s_mov_b32 s23, exec_lo
	s_delay_alu instid0(VALU_DEP_2) | instskip(NEXT) | instid1(VALU_DEP_1)
	v_add_nc_u32_e32 v6, 1, v4
	v_add_min_u32_e64 v4, v5, -1, v6
	v_dual_cndmask_b32 v8, v6, v8, s15 :: v_dual_cndmask_b32 v9, v9, v6, s15
	s_delay_alu instid0(VALU_DEP_2)
	v_lshlrev_b32_e32 v4, 3, v4
	ds_load_b64 v[4:5], v4
	s_wait_dscnt 0x0
	v_cndmask_b32_e64 v38, v5, v12, s15
	v_dual_cndmask_b32 v39, v4, v36, s15 :: v_dual_cndmask_b32 v40, v13, v5, s15
	v_cndmask_b32_e64 v41, v37, v4, s15
	v_cmpx_lt_u32_e64 v8, v33
	s_cbranch_execz .LBB9_1446
; %bb.1436:                             ;   in Loop: Header=BB9_1378 Depth=1
	s_mov_b32 s7, 0
	s_mov_b32 s22, exec_lo
	v_cmpx_lt_u32_e64 v9, v25
	s_cbranch_execz .LBB9_1445
; %bb.1437:                             ;   in Loop: Header=BB9_1378 Depth=1
	s_and_not1_b32 vcc_lo, exec_lo, s26
	s_cbranch_vccnz .LBB9_1443
; %bb.1438:                             ;   in Loop: Header=BB9_1378 Depth=1
	v_mad_nc_u64_u32 v[4:5], v39, s16, s[18:19]
	v_mad_nc_u64_u32 v[6:7], v41, s16, s[18:19]
	s_mov_b32 s27, 0
	s_mov_b64 s[8:9], s[16:17]
                                        ; implicit-def: $sgpr28
                                        ; implicit-def: $sgpr29
                                        ; implicit-def: $sgpr30
                                        ; implicit-def: $sgpr31
	s_delay_alu instid0(VALU_DEP_2) | instskip(NEXT) | instid1(VALU_DEP_2)
	v_mad_u32 v5, v38, s16, v5
	v_mad_u32 v7, v40, s16, v7
	s_delay_alu instid0(VALU_DEP_2) | instskip(NEXT) | instid1(VALU_DEP_2)
	v_mad_u32 v5, v39, s17, v5
	v_mad_u32 v7, v41, s17, v7
	s_branch .LBB9_1440
.LBB9_1439:                             ;   in Loop: Header=BB9_1440 Depth=2
	s_or_b32 exec_lo, exec_lo, s33
	s_delay_alu instid0(SALU_CYCLE_1) | instskip(NEXT) | instid1(SALU_CYCLE_1)
	s_and_b32 s33, exec_lo, s29
	s_or_b32 s27, s33, s27
	s_and_not1_b32 s31, s31, exec_lo
	s_and_b32 s7, s7, exec_lo
	s_and_not1_b32 s28, s28, exec_lo
	s_and_b32 s33, s30, exec_lo
	s_or_b32 s31, s31, s7
	s_or_b32 s28, s28, s33
	s_and_not1_b32 exec_lo, exec_lo, s27
	s_cbranch_execz .LBB9_1442
.LBB9_1440:                             ;   Parent Loop BB9_1378 Depth=1
                                        ; =>  This Inner Loop Header: Depth=2
	global_load_u8 v10, v[4:5], off
	global_load_u8 v11, v[6:7], off
	s_and_not1_b32 s30, s30, exec_lo
	s_or_b32 s29, s29, exec_lo
	s_wait_loadcnt 0x1
	v_and_b32_e32 v10, 0xff, v10
	s_wait_loadcnt 0x0
	v_and_b32_e32 v11, 0xff, v11
	s_delay_alu instid0(VALU_DEP_1) | instskip(SKIP_2) | instid1(SALU_CYCLE_1)
	v_cmp_le_u16_e32 vcc_lo, v10, v11
	v_cmp_lt_u16_e64 s7, v10, v11
	s_and_b32 s33, vcc_lo, s31
	s_or_b32 s7, s7, s33
	s_delay_alu instid0(SALU_CYCLE_1) | instskip(NEXT) | instid1(SALU_CYCLE_1)
	s_and_b32 s33, s7, exec_lo
	s_or_b32 s30, s30, s33
	s_mov_b32 s33, exec_lo
	v_cmpx_eq_u16_e64 v10, v11
	s_cbranch_execz .LBB9_1439
; %bb.1441:                             ;   in Loop: Header=BB9_1440 Depth=2
	s_add_nc_u64 s[8:9], s[8:9], -1
	v_add_nc_u64_e32 v[4:5], 1, v[4:5]
	s_cmp_eq_u64 s[8:9], 0
	v_add_nc_u64_e32 v[6:7], 1, v[6:7]
	s_cselect_b32 s31, -1, 0
	s_and_not1_b32 s29, s29, exec_lo
	s_and_b32 s31, s31, exec_lo
	s_and_not1_b32 s30, s30, exec_lo
	s_or_b32 s29, s29, s31
                                        ; implicit-def: $sgpr31
	s_branch .LBB9_1439
.LBB9_1442:                             ;   in Loop: Header=BB9_1378 Depth=1
	s_or_b32 exec_lo, exec_lo, s27
	s_xor_b32 s7, s28, -1
	s_branch .LBB9_1444
.LBB9_1443:                             ;   in Loop: Header=BB9_1378 Depth=1
	s_mov_b32 s7, -1
.LBB9_1444:                             ;   in Loop: Header=BB9_1378 Depth=1
	s_delay_alu instid0(SALU_CYCLE_1)
	s_and_b32 s7, s7, exec_lo
.LBB9_1445:                             ;   in Loop: Header=BB9_1378 Depth=1
	s_or_b32 exec_lo, exec_lo, s22
	s_delay_alu instid0(SALU_CYCLE_1)
	s_or_not1_b32 s22, s7, exec_lo
.LBB9_1446:                             ;   in Loop: Header=BB9_1378 Depth=1
	s_or_b32 exec_lo, exec_lo, s23
	v_cndmask_b32_e64 v4, v8, v9, s22
	v_cndmask_b32_e64 v5, v33, v25, s22
	s_mov_b32 s23, -1
	s_mov_b32 s27, -1
	s_mov_b32 s28, exec_lo
	v_add_nc_u32_e32 v6, 1, v4
	s_delay_alu instid0(VALU_DEP_1) | instskip(SKIP_1) | instid1(VALU_DEP_2)
	v_add_min_u32_e64 v4, v5, -1, v6
	v_dual_cndmask_b32 v8, v6, v8, s22 :: v_dual_cndmask_b32 v9, v9, v6, s22
	v_lshlrev_b32_e32 v4, 3, v4
	ds_load_b64 v[4:5], v4
	s_wait_dscnt 0x0
	v_dual_cndmask_b32 v42, v5, v38, s22 :: v_dual_cndmask_b32 v43, v4, v39, s22
	v_dual_cndmask_b32 v44, v40, v5, s22 :: v_dual_cndmask_b32 v45, v41, v4, s22
	v_cmpx_lt_u32_e64 v8, v33
	s_cbranch_execz .LBB9_1457
; %bb.1447:                             ;   in Loop: Header=BB9_1378 Depth=1
	s_mov_b32 s7, 0
	s_mov_b32 s27, exec_lo
	v_cmpx_lt_u32_e64 v9, v25
	s_cbranch_execz .LBB9_1456
; %bb.1448:                             ;   in Loop: Header=BB9_1378 Depth=1
	s_and_not1_b32 vcc_lo, exec_lo, s26
	s_cbranch_vccnz .LBB9_1454
; %bb.1449:                             ;   in Loop: Header=BB9_1378 Depth=1
	v_mad_nc_u64_u32 v[4:5], v43, s16, s[18:19]
	v_mad_nc_u64_u32 v[6:7], v45, s16, s[18:19]
	s_mov_b32 s29, 0
	s_mov_b64 s[8:9], s[16:17]
                                        ; implicit-def: $sgpr30
                                        ; implicit-def: $sgpr31
                                        ; implicit-def: $sgpr33
                                        ; implicit-def: $sgpr34
	s_delay_alu instid0(VALU_DEP_2) | instskip(NEXT) | instid1(VALU_DEP_2)
	v_mad_u32 v5, v42, s16, v5
	v_mad_u32 v7, v44, s16, v7
	s_delay_alu instid0(VALU_DEP_2) | instskip(NEXT) | instid1(VALU_DEP_2)
	v_mad_u32 v5, v43, s17, v5
	v_mad_u32 v7, v45, s17, v7
	s_branch .LBB9_1451
.LBB9_1450:                             ;   in Loop: Header=BB9_1451 Depth=2
	s_or_b32 exec_lo, exec_lo, s35
	s_delay_alu instid0(SALU_CYCLE_1) | instskip(NEXT) | instid1(SALU_CYCLE_1)
	s_and_b32 s35, exec_lo, s31
	s_or_b32 s29, s35, s29
	s_and_not1_b32 s34, s34, exec_lo
	s_and_b32 s7, s7, exec_lo
	s_and_not1_b32 s30, s30, exec_lo
	s_and_b32 s35, s33, exec_lo
	s_or_b32 s34, s34, s7
	s_or_b32 s30, s30, s35
	s_and_not1_b32 exec_lo, exec_lo, s29
	s_cbranch_execz .LBB9_1453
.LBB9_1451:                             ;   Parent Loop BB9_1378 Depth=1
                                        ; =>  This Inner Loop Header: Depth=2
	global_load_u8 v10, v[4:5], off
	global_load_u8 v11, v[6:7], off
	s_and_not1_b32 s33, s33, exec_lo
	s_or_b32 s31, s31, exec_lo
	s_wait_loadcnt 0x1
	v_and_b32_e32 v10, 0xff, v10
	s_wait_loadcnt 0x0
	v_and_b32_e32 v11, 0xff, v11
	s_delay_alu instid0(VALU_DEP_1) | instskip(SKIP_2) | instid1(SALU_CYCLE_1)
	v_cmp_le_u16_e32 vcc_lo, v10, v11
	v_cmp_lt_u16_e64 s7, v10, v11
	s_and_b32 s35, vcc_lo, s34
	s_or_b32 s7, s7, s35
	s_delay_alu instid0(SALU_CYCLE_1) | instskip(NEXT) | instid1(SALU_CYCLE_1)
	s_and_b32 s35, s7, exec_lo
	s_or_b32 s33, s33, s35
	s_mov_b32 s35, exec_lo
	v_cmpx_eq_u16_e64 v10, v11
	s_cbranch_execz .LBB9_1450
; %bb.1452:                             ;   in Loop: Header=BB9_1451 Depth=2
	s_add_nc_u64 s[8:9], s[8:9], -1
	v_add_nc_u64_e32 v[4:5], 1, v[4:5]
	s_cmp_eq_u64 s[8:9], 0
	v_add_nc_u64_e32 v[6:7], 1, v[6:7]
	s_cselect_b32 s34, -1, 0
	s_and_not1_b32 s31, s31, exec_lo
	s_and_b32 s34, s34, exec_lo
	s_and_not1_b32 s33, s33, exec_lo
	s_or_b32 s31, s31, s34
                                        ; implicit-def: $sgpr34
	s_branch .LBB9_1450
.LBB9_1453:                             ;   in Loop: Header=BB9_1378 Depth=1
	s_or_b32 exec_lo, exec_lo, s29
	s_xor_b32 s7, s30, -1
	s_branch .LBB9_1455
.LBB9_1454:                             ;   in Loop: Header=BB9_1378 Depth=1
	s_mov_b32 s7, -1
.LBB9_1455:                             ;   in Loop: Header=BB9_1378 Depth=1
	s_delay_alu instid0(SALU_CYCLE_1)
	s_and_b32 s7, s7, exec_lo
.LBB9_1456:                             ;   in Loop: Header=BB9_1378 Depth=1
	s_or_b32 exec_lo, exec_lo, s27
	s_delay_alu instid0(SALU_CYCLE_1)
	s_or_not1_b32 s27, s7, exec_lo
.LBB9_1457:                             ;   in Loop: Header=BB9_1378 Depth=1
	s_or_b32 exec_lo, exec_lo, s28
	v_cndmask_b32_e64 v4, v8, v9, s27
	v_cndmask_b32_e64 v5, v33, v25, s27
	s_mov_b32 s28, exec_lo
	s_delay_alu instid0(VALU_DEP_2) | instskip(NEXT) | instid1(VALU_DEP_1)
	v_add_nc_u32_e32 v6, 1, v4
	v_add_min_u32_e64 v4, v5, -1, v6
	v_dual_cndmask_b32 v10, v6, v8, s27 :: v_dual_cndmask_b32 v8, v9, v6, s27
	s_delay_alu instid0(VALU_DEP_2)
	v_lshlrev_b32_e32 v4, 3, v4
	ds_load_b64 v[4:5], v4
	s_wait_dscnt 0x0
	v_dual_cndmask_b32 v46, v5, v42, s27 :: v_dual_cndmask_b32 v47, v4, v43, s27
	v_dual_cndmask_b32 v48, v44, v5, s27 :: v_dual_cndmask_b32 v49, v45, v4, s27
	v_cmpx_lt_u32_e64 v10, v33
	s_cbranch_execz .LBB9_1468
; %bb.1458:                             ;   in Loop: Header=BB9_1378 Depth=1
	s_mov_b32 s7, 0
	s_mov_b32 s23, exec_lo
	v_cmpx_lt_u32_e64 v8, v25
	s_cbranch_execz .LBB9_1467
; %bb.1459:                             ;   in Loop: Header=BB9_1378 Depth=1
	s_and_not1_b32 vcc_lo, exec_lo, s26
	s_cbranch_vccnz .LBB9_1465
; %bb.1460:                             ;   in Loop: Header=BB9_1378 Depth=1
	v_mad_nc_u64_u32 v[4:5], v47, s16, s[18:19]
	v_mad_nc_u64_u32 v[6:7], v49, s16, s[18:19]
	s_mov_b32 s29, 0
	s_mov_b64 s[8:9], s[16:17]
                                        ; implicit-def: $sgpr30
                                        ; implicit-def: $sgpr31
                                        ; implicit-def: $sgpr33
                                        ; implicit-def: $sgpr34
	s_delay_alu instid0(VALU_DEP_2) | instskip(NEXT) | instid1(VALU_DEP_2)
	v_mad_u32 v5, v46, s16, v5
	v_mad_u32 v7, v48, s16, v7
	s_delay_alu instid0(VALU_DEP_2) | instskip(NEXT) | instid1(VALU_DEP_2)
	v_mad_u32 v5, v47, s17, v5
	v_mad_u32 v7, v49, s17, v7
	s_branch .LBB9_1462
.LBB9_1461:                             ;   in Loop: Header=BB9_1462 Depth=2
	s_or_b32 exec_lo, exec_lo, s35
	s_delay_alu instid0(SALU_CYCLE_1) | instskip(NEXT) | instid1(SALU_CYCLE_1)
	s_and_b32 s35, exec_lo, s31
	s_or_b32 s29, s35, s29
	s_and_not1_b32 s34, s34, exec_lo
	s_and_b32 s7, s7, exec_lo
	s_and_not1_b32 s30, s30, exec_lo
	s_and_b32 s35, s33, exec_lo
	s_or_b32 s34, s34, s7
	s_or_b32 s30, s30, s35
	s_and_not1_b32 exec_lo, exec_lo, s29
	s_cbranch_execz .LBB9_1464
.LBB9_1462:                             ;   Parent Loop BB9_1378 Depth=1
                                        ; =>  This Inner Loop Header: Depth=2
	global_load_u8 v9, v[4:5], off
	global_load_u8 v11, v[6:7], off
	s_and_not1_b32 s33, s33, exec_lo
	s_or_b32 s31, s31, exec_lo
	s_wait_loadcnt 0x1
	v_and_b32_e32 v9, 0xff, v9
	s_wait_loadcnt 0x0
	v_and_b32_e32 v11, 0xff, v11
	s_delay_alu instid0(VALU_DEP_1) | instskip(SKIP_2) | instid1(SALU_CYCLE_1)
	v_cmp_le_u16_e32 vcc_lo, v9, v11
	v_cmp_lt_u16_e64 s7, v9, v11
	s_and_b32 s35, vcc_lo, s34
	s_or_b32 s7, s7, s35
	s_delay_alu instid0(SALU_CYCLE_1) | instskip(NEXT) | instid1(SALU_CYCLE_1)
	s_and_b32 s35, s7, exec_lo
	s_or_b32 s33, s33, s35
	s_mov_b32 s35, exec_lo
	v_cmpx_eq_u16_e64 v9, v11
	s_cbranch_execz .LBB9_1461
; %bb.1463:                             ;   in Loop: Header=BB9_1462 Depth=2
	s_add_nc_u64 s[8:9], s[8:9], -1
	v_add_nc_u64_e32 v[4:5], 1, v[4:5]
	s_cmp_eq_u64 s[8:9], 0
	v_add_nc_u64_e32 v[6:7], 1, v[6:7]
	s_cselect_b32 s34, -1, 0
	s_and_not1_b32 s31, s31, exec_lo
	s_and_b32 s34, s34, exec_lo
	s_and_not1_b32 s33, s33, exec_lo
	s_or_b32 s31, s31, s34
                                        ; implicit-def: $sgpr34
	s_branch .LBB9_1461
.LBB9_1464:                             ;   in Loop: Header=BB9_1378 Depth=1
	s_or_b32 exec_lo, exec_lo, s29
	s_xor_b32 s7, s30, -1
	s_branch .LBB9_1466
.LBB9_1465:                             ;   in Loop: Header=BB9_1378 Depth=1
	s_mov_b32 s7, -1
.LBB9_1466:                             ;   in Loop: Header=BB9_1378 Depth=1
	s_delay_alu instid0(SALU_CYCLE_1)
	s_and_b32 s7, s7, exec_lo
.LBB9_1467:                             ;   in Loop: Header=BB9_1378 Depth=1
	s_or_b32 exec_lo, exec_lo, s23
	s_delay_alu instid0(SALU_CYCLE_1)
	s_or_not1_b32 s23, s7, exec_lo
.LBB9_1468:                             ;   in Loop: Header=BB9_1378 Depth=1
	s_or_b32 exec_lo, exec_lo, s28
	v_dual_cndmask_b32 v4, v10, v8, s23 :: v_dual_cndmask_b32 v5, v33, v25, s23
	s_mov_b32 s28, exec_lo
	s_delay_alu instid0(VALU_DEP_1) | instskip(NEXT) | instid1(VALU_DEP_1)
	v_add_nc_u32_e32 v9, 1, v4
	v_add_min_u32_e64 v4, v5, -1, v9
	s_delay_alu instid0(VALU_DEP_1) | instskip(SKIP_4) | instid1(VALU_DEP_2)
	v_lshlrev_b32_e32 v4, 3, v4
	ds_load_b64 v[6:7], v4
	s_wait_dscnt 0x0
	v_dual_cndmask_b32 v10, v9, v10, s23 :: v_dual_cndmask_b32 v5, v48, v7, s23
	v_cndmask_b32_e64 v4, v49, v6, s23
	v_cmpx_lt_u32_e64 v10, v33
	s_cbranch_execz .LBB9_1376
; %bb.1469:                             ;   in Loop: Header=BB9_1378 Depth=1
	v_dual_cndmask_b32 v8, v8, v9, s23 :: v_dual_cndmask_b32 v7, v7, v46, s23
	v_cndmask_b32_e64 v6, v6, v47, s23
	s_mov_b32 s29, exec_lo
	s_delay_alu instid0(VALU_DEP_2)
	v_cmpx_lt_u32_e64 v8, v25
	s_cbranch_execz .LBB9_1375
; %bb.1470:                             ;   in Loop: Header=BB9_1378 Depth=1
	s_and_not1_b32 vcc_lo, exec_lo, s26
	s_cbranch_vccnz .LBB9_1374
; %bb.1471:                             ;   in Loop: Header=BB9_1378 Depth=1
	v_mad_nc_u64_u32 v[8:9], v6, s16, s[18:19]
	v_mad_nc_u64_u32 v[10:11], v4, s16, s[18:19]
	s_mov_b32 s30, 0
	s_mov_b64 s[8:9], s[16:17]
                                        ; implicit-def: $sgpr31
                                        ; implicit-def: $sgpr33
                                        ; implicit-def: $sgpr34
                                        ; implicit-def: $sgpr35
	s_delay_alu instid0(VALU_DEP_2) | instskip(NEXT) | instid1(VALU_DEP_2)
	v_mad_u32 v9, v7, s16, v9
	v_mad_u32 v11, v5, s16, v11
	s_delay_alu instid0(VALU_DEP_2) | instskip(NEXT) | instid1(VALU_DEP_2)
	v_mad_u32 v9, v6, s17, v9
	v_mad_u32 v11, v4, s17, v11
	s_branch .LBB9_1473
.LBB9_1472:                             ;   in Loop: Header=BB9_1473 Depth=2
	s_or_b32 exec_lo, exec_lo, s36
	s_delay_alu instid0(SALU_CYCLE_1) | instskip(NEXT) | instid1(SALU_CYCLE_1)
	s_and_b32 s36, exec_lo, s33
	s_or_b32 s30, s36, s30
	s_and_not1_b32 s35, s35, exec_lo
	s_and_b32 s7, s7, exec_lo
	s_and_not1_b32 s31, s31, exec_lo
	s_and_b32 s36, s34, exec_lo
	s_or_b32 s35, s35, s7
	s_or_b32 s31, s31, s36
	s_and_not1_b32 exec_lo, exec_lo, s30
	s_cbranch_execz .LBB9_1373
.LBB9_1473:                             ;   Parent Loop BB9_1378 Depth=1
                                        ; =>  This Inner Loop Header: Depth=2
	global_load_u8 v25, v[8:9], off
	global_load_u8 v33, v[10:11], off
	s_and_not1_b32 s34, s34, exec_lo
	s_or_b32 s33, s33, exec_lo
	s_wait_loadcnt 0x1
	v_and_b32_e32 v25, 0xff, v25
	s_wait_loadcnt 0x0
	v_and_b32_e32 v33, 0xff, v33
	s_delay_alu instid0(VALU_DEP_1) | instskip(SKIP_2) | instid1(SALU_CYCLE_1)
	v_cmp_le_u16_e32 vcc_lo, v25, v33
	v_cmp_lt_u16_e64 s7, v25, v33
	s_and_b32 s36, vcc_lo, s35
	s_or_b32 s7, s7, s36
	s_delay_alu instid0(SALU_CYCLE_1) | instskip(NEXT) | instid1(SALU_CYCLE_1)
	s_and_b32 s36, s7, exec_lo
	s_or_b32 s34, s34, s36
	s_mov_b32 s36, exec_lo
	v_cmpx_eq_u16_e64 v25, v33
	s_cbranch_execz .LBB9_1472
; %bb.1474:                             ;   in Loop: Header=BB9_1473 Depth=2
	s_add_nc_u64 s[8:9], s[8:9], -1
	v_add_nc_u64_e32 v[8:9], 1, v[8:9]
	s_cmp_eq_u64 s[8:9], 0
	v_add_nc_u64_e32 v[10:11], 1, v[10:11]
	s_cselect_b32 s35, -1, 0
	s_and_not1_b32 s33, s33, exec_lo
	s_and_b32 s35, s35, exec_lo
	s_and_not1_b32 s34, s34, exec_lo
	s_or_b32 s33, s33, s35
                                        ; implicit-def: $sgpr35
	s_branch .LBB9_1472
.LBB9_1475:
	s_barrier_signal -1
	s_barrier_wait -1
	ds_store_2addr_b64 v32, v[14:15], v[16:17] offset1:1
	ds_store_2addr_b64 v32, v[10:11], v[12:13] offset0:2 offset1:3
	ds_store_2addr_b64 v32, v[6:7], v[8:9] offset0:4 offset1:5
	;; [unrolled: 1-line block ×3, first 2 shown]
	s_wait_dscnt 0x0
	s_barrier_signal -1
	s_barrier_wait -1
	ds_load_b64 v[14:15], v21 offset:2048
	ds_load_b64 v[12:13], v26 offset:4096
	;; [unrolled: 1-line block ×7, first 2 shown]
	v_mov_b32_e32 v21, 0
	s_delay_alu instid0(VALU_DEP_1)
	v_add_nc_u64_e32 v[4:5], s[20:21], v[20:21]
	s_and_saveexec_b32 s7, s0
	s_cbranch_execnz .LBB9_1487
; %bb.1476:
	s_or_b32 exec_lo, exec_lo, s7
	s_and_saveexec_b32 s0, s1
	s_cbranch_execnz .LBB9_1488
.LBB9_1477:
	s_or_b32 exec_lo, exec_lo, s0
	s_and_saveexec_b32 s0, s2
	s_cbranch_execnz .LBB9_1489
.LBB9_1478:
	s_or_b32 exec_lo, exec_lo, s0
	s_and_saveexec_b32 s0, s3
	s_cbranch_execnz .LBB9_1490
.LBB9_1479:
	s_or_b32 exec_lo, exec_lo, s0
	s_and_saveexec_b32 s0, s4
	s_cbranch_execnz .LBB9_1491
.LBB9_1480:
	s_or_b32 exec_lo, exec_lo, s0
	s_and_saveexec_b32 s0, s5
	s_cbranch_execnz .LBB9_1492
.LBB9_1481:
	s_or_b32 exec_lo, exec_lo, s0
	s_and_saveexec_b32 s0, s6
	s_cbranch_execz .LBB9_1483
.LBB9_1482:
	s_wait_dscnt 0x1
	global_store_b64 v[4:5], v[0:1], off offset:12288
.LBB9_1483:
	s_wait_xcnt 0x0
	s_or_b32 exec_lo, exec_lo, s0
	v_mov_b32_e32 v19, v21
.LBB9_1484:
	s_wait_xcnt 0x0
	s_and_saveexec_b32 s0, s24
	s_cbranch_execz .LBB9_1486
; %bb.1485:
	s_wait_dscnt 0x1
	v_lshl_add_u64 v[0:1], v[18:19], 3, s[20:21]
	s_wait_dscnt 0x0
	global_store_b64 v[0:1], v[2:3], off offset:14336
.LBB9_1486:
	s_endpgm
.LBB9_1487:
	ds_load_b64 v[16:17], v19
	s_wait_dscnt 0x0
	global_store_b64 v[4:5], v[16:17], off
	s_wait_xcnt 0x0
	s_or_b32 exec_lo, exec_lo, s7
	s_and_saveexec_b32 s0, s1
	s_cbranch_execz .LBB9_1477
.LBB9_1488:
	s_wait_dscnt 0x6
	global_store_b64 v[4:5], v[14:15], off offset:2048
	s_wait_xcnt 0x0
	s_or_b32 exec_lo, exec_lo, s0
	s_and_saveexec_b32 s0, s2
	s_cbranch_execz .LBB9_1478
.LBB9_1489:
	s_wait_dscnt 0x5
	global_store_b64 v[4:5], v[12:13], off offset:4096
	s_wait_xcnt 0x0
	s_or_b32 exec_lo, exec_lo, s0
	s_and_saveexec_b32 s0, s3
	s_cbranch_execz .LBB9_1479
.LBB9_1490:
	s_wait_dscnt 0x4
	global_store_b64 v[4:5], v[10:11], off offset:6144
	s_wait_xcnt 0x0
	s_or_b32 exec_lo, exec_lo, s0
	s_and_saveexec_b32 s0, s4
	s_cbranch_execz .LBB9_1480
.LBB9_1491:
	s_wait_dscnt 0x3
	global_store_b64 v[4:5], v[8:9], off offset:8192
	s_wait_xcnt 0x0
	s_or_b32 exec_lo, exec_lo, s0
	s_and_saveexec_b32 s0, s5
	s_cbranch_execz .LBB9_1481
.LBB9_1492:
	s_wait_dscnt 0x2
	global_store_b64 v[4:5], v[6:7], off offset:10240
	s_wait_xcnt 0x0
	s_or_b32 exec_lo, exec_lo, s0
	s_and_saveexec_b32 s0, s6
	s_cbranch_execnz .LBB9_1482
	s_branch .LBB9_1483
	.section	.rodata,"a",@progbits
	.p2align	6, 0x0
	.amdhsa_kernel _ZN7rocprim17ROCPRIM_400000_NS6detail17trampoline_kernelINS0_14default_configENS1_37merge_sort_block_sort_config_selectorIlNS0_10empty_typeEEEZNS1_21merge_sort_block_sortIS3_PlS8_PS5_S9_ZN2at6native12_GLOBAL__N_124unique_dim_cuda_templateIhEESt5tupleIJNSA_6TensorESF_SF_EERKSF_lbbbEUlllE_EE10hipError_tT0_T1_T2_T3_mRjT4_P12ihipStream_tbNS1_7vsmem_tEEUlT_E_NS1_11comp_targetILNS1_3genE0ELNS1_11target_archE4294967295ELNS1_3gpuE0ELNS1_3repE0EEENS1_30default_config_static_selectorELNS0_4arch9wavefront6targetE0EEEvSM_
		.amdhsa_group_segment_fixed_size 16896
		.amdhsa_private_segment_fixed_size 0
		.amdhsa_kernarg_size 328
		.amdhsa_user_sgpr_count 2
		.amdhsa_user_sgpr_dispatch_ptr 0
		.amdhsa_user_sgpr_queue_ptr 0
		.amdhsa_user_sgpr_kernarg_segment_ptr 1
		.amdhsa_user_sgpr_dispatch_id 0
		.amdhsa_user_sgpr_kernarg_preload_length 0
		.amdhsa_user_sgpr_kernarg_preload_offset 0
		.amdhsa_user_sgpr_private_segment_size 0
		.amdhsa_wavefront_size32 1
		.amdhsa_uses_dynamic_stack 0
		.amdhsa_enable_private_segment 0
		.amdhsa_system_sgpr_workgroup_id_x 1
		.amdhsa_system_sgpr_workgroup_id_y 1
		.amdhsa_system_sgpr_workgroup_id_z 1
		.amdhsa_system_sgpr_workgroup_info 0
		.amdhsa_system_vgpr_workitem_id 2
		.amdhsa_next_free_vgpr 57
		.amdhsa_next_free_sgpr 37
		.amdhsa_named_barrier_count 0
		.amdhsa_reserve_vcc 1
		.amdhsa_float_round_mode_32 0
		.amdhsa_float_round_mode_16_64 0
		.amdhsa_float_denorm_mode_32 3
		.amdhsa_float_denorm_mode_16_64 3
		.amdhsa_fp16_overflow 0
		.amdhsa_memory_ordered 1
		.amdhsa_forward_progress 1
		.amdhsa_inst_pref_size 255
		.amdhsa_round_robin_scheduling 0
		.amdhsa_exception_fp_ieee_invalid_op 0
		.amdhsa_exception_fp_denorm_src 0
		.amdhsa_exception_fp_ieee_div_zero 0
		.amdhsa_exception_fp_ieee_overflow 0
		.amdhsa_exception_fp_ieee_underflow 0
		.amdhsa_exception_fp_ieee_inexact 0
		.amdhsa_exception_int_div_zero 0
	.end_amdhsa_kernel
	.section	.text._ZN7rocprim17ROCPRIM_400000_NS6detail17trampoline_kernelINS0_14default_configENS1_37merge_sort_block_sort_config_selectorIlNS0_10empty_typeEEEZNS1_21merge_sort_block_sortIS3_PlS8_PS5_S9_ZN2at6native12_GLOBAL__N_124unique_dim_cuda_templateIhEESt5tupleIJNSA_6TensorESF_SF_EERKSF_lbbbEUlllE_EE10hipError_tT0_T1_T2_T3_mRjT4_P12ihipStream_tbNS1_7vsmem_tEEUlT_E_NS1_11comp_targetILNS1_3genE0ELNS1_11target_archE4294967295ELNS1_3gpuE0ELNS1_3repE0EEENS1_30default_config_static_selectorELNS0_4arch9wavefront6targetE0EEEvSM_,"axG",@progbits,_ZN7rocprim17ROCPRIM_400000_NS6detail17trampoline_kernelINS0_14default_configENS1_37merge_sort_block_sort_config_selectorIlNS0_10empty_typeEEEZNS1_21merge_sort_block_sortIS3_PlS8_PS5_S9_ZN2at6native12_GLOBAL__N_124unique_dim_cuda_templateIhEESt5tupleIJNSA_6TensorESF_SF_EERKSF_lbbbEUlllE_EE10hipError_tT0_T1_T2_T3_mRjT4_P12ihipStream_tbNS1_7vsmem_tEEUlT_E_NS1_11comp_targetILNS1_3genE0ELNS1_11target_archE4294967295ELNS1_3gpuE0ELNS1_3repE0EEENS1_30default_config_static_selectorELNS0_4arch9wavefront6targetE0EEEvSM_,comdat
.Lfunc_end9:
	.size	_ZN7rocprim17ROCPRIM_400000_NS6detail17trampoline_kernelINS0_14default_configENS1_37merge_sort_block_sort_config_selectorIlNS0_10empty_typeEEEZNS1_21merge_sort_block_sortIS3_PlS8_PS5_S9_ZN2at6native12_GLOBAL__N_124unique_dim_cuda_templateIhEESt5tupleIJNSA_6TensorESF_SF_EERKSF_lbbbEUlllE_EE10hipError_tT0_T1_T2_T3_mRjT4_P12ihipStream_tbNS1_7vsmem_tEEUlT_E_NS1_11comp_targetILNS1_3genE0ELNS1_11target_archE4294967295ELNS1_3gpuE0ELNS1_3repE0EEENS1_30default_config_static_selectorELNS0_4arch9wavefront6targetE0EEEvSM_, .Lfunc_end9-_ZN7rocprim17ROCPRIM_400000_NS6detail17trampoline_kernelINS0_14default_configENS1_37merge_sort_block_sort_config_selectorIlNS0_10empty_typeEEEZNS1_21merge_sort_block_sortIS3_PlS8_PS5_S9_ZN2at6native12_GLOBAL__N_124unique_dim_cuda_templateIhEESt5tupleIJNSA_6TensorESF_SF_EERKSF_lbbbEUlllE_EE10hipError_tT0_T1_T2_T3_mRjT4_P12ihipStream_tbNS1_7vsmem_tEEUlT_E_NS1_11comp_targetILNS1_3genE0ELNS1_11target_archE4294967295ELNS1_3gpuE0ELNS1_3repE0EEENS1_30default_config_static_selectorELNS0_4arch9wavefront6targetE0EEEvSM_
                                        ; -- End function
	.set _ZN7rocprim17ROCPRIM_400000_NS6detail17trampoline_kernelINS0_14default_configENS1_37merge_sort_block_sort_config_selectorIlNS0_10empty_typeEEEZNS1_21merge_sort_block_sortIS3_PlS8_PS5_S9_ZN2at6native12_GLOBAL__N_124unique_dim_cuda_templateIhEESt5tupleIJNSA_6TensorESF_SF_EERKSF_lbbbEUlllE_EE10hipError_tT0_T1_T2_T3_mRjT4_P12ihipStream_tbNS1_7vsmem_tEEUlT_E_NS1_11comp_targetILNS1_3genE0ELNS1_11target_archE4294967295ELNS1_3gpuE0ELNS1_3repE0EEENS1_30default_config_static_selectorELNS0_4arch9wavefront6targetE0EEEvSM_.num_vgpr, 57
	.set _ZN7rocprim17ROCPRIM_400000_NS6detail17trampoline_kernelINS0_14default_configENS1_37merge_sort_block_sort_config_selectorIlNS0_10empty_typeEEEZNS1_21merge_sort_block_sortIS3_PlS8_PS5_S9_ZN2at6native12_GLOBAL__N_124unique_dim_cuda_templateIhEESt5tupleIJNSA_6TensorESF_SF_EERKSF_lbbbEUlllE_EE10hipError_tT0_T1_T2_T3_mRjT4_P12ihipStream_tbNS1_7vsmem_tEEUlT_E_NS1_11comp_targetILNS1_3genE0ELNS1_11target_archE4294967295ELNS1_3gpuE0ELNS1_3repE0EEENS1_30default_config_static_selectorELNS0_4arch9wavefront6targetE0EEEvSM_.num_agpr, 0
	.set _ZN7rocprim17ROCPRIM_400000_NS6detail17trampoline_kernelINS0_14default_configENS1_37merge_sort_block_sort_config_selectorIlNS0_10empty_typeEEEZNS1_21merge_sort_block_sortIS3_PlS8_PS5_S9_ZN2at6native12_GLOBAL__N_124unique_dim_cuda_templateIhEESt5tupleIJNSA_6TensorESF_SF_EERKSF_lbbbEUlllE_EE10hipError_tT0_T1_T2_T3_mRjT4_P12ihipStream_tbNS1_7vsmem_tEEUlT_E_NS1_11comp_targetILNS1_3genE0ELNS1_11target_archE4294967295ELNS1_3gpuE0ELNS1_3repE0EEENS1_30default_config_static_selectorELNS0_4arch9wavefront6targetE0EEEvSM_.numbered_sgpr, 37
	.set _ZN7rocprim17ROCPRIM_400000_NS6detail17trampoline_kernelINS0_14default_configENS1_37merge_sort_block_sort_config_selectorIlNS0_10empty_typeEEEZNS1_21merge_sort_block_sortIS3_PlS8_PS5_S9_ZN2at6native12_GLOBAL__N_124unique_dim_cuda_templateIhEESt5tupleIJNSA_6TensorESF_SF_EERKSF_lbbbEUlllE_EE10hipError_tT0_T1_T2_T3_mRjT4_P12ihipStream_tbNS1_7vsmem_tEEUlT_E_NS1_11comp_targetILNS1_3genE0ELNS1_11target_archE4294967295ELNS1_3gpuE0ELNS1_3repE0EEENS1_30default_config_static_selectorELNS0_4arch9wavefront6targetE0EEEvSM_.num_named_barrier, 0
	.set _ZN7rocprim17ROCPRIM_400000_NS6detail17trampoline_kernelINS0_14default_configENS1_37merge_sort_block_sort_config_selectorIlNS0_10empty_typeEEEZNS1_21merge_sort_block_sortIS3_PlS8_PS5_S9_ZN2at6native12_GLOBAL__N_124unique_dim_cuda_templateIhEESt5tupleIJNSA_6TensorESF_SF_EERKSF_lbbbEUlllE_EE10hipError_tT0_T1_T2_T3_mRjT4_P12ihipStream_tbNS1_7vsmem_tEEUlT_E_NS1_11comp_targetILNS1_3genE0ELNS1_11target_archE4294967295ELNS1_3gpuE0ELNS1_3repE0EEENS1_30default_config_static_selectorELNS0_4arch9wavefront6targetE0EEEvSM_.private_seg_size, 0
	.set _ZN7rocprim17ROCPRIM_400000_NS6detail17trampoline_kernelINS0_14default_configENS1_37merge_sort_block_sort_config_selectorIlNS0_10empty_typeEEEZNS1_21merge_sort_block_sortIS3_PlS8_PS5_S9_ZN2at6native12_GLOBAL__N_124unique_dim_cuda_templateIhEESt5tupleIJNSA_6TensorESF_SF_EERKSF_lbbbEUlllE_EE10hipError_tT0_T1_T2_T3_mRjT4_P12ihipStream_tbNS1_7vsmem_tEEUlT_E_NS1_11comp_targetILNS1_3genE0ELNS1_11target_archE4294967295ELNS1_3gpuE0ELNS1_3repE0EEENS1_30default_config_static_selectorELNS0_4arch9wavefront6targetE0EEEvSM_.uses_vcc, 1
	.set _ZN7rocprim17ROCPRIM_400000_NS6detail17trampoline_kernelINS0_14default_configENS1_37merge_sort_block_sort_config_selectorIlNS0_10empty_typeEEEZNS1_21merge_sort_block_sortIS3_PlS8_PS5_S9_ZN2at6native12_GLOBAL__N_124unique_dim_cuda_templateIhEESt5tupleIJNSA_6TensorESF_SF_EERKSF_lbbbEUlllE_EE10hipError_tT0_T1_T2_T3_mRjT4_P12ihipStream_tbNS1_7vsmem_tEEUlT_E_NS1_11comp_targetILNS1_3genE0ELNS1_11target_archE4294967295ELNS1_3gpuE0ELNS1_3repE0EEENS1_30default_config_static_selectorELNS0_4arch9wavefront6targetE0EEEvSM_.uses_flat_scratch, 0
	.set _ZN7rocprim17ROCPRIM_400000_NS6detail17trampoline_kernelINS0_14default_configENS1_37merge_sort_block_sort_config_selectorIlNS0_10empty_typeEEEZNS1_21merge_sort_block_sortIS3_PlS8_PS5_S9_ZN2at6native12_GLOBAL__N_124unique_dim_cuda_templateIhEESt5tupleIJNSA_6TensorESF_SF_EERKSF_lbbbEUlllE_EE10hipError_tT0_T1_T2_T3_mRjT4_P12ihipStream_tbNS1_7vsmem_tEEUlT_E_NS1_11comp_targetILNS1_3genE0ELNS1_11target_archE4294967295ELNS1_3gpuE0ELNS1_3repE0EEENS1_30default_config_static_selectorELNS0_4arch9wavefront6targetE0EEEvSM_.has_dyn_sized_stack, 0
	.set _ZN7rocprim17ROCPRIM_400000_NS6detail17trampoline_kernelINS0_14default_configENS1_37merge_sort_block_sort_config_selectorIlNS0_10empty_typeEEEZNS1_21merge_sort_block_sortIS3_PlS8_PS5_S9_ZN2at6native12_GLOBAL__N_124unique_dim_cuda_templateIhEESt5tupleIJNSA_6TensorESF_SF_EERKSF_lbbbEUlllE_EE10hipError_tT0_T1_T2_T3_mRjT4_P12ihipStream_tbNS1_7vsmem_tEEUlT_E_NS1_11comp_targetILNS1_3genE0ELNS1_11target_archE4294967295ELNS1_3gpuE0ELNS1_3repE0EEENS1_30default_config_static_selectorELNS0_4arch9wavefront6targetE0EEEvSM_.has_recursion, 0
	.set _ZN7rocprim17ROCPRIM_400000_NS6detail17trampoline_kernelINS0_14default_configENS1_37merge_sort_block_sort_config_selectorIlNS0_10empty_typeEEEZNS1_21merge_sort_block_sortIS3_PlS8_PS5_S9_ZN2at6native12_GLOBAL__N_124unique_dim_cuda_templateIhEESt5tupleIJNSA_6TensorESF_SF_EERKSF_lbbbEUlllE_EE10hipError_tT0_T1_T2_T3_mRjT4_P12ihipStream_tbNS1_7vsmem_tEEUlT_E_NS1_11comp_targetILNS1_3genE0ELNS1_11target_archE4294967295ELNS1_3gpuE0ELNS1_3repE0EEENS1_30default_config_static_selectorELNS0_4arch9wavefront6targetE0EEEvSM_.has_indirect_call, 0
	.section	.AMDGPU.csdata,"",@progbits
; Kernel info:
; codeLenInByte = 62980
; TotalNumSgprs: 39
; NumVgprs: 57
; ScratchSize: 0
; MemoryBound: 0
; FloatMode: 240
; IeeeMode: 1
; LDSByteSize: 16896 bytes/workgroup (compile time only)
; SGPRBlocks: 0
; VGPRBlocks: 3
; NumSGPRsForWavesPerEU: 39
; NumVGPRsForWavesPerEU: 57
; NamedBarCnt: 0
; Occupancy: 16
; WaveLimiterHint : 1
; COMPUTE_PGM_RSRC2:SCRATCH_EN: 0
; COMPUTE_PGM_RSRC2:USER_SGPR: 2
; COMPUTE_PGM_RSRC2:TRAP_HANDLER: 0
; COMPUTE_PGM_RSRC2:TGID_X_EN: 1
; COMPUTE_PGM_RSRC2:TGID_Y_EN: 1
; COMPUTE_PGM_RSRC2:TGID_Z_EN: 1
; COMPUTE_PGM_RSRC2:TIDIG_COMP_CNT: 2
	.section	.text._ZN7rocprim17ROCPRIM_400000_NS6detail17trampoline_kernelINS0_14default_configENS1_37merge_sort_block_sort_config_selectorIlNS0_10empty_typeEEEZNS1_21merge_sort_block_sortIS3_PlS8_PS5_S9_ZN2at6native12_GLOBAL__N_124unique_dim_cuda_templateIhEESt5tupleIJNSA_6TensorESF_SF_EERKSF_lbbbEUlllE_EE10hipError_tT0_T1_T2_T3_mRjT4_P12ihipStream_tbNS1_7vsmem_tEEUlT_E_NS1_11comp_targetILNS1_3genE5ELNS1_11target_archE942ELNS1_3gpuE9ELNS1_3repE0EEENS1_30default_config_static_selectorELNS0_4arch9wavefront6targetE0EEEvSM_,"axG",@progbits,_ZN7rocprim17ROCPRIM_400000_NS6detail17trampoline_kernelINS0_14default_configENS1_37merge_sort_block_sort_config_selectorIlNS0_10empty_typeEEEZNS1_21merge_sort_block_sortIS3_PlS8_PS5_S9_ZN2at6native12_GLOBAL__N_124unique_dim_cuda_templateIhEESt5tupleIJNSA_6TensorESF_SF_EERKSF_lbbbEUlllE_EE10hipError_tT0_T1_T2_T3_mRjT4_P12ihipStream_tbNS1_7vsmem_tEEUlT_E_NS1_11comp_targetILNS1_3genE5ELNS1_11target_archE942ELNS1_3gpuE9ELNS1_3repE0EEENS1_30default_config_static_selectorELNS0_4arch9wavefront6targetE0EEEvSM_,comdat
	.globl	_ZN7rocprim17ROCPRIM_400000_NS6detail17trampoline_kernelINS0_14default_configENS1_37merge_sort_block_sort_config_selectorIlNS0_10empty_typeEEEZNS1_21merge_sort_block_sortIS3_PlS8_PS5_S9_ZN2at6native12_GLOBAL__N_124unique_dim_cuda_templateIhEESt5tupleIJNSA_6TensorESF_SF_EERKSF_lbbbEUlllE_EE10hipError_tT0_T1_T2_T3_mRjT4_P12ihipStream_tbNS1_7vsmem_tEEUlT_E_NS1_11comp_targetILNS1_3genE5ELNS1_11target_archE942ELNS1_3gpuE9ELNS1_3repE0EEENS1_30default_config_static_selectorELNS0_4arch9wavefront6targetE0EEEvSM_ ; -- Begin function _ZN7rocprim17ROCPRIM_400000_NS6detail17trampoline_kernelINS0_14default_configENS1_37merge_sort_block_sort_config_selectorIlNS0_10empty_typeEEEZNS1_21merge_sort_block_sortIS3_PlS8_PS5_S9_ZN2at6native12_GLOBAL__N_124unique_dim_cuda_templateIhEESt5tupleIJNSA_6TensorESF_SF_EERKSF_lbbbEUlllE_EE10hipError_tT0_T1_T2_T3_mRjT4_P12ihipStream_tbNS1_7vsmem_tEEUlT_E_NS1_11comp_targetILNS1_3genE5ELNS1_11target_archE942ELNS1_3gpuE9ELNS1_3repE0EEENS1_30default_config_static_selectorELNS0_4arch9wavefront6targetE0EEEvSM_
	.p2align	8
	.type	_ZN7rocprim17ROCPRIM_400000_NS6detail17trampoline_kernelINS0_14default_configENS1_37merge_sort_block_sort_config_selectorIlNS0_10empty_typeEEEZNS1_21merge_sort_block_sortIS3_PlS8_PS5_S9_ZN2at6native12_GLOBAL__N_124unique_dim_cuda_templateIhEESt5tupleIJNSA_6TensorESF_SF_EERKSF_lbbbEUlllE_EE10hipError_tT0_T1_T2_T3_mRjT4_P12ihipStream_tbNS1_7vsmem_tEEUlT_E_NS1_11comp_targetILNS1_3genE5ELNS1_11target_archE942ELNS1_3gpuE9ELNS1_3repE0EEENS1_30default_config_static_selectorELNS0_4arch9wavefront6targetE0EEEvSM_,@function
_ZN7rocprim17ROCPRIM_400000_NS6detail17trampoline_kernelINS0_14default_configENS1_37merge_sort_block_sort_config_selectorIlNS0_10empty_typeEEEZNS1_21merge_sort_block_sortIS3_PlS8_PS5_S9_ZN2at6native12_GLOBAL__N_124unique_dim_cuda_templateIhEESt5tupleIJNSA_6TensorESF_SF_EERKSF_lbbbEUlllE_EE10hipError_tT0_T1_T2_T3_mRjT4_P12ihipStream_tbNS1_7vsmem_tEEUlT_E_NS1_11comp_targetILNS1_3genE5ELNS1_11target_archE942ELNS1_3gpuE9ELNS1_3repE0EEENS1_30default_config_static_selectorELNS0_4arch9wavefront6targetE0EEEvSM_: ; @_ZN7rocprim17ROCPRIM_400000_NS6detail17trampoline_kernelINS0_14default_configENS1_37merge_sort_block_sort_config_selectorIlNS0_10empty_typeEEEZNS1_21merge_sort_block_sortIS3_PlS8_PS5_S9_ZN2at6native12_GLOBAL__N_124unique_dim_cuda_templateIhEESt5tupleIJNSA_6TensorESF_SF_EERKSF_lbbbEUlllE_EE10hipError_tT0_T1_T2_T3_mRjT4_P12ihipStream_tbNS1_7vsmem_tEEUlT_E_NS1_11comp_targetILNS1_3genE5ELNS1_11target_archE942ELNS1_3gpuE9ELNS1_3repE0EEENS1_30default_config_static_selectorELNS0_4arch9wavefront6targetE0EEEvSM_
; %bb.0:
	.section	.rodata,"a",@progbits
	.p2align	6, 0x0
	.amdhsa_kernel _ZN7rocprim17ROCPRIM_400000_NS6detail17trampoline_kernelINS0_14default_configENS1_37merge_sort_block_sort_config_selectorIlNS0_10empty_typeEEEZNS1_21merge_sort_block_sortIS3_PlS8_PS5_S9_ZN2at6native12_GLOBAL__N_124unique_dim_cuda_templateIhEESt5tupleIJNSA_6TensorESF_SF_EERKSF_lbbbEUlllE_EE10hipError_tT0_T1_T2_T3_mRjT4_P12ihipStream_tbNS1_7vsmem_tEEUlT_E_NS1_11comp_targetILNS1_3genE5ELNS1_11target_archE942ELNS1_3gpuE9ELNS1_3repE0EEENS1_30default_config_static_selectorELNS0_4arch9wavefront6targetE0EEEvSM_
		.amdhsa_group_segment_fixed_size 0
		.amdhsa_private_segment_fixed_size 0
		.amdhsa_kernarg_size 72
		.amdhsa_user_sgpr_count 2
		.amdhsa_user_sgpr_dispatch_ptr 0
		.amdhsa_user_sgpr_queue_ptr 0
		.amdhsa_user_sgpr_kernarg_segment_ptr 1
		.amdhsa_user_sgpr_dispatch_id 0
		.amdhsa_user_sgpr_kernarg_preload_length 0
		.amdhsa_user_sgpr_kernarg_preload_offset 0
		.amdhsa_user_sgpr_private_segment_size 0
		.amdhsa_wavefront_size32 1
		.amdhsa_uses_dynamic_stack 0
		.amdhsa_enable_private_segment 0
		.amdhsa_system_sgpr_workgroup_id_x 1
		.amdhsa_system_sgpr_workgroup_id_y 0
		.amdhsa_system_sgpr_workgroup_id_z 0
		.amdhsa_system_sgpr_workgroup_info 0
		.amdhsa_system_vgpr_workitem_id 0
		.amdhsa_next_free_vgpr 1
		.amdhsa_next_free_sgpr 1
		.amdhsa_named_barrier_count 0
		.amdhsa_reserve_vcc 0
		.amdhsa_float_round_mode_32 0
		.amdhsa_float_round_mode_16_64 0
		.amdhsa_float_denorm_mode_32 3
		.amdhsa_float_denorm_mode_16_64 3
		.amdhsa_fp16_overflow 0
		.amdhsa_memory_ordered 1
		.amdhsa_forward_progress 1
		.amdhsa_inst_pref_size 0
		.amdhsa_round_robin_scheduling 0
		.amdhsa_exception_fp_ieee_invalid_op 0
		.amdhsa_exception_fp_denorm_src 0
		.amdhsa_exception_fp_ieee_div_zero 0
		.amdhsa_exception_fp_ieee_overflow 0
		.amdhsa_exception_fp_ieee_underflow 0
		.amdhsa_exception_fp_ieee_inexact 0
		.amdhsa_exception_int_div_zero 0
	.end_amdhsa_kernel
	.section	.text._ZN7rocprim17ROCPRIM_400000_NS6detail17trampoline_kernelINS0_14default_configENS1_37merge_sort_block_sort_config_selectorIlNS0_10empty_typeEEEZNS1_21merge_sort_block_sortIS3_PlS8_PS5_S9_ZN2at6native12_GLOBAL__N_124unique_dim_cuda_templateIhEESt5tupleIJNSA_6TensorESF_SF_EERKSF_lbbbEUlllE_EE10hipError_tT0_T1_T2_T3_mRjT4_P12ihipStream_tbNS1_7vsmem_tEEUlT_E_NS1_11comp_targetILNS1_3genE5ELNS1_11target_archE942ELNS1_3gpuE9ELNS1_3repE0EEENS1_30default_config_static_selectorELNS0_4arch9wavefront6targetE0EEEvSM_,"axG",@progbits,_ZN7rocprim17ROCPRIM_400000_NS6detail17trampoline_kernelINS0_14default_configENS1_37merge_sort_block_sort_config_selectorIlNS0_10empty_typeEEEZNS1_21merge_sort_block_sortIS3_PlS8_PS5_S9_ZN2at6native12_GLOBAL__N_124unique_dim_cuda_templateIhEESt5tupleIJNSA_6TensorESF_SF_EERKSF_lbbbEUlllE_EE10hipError_tT0_T1_T2_T3_mRjT4_P12ihipStream_tbNS1_7vsmem_tEEUlT_E_NS1_11comp_targetILNS1_3genE5ELNS1_11target_archE942ELNS1_3gpuE9ELNS1_3repE0EEENS1_30default_config_static_selectorELNS0_4arch9wavefront6targetE0EEEvSM_,comdat
.Lfunc_end10:
	.size	_ZN7rocprim17ROCPRIM_400000_NS6detail17trampoline_kernelINS0_14default_configENS1_37merge_sort_block_sort_config_selectorIlNS0_10empty_typeEEEZNS1_21merge_sort_block_sortIS3_PlS8_PS5_S9_ZN2at6native12_GLOBAL__N_124unique_dim_cuda_templateIhEESt5tupleIJNSA_6TensorESF_SF_EERKSF_lbbbEUlllE_EE10hipError_tT0_T1_T2_T3_mRjT4_P12ihipStream_tbNS1_7vsmem_tEEUlT_E_NS1_11comp_targetILNS1_3genE5ELNS1_11target_archE942ELNS1_3gpuE9ELNS1_3repE0EEENS1_30default_config_static_selectorELNS0_4arch9wavefront6targetE0EEEvSM_, .Lfunc_end10-_ZN7rocprim17ROCPRIM_400000_NS6detail17trampoline_kernelINS0_14default_configENS1_37merge_sort_block_sort_config_selectorIlNS0_10empty_typeEEEZNS1_21merge_sort_block_sortIS3_PlS8_PS5_S9_ZN2at6native12_GLOBAL__N_124unique_dim_cuda_templateIhEESt5tupleIJNSA_6TensorESF_SF_EERKSF_lbbbEUlllE_EE10hipError_tT0_T1_T2_T3_mRjT4_P12ihipStream_tbNS1_7vsmem_tEEUlT_E_NS1_11comp_targetILNS1_3genE5ELNS1_11target_archE942ELNS1_3gpuE9ELNS1_3repE0EEENS1_30default_config_static_selectorELNS0_4arch9wavefront6targetE0EEEvSM_
                                        ; -- End function
	.set _ZN7rocprim17ROCPRIM_400000_NS6detail17trampoline_kernelINS0_14default_configENS1_37merge_sort_block_sort_config_selectorIlNS0_10empty_typeEEEZNS1_21merge_sort_block_sortIS3_PlS8_PS5_S9_ZN2at6native12_GLOBAL__N_124unique_dim_cuda_templateIhEESt5tupleIJNSA_6TensorESF_SF_EERKSF_lbbbEUlllE_EE10hipError_tT0_T1_T2_T3_mRjT4_P12ihipStream_tbNS1_7vsmem_tEEUlT_E_NS1_11comp_targetILNS1_3genE5ELNS1_11target_archE942ELNS1_3gpuE9ELNS1_3repE0EEENS1_30default_config_static_selectorELNS0_4arch9wavefront6targetE0EEEvSM_.num_vgpr, 0
	.set _ZN7rocprim17ROCPRIM_400000_NS6detail17trampoline_kernelINS0_14default_configENS1_37merge_sort_block_sort_config_selectorIlNS0_10empty_typeEEEZNS1_21merge_sort_block_sortIS3_PlS8_PS5_S9_ZN2at6native12_GLOBAL__N_124unique_dim_cuda_templateIhEESt5tupleIJNSA_6TensorESF_SF_EERKSF_lbbbEUlllE_EE10hipError_tT0_T1_T2_T3_mRjT4_P12ihipStream_tbNS1_7vsmem_tEEUlT_E_NS1_11comp_targetILNS1_3genE5ELNS1_11target_archE942ELNS1_3gpuE9ELNS1_3repE0EEENS1_30default_config_static_selectorELNS0_4arch9wavefront6targetE0EEEvSM_.num_agpr, 0
	.set _ZN7rocprim17ROCPRIM_400000_NS6detail17trampoline_kernelINS0_14default_configENS1_37merge_sort_block_sort_config_selectorIlNS0_10empty_typeEEEZNS1_21merge_sort_block_sortIS3_PlS8_PS5_S9_ZN2at6native12_GLOBAL__N_124unique_dim_cuda_templateIhEESt5tupleIJNSA_6TensorESF_SF_EERKSF_lbbbEUlllE_EE10hipError_tT0_T1_T2_T3_mRjT4_P12ihipStream_tbNS1_7vsmem_tEEUlT_E_NS1_11comp_targetILNS1_3genE5ELNS1_11target_archE942ELNS1_3gpuE9ELNS1_3repE0EEENS1_30default_config_static_selectorELNS0_4arch9wavefront6targetE0EEEvSM_.numbered_sgpr, 0
	.set _ZN7rocprim17ROCPRIM_400000_NS6detail17trampoline_kernelINS0_14default_configENS1_37merge_sort_block_sort_config_selectorIlNS0_10empty_typeEEEZNS1_21merge_sort_block_sortIS3_PlS8_PS5_S9_ZN2at6native12_GLOBAL__N_124unique_dim_cuda_templateIhEESt5tupleIJNSA_6TensorESF_SF_EERKSF_lbbbEUlllE_EE10hipError_tT0_T1_T2_T3_mRjT4_P12ihipStream_tbNS1_7vsmem_tEEUlT_E_NS1_11comp_targetILNS1_3genE5ELNS1_11target_archE942ELNS1_3gpuE9ELNS1_3repE0EEENS1_30default_config_static_selectorELNS0_4arch9wavefront6targetE0EEEvSM_.num_named_barrier, 0
	.set _ZN7rocprim17ROCPRIM_400000_NS6detail17trampoline_kernelINS0_14default_configENS1_37merge_sort_block_sort_config_selectorIlNS0_10empty_typeEEEZNS1_21merge_sort_block_sortIS3_PlS8_PS5_S9_ZN2at6native12_GLOBAL__N_124unique_dim_cuda_templateIhEESt5tupleIJNSA_6TensorESF_SF_EERKSF_lbbbEUlllE_EE10hipError_tT0_T1_T2_T3_mRjT4_P12ihipStream_tbNS1_7vsmem_tEEUlT_E_NS1_11comp_targetILNS1_3genE5ELNS1_11target_archE942ELNS1_3gpuE9ELNS1_3repE0EEENS1_30default_config_static_selectorELNS0_4arch9wavefront6targetE0EEEvSM_.private_seg_size, 0
	.set _ZN7rocprim17ROCPRIM_400000_NS6detail17trampoline_kernelINS0_14default_configENS1_37merge_sort_block_sort_config_selectorIlNS0_10empty_typeEEEZNS1_21merge_sort_block_sortIS3_PlS8_PS5_S9_ZN2at6native12_GLOBAL__N_124unique_dim_cuda_templateIhEESt5tupleIJNSA_6TensorESF_SF_EERKSF_lbbbEUlllE_EE10hipError_tT0_T1_T2_T3_mRjT4_P12ihipStream_tbNS1_7vsmem_tEEUlT_E_NS1_11comp_targetILNS1_3genE5ELNS1_11target_archE942ELNS1_3gpuE9ELNS1_3repE0EEENS1_30default_config_static_selectorELNS0_4arch9wavefront6targetE0EEEvSM_.uses_vcc, 0
	.set _ZN7rocprim17ROCPRIM_400000_NS6detail17trampoline_kernelINS0_14default_configENS1_37merge_sort_block_sort_config_selectorIlNS0_10empty_typeEEEZNS1_21merge_sort_block_sortIS3_PlS8_PS5_S9_ZN2at6native12_GLOBAL__N_124unique_dim_cuda_templateIhEESt5tupleIJNSA_6TensorESF_SF_EERKSF_lbbbEUlllE_EE10hipError_tT0_T1_T2_T3_mRjT4_P12ihipStream_tbNS1_7vsmem_tEEUlT_E_NS1_11comp_targetILNS1_3genE5ELNS1_11target_archE942ELNS1_3gpuE9ELNS1_3repE0EEENS1_30default_config_static_selectorELNS0_4arch9wavefront6targetE0EEEvSM_.uses_flat_scratch, 0
	.set _ZN7rocprim17ROCPRIM_400000_NS6detail17trampoline_kernelINS0_14default_configENS1_37merge_sort_block_sort_config_selectorIlNS0_10empty_typeEEEZNS1_21merge_sort_block_sortIS3_PlS8_PS5_S9_ZN2at6native12_GLOBAL__N_124unique_dim_cuda_templateIhEESt5tupleIJNSA_6TensorESF_SF_EERKSF_lbbbEUlllE_EE10hipError_tT0_T1_T2_T3_mRjT4_P12ihipStream_tbNS1_7vsmem_tEEUlT_E_NS1_11comp_targetILNS1_3genE5ELNS1_11target_archE942ELNS1_3gpuE9ELNS1_3repE0EEENS1_30default_config_static_selectorELNS0_4arch9wavefront6targetE0EEEvSM_.has_dyn_sized_stack, 0
	.set _ZN7rocprim17ROCPRIM_400000_NS6detail17trampoline_kernelINS0_14default_configENS1_37merge_sort_block_sort_config_selectorIlNS0_10empty_typeEEEZNS1_21merge_sort_block_sortIS3_PlS8_PS5_S9_ZN2at6native12_GLOBAL__N_124unique_dim_cuda_templateIhEESt5tupleIJNSA_6TensorESF_SF_EERKSF_lbbbEUlllE_EE10hipError_tT0_T1_T2_T3_mRjT4_P12ihipStream_tbNS1_7vsmem_tEEUlT_E_NS1_11comp_targetILNS1_3genE5ELNS1_11target_archE942ELNS1_3gpuE9ELNS1_3repE0EEENS1_30default_config_static_selectorELNS0_4arch9wavefront6targetE0EEEvSM_.has_recursion, 0
	.set _ZN7rocprim17ROCPRIM_400000_NS6detail17trampoline_kernelINS0_14default_configENS1_37merge_sort_block_sort_config_selectorIlNS0_10empty_typeEEEZNS1_21merge_sort_block_sortIS3_PlS8_PS5_S9_ZN2at6native12_GLOBAL__N_124unique_dim_cuda_templateIhEESt5tupleIJNSA_6TensorESF_SF_EERKSF_lbbbEUlllE_EE10hipError_tT0_T1_T2_T3_mRjT4_P12ihipStream_tbNS1_7vsmem_tEEUlT_E_NS1_11comp_targetILNS1_3genE5ELNS1_11target_archE942ELNS1_3gpuE9ELNS1_3repE0EEENS1_30default_config_static_selectorELNS0_4arch9wavefront6targetE0EEEvSM_.has_indirect_call, 0
	.section	.AMDGPU.csdata,"",@progbits
; Kernel info:
; codeLenInByte = 0
; TotalNumSgprs: 0
; NumVgprs: 0
; ScratchSize: 0
; MemoryBound: 0
; FloatMode: 240
; IeeeMode: 1
; LDSByteSize: 0 bytes/workgroup (compile time only)
; SGPRBlocks: 0
; VGPRBlocks: 0
; NumSGPRsForWavesPerEU: 1
; NumVGPRsForWavesPerEU: 1
; NamedBarCnt: 0
; Occupancy: 16
; WaveLimiterHint : 0
; COMPUTE_PGM_RSRC2:SCRATCH_EN: 0
; COMPUTE_PGM_RSRC2:USER_SGPR: 2
; COMPUTE_PGM_RSRC2:TRAP_HANDLER: 0
; COMPUTE_PGM_RSRC2:TGID_X_EN: 1
; COMPUTE_PGM_RSRC2:TGID_Y_EN: 0
; COMPUTE_PGM_RSRC2:TGID_Z_EN: 0
; COMPUTE_PGM_RSRC2:TIDIG_COMP_CNT: 0
	.section	.text._ZN7rocprim17ROCPRIM_400000_NS6detail17trampoline_kernelINS0_14default_configENS1_37merge_sort_block_sort_config_selectorIlNS0_10empty_typeEEEZNS1_21merge_sort_block_sortIS3_PlS8_PS5_S9_ZN2at6native12_GLOBAL__N_124unique_dim_cuda_templateIhEESt5tupleIJNSA_6TensorESF_SF_EERKSF_lbbbEUlllE_EE10hipError_tT0_T1_T2_T3_mRjT4_P12ihipStream_tbNS1_7vsmem_tEEUlT_E_NS1_11comp_targetILNS1_3genE4ELNS1_11target_archE910ELNS1_3gpuE8ELNS1_3repE0EEENS1_30default_config_static_selectorELNS0_4arch9wavefront6targetE0EEEvSM_,"axG",@progbits,_ZN7rocprim17ROCPRIM_400000_NS6detail17trampoline_kernelINS0_14default_configENS1_37merge_sort_block_sort_config_selectorIlNS0_10empty_typeEEEZNS1_21merge_sort_block_sortIS3_PlS8_PS5_S9_ZN2at6native12_GLOBAL__N_124unique_dim_cuda_templateIhEESt5tupleIJNSA_6TensorESF_SF_EERKSF_lbbbEUlllE_EE10hipError_tT0_T1_T2_T3_mRjT4_P12ihipStream_tbNS1_7vsmem_tEEUlT_E_NS1_11comp_targetILNS1_3genE4ELNS1_11target_archE910ELNS1_3gpuE8ELNS1_3repE0EEENS1_30default_config_static_selectorELNS0_4arch9wavefront6targetE0EEEvSM_,comdat
	.globl	_ZN7rocprim17ROCPRIM_400000_NS6detail17trampoline_kernelINS0_14default_configENS1_37merge_sort_block_sort_config_selectorIlNS0_10empty_typeEEEZNS1_21merge_sort_block_sortIS3_PlS8_PS5_S9_ZN2at6native12_GLOBAL__N_124unique_dim_cuda_templateIhEESt5tupleIJNSA_6TensorESF_SF_EERKSF_lbbbEUlllE_EE10hipError_tT0_T1_T2_T3_mRjT4_P12ihipStream_tbNS1_7vsmem_tEEUlT_E_NS1_11comp_targetILNS1_3genE4ELNS1_11target_archE910ELNS1_3gpuE8ELNS1_3repE0EEENS1_30default_config_static_selectorELNS0_4arch9wavefront6targetE0EEEvSM_ ; -- Begin function _ZN7rocprim17ROCPRIM_400000_NS6detail17trampoline_kernelINS0_14default_configENS1_37merge_sort_block_sort_config_selectorIlNS0_10empty_typeEEEZNS1_21merge_sort_block_sortIS3_PlS8_PS5_S9_ZN2at6native12_GLOBAL__N_124unique_dim_cuda_templateIhEESt5tupleIJNSA_6TensorESF_SF_EERKSF_lbbbEUlllE_EE10hipError_tT0_T1_T2_T3_mRjT4_P12ihipStream_tbNS1_7vsmem_tEEUlT_E_NS1_11comp_targetILNS1_3genE4ELNS1_11target_archE910ELNS1_3gpuE8ELNS1_3repE0EEENS1_30default_config_static_selectorELNS0_4arch9wavefront6targetE0EEEvSM_
	.p2align	8
	.type	_ZN7rocprim17ROCPRIM_400000_NS6detail17trampoline_kernelINS0_14default_configENS1_37merge_sort_block_sort_config_selectorIlNS0_10empty_typeEEEZNS1_21merge_sort_block_sortIS3_PlS8_PS5_S9_ZN2at6native12_GLOBAL__N_124unique_dim_cuda_templateIhEESt5tupleIJNSA_6TensorESF_SF_EERKSF_lbbbEUlllE_EE10hipError_tT0_T1_T2_T3_mRjT4_P12ihipStream_tbNS1_7vsmem_tEEUlT_E_NS1_11comp_targetILNS1_3genE4ELNS1_11target_archE910ELNS1_3gpuE8ELNS1_3repE0EEENS1_30default_config_static_selectorELNS0_4arch9wavefront6targetE0EEEvSM_,@function
_ZN7rocprim17ROCPRIM_400000_NS6detail17trampoline_kernelINS0_14default_configENS1_37merge_sort_block_sort_config_selectorIlNS0_10empty_typeEEEZNS1_21merge_sort_block_sortIS3_PlS8_PS5_S9_ZN2at6native12_GLOBAL__N_124unique_dim_cuda_templateIhEESt5tupleIJNSA_6TensorESF_SF_EERKSF_lbbbEUlllE_EE10hipError_tT0_T1_T2_T3_mRjT4_P12ihipStream_tbNS1_7vsmem_tEEUlT_E_NS1_11comp_targetILNS1_3genE4ELNS1_11target_archE910ELNS1_3gpuE8ELNS1_3repE0EEENS1_30default_config_static_selectorELNS0_4arch9wavefront6targetE0EEEvSM_: ; @_ZN7rocprim17ROCPRIM_400000_NS6detail17trampoline_kernelINS0_14default_configENS1_37merge_sort_block_sort_config_selectorIlNS0_10empty_typeEEEZNS1_21merge_sort_block_sortIS3_PlS8_PS5_S9_ZN2at6native12_GLOBAL__N_124unique_dim_cuda_templateIhEESt5tupleIJNSA_6TensorESF_SF_EERKSF_lbbbEUlllE_EE10hipError_tT0_T1_T2_T3_mRjT4_P12ihipStream_tbNS1_7vsmem_tEEUlT_E_NS1_11comp_targetILNS1_3genE4ELNS1_11target_archE910ELNS1_3gpuE8ELNS1_3repE0EEENS1_30default_config_static_selectorELNS0_4arch9wavefront6targetE0EEEvSM_
; %bb.0:
	.section	.rodata,"a",@progbits
	.p2align	6, 0x0
	.amdhsa_kernel _ZN7rocprim17ROCPRIM_400000_NS6detail17trampoline_kernelINS0_14default_configENS1_37merge_sort_block_sort_config_selectorIlNS0_10empty_typeEEEZNS1_21merge_sort_block_sortIS3_PlS8_PS5_S9_ZN2at6native12_GLOBAL__N_124unique_dim_cuda_templateIhEESt5tupleIJNSA_6TensorESF_SF_EERKSF_lbbbEUlllE_EE10hipError_tT0_T1_T2_T3_mRjT4_P12ihipStream_tbNS1_7vsmem_tEEUlT_E_NS1_11comp_targetILNS1_3genE4ELNS1_11target_archE910ELNS1_3gpuE8ELNS1_3repE0EEENS1_30default_config_static_selectorELNS0_4arch9wavefront6targetE0EEEvSM_
		.amdhsa_group_segment_fixed_size 0
		.amdhsa_private_segment_fixed_size 0
		.amdhsa_kernarg_size 72
		.amdhsa_user_sgpr_count 2
		.amdhsa_user_sgpr_dispatch_ptr 0
		.amdhsa_user_sgpr_queue_ptr 0
		.amdhsa_user_sgpr_kernarg_segment_ptr 1
		.amdhsa_user_sgpr_dispatch_id 0
		.amdhsa_user_sgpr_kernarg_preload_length 0
		.amdhsa_user_sgpr_kernarg_preload_offset 0
		.amdhsa_user_sgpr_private_segment_size 0
		.amdhsa_wavefront_size32 1
		.amdhsa_uses_dynamic_stack 0
		.amdhsa_enable_private_segment 0
		.amdhsa_system_sgpr_workgroup_id_x 1
		.amdhsa_system_sgpr_workgroup_id_y 0
		.amdhsa_system_sgpr_workgroup_id_z 0
		.amdhsa_system_sgpr_workgroup_info 0
		.amdhsa_system_vgpr_workitem_id 0
		.amdhsa_next_free_vgpr 1
		.amdhsa_next_free_sgpr 1
		.amdhsa_named_barrier_count 0
		.amdhsa_reserve_vcc 0
		.amdhsa_float_round_mode_32 0
		.amdhsa_float_round_mode_16_64 0
		.amdhsa_float_denorm_mode_32 3
		.amdhsa_float_denorm_mode_16_64 3
		.amdhsa_fp16_overflow 0
		.amdhsa_memory_ordered 1
		.amdhsa_forward_progress 1
		.amdhsa_inst_pref_size 0
		.amdhsa_round_robin_scheduling 0
		.amdhsa_exception_fp_ieee_invalid_op 0
		.amdhsa_exception_fp_denorm_src 0
		.amdhsa_exception_fp_ieee_div_zero 0
		.amdhsa_exception_fp_ieee_overflow 0
		.amdhsa_exception_fp_ieee_underflow 0
		.amdhsa_exception_fp_ieee_inexact 0
		.amdhsa_exception_int_div_zero 0
	.end_amdhsa_kernel
	.section	.text._ZN7rocprim17ROCPRIM_400000_NS6detail17trampoline_kernelINS0_14default_configENS1_37merge_sort_block_sort_config_selectorIlNS0_10empty_typeEEEZNS1_21merge_sort_block_sortIS3_PlS8_PS5_S9_ZN2at6native12_GLOBAL__N_124unique_dim_cuda_templateIhEESt5tupleIJNSA_6TensorESF_SF_EERKSF_lbbbEUlllE_EE10hipError_tT0_T1_T2_T3_mRjT4_P12ihipStream_tbNS1_7vsmem_tEEUlT_E_NS1_11comp_targetILNS1_3genE4ELNS1_11target_archE910ELNS1_3gpuE8ELNS1_3repE0EEENS1_30default_config_static_selectorELNS0_4arch9wavefront6targetE0EEEvSM_,"axG",@progbits,_ZN7rocprim17ROCPRIM_400000_NS6detail17trampoline_kernelINS0_14default_configENS1_37merge_sort_block_sort_config_selectorIlNS0_10empty_typeEEEZNS1_21merge_sort_block_sortIS3_PlS8_PS5_S9_ZN2at6native12_GLOBAL__N_124unique_dim_cuda_templateIhEESt5tupleIJNSA_6TensorESF_SF_EERKSF_lbbbEUlllE_EE10hipError_tT0_T1_T2_T3_mRjT4_P12ihipStream_tbNS1_7vsmem_tEEUlT_E_NS1_11comp_targetILNS1_3genE4ELNS1_11target_archE910ELNS1_3gpuE8ELNS1_3repE0EEENS1_30default_config_static_selectorELNS0_4arch9wavefront6targetE0EEEvSM_,comdat
.Lfunc_end11:
	.size	_ZN7rocprim17ROCPRIM_400000_NS6detail17trampoline_kernelINS0_14default_configENS1_37merge_sort_block_sort_config_selectorIlNS0_10empty_typeEEEZNS1_21merge_sort_block_sortIS3_PlS8_PS5_S9_ZN2at6native12_GLOBAL__N_124unique_dim_cuda_templateIhEESt5tupleIJNSA_6TensorESF_SF_EERKSF_lbbbEUlllE_EE10hipError_tT0_T1_T2_T3_mRjT4_P12ihipStream_tbNS1_7vsmem_tEEUlT_E_NS1_11comp_targetILNS1_3genE4ELNS1_11target_archE910ELNS1_3gpuE8ELNS1_3repE0EEENS1_30default_config_static_selectorELNS0_4arch9wavefront6targetE0EEEvSM_, .Lfunc_end11-_ZN7rocprim17ROCPRIM_400000_NS6detail17trampoline_kernelINS0_14default_configENS1_37merge_sort_block_sort_config_selectorIlNS0_10empty_typeEEEZNS1_21merge_sort_block_sortIS3_PlS8_PS5_S9_ZN2at6native12_GLOBAL__N_124unique_dim_cuda_templateIhEESt5tupleIJNSA_6TensorESF_SF_EERKSF_lbbbEUlllE_EE10hipError_tT0_T1_T2_T3_mRjT4_P12ihipStream_tbNS1_7vsmem_tEEUlT_E_NS1_11comp_targetILNS1_3genE4ELNS1_11target_archE910ELNS1_3gpuE8ELNS1_3repE0EEENS1_30default_config_static_selectorELNS0_4arch9wavefront6targetE0EEEvSM_
                                        ; -- End function
	.set _ZN7rocprim17ROCPRIM_400000_NS6detail17trampoline_kernelINS0_14default_configENS1_37merge_sort_block_sort_config_selectorIlNS0_10empty_typeEEEZNS1_21merge_sort_block_sortIS3_PlS8_PS5_S9_ZN2at6native12_GLOBAL__N_124unique_dim_cuda_templateIhEESt5tupleIJNSA_6TensorESF_SF_EERKSF_lbbbEUlllE_EE10hipError_tT0_T1_T2_T3_mRjT4_P12ihipStream_tbNS1_7vsmem_tEEUlT_E_NS1_11comp_targetILNS1_3genE4ELNS1_11target_archE910ELNS1_3gpuE8ELNS1_3repE0EEENS1_30default_config_static_selectorELNS0_4arch9wavefront6targetE0EEEvSM_.num_vgpr, 0
	.set _ZN7rocprim17ROCPRIM_400000_NS6detail17trampoline_kernelINS0_14default_configENS1_37merge_sort_block_sort_config_selectorIlNS0_10empty_typeEEEZNS1_21merge_sort_block_sortIS3_PlS8_PS5_S9_ZN2at6native12_GLOBAL__N_124unique_dim_cuda_templateIhEESt5tupleIJNSA_6TensorESF_SF_EERKSF_lbbbEUlllE_EE10hipError_tT0_T1_T2_T3_mRjT4_P12ihipStream_tbNS1_7vsmem_tEEUlT_E_NS1_11comp_targetILNS1_3genE4ELNS1_11target_archE910ELNS1_3gpuE8ELNS1_3repE0EEENS1_30default_config_static_selectorELNS0_4arch9wavefront6targetE0EEEvSM_.num_agpr, 0
	.set _ZN7rocprim17ROCPRIM_400000_NS6detail17trampoline_kernelINS0_14default_configENS1_37merge_sort_block_sort_config_selectorIlNS0_10empty_typeEEEZNS1_21merge_sort_block_sortIS3_PlS8_PS5_S9_ZN2at6native12_GLOBAL__N_124unique_dim_cuda_templateIhEESt5tupleIJNSA_6TensorESF_SF_EERKSF_lbbbEUlllE_EE10hipError_tT0_T1_T2_T3_mRjT4_P12ihipStream_tbNS1_7vsmem_tEEUlT_E_NS1_11comp_targetILNS1_3genE4ELNS1_11target_archE910ELNS1_3gpuE8ELNS1_3repE0EEENS1_30default_config_static_selectorELNS0_4arch9wavefront6targetE0EEEvSM_.numbered_sgpr, 0
	.set _ZN7rocprim17ROCPRIM_400000_NS6detail17trampoline_kernelINS0_14default_configENS1_37merge_sort_block_sort_config_selectorIlNS0_10empty_typeEEEZNS1_21merge_sort_block_sortIS3_PlS8_PS5_S9_ZN2at6native12_GLOBAL__N_124unique_dim_cuda_templateIhEESt5tupleIJNSA_6TensorESF_SF_EERKSF_lbbbEUlllE_EE10hipError_tT0_T1_T2_T3_mRjT4_P12ihipStream_tbNS1_7vsmem_tEEUlT_E_NS1_11comp_targetILNS1_3genE4ELNS1_11target_archE910ELNS1_3gpuE8ELNS1_3repE0EEENS1_30default_config_static_selectorELNS0_4arch9wavefront6targetE0EEEvSM_.num_named_barrier, 0
	.set _ZN7rocprim17ROCPRIM_400000_NS6detail17trampoline_kernelINS0_14default_configENS1_37merge_sort_block_sort_config_selectorIlNS0_10empty_typeEEEZNS1_21merge_sort_block_sortIS3_PlS8_PS5_S9_ZN2at6native12_GLOBAL__N_124unique_dim_cuda_templateIhEESt5tupleIJNSA_6TensorESF_SF_EERKSF_lbbbEUlllE_EE10hipError_tT0_T1_T2_T3_mRjT4_P12ihipStream_tbNS1_7vsmem_tEEUlT_E_NS1_11comp_targetILNS1_3genE4ELNS1_11target_archE910ELNS1_3gpuE8ELNS1_3repE0EEENS1_30default_config_static_selectorELNS0_4arch9wavefront6targetE0EEEvSM_.private_seg_size, 0
	.set _ZN7rocprim17ROCPRIM_400000_NS6detail17trampoline_kernelINS0_14default_configENS1_37merge_sort_block_sort_config_selectorIlNS0_10empty_typeEEEZNS1_21merge_sort_block_sortIS3_PlS8_PS5_S9_ZN2at6native12_GLOBAL__N_124unique_dim_cuda_templateIhEESt5tupleIJNSA_6TensorESF_SF_EERKSF_lbbbEUlllE_EE10hipError_tT0_T1_T2_T3_mRjT4_P12ihipStream_tbNS1_7vsmem_tEEUlT_E_NS1_11comp_targetILNS1_3genE4ELNS1_11target_archE910ELNS1_3gpuE8ELNS1_3repE0EEENS1_30default_config_static_selectorELNS0_4arch9wavefront6targetE0EEEvSM_.uses_vcc, 0
	.set _ZN7rocprim17ROCPRIM_400000_NS6detail17trampoline_kernelINS0_14default_configENS1_37merge_sort_block_sort_config_selectorIlNS0_10empty_typeEEEZNS1_21merge_sort_block_sortIS3_PlS8_PS5_S9_ZN2at6native12_GLOBAL__N_124unique_dim_cuda_templateIhEESt5tupleIJNSA_6TensorESF_SF_EERKSF_lbbbEUlllE_EE10hipError_tT0_T1_T2_T3_mRjT4_P12ihipStream_tbNS1_7vsmem_tEEUlT_E_NS1_11comp_targetILNS1_3genE4ELNS1_11target_archE910ELNS1_3gpuE8ELNS1_3repE0EEENS1_30default_config_static_selectorELNS0_4arch9wavefront6targetE0EEEvSM_.uses_flat_scratch, 0
	.set _ZN7rocprim17ROCPRIM_400000_NS6detail17trampoline_kernelINS0_14default_configENS1_37merge_sort_block_sort_config_selectorIlNS0_10empty_typeEEEZNS1_21merge_sort_block_sortIS3_PlS8_PS5_S9_ZN2at6native12_GLOBAL__N_124unique_dim_cuda_templateIhEESt5tupleIJNSA_6TensorESF_SF_EERKSF_lbbbEUlllE_EE10hipError_tT0_T1_T2_T3_mRjT4_P12ihipStream_tbNS1_7vsmem_tEEUlT_E_NS1_11comp_targetILNS1_3genE4ELNS1_11target_archE910ELNS1_3gpuE8ELNS1_3repE0EEENS1_30default_config_static_selectorELNS0_4arch9wavefront6targetE0EEEvSM_.has_dyn_sized_stack, 0
	.set _ZN7rocprim17ROCPRIM_400000_NS6detail17trampoline_kernelINS0_14default_configENS1_37merge_sort_block_sort_config_selectorIlNS0_10empty_typeEEEZNS1_21merge_sort_block_sortIS3_PlS8_PS5_S9_ZN2at6native12_GLOBAL__N_124unique_dim_cuda_templateIhEESt5tupleIJNSA_6TensorESF_SF_EERKSF_lbbbEUlllE_EE10hipError_tT0_T1_T2_T3_mRjT4_P12ihipStream_tbNS1_7vsmem_tEEUlT_E_NS1_11comp_targetILNS1_3genE4ELNS1_11target_archE910ELNS1_3gpuE8ELNS1_3repE0EEENS1_30default_config_static_selectorELNS0_4arch9wavefront6targetE0EEEvSM_.has_recursion, 0
	.set _ZN7rocprim17ROCPRIM_400000_NS6detail17trampoline_kernelINS0_14default_configENS1_37merge_sort_block_sort_config_selectorIlNS0_10empty_typeEEEZNS1_21merge_sort_block_sortIS3_PlS8_PS5_S9_ZN2at6native12_GLOBAL__N_124unique_dim_cuda_templateIhEESt5tupleIJNSA_6TensorESF_SF_EERKSF_lbbbEUlllE_EE10hipError_tT0_T1_T2_T3_mRjT4_P12ihipStream_tbNS1_7vsmem_tEEUlT_E_NS1_11comp_targetILNS1_3genE4ELNS1_11target_archE910ELNS1_3gpuE8ELNS1_3repE0EEENS1_30default_config_static_selectorELNS0_4arch9wavefront6targetE0EEEvSM_.has_indirect_call, 0
	.section	.AMDGPU.csdata,"",@progbits
; Kernel info:
; codeLenInByte = 0
; TotalNumSgprs: 0
; NumVgprs: 0
; ScratchSize: 0
; MemoryBound: 0
; FloatMode: 240
; IeeeMode: 1
; LDSByteSize: 0 bytes/workgroup (compile time only)
; SGPRBlocks: 0
; VGPRBlocks: 0
; NumSGPRsForWavesPerEU: 1
; NumVGPRsForWavesPerEU: 1
; NamedBarCnt: 0
; Occupancy: 16
; WaveLimiterHint : 0
; COMPUTE_PGM_RSRC2:SCRATCH_EN: 0
; COMPUTE_PGM_RSRC2:USER_SGPR: 2
; COMPUTE_PGM_RSRC2:TRAP_HANDLER: 0
; COMPUTE_PGM_RSRC2:TGID_X_EN: 1
; COMPUTE_PGM_RSRC2:TGID_Y_EN: 0
; COMPUTE_PGM_RSRC2:TGID_Z_EN: 0
; COMPUTE_PGM_RSRC2:TIDIG_COMP_CNT: 0
	.section	.text._ZN7rocprim17ROCPRIM_400000_NS6detail17trampoline_kernelINS0_14default_configENS1_37merge_sort_block_sort_config_selectorIlNS0_10empty_typeEEEZNS1_21merge_sort_block_sortIS3_PlS8_PS5_S9_ZN2at6native12_GLOBAL__N_124unique_dim_cuda_templateIhEESt5tupleIJNSA_6TensorESF_SF_EERKSF_lbbbEUlllE_EE10hipError_tT0_T1_T2_T3_mRjT4_P12ihipStream_tbNS1_7vsmem_tEEUlT_E_NS1_11comp_targetILNS1_3genE3ELNS1_11target_archE908ELNS1_3gpuE7ELNS1_3repE0EEENS1_30default_config_static_selectorELNS0_4arch9wavefront6targetE0EEEvSM_,"axG",@progbits,_ZN7rocprim17ROCPRIM_400000_NS6detail17trampoline_kernelINS0_14default_configENS1_37merge_sort_block_sort_config_selectorIlNS0_10empty_typeEEEZNS1_21merge_sort_block_sortIS3_PlS8_PS5_S9_ZN2at6native12_GLOBAL__N_124unique_dim_cuda_templateIhEESt5tupleIJNSA_6TensorESF_SF_EERKSF_lbbbEUlllE_EE10hipError_tT0_T1_T2_T3_mRjT4_P12ihipStream_tbNS1_7vsmem_tEEUlT_E_NS1_11comp_targetILNS1_3genE3ELNS1_11target_archE908ELNS1_3gpuE7ELNS1_3repE0EEENS1_30default_config_static_selectorELNS0_4arch9wavefront6targetE0EEEvSM_,comdat
	.globl	_ZN7rocprim17ROCPRIM_400000_NS6detail17trampoline_kernelINS0_14default_configENS1_37merge_sort_block_sort_config_selectorIlNS0_10empty_typeEEEZNS1_21merge_sort_block_sortIS3_PlS8_PS5_S9_ZN2at6native12_GLOBAL__N_124unique_dim_cuda_templateIhEESt5tupleIJNSA_6TensorESF_SF_EERKSF_lbbbEUlllE_EE10hipError_tT0_T1_T2_T3_mRjT4_P12ihipStream_tbNS1_7vsmem_tEEUlT_E_NS1_11comp_targetILNS1_3genE3ELNS1_11target_archE908ELNS1_3gpuE7ELNS1_3repE0EEENS1_30default_config_static_selectorELNS0_4arch9wavefront6targetE0EEEvSM_ ; -- Begin function _ZN7rocprim17ROCPRIM_400000_NS6detail17trampoline_kernelINS0_14default_configENS1_37merge_sort_block_sort_config_selectorIlNS0_10empty_typeEEEZNS1_21merge_sort_block_sortIS3_PlS8_PS5_S9_ZN2at6native12_GLOBAL__N_124unique_dim_cuda_templateIhEESt5tupleIJNSA_6TensorESF_SF_EERKSF_lbbbEUlllE_EE10hipError_tT0_T1_T2_T3_mRjT4_P12ihipStream_tbNS1_7vsmem_tEEUlT_E_NS1_11comp_targetILNS1_3genE3ELNS1_11target_archE908ELNS1_3gpuE7ELNS1_3repE0EEENS1_30default_config_static_selectorELNS0_4arch9wavefront6targetE0EEEvSM_
	.p2align	8
	.type	_ZN7rocprim17ROCPRIM_400000_NS6detail17trampoline_kernelINS0_14default_configENS1_37merge_sort_block_sort_config_selectorIlNS0_10empty_typeEEEZNS1_21merge_sort_block_sortIS3_PlS8_PS5_S9_ZN2at6native12_GLOBAL__N_124unique_dim_cuda_templateIhEESt5tupleIJNSA_6TensorESF_SF_EERKSF_lbbbEUlllE_EE10hipError_tT0_T1_T2_T3_mRjT4_P12ihipStream_tbNS1_7vsmem_tEEUlT_E_NS1_11comp_targetILNS1_3genE3ELNS1_11target_archE908ELNS1_3gpuE7ELNS1_3repE0EEENS1_30default_config_static_selectorELNS0_4arch9wavefront6targetE0EEEvSM_,@function
_ZN7rocprim17ROCPRIM_400000_NS6detail17trampoline_kernelINS0_14default_configENS1_37merge_sort_block_sort_config_selectorIlNS0_10empty_typeEEEZNS1_21merge_sort_block_sortIS3_PlS8_PS5_S9_ZN2at6native12_GLOBAL__N_124unique_dim_cuda_templateIhEESt5tupleIJNSA_6TensorESF_SF_EERKSF_lbbbEUlllE_EE10hipError_tT0_T1_T2_T3_mRjT4_P12ihipStream_tbNS1_7vsmem_tEEUlT_E_NS1_11comp_targetILNS1_3genE3ELNS1_11target_archE908ELNS1_3gpuE7ELNS1_3repE0EEENS1_30default_config_static_selectorELNS0_4arch9wavefront6targetE0EEEvSM_: ; @_ZN7rocprim17ROCPRIM_400000_NS6detail17trampoline_kernelINS0_14default_configENS1_37merge_sort_block_sort_config_selectorIlNS0_10empty_typeEEEZNS1_21merge_sort_block_sortIS3_PlS8_PS5_S9_ZN2at6native12_GLOBAL__N_124unique_dim_cuda_templateIhEESt5tupleIJNSA_6TensorESF_SF_EERKSF_lbbbEUlllE_EE10hipError_tT0_T1_T2_T3_mRjT4_P12ihipStream_tbNS1_7vsmem_tEEUlT_E_NS1_11comp_targetILNS1_3genE3ELNS1_11target_archE908ELNS1_3gpuE7ELNS1_3repE0EEENS1_30default_config_static_selectorELNS0_4arch9wavefront6targetE0EEEvSM_
; %bb.0:
	.section	.rodata,"a",@progbits
	.p2align	6, 0x0
	.amdhsa_kernel _ZN7rocprim17ROCPRIM_400000_NS6detail17trampoline_kernelINS0_14default_configENS1_37merge_sort_block_sort_config_selectorIlNS0_10empty_typeEEEZNS1_21merge_sort_block_sortIS3_PlS8_PS5_S9_ZN2at6native12_GLOBAL__N_124unique_dim_cuda_templateIhEESt5tupleIJNSA_6TensorESF_SF_EERKSF_lbbbEUlllE_EE10hipError_tT0_T1_T2_T3_mRjT4_P12ihipStream_tbNS1_7vsmem_tEEUlT_E_NS1_11comp_targetILNS1_3genE3ELNS1_11target_archE908ELNS1_3gpuE7ELNS1_3repE0EEENS1_30default_config_static_selectorELNS0_4arch9wavefront6targetE0EEEvSM_
		.amdhsa_group_segment_fixed_size 0
		.amdhsa_private_segment_fixed_size 0
		.amdhsa_kernarg_size 72
		.amdhsa_user_sgpr_count 2
		.amdhsa_user_sgpr_dispatch_ptr 0
		.amdhsa_user_sgpr_queue_ptr 0
		.amdhsa_user_sgpr_kernarg_segment_ptr 1
		.amdhsa_user_sgpr_dispatch_id 0
		.amdhsa_user_sgpr_kernarg_preload_length 0
		.amdhsa_user_sgpr_kernarg_preload_offset 0
		.amdhsa_user_sgpr_private_segment_size 0
		.amdhsa_wavefront_size32 1
		.amdhsa_uses_dynamic_stack 0
		.amdhsa_enable_private_segment 0
		.amdhsa_system_sgpr_workgroup_id_x 1
		.amdhsa_system_sgpr_workgroup_id_y 0
		.amdhsa_system_sgpr_workgroup_id_z 0
		.amdhsa_system_sgpr_workgroup_info 0
		.amdhsa_system_vgpr_workitem_id 0
		.amdhsa_next_free_vgpr 1
		.amdhsa_next_free_sgpr 1
		.amdhsa_named_barrier_count 0
		.amdhsa_reserve_vcc 0
		.amdhsa_float_round_mode_32 0
		.amdhsa_float_round_mode_16_64 0
		.amdhsa_float_denorm_mode_32 3
		.amdhsa_float_denorm_mode_16_64 3
		.amdhsa_fp16_overflow 0
		.amdhsa_memory_ordered 1
		.amdhsa_forward_progress 1
		.amdhsa_inst_pref_size 0
		.amdhsa_round_robin_scheduling 0
		.amdhsa_exception_fp_ieee_invalid_op 0
		.amdhsa_exception_fp_denorm_src 0
		.amdhsa_exception_fp_ieee_div_zero 0
		.amdhsa_exception_fp_ieee_overflow 0
		.amdhsa_exception_fp_ieee_underflow 0
		.amdhsa_exception_fp_ieee_inexact 0
		.amdhsa_exception_int_div_zero 0
	.end_amdhsa_kernel
	.section	.text._ZN7rocprim17ROCPRIM_400000_NS6detail17trampoline_kernelINS0_14default_configENS1_37merge_sort_block_sort_config_selectorIlNS0_10empty_typeEEEZNS1_21merge_sort_block_sortIS3_PlS8_PS5_S9_ZN2at6native12_GLOBAL__N_124unique_dim_cuda_templateIhEESt5tupleIJNSA_6TensorESF_SF_EERKSF_lbbbEUlllE_EE10hipError_tT0_T1_T2_T3_mRjT4_P12ihipStream_tbNS1_7vsmem_tEEUlT_E_NS1_11comp_targetILNS1_3genE3ELNS1_11target_archE908ELNS1_3gpuE7ELNS1_3repE0EEENS1_30default_config_static_selectorELNS0_4arch9wavefront6targetE0EEEvSM_,"axG",@progbits,_ZN7rocprim17ROCPRIM_400000_NS6detail17trampoline_kernelINS0_14default_configENS1_37merge_sort_block_sort_config_selectorIlNS0_10empty_typeEEEZNS1_21merge_sort_block_sortIS3_PlS8_PS5_S9_ZN2at6native12_GLOBAL__N_124unique_dim_cuda_templateIhEESt5tupleIJNSA_6TensorESF_SF_EERKSF_lbbbEUlllE_EE10hipError_tT0_T1_T2_T3_mRjT4_P12ihipStream_tbNS1_7vsmem_tEEUlT_E_NS1_11comp_targetILNS1_3genE3ELNS1_11target_archE908ELNS1_3gpuE7ELNS1_3repE0EEENS1_30default_config_static_selectorELNS0_4arch9wavefront6targetE0EEEvSM_,comdat
.Lfunc_end12:
	.size	_ZN7rocprim17ROCPRIM_400000_NS6detail17trampoline_kernelINS0_14default_configENS1_37merge_sort_block_sort_config_selectorIlNS0_10empty_typeEEEZNS1_21merge_sort_block_sortIS3_PlS8_PS5_S9_ZN2at6native12_GLOBAL__N_124unique_dim_cuda_templateIhEESt5tupleIJNSA_6TensorESF_SF_EERKSF_lbbbEUlllE_EE10hipError_tT0_T1_T2_T3_mRjT4_P12ihipStream_tbNS1_7vsmem_tEEUlT_E_NS1_11comp_targetILNS1_3genE3ELNS1_11target_archE908ELNS1_3gpuE7ELNS1_3repE0EEENS1_30default_config_static_selectorELNS0_4arch9wavefront6targetE0EEEvSM_, .Lfunc_end12-_ZN7rocprim17ROCPRIM_400000_NS6detail17trampoline_kernelINS0_14default_configENS1_37merge_sort_block_sort_config_selectorIlNS0_10empty_typeEEEZNS1_21merge_sort_block_sortIS3_PlS8_PS5_S9_ZN2at6native12_GLOBAL__N_124unique_dim_cuda_templateIhEESt5tupleIJNSA_6TensorESF_SF_EERKSF_lbbbEUlllE_EE10hipError_tT0_T1_T2_T3_mRjT4_P12ihipStream_tbNS1_7vsmem_tEEUlT_E_NS1_11comp_targetILNS1_3genE3ELNS1_11target_archE908ELNS1_3gpuE7ELNS1_3repE0EEENS1_30default_config_static_selectorELNS0_4arch9wavefront6targetE0EEEvSM_
                                        ; -- End function
	.set _ZN7rocprim17ROCPRIM_400000_NS6detail17trampoline_kernelINS0_14default_configENS1_37merge_sort_block_sort_config_selectorIlNS0_10empty_typeEEEZNS1_21merge_sort_block_sortIS3_PlS8_PS5_S9_ZN2at6native12_GLOBAL__N_124unique_dim_cuda_templateIhEESt5tupleIJNSA_6TensorESF_SF_EERKSF_lbbbEUlllE_EE10hipError_tT0_T1_T2_T3_mRjT4_P12ihipStream_tbNS1_7vsmem_tEEUlT_E_NS1_11comp_targetILNS1_3genE3ELNS1_11target_archE908ELNS1_3gpuE7ELNS1_3repE0EEENS1_30default_config_static_selectorELNS0_4arch9wavefront6targetE0EEEvSM_.num_vgpr, 0
	.set _ZN7rocprim17ROCPRIM_400000_NS6detail17trampoline_kernelINS0_14default_configENS1_37merge_sort_block_sort_config_selectorIlNS0_10empty_typeEEEZNS1_21merge_sort_block_sortIS3_PlS8_PS5_S9_ZN2at6native12_GLOBAL__N_124unique_dim_cuda_templateIhEESt5tupleIJNSA_6TensorESF_SF_EERKSF_lbbbEUlllE_EE10hipError_tT0_T1_T2_T3_mRjT4_P12ihipStream_tbNS1_7vsmem_tEEUlT_E_NS1_11comp_targetILNS1_3genE3ELNS1_11target_archE908ELNS1_3gpuE7ELNS1_3repE0EEENS1_30default_config_static_selectorELNS0_4arch9wavefront6targetE0EEEvSM_.num_agpr, 0
	.set _ZN7rocprim17ROCPRIM_400000_NS6detail17trampoline_kernelINS0_14default_configENS1_37merge_sort_block_sort_config_selectorIlNS0_10empty_typeEEEZNS1_21merge_sort_block_sortIS3_PlS8_PS5_S9_ZN2at6native12_GLOBAL__N_124unique_dim_cuda_templateIhEESt5tupleIJNSA_6TensorESF_SF_EERKSF_lbbbEUlllE_EE10hipError_tT0_T1_T2_T3_mRjT4_P12ihipStream_tbNS1_7vsmem_tEEUlT_E_NS1_11comp_targetILNS1_3genE3ELNS1_11target_archE908ELNS1_3gpuE7ELNS1_3repE0EEENS1_30default_config_static_selectorELNS0_4arch9wavefront6targetE0EEEvSM_.numbered_sgpr, 0
	.set _ZN7rocprim17ROCPRIM_400000_NS6detail17trampoline_kernelINS0_14default_configENS1_37merge_sort_block_sort_config_selectorIlNS0_10empty_typeEEEZNS1_21merge_sort_block_sortIS3_PlS8_PS5_S9_ZN2at6native12_GLOBAL__N_124unique_dim_cuda_templateIhEESt5tupleIJNSA_6TensorESF_SF_EERKSF_lbbbEUlllE_EE10hipError_tT0_T1_T2_T3_mRjT4_P12ihipStream_tbNS1_7vsmem_tEEUlT_E_NS1_11comp_targetILNS1_3genE3ELNS1_11target_archE908ELNS1_3gpuE7ELNS1_3repE0EEENS1_30default_config_static_selectorELNS0_4arch9wavefront6targetE0EEEvSM_.num_named_barrier, 0
	.set _ZN7rocprim17ROCPRIM_400000_NS6detail17trampoline_kernelINS0_14default_configENS1_37merge_sort_block_sort_config_selectorIlNS0_10empty_typeEEEZNS1_21merge_sort_block_sortIS3_PlS8_PS5_S9_ZN2at6native12_GLOBAL__N_124unique_dim_cuda_templateIhEESt5tupleIJNSA_6TensorESF_SF_EERKSF_lbbbEUlllE_EE10hipError_tT0_T1_T2_T3_mRjT4_P12ihipStream_tbNS1_7vsmem_tEEUlT_E_NS1_11comp_targetILNS1_3genE3ELNS1_11target_archE908ELNS1_3gpuE7ELNS1_3repE0EEENS1_30default_config_static_selectorELNS0_4arch9wavefront6targetE0EEEvSM_.private_seg_size, 0
	.set _ZN7rocprim17ROCPRIM_400000_NS6detail17trampoline_kernelINS0_14default_configENS1_37merge_sort_block_sort_config_selectorIlNS0_10empty_typeEEEZNS1_21merge_sort_block_sortIS3_PlS8_PS5_S9_ZN2at6native12_GLOBAL__N_124unique_dim_cuda_templateIhEESt5tupleIJNSA_6TensorESF_SF_EERKSF_lbbbEUlllE_EE10hipError_tT0_T1_T2_T3_mRjT4_P12ihipStream_tbNS1_7vsmem_tEEUlT_E_NS1_11comp_targetILNS1_3genE3ELNS1_11target_archE908ELNS1_3gpuE7ELNS1_3repE0EEENS1_30default_config_static_selectorELNS0_4arch9wavefront6targetE0EEEvSM_.uses_vcc, 0
	.set _ZN7rocprim17ROCPRIM_400000_NS6detail17trampoline_kernelINS0_14default_configENS1_37merge_sort_block_sort_config_selectorIlNS0_10empty_typeEEEZNS1_21merge_sort_block_sortIS3_PlS8_PS5_S9_ZN2at6native12_GLOBAL__N_124unique_dim_cuda_templateIhEESt5tupleIJNSA_6TensorESF_SF_EERKSF_lbbbEUlllE_EE10hipError_tT0_T1_T2_T3_mRjT4_P12ihipStream_tbNS1_7vsmem_tEEUlT_E_NS1_11comp_targetILNS1_3genE3ELNS1_11target_archE908ELNS1_3gpuE7ELNS1_3repE0EEENS1_30default_config_static_selectorELNS0_4arch9wavefront6targetE0EEEvSM_.uses_flat_scratch, 0
	.set _ZN7rocprim17ROCPRIM_400000_NS6detail17trampoline_kernelINS0_14default_configENS1_37merge_sort_block_sort_config_selectorIlNS0_10empty_typeEEEZNS1_21merge_sort_block_sortIS3_PlS8_PS5_S9_ZN2at6native12_GLOBAL__N_124unique_dim_cuda_templateIhEESt5tupleIJNSA_6TensorESF_SF_EERKSF_lbbbEUlllE_EE10hipError_tT0_T1_T2_T3_mRjT4_P12ihipStream_tbNS1_7vsmem_tEEUlT_E_NS1_11comp_targetILNS1_3genE3ELNS1_11target_archE908ELNS1_3gpuE7ELNS1_3repE0EEENS1_30default_config_static_selectorELNS0_4arch9wavefront6targetE0EEEvSM_.has_dyn_sized_stack, 0
	.set _ZN7rocprim17ROCPRIM_400000_NS6detail17trampoline_kernelINS0_14default_configENS1_37merge_sort_block_sort_config_selectorIlNS0_10empty_typeEEEZNS1_21merge_sort_block_sortIS3_PlS8_PS5_S9_ZN2at6native12_GLOBAL__N_124unique_dim_cuda_templateIhEESt5tupleIJNSA_6TensorESF_SF_EERKSF_lbbbEUlllE_EE10hipError_tT0_T1_T2_T3_mRjT4_P12ihipStream_tbNS1_7vsmem_tEEUlT_E_NS1_11comp_targetILNS1_3genE3ELNS1_11target_archE908ELNS1_3gpuE7ELNS1_3repE0EEENS1_30default_config_static_selectorELNS0_4arch9wavefront6targetE0EEEvSM_.has_recursion, 0
	.set _ZN7rocprim17ROCPRIM_400000_NS6detail17trampoline_kernelINS0_14default_configENS1_37merge_sort_block_sort_config_selectorIlNS0_10empty_typeEEEZNS1_21merge_sort_block_sortIS3_PlS8_PS5_S9_ZN2at6native12_GLOBAL__N_124unique_dim_cuda_templateIhEESt5tupleIJNSA_6TensorESF_SF_EERKSF_lbbbEUlllE_EE10hipError_tT0_T1_T2_T3_mRjT4_P12ihipStream_tbNS1_7vsmem_tEEUlT_E_NS1_11comp_targetILNS1_3genE3ELNS1_11target_archE908ELNS1_3gpuE7ELNS1_3repE0EEENS1_30default_config_static_selectorELNS0_4arch9wavefront6targetE0EEEvSM_.has_indirect_call, 0
	.section	.AMDGPU.csdata,"",@progbits
; Kernel info:
; codeLenInByte = 0
; TotalNumSgprs: 0
; NumVgprs: 0
; ScratchSize: 0
; MemoryBound: 0
; FloatMode: 240
; IeeeMode: 1
; LDSByteSize: 0 bytes/workgroup (compile time only)
; SGPRBlocks: 0
; VGPRBlocks: 0
; NumSGPRsForWavesPerEU: 1
; NumVGPRsForWavesPerEU: 1
; NamedBarCnt: 0
; Occupancy: 16
; WaveLimiterHint : 0
; COMPUTE_PGM_RSRC2:SCRATCH_EN: 0
; COMPUTE_PGM_RSRC2:USER_SGPR: 2
; COMPUTE_PGM_RSRC2:TRAP_HANDLER: 0
; COMPUTE_PGM_RSRC2:TGID_X_EN: 1
; COMPUTE_PGM_RSRC2:TGID_Y_EN: 0
; COMPUTE_PGM_RSRC2:TGID_Z_EN: 0
; COMPUTE_PGM_RSRC2:TIDIG_COMP_CNT: 0
	.section	.text._ZN7rocprim17ROCPRIM_400000_NS6detail17trampoline_kernelINS0_14default_configENS1_37merge_sort_block_sort_config_selectorIlNS0_10empty_typeEEEZNS1_21merge_sort_block_sortIS3_PlS8_PS5_S9_ZN2at6native12_GLOBAL__N_124unique_dim_cuda_templateIhEESt5tupleIJNSA_6TensorESF_SF_EERKSF_lbbbEUlllE_EE10hipError_tT0_T1_T2_T3_mRjT4_P12ihipStream_tbNS1_7vsmem_tEEUlT_E_NS1_11comp_targetILNS1_3genE2ELNS1_11target_archE906ELNS1_3gpuE6ELNS1_3repE0EEENS1_30default_config_static_selectorELNS0_4arch9wavefront6targetE0EEEvSM_,"axG",@progbits,_ZN7rocprim17ROCPRIM_400000_NS6detail17trampoline_kernelINS0_14default_configENS1_37merge_sort_block_sort_config_selectorIlNS0_10empty_typeEEEZNS1_21merge_sort_block_sortIS3_PlS8_PS5_S9_ZN2at6native12_GLOBAL__N_124unique_dim_cuda_templateIhEESt5tupleIJNSA_6TensorESF_SF_EERKSF_lbbbEUlllE_EE10hipError_tT0_T1_T2_T3_mRjT4_P12ihipStream_tbNS1_7vsmem_tEEUlT_E_NS1_11comp_targetILNS1_3genE2ELNS1_11target_archE906ELNS1_3gpuE6ELNS1_3repE0EEENS1_30default_config_static_selectorELNS0_4arch9wavefront6targetE0EEEvSM_,comdat
	.globl	_ZN7rocprim17ROCPRIM_400000_NS6detail17trampoline_kernelINS0_14default_configENS1_37merge_sort_block_sort_config_selectorIlNS0_10empty_typeEEEZNS1_21merge_sort_block_sortIS3_PlS8_PS5_S9_ZN2at6native12_GLOBAL__N_124unique_dim_cuda_templateIhEESt5tupleIJNSA_6TensorESF_SF_EERKSF_lbbbEUlllE_EE10hipError_tT0_T1_T2_T3_mRjT4_P12ihipStream_tbNS1_7vsmem_tEEUlT_E_NS1_11comp_targetILNS1_3genE2ELNS1_11target_archE906ELNS1_3gpuE6ELNS1_3repE0EEENS1_30default_config_static_selectorELNS0_4arch9wavefront6targetE0EEEvSM_ ; -- Begin function _ZN7rocprim17ROCPRIM_400000_NS6detail17trampoline_kernelINS0_14default_configENS1_37merge_sort_block_sort_config_selectorIlNS0_10empty_typeEEEZNS1_21merge_sort_block_sortIS3_PlS8_PS5_S9_ZN2at6native12_GLOBAL__N_124unique_dim_cuda_templateIhEESt5tupleIJNSA_6TensorESF_SF_EERKSF_lbbbEUlllE_EE10hipError_tT0_T1_T2_T3_mRjT4_P12ihipStream_tbNS1_7vsmem_tEEUlT_E_NS1_11comp_targetILNS1_3genE2ELNS1_11target_archE906ELNS1_3gpuE6ELNS1_3repE0EEENS1_30default_config_static_selectorELNS0_4arch9wavefront6targetE0EEEvSM_
	.p2align	8
	.type	_ZN7rocprim17ROCPRIM_400000_NS6detail17trampoline_kernelINS0_14default_configENS1_37merge_sort_block_sort_config_selectorIlNS0_10empty_typeEEEZNS1_21merge_sort_block_sortIS3_PlS8_PS5_S9_ZN2at6native12_GLOBAL__N_124unique_dim_cuda_templateIhEESt5tupleIJNSA_6TensorESF_SF_EERKSF_lbbbEUlllE_EE10hipError_tT0_T1_T2_T3_mRjT4_P12ihipStream_tbNS1_7vsmem_tEEUlT_E_NS1_11comp_targetILNS1_3genE2ELNS1_11target_archE906ELNS1_3gpuE6ELNS1_3repE0EEENS1_30default_config_static_selectorELNS0_4arch9wavefront6targetE0EEEvSM_,@function
_ZN7rocprim17ROCPRIM_400000_NS6detail17trampoline_kernelINS0_14default_configENS1_37merge_sort_block_sort_config_selectorIlNS0_10empty_typeEEEZNS1_21merge_sort_block_sortIS3_PlS8_PS5_S9_ZN2at6native12_GLOBAL__N_124unique_dim_cuda_templateIhEESt5tupleIJNSA_6TensorESF_SF_EERKSF_lbbbEUlllE_EE10hipError_tT0_T1_T2_T3_mRjT4_P12ihipStream_tbNS1_7vsmem_tEEUlT_E_NS1_11comp_targetILNS1_3genE2ELNS1_11target_archE906ELNS1_3gpuE6ELNS1_3repE0EEENS1_30default_config_static_selectorELNS0_4arch9wavefront6targetE0EEEvSM_: ; @_ZN7rocprim17ROCPRIM_400000_NS6detail17trampoline_kernelINS0_14default_configENS1_37merge_sort_block_sort_config_selectorIlNS0_10empty_typeEEEZNS1_21merge_sort_block_sortIS3_PlS8_PS5_S9_ZN2at6native12_GLOBAL__N_124unique_dim_cuda_templateIhEESt5tupleIJNSA_6TensorESF_SF_EERKSF_lbbbEUlllE_EE10hipError_tT0_T1_T2_T3_mRjT4_P12ihipStream_tbNS1_7vsmem_tEEUlT_E_NS1_11comp_targetILNS1_3genE2ELNS1_11target_archE906ELNS1_3gpuE6ELNS1_3repE0EEENS1_30default_config_static_selectorELNS0_4arch9wavefront6targetE0EEEvSM_
; %bb.0:
	.section	.rodata,"a",@progbits
	.p2align	6, 0x0
	.amdhsa_kernel _ZN7rocprim17ROCPRIM_400000_NS6detail17trampoline_kernelINS0_14default_configENS1_37merge_sort_block_sort_config_selectorIlNS0_10empty_typeEEEZNS1_21merge_sort_block_sortIS3_PlS8_PS5_S9_ZN2at6native12_GLOBAL__N_124unique_dim_cuda_templateIhEESt5tupleIJNSA_6TensorESF_SF_EERKSF_lbbbEUlllE_EE10hipError_tT0_T1_T2_T3_mRjT4_P12ihipStream_tbNS1_7vsmem_tEEUlT_E_NS1_11comp_targetILNS1_3genE2ELNS1_11target_archE906ELNS1_3gpuE6ELNS1_3repE0EEENS1_30default_config_static_selectorELNS0_4arch9wavefront6targetE0EEEvSM_
		.amdhsa_group_segment_fixed_size 0
		.amdhsa_private_segment_fixed_size 0
		.amdhsa_kernarg_size 72
		.amdhsa_user_sgpr_count 2
		.amdhsa_user_sgpr_dispatch_ptr 0
		.amdhsa_user_sgpr_queue_ptr 0
		.amdhsa_user_sgpr_kernarg_segment_ptr 1
		.amdhsa_user_sgpr_dispatch_id 0
		.amdhsa_user_sgpr_kernarg_preload_length 0
		.amdhsa_user_sgpr_kernarg_preload_offset 0
		.amdhsa_user_sgpr_private_segment_size 0
		.amdhsa_wavefront_size32 1
		.amdhsa_uses_dynamic_stack 0
		.amdhsa_enable_private_segment 0
		.amdhsa_system_sgpr_workgroup_id_x 1
		.amdhsa_system_sgpr_workgroup_id_y 0
		.amdhsa_system_sgpr_workgroup_id_z 0
		.amdhsa_system_sgpr_workgroup_info 0
		.amdhsa_system_vgpr_workitem_id 0
		.amdhsa_next_free_vgpr 1
		.amdhsa_next_free_sgpr 1
		.amdhsa_named_barrier_count 0
		.amdhsa_reserve_vcc 0
		.amdhsa_float_round_mode_32 0
		.amdhsa_float_round_mode_16_64 0
		.amdhsa_float_denorm_mode_32 3
		.amdhsa_float_denorm_mode_16_64 3
		.amdhsa_fp16_overflow 0
		.amdhsa_memory_ordered 1
		.amdhsa_forward_progress 1
		.amdhsa_inst_pref_size 0
		.amdhsa_round_robin_scheduling 0
		.amdhsa_exception_fp_ieee_invalid_op 0
		.amdhsa_exception_fp_denorm_src 0
		.amdhsa_exception_fp_ieee_div_zero 0
		.amdhsa_exception_fp_ieee_overflow 0
		.amdhsa_exception_fp_ieee_underflow 0
		.amdhsa_exception_fp_ieee_inexact 0
		.amdhsa_exception_int_div_zero 0
	.end_amdhsa_kernel
	.section	.text._ZN7rocprim17ROCPRIM_400000_NS6detail17trampoline_kernelINS0_14default_configENS1_37merge_sort_block_sort_config_selectorIlNS0_10empty_typeEEEZNS1_21merge_sort_block_sortIS3_PlS8_PS5_S9_ZN2at6native12_GLOBAL__N_124unique_dim_cuda_templateIhEESt5tupleIJNSA_6TensorESF_SF_EERKSF_lbbbEUlllE_EE10hipError_tT0_T1_T2_T3_mRjT4_P12ihipStream_tbNS1_7vsmem_tEEUlT_E_NS1_11comp_targetILNS1_3genE2ELNS1_11target_archE906ELNS1_3gpuE6ELNS1_3repE0EEENS1_30default_config_static_selectorELNS0_4arch9wavefront6targetE0EEEvSM_,"axG",@progbits,_ZN7rocprim17ROCPRIM_400000_NS6detail17trampoline_kernelINS0_14default_configENS1_37merge_sort_block_sort_config_selectorIlNS0_10empty_typeEEEZNS1_21merge_sort_block_sortIS3_PlS8_PS5_S9_ZN2at6native12_GLOBAL__N_124unique_dim_cuda_templateIhEESt5tupleIJNSA_6TensorESF_SF_EERKSF_lbbbEUlllE_EE10hipError_tT0_T1_T2_T3_mRjT4_P12ihipStream_tbNS1_7vsmem_tEEUlT_E_NS1_11comp_targetILNS1_3genE2ELNS1_11target_archE906ELNS1_3gpuE6ELNS1_3repE0EEENS1_30default_config_static_selectorELNS0_4arch9wavefront6targetE0EEEvSM_,comdat
.Lfunc_end13:
	.size	_ZN7rocprim17ROCPRIM_400000_NS6detail17trampoline_kernelINS0_14default_configENS1_37merge_sort_block_sort_config_selectorIlNS0_10empty_typeEEEZNS1_21merge_sort_block_sortIS3_PlS8_PS5_S9_ZN2at6native12_GLOBAL__N_124unique_dim_cuda_templateIhEESt5tupleIJNSA_6TensorESF_SF_EERKSF_lbbbEUlllE_EE10hipError_tT0_T1_T2_T3_mRjT4_P12ihipStream_tbNS1_7vsmem_tEEUlT_E_NS1_11comp_targetILNS1_3genE2ELNS1_11target_archE906ELNS1_3gpuE6ELNS1_3repE0EEENS1_30default_config_static_selectorELNS0_4arch9wavefront6targetE0EEEvSM_, .Lfunc_end13-_ZN7rocprim17ROCPRIM_400000_NS6detail17trampoline_kernelINS0_14default_configENS1_37merge_sort_block_sort_config_selectorIlNS0_10empty_typeEEEZNS1_21merge_sort_block_sortIS3_PlS8_PS5_S9_ZN2at6native12_GLOBAL__N_124unique_dim_cuda_templateIhEESt5tupleIJNSA_6TensorESF_SF_EERKSF_lbbbEUlllE_EE10hipError_tT0_T1_T2_T3_mRjT4_P12ihipStream_tbNS1_7vsmem_tEEUlT_E_NS1_11comp_targetILNS1_3genE2ELNS1_11target_archE906ELNS1_3gpuE6ELNS1_3repE0EEENS1_30default_config_static_selectorELNS0_4arch9wavefront6targetE0EEEvSM_
                                        ; -- End function
	.set _ZN7rocprim17ROCPRIM_400000_NS6detail17trampoline_kernelINS0_14default_configENS1_37merge_sort_block_sort_config_selectorIlNS0_10empty_typeEEEZNS1_21merge_sort_block_sortIS3_PlS8_PS5_S9_ZN2at6native12_GLOBAL__N_124unique_dim_cuda_templateIhEESt5tupleIJNSA_6TensorESF_SF_EERKSF_lbbbEUlllE_EE10hipError_tT0_T1_T2_T3_mRjT4_P12ihipStream_tbNS1_7vsmem_tEEUlT_E_NS1_11comp_targetILNS1_3genE2ELNS1_11target_archE906ELNS1_3gpuE6ELNS1_3repE0EEENS1_30default_config_static_selectorELNS0_4arch9wavefront6targetE0EEEvSM_.num_vgpr, 0
	.set _ZN7rocprim17ROCPRIM_400000_NS6detail17trampoline_kernelINS0_14default_configENS1_37merge_sort_block_sort_config_selectorIlNS0_10empty_typeEEEZNS1_21merge_sort_block_sortIS3_PlS8_PS5_S9_ZN2at6native12_GLOBAL__N_124unique_dim_cuda_templateIhEESt5tupleIJNSA_6TensorESF_SF_EERKSF_lbbbEUlllE_EE10hipError_tT0_T1_T2_T3_mRjT4_P12ihipStream_tbNS1_7vsmem_tEEUlT_E_NS1_11comp_targetILNS1_3genE2ELNS1_11target_archE906ELNS1_3gpuE6ELNS1_3repE0EEENS1_30default_config_static_selectorELNS0_4arch9wavefront6targetE0EEEvSM_.num_agpr, 0
	.set _ZN7rocprim17ROCPRIM_400000_NS6detail17trampoline_kernelINS0_14default_configENS1_37merge_sort_block_sort_config_selectorIlNS0_10empty_typeEEEZNS1_21merge_sort_block_sortIS3_PlS8_PS5_S9_ZN2at6native12_GLOBAL__N_124unique_dim_cuda_templateIhEESt5tupleIJNSA_6TensorESF_SF_EERKSF_lbbbEUlllE_EE10hipError_tT0_T1_T2_T3_mRjT4_P12ihipStream_tbNS1_7vsmem_tEEUlT_E_NS1_11comp_targetILNS1_3genE2ELNS1_11target_archE906ELNS1_3gpuE6ELNS1_3repE0EEENS1_30default_config_static_selectorELNS0_4arch9wavefront6targetE0EEEvSM_.numbered_sgpr, 0
	.set _ZN7rocprim17ROCPRIM_400000_NS6detail17trampoline_kernelINS0_14default_configENS1_37merge_sort_block_sort_config_selectorIlNS0_10empty_typeEEEZNS1_21merge_sort_block_sortIS3_PlS8_PS5_S9_ZN2at6native12_GLOBAL__N_124unique_dim_cuda_templateIhEESt5tupleIJNSA_6TensorESF_SF_EERKSF_lbbbEUlllE_EE10hipError_tT0_T1_T2_T3_mRjT4_P12ihipStream_tbNS1_7vsmem_tEEUlT_E_NS1_11comp_targetILNS1_3genE2ELNS1_11target_archE906ELNS1_3gpuE6ELNS1_3repE0EEENS1_30default_config_static_selectorELNS0_4arch9wavefront6targetE0EEEvSM_.num_named_barrier, 0
	.set _ZN7rocprim17ROCPRIM_400000_NS6detail17trampoline_kernelINS0_14default_configENS1_37merge_sort_block_sort_config_selectorIlNS0_10empty_typeEEEZNS1_21merge_sort_block_sortIS3_PlS8_PS5_S9_ZN2at6native12_GLOBAL__N_124unique_dim_cuda_templateIhEESt5tupleIJNSA_6TensorESF_SF_EERKSF_lbbbEUlllE_EE10hipError_tT0_T1_T2_T3_mRjT4_P12ihipStream_tbNS1_7vsmem_tEEUlT_E_NS1_11comp_targetILNS1_3genE2ELNS1_11target_archE906ELNS1_3gpuE6ELNS1_3repE0EEENS1_30default_config_static_selectorELNS0_4arch9wavefront6targetE0EEEvSM_.private_seg_size, 0
	.set _ZN7rocprim17ROCPRIM_400000_NS6detail17trampoline_kernelINS0_14default_configENS1_37merge_sort_block_sort_config_selectorIlNS0_10empty_typeEEEZNS1_21merge_sort_block_sortIS3_PlS8_PS5_S9_ZN2at6native12_GLOBAL__N_124unique_dim_cuda_templateIhEESt5tupleIJNSA_6TensorESF_SF_EERKSF_lbbbEUlllE_EE10hipError_tT0_T1_T2_T3_mRjT4_P12ihipStream_tbNS1_7vsmem_tEEUlT_E_NS1_11comp_targetILNS1_3genE2ELNS1_11target_archE906ELNS1_3gpuE6ELNS1_3repE0EEENS1_30default_config_static_selectorELNS0_4arch9wavefront6targetE0EEEvSM_.uses_vcc, 0
	.set _ZN7rocprim17ROCPRIM_400000_NS6detail17trampoline_kernelINS0_14default_configENS1_37merge_sort_block_sort_config_selectorIlNS0_10empty_typeEEEZNS1_21merge_sort_block_sortIS3_PlS8_PS5_S9_ZN2at6native12_GLOBAL__N_124unique_dim_cuda_templateIhEESt5tupleIJNSA_6TensorESF_SF_EERKSF_lbbbEUlllE_EE10hipError_tT0_T1_T2_T3_mRjT4_P12ihipStream_tbNS1_7vsmem_tEEUlT_E_NS1_11comp_targetILNS1_3genE2ELNS1_11target_archE906ELNS1_3gpuE6ELNS1_3repE0EEENS1_30default_config_static_selectorELNS0_4arch9wavefront6targetE0EEEvSM_.uses_flat_scratch, 0
	.set _ZN7rocprim17ROCPRIM_400000_NS6detail17trampoline_kernelINS0_14default_configENS1_37merge_sort_block_sort_config_selectorIlNS0_10empty_typeEEEZNS1_21merge_sort_block_sortIS3_PlS8_PS5_S9_ZN2at6native12_GLOBAL__N_124unique_dim_cuda_templateIhEESt5tupleIJNSA_6TensorESF_SF_EERKSF_lbbbEUlllE_EE10hipError_tT0_T1_T2_T3_mRjT4_P12ihipStream_tbNS1_7vsmem_tEEUlT_E_NS1_11comp_targetILNS1_3genE2ELNS1_11target_archE906ELNS1_3gpuE6ELNS1_3repE0EEENS1_30default_config_static_selectorELNS0_4arch9wavefront6targetE0EEEvSM_.has_dyn_sized_stack, 0
	.set _ZN7rocprim17ROCPRIM_400000_NS6detail17trampoline_kernelINS0_14default_configENS1_37merge_sort_block_sort_config_selectorIlNS0_10empty_typeEEEZNS1_21merge_sort_block_sortIS3_PlS8_PS5_S9_ZN2at6native12_GLOBAL__N_124unique_dim_cuda_templateIhEESt5tupleIJNSA_6TensorESF_SF_EERKSF_lbbbEUlllE_EE10hipError_tT0_T1_T2_T3_mRjT4_P12ihipStream_tbNS1_7vsmem_tEEUlT_E_NS1_11comp_targetILNS1_3genE2ELNS1_11target_archE906ELNS1_3gpuE6ELNS1_3repE0EEENS1_30default_config_static_selectorELNS0_4arch9wavefront6targetE0EEEvSM_.has_recursion, 0
	.set _ZN7rocprim17ROCPRIM_400000_NS6detail17trampoline_kernelINS0_14default_configENS1_37merge_sort_block_sort_config_selectorIlNS0_10empty_typeEEEZNS1_21merge_sort_block_sortIS3_PlS8_PS5_S9_ZN2at6native12_GLOBAL__N_124unique_dim_cuda_templateIhEESt5tupleIJNSA_6TensorESF_SF_EERKSF_lbbbEUlllE_EE10hipError_tT0_T1_T2_T3_mRjT4_P12ihipStream_tbNS1_7vsmem_tEEUlT_E_NS1_11comp_targetILNS1_3genE2ELNS1_11target_archE906ELNS1_3gpuE6ELNS1_3repE0EEENS1_30default_config_static_selectorELNS0_4arch9wavefront6targetE0EEEvSM_.has_indirect_call, 0
	.section	.AMDGPU.csdata,"",@progbits
; Kernel info:
; codeLenInByte = 0
; TotalNumSgprs: 0
; NumVgprs: 0
; ScratchSize: 0
; MemoryBound: 0
; FloatMode: 240
; IeeeMode: 1
; LDSByteSize: 0 bytes/workgroup (compile time only)
; SGPRBlocks: 0
; VGPRBlocks: 0
; NumSGPRsForWavesPerEU: 1
; NumVGPRsForWavesPerEU: 1
; NamedBarCnt: 0
; Occupancy: 16
; WaveLimiterHint : 0
; COMPUTE_PGM_RSRC2:SCRATCH_EN: 0
; COMPUTE_PGM_RSRC2:USER_SGPR: 2
; COMPUTE_PGM_RSRC2:TRAP_HANDLER: 0
; COMPUTE_PGM_RSRC2:TGID_X_EN: 1
; COMPUTE_PGM_RSRC2:TGID_Y_EN: 0
; COMPUTE_PGM_RSRC2:TGID_Z_EN: 0
; COMPUTE_PGM_RSRC2:TIDIG_COMP_CNT: 0
	.section	.text._ZN7rocprim17ROCPRIM_400000_NS6detail17trampoline_kernelINS0_14default_configENS1_37merge_sort_block_sort_config_selectorIlNS0_10empty_typeEEEZNS1_21merge_sort_block_sortIS3_PlS8_PS5_S9_ZN2at6native12_GLOBAL__N_124unique_dim_cuda_templateIhEESt5tupleIJNSA_6TensorESF_SF_EERKSF_lbbbEUlllE_EE10hipError_tT0_T1_T2_T3_mRjT4_P12ihipStream_tbNS1_7vsmem_tEEUlT_E_NS1_11comp_targetILNS1_3genE10ELNS1_11target_archE1201ELNS1_3gpuE5ELNS1_3repE0EEENS1_30default_config_static_selectorELNS0_4arch9wavefront6targetE0EEEvSM_,"axG",@progbits,_ZN7rocprim17ROCPRIM_400000_NS6detail17trampoline_kernelINS0_14default_configENS1_37merge_sort_block_sort_config_selectorIlNS0_10empty_typeEEEZNS1_21merge_sort_block_sortIS3_PlS8_PS5_S9_ZN2at6native12_GLOBAL__N_124unique_dim_cuda_templateIhEESt5tupleIJNSA_6TensorESF_SF_EERKSF_lbbbEUlllE_EE10hipError_tT0_T1_T2_T3_mRjT4_P12ihipStream_tbNS1_7vsmem_tEEUlT_E_NS1_11comp_targetILNS1_3genE10ELNS1_11target_archE1201ELNS1_3gpuE5ELNS1_3repE0EEENS1_30default_config_static_selectorELNS0_4arch9wavefront6targetE0EEEvSM_,comdat
	.globl	_ZN7rocprim17ROCPRIM_400000_NS6detail17trampoline_kernelINS0_14default_configENS1_37merge_sort_block_sort_config_selectorIlNS0_10empty_typeEEEZNS1_21merge_sort_block_sortIS3_PlS8_PS5_S9_ZN2at6native12_GLOBAL__N_124unique_dim_cuda_templateIhEESt5tupleIJNSA_6TensorESF_SF_EERKSF_lbbbEUlllE_EE10hipError_tT0_T1_T2_T3_mRjT4_P12ihipStream_tbNS1_7vsmem_tEEUlT_E_NS1_11comp_targetILNS1_3genE10ELNS1_11target_archE1201ELNS1_3gpuE5ELNS1_3repE0EEENS1_30default_config_static_selectorELNS0_4arch9wavefront6targetE0EEEvSM_ ; -- Begin function _ZN7rocprim17ROCPRIM_400000_NS6detail17trampoline_kernelINS0_14default_configENS1_37merge_sort_block_sort_config_selectorIlNS0_10empty_typeEEEZNS1_21merge_sort_block_sortIS3_PlS8_PS5_S9_ZN2at6native12_GLOBAL__N_124unique_dim_cuda_templateIhEESt5tupleIJNSA_6TensorESF_SF_EERKSF_lbbbEUlllE_EE10hipError_tT0_T1_T2_T3_mRjT4_P12ihipStream_tbNS1_7vsmem_tEEUlT_E_NS1_11comp_targetILNS1_3genE10ELNS1_11target_archE1201ELNS1_3gpuE5ELNS1_3repE0EEENS1_30default_config_static_selectorELNS0_4arch9wavefront6targetE0EEEvSM_
	.p2align	8
	.type	_ZN7rocprim17ROCPRIM_400000_NS6detail17trampoline_kernelINS0_14default_configENS1_37merge_sort_block_sort_config_selectorIlNS0_10empty_typeEEEZNS1_21merge_sort_block_sortIS3_PlS8_PS5_S9_ZN2at6native12_GLOBAL__N_124unique_dim_cuda_templateIhEESt5tupleIJNSA_6TensorESF_SF_EERKSF_lbbbEUlllE_EE10hipError_tT0_T1_T2_T3_mRjT4_P12ihipStream_tbNS1_7vsmem_tEEUlT_E_NS1_11comp_targetILNS1_3genE10ELNS1_11target_archE1201ELNS1_3gpuE5ELNS1_3repE0EEENS1_30default_config_static_selectorELNS0_4arch9wavefront6targetE0EEEvSM_,@function
_ZN7rocprim17ROCPRIM_400000_NS6detail17trampoline_kernelINS0_14default_configENS1_37merge_sort_block_sort_config_selectorIlNS0_10empty_typeEEEZNS1_21merge_sort_block_sortIS3_PlS8_PS5_S9_ZN2at6native12_GLOBAL__N_124unique_dim_cuda_templateIhEESt5tupleIJNSA_6TensorESF_SF_EERKSF_lbbbEUlllE_EE10hipError_tT0_T1_T2_T3_mRjT4_P12ihipStream_tbNS1_7vsmem_tEEUlT_E_NS1_11comp_targetILNS1_3genE10ELNS1_11target_archE1201ELNS1_3gpuE5ELNS1_3repE0EEENS1_30default_config_static_selectorELNS0_4arch9wavefront6targetE0EEEvSM_: ; @_ZN7rocprim17ROCPRIM_400000_NS6detail17trampoline_kernelINS0_14default_configENS1_37merge_sort_block_sort_config_selectorIlNS0_10empty_typeEEEZNS1_21merge_sort_block_sortIS3_PlS8_PS5_S9_ZN2at6native12_GLOBAL__N_124unique_dim_cuda_templateIhEESt5tupleIJNSA_6TensorESF_SF_EERKSF_lbbbEUlllE_EE10hipError_tT0_T1_T2_T3_mRjT4_P12ihipStream_tbNS1_7vsmem_tEEUlT_E_NS1_11comp_targetILNS1_3genE10ELNS1_11target_archE1201ELNS1_3gpuE5ELNS1_3repE0EEENS1_30default_config_static_selectorELNS0_4arch9wavefront6targetE0EEEvSM_
; %bb.0:
	.section	.rodata,"a",@progbits
	.p2align	6, 0x0
	.amdhsa_kernel _ZN7rocprim17ROCPRIM_400000_NS6detail17trampoline_kernelINS0_14default_configENS1_37merge_sort_block_sort_config_selectorIlNS0_10empty_typeEEEZNS1_21merge_sort_block_sortIS3_PlS8_PS5_S9_ZN2at6native12_GLOBAL__N_124unique_dim_cuda_templateIhEESt5tupleIJNSA_6TensorESF_SF_EERKSF_lbbbEUlllE_EE10hipError_tT0_T1_T2_T3_mRjT4_P12ihipStream_tbNS1_7vsmem_tEEUlT_E_NS1_11comp_targetILNS1_3genE10ELNS1_11target_archE1201ELNS1_3gpuE5ELNS1_3repE0EEENS1_30default_config_static_selectorELNS0_4arch9wavefront6targetE0EEEvSM_
		.amdhsa_group_segment_fixed_size 0
		.amdhsa_private_segment_fixed_size 0
		.amdhsa_kernarg_size 72
		.amdhsa_user_sgpr_count 2
		.amdhsa_user_sgpr_dispatch_ptr 0
		.amdhsa_user_sgpr_queue_ptr 0
		.amdhsa_user_sgpr_kernarg_segment_ptr 1
		.amdhsa_user_sgpr_dispatch_id 0
		.amdhsa_user_sgpr_kernarg_preload_length 0
		.amdhsa_user_sgpr_kernarg_preload_offset 0
		.amdhsa_user_sgpr_private_segment_size 0
		.amdhsa_wavefront_size32 1
		.amdhsa_uses_dynamic_stack 0
		.amdhsa_enable_private_segment 0
		.amdhsa_system_sgpr_workgroup_id_x 1
		.amdhsa_system_sgpr_workgroup_id_y 0
		.amdhsa_system_sgpr_workgroup_id_z 0
		.amdhsa_system_sgpr_workgroup_info 0
		.amdhsa_system_vgpr_workitem_id 0
		.amdhsa_next_free_vgpr 1
		.amdhsa_next_free_sgpr 1
		.amdhsa_named_barrier_count 0
		.amdhsa_reserve_vcc 0
		.amdhsa_float_round_mode_32 0
		.amdhsa_float_round_mode_16_64 0
		.amdhsa_float_denorm_mode_32 3
		.amdhsa_float_denorm_mode_16_64 3
		.amdhsa_fp16_overflow 0
		.amdhsa_memory_ordered 1
		.amdhsa_forward_progress 1
		.amdhsa_inst_pref_size 0
		.amdhsa_round_robin_scheduling 0
		.amdhsa_exception_fp_ieee_invalid_op 0
		.amdhsa_exception_fp_denorm_src 0
		.amdhsa_exception_fp_ieee_div_zero 0
		.amdhsa_exception_fp_ieee_overflow 0
		.amdhsa_exception_fp_ieee_underflow 0
		.amdhsa_exception_fp_ieee_inexact 0
		.amdhsa_exception_int_div_zero 0
	.end_amdhsa_kernel
	.section	.text._ZN7rocprim17ROCPRIM_400000_NS6detail17trampoline_kernelINS0_14default_configENS1_37merge_sort_block_sort_config_selectorIlNS0_10empty_typeEEEZNS1_21merge_sort_block_sortIS3_PlS8_PS5_S9_ZN2at6native12_GLOBAL__N_124unique_dim_cuda_templateIhEESt5tupleIJNSA_6TensorESF_SF_EERKSF_lbbbEUlllE_EE10hipError_tT0_T1_T2_T3_mRjT4_P12ihipStream_tbNS1_7vsmem_tEEUlT_E_NS1_11comp_targetILNS1_3genE10ELNS1_11target_archE1201ELNS1_3gpuE5ELNS1_3repE0EEENS1_30default_config_static_selectorELNS0_4arch9wavefront6targetE0EEEvSM_,"axG",@progbits,_ZN7rocprim17ROCPRIM_400000_NS6detail17trampoline_kernelINS0_14default_configENS1_37merge_sort_block_sort_config_selectorIlNS0_10empty_typeEEEZNS1_21merge_sort_block_sortIS3_PlS8_PS5_S9_ZN2at6native12_GLOBAL__N_124unique_dim_cuda_templateIhEESt5tupleIJNSA_6TensorESF_SF_EERKSF_lbbbEUlllE_EE10hipError_tT0_T1_T2_T3_mRjT4_P12ihipStream_tbNS1_7vsmem_tEEUlT_E_NS1_11comp_targetILNS1_3genE10ELNS1_11target_archE1201ELNS1_3gpuE5ELNS1_3repE0EEENS1_30default_config_static_selectorELNS0_4arch9wavefront6targetE0EEEvSM_,comdat
.Lfunc_end14:
	.size	_ZN7rocprim17ROCPRIM_400000_NS6detail17trampoline_kernelINS0_14default_configENS1_37merge_sort_block_sort_config_selectorIlNS0_10empty_typeEEEZNS1_21merge_sort_block_sortIS3_PlS8_PS5_S9_ZN2at6native12_GLOBAL__N_124unique_dim_cuda_templateIhEESt5tupleIJNSA_6TensorESF_SF_EERKSF_lbbbEUlllE_EE10hipError_tT0_T1_T2_T3_mRjT4_P12ihipStream_tbNS1_7vsmem_tEEUlT_E_NS1_11comp_targetILNS1_3genE10ELNS1_11target_archE1201ELNS1_3gpuE5ELNS1_3repE0EEENS1_30default_config_static_selectorELNS0_4arch9wavefront6targetE0EEEvSM_, .Lfunc_end14-_ZN7rocprim17ROCPRIM_400000_NS6detail17trampoline_kernelINS0_14default_configENS1_37merge_sort_block_sort_config_selectorIlNS0_10empty_typeEEEZNS1_21merge_sort_block_sortIS3_PlS8_PS5_S9_ZN2at6native12_GLOBAL__N_124unique_dim_cuda_templateIhEESt5tupleIJNSA_6TensorESF_SF_EERKSF_lbbbEUlllE_EE10hipError_tT0_T1_T2_T3_mRjT4_P12ihipStream_tbNS1_7vsmem_tEEUlT_E_NS1_11comp_targetILNS1_3genE10ELNS1_11target_archE1201ELNS1_3gpuE5ELNS1_3repE0EEENS1_30default_config_static_selectorELNS0_4arch9wavefront6targetE0EEEvSM_
                                        ; -- End function
	.set _ZN7rocprim17ROCPRIM_400000_NS6detail17trampoline_kernelINS0_14default_configENS1_37merge_sort_block_sort_config_selectorIlNS0_10empty_typeEEEZNS1_21merge_sort_block_sortIS3_PlS8_PS5_S9_ZN2at6native12_GLOBAL__N_124unique_dim_cuda_templateIhEESt5tupleIJNSA_6TensorESF_SF_EERKSF_lbbbEUlllE_EE10hipError_tT0_T1_T2_T3_mRjT4_P12ihipStream_tbNS1_7vsmem_tEEUlT_E_NS1_11comp_targetILNS1_3genE10ELNS1_11target_archE1201ELNS1_3gpuE5ELNS1_3repE0EEENS1_30default_config_static_selectorELNS0_4arch9wavefront6targetE0EEEvSM_.num_vgpr, 0
	.set _ZN7rocprim17ROCPRIM_400000_NS6detail17trampoline_kernelINS0_14default_configENS1_37merge_sort_block_sort_config_selectorIlNS0_10empty_typeEEEZNS1_21merge_sort_block_sortIS3_PlS8_PS5_S9_ZN2at6native12_GLOBAL__N_124unique_dim_cuda_templateIhEESt5tupleIJNSA_6TensorESF_SF_EERKSF_lbbbEUlllE_EE10hipError_tT0_T1_T2_T3_mRjT4_P12ihipStream_tbNS1_7vsmem_tEEUlT_E_NS1_11comp_targetILNS1_3genE10ELNS1_11target_archE1201ELNS1_3gpuE5ELNS1_3repE0EEENS1_30default_config_static_selectorELNS0_4arch9wavefront6targetE0EEEvSM_.num_agpr, 0
	.set _ZN7rocprim17ROCPRIM_400000_NS6detail17trampoline_kernelINS0_14default_configENS1_37merge_sort_block_sort_config_selectorIlNS0_10empty_typeEEEZNS1_21merge_sort_block_sortIS3_PlS8_PS5_S9_ZN2at6native12_GLOBAL__N_124unique_dim_cuda_templateIhEESt5tupleIJNSA_6TensorESF_SF_EERKSF_lbbbEUlllE_EE10hipError_tT0_T1_T2_T3_mRjT4_P12ihipStream_tbNS1_7vsmem_tEEUlT_E_NS1_11comp_targetILNS1_3genE10ELNS1_11target_archE1201ELNS1_3gpuE5ELNS1_3repE0EEENS1_30default_config_static_selectorELNS0_4arch9wavefront6targetE0EEEvSM_.numbered_sgpr, 0
	.set _ZN7rocprim17ROCPRIM_400000_NS6detail17trampoline_kernelINS0_14default_configENS1_37merge_sort_block_sort_config_selectorIlNS0_10empty_typeEEEZNS1_21merge_sort_block_sortIS3_PlS8_PS5_S9_ZN2at6native12_GLOBAL__N_124unique_dim_cuda_templateIhEESt5tupleIJNSA_6TensorESF_SF_EERKSF_lbbbEUlllE_EE10hipError_tT0_T1_T2_T3_mRjT4_P12ihipStream_tbNS1_7vsmem_tEEUlT_E_NS1_11comp_targetILNS1_3genE10ELNS1_11target_archE1201ELNS1_3gpuE5ELNS1_3repE0EEENS1_30default_config_static_selectorELNS0_4arch9wavefront6targetE0EEEvSM_.num_named_barrier, 0
	.set _ZN7rocprim17ROCPRIM_400000_NS6detail17trampoline_kernelINS0_14default_configENS1_37merge_sort_block_sort_config_selectorIlNS0_10empty_typeEEEZNS1_21merge_sort_block_sortIS3_PlS8_PS5_S9_ZN2at6native12_GLOBAL__N_124unique_dim_cuda_templateIhEESt5tupleIJNSA_6TensorESF_SF_EERKSF_lbbbEUlllE_EE10hipError_tT0_T1_T2_T3_mRjT4_P12ihipStream_tbNS1_7vsmem_tEEUlT_E_NS1_11comp_targetILNS1_3genE10ELNS1_11target_archE1201ELNS1_3gpuE5ELNS1_3repE0EEENS1_30default_config_static_selectorELNS0_4arch9wavefront6targetE0EEEvSM_.private_seg_size, 0
	.set _ZN7rocprim17ROCPRIM_400000_NS6detail17trampoline_kernelINS0_14default_configENS1_37merge_sort_block_sort_config_selectorIlNS0_10empty_typeEEEZNS1_21merge_sort_block_sortIS3_PlS8_PS5_S9_ZN2at6native12_GLOBAL__N_124unique_dim_cuda_templateIhEESt5tupleIJNSA_6TensorESF_SF_EERKSF_lbbbEUlllE_EE10hipError_tT0_T1_T2_T3_mRjT4_P12ihipStream_tbNS1_7vsmem_tEEUlT_E_NS1_11comp_targetILNS1_3genE10ELNS1_11target_archE1201ELNS1_3gpuE5ELNS1_3repE0EEENS1_30default_config_static_selectorELNS0_4arch9wavefront6targetE0EEEvSM_.uses_vcc, 0
	.set _ZN7rocprim17ROCPRIM_400000_NS6detail17trampoline_kernelINS0_14default_configENS1_37merge_sort_block_sort_config_selectorIlNS0_10empty_typeEEEZNS1_21merge_sort_block_sortIS3_PlS8_PS5_S9_ZN2at6native12_GLOBAL__N_124unique_dim_cuda_templateIhEESt5tupleIJNSA_6TensorESF_SF_EERKSF_lbbbEUlllE_EE10hipError_tT0_T1_T2_T3_mRjT4_P12ihipStream_tbNS1_7vsmem_tEEUlT_E_NS1_11comp_targetILNS1_3genE10ELNS1_11target_archE1201ELNS1_3gpuE5ELNS1_3repE0EEENS1_30default_config_static_selectorELNS0_4arch9wavefront6targetE0EEEvSM_.uses_flat_scratch, 0
	.set _ZN7rocprim17ROCPRIM_400000_NS6detail17trampoline_kernelINS0_14default_configENS1_37merge_sort_block_sort_config_selectorIlNS0_10empty_typeEEEZNS1_21merge_sort_block_sortIS3_PlS8_PS5_S9_ZN2at6native12_GLOBAL__N_124unique_dim_cuda_templateIhEESt5tupleIJNSA_6TensorESF_SF_EERKSF_lbbbEUlllE_EE10hipError_tT0_T1_T2_T3_mRjT4_P12ihipStream_tbNS1_7vsmem_tEEUlT_E_NS1_11comp_targetILNS1_3genE10ELNS1_11target_archE1201ELNS1_3gpuE5ELNS1_3repE0EEENS1_30default_config_static_selectorELNS0_4arch9wavefront6targetE0EEEvSM_.has_dyn_sized_stack, 0
	.set _ZN7rocprim17ROCPRIM_400000_NS6detail17trampoline_kernelINS0_14default_configENS1_37merge_sort_block_sort_config_selectorIlNS0_10empty_typeEEEZNS1_21merge_sort_block_sortIS3_PlS8_PS5_S9_ZN2at6native12_GLOBAL__N_124unique_dim_cuda_templateIhEESt5tupleIJNSA_6TensorESF_SF_EERKSF_lbbbEUlllE_EE10hipError_tT0_T1_T2_T3_mRjT4_P12ihipStream_tbNS1_7vsmem_tEEUlT_E_NS1_11comp_targetILNS1_3genE10ELNS1_11target_archE1201ELNS1_3gpuE5ELNS1_3repE0EEENS1_30default_config_static_selectorELNS0_4arch9wavefront6targetE0EEEvSM_.has_recursion, 0
	.set _ZN7rocprim17ROCPRIM_400000_NS6detail17trampoline_kernelINS0_14default_configENS1_37merge_sort_block_sort_config_selectorIlNS0_10empty_typeEEEZNS1_21merge_sort_block_sortIS3_PlS8_PS5_S9_ZN2at6native12_GLOBAL__N_124unique_dim_cuda_templateIhEESt5tupleIJNSA_6TensorESF_SF_EERKSF_lbbbEUlllE_EE10hipError_tT0_T1_T2_T3_mRjT4_P12ihipStream_tbNS1_7vsmem_tEEUlT_E_NS1_11comp_targetILNS1_3genE10ELNS1_11target_archE1201ELNS1_3gpuE5ELNS1_3repE0EEENS1_30default_config_static_selectorELNS0_4arch9wavefront6targetE0EEEvSM_.has_indirect_call, 0
	.section	.AMDGPU.csdata,"",@progbits
; Kernel info:
; codeLenInByte = 0
; TotalNumSgprs: 0
; NumVgprs: 0
; ScratchSize: 0
; MemoryBound: 0
; FloatMode: 240
; IeeeMode: 1
; LDSByteSize: 0 bytes/workgroup (compile time only)
; SGPRBlocks: 0
; VGPRBlocks: 0
; NumSGPRsForWavesPerEU: 1
; NumVGPRsForWavesPerEU: 1
; NamedBarCnt: 0
; Occupancy: 16
; WaveLimiterHint : 0
; COMPUTE_PGM_RSRC2:SCRATCH_EN: 0
; COMPUTE_PGM_RSRC2:USER_SGPR: 2
; COMPUTE_PGM_RSRC2:TRAP_HANDLER: 0
; COMPUTE_PGM_RSRC2:TGID_X_EN: 1
; COMPUTE_PGM_RSRC2:TGID_Y_EN: 0
; COMPUTE_PGM_RSRC2:TGID_Z_EN: 0
; COMPUTE_PGM_RSRC2:TIDIG_COMP_CNT: 0
	.section	.text._ZN7rocprim17ROCPRIM_400000_NS6detail17trampoline_kernelINS0_14default_configENS1_37merge_sort_block_sort_config_selectorIlNS0_10empty_typeEEEZNS1_21merge_sort_block_sortIS3_PlS8_PS5_S9_ZN2at6native12_GLOBAL__N_124unique_dim_cuda_templateIhEESt5tupleIJNSA_6TensorESF_SF_EERKSF_lbbbEUlllE_EE10hipError_tT0_T1_T2_T3_mRjT4_P12ihipStream_tbNS1_7vsmem_tEEUlT_E_NS1_11comp_targetILNS1_3genE10ELNS1_11target_archE1200ELNS1_3gpuE4ELNS1_3repE0EEENS1_30default_config_static_selectorELNS0_4arch9wavefront6targetE0EEEvSM_,"axG",@progbits,_ZN7rocprim17ROCPRIM_400000_NS6detail17trampoline_kernelINS0_14default_configENS1_37merge_sort_block_sort_config_selectorIlNS0_10empty_typeEEEZNS1_21merge_sort_block_sortIS3_PlS8_PS5_S9_ZN2at6native12_GLOBAL__N_124unique_dim_cuda_templateIhEESt5tupleIJNSA_6TensorESF_SF_EERKSF_lbbbEUlllE_EE10hipError_tT0_T1_T2_T3_mRjT4_P12ihipStream_tbNS1_7vsmem_tEEUlT_E_NS1_11comp_targetILNS1_3genE10ELNS1_11target_archE1200ELNS1_3gpuE4ELNS1_3repE0EEENS1_30default_config_static_selectorELNS0_4arch9wavefront6targetE0EEEvSM_,comdat
	.globl	_ZN7rocprim17ROCPRIM_400000_NS6detail17trampoline_kernelINS0_14default_configENS1_37merge_sort_block_sort_config_selectorIlNS0_10empty_typeEEEZNS1_21merge_sort_block_sortIS3_PlS8_PS5_S9_ZN2at6native12_GLOBAL__N_124unique_dim_cuda_templateIhEESt5tupleIJNSA_6TensorESF_SF_EERKSF_lbbbEUlllE_EE10hipError_tT0_T1_T2_T3_mRjT4_P12ihipStream_tbNS1_7vsmem_tEEUlT_E_NS1_11comp_targetILNS1_3genE10ELNS1_11target_archE1200ELNS1_3gpuE4ELNS1_3repE0EEENS1_30default_config_static_selectorELNS0_4arch9wavefront6targetE0EEEvSM_ ; -- Begin function _ZN7rocprim17ROCPRIM_400000_NS6detail17trampoline_kernelINS0_14default_configENS1_37merge_sort_block_sort_config_selectorIlNS0_10empty_typeEEEZNS1_21merge_sort_block_sortIS3_PlS8_PS5_S9_ZN2at6native12_GLOBAL__N_124unique_dim_cuda_templateIhEESt5tupleIJNSA_6TensorESF_SF_EERKSF_lbbbEUlllE_EE10hipError_tT0_T1_T2_T3_mRjT4_P12ihipStream_tbNS1_7vsmem_tEEUlT_E_NS1_11comp_targetILNS1_3genE10ELNS1_11target_archE1200ELNS1_3gpuE4ELNS1_3repE0EEENS1_30default_config_static_selectorELNS0_4arch9wavefront6targetE0EEEvSM_
	.p2align	8
	.type	_ZN7rocprim17ROCPRIM_400000_NS6detail17trampoline_kernelINS0_14default_configENS1_37merge_sort_block_sort_config_selectorIlNS0_10empty_typeEEEZNS1_21merge_sort_block_sortIS3_PlS8_PS5_S9_ZN2at6native12_GLOBAL__N_124unique_dim_cuda_templateIhEESt5tupleIJNSA_6TensorESF_SF_EERKSF_lbbbEUlllE_EE10hipError_tT0_T1_T2_T3_mRjT4_P12ihipStream_tbNS1_7vsmem_tEEUlT_E_NS1_11comp_targetILNS1_3genE10ELNS1_11target_archE1200ELNS1_3gpuE4ELNS1_3repE0EEENS1_30default_config_static_selectorELNS0_4arch9wavefront6targetE0EEEvSM_,@function
_ZN7rocprim17ROCPRIM_400000_NS6detail17trampoline_kernelINS0_14default_configENS1_37merge_sort_block_sort_config_selectorIlNS0_10empty_typeEEEZNS1_21merge_sort_block_sortIS3_PlS8_PS5_S9_ZN2at6native12_GLOBAL__N_124unique_dim_cuda_templateIhEESt5tupleIJNSA_6TensorESF_SF_EERKSF_lbbbEUlllE_EE10hipError_tT0_T1_T2_T3_mRjT4_P12ihipStream_tbNS1_7vsmem_tEEUlT_E_NS1_11comp_targetILNS1_3genE10ELNS1_11target_archE1200ELNS1_3gpuE4ELNS1_3repE0EEENS1_30default_config_static_selectorELNS0_4arch9wavefront6targetE0EEEvSM_: ; @_ZN7rocprim17ROCPRIM_400000_NS6detail17trampoline_kernelINS0_14default_configENS1_37merge_sort_block_sort_config_selectorIlNS0_10empty_typeEEEZNS1_21merge_sort_block_sortIS3_PlS8_PS5_S9_ZN2at6native12_GLOBAL__N_124unique_dim_cuda_templateIhEESt5tupleIJNSA_6TensorESF_SF_EERKSF_lbbbEUlllE_EE10hipError_tT0_T1_T2_T3_mRjT4_P12ihipStream_tbNS1_7vsmem_tEEUlT_E_NS1_11comp_targetILNS1_3genE10ELNS1_11target_archE1200ELNS1_3gpuE4ELNS1_3repE0EEENS1_30default_config_static_selectorELNS0_4arch9wavefront6targetE0EEEvSM_
; %bb.0:
	.section	.rodata,"a",@progbits
	.p2align	6, 0x0
	.amdhsa_kernel _ZN7rocprim17ROCPRIM_400000_NS6detail17trampoline_kernelINS0_14default_configENS1_37merge_sort_block_sort_config_selectorIlNS0_10empty_typeEEEZNS1_21merge_sort_block_sortIS3_PlS8_PS5_S9_ZN2at6native12_GLOBAL__N_124unique_dim_cuda_templateIhEESt5tupleIJNSA_6TensorESF_SF_EERKSF_lbbbEUlllE_EE10hipError_tT0_T1_T2_T3_mRjT4_P12ihipStream_tbNS1_7vsmem_tEEUlT_E_NS1_11comp_targetILNS1_3genE10ELNS1_11target_archE1200ELNS1_3gpuE4ELNS1_3repE0EEENS1_30default_config_static_selectorELNS0_4arch9wavefront6targetE0EEEvSM_
		.amdhsa_group_segment_fixed_size 0
		.amdhsa_private_segment_fixed_size 0
		.amdhsa_kernarg_size 72
		.amdhsa_user_sgpr_count 2
		.amdhsa_user_sgpr_dispatch_ptr 0
		.amdhsa_user_sgpr_queue_ptr 0
		.amdhsa_user_sgpr_kernarg_segment_ptr 1
		.amdhsa_user_sgpr_dispatch_id 0
		.amdhsa_user_sgpr_kernarg_preload_length 0
		.amdhsa_user_sgpr_kernarg_preload_offset 0
		.amdhsa_user_sgpr_private_segment_size 0
		.amdhsa_wavefront_size32 1
		.amdhsa_uses_dynamic_stack 0
		.amdhsa_enable_private_segment 0
		.amdhsa_system_sgpr_workgroup_id_x 1
		.amdhsa_system_sgpr_workgroup_id_y 0
		.amdhsa_system_sgpr_workgroup_id_z 0
		.amdhsa_system_sgpr_workgroup_info 0
		.amdhsa_system_vgpr_workitem_id 0
		.amdhsa_next_free_vgpr 1
		.amdhsa_next_free_sgpr 1
		.amdhsa_named_barrier_count 0
		.amdhsa_reserve_vcc 0
		.amdhsa_float_round_mode_32 0
		.amdhsa_float_round_mode_16_64 0
		.amdhsa_float_denorm_mode_32 3
		.amdhsa_float_denorm_mode_16_64 3
		.amdhsa_fp16_overflow 0
		.amdhsa_memory_ordered 1
		.amdhsa_forward_progress 1
		.amdhsa_inst_pref_size 0
		.amdhsa_round_robin_scheduling 0
		.amdhsa_exception_fp_ieee_invalid_op 0
		.amdhsa_exception_fp_denorm_src 0
		.amdhsa_exception_fp_ieee_div_zero 0
		.amdhsa_exception_fp_ieee_overflow 0
		.amdhsa_exception_fp_ieee_underflow 0
		.amdhsa_exception_fp_ieee_inexact 0
		.amdhsa_exception_int_div_zero 0
	.end_amdhsa_kernel
	.section	.text._ZN7rocprim17ROCPRIM_400000_NS6detail17trampoline_kernelINS0_14default_configENS1_37merge_sort_block_sort_config_selectorIlNS0_10empty_typeEEEZNS1_21merge_sort_block_sortIS3_PlS8_PS5_S9_ZN2at6native12_GLOBAL__N_124unique_dim_cuda_templateIhEESt5tupleIJNSA_6TensorESF_SF_EERKSF_lbbbEUlllE_EE10hipError_tT0_T1_T2_T3_mRjT4_P12ihipStream_tbNS1_7vsmem_tEEUlT_E_NS1_11comp_targetILNS1_3genE10ELNS1_11target_archE1200ELNS1_3gpuE4ELNS1_3repE0EEENS1_30default_config_static_selectorELNS0_4arch9wavefront6targetE0EEEvSM_,"axG",@progbits,_ZN7rocprim17ROCPRIM_400000_NS6detail17trampoline_kernelINS0_14default_configENS1_37merge_sort_block_sort_config_selectorIlNS0_10empty_typeEEEZNS1_21merge_sort_block_sortIS3_PlS8_PS5_S9_ZN2at6native12_GLOBAL__N_124unique_dim_cuda_templateIhEESt5tupleIJNSA_6TensorESF_SF_EERKSF_lbbbEUlllE_EE10hipError_tT0_T1_T2_T3_mRjT4_P12ihipStream_tbNS1_7vsmem_tEEUlT_E_NS1_11comp_targetILNS1_3genE10ELNS1_11target_archE1200ELNS1_3gpuE4ELNS1_3repE0EEENS1_30default_config_static_selectorELNS0_4arch9wavefront6targetE0EEEvSM_,comdat
.Lfunc_end15:
	.size	_ZN7rocprim17ROCPRIM_400000_NS6detail17trampoline_kernelINS0_14default_configENS1_37merge_sort_block_sort_config_selectorIlNS0_10empty_typeEEEZNS1_21merge_sort_block_sortIS3_PlS8_PS5_S9_ZN2at6native12_GLOBAL__N_124unique_dim_cuda_templateIhEESt5tupleIJNSA_6TensorESF_SF_EERKSF_lbbbEUlllE_EE10hipError_tT0_T1_T2_T3_mRjT4_P12ihipStream_tbNS1_7vsmem_tEEUlT_E_NS1_11comp_targetILNS1_3genE10ELNS1_11target_archE1200ELNS1_3gpuE4ELNS1_3repE0EEENS1_30default_config_static_selectorELNS0_4arch9wavefront6targetE0EEEvSM_, .Lfunc_end15-_ZN7rocprim17ROCPRIM_400000_NS6detail17trampoline_kernelINS0_14default_configENS1_37merge_sort_block_sort_config_selectorIlNS0_10empty_typeEEEZNS1_21merge_sort_block_sortIS3_PlS8_PS5_S9_ZN2at6native12_GLOBAL__N_124unique_dim_cuda_templateIhEESt5tupleIJNSA_6TensorESF_SF_EERKSF_lbbbEUlllE_EE10hipError_tT0_T1_T2_T3_mRjT4_P12ihipStream_tbNS1_7vsmem_tEEUlT_E_NS1_11comp_targetILNS1_3genE10ELNS1_11target_archE1200ELNS1_3gpuE4ELNS1_3repE0EEENS1_30default_config_static_selectorELNS0_4arch9wavefront6targetE0EEEvSM_
                                        ; -- End function
	.set _ZN7rocprim17ROCPRIM_400000_NS6detail17trampoline_kernelINS0_14default_configENS1_37merge_sort_block_sort_config_selectorIlNS0_10empty_typeEEEZNS1_21merge_sort_block_sortIS3_PlS8_PS5_S9_ZN2at6native12_GLOBAL__N_124unique_dim_cuda_templateIhEESt5tupleIJNSA_6TensorESF_SF_EERKSF_lbbbEUlllE_EE10hipError_tT0_T1_T2_T3_mRjT4_P12ihipStream_tbNS1_7vsmem_tEEUlT_E_NS1_11comp_targetILNS1_3genE10ELNS1_11target_archE1200ELNS1_3gpuE4ELNS1_3repE0EEENS1_30default_config_static_selectorELNS0_4arch9wavefront6targetE0EEEvSM_.num_vgpr, 0
	.set _ZN7rocprim17ROCPRIM_400000_NS6detail17trampoline_kernelINS0_14default_configENS1_37merge_sort_block_sort_config_selectorIlNS0_10empty_typeEEEZNS1_21merge_sort_block_sortIS3_PlS8_PS5_S9_ZN2at6native12_GLOBAL__N_124unique_dim_cuda_templateIhEESt5tupleIJNSA_6TensorESF_SF_EERKSF_lbbbEUlllE_EE10hipError_tT0_T1_T2_T3_mRjT4_P12ihipStream_tbNS1_7vsmem_tEEUlT_E_NS1_11comp_targetILNS1_3genE10ELNS1_11target_archE1200ELNS1_3gpuE4ELNS1_3repE0EEENS1_30default_config_static_selectorELNS0_4arch9wavefront6targetE0EEEvSM_.num_agpr, 0
	.set _ZN7rocprim17ROCPRIM_400000_NS6detail17trampoline_kernelINS0_14default_configENS1_37merge_sort_block_sort_config_selectorIlNS0_10empty_typeEEEZNS1_21merge_sort_block_sortIS3_PlS8_PS5_S9_ZN2at6native12_GLOBAL__N_124unique_dim_cuda_templateIhEESt5tupleIJNSA_6TensorESF_SF_EERKSF_lbbbEUlllE_EE10hipError_tT0_T1_T2_T3_mRjT4_P12ihipStream_tbNS1_7vsmem_tEEUlT_E_NS1_11comp_targetILNS1_3genE10ELNS1_11target_archE1200ELNS1_3gpuE4ELNS1_3repE0EEENS1_30default_config_static_selectorELNS0_4arch9wavefront6targetE0EEEvSM_.numbered_sgpr, 0
	.set _ZN7rocprim17ROCPRIM_400000_NS6detail17trampoline_kernelINS0_14default_configENS1_37merge_sort_block_sort_config_selectorIlNS0_10empty_typeEEEZNS1_21merge_sort_block_sortIS3_PlS8_PS5_S9_ZN2at6native12_GLOBAL__N_124unique_dim_cuda_templateIhEESt5tupleIJNSA_6TensorESF_SF_EERKSF_lbbbEUlllE_EE10hipError_tT0_T1_T2_T3_mRjT4_P12ihipStream_tbNS1_7vsmem_tEEUlT_E_NS1_11comp_targetILNS1_3genE10ELNS1_11target_archE1200ELNS1_3gpuE4ELNS1_3repE0EEENS1_30default_config_static_selectorELNS0_4arch9wavefront6targetE0EEEvSM_.num_named_barrier, 0
	.set _ZN7rocprim17ROCPRIM_400000_NS6detail17trampoline_kernelINS0_14default_configENS1_37merge_sort_block_sort_config_selectorIlNS0_10empty_typeEEEZNS1_21merge_sort_block_sortIS3_PlS8_PS5_S9_ZN2at6native12_GLOBAL__N_124unique_dim_cuda_templateIhEESt5tupleIJNSA_6TensorESF_SF_EERKSF_lbbbEUlllE_EE10hipError_tT0_T1_T2_T3_mRjT4_P12ihipStream_tbNS1_7vsmem_tEEUlT_E_NS1_11comp_targetILNS1_3genE10ELNS1_11target_archE1200ELNS1_3gpuE4ELNS1_3repE0EEENS1_30default_config_static_selectorELNS0_4arch9wavefront6targetE0EEEvSM_.private_seg_size, 0
	.set _ZN7rocprim17ROCPRIM_400000_NS6detail17trampoline_kernelINS0_14default_configENS1_37merge_sort_block_sort_config_selectorIlNS0_10empty_typeEEEZNS1_21merge_sort_block_sortIS3_PlS8_PS5_S9_ZN2at6native12_GLOBAL__N_124unique_dim_cuda_templateIhEESt5tupleIJNSA_6TensorESF_SF_EERKSF_lbbbEUlllE_EE10hipError_tT0_T1_T2_T3_mRjT4_P12ihipStream_tbNS1_7vsmem_tEEUlT_E_NS1_11comp_targetILNS1_3genE10ELNS1_11target_archE1200ELNS1_3gpuE4ELNS1_3repE0EEENS1_30default_config_static_selectorELNS0_4arch9wavefront6targetE0EEEvSM_.uses_vcc, 0
	.set _ZN7rocprim17ROCPRIM_400000_NS6detail17trampoline_kernelINS0_14default_configENS1_37merge_sort_block_sort_config_selectorIlNS0_10empty_typeEEEZNS1_21merge_sort_block_sortIS3_PlS8_PS5_S9_ZN2at6native12_GLOBAL__N_124unique_dim_cuda_templateIhEESt5tupleIJNSA_6TensorESF_SF_EERKSF_lbbbEUlllE_EE10hipError_tT0_T1_T2_T3_mRjT4_P12ihipStream_tbNS1_7vsmem_tEEUlT_E_NS1_11comp_targetILNS1_3genE10ELNS1_11target_archE1200ELNS1_3gpuE4ELNS1_3repE0EEENS1_30default_config_static_selectorELNS0_4arch9wavefront6targetE0EEEvSM_.uses_flat_scratch, 0
	.set _ZN7rocprim17ROCPRIM_400000_NS6detail17trampoline_kernelINS0_14default_configENS1_37merge_sort_block_sort_config_selectorIlNS0_10empty_typeEEEZNS1_21merge_sort_block_sortIS3_PlS8_PS5_S9_ZN2at6native12_GLOBAL__N_124unique_dim_cuda_templateIhEESt5tupleIJNSA_6TensorESF_SF_EERKSF_lbbbEUlllE_EE10hipError_tT0_T1_T2_T3_mRjT4_P12ihipStream_tbNS1_7vsmem_tEEUlT_E_NS1_11comp_targetILNS1_3genE10ELNS1_11target_archE1200ELNS1_3gpuE4ELNS1_3repE0EEENS1_30default_config_static_selectorELNS0_4arch9wavefront6targetE0EEEvSM_.has_dyn_sized_stack, 0
	.set _ZN7rocprim17ROCPRIM_400000_NS6detail17trampoline_kernelINS0_14default_configENS1_37merge_sort_block_sort_config_selectorIlNS0_10empty_typeEEEZNS1_21merge_sort_block_sortIS3_PlS8_PS5_S9_ZN2at6native12_GLOBAL__N_124unique_dim_cuda_templateIhEESt5tupleIJNSA_6TensorESF_SF_EERKSF_lbbbEUlllE_EE10hipError_tT0_T1_T2_T3_mRjT4_P12ihipStream_tbNS1_7vsmem_tEEUlT_E_NS1_11comp_targetILNS1_3genE10ELNS1_11target_archE1200ELNS1_3gpuE4ELNS1_3repE0EEENS1_30default_config_static_selectorELNS0_4arch9wavefront6targetE0EEEvSM_.has_recursion, 0
	.set _ZN7rocprim17ROCPRIM_400000_NS6detail17trampoline_kernelINS0_14default_configENS1_37merge_sort_block_sort_config_selectorIlNS0_10empty_typeEEEZNS1_21merge_sort_block_sortIS3_PlS8_PS5_S9_ZN2at6native12_GLOBAL__N_124unique_dim_cuda_templateIhEESt5tupleIJNSA_6TensorESF_SF_EERKSF_lbbbEUlllE_EE10hipError_tT0_T1_T2_T3_mRjT4_P12ihipStream_tbNS1_7vsmem_tEEUlT_E_NS1_11comp_targetILNS1_3genE10ELNS1_11target_archE1200ELNS1_3gpuE4ELNS1_3repE0EEENS1_30default_config_static_selectorELNS0_4arch9wavefront6targetE0EEEvSM_.has_indirect_call, 0
	.section	.AMDGPU.csdata,"",@progbits
; Kernel info:
; codeLenInByte = 0
; TotalNumSgprs: 0
; NumVgprs: 0
; ScratchSize: 0
; MemoryBound: 0
; FloatMode: 240
; IeeeMode: 1
; LDSByteSize: 0 bytes/workgroup (compile time only)
; SGPRBlocks: 0
; VGPRBlocks: 0
; NumSGPRsForWavesPerEU: 1
; NumVGPRsForWavesPerEU: 1
; NamedBarCnt: 0
; Occupancy: 16
; WaveLimiterHint : 0
; COMPUTE_PGM_RSRC2:SCRATCH_EN: 0
; COMPUTE_PGM_RSRC2:USER_SGPR: 2
; COMPUTE_PGM_RSRC2:TRAP_HANDLER: 0
; COMPUTE_PGM_RSRC2:TGID_X_EN: 1
; COMPUTE_PGM_RSRC2:TGID_Y_EN: 0
; COMPUTE_PGM_RSRC2:TGID_Z_EN: 0
; COMPUTE_PGM_RSRC2:TIDIG_COMP_CNT: 0
	.section	.text._ZN7rocprim17ROCPRIM_400000_NS6detail17trampoline_kernelINS0_14default_configENS1_37merge_sort_block_sort_config_selectorIlNS0_10empty_typeEEEZNS1_21merge_sort_block_sortIS3_PlS8_PS5_S9_ZN2at6native12_GLOBAL__N_124unique_dim_cuda_templateIhEESt5tupleIJNSA_6TensorESF_SF_EERKSF_lbbbEUlllE_EE10hipError_tT0_T1_T2_T3_mRjT4_P12ihipStream_tbNS1_7vsmem_tEEUlT_E_NS1_11comp_targetILNS1_3genE9ELNS1_11target_archE1100ELNS1_3gpuE3ELNS1_3repE0EEENS1_30default_config_static_selectorELNS0_4arch9wavefront6targetE0EEEvSM_,"axG",@progbits,_ZN7rocprim17ROCPRIM_400000_NS6detail17trampoline_kernelINS0_14default_configENS1_37merge_sort_block_sort_config_selectorIlNS0_10empty_typeEEEZNS1_21merge_sort_block_sortIS3_PlS8_PS5_S9_ZN2at6native12_GLOBAL__N_124unique_dim_cuda_templateIhEESt5tupleIJNSA_6TensorESF_SF_EERKSF_lbbbEUlllE_EE10hipError_tT0_T1_T2_T3_mRjT4_P12ihipStream_tbNS1_7vsmem_tEEUlT_E_NS1_11comp_targetILNS1_3genE9ELNS1_11target_archE1100ELNS1_3gpuE3ELNS1_3repE0EEENS1_30default_config_static_selectorELNS0_4arch9wavefront6targetE0EEEvSM_,comdat
	.globl	_ZN7rocprim17ROCPRIM_400000_NS6detail17trampoline_kernelINS0_14default_configENS1_37merge_sort_block_sort_config_selectorIlNS0_10empty_typeEEEZNS1_21merge_sort_block_sortIS3_PlS8_PS5_S9_ZN2at6native12_GLOBAL__N_124unique_dim_cuda_templateIhEESt5tupleIJNSA_6TensorESF_SF_EERKSF_lbbbEUlllE_EE10hipError_tT0_T1_T2_T3_mRjT4_P12ihipStream_tbNS1_7vsmem_tEEUlT_E_NS1_11comp_targetILNS1_3genE9ELNS1_11target_archE1100ELNS1_3gpuE3ELNS1_3repE0EEENS1_30default_config_static_selectorELNS0_4arch9wavefront6targetE0EEEvSM_ ; -- Begin function _ZN7rocprim17ROCPRIM_400000_NS6detail17trampoline_kernelINS0_14default_configENS1_37merge_sort_block_sort_config_selectorIlNS0_10empty_typeEEEZNS1_21merge_sort_block_sortIS3_PlS8_PS5_S9_ZN2at6native12_GLOBAL__N_124unique_dim_cuda_templateIhEESt5tupleIJNSA_6TensorESF_SF_EERKSF_lbbbEUlllE_EE10hipError_tT0_T1_T2_T3_mRjT4_P12ihipStream_tbNS1_7vsmem_tEEUlT_E_NS1_11comp_targetILNS1_3genE9ELNS1_11target_archE1100ELNS1_3gpuE3ELNS1_3repE0EEENS1_30default_config_static_selectorELNS0_4arch9wavefront6targetE0EEEvSM_
	.p2align	8
	.type	_ZN7rocprim17ROCPRIM_400000_NS6detail17trampoline_kernelINS0_14default_configENS1_37merge_sort_block_sort_config_selectorIlNS0_10empty_typeEEEZNS1_21merge_sort_block_sortIS3_PlS8_PS5_S9_ZN2at6native12_GLOBAL__N_124unique_dim_cuda_templateIhEESt5tupleIJNSA_6TensorESF_SF_EERKSF_lbbbEUlllE_EE10hipError_tT0_T1_T2_T3_mRjT4_P12ihipStream_tbNS1_7vsmem_tEEUlT_E_NS1_11comp_targetILNS1_3genE9ELNS1_11target_archE1100ELNS1_3gpuE3ELNS1_3repE0EEENS1_30default_config_static_selectorELNS0_4arch9wavefront6targetE0EEEvSM_,@function
_ZN7rocprim17ROCPRIM_400000_NS6detail17trampoline_kernelINS0_14default_configENS1_37merge_sort_block_sort_config_selectorIlNS0_10empty_typeEEEZNS1_21merge_sort_block_sortIS3_PlS8_PS5_S9_ZN2at6native12_GLOBAL__N_124unique_dim_cuda_templateIhEESt5tupleIJNSA_6TensorESF_SF_EERKSF_lbbbEUlllE_EE10hipError_tT0_T1_T2_T3_mRjT4_P12ihipStream_tbNS1_7vsmem_tEEUlT_E_NS1_11comp_targetILNS1_3genE9ELNS1_11target_archE1100ELNS1_3gpuE3ELNS1_3repE0EEENS1_30default_config_static_selectorELNS0_4arch9wavefront6targetE0EEEvSM_: ; @_ZN7rocprim17ROCPRIM_400000_NS6detail17trampoline_kernelINS0_14default_configENS1_37merge_sort_block_sort_config_selectorIlNS0_10empty_typeEEEZNS1_21merge_sort_block_sortIS3_PlS8_PS5_S9_ZN2at6native12_GLOBAL__N_124unique_dim_cuda_templateIhEESt5tupleIJNSA_6TensorESF_SF_EERKSF_lbbbEUlllE_EE10hipError_tT0_T1_T2_T3_mRjT4_P12ihipStream_tbNS1_7vsmem_tEEUlT_E_NS1_11comp_targetILNS1_3genE9ELNS1_11target_archE1100ELNS1_3gpuE3ELNS1_3repE0EEENS1_30default_config_static_selectorELNS0_4arch9wavefront6targetE0EEEvSM_
; %bb.0:
	.section	.rodata,"a",@progbits
	.p2align	6, 0x0
	.amdhsa_kernel _ZN7rocprim17ROCPRIM_400000_NS6detail17trampoline_kernelINS0_14default_configENS1_37merge_sort_block_sort_config_selectorIlNS0_10empty_typeEEEZNS1_21merge_sort_block_sortIS3_PlS8_PS5_S9_ZN2at6native12_GLOBAL__N_124unique_dim_cuda_templateIhEESt5tupleIJNSA_6TensorESF_SF_EERKSF_lbbbEUlllE_EE10hipError_tT0_T1_T2_T3_mRjT4_P12ihipStream_tbNS1_7vsmem_tEEUlT_E_NS1_11comp_targetILNS1_3genE9ELNS1_11target_archE1100ELNS1_3gpuE3ELNS1_3repE0EEENS1_30default_config_static_selectorELNS0_4arch9wavefront6targetE0EEEvSM_
		.amdhsa_group_segment_fixed_size 0
		.amdhsa_private_segment_fixed_size 0
		.amdhsa_kernarg_size 72
		.amdhsa_user_sgpr_count 2
		.amdhsa_user_sgpr_dispatch_ptr 0
		.amdhsa_user_sgpr_queue_ptr 0
		.amdhsa_user_sgpr_kernarg_segment_ptr 1
		.amdhsa_user_sgpr_dispatch_id 0
		.amdhsa_user_sgpr_kernarg_preload_length 0
		.amdhsa_user_sgpr_kernarg_preload_offset 0
		.amdhsa_user_sgpr_private_segment_size 0
		.amdhsa_wavefront_size32 1
		.amdhsa_uses_dynamic_stack 0
		.amdhsa_enable_private_segment 0
		.amdhsa_system_sgpr_workgroup_id_x 1
		.amdhsa_system_sgpr_workgroup_id_y 0
		.amdhsa_system_sgpr_workgroup_id_z 0
		.amdhsa_system_sgpr_workgroup_info 0
		.amdhsa_system_vgpr_workitem_id 0
		.amdhsa_next_free_vgpr 1
		.amdhsa_next_free_sgpr 1
		.amdhsa_named_barrier_count 0
		.amdhsa_reserve_vcc 0
		.amdhsa_float_round_mode_32 0
		.amdhsa_float_round_mode_16_64 0
		.amdhsa_float_denorm_mode_32 3
		.amdhsa_float_denorm_mode_16_64 3
		.amdhsa_fp16_overflow 0
		.amdhsa_memory_ordered 1
		.amdhsa_forward_progress 1
		.amdhsa_inst_pref_size 0
		.amdhsa_round_robin_scheduling 0
		.amdhsa_exception_fp_ieee_invalid_op 0
		.amdhsa_exception_fp_denorm_src 0
		.amdhsa_exception_fp_ieee_div_zero 0
		.amdhsa_exception_fp_ieee_overflow 0
		.amdhsa_exception_fp_ieee_underflow 0
		.amdhsa_exception_fp_ieee_inexact 0
		.amdhsa_exception_int_div_zero 0
	.end_amdhsa_kernel
	.section	.text._ZN7rocprim17ROCPRIM_400000_NS6detail17trampoline_kernelINS0_14default_configENS1_37merge_sort_block_sort_config_selectorIlNS0_10empty_typeEEEZNS1_21merge_sort_block_sortIS3_PlS8_PS5_S9_ZN2at6native12_GLOBAL__N_124unique_dim_cuda_templateIhEESt5tupleIJNSA_6TensorESF_SF_EERKSF_lbbbEUlllE_EE10hipError_tT0_T1_T2_T3_mRjT4_P12ihipStream_tbNS1_7vsmem_tEEUlT_E_NS1_11comp_targetILNS1_3genE9ELNS1_11target_archE1100ELNS1_3gpuE3ELNS1_3repE0EEENS1_30default_config_static_selectorELNS0_4arch9wavefront6targetE0EEEvSM_,"axG",@progbits,_ZN7rocprim17ROCPRIM_400000_NS6detail17trampoline_kernelINS0_14default_configENS1_37merge_sort_block_sort_config_selectorIlNS0_10empty_typeEEEZNS1_21merge_sort_block_sortIS3_PlS8_PS5_S9_ZN2at6native12_GLOBAL__N_124unique_dim_cuda_templateIhEESt5tupleIJNSA_6TensorESF_SF_EERKSF_lbbbEUlllE_EE10hipError_tT0_T1_T2_T3_mRjT4_P12ihipStream_tbNS1_7vsmem_tEEUlT_E_NS1_11comp_targetILNS1_3genE9ELNS1_11target_archE1100ELNS1_3gpuE3ELNS1_3repE0EEENS1_30default_config_static_selectorELNS0_4arch9wavefront6targetE0EEEvSM_,comdat
.Lfunc_end16:
	.size	_ZN7rocprim17ROCPRIM_400000_NS6detail17trampoline_kernelINS0_14default_configENS1_37merge_sort_block_sort_config_selectorIlNS0_10empty_typeEEEZNS1_21merge_sort_block_sortIS3_PlS8_PS5_S9_ZN2at6native12_GLOBAL__N_124unique_dim_cuda_templateIhEESt5tupleIJNSA_6TensorESF_SF_EERKSF_lbbbEUlllE_EE10hipError_tT0_T1_T2_T3_mRjT4_P12ihipStream_tbNS1_7vsmem_tEEUlT_E_NS1_11comp_targetILNS1_3genE9ELNS1_11target_archE1100ELNS1_3gpuE3ELNS1_3repE0EEENS1_30default_config_static_selectorELNS0_4arch9wavefront6targetE0EEEvSM_, .Lfunc_end16-_ZN7rocprim17ROCPRIM_400000_NS6detail17trampoline_kernelINS0_14default_configENS1_37merge_sort_block_sort_config_selectorIlNS0_10empty_typeEEEZNS1_21merge_sort_block_sortIS3_PlS8_PS5_S9_ZN2at6native12_GLOBAL__N_124unique_dim_cuda_templateIhEESt5tupleIJNSA_6TensorESF_SF_EERKSF_lbbbEUlllE_EE10hipError_tT0_T1_T2_T3_mRjT4_P12ihipStream_tbNS1_7vsmem_tEEUlT_E_NS1_11comp_targetILNS1_3genE9ELNS1_11target_archE1100ELNS1_3gpuE3ELNS1_3repE0EEENS1_30default_config_static_selectorELNS0_4arch9wavefront6targetE0EEEvSM_
                                        ; -- End function
	.set _ZN7rocprim17ROCPRIM_400000_NS6detail17trampoline_kernelINS0_14default_configENS1_37merge_sort_block_sort_config_selectorIlNS0_10empty_typeEEEZNS1_21merge_sort_block_sortIS3_PlS8_PS5_S9_ZN2at6native12_GLOBAL__N_124unique_dim_cuda_templateIhEESt5tupleIJNSA_6TensorESF_SF_EERKSF_lbbbEUlllE_EE10hipError_tT0_T1_T2_T3_mRjT4_P12ihipStream_tbNS1_7vsmem_tEEUlT_E_NS1_11comp_targetILNS1_3genE9ELNS1_11target_archE1100ELNS1_3gpuE3ELNS1_3repE0EEENS1_30default_config_static_selectorELNS0_4arch9wavefront6targetE0EEEvSM_.num_vgpr, 0
	.set _ZN7rocprim17ROCPRIM_400000_NS6detail17trampoline_kernelINS0_14default_configENS1_37merge_sort_block_sort_config_selectorIlNS0_10empty_typeEEEZNS1_21merge_sort_block_sortIS3_PlS8_PS5_S9_ZN2at6native12_GLOBAL__N_124unique_dim_cuda_templateIhEESt5tupleIJNSA_6TensorESF_SF_EERKSF_lbbbEUlllE_EE10hipError_tT0_T1_T2_T3_mRjT4_P12ihipStream_tbNS1_7vsmem_tEEUlT_E_NS1_11comp_targetILNS1_3genE9ELNS1_11target_archE1100ELNS1_3gpuE3ELNS1_3repE0EEENS1_30default_config_static_selectorELNS0_4arch9wavefront6targetE0EEEvSM_.num_agpr, 0
	.set _ZN7rocprim17ROCPRIM_400000_NS6detail17trampoline_kernelINS0_14default_configENS1_37merge_sort_block_sort_config_selectorIlNS0_10empty_typeEEEZNS1_21merge_sort_block_sortIS3_PlS8_PS5_S9_ZN2at6native12_GLOBAL__N_124unique_dim_cuda_templateIhEESt5tupleIJNSA_6TensorESF_SF_EERKSF_lbbbEUlllE_EE10hipError_tT0_T1_T2_T3_mRjT4_P12ihipStream_tbNS1_7vsmem_tEEUlT_E_NS1_11comp_targetILNS1_3genE9ELNS1_11target_archE1100ELNS1_3gpuE3ELNS1_3repE0EEENS1_30default_config_static_selectorELNS0_4arch9wavefront6targetE0EEEvSM_.numbered_sgpr, 0
	.set _ZN7rocprim17ROCPRIM_400000_NS6detail17trampoline_kernelINS0_14default_configENS1_37merge_sort_block_sort_config_selectorIlNS0_10empty_typeEEEZNS1_21merge_sort_block_sortIS3_PlS8_PS5_S9_ZN2at6native12_GLOBAL__N_124unique_dim_cuda_templateIhEESt5tupleIJNSA_6TensorESF_SF_EERKSF_lbbbEUlllE_EE10hipError_tT0_T1_T2_T3_mRjT4_P12ihipStream_tbNS1_7vsmem_tEEUlT_E_NS1_11comp_targetILNS1_3genE9ELNS1_11target_archE1100ELNS1_3gpuE3ELNS1_3repE0EEENS1_30default_config_static_selectorELNS0_4arch9wavefront6targetE0EEEvSM_.num_named_barrier, 0
	.set _ZN7rocprim17ROCPRIM_400000_NS6detail17trampoline_kernelINS0_14default_configENS1_37merge_sort_block_sort_config_selectorIlNS0_10empty_typeEEEZNS1_21merge_sort_block_sortIS3_PlS8_PS5_S9_ZN2at6native12_GLOBAL__N_124unique_dim_cuda_templateIhEESt5tupleIJNSA_6TensorESF_SF_EERKSF_lbbbEUlllE_EE10hipError_tT0_T1_T2_T3_mRjT4_P12ihipStream_tbNS1_7vsmem_tEEUlT_E_NS1_11comp_targetILNS1_3genE9ELNS1_11target_archE1100ELNS1_3gpuE3ELNS1_3repE0EEENS1_30default_config_static_selectorELNS0_4arch9wavefront6targetE0EEEvSM_.private_seg_size, 0
	.set _ZN7rocprim17ROCPRIM_400000_NS6detail17trampoline_kernelINS0_14default_configENS1_37merge_sort_block_sort_config_selectorIlNS0_10empty_typeEEEZNS1_21merge_sort_block_sortIS3_PlS8_PS5_S9_ZN2at6native12_GLOBAL__N_124unique_dim_cuda_templateIhEESt5tupleIJNSA_6TensorESF_SF_EERKSF_lbbbEUlllE_EE10hipError_tT0_T1_T2_T3_mRjT4_P12ihipStream_tbNS1_7vsmem_tEEUlT_E_NS1_11comp_targetILNS1_3genE9ELNS1_11target_archE1100ELNS1_3gpuE3ELNS1_3repE0EEENS1_30default_config_static_selectorELNS0_4arch9wavefront6targetE0EEEvSM_.uses_vcc, 0
	.set _ZN7rocprim17ROCPRIM_400000_NS6detail17trampoline_kernelINS0_14default_configENS1_37merge_sort_block_sort_config_selectorIlNS0_10empty_typeEEEZNS1_21merge_sort_block_sortIS3_PlS8_PS5_S9_ZN2at6native12_GLOBAL__N_124unique_dim_cuda_templateIhEESt5tupleIJNSA_6TensorESF_SF_EERKSF_lbbbEUlllE_EE10hipError_tT0_T1_T2_T3_mRjT4_P12ihipStream_tbNS1_7vsmem_tEEUlT_E_NS1_11comp_targetILNS1_3genE9ELNS1_11target_archE1100ELNS1_3gpuE3ELNS1_3repE0EEENS1_30default_config_static_selectorELNS0_4arch9wavefront6targetE0EEEvSM_.uses_flat_scratch, 0
	.set _ZN7rocprim17ROCPRIM_400000_NS6detail17trampoline_kernelINS0_14default_configENS1_37merge_sort_block_sort_config_selectorIlNS0_10empty_typeEEEZNS1_21merge_sort_block_sortIS3_PlS8_PS5_S9_ZN2at6native12_GLOBAL__N_124unique_dim_cuda_templateIhEESt5tupleIJNSA_6TensorESF_SF_EERKSF_lbbbEUlllE_EE10hipError_tT0_T1_T2_T3_mRjT4_P12ihipStream_tbNS1_7vsmem_tEEUlT_E_NS1_11comp_targetILNS1_3genE9ELNS1_11target_archE1100ELNS1_3gpuE3ELNS1_3repE0EEENS1_30default_config_static_selectorELNS0_4arch9wavefront6targetE0EEEvSM_.has_dyn_sized_stack, 0
	.set _ZN7rocprim17ROCPRIM_400000_NS6detail17trampoline_kernelINS0_14default_configENS1_37merge_sort_block_sort_config_selectorIlNS0_10empty_typeEEEZNS1_21merge_sort_block_sortIS3_PlS8_PS5_S9_ZN2at6native12_GLOBAL__N_124unique_dim_cuda_templateIhEESt5tupleIJNSA_6TensorESF_SF_EERKSF_lbbbEUlllE_EE10hipError_tT0_T1_T2_T3_mRjT4_P12ihipStream_tbNS1_7vsmem_tEEUlT_E_NS1_11comp_targetILNS1_3genE9ELNS1_11target_archE1100ELNS1_3gpuE3ELNS1_3repE0EEENS1_30default_config_static_selectorELNS0_4arch9wavefront6targetE0EEEvSM_.has_recursion, 0
	.set _ZN7rocprim17ROCPRIM_400000_NS6detail17trampoline_kernelINS0_14default_configENS1_37merge_sort_block_sort_config_selectorIlNS0_10empty_typeEEEZNS1_21merge_sort_block_sortIS3_PlS8_PS5_S9_ZN2at6native12_GLOBAL__N_124unique_dim_cuda_templateIhEESt5tupleIJNSA_6TensorESF_SF_EERKSF_lbbbEUlllE_EE10hipError_tT0_T1_T2_T3_mRjT4_P12ihipStream_tbNS1_7vsmem_tEEUlT_E_NS1_11comp_targetILNS1_3genE9ELNS1_11target_archE1100ELNS1_3gpuE3ELNS1_3repE0EEENS1_30default_config_static_selectorELNS0_4arch9wavefront6targetE0EEEvSM_.has_indirect_call, 0
	.section	.AMDGPU.csdata,"",@progbits
; Kernel info:
; codeLenInByte = 0
; TotalNumSgprs: 0
; NumVgprs: 0
; ScratchSize: 0
; MemoryBound: 0
; FloatMode: 240
; IeeeMode: 1
; LDSByteSize: 0 bytes/workgroup (compile time only)
; SGPRBlocks: 0
; VGPRBlocks: 0
; NumSGPRsForWavesPerEU: 1
; NumVGPRsForWavesPerEU: 1
; NamedBarCnt: 0
; Occupancy: 16
; WaveLimiterHint : 0
; COMPUTE_PGM_RSRC2:SCRATCH_EN: 0
; COMPUTE_PGM_RSRC2:USER_SGPR: 2
; COMPUTE_PGM_RSRC2:TRAP_HANDLER: 0
; COMPUTE_PGM_RSRC2:TGID_X_EN: 1
; COMPUTE_PGM_RSRC2:TGID_Y_EN: 0
; COMPUTE_PGM_RSRC2:TGID_Z_EN: 0
; COMPUTE_PGM_RSRC2:TIDIG_COMP_CNT: 0
	.section	.text._ZN7rocprim17ROCPRIM_400000_NS6detail17trampoline_kernelINS0_14default_configENS1_37merge_sort_block_sort_config_selectorIlNS0_10empty_typeEEEZNS1_21merge_sort_block_sortIS3_PlS8_PS5_S9_ZN2at6native12_GLOBAL__N_124unique_dim_cuda_templateIhEESt5tupleIJNSA_6TensorESF_SF_EERKSF_lbbbEUlllE_EE10hipError_tT0_T1_T2_T3_mRjT4_P12ihipStream_tbNS1_7vsmem_tEEUlT_E_NS1_11comp_targetILNS1_3genE8ELNS1_11target_archE1030ELNS1_3gpuE2ELNS1_3repE0EEENS1_30default_config_static_selectorELNS0_4arch9wavefront6targetE0EEEvSM_,"axG",@progbits,_ZN7rocprim17ROCPRIM_400000_NS6detail17trampoline_kernelINS0_14default_configENS1_37merge_sort_block_sort_config_selectorIlNS0_10empty_typeEEEZNS1_21merge_sort_block_sortIS3_PlS8_PS5_S9_ZN2at6native12_GLOBAL__N_124unique_dim_cuda_templateIhEESt5tupleIJNSA_6TensorESF_SF_EERKSF_lbbbEUlllE_EE10hipError_tT0_T1_T2_T3_mRjT4_P12ihipStream_tbNS1_7vsmem_tEEUlT_E_NS1_11comp_targetILNS1_3genE8ELNS1_11target_archE1030ELNS1_3gpuE2ELNS1_3repE0EEENS1_30default_config_static_selectorELNS0_4arch9wavefront6targetE0EEEvSM_,comdat
	.globl	_ZN7rocprim17ROCPRIM_400000_NS6detail17trampoline_kernelINS0_14default_configENS1_37merge_sort_block_sort_config_selectorIlNS0_10empty_typeEEEZNS1_21merge_sort_block_sortIS3_PlS8_PS5_S9_ZN2at6native12_GLOBAL__N_124unique_dim_cuda_templateIhEESt5tupleIJNSA_6TensorESF_SF_EERKSF_lbbbEUlllE_EE10hipError_tT0_T1_T2_T3_mRjT4_P12ihipStream_tbNS1_7vsmem_tEEUlT_E_NS1_11comp_targetILNS1_3genE8ELNS1_11target_archE1030ELNS1_3gpuE2ELNS1_3repE0EEENS1_30default_config_static_selectorELNS0_4arch9wavefront6targetE0EEEvSM_ ; -- Begin function _ZN7rocprim17ROCPRIM_400000_NS6detail17trampoline_kernelINS0_14default_configENS1_37merge_sort_block_sort_config_selectorIlNS0_10empty_typeEEEZNS1_21merge_sort_block_sortIS3_PlS8_PS5_S9_ZN2at6native12_GLOBAL__N_124unique_dim_cuda_templateIhEESt5tupleIJNSA_6TensorESF_SF_EERKSF_lbbbEUlllE_EE10hipError_tT0_T1_T2_T3_mRjT4_P12ihipStream_tbNS1_7vsmem_tEEUlT_E_NS1_11comp_targetILNS1_3genE8ELNS1_11target_archE1030ELNS1_3gpuE2ELNS1_3repE0EEENS1_30default_config_static_selectorELNS0_4arch9wavefront6targetE0EEEvSM_
	.p2align	8
	.type	_ZN7rocprim17ROCPRIM_400000_NS6detail17trampoline_kernelINS0_14default_configENS1_37merge_sort_block_sort_config_selectorIlNS0_10empty_typeEEEZNS1_21merge_sort_block_sortIS3_PlS8_PS5_S9_ZN2at6native12_GLOBAL__N_124unique_dim_cuda_templateIhEESt5tupleIJNSA_6TensorESF_SF_EERKSF_lbbbEUlllE_EE10hipError_tT0_T1_T2_T3_mRjT4_P12ihipStream_tbNS1_7vsmem_tEEUlT_E_NS1_11comp_targetILNS1_3genE8ELNS1_11target_archE1030ELNS1_3gpuE2ELNS1_3repE0EEENS1_30default_config_static_selectorELNS0_4arch9wavefront6targetE0EEEvSM_,@function
_ZN7rocprim17ROCPRIM_400000_NS6detail17trampoline_kernelINS0_14default_configENS1_37merge_sort_block_sort_config_selectorIlNS0_10empty_typeEEEZNS1_21merge_sort_block_sortIS3_PlS8_PS5_S9_ZN2at6native12_GLOBAL__N_124unique_dim_cuda_templateIhEESt5tupleIJNSA_6TensorESF_SF_EERKSF_lbbbEUlllE_EE10hipError_tT0_T1_T2_T3_mRjT4_P12ihipStream_tbNS1_7vsmem_tEEUlT_E_NS1_11comp_targetILNS1_3genE8ELNS1_11target_archE1030ELNS1_3gpuE2ELNS1_3repE0EEENS1_30default_config_static_selectorELNS0_4arch9wavefront6targetE0EEEvSM_: ; @_ZN7rocprim17ROCPRIM_400000_NS6detail17trampoline_kernelINS0_14default_configENS1_37merge_sort_block_sort_config_selectorIlNS0_10empty_typeEEEZNS1_21merge_sort_block_sortIS3_PlS8_PS5_S9_ZN2at6native12_GLOBAL__N_124unique_dim_cuda_templateIhEESt5tupleIJNSA_6TensorESF_SF_EERKSF_lbbbEUlllE_EE10hipError_tT0_T1_T2_T3_mRjT4_P12ihipStream_tbNS1_7vsmem_tEEUlT_E_NS1_11comp_targetILNS1_3genE8ELNS1_11target_archE1030ELNS1_3gpuE2ELNS1_3repE0EEENS1_30default_config_static_selectorELNS0_4arch9wavefront6targetE0EEEvSM_
; %bb.0:
	.section	.rodata,"a",@progbits
	.p2align	6, 0x0
	.amdhsa_kernel _ZN7rocprim17ROCPRIM_400000_NS6detail17trampoline_kernelINS0_14default_configENS1_37merge_sort_block_sort_config_selectorIlNS0_10empty_typeEEEZNS1_21merge_sort_block_sortIS3_PlS8_PS5_S9_ZN2at6native12_GLOBAL__N_124unique_dim_cuda_templateIhEESt5tupleIJNSA_6TensorESF_SF_EERKSF_lbbbEUlllE_EE10hipError_tT0_T1_T2_T3_mRjT4_P12ihipStream_tbNS1_7vsmem_tEEUlT_E_NS1_11comp_targetILNS1_3genE8ELNS1_11target_archE1030ELNS1_3gpuE2ELNS1_3repE0EEENS1_30default_config_static_selectorELNS0_4arch9wavefront6targetE0EEEvSM_
		.amdhsa_group_segment_fixed_size 0
		.amdhsa_private_segment_fixed_size 0
		.amdhsa_kernarg_size 72
		.amdhsa_user_sgpr_count 2
		.amdhsa_user_sgpr_dispatch_ptr 0
		.amdhsa_user_sgpr_queue_ptr 0
		.amdhsa_user_sgpr_kernarg_segment_ptr 1
		.amdhsa_user_sgpr_dispatch_id 0
		.amdhsa_user_sgpr_kernarg_preload_length 0
		.amdhsa_user_sgpr_kernarg_preload_offset 0
		.amdhsa_user_sgpr_private_segment_size 0
		.amdhsa_wavefront_size32 1
		.amdhsa_uses_dynamic_stack 0
		.amdhsa_enable_private_segment 0
		.amdhsa_system_sgpr_workgroup_id_x 1
		.amdhsa_system_sgpr_workgroup_id_y 0
		.amdhsa_system_sgpr_workgroup_id_z 0
		.amdhsa_system_sgpr_workgroup_info 0
		.amdhsa_system_vgpr_workitem_id 0
		.amdhsa_next_free_vgpr 1
		.amdhsa_next_free_sgpr 1
		.amdhsa_named_barrier_count 0
		.amdhsa_reserve_vcc 0
		.amdhsa_float_round_mode_32 0
		.amdhsa_float_round_mode_16_64 0
		.amdhsa_float_denorm_mode_32 3
		.amdhsa_float_denorm_mode_16_64 3
		.amdhsa_fp16_overflow 0
		.amdhsa_memory_ordered 1
		.amdhsa_forward_progress 1
		.amdhsa_inst_pref_size 0
		.amdhsa_round_robin_scheduling 0
		.amdhsa_exception_fp_ieee_invalid_op 0
		.amdhsa_exception_fp_denorm_src 0
		.amdhsa_exception_fp_ieee_div_zero 0
		.amdhsa_exception_fp_ieee_overflow 0
		.amdhsa_exception_fp_ieee_underflow 0
		.amdhsa_exception_fp_ieee_inexact 0
		.amdhsa_exception_int_div_zero 0
	.end_amdhsa_kernel
	.section	.text._ZN7rocprim17ROCPRIM_400000_NS6detail17trampoline_kernelINS0_14default_configENS1_37merge_sort_block_sort_config_selectorIlNS0_10empty_typeEEEZNS1_21merge_sort_block_sortIS3_PlS8_PS5_S9_ZN2at6native12_GLOBAL__N_124unique_dim_cuda_templateIhEESt5tupleIJNSA_6TensorESF_SF_EERKSF_lbbbEUlllE_EE10hipError_tT0_T1_T2_T3_mRjT4_P12ihipStream_tbNS1_7vsmem_tEEUlT_E_NS1_11comp_targetILNS1_3genE8ELNS1_11target_archE1030ELNS1_3gpuE2ELNS1_3repE0EEENS1_30default_config_static_selectorELNS0_4arch9wavefront6targetE0EEEvSM_,"axG",@progbits,_ZN7rocprim17ROCPRIM_400000_NS6detail17trampoline_kernelINS0_14default_configENS1_37merge_sort_block_sort_config_selectorIlNS0_10empty_typeEEEZNS1_21merge_sort_block_sortIS3_PlS8_PS5_S9_ZN2at6native12_GLOBAL__N_124unique_dim_cuda_templateIhEESt5tupleIJNSA_6TensorESF_SF_EERKSF_lbbbEUlllE_EE10hipError_tT0_T1_T2_T3_mRjT4_P12ihipStream_tbNS1_7vsmem_tEEUlT_E_NS1_11comp_targetILNS1_3genE8ELNS1_11target_archE1030ELNS1_3gpuE2ELNS1_3repE0EEENS1_30default_config_static_selectorELNS0_4arch9wavefront6targetE0EEEvSM_,comdat
.Lfunc_end17:
	.size	_ZN7rocprim17ROCPRIM_400000_NS6detail17trampoline_kernelINS0_14default_configENS1_37merge_sort_block_sort_config_selectorIlNS0_10empty_typeEEEZNS1_21merge_sort_block_sortIS3_PlS8_PS5_S9_ZN2at6native12_GLOBAL__N_124unique_dim_cuda_templateIhEESt5tupleIJNSA_6TensorESF_SF_EERKSF_lbbbEUlllE_EE10hipError_tT0_T1_T2_T3_mRjT4_P12ihipStream_tbNS1_7vsmem_tEEUlT_E_NS1_11comp_targetILNS1_3genE8ELNS1_11target_archE1030ELNS1_3gpuE2ELNS1_3repE0EEENS1_30default_config_static_selectorELNS0_4arch9wavefront6targetE0EEEvSM_, .Lfunc_end17-_ZN7rocprim17ROCPRIM_400000_NS6detail17trampoline_kernelINS0_14default_configENS1_37merge_sort_block_sort_config_selectorIlNS0_10empty_typeEEEZNS1_21merge_sort_block_sortIS3_PlS8_PS5_S9_ZN2at6native12_GLOBAL__N_124unique_dim_cuda_templateIhEESt5tupleIJNSA_6TensorESF_SF_EERKSF_lbbbEUlllE_EE10hipError_tT0_T1_T2_T3_mRjT4_P12ihipStream_tbNS1_7vsmem_tEEUlT_E_NS1_11comp_targetILNS1_3genE8ELNS1_11target_archE1030ELNS1_3gpuE2ELNS1_3repE0EEENS1_30default_config_static_selectorELNS0_4arch9wavefront6targetE0EEEvSM_
                                        ; -- End function
	.set _ZN7rocprim17ROCPRIM_400000_NS6detail17trampoline_kernelINS0_14default_configENS1_37merge_sort_block_sort_config_selectorIlNS0_10empty_typeEEEZNS1_21merge_sort_block_sortIS3_PlS8_PS5_S9_ZN2at6native12_GLOBAL__N_124unique_dim_cuda_templateIhEESt5tupleIJNSA_6TensorESF_SF_EERKSF_lbbbEUlllE_EE10hipError_tT0_T1_T2_T3_mRjT4_P12ihipStream_tbNS1_7vsmem_tEEUlT_E_NS1_11comp_targetILNS1_3genE8ELNS1_11target_archE1030ELNS1_3gpuE2ELNS1_3repE0EEENS1_30default_config_static_selectorELNS0_4arch9wavefront6targetE0EEEvSM_.num_vgpr, 0
	.set _ZN7rocprim17ROCPRIM_400000_NS6detail17trampoline_kernelINS0_14default_configENS1_37merge_sort_block_sort_config_selectorIlNS0_10empty_typeEEEZNS1_21merge_sort_block_sortIS3_PlS8_PS5_S9_ZN2at6native12_GLOBAL__N_124unique_dim_cuda_templateIhEESt5tupleIJNSA_6TensorESF_SF_EERKSF_lbbbEUlllE_EE10hipError_tT0_T1_T2_T3_mRjT4_P12ihipStream_tbNS1_7vsmem_tEEUlT_E_NS1_11comp_targetILNS1_3genE8ELNS1_11target_archE1030ELNS1_3gpuE2ELNS1_3repE0EEENS1_30default_config_static_selectorELNS0_4arch9wavefront6targetE0EEEvSM_.num_agpr, 0
	.set _ZN7rocprim17ROCPRIM_400000_NS6detail17trampoline_kernelINS0_14default_configENS1_37merge_sort_block_sort_config_selectorIlNS0_10empty_typeEEEZNS1_21merge_sort_block_sortIS3_PlS8_PS5_S9_ZN2at6native12_GLOBAL__N_124unique_dim_cuda_templateIhEESt5tupleIJNSA_6TensorESF_SF_EERKSF_lbbbEUlllE_EE10hipError_tT0_T1_T2_T3_mRjT4_P12ihipStream_tbNS1_7vsmem_tEEUlT_E_NS1_11comp_targetILNS1_3genE8ELNS1_11target_archE1030ELNS1_3gpuE2ELNS1_3repE0EEENS1_30default_config_static_selectorELNS0_4arch9wavefront6targetE0EEEvSM_.numbered_sgpr, 0
	.set _ZN7rocprim17ROCPRIM_400000_NS6detail17trampoline_kernelINS0_14default_configENS1_37merge_sort_block_sort_config_selectorIlNS0_10empty_typeEEEZNS1_21merge_sort_block_sortIS3_PlS8_PS5_S9_ZN2at6native12_GLOBAL__N_124unique_dim_cuda_templateIhEESt5tupleIJNSA_6TensorESF_SF_EERKSF_lbbbEUlllE_EE10hipError_tT0_T1_T2_T3_mRjT4_P12ihipStream_tbNS1_7vsmem_tEEUlT_E_NS1_11comp_targetILNS1_3genE8ELNS1_11target_archE1030ELNS1_3gpuE2ELNS1_3repE0EEENS1_30default_config_static_selectorELNS0_4arch9wavefront6targetE0EEEvSM_.num_named_barrier, 0
	.set _ZN7rocprim17ROCPRIM_400000_NS6detail17trampoline_kernelINS0_14default_configENS1_37merge_sort_block_sort_config_selectorIlNS0_10empty_typeEEEZNS1_21merge_sort_block_sortIS3_PlS8_PS5_S9_ZN2at6native12_GLOBAL__N_124unique_dim_cuda_templateIhEESt5tupleIJNSA_6TensorESF_SF_EERKSF_lbbbEUlllE_EE10hipError_tT0_T1_T2_T3_mRjT4_P12ihipStream_tbNS1_7vsmem_tEEUlT_E_NS1_11comp_targetILNS1_3genE8ELNS1_11target_archE1030ELNS1_3gpuE2ELNS1_3repE0EEENS1_30default_config_static_selectorELNS0_4arch9wavefront6targetE0EEEvSM_.private_seg_size, 0
	.set _ZN7rocprim17ROCPRIM_400000_NS6detail17trampoline_kernelINS0_14default_configENS1_37merge_sort_block_sort_config_selectorIlNS0_10empty_typeEEEZNS1_21merge_sort_block_sortIS3_PlS8_PS5_S9_ZN2at6native12_GLOBAL__N_124unique_dim_cuda_templateIhEESt5tupleIJNSA_6TensorESF_SF_EERKSF_lbbbEUlllE_EE10hipError_tT0_T1_T2_T3_mRjT4_P12ihipStream_tbNS1_7vsmem_tEEUlT_E_NS1_11comp_targetILNS1_3genE8ELNS1_11target_archE1030ELNS1_3gpuE2ELNS1_3repE0EEENS1_30default_config_static_selectorELNS0_4arch9wavefront6targetE0EEEvSM_.uses_vcc, 0
	.set _ZN7rocprim17ROCPRIM_400000_NS6detail17trampoline_kernelINS0_14default_configENS1_37merge_sort_block_sort_config_selectorIlNS0_10empty_typeEEEZNS1_21merge_sort_block_sortIS3_PlS8_PS5_S9_ZN2at6native12_GLOBAL__N_124unique_dim_cuda_templateIhEESt5tupleIJNSA_6TensorESF_SF_EERKSF_lbbbEUlllE_EE10hipError_tT0_T1_T2_T3_mRjT4_P12ihipStream_tbNS1_7vsmem_tEEUlT_E_NS1_11comp_targetILNS1_3genE8ELNS1_11target_archE1030ELNS1_3gpuE2ELNS1_3repE0EEENS1_30default_config_static_selectorELNS0_4arch9wavefront6targetE0EEEvSM_.uses_flat_scratch, 0
	.set _ZN7rocprim17ROCPRIM_400000_NS6detail17trampoline_kernelINS0_14default_configENS1_37merge_sort_block_sort_config_selectorIlNS0_10empty_typeEEEZNS1_21merge_sort_block_sortIS3_PlS8_PS5_S9_ZN2at6native12_GLOBAL__N_124unique_dim_cuda_templateIhEESt5tupleIJNSA_6TensorESF_SF_EERKSF_lbbbEUlllE_EE10hipError_tT0_T1_T2_T3_mRjT4_P12ihipStream_tbNS1_7vsmem_tEEUlT_E_NS1_11comp_targetILNS1_3genE8ELNS1_11target_archE1030ELNS1_3gpuE2ELNS1_3repE0EEENS1_30default_config_static_selectorELNS0_4arch9wavefront6targetE0EEEvSM_.has_dyn_sized_stack, 0
	.set _ZN7rocprim17ROCPRIM_400000_NS6detail17trampoline_kernelINS0_14default_configENS1_37merge_sort_block_sort_config_selectorIlNS0_10empty_typeEEEZNS1_21merge_sort_block_sortIS3_PlS8_PS5_S9_ZN2at6native12_GLOBAL__N_124unique_dim_cuda_templateIhEESt5tupleIJNSA_6TensorESF_SF_EERKSF_lbbbEUlllE_EE10hipError_tT0_T1_T2_T3_mRjT4_P12ihipStream_tbNS1_7vsmem_tEEUlT_E_NS1_11comp_targetILNS1_3genE8ELNS1_11target_archE1030ELNS1_3gpuE2ELNS1_3repE0EEENS1_30default_config_static_selectorELNS0_4arch9wavefront6targetE0EEEvSM_.has_recursion, 0
	.set _ZN7rocprim17ROCPRIM_400000_NS6detail17trampoline_kernelINS0_14default_configENS1_37merge_sort_block_sort_config_selectorIlNS0_10empty_typeEEEZNS1_21merge_sort_block_sortIS3_PlS8_PS5_S9_ZN2at6native12_GLOBAL__N_124unique_dim_cuda_templateIhEESt5tupleIJNSA_6TensorESF_SF_EERKSF_lbbbEUlllE_EE10hipError_tT0_T1_T2_T3_mRjT4_P12ihipStream_tbNS1_7vsmem_tEEUlT_E_NS1_11comp_targetILNS1_3genE8ELNS1_11target_archE1030ELNS1_3gpuE2ELNS1_3repE0EEENS1_30default_config_static_selectorELNS0_4arch9wavefront6targetE0EEEvSM_.has_indirect_call, 0
	.section	.AMDGPU.csdata,"",@progbits
; Kernel info:
; codeLenInByte = 0
; TotalNumSgprs: 0
; NumVgprs: 0
; ScratchSize: 0
; MemoryBound: 0
; FloatMode: 240
; IeeeMode: 1
; LDSByteSize: 0 bytes/workgroup (compile time only)
; SGPRBlocks: 0
; VGPRBlocks: 0
; NumSGPRsForWavesPerEU: 1
; NumVGPRsForWavesPerEU: 1
; NamedBarCnt: 0
; Occupancy: 16
; WaveLimiterHint : 0
; COMPUTE_PGM_RSRC2:SCRATCH_EN: 0
; COMPUTE_PGM_RSRC2:USER_SGPR: 2
; COMPUTE_PGM_RSRC2:TRAP_HANDLER: 0
; COMPUTE_PGM_RSRC2:TGID_X_EN: 1
; COMPUTE_PGM_RSRC2:TGID_Y_EN: 0
; COMPUTE_PGM_RSRC2:TGID_Z_EN: 0
; COMPUTE_PGM_RSRC2:TIDIG_COMP_CNT: 0
	.section	.text._ZN7rocprim17ROCPRIM_400000_NS6detail17trampoline_kernelINS0_14default_configENS1_38merge_sort_block_merge_config_selectorIlNS0_10empty_typeEEEZZNS1_27merge_sort_block_merge_implIS3_PlPS5_mZN2at6native12_GLOBAL__N_124unique_dim_cuda_templateIhEESt5tupleIJNSA_6TensorESF_SF_EERKSF_lbbbEUlllE_EE10hipError_tT0_T1_T2_jT3_P12ihipStream_tbPNSt15iterator_traitsISL_E10value_typeEPNSR_ISM_E10value_typeEPSN_NS1_7vsmem_tEENKUlT_SL_SM_SN_E_clIS8_S8_S9_S9_EESK_S10_SL_SM_SN_EUlS10_E_NS1_11comp_targetILNS1_3genE0ELNS1_11target_archE4294967295ELNS1_3gpuE0ELNS1_3repE0EEENS1_48merge_mergepath_partition_config_static_selectorELNS0_4arch9wavefront6targetE0EEEvSM_,"axG",@progbits,_ZN7rocprim17ROCPRIM_400000_NS6detail17trampoline_kernelINS0_14default_configENS1_38merge_sort_block_merge_config_selectorIlNS0_10empty_typeEEEZZNS1_27merge_sort_block_merge_implIS3_PlPS5_mZN2at6native12_GLOBAL__N_124unique_dim_cuda_templateIhEESt5tupleIJNSA_6TensorESF_SF_EERKSF_lbbbEUlllE_EE10hipError_tT0_T1_T2_jT3_P12ihipStream_tbPNSt15iterator_traitsISL_E10value_typeEPNSR_ISM_E10value_typeEPSN_NS1_7vsmem_tEENKUlT_SL_SM_SN_E_clIS8_S8_S9_S9_EESK_S10_SL_SM_SN_EUlS10_E_NS1_11comp_targetILNS1_3genE0ELNS1_11target_archE4294967295ELNS1_3gpuE0ELNS1_3repE0EEENS1_48merge_mergepath_partition_config_static_selectorELNS0_4arch9wavefront6targetE0EEEvSM_,comdat
	.globl	_ZN7rocprim17ROCPRIM_400000_NS6detail17trampoline_kernelINS0_14default_configENS1_38merge_sort_block_merge_config_selectorIlNS0_10empty_typeEEEZZNS1_27merge_sort_block_merge_implIS3_PlPS5_mZN2at6native12_GLOBAL__N_124unique_dim_cuda_templateIhEESt5tupleIJNSA_6TensorESF_SF_EERKSF_lbbbEUlllE_EE10hipError_tT0_T1_T2_jT3_P12ihipStream_tbPNSt15iterator_traitsISL_E10value_typeEPNSR_ISM_E10value_typeEPSN_NS1_7vsmem_tEENKUlT_SL_SM_SN_E_clIS8_S8_S9_S9_EESK_S10_SL_SM_SN_EUlS10_E_NS1_11comp_targetILNS1_3genE0ELNS1_11target_archE4294967295ELNS1_3gpuE0ELNS1_3repE0EEENS1_48merge_mergepath_partition_config_static_selectorELNS0_4arch9wavefront6targetE0EEEvSM_ ; -- Begin function _ZN7rocprim17ROCPRIM_400000_NS6detail17trampoline_kernelINS0_14default_configENS1_38merge_sort_block_merge_config_selectorIlNS0_10empty_typeEEEZZNS1_27merge_sort_block_merge_implIS3_PlPS5_mZN2at6native12_GLOBAL__N_124unique_dim_cuda_templateIhEESt5tupleIJNSA_6TensorESF_SF_EERKSF_lbbbEUlllE_EE10hipError_tT0_T1_T2_jT3_P12ihipStream_tbPNSt15iterator_traitsISL_E10value_typeEPNSR_ISM_E10value_typeEPSN_NS1_7vsmem_tEENKUlT_SL_SM_SN_E_clIS8_S8_S9_S9_EESK_S10_SL_SM_SN_EUlS10_E_NS1_11comp_targetILNS1_3genE0ELNS1_11target_archE4294967295ELNS1_3gpuE0ELNS1_3repE0EEENS1_48merge_mergepath_partition_config_static_selectorELNS0_4arch9wavefront6targetE0EEEvSM_
	.p2align	8
	.type	_ZN7rocprim17ROCPRIM_400000_NS6detail17trampoline_kernelINS0_14default_configENS1_38merge_sort_block_merge_config_selectorIlNS0_10empty_typeEEEZZNS1_27merge_sort_block_merge_implIS3_PlPS5_mZN2at6native12_GLOBAL__N_124unique_dim_cuda_templateIhEESt5tupleIJNSA_6TensorESF_SF_EERKSF_lbbbEUlllE_EE10hipError_tT0_T1_T2_jT3_P12ihipStream_tbPNSt15iterator_traitsISL_E10value_typeEPNSR_ISM_E10value_typeEPSN_NS1_7vsmem_tEENKUlT_SL_SM_SN_E_clIS8_S8_S9_S9_EESK_S10_SL_SM_SN_EUlS10_E_NS1_11comp_targetILNS1_3genE0ELNS1_11target_archE4294967295ELNS1_3gpuE0ELNS1_3repE0EEENS1_48merge_mergepath_partition_config_static_selectorELNS0_4arch9wavefront6targetE0EEEvSM_,@function
_ZN7rocprim17ROCPRIM_400000_NS6detail17trampoline_kernelINS0_14default_configENS1_38merge_sort_block_merge_config_selectorIlNS0_10empty_typeEEEZZNS1_27merge_sort_block_merge_implIS3_PlPS5_mZN2at6native12_GLOBAL__N_124unique_dim_cuda_templateIhEESt5tupleIJNSA_6TensorESF_SF_EERKSF_lbbbEUlllE_EE10hipError_tT0_T1_T2_jT3_P12ihipStream_tbPNSt15iterator_traitsISL_E10value_typeEPNSR_ISM_E10value_typeEPSN_NS1_7vsmem_tEENKUlT_SL_SM_SN_E_clIS8_S8_S9_S9_EESK_S10_SL_SM_SN_EUlS10_E_NS1_11comp_targetILNS1_3genE0ELNS1_11target_archE4294967295ELNS1_3gpuE0ELNS1_3repE0EEENS1_48merge_mergepath_partition_config_static_selectorELNS0_4arch9wavefront6targetE0EEEvSM_: ; @_ZN7rocprim17ROCPRIM_400000_NS6detail17trampoline_kernelINS0_14default_configENS1_38merge_sort_block_merge_config_selectorIlNS0_10empty_typeEEEZZNS1_27merge_sort_block_merge_implIS3_PlPS5_mZN2at6native12_GLOBAL__N_124unique_dim_cuda_templateIhEESt5tupleIJNSA_6TensorESF_SF_EERKSF_lbbbEUlllE_EE10hipError_tT0_T1_T2_jT3_P12ihipStream_tbPNSt15iterator_traitsISL_E10value_typeEPNSR_ISM_E10value_typeEPSN_NS1_7vsmem_tEENKUlT_SL_SM_SN_E_clIS8_S8_S9_S9_EESK_S10_SL_SM_SN_EUlS10_E_NS1_11comp_targetILNS1_3genE0ELNS1_11target_archE4294967295ELNS1_3gpuE0ELNS1_3repE0EEENS1_48merge_mergepath_partition_config_static_selectorELNS0_4arch9wavefront6targetE0EEEvSM_
; %bb.0:
	s_load_b32 s2, s[0:1], 0x0
	s_bfe_u32 s3, ttmp6, 0x4000c
	s_and_b32 s4, ttmp6, 15
	s_add_co_i32 s3, s3, 1
	s_getreg_b32 s5, hwreg(HW_REG_IB_STS2, 6, 4)
	s_mul_i32 s3, ttmp9, s3
	s_delay_alu instid0(SALU_CYCLE_1) | instskip(SKIP_2) | instid1(SALU_CYCLE_1)
	s_add_co_i32 s4, s4, s3
	s_cmp_eq_u32 s5, 0
	s_cselect_b32 s3, ttmp9, s4
	v_lshl_or_b32 v16, s3, 7, v0
	s_wait_kmcnt 0x0
	s_delay_alu instid0(VALU_DEP_1)
	v_cmp_gt_u32_e32 vcc_lo, s2, v16
	s_and_saveexec_b32 s2, vcc_lo
	s_cbranch_execz .LBB18_12
; %bb.1:
	s_load_b128 s[4:7], s[0:1], 0x8
	s_wait_kmcnt 0x0
	s_lshr_b64 s[2:3], s[4:5], 9
	s_delay_alu instid0(SALU_CYCLE_1) | instskip(NEXT) | instid1(SALU_CYCLE_1)
	s_and_b32 s2, s2, -2
	s_sub_co_i32 s3, 0, s2
	s_delay_alu instid0(SALU_CYCLE_1) | instskip(SKIP_1) | instid1(VALU_DEP_1)
	v_dual_mov_b32 v3, 0 :: v_dual_bitop2_b32 v2, s3, v16 bitop3:0x40
	s_add_co_i32 s2, s2, -1
	v_lshlrev_b64_e32 v[0:1], 10, v[2:3]
	v_and_b32_e32 v2, s2, v16
	s_delay_alu instid0(VALU_DEP_1) | instskip(NEXT) | instid1(VALU_DEP_3)
	v_lshlrev_b64_e32 v[2:3], 10, v[2:3]
	v_add_nc_u64_e32 v[4:5], s[4:5], v[0:1]
	v_min_u64 v[0:1], s[6:7], v[0:1]
	s_delay_alu instid0(VALU_DEP_2) | instskip(NEXT) | instid1(VALU_DEP_1)
	v_min_u64 v[6:7], s[6:7], v[4:5]
	v_add_nc_u64_e32 v[4:5], s[4:5], v[6:7]
	s_delay_alu instid0(VALU_DEP_1) | instskip(SKIP_3) | instid1(VALU_DEP_1)
	v_min_u64 v[4:5], s[6:7], v[4:5]
	s_load_b256 s[4:11], s[0:1], 0x18
	s_wait_xcnt 0x0
	s_mov_b32 s1, exec_lo
	v_sub_nc_u64_e32 v[8:9], v[4:5], v[0:1]
	s_delay_alu instid0(VALU_DEP_1) | instskip(SKIP_2) | instid1(VALU_DEP_2)
	v_min_u64 v[8:9], v[8:9], v[2:3]
	v_sub_nc_u64_e32 v[2:3], v[4:5], v[6:7]
	v_sub_nc_u64_e32 v[4:5], v[6:7], v[0:1]
	v_max_u64 v[10:11], v[8:9], v[2:3]
	s_delay_alu instid0(VALU_DEP_2) | instskip(NEXT) | instid1(VALU_DEP_2)
	v_min_u64 v[4:5], v[8:9], v[4:5]
	v_sub_nc_u64_e32 v[2:3], v[10:11], v[2:3]
	s_delay_alu instid0(VALU_DEP_1)
	v_cmpx_lt_u64_e64 v[2:3], v[4:5]
	s_cbranch_execz .LBB18_11
; %bb.2:
	s_wait_kmcnt 0x0
	v_lshl_add_u64 v[10:11], v[6:7], 3, s[4:5]
	v_lshl_add_u64 v[6:7], v[0:1], 3, s[4:5]
	v_cmp_gt_i64_e64 s4, s[6:7], 0
	s_mov_b32 s5, 0
	v_lshl_add_u64 v[8:9], v[8:9], 3, v[10:11]
	s_branch .LBB18_5
.LBB18_3:                               ;   in Loop: Header=BB18_5 Depth=1
	s_or_b32 exec_lo, exec_lo, s13
.LBB18_4:                               ;   in Loop: Header=BB18_5 Depth=1
	s_delay_alu instid0(VALU_DEP_1) | instskip(SKIP_1) | instid1(VALU_DEP_2)
	v_add_nc_u64_e32 v[12:13], 1, v[10:11]
	v_dual_cndmask_b32 v5, v5, v11, s12 :: v_dual_cndmask_b32 v4, v4, v10, s12
	v_dual_cndmask_b32 v3, v13, v3, s12 :: v_dual_cndmask_b32 v2, v12, v2, s12
	s_delay_alu instid0(VALU_DEP_1) | instskip(SKIP_1) | instid1(SALU_CYCLE_1)
	v_cmp_ge_u64_e32 vcc_lo, v[2:3], v[4:5]
	s_or_b32 s5, vcc_lo, s5
	s_and_not1_b32 exec_lo, exec_lo, s5
	s_cbranch_execz .LBB18_10
.LBB18_5:                               ; =>This Loop Header: Depth=1
                                        ;     Child Loop BB18_8 Depth 2
	v_add_nc_u64_e32 v[10:11], v[4:5], v[2:3]
	s_and_not1_b32 vcc_lo, exec_lo, s4
	s_mov_b32 s12, 0
	s_delay_alu instid0(VALU_DEP_1)
	v_lshrrev_b64 v[10:11], 1, v[10:11]
	s_cbranch_vccnz .LBB18_4
; %bb.6:                                ;   in Loop: Header=BB18_5 Depth=1
	s_delay_alu instid0(VALU_DEP_1) | instskip(NEXT) | instid1(VALU_DEP_2)
	v_not_b32_e32 v13, v11
	v_not_b32_e32 v12, v10
	v_lshl_add_u64 v[14:15], v[10:11], 3, v[6:7]
	s_mov_b32 s13, 0
	s_mov_b64 s[2:3], s[6:7]
                                        ; implicit-def: $sgpr12
                                        ; implicit-def: $sgpr14
                                        ; implicit-def: $sgpr15
                                        ; implicit-def: $sgpr16
	s_delay_alu instid0(VALU_DEP_2)
	v_lshl_add_u64 v[12:13], v[12:13], 3, v[8:9]
	s_clause 0x1
	global_load_b64 v[18:19], v[12:13], off
	global_load_b64 v[20:21], v[14:15], off
	s_wait_loadcnt 0x1
	s_wait_xcnt 0x1
	v_mad_nc_u64_u32 v[12:13], v18, s6, s[8:9]
	s_wait_loadcnt 0x0
	v_mad_nc_u64_u32 v[14:15], v20, s6, s[8:9]
	s_delay_alu instid0(VALU_DEP_2) | instskip(NEXT) | instid1(VALU_DEP_2)
	v_mad_u32 v13, v19, s6, v13
	v_mad_u32 v15, v21, s6, v15
	s_delay_alu instid0(VALU_DEP_2) | instskip(NEXT) | instid1(VALU_DEP_2)
	v_mad_u32 v13, v18, s7, v13
	v_mad_u32 v15, v20, s7, v15
	s_branch .LBB18_8
.LBB18_7:                               ;   in Loop: Header=BB18_8 Depth=2
	s_or_b32 exec_lo, exec_lo, s17
	s_delay_alu instid0(SALU_CYCLE_1) | instskip(NEXT) | instid1(SALU_CYCLE_1)
	s_and_b32 s17, exec_lo, s14
	s_or_b32 s13, s17, s13
	s_and_not1_b32 s16, s16, exec_lo
	s_and_b32 s0, s0, exec_lo
	s_and_not1_b32 s12, s12, exec_lo
	s_and_b32 s17, s15, exec_lo
	s_or_b32 s16, s16, s0
	s_or_b32 s12, s12, s17
	s_and_not1_b32 exec_lo, exec_lo, s13
	s_cbranch_execz .LBB18_3
.LBB18_8:                               ;   Parent Loop BB18_5 Depth=1
                                        ; =>  This Inner Loop Header: Depth=2
	global_load_u8 v17, v[12:13], off
	global_load_u8 v18, v[14:15], off
	s_and_not1_b32 s15, s15, exec_lo
	s_or_b32 s14, s14, exec_lo
	s_wait_loadcnt 0x1
	v_and_b32_e32 v17, 0xff, v17
	s_wait_loadcnt 0x0
	v_and_b32_e32 v18, 0xff, v18
	s_delay_alu instid0(VALU_DEP_1) | instskip(SKIP_2) | instid1(SALU_CYCLE_1)
	v_cmp_le_u16_e32 vcc_lo, v17, v18
	v_cmp_lt_u16_e64 s0, v17, v18
	s_and_b32 s17, vcc_lo, s16
	s_or_b32 s0, s0, s17
	s_delay_alu instid0(SALU_CYCLE_1) | instskip(NEXT) | instid1(SALU_CYCLE_1)
	s_and_b32 s17, s0, exec_lo
	s_or_b32 s15, s15, s17
	s_mov_b32 s17, exec_lo
	v_cmpx_eq_u16_e64 v17, v18
	s_cbranch_execz .LBB18_7
; %bb.9:                                ;   in Loop: Header=BB18_8 Depth=2
	s_add_nc_u64 s[2:3], s[2:3], -1
	v_add_nc_u64_e32 v[12:13], 1, v[12:13]
	s_cmp_eq_u64 s[2:3], 0
	v_add_nc_u64_e32 v[14:15], 1, v[14:15]
	s_cselect_b32 s16, -1, 0
	s_and_not1_b32 s14, s14, exec_lo
	s_and_b32 s16, s16, exec_lo
	s_and_not1_b32 s15, s15, exec_lo
	s_or_b32 s14, s14, s16
                                        ; implicit-def: $sgpr16
	s_branch .LBB18_7
.LBB18_10:
	s_or_b32 exec_lo, exec_lo, s5
.LBB18_11:
	s_delay_alu instid0(SALU_CYCLE_1)
	s_or_b32 exec_lo, exec_lo, s1
	v_add_nc_u64_e32 v[0:1], v[2:3], v[0:1]
	s_wait_kmcnt 0x0
	global_store_b64 v16, v[0:1], s[10:11] scale_offset
.LBB18_12:
	s_endpgm
	.section	.rodata,"a",@progbits
	.p2align	6, 0x0
	.amdhsa_kernel _ZN7rocprim17ROCPRIM_400000_NS6detail17trampoline_kernelINS0_14default_configENS1_38merge_sort_block_merge_config_selectorIlNS0_10empty_typeEEEZZNS1_27merge_sort_block_merge_implIS3_PlPS5_mZN2at6native12_GLOBAL__N_124unique_dim_cuda_templateIhEESt5tupleIJNSA_6TensorESF_SF_EERKSF_lbbbEUlllE_EE10hipError_tT0_T1_T2_jT3_P12ihipStream_tbPNSt15iterator_traitsISL_E10value_typeEPNSR_ISM_E10value_typeEPSN_NS1_7vsmem_tEENKUlT_SL_SM_SN_E_clIS8_S8_S9_S9_EESK_S10_SL_SM_SN_EUlS10_E_NS1_11comp_targetILNS1_3genE0ELNS1_11target_archE4294967295ELNS1_3gpuE0ELNS1_3repE0EEENS1_48merge_mergepath_partition_config_static_selectorELNS0_4arch9wavefront6targetE0EEEvSM_
		.amdhsa_group_segment_fixed_size 0
		.amdhsa_private_segment_fixed_size 0
		.amdhsa_kernarg_size 56
		.amdhsa_user_sgpr_count 2
		.amdhsa_user_sgpr_dispatch_ptr 0
		.amdhsa_user_sgpr_queue_ptr 0
		.amdhsa_user_sgpr_kernarg_segment_ptr 1
		.amdhsa_user_sgpr_dispatch_id 0
		.amdhsa_user_sgpr_kernarg_preload_length 0
		.amdhsa_user_sgpr_kernarg_preload_offset 0
		.amdhsa_user_sgpr_private_segment_size 0
		.amdhsa_wavefront_size32 1
		.amdhsa_uses_dynamic_stack 0
		.amdhsa_enable_private_segment 0
		.amdhsa_system_sgpr_workgroup_id_x 1
		.amdhsa_system_sgpr_workgroup_id_y 0
		.amdhsa_system_sgpr_workgroup_id_z 0
		.amdhsa_system_sgpr_workgroup_info 0
		.amdhsa_system_vgpr_workitem_id 0
		.amdhsa_next_free_vgpr 22
		.amdhsa_next_free_sgpr 18
		.amdhsa_named_barrier_count 0
		.amdhsa_reserve_vcc 1
		.amdhsa_float_round_mode_32 0
		.amdhsa_float_round_mode_16_64 0
		.amdhsa_float_denorm_mode_32 3
		.amdhsa_float_denorm_mode_16_64 3
		.amdhsa_fp16_overflow 0
		.amdhsa_memory_ordered 1
		.amdhsa_forward_progress 1
		.amdhsa_inst_pref_size 6
		.amdhsa_round_robin_scheduling 0
		.amdhsa_exception_fp_ieee_invalid_op 0
		.amdhsa_exception_fp_denorm_src 0
		.amdhsa_exception_fp_ieee_div_zero 0
		.amdhsa_exception_fp_ieee_overflow 0
		.amdhsa_exception_fp_ieee_underflow 0
		.amdhsa_exception_fp_ieee_inexact 0
		.amdhsa_exception_int_div_zero 0
	.end_amdhsa_kernel
	.section	.text._ZN7rocprim17ROCPRIM_400000_NS6detail17trampoline_kernelINS0_14default_configENS1_38merge_sort_block_merge_config_selectorIlNS0_10empty_typeEEEZZNS1_27merge_sort_block_merge_implIS3_PlPS5_mZN2at6native12_GLOBAL__N_124unique_dim_cuda_templateIhEESt5tupleIJNSA_6TensorESF_SF_EERKSF_lbbbEUlllE_EE10hipError_tT0_T1_T2_jT3_P12ihipStream_tbPNSt15iterator_traitsISL_E10value_typeEPNSR_ISM_E10value_typeEPSN_NS1_7vsmem_tEENKUlT_SL_SM_SN_E_clIS8_S8_S9_S9_EESK_S10_SL_SM_SN_EUlS10_E_NS1_11comp_targetILNS1_3genE0ELNS1_11target_archE4294967295ELNS1_3gpuE0ELNS1_3repE0EEENS1_48merge_mergepath_partition_config_static_selectorELNS0_4arch9wavefront6targetE0EEEvSM_,"axG",@progbits,_ZN7rocprim17ROCPRIM_400000_NS6detail17trampoline_kernelINS0_14default_configENS1_38merge_sort_block_merge_config_selectorIlNS0_10empty_typeEEEZZNS1_27merge_sort_block_merge_implIS3_PlPS5_mZN2at6native12_GLOBAL__N_124unique_dim_cuda_templateIhEESt5tupleIJNSA_6TensorESF_SF_EERKSF_lbbbEUlllE_EE10hipError_tT0_T1_T2_jT3_P12ihipStream_tbPNSt15iterator_traitsISL_E10value_typeEPNSR_ISM_E10value_typeEPSN_NS1_7vsmem_tEENKUlT_SL_SM_SN_E_clIS8_S8_S9_S9_EESK_S10_SL_SM_SN_EUlS10_E_NS1_11comp_targetILNS1_3genE0ELNS1_11target_archE4294967295ELNS1_3gpuE0ELNS1_3repE0EEENS1_48merge_mergepath_partition_config_static_selectorELNS0_4arch9wavefront6targetE0EEEvSM_,comdat
.Lfunc_end18:
	.size	_ZN7rocprim17ROCPRIM_400000_NS6detail17trampoline_kernelINS0_14default_configENS1_38merge_sort_block_merge_config_selectorIlNS0_10empty_typeEEEZZNS1_27merge_sort_block_merge_implIS3_PlPS5_mZN2at6native12_GLOBAL__N_124unique_dim_cuda_templateIhEESt5tupleIJNSA_6TensorESF_SF_EERKSF_lbbbEUlllE_EE10hipError_tT0_T1_T2_jT3_P12ihipStream_tbPNSt15iterator_traitsISL_E10value_typeEPNSR_ISM_E10value_typeEPSN_NS1_7vsmem_tEENKUlT_SL_SM_SN_E_clIS8_S8_S9_S9_EESK_S10_SL_SM_SN_EUlS10_E_NS1_11comp_targetILNS1_3genE0ELNS1_11target_archE4294967295ELNS1_3gpuE0ELNS1_3repE0EEENS1_48merge_mergepath_partition_config_static_selectorELNS0_4arch9wavefront6targetE0EEEvSM_, .Lfunc_end18-_ZN7rocprim17ROCPRIM_400000_NS6detail17trampoline_kernelINS0_14default_configENS1_38merge_sort_block_merge_config_selectorIlNS0_10empty_typeEEEZZNS1_27merge_sort_block_merge_implIS3_PlPS5_mZN2at6native12_GLOBAL__N_124unique_dim_cuda_templateIhEESt5tupleIJNSA_6TensorESF_SF_EERKSF_lbbbEUlllE_EE10hipError_tT0_T1_T2_jT3_P12ihipStream_tbPNSt15iterator_traitsISL_E10value_typeEPNSR_ISM_E10value_typeEPSN_NS1_7vsmem_tEENKUlT_SL_SM_SN_E_clIS8_S8_S9_S9_EESK_S10_SL_SM_SN_EUlS10_E_NS1_11comp_targetILNS1_3genE0ELNS1_11target_archE4294967295ELNS1_3gpuE0ELNS1_3repE0EEENS1_48merge_mergepath_partition_config_static_selectorELNS0_4arch9wavefront6targetE0EEEvSM_
                                        ; -- End function
	.set _ZN7rocprim17ROCPRIM_400000_NS6detail17trampoline_kernelINS0_14default_configENS1_38merge_sort_block_merge_config_selectorIlNS0_10empty_typeEEEZZNS1_27merge_sort_block_merge_implIS3_PlPS5_mZN2at6native12_GLOBAL__N_124unique_dim_cuda_templateIhEESt5tupleIJNSA_6TensorESF_SF_EERKSF_lbbbEUlllE_EE10hipError_tT0_T1_T2_jT3_P12ihipStream_tbPNSt15iterator_traitsISL_E10value_typeEPNSR_ISM_E10value_typeEPSN_NS1_7vsmem_tEENKUlT_SL_SM_SN_E_clIS8_S8_S9_S9_EESK_S10_SL_SM_SN_EUlS10_E_NS1_11comp_targetILNS1_3genE0ELNS1_11target_archE4294967295ELNS1_3gpuE0ELNS1_3repE0EEENS1_48merge_mergepath_partition_config_static_selectorELNS0_4arch9wavefront6targetE0EEEvSM_.num_vgpr, 22
	.set _ZN7rocprim17ROCPRIM_400000_NS6detail17trampoline_kernelINS0_14default_configENS1_38merge_sort_block_merge_config_selectorIlNS0_10empty_typeEEEZZNS1_27merge_sort_block_merge_implIS3_PlPS5_mZN2at6native12_GLOBAL__N_124unique_dim_cuda_templateIhEESt5tupleIJNSA_6TensorESF_SF_EERKSF_lbbbEUlllE_EE10hipError_tT0_T1_T2_jT3_P12ihipStream_tbPNSt15iterator_traitsISL_E10value_typeEPNSR_ISM_E10value_typeEPSN_NS1_7vsmem_tEENKUlT_SL_SM_SN_E_clIS8_S8_S9_S9_EESK_S10_SL_SM_SN_EUlS10_E_NS1_11comp_targetILNS1_3genE0ELNS1_11target_archE4294967295ELNS1_3gpuE0ELNS1_3repE0EEENS1_48merge_mergepath_partition_config_static_selectorELNS0_4arch9wavefront6targetE0EEEvSM_.num_agpr, 0
	.set _ZN7rocprim17ROCPRIM_400000_NS6detail17trampoline_kernelINS0_14default_configENS1_38merge_sort_block_merge_config_selectorIlNS0_10empty_typeEEEZZNS1_27merge_sort_block_merge_implIS3_PlPS5_mZN2at6native12_GLOBAL__N_124unique_dim_cuda_templateIhEESt5tupleIJNSA_6TensorESF_SF_EERKSF_lbbbEUlllE_EE10hipError_tT0_T1_T2_jT3_P12ihipStream_tbPNSt15iterator_traitsISL_E10value_typeEPNSR_ISM_E10value_typeEPSN_NS1_7vsmem_tEENKUlT_SL_SM_SN_E_clIS8_S8_S9_S9_EESK_S10_SL_SM_SN_EUlS10_E_NS1_11comp_targetILNS1_3genE0ELNS1_11target_archE4294967295ELNS1_3gpuE0ELNS1_3repE0EEENS1_48merge_mergepath_partition_config_static_selectorELNS0_4arch9wavefront6targetE0EEEvSM_.numbered_sgpr, 18
	.set _ZN7rocprim17ROCPRIM_400000_NS6detail17trampoline_kernelINS0_14default_configENS1_38merge_sort_block_merge_config_selectorIlNS0_10empty_typeEEEZZNS1_27merge_sort_block_merge_implIS3_PlPS5_mZN2at6native12_GLOBAL__N_124unique_dim_cuda_templateIhEESt5tupleIJNSA_6TensorESF_SF_EERKSF_lbbbEUlllE_EE10hipError_tT0_T1_T2_jT3_P12ihipStream_tbPNSt15iterator_traitsISL_E10value_typeEPNSR_ISM_E10value_typeEPSN_NS1_7vsmem_tEENKUlT_SL_SM_SN_E_clIS8_S8_S9_S9_EESK_S10_SL_SM_SN_EUlS10_E_NS1_11comp_targetILNS1_3genE0ELNS1_11target_archE4294967295ELNS1_3gpuE0ELNS1_3repE0EEENS1_48merge_mergepath_partition_config_static_selectorELNS0_4arch9wavefront6targetE0EEEvSM_.num_named_barrier, 0
	.set _ZN7rocprim17ROCPRIM_400000_NS6detail17trampoline_kernelINS0_14default_configENS1_38merge_sort_block_merge_config_selectorIlNS0_10empty_typeEEEZZNS1_27merge_sort_block_merge_implIS3_PlPS5_mZN2at6native12_GLOBAL__N_124unique_dim_cuda_templateIhEESt5tupleIJNSA_6TensorESF_SF_EERKSF_lbbbEUlllE_EE10hipError_tT0_T1_T2_jT3_P12ihipStream_tbPNSt15iterator_traitsISL_E10value_typeEPNSR_ISM_E10value_typeEPSN_NS1_7vsmem_tEENKUlT_SL_SM_SN_E_clIS8_S8_S9_S9_EESK_S10_SL_SM_SN_EUlS10_E_NS1_11comp_targetILNS1_3genE0ELNS1_11target_archE4294967295ELNS1_3gpuE0ELNS1_3repE0EEENS1_48merge_mergepath_partition_config_static_selectorELNS0_4arch9wavefront6targetE0EEEvSM_.private_seg_size, 0
	.set _ZN7rocprim17ROCPRIM_400000_NS6detail17trampoline_kernelINS0_14default_configENS1_38merge_sort_block_merge_config_selectorIlNS0_10empty_typeEEEZZNS1_27merge_sort_block_merge_implIS3_PlPS5_mZN2at6native12_GLOBAL__N_124unique_dim_cuda_templateIhEESt5tupleIJNSA_6TensorESF_SF_EERKSF_lbbbEUlllE_EE10hipError_tT0_T1_T2_jT3_P12ihipStream_tbPNSt15iterator_traitsISL_E10value_typeEPNSR_ISM_E10value_typeEPSN_NS1_7vsmem_tEENKUlT_SL_SM_SN_E_clIS8_S8_S9_S9_EESK_S10_SL_SM_SN_EUlS10_E_NS1_11comp_targetILNS1_3genE0ELNS1_11target_archE4294967295ELNS1_3gpuE0ELNS1_3repE0EEENS1_48merge_mergepath_partition_config_static_selectorELNS0_4arch9wavefront6targetE0EEEvSM_.uses_vcc, 1
	.set _ZN7rocprim17ROCPRIM_400000_NS6detail17trampoline_kernelINS0_14default_configENS1_38merge_sort_block_merge_config_selectorIlNS0_10empty_typeEEEZZNS1_27merge_sort_block_merge_implIS3_PlPS5_mZN2at6native12_GLOBAL__N_124unique_dim_cuda_templateIhEESt5tupleIJNSA_6TensorESF_SF_EERKSF_lbbbEUlllE_EE10hipError_tT0_T1_T2_jT3_P12ihipStream_tbPNSt15iterator_traitsISL_E10value_typeEPNSR_ISM_E10value_typeEPSN_NS1_7vsmem_tEENKUlT_SL_SM_SN_E_clIS8_S8_S9_S9_EESK_S10_SL_SM_SN_EUlS10_E_NS1_11comp_targetILNS1_3genE0ELNS1_11target_archE4294967295ELNS1_3gpuE0ELNS1_3repE0EEENS1_48merge_mergepath_partition_config_static_selectorELNS0_4arch9wavefront6targetE0EEEvSM_.uses_flat_scratch, 0
	.set _ZN7rocprim17ROCPRIM_400000_NS6detail17trampoline_kernelINS0_14default_configENS1_38merge_sort_block_merge_config_selectorIlNS0_10empty_typeEEEZZNS1_27merge_sort_block_merge_implIS3_PlPS5_mZN2at6native12_GLOBAL__N_124unique_dim_cuda_templateIhEESt5tupleIJNSA_6TensorESF_SF_EERKSF_lbbbEUlllE_EE10hipError_tT0_T1_T2_jT3_P12ihipStream_tbPNSt15iterator_traitsISL_E10value_typeEPNSR_ISM_E10value_typeEPSN_NS1_7vsmem_tEENKUlT_SL_SM_SN_E_clIS8_S8_S9_S9_EESK_S10_SL_SM_SN_EUlS10_E_NS1_11comp_targetILNS1_3genE0ELNS1_11target_archE4294967295ELNS1_3gpuE0ELNS1_3repE0EEENS1_48merge_mergepath_partition_config_static_selectorELNS0_4arch9wavefront6targetE0EEEvSM_.has_dyn_sized_stack, 0
	.set _ZN7rocprim17ROCPRIM_400000_NS6detail17trampoline_kernelINS0_14default_configENS1_38merge_sort_block_merge_config_selectorIlNS0_10empty_typeEEEZZNS1_27merge_sort_block_merge_implIS3_PlPS5_mZN2at6native12_GLOBAL__N_124unique_dim_cuda_templateIhEESt5tupleIJNSA_6TensorESF_SF_EERKSF_lbbbEUlllE_EE10hipError_tT0_T1_T2_jT3_P12ihipStream_tbPNSt15iterator_traitsISL_E10value_typeEPNSR_ISM_E10value_typeEPSN_NS1_7vsmem_tEENKUlT_SL_SM_SN_E_clIS8_S8_S9_S9_EESK_S10_SL_SM_SN_EUlS10_E_NS1_11comp_targetILNS1_3genE0ELNS1_11target_archE4294967295ELNS1_3gpuE0ELNS1_3repE0EEENS1_48merge_mergepath_partition_config_static_selectorELNS0_4arch9wavefront6targetE0EEEvSM_.has_recursion, 0
	.set _ZN7rocprim17ROCPRIM_400000_NS6detail17trampoline_kernelINS0_14default_configENS1_38merge_sort_block_merge_config_selectorIlNS0_10empty_typeEEEZZNS1_27merge_sort_block_merge_implIS3_PlPS5_mZN2at6native12_GLOBAL__N_124unique_dim_cuda_templateIhEESt5tupleIJNSA_6TensorESF_SF_EERKSF_lbbbEUlllE_EE10hipError_tT0_T1_T2_jT3_P12ihipStream_tbPNSt15iterator_traitsISL_E10value_typeEPNSR_ISM_E10value_typeEPSN_NS1_7vsmem_tEENKUlT_SL_SM_SN_E_clIS8_S8_S9_S9_EESK_S10_SL_SM_SN_EUlS10_E_NS1_11comp_targetILNS1_3genE0ELNS1_11target_archE4294967295ELNS1_3gpuE0ELNS1_3repE0EEENS1_48merge_mergepath_partition_config_static_selectorELNS0_4arch9wavefront6targetE0EEEvSM_.has_indirect_call, 0
	.section	.AMDGPU.csdata,"",@progbits
; Kernel info:
; codeLenInByte = 760
; TotalNumSgprs: 20
; NumVgprs: 22
; ScratchSize: 0
; MemoryBound: 0
; FloatMode: 240
; IeeeMode: 1
; LDSByteSize: 0 bytes/workgroup (compile time only)
; SGPRBlocks: 0
; VGPRBlocks: 1
; NumSGPRsForWavesPerEU: 20
; NumVGPRsForWavesPerEU: 22
; NamedBarCnt: 0
; Occupancy: 16
; WaveLimiterHint : 0
; COMPUTE_PGM_RSRC2:SCRATCH_EN: 0
; COMPUTE_PGM_RSRC2:USER_SGPR: 2
; COMPUTE_PGM_RSRC2:TRAP_HANDLER: 0
; COMPUTE_PGM_RSRC2:TGID_X_EN: 1
; COMPUTE_PGM_RSRC2:TGID_Y_EN: 0
; COMPUTE_PGM_RSRC2:TGID_Z_EN: 0
; COMPUTE_PGM_RSRC2:TIDIG_COMP_CNT: 0
	.section	.text._ZN7rocprim17ROCPRIM_400000_NS6detail17trampoline_kernelINS0_14default_configENS1_38merge_sort_block_merge_config_selectorIlNS0_10empty_typeEEEZZNS1_27merge_sort_block_merge_implIS3_PlPS5_mZN2at6native12_GLOBAL__N_124unique_dim_cuda_templateIhEESt5tupleIJNSA_6TensorESF_SF_EERKSF_lbbbEUlllE_EE10hipError_tT0_T1_T2_jT3_P12ihipStream_tbPNSt15iterator_traitsISL_E10value_typeEPNSR_ISM_E10value_typeEPSN_NS1_7vsmem_tEENKUlT_SL_SM_SN_E_clIS8_S8_S9_S9_EESK_S10_SL_SM_SN_EUlS10_E_NS1_11comp_targetILNS1_3genE10ELNS1_11target_archE1201ELNS1_3gpuE5ELNS1_3repE0EEENS1_48merge_mergepath_partition_config_static_selectorELNS0_4arch9wavefront6targetE0EEEvSM_,"axG",@progbits,_ZN7rocprim17ROCPRIM_400000_NS6detail17trampoline_kernelINS0_14default_configENS1_38merge_sort_block_merge_config_selectorIlNS0_10empty_typeEEEZZNS1_27merge_sort_block_merge_implIS3_PlPS5_mZN2at6native12_GLOBAL__N_124unique_dim_cuda_templateIhEESt5tupleIJNSA_6TensorESF_SF_EERKSF_lbbbEUlllE_EE10hipError_tT0_T1_T2_jT3_P12ihipStream_tbPNSt15iterator_traitsISL_E10value_typeEPNSR_ISM_E10value_typeEPSN_NS1_7vsmem_tEENKUlT_SL_SM_SN_E_clIS8_S8_S9_S9_EESK_S10_SL_SM_SN_EUlS10_E_NS1_11comp_targetILNS1_3genE10ELNS1_11target_archE1201ELNS1_3gpuE5ELNS1_3repE0EEENS1_48merge_mergepath_partition_config_static_selectorELNS0_4arch9wavefront6targetE0EEEvSM_,comdat
	.globl	_ZN7rocprim17ROCPRIM_400000_NS6detail17trampoline_kernelINS0_14default_configENS1_38merge_sort_block_merge_config_selectorIlNS0_10empty_typeEEEZZNS1_27merge_sort_block_merge_implIS3_PlPS5_mZN2at6native12_GLOBAL__N_124unique_dim_cuda_templateIhEESt5tupleIJNSA_6TensorESF_SF_EERKSF_lbbbEUlllE_EE10hipError_tT0_T1_T2_jT3_P12ihipStream_tbPNSt15iterator_traitsISL_E10value_typeEPNSR_ISM_E10value_typeEPSN_NS1_7vsmem_tEENKUlT_SL_SM_SN_E_clIS8_S8_S9_S9_EESK_S10_SL_SM_SN_EUlS10_E_NS1_11comp_targetILNS1_3genE10ELNS1_11target_archE1201ELNS1_3gpuE5ELNS1_3repE0EEENS1_48merge_mergepath_partition_config_static_selectorELNS0_4arch9wavefront6targetE0EEEvSM_ ; -- Begin function _ZN7rocprim17ROCPRIM_400000_NS6detail17trampoline_kernelINS0_14default_configENS1_38merge_sort_block_merge_config_selectorIlNS0_10empty_typeEEEZZNS1_27merge_sort_block_merge_implIS3_PlPS5_mZN2at6native12_GLOBAL__N_124unique_dim_cuda_templateIhEESt5tupleIJNSA_6TensorESF_SF_EERKSF_lbbbEUlllE_EE10hipError_tT0_T1_T2_jT3_P12ihipStream_tbPNSt15iterator_traitsISL_E10value_typeEPNSR_ISM_E10value_typeEPSN_NS1_7vsmem_tEENKUlT_SL_SM_SN_E_clIS8_S8_S9_S9_EESK_S10_SL_SM_SN_EUlS10_E_NS1_11comp_targetILNS1_3genE10ELNS1_11target_archE1201ELNS1_3gpuE5ELNS1_3repE0EEENS1_48merge_mergepath_partition_config_static_selectorELNS0_4arch9wavefront6targetE0EEEvSM_
	.p2align	8
	.type	_ZN7rocprim17ROCPRIM_400000_NS6detail17trampoline_kernelINS0_14default_configENS1_38merge_sort_block_merge_config_selectorIlNS0_10empty_typeEEEZZNS1_27merge_sort_block_merge_implIS3_PlPS5_mZN2at6native12_GLOBAL__N_124unique_dim_cuda_templateIhEESt5tupleIJNSA_6TensorESF_SF_EERKSF_lbbbEUlllE_EE10hipError_tT0_T1_T2_jT3_P12ihipStream_tbPNSt15iterator_traitsISL_E10value_typeEPNSR_ISM_E10value_typeEPSN_NS1_7vsmem_tEENKUlT_SL_SM_SN_E_clIS8_S8_S9_S9_EESK_S10_SL_SM_SN_EUlS10_E_NS1_11comp_targetILNS1_3genE10ELNS1_11target_archE1201ELNS1_3gpuE5ELNS1_3repE0EEENS1_48merge_mergepath_partition_config_static_selectorELNS0_4arch9wavefront6targetE0EEEvSM_,@function
_ZN7rocprim17ROCPRIM_400000_NS6detail17trampoline_kernelINS0_14default_configENS1_38merge_sort_block_merge_config_selectorIlNS0_10empty_typeEEEZZNS1_27merge_sort_block_merge_implIS3_PlPS5_mZN2at6native12_GLOBAL__N_124unique_dim_cuda_templateIhEESt5tupleIJNSA_6TensorESF_SF_EERKSF_lbbbEUlllE_EE10hipError_tT0_T1_T2_jT3_P12ihipStream_tbPNSt15iterator_traitsISL_E10value_typeEPNSR_ISM_E10value_typeEPSN_NS1_7vsmem_tEENKUlT_SL_SM_SN_E_clIS8_S8_S9_S9_EESK_S10_SL_SM_SN_EUlS10_E_NS1_11comp_targetILNS1_3genE10ELNS1_11target_archE1201ELNS1_3gpuE5ELNS1_3repE0EEENS1_48merge_mergepath_partition_config_static_selectorELNS0_4arch9wavefront6targetE0EEEvSM_: ; @_ZN7rocprim17ROCPRIM_400000_NS6detail17trampoline_kernelINS0_14default_configENS1_38merge_sort_block_merge_config_selectorIlNS0_10empty_typeEEEZZNS1_27merge_sort_block_merge_implIS3_PlPS5_mZN2at6native12_GLOBAL__N_124unique_dim_cuda_templateIhEESt5tupleIJNSA_6TensorESF_SF_EERKSF_lbbbEUlllE_EE10hipError_tT0_T1_T2_jT3_P12ihipStream_tbPNSt15iterator_traitsISL_E10value_typeEPNSR_ISM_E10value_typeEPSN_NS1_7vsmem_tEENKUlT_SL_SM_SN_E_clIS8_S8_S9_S9_EESK_S10_SL_SM_SN_EUlS10_E_NS1_11comp_targetILNS1_3genE10ELNS1_11target_archE1201ELNS1_3gpuE5ELNS1_3repE0EEENS1_48merge_mergepath_partition_config_static_selectorELNS0_4arch9wavefront6targetE0EEEvSM_
; %bb.0:
	.section	.rodata,"a",@progbits
	.p2align	6, 0x0
	.amdhsa_kernel _ZN7rocprim17ROCPRIM_400000_NS6detail17trampoline_kernelINS0_14default_configENS1_38merge_sort_block_merge_config_selectorIlNS0_10empty_typeEEEZZNS1_27merge_sort_block_merge_implIS3_PlPS5_mZN2at6native12_GLOBAL__N_124unique_dim_cuda_templateIhEESt5tupleIJNSA_6TensorESF_SF_EERKSF_lbbbEUlllE_EE10hipError_tT0_T1_T2_jT3_P12ihipStream_tbPNSt15iterator_traitsISL_E10value_typeEPNSR_ISM_E10value_typeEPSN_NS1_7vsmem_tEENKUlT_SL_SM_SN_E_clIS8_S8_S9_S9_EESK_S10_SL_SM_SN_EUlS10_E_NS1_11comp_targetILNS1_3genE10ELNS1_11target_archE1201ELNS1_3gpuE5ELNS1_3repE0EEENS1_48merge_mergepath_partition_config_static_selectorELNS0_4arch9wavefront6targetE0EEEvSM_
		.amdhsa_group_segment_fixed_size 0
		.amdhsa_private_segment_fixed_size 0
		.amdhsa_kernarg_size 56
		.amdhsa_user_sgpr_count 2
		.amdhsa_user_sgpr_dispatch_ptr 0
		.amdhsa_user_sgpr_queue_ptr 0
		.amdhsa_user_sgpr_kernarg_segment_ptr 1
		.amdhsa_user_sgpr_dispatch_id 0
		.amdhsa_user_sgpr_kernarg_preload_length 0
		.amdhsa_user_sgpr_kernarg_preload_offset 0
		.amdhsa_user_sgpr_private_segment_size 0
		.amdhsa_wavefront_size32 1
		.amdhsa_uses_dynamic_stack 0
		.amdhsa_enable_private_segment 0
		.amdhsa_system_sgpr_workgroup_id_x 1
		.amdhsa_system_sgpr_workgroup_id_y 0
		.amdhsa_system_sgpr_workgroup_id_z 0
		.amdhsa_system_sgpr_workgroup_info 0
		.amdhsa_system_vgpr_workitem_id 0
		.amdhsa_next_free_vgpr 1
		.amdhsa_next_free_sgpr 1
		.amdhsa_named_barrier_count 0
		.amdhsa_reserve_vcc 0
		.amdhsa_float_round_mode_32 0
		.amdhsa_float_round_mode_16_64 0
		.amdhsa_float_denorm_mode_32 3
		.amdhsa_float_denorm_mode_16_64 3
		.amdhsa_fp16_overflow 0
		.amdhsa_memory_ordered 1
		.amdhsa_forward_progress 1
		.amdhsa_inst_pref_size 0
		.amdhsa_round_robin_scheduling 0
		.amdhsa_exception_fp_ieee_invalid_op 0
		.amdhsa_exception_fp_denorm_src 0
		.amdhsa_exception_fp_ieee_div_zero 0
		.amdhsa_exception_fp_ieee_overflow 0
		.amdhsa_exception_fp_ieee_underflow 0
		.amdhsa_exception_fp_ieee_inexact 0
		.amdhsa_exception_int_div_zero 0
	.end_amdhsa_kernel
	.section	.text._ZN7rocprim17ROCPRIM_400000_NS6detail17trampoline_kernelINS0_14default_configENS1_38merge_sort_block_merge_config_selectorIlNS0_10empty_typeEEEZZNS1_27merge_sort_block_merge_implIS3_PlPS5_mZN2at6native12_GLOBAL__N_124unique_dim_cuda_templateIhEESt5tupleIJNSA_6TensorESF_SF_EERKSF_lbbbEUlllE_EE10hipError_tT0_T1_T2_jT3_P12ihipStream_tbPNSt15iterator_traitsISL_E10value_typeEPNSR_ISM_E10value_typeEPSN_NS1_7vsmem_tEENKUlT_SL_SM_SN_E_clIS8_S8_S9_S9_EESK_S10_SL_SM_SN_EUlS10_E_NS1_11comp_targetILNS1_3genE10ELNS1_11target_archE1201ELNS1_3gpuE5ELNS1_3repE0EEENS1_48merge_mergepath_partition_config_static_selectorELNS0_4arch9wavefront6targetE0EEEvSM_,"axG",@progbits,_ZN7rocprim17ROCPRIM_400000_NS6detail17trampoline_kernelINS0_14default_configENS1_38merge_sort_block_merge_config_selectorIlNS0_10empty_typeEEEZZNS1_27merge_sort_block_merge_implIS3_PlPS5_mZN2at6native12_GLOBAL__N_124unique_dim_cuda_templateIhEESt5tupleIJNSA_6TensorESF_SF_EERKSF_lbbbEUlllE_EE10hipError_tT0_T1_T2_jT3_P12ihipStream_tbPNSt15iterator_traitsISL_E10value_typeEPNSR_ISM_E10value_typeEPSN_NS1_7vsmem_tEENKUlT_SL_SM_SN_E_clIS8_S8_S9_S9_EESK_S10_SL_SM_SN_EUlS10_E_NS1_11comp_targetILNS1_3genE10ELNS1_11target_archE1201ELNS1_3gpuE5ELNS1_3repE0EEENS1_48merge_mergepath_partition_config_static_selectorELNS0_4arch9wavefront6targetE0EEEvSM_,comdat
.Lfunc_end19:
	.size	_ZN7rocprim17ROCPRIM_400000_NS6detail17trampoline_kernelINS0_14default_configENS1_38merge_sort_block_merge_config_selectorIlNS0_10empty_typeEEEZZNS1_27merge_sort_block_merge_implIS3_PlPS5_mZN2at6native12_GLOBAL__N_124unique_dim_cuda_templateIhEESt5tupleIJNSA_6TensorESF_SF_EERKSF_lbbbEUlllE_EE10hipError_tT0_T1_T2_jT3_P12ihipStream_tbPNSt15iterator_traitsISL_E10value_typeEPNSR_ISM_E10value_typeEPSN_NS1_7vsmem_tEENKUlT_SL_SM_SN_E_clIS8_S8_S9_S9_EESK_S10_SL_SM_SN_EUlS10_E_NS1_11comp_targetILNS1_3genE10ELNS1_11target_archE1201ELNS1_3gpuE5ELNS1_3repE0EEENS1_48merge_mergepath_partition_config_static_selectorELNS0_4arch9wavefront6targetE0EEEvSM_, .Lfunc_end19-_ZN7rocprim17ROCPRIM_400000_NS6detail17trampoline_kernelINS0_14default_configENS1_38merge_sort_block_merge_config_selectorIlNS0_10empty_typeEEEZZNS1_27merge_sort_block_merge_implIS3_PlPS5_mZN2at6native12_GLOBAL__N_124unique_dim_cuda_templateIhEESt5tupleIJNSA_6TensorESF_SF_EERKSF_lbbbEUlllE_EE10hipError_tT0_T1_T2_jT3_P12ihipStream_tbPNSt15iterator_traitsISL_E10value_typeEPNSR_ISM_E10value_typeEPSN_NS1_7vsmem_tEENKUlT_SL_SM_SN_E_clIS8_S8_S9_S9_EESK_S10_SL_SM_SN_EUlS10_E_NS1_11comp_targetILNS1_3genE10ELNS1_11target_archE1201ELNS1_3gpuE5ELNS1_3repE0EEENS1_48merge_mergepath_partition_config_static_selectorELNS0_4arch9wavefront6targetE0EEEvSM_
                                        ; -- End function
	.set _ZN7rocprim17ROCPRIM_400000_NS6detail17trampoline_kernelINS0_14default_configENS1_38merge_sort_block_merge_config_selectorIlNS0_10empty_typeEEEZZNS1_27merge_sort_block_merge_implIS3_PlPS5_mZN2at6native12_GLOBAL__N_124unique_dim_cuda_templateIhEESt5tupleIJNSA_6TensorESF_SF_EERKSF_lbbbEUlllE_EE10hipError_tT0_T1_T2_jT3_P12ihipStream_tbPNSt15iterator_traitsISL_E10value_typeEPNSR_ISM_E10value_typeEPSN_NS1_7vsmem_tEENKUlT_SL_SM_SN_E_clIS8_S8_S9_S9_EESK_S10_SL_SM_SN_EUlS10_E_NS1_11comp_targetILNS1_3genE10ELNS1_11target_archE1201ELNS1_3gpuE5ELNS1_3repE0EEENS1_48merge_mergepath_partition_config_static_selectorELNS0_4arch9wavefront6targetE0EEEvSM_.num_vgpr, 0
	.set _ZN7rocprim17ROCPRIM_400000_NS6detail17trampoline_kernelINS0_14default_configENS1_38merge_sort_block_merge_config_selectorIlNS0_10empty_typeEEEZZNS1_27merge_sort_block_merge_implIS3_PlPS5_mZN2at6native12_GLOBAL__N_124unique_dim_cuda_templateIhEESt5tupleIJNSA_6TensorESF_SF_EERKSF_lbbbEUlllE_EE10hipError_tT0_T1_T2_jT3_P12ihipStream_tbPNSt15iterator_traitsISL_E10value_typeEPNSR_ISM_E10value_typeEPSN_NS1_7vsmem_tEENKUlT_SL_SM_SN_E_clIS8_S8_S9_S9_EESK_S10_SL_SM_SN_EUlS10_E_NS1_11comp_targetILNS1_3genE10ELNS1_11target_archE1201ELNS1_3gpuE5ELNS1_3repE0EEENS1_48merge_mergepath_partition_config_static_selectorELNS0_4arch9wavefront6targetE0EEEvSM_.num_agpr, 0
	.set _ZN7rocprim17ROCPRIM_400000_NS6detail17trampoline_kernelINS0_14default_configENS1_38merge_sort_block_merge_config_selectorIlNS0_10empty_typeEEEZZNS1_27merge_sort_block_merge_implIS3_PlPS5_mZN2at6native12_GLOBAL__N_124unique_dim_cuda_templateIhEESt5tupleIJNSA_6TensorESF_SF_EERKSF_lbbbEUlllE_EE10hipError_tT0_T1_T2_jT3_P12ihipStream_tbPNSt15iterator_traitsISL_E10value_typeEPNSR_ISM_E10value_typeEPSN_NS1_7vsmem_tEENKUlT_SL_SM_SN_E_clIS8_S8_S9_S9_EESK_S10_SL_SM_SN_EUlS10_E_NS1_11comp_targetILNS1_3genE10ELNS1_11target_archE1201ELNS1_3gpuE5ELNS1_3repE0EEENS1_48merge_mergepath_partition_config_static_selectorELNS0_4arch9wavefront6targetE0EEEvSM_.numbered_sgpr, 0
	.set _ZN7rocprim17ROCPRIM_400000_NS6detail17trampoline_kernelINS0_14default_configENS1_38merge_sort_block_merge_config_selectorIlNS0_10empty_typeEEEZZNS1_27merge_sort_block_merge_implIS3_PlPS5_mZN2at6native12_GLOBAL__N_124unique_dim_cuda_templateIhEESt5tupleIJNSA_6TensorESF_SF_EERKSF_lbbbEUlllE_EE10hipError_tT0_T1_T2_jT3_P12ihipStream_tbPNSt15iterator_traitsISL_E10value_typeEPNSR_ISM_E10value_typeEPSN_NS1_7vsmem_tEENKUlT_SL_SM_SN_E_clIS8_S8_S9_S9_EESK_S10_SL_SM_SN_EUlS10_E_NS1_11comp_targetILNS1_3genE10ELNS1_11target_archE1201ELNS1_3gpuE5ELNS1_3repE0EEENS1_48merge_mergepath_partition_config_static_selectorELNS0_4arch9wavefront6targetE0EEEvSM_.num_named_barrier, 0
	.set _ZN7rocprim17ROCPRIM_400000_NS6detail17trampoline_kernelINS0_14default_configENS1_38merge_sort_block_merge_config_selectorIlNS0_10empty_typeEEEZZNS1_27merge_sort_block_merge_implIS3_PlPS5_mZN2at6native12_GLOBAL__N_124unique_dim_cuda_templateIhEESt5tupleIJNSA_6TensorESF_SF_EERKSF_lbbbEUlllE_EE10hipError_tT0_T1_T2_jT3_P12ihipStream_tbPNSt15iterator_traitsISL_E10value_typeEPNSR_ISM_E10value_typeEPSN_NS1_7vsmem_tEENKUlT_SL_SM_SN_E_clIS8_S8_S9_S9_EESK_S10_SL_SM_SN_EUlS10_E_NS1_11comp_targetILNS1_3genE10ELNS1_11target_archE1201ELNS1_3gpuE5ELNS1_3repE0EEENS1_48merge_mergepath_partition_config_static_selectorELNS0_4arch9wavefront6targetE0EEEvSM_.private_seg_size, 0
	.set _ZN7rocprim17ROCPRIM_400000_NS6detail17trampoline_kernelINS0_14default_configENS1_38merge_sort_block_merge_config_selectorIlNS0_10empty_typeEEEZZNS1_27merge_sort_block_merge_implIS3_PlPS5_mZN2at6native12_GLOBAL__N_124unique_dim_cuda_templateIhEESt5tupleIJNSA_6TensorESF_SF_EERKSF_lbbbEUlllE_EE10hipError_tT0_T1_T2_jT3_P12ihipStream_tbPNSt15iterator_traitsISL_E10value_typeEPNSR_ISM_E10value_typeEPSN_NS1_7vsmem_tEENKUlT_SL_SM_SN_E_clIS8_S8_S9_S9_EESK_S10_SL_SM_SN_EUlS10_E_NS1_11comp_targetILNS1_3genE10ELNS1_11target_archE1201ELNS1_3gpuE5ELNS1_3repE0EEENS1_48merge_mergepath_partition_config_static_selectorELNS0_4arch9wavefront6targetE0EEEvSM_.uses_vcc, 0
	.set _ZN7rocprim17ROCPRIM_400000_NS6detail17trampoline_kernelINS0_14default_configENS1_38merge_sort_block_merge_config_selectorIlNS0_10empty_typeEEEZZNS1_27merge_sort_block_merge_implIS3_PlPS5_mZN2at6native12_GLOBAL__N_124unique_dim_cuda_templateIhEESt5tupleIJNSA_6TensorESF_SF_EERKSF_lbbbEUlllE_EE10hipError_tT0_T1_T2_jT3_P12ihipStream_tbPNSt15iterator_traitsISL_E10value_typeEPNSR_ISM_E10value_typeEPSN_NS1_7vsmem_tEENKUlT_SL_SM_SN_E_clIS8_S8_S9_S9_EESK_S10_SL_SM_SN_EUlS10_E_NS1_11comp_targetILNS1_3genE10ELNS1_11target_archE1201ELNS1_3gpuE5ELNS1_3repE0EEENS1_48merge_mergepath_partition_config_static_selectorELNS0_4arch9wavefront6targetE0EEEvSM_.uses_flat_scratch, 0
	.set _ZN7rocprim17ROCPRIM_400000_NS6detail17trampoline_kernelINS0_14default_configENS1_38merge_sort_block_merge_config_selectorIlNS0_10empty_typeEEEZZNS1_27merge_sort_block_merge_implIS3_PlPS5_mZN2at6native12_GLOBAL__N_124unique_dim_cuda_templateIhEESt5tupleIJNSA_6TensorESF_SF_EERKSF_lbbbEUlllE_EE10hipError_tT0_T1_T2_jT3_P12ihipStream_tbPNSt15iterator_traitsISL_E10value_typeEPNSR_ISM_E10value_typeEPSN_NS1_7vsmem_tEENKUlT_SL_SM_SN_E_clIS8_S8_S9_S9_EESK_S10_SL_SM_SN_EUlS10_E_NS1_11comp_targetILNS1_3genE10ELNS1_11target_archE1201ELNS1_3gpuE5ELNS1_3repE0EEENS1_48merge_mergepath_partition_config_static_selectorELNS0_4arch9wavefront6targetE0EEEvSM_.has_dyn_sized_stack, 0
	.set _ZN7rocprim17ROCPRIM_400000_NS6detail17trampoline_kernelINS0_14default_configENS1_38merge_sort_block_merge_config_selectorIlNS0_10empty_typeEEEZZNS1_27merge_sort_block_merge_implIS3_PlPS5_mZN2at6native12_GLOBAL__N_124unique_dim_cuda_templateIhEESt5tupleIJNSA_6TensorESF_SF_EERKSF_lbbbEUlllE_EE10hipError_tT0_T1_T2_jT3_P12ihipStream_tbPNSt15iterator_traitsISL_E10value_typeEPNSR_ISM_E10value_typeEPSN_NS1_7vsmem_tEENKUlT_SL_SM_SN_E_clIS8_S8_S9_S9_EESK_S10_SL_SM_SN_EUlS10_E_NS1_11comp_targetILNS1_3genE10ELNS1_11target_archE1201ELNS1_3gpuE5ELNS1_3repE0EEENS1_48merge_mergepath_partition_config_static_selectorELNS0_4arch9wavefront6targetE0EEEvSM_.has_recursion, 0
	.set _ZN7rocprim17ROCPRIM_400000_NS6detail17trampoline_kernelINS0_14default_configENS1_38merge_sort_block_merge_config_selectorIlNS0_10empty_typeEEEZZNS1_27merge_sort_block_merge_implIS3_PlPS5_mZN2at6native12_GLOBAL__N_124unique_dim_cuda_templateIhEESt5tupleIJNSA_6TensorESF_SF_EERKSF_lbbbEUlllE_EE10hipError_tT0_T1_T2_jT3_P12ihipStream_tbPNSt15iterator_traitsISL_E10value_typeEPNSR_ISM_E10value_typeEPSN_NS1_7vsmem_tEENKUlT_SL_SM_SN_E_clIS8_S8_S9_S9_EESK_S10_SL_SM_SN_EUlS10_E_NS1_11comp_targetILNS1_3genE10ELNS1_11target_archE1201ELNS1_3gpuE5ELNS1_3repE0EEENS1_48merge_mergepath_partition_config_static_selectorELNS0_4arch9wavefront6targetE0EEEvSM_.has_indirect_call, 0
	.section	.AMDGPU.csdata,"",@progbits
; Kernel info:
; codeLenInByte = 0
; TotalNumSgprs: 0
; NumVgprs: 0
; ScratchSize: 0
; MemoryBound: 0
; FloatMode: 240
; IeeeMode: 1
; LDSByteSize: 0 bytes/workgroup (compile time only)
; SGPRBlocks: 0
; VGPRBlocks: 0
; NumSGPRsForWavesPerEU: 1
; NumVGPRsForWavesPerEU: 1
; NamedBarCnt: 0
; Occupancy: 16
; WaveLimiterHint : 0
; COMPUTE_PGM_RSRC2:SCRATCH_EN: 0
; COMPUTE_PGM_RSRC2:USER_SGPR: 2
; COMPUTE_PGM_RSRC2:TRAP_HANDLER: 0
; COMPUTE_PGM_RSRC2:TGID_X_EN: 1
; COMPUTE_PGM_RSRC2:TGID_Y_EN: 0
; COMPUTE_PGM_RSRC2:TGID_Z_EN: 0
; COMPUTE_PGM_RSRC2:TIDIG_COMP_CNT: 0
	.section	.text._ZN7rocprim17ROCPRIM_400000_NS6detail17trampoline_kernelINS0_14default_configENS1_38merge_sort_block_merge_config_selectorIlNS0_10empty_typeEEEZZNS1_27merge_sort_block_merge_implIS3_PlPS5_mZN2at6native12_GLOBAL__N_124unique_dim_cuda_templateIhEESt5tupleIJNSA_6TensorESF_SF_EERKSF_lbbbEUlllE_EE10hipError_tT0_T1_T2_jT3_P12ihipStream_tbPNSt15iterator_traitsISL_E10value_typeEPNSR_ISM_E10value_typeEPSN_NS1_7vsmem_tEENKUlT_SL_SM_SN_E_clIS8_S8_S9_S9_EESK_S10_SL_SM_SN_EUlS10_E_NS1_11comp_targetILNS1_3genE5ELNS1_11target_archE942ELNS1_3gpuE9ELNS1_3repE0EEENS1_48merge_mergepath_partition_config_static_selectorELNS0_4arch9wavefront6targetE0EEEvSM_,"axG",@progbits,_ZN7rocprim17ROCPRIM_400000_NS6detail17trampoline_kernelINS0_14default_configENS1_38merge_sort_block_merge_config_selectorIlNS0_10empty_typeEEEZZNS1_27merge_sort_block_merge_implIS3_PlPS5_mZN2at6native12_GLOBAL__N_124unique_dim_cuda_templateIhEESt5tupleIJNSA_6TensorESF_SF_EERKSF_lbbbEUlllE_EE10hipError_tT0_T1_T2_jT3_P12ihipStream_tbPNSt15iterator_traitsISL_E10value_typeEPNSR_ISM_E10value_typeEPSN_NS1_7vsmem_tEENKUlT_SL_SM_SN_E_clIS8_S8_S9_S9_EESK_S10_SL_SM_SN_EUlS10_E_NS1_11comp_targetILNS1_3genE5ELNS1_11target_archE942ELNS1_3gpuE9ELNS1_3repE0EEENS1_48merge_mergepath_partition_config_static_selectorELNS0_4arch9wavefront6targetE0EEEvSM_,comdat
	.globl	_ZN7rocprim17ROCPRIM_400000_NS6detail17trampoline_kernelINS0_14default_configENS1_38merge_sort_block_merge_config_selectorIlNS0_10empty_typeEEEZZNS1_27merge_sort_block_merge_implIS3_PlPS5_mZN2at6native12_GLOBAL__N_124unique_dim_cuda_templateIhEESt5tupleIJNSA_6TensorESF_SF_EERKSF_lbbbEUlllE_EE10hipError_tT0_T1_T2_jT3_P12ihipStream_tbPNSt15iterator_traitsISL_E10value_typeEPNSR_ISM_E10value_typeEPSN_NS1_7vsmem_tEENKUlT_SL_SM_SN_E_clIS8_S8_S9_S9_EESK_S10_SL_SM_SN_EUlS10_E_NS1_11comp_targetILNS1_3genE5ELNS1_11target_archE942ELNS1_3gpuE9ELNS1_3repE0EEENS1_48merge_mergepath_partition_config_static_selectorELNS0_4arch9wavefront6targetE0EEEvSM_ ; -- Begin function _ZN7rocprim17ROCPRIM_400000_NS6detail17trampoline_kernelINS0_14default_configENS1_38merge_sort_block_merge_config_selectorIlNS0_10empty_typeEEEZZNS1_27merge_sort_block_merge_implIS3_PlPS5_mZN2at6native12_GLOBAL__N_124unique_dim_cuda_templateIhEESt5tupleIJNSA_6TensorESF_SF_EERKSF_lbbbEUlllE_EE10hipError_tT0_T1_T2_jT3_P12ihipStream_tbPNSt15iterator_traitsISL_E10value_typeEPNSR_ISM_E10value_typeEPSN_NS1_7vsmem_tEENKUlT_SL_SM_SN_E_clIS8_S8_S9_S9_EESK_S10_SL_SM_SN_EUlS10_E_NS1_11comp_targetILNS1_3genE5ELNS1_11target_archE942ELNS1_3gpuE9ELNS1_3repE0EEENS1_48merge_mergepath_partition_config_static_selectorELNS0_4arch9wavefront6targetE0EEEvSM_
	.p2align	8
	.type	_ZN7rocprim17ROCPRIM_400000_NS6detail17trampoline_kernelINS0_14default_configENS1_38merge_sort_block_merge_config_selectorIlNS0_10empty_typeEEEZZNS1_27merge_sort_block_merge_implIS3_PlPS5_mZN2at6native12_GLOBAL__N_124unique_dim_cuda_templateIhEESt5tupleIJNSA_6TensorESF_SF_EERKSF_lbbbEUlllE_EE10hipError_tT0_T1_T2_jT3_P12ihipStream_tbPNSt15iterator_traitsISL_E10value_typeEPNSR_ISM_E10value_typeEPSN_NS1_7vsmem_tEENKUlT_SL_SM_SN_E_clIS8_S8_S9_S9_EESK_S10_SL_SM_SN_EUlS10_E_NS1_11comp_targetILNS1_3genE5ELNS1_11target_archE942ELNS1_3gpuE9ELNS1_3repE0EEENS1_48merge_mergepath_partition_config_static_selectorELNS0_4arch9wavefront6targetE0EEEvSM_,@function
_ZN7rocprim17ROCPRIM_400000_NS6detail17trampoline_kernelINS0_14default_configENS1_38merge_sort_block_merge_config_selectorIlNS0_10empty_typeEEEZZNS1_27merge_sort_block_merge_implIS3_PlPS5_mZN2at6native12_GLOBAL__N_124unique_dim_cuda_templateIhEESt5tupleIJNSA_6TensorESF_SF_EERKSF_lbbbEUlllE_EE10hipError_tT0_T1_T2_jT3_P12ihipStream_tbPNSt15iterator_traitsISL_E10value_typeEPNSR_ISM_E10value_typeEPSN_NS1_7vsmem_tEENKUlT_SL_SM_SN_E_clIS8_S8_S9_S9_EESK_S10_SL_SM_SN_EUlS10_E_NS1_11comp_targetILNS1_3genE5ELNS1_11target_archE942ELNS1_3gpuE9ELNS1_3repE0EEENS1_48merge_mergepath_partition_config_static_selectorELNS0_4arch9wavefront6targetE0EEEvSM_: ; @_ZN7rocprim17ROCPRIM_400000_NS6detail17trampoline_kernelINS0_14default_configENS1_38merge_sort_block_merge_config_selectorIlNS0_10empty_typeEEEZZNS1_27merge_sort_block_merge_implIS3_PlPS5_mZN2at6native12_GLOBAL__N_124unique_dim_cuda_templateIhEESt5tupleIJNSA_6TensorESF_SF_EERKSF_lbbbEUlllE_EE10hipError_tT0_T1_T2_jT3_P12ihipStream_tbPNSt15iterator_traitsISL_E10value_typeEPNSR_ISM_E10value_typeEPSN_NS1_7vsmem_tEENKUlT_SL_SM_SN_E_clIS8_S8_S9_S9_EESK_S10_SL_SM_SN_EUlS10_E_NS1_11comp_targetILNS1_3genE5ELNS1_11target_archE942ELNS1_3gpuE9ELNS1_3repE0EEENS1_48merge_mergepath_partition_config_static_selectorELNS0_4arch9wavefront6targetE0EEEvSM_
; %bb.0:
	.section	.rodata,"a",@progbits
	.p2align	6, 0x0
	.amdhsa_kernel _ZN7rocprim17ROCPRIM_400000_NS6detail17trampoline_kernelINS0_14default_configENS1_38merge_sort_block_merge_config_selectorIlNS0_10empty_typeEEEZZNS1_27merge_sort_block_merge_implIS3_PlPS5_mZN2at6native12_GLOBAL__N_124unique_dim_cuda_templateIhEESt5tupleIJNSA_6TensorESF_SF_EERKSF_lbbbEUlllE_EE10hipError_tT0_T1_T2_jT3_P12ihipStream_tbPNSt15iterator_traitsISL_E10value_typeEPNSR_ISM_E10value_typeEPSN_NS1_7vsmem_tEENKUlT_SL_SM_SN_E_clIS8_S8_S9_S9_EESK_S10_SL_SM_SN_EUlS10_E_NS1_11comp_targetILNS1_3genE5ELNS1_11target_archE942ELNS1_3gpuE9ELNS1_3repE0EEENS1_48merge_mergepath_partition_config_static_selectorELNS0_4arch9wavefront6targetE0EEEvSM_
		.amdhsa_group_segment_fixed_size 0
		.amdhsa_private_segment_fixed_size 0
		.amdhsa_kernarg_size 56
		.amdhsa_user_sgpr_count 2
		.amdhsa_user_sgpr_dispatch_ptr 0
		.amdhsa_user_sgpr_queue_ptr 0
		.amdhsa_user_sgpr_kernarg_segment_ptr 1
		.amdhsa_user_sgpr_dispatch_id 0
		.amdhsa_user_sgpr_kernarg_preload_length 0
		.amdhsa_user_sgpr_kernarg_preload_offset 0
		.amdhsa_user_sgpr_private_segment_size 0
		.amdhsa_wavefront_size32 1
		.amdhsa_uses_dynamic_stack 0
		.amdhsa_enable_private_segment 0
		.amdhsa_system_sgpr_workgroup_id_x 1
		.amdhsa_system_sgpr_workgroup_id_y 0
		.amdhsa_system_sgpr_workgroup_id_z 0
		.amdhsa_system_sgpr_workgroup_info 0
		.amdhsa_system_vgpr_workitem_id 0
		.amdhsa_next_free_vgpr 1
		.amdhsa_next_free_sgpr 1
		.amdhsa_named_barrier_count 0
		.amdhsa_reserve_vcc 0
		.amdhsa_float_round_mode_32 0
		.amdhsa_float_round_mode_16_64 0
		.amdhsa_float_denorm_mode_32 3
		.amdhsa_float_denorm_mode_16_64 3
		.amdhsa_fp16_overflow 0
		.amdhsa_memory_ordered 1
		.amdhsa_forward_progress 1
		.amdhsa_inst_pref_size 0
		.amdhsa_round_robin_scheduling 0
		.amdhsa_exception_fp_ieee_invalid_op 0
		.amdhsa_exception_fp_denorm_src 0
		.amdhsa_exception_fp_ieee_div_zero 0
		.amdhsa_exception_fp_ieee_overflow 0
		.amdhsa_exception_fp_ieee_underflow 0
		.amdhsa_exception_fp_ieee_inexact 0
		.amdhsa_exception_int_div_zero 0
	.end_amdhsa_kernel
	.section	.text._ZN7rocprim17ROCPRIM_400000_NS6detail17trampoline_kernelINS0_14default_configENS1_38merge_sort_block_merge_config_selectorIlNS0_10empty_typeEEEZZNS1_27merge_sort_block_merge_implIS3_PlPS5_mZN2at6native12_GLOBAL__N_124unique_dim_cuda_templateIhEESt5tupleIJNSA_6TensorESF_SF_EERKSF_lbbbEUlllE_EE10hipError_tT0_T1_T2_jT3_P12ihipStream_tbPNSt15iterator_traitsISL_E10value_typeEPNSR_ISM_E10value_typeEPSN_NS1_7vsmem_tEENKUlT_SL_SM_SN_E_clIS8_S8_S9_S9_EESK_S10_SL_SM_SN_EUlS10_E_NS1_11comp_targetILNS1_3genE5ELNS1_11target_archE942ELNS1_3gpuE9ELNS1_3repE0EEENS1_48merge_mergepath_partition_config_static_selectorELNS0_4arch9wavefront6targetE0EEEvSM_,"axG",@progbits,_ZN7rocprim17ROCPRIM_400000_NS6detail17trampoline_kernelINS0_14default_configENS1_38merge_sort_block_merge_config_selectorIlNS0_10empty_typeEEEZZNS1_27merge_sort_block_merge_implIS3_PlPS5_mZN2at6native12_GLOBAL__N_124unique_dim_cuda_templateIhEESt5tupleIJNSA_6TensorESF_SF_EERKSF_lbbbEUlllE_EE10hipError_tT0_T1_T2_jT3_P12ihipStream_tbPNSt15iterator_traitsISL_E10value_typeEPNSR_ISM_E10value_typeEPSN_NS1_7vsmem_tEENKUlT_SL_SM_SN_E_clIS8_S8_S9_S9_EESK_S10_SL_SM_SN_EUlS10_E_NS1_11comp_targetILNS1_3genE5ELNS1_11target_archE942ELNS1_3gpuE9ELNS1_3repE0EEENS1_48merge_mergepath_partition_config_static_selectorELNS0_4arch9wavefront6targetE0EEEvSM_,comdat
.Lfunc_end20:
	.size	_ZN7rocprim17ROCPRIM_400000_NS6detail17trampoline_kernelINS0_14default_configENS1_38merge_sort_block_merge_config_selectorIlNS0_10empty_typeEEEZZNS1_27merge_sort_block_merge_implIS3_PlPS5_mZN2at6native12_GLOBAL__N_124unique_dim_cuda_templateIhEESt5tupleIJNSA_6TensorESF_SF_EERKSF_lbbbEUlllE_EE10hipError_tT0_T1_T2_jT3_P12ihipStream_tbPNSt15iterator_traitsISL_E10value_typeEPNSR_ISM_E10value_typeEPSN_NS1_7vsmem_tEENKUlT_SL_SM_SN_E_clIS8_S8_S9_S9_EESK_S10_SL_SM_SN_EUlS10_E_NS1_11comp_targetILNS1_3genE5ELNS1_11target_archE942ELNS1_3gpuE9ELNS1_3repE0EEENS1_48merge_mergepath_partition_config_static_selectorELNS0_4arch9wavefront6targetE0EEEvSM_, .Lfunc_end20-_ZN7rocprim17ROCPRIM_400000_NS6detail17trampoline_kernelINS0_14default_configENS1_38merge_sort_block_merge_config_selectorIlNS0_10empty_typeEEEZZNS1_27merge_sort_block_merge_implIS3_PlPS5_mZN2at6native12_GLOBAL__N_124unique_dim_cuda_templateIhEESt5tupleIJNSA_6TensorESF_SF_EERKSF_lbbbEUlllE_EE10hipError_tT0_T1_T2_jT3_P12ihipStream_tbPNSt15iterator_traitsISL_E10value_typeEPNSR_ISM_E10value_typeEPSN_NS1_7vsmem_tEENKUlT_SL_SM_SN_E_clIS8_S8_S9_S9_EESK_S10_SL_SM_SN_EUlS10_E_NS1_11comp_targetILNS1_3genE5ELNS1_11target_archE942ELNS1_3gpuE9ELNS1_3repE0EEENS1_48merge_mergepath_partition_config_static_selectorELNS0_4arch9wavefront6targetE0EEEvSM_
                                        ; -- End function
	.set _ZN7rocprim17ROCPRIM_400000_NS6detail17trampoline_kernelINS0_14default_configENS1_38merge_sort_block_merge_config_selectorIlNS0_10empty_typeEEEZZNS1_27merge_sort_block_merge_implIS3_PlPS5_mZN2at6native12_GLOBAL__N_124unique_dim_cuda_templateIhEESt5tupleIJNSA_6TensorESF_SF_EERKSF_lbbbEUlllE_EE10hipError_tT0_T1_T2_jT3_P12ihipStream_tbPNSt15iterator_traitsISL_E10value_typeEPNSR_ISM_E10value_typeEPSN_NS1_7vsmem_tEENKUlT_SL_SM_SN_E_clIS8_S8_S9_S9_EESK_S10_SL_SM_SN_EUlS10_E_NS1_11comp_targetILNS1_3genE5ELNS1_11target_archE942ELNS1_3gpuE9ELNS1_3repE0EEENS1_48merge_mergepath_partition_config_static_selectorELNS0_4arch9wavefront6targetE0EEEvSM_.num_vgpr, 0
	.set _ZN7rocprim17ROCPRIM_400000_NS6detail17trampoline_kernelINS0_14default_configENS1_38merge_sort_block_merge_config_selectorIlNS0_10empty_typeEEEZZNS1_27merge_sort_block_merge_implIS3_PlPS5_mZN2at6native12_GLOBAL__N_124unique_dim_cuda_templateIhEESt5tupleIJNSA_6TensorESF_SF_EERKSF_lbbbEUlllE_EE10hipError_tT0_T1_T2_jT3_P12ihipStream_tbPNSt15iterator_traitsISL_E10value_typeEPNSR_ISM_E10value_typeEPSN_NS1_7vsmem_tEENKUlT_SL_SM_SN_E_clIS8_S8_S9_S9_EESK_S10_SL_SM_SN_EUlS10_E_NS1_11comp_targetILNS1_3genE5ELNS1_11target_archE942ELNS1_3gpuE9ELNS1_3repE0EEENS1_48merge_mergepath_partition_config_static_selectorELNS0_4arch9wavefront6targetE0EEEvSM_.num_agpr, 0
	.set _ZN7rocprim17ROCPRIM_400000_NS6detail17trampoline_kernelINS0_14default_configENS1_38merge_sort_block_merge_config_selectorIlNS0_10empty_typeEEEZZNS1_27merge_sort_block_merge_implIS3_PlPS5_mZN2at6native12_GLOBAL__N_124unique_dim_cuda_templateIhEESt5tupleIJNSA_6TensorESF_SF_EERKSF_lbbbEUlllE_EE10hipError_tT0_T1_T2_jT3_P12ihipStream_tbPNSt15iterator_traitsISL_E10value_typeEPNSR_ISM_E10value_typeEPSN_NS1_7vsmem_tEENKUlT_SL_SM_SN_E_clIS8_S8_S9_S9_EESK_S10_SL_SM_SN_EUlS10_E_NS1_11comp_targetILNS1_3genE5ELNS1_11target_archE942ELNS1_3gpuE9ELNS1_3repE0EEENS1_48merge_mergepath_partition_config_static_selectorELNS0_4arch9wavefront6targetE0EEEvSM_.numbered_sgpr, 0
	.set _ZN7rocprim17ROCPRIM_400000_NS6detail17trampoline_kernelINS0_14default_configENS1_38merge_sort_block_merge_config_selectorIlNS0_10empty_typeEEEZZNS1_27merge_sort_block_merge_implIS3_PlPS5_mZN2at6native12_GLOBAL__N_124unique_dim_cuda_templateIhEESt5tupleIJNSA_6TensorESF_SF_EERKSF_lbbbEUlllE_EE10hipError_tT0_T1_T2_jT3_P12ihipStream_tbPNSt15iterator_traitsISL_E10value_typeEPNSR_ISM_E10value_typeEPSN_NS1_7vsmem_tEENKUlT_SL_SM_SN_E_clIS8_S8_S9_S9_EESK_S10_SL_SM_SN_EUlS10_E_NS1_11comp_targetILNS1_3genE5ELNS1_11target_archE942ELNS1_3gpuE9ELNS1_3repE0EEENS1_48merge_mergepath_partition_config_static_selectorELNS0_4arch9wavefront6targetE0EEEvSM_.num_named_barrier, 0
	.set _ZN7rocprim17ROCPRIM_400000_NS6detail17trampoline_kernelINS0_14default_configENS1_38merge_sort_block_merge_config_selectorIlNS0_10empty_typeEEEZZNS1_27merge_sort_block_merge_implIS3_PlPS5_mZN2at6native12_GLOBAL__N_124unique_dim_cuda_templateIhEESt5tupleIJNSA_6TensorESF_SF_EERKSF_lbbbEUlllE_EE10hipError_tT0_T1_T2_jT3_P12ihipStream_tbPNSt15iterator_traitsISL_E10value_typeEPNSR_ISM_E10value_typeEPSN_NS1_7vsmem_tEENKUlT_SL_SM_SN_E_clIS8_S8_S9_S9_EESK_S10_SL_SM_SN_EUlS10_E_NS1_11comp_targetILNS1_3genE5ELNS1_11target_archE942ELNS1_3gpuE9ELNS1_3repE0EEENS1_48merge_mergepath_partition_config_static_selectorELNS0_4arch9wavefront6targetE0EEEvSM_.private_seg_size, 0
	.set _ZN7rocprim17ROCPRIM_400000_NS6detail17trampoline_kernelINS0_14default_configENS1_38merge_sort_block_merge_config_selectorIlNS0_10empty_typeEEEZZNS1_27merge_sort_block_merge_implIS3_PlPS5_mZN2at6native12_GLOBAL__N_124unique_dim_cuda_templateIhEESt5tupleIJNSA_6TensorESF_SF_EERKSF_lbbbEUlllE_EE10hipError_tT0_T1_T2_jT3_P12ihipStream_tbPNSt15iterator_traitsISL_E10value_typeEPNSR_ISM_E10value_typeEPSN_NS1_7vsmem_tEENKUlT_SL_SM_SN_E_clIS8_S8_S9_S9_EESK_S10_SL_SM_SN_EUlS10_E_NS1_11comp_targetILNS1_3genE5ELNS1_11target_archE942ELNS1_3gpuE9ELNS1_3repE0EEENS1_48merge_mergepath_partition_config_static_selectorELNS0_4arch9wavefront6targetE0EEEvSM_.uses_vcc, 0
	.set _ZN7rocprim17ROCPRIM_400000_NS6detail17trampoline_kernelINS0_14default_configENS1_38merge_sort_block_merge_config_selectorIlNS0_10empty_typeEEEZZNS1_27merge_sort_block_merge_implIS3_PlPS5_mZN2at6native12_GLOBAL__N_124unique_dim_cuda_templateIhEESt5tupleIJNSA_6TensorESF_SF_EERKSF_lbbbEUlllE_EE10hipError_tT0_T1_T2_jT3_P12ihipStream_tbPNSt15iterator_traitsISL_E10value_typeEPNSR_ISM_E10value_typeEPSN_NS1_7vsmem_tEENKUlT_SL_SM_SN_E_clIS8_S8_S9_S9_EESK_S10_SL_SM_SN_EUlS10_E_NS1_11comp_targetILNS1_3genE5ELNS1_11target_archE942ELNS1_3gpuE9ELNS1_3repE0EEENS1_48merge_mergepath_partition_config_static_selectorELNS0_4arch9wavefront6targetE0EEEvSM_.uses_flat_scratch, 0
	.set _ZN7rocprim17ROCPRIM_400000_NS6detail17trampoline_kernelINS0_14default_configENS1_38merge_sort_block_merge_config_selectorIlNS0_10empty_typeEEEZZNS1_27merge_sort_block_merge_implIS3_PlPS5_mZN2at6native12_GLOBAL__N_124unique_dim_cuda_templateIhEESt5tupleIJNSA_6TensorESF_SF_EERKSF_lbbbEUlllE_EE10hipError_tT0_T1_T2_jT3_P12ihipStream_tbPNSt15iterator_traitsISL_E10value_typeEPNSR_ISM_E10value_typeEPSN_NS1_7vsmem_tEENKUlT_SL_SM_SN_E_clIS8_S8_S9_S9_EESK_S10_SL_SM_SN_EUlS10_E_NS1_11comp_targetILNS1_3genE5ELNS1_11target_archE942ELNS1_3gpuE9ELNS1_3repE0EEENS1_48merge_mergepath_partition_config_static_selectorELNS0_4arch9wavefront6targetE0EEEvSM_.has_dyn_sized_stack, 0
	.set _ZN7rocprim17ROCPRIM_400000_NS6detail17trampoline_kernelINS0_14default_configENS1_38merge_sort_block_merge_config_selectorIlNS0_10empty_typeEEEZZNS1_27merge_sort_block_merge_implIS3_PlPS5_mZN2at6native12_GLOBAL__N_124unique_dim_cuda_templateIhEESt5tupleIJNSA_6TensorESF_SF_EERKSF_lbbbEUlllE_EE10hipError_tT0_T1_T2_jT3_P12ihipStream_tbPNSt15iterator_traitsISL_E10value_typeEPNSR_ISM_E10value_typeEPSN_NS1_7vsmem_tEENKUlT_SL_SM_SN_E_clIS8_S8_S9_S9_EESK_S10_SL_SM_SN_EUlS10_E_NS1_11comp_targetILNS1_3genE5ELNS1_11target_archE942ELNS1_3gpuE9ELNS1_3repE0EEENS1_48merge_mergepath_partition_config_static_selectorELNS0_4arch9wavefront6targetE0EEEvSM_.has_recursion, 0
	.set _ZN7rocprim17ROCPRIM_400000_NS6detail17trampoline_kernelINS0_14default_configENS1_38merge_sort_block_merge_config_selectorIlNS0_10empty_typeEEEZZNS1_27merge_sort_block_merge_implIS3_PlPS5_mZN2at6native12_GLOBAL__N_124unique_dim_cuda_templateIhEESt5tupleIJNSA_6TensorESF_SF_EERKSF_lbbbEUlllE_EE10hipError_tT0_T1_T2_jT3_P12ihipStream_tbPNSt15iterator_traitsISL_E10value_typeEPNSR_ISM_E10value_typeEPSN_NS1_7vsmem_tEENKUlT_SL_SM_SN_E_clIS8_S8_S9_S9_EESK_S10_SL_SM_SN_EUlS10_E_NS1_11comp_targetILNS1_3genE5ELNS1_11target_archE942ELNS1_3gpuE9ELNS1_3repE0EEENS1_48merge_mergepath_partition_config_static_selectorELNS0_4arch9wavefront6targetE0EEEvSM_.has_indirect_call, 0
	.section	.AMDGPU.csdata,"",@progbits
; Kernel info:
; codeLenInByte = 0
; TotalNumSgprs: 0
; NumVgprs: 0
; ScratchSize: 0
; MemoryBound: 0
; FloatMode: 240
; IeeeMode: 1
; LDSByteSize: 0 bytes/workgroup (compile time only)
; SGPRBlocks: 0
; VGPRBlocks: 0
; NumSGPRsForWavesPerEU: 1
; NumVGPRsForWavesPerEU: 1
; NamedBarCnt: 0
; Occupancy: 16
; WaveLimiterHint : 0
; COMPUTE_PGM_RSRC2:SCRATCH_EN: 0
; COMPUTE_PGM_RSRC2:USER_SGPR: 2
; COMPUTE_PGM_RSRC2:TRAP_HANDLER: 0
; COMPUTE_PGM_RSRC2:TGID_X_EN: 1
; COMPUTE_PGM_RSRC2:TGID_Y_EN: 0
; COMPUTE_PGM_RSRC2:TGID_Z_EN: 0
; COMPUTE_PGM_RSRC2:TIDIG_COMP_CNT: 0
	.section	.text._ZN7rocprim17ROCPRIM_400000_NS6detail17trampoline_kernelINS0_14default_configENS1_38merge_sort_block_merge_config_selectorIlNS0_10empty_typeEEEZZNS1_27merge_sort_block_merge_implIS3_PlPS5_mZN2at6native12_GLOBAL__N_124unique_dim_cuda_templateIhEESt5tupleIJNSA_6TensorESF_SF_EERKSF_lbbbEUlllE_EE10hipError_tT0_T1_T2_jT3_P12ihipStream_tbPNSt15iterator_traitsISL_E10value_typeEPNSR_ISM_E10value_typeEPSN_NS1_7vsmem_tEENKUlT_SL_SM_SN_E_clIS8_S8_S9_S9_EESK_S10_SL_SM_SN_EUlS10_E_NS1_11comp_targetILNS1_3genE4ELNS1_11target_archE910ELNS1_3gpuE8ELNS1_3repE0EEENS1_48merge_mergepath_partition_config_static_selectorELNS0_4arch9wavefront6targetE0EEEvSM_,"axG",@progbits,_ZN7rocprim17ROCPRIM_400000_NS6detail17trampoline_kernelINS0_14default_configENS1_38merge_sort_block_merge_config_selectorIlNS0_10empty_typeEEEZZNS1_27merge_sort_block_merge_implIS3_PlPS5_mZN2at6native12_GLOBAL__N_124unique_dim_cuda_templateIhEESt5tupleIJNSA_6TensorESF_SF_EERKSF_lbbbEUlllE_EE10hipError_tT0_T1_T2_jT3_P12ihipStream_tbPNSt15iterator_traitsISL_E10value_typeEPNSR_ISM_E10value_typeEPSN_NS1_7vsmem_tEENKUlT_SL_SM_SN_E_clIS8_S8_S9_S9_EESK_S10_SL_SM_SN_EUlS10_E_NS1_11comp_targetILNS1_3genE4ELNS1_11target_archE910ELNS1_3gpuE8ELNS1_3repE0EEENS1_48merge_mergepath_partition_config_static_selectorELNS0_4arch9wavefront6targetE0EEEvSM_,comdat
	.globl	_ZN7rocprim17ROCPRIM_400000_NS6detail17trampoline_kernelINS0_14default_configENS1_38merge_sort_block_merge_config_selectorIlNS0_10empty_typeEEEZZNS1_27merge_sort_block_merge_implIS3_PlPS5_mZN2at6native12_GLOBAL__N_124unique_dim_cuda_templateIhEESt5tupleIJNSA_6TensorESF_SF_EERKSF_lbbbEUlllE_EE10hipError_tT0_T1_T2_jT3_P12ihipStream_tbPNSt15iterator_traitsISL_E10value_typeEPNSR_ISM_E10value_typeEPSN_NS1_7vsmem_tEENKUlT_SL_SM_SN_E_clIS8_S8_S9_S9_EESK_S10_SL_SM_SN_EUlS10_E_NS1_11comp_targetILNS1_3genE4ELNS1_11target_archE910ELNS1_3gpuE8ELNS1_3repE0EEENS1_48merge_mergepath_partition_config_static_selectorELNS0_4arch9wavefront6targetE0EEEvSM_ ; -- Begin function _ZN7rocprim17ROCPRIM_400000_NS6detail17trampoline_kernelINS0_14default_configENS1_38merge_sort_block_merge_config_selectorIlNS0_10empty_typeEEEZZNS1_27merge_sort_block_merge_implIS3_PlPS5_mZN2at6native12_GLOBAL__N_124unique_dim_cuda_templateIhEESt5tupleIJNSA_6TensorESF_SF_EERKSF_lbbbEUlllE_EE10hipError_tT0_T1_T2_jT3_P12ihipStream_tbPNSt15iterator_traitsISL_E10value_typeEPNSR_ISM_E10value_typeEPSN_NS1_7vsmem_tEENKUlT_SL_SM_SN_E_clIS8_S8_S9_S9_EESK_S10_SL_SM_SN_EUlS10_E_NS1_11comp_targetILNS1_3genE4ELNS1_11target_archE910ELNS1_3gpuE8ELNS1_3repE0EEENS1_48merge_mergepath_partition_config_static_selectorELNS0_4arch9wavefront6targetE0EEEvSM_
	.p2align	8
	.type	_ZN7rocprim17ROCPRIM_400000_NS6detail17trampoline_kernelINS0_14default_configENS1_38merge_sort_block_merge_config_selectorIlNS0_10empty_typeEEEZZNS1_27merge_sort_block_merge_implIS3_PlPS5_mZN2at6native12_GLOBAL__N_124unique_dim_cuda_templateIhEESt5tupleIJNSA_6TensorESF_SF_EERKSF_lbbbEUlllE_EE10hipError_tT0_T1_T2_jT3_P12ihipStream_tbPNSt15iterator_traitsISL_E10value_typeEPNSR_ISM_E10value_typeEPSN_NS1_7vsmem_tEENKUlT_SL_SM_SN_E_clIS8_S8_S9_S9_EESK_S10_SL_SM_SN_EUlS10_E_NS1_11comp_targetILNS1_3genE4ELNS1_11target_archE910ELNS1_3gpuE8ELNS1_3repE0EEENS1_48merge_mergepath_partition_config_static_selectorELNS0_4arch9wavefront6targetE0EEEvSM_,@function
_ZN7rocprim17ROCPRIM_400000_NS6detail17trampoline_kernelINS0_14default_configENS1_38merge_sort_block_merge_config_selectorIlNS0_10empty_typeEEEZZNS1_27merge_sort_block_merge_implIS3_PlPS5_mZN2at6native12_GLOBAL__N_124unique_dim_cuda_templateIhEESt5tupleIJNSA_6TensorESF_SF_EERKSF_lbbbEUlllE_EE10hipError_tT0_T1_T2_jT3_P12ihipStream_tbPNSt15iterator_traitsISL_E10value_typeEPNSR_ISM_E10value_typeEPSN_NS1_7vsmem_tEENKUlT_SL_SM_SN_E_clIS8_S8_S9_S9_EESK_S10_SL_SM_SN_EUlS10_E_NS1_11comp_targetILNS1_3genE4ELNS1_11target_archE910ELNS1_3gpuE8ELNS1_3repE0EEENS1_48merge_mergepath_partition_config_static_selectorELNS0_4arch9wavefront6targetE0EEEvSM_: ; @_ZN7rocprim17ROCPRIM_400000_NS6detail17trampoline_kernelINS0_14default_configENS1_38merge_sort_block_merge_config_selectorIlNS0_10empty_typeEEEZZNS1_27merge_sort_block_merge_implIS3_PlPS5_mZN2at6native12_GLOBAL__N_124unique_dim_cuda_templateIhEESt5tupleIJNSA_6TensorESF_SF_EERKSF_lbbbEUlllE_EE10hipError_tT0_T1_T2_jT3_P12ihipStream_tbPNSt15iterator_traitsISL_E10value_typeEPNSR_ISM_E10value_typeEPSN_NS1_7vsmem_tEENKUlT_SL_SM_SN_E_clIS8_S8_S9_S9_EESK_S10_SL_SM_SN_EUlS10_E_NS1_11comp_targetILNS1_3genE4ELNS1_11target_archE910ELNS1_3gpuE8ELNS1_3repE0EEENS1_48merge_mergepath_partition_config_static_selectorELNS0_4arch9wavefront6targetE0EEEvSM_
; %bb.0:
	.section	.rodata,"a",@progbits
	.p2align	6, 0x0
	.amdhsa_kernel _ZN7rocprim17ROCPRIM_400000_NS6detail17trampoline_kernelINS0_14default_configENS1_38merge_sort_block_merge_config_selectorIlNS0_10empty_typeEEEZZNS1_27merge_sort_block_merge_implIS3_PlPS5_mZN2at6native12_GLOBAL__N_124unique_dim_cuda_templateIhEESt5tupleIJNSA_6TensorESF_SF_EERKSF_lbbbEUlllE_EE10hipError_tT0_T1_T2_jT3_P12ihipStream_tbPNSt15iterator_traitsISL_E10value_typeEPNSR_ISM_E10value_typeEPSN_NS1_7vsmem_tEENKUlT_SL_SM_SN_E_clIS8_S8_S9_S9_EESK_S10_SL_SM_SN_EUlS10_E_NS1_11comp_targetILNS1_3genE4ELNS1_11target_archE910ELNS1_3gpuE8ELNS1_3repE0EEENS1_48merge_mergepath_partition_config_static_selectorELNS0_4arch9wavefront6targetE0EEEvSM_
		.amdhsa_group_segment_fixed_size 0
		.amdhsa_private_segment_fixed_size 0
		.amdhsa_kernarg_size 56
		.amdhsa_user_sgpr_count 2
		.amdhsa_user_sgpr_dispatch_ptr 0
		.amdhsa_user_sgpr_queue_ptr 0
		.amdhsa_user_sgpr_kernarg_segment_ptr 1
		.amdhsa_user_sgpr_dispatch_id 0
		.amdhsa_user_sgpr_kernarg_preload_length 0
		.amdhsa_user_sgpr_kernarg_preload_offset 0
		.amdhsa_user_sgpr_private_segment_size 0
		.amdhsa_wavefront_size32 1
		.amdhsa_uses_dynamic_stack 0
		.amdhsa_enable_private_segment 0
		.amdhsa_system_sgpr_workgroup_id_x 1
		.amdhsa_system_sgpr_workgroup_id_y 0
		.amdhsa_system_sgpr_workgroup_id_z 0
		.amdhsa_system_sgpr_workgroup_info 0
		.amdhsa_system_vgpr_workitem_id 0
		.amdhsa_next_free_vgpr 1
		.amdhsa_next_free_sgpr 1
		.amdhsa_named_barrier_count 0
		.amdhsa_reserve_vcc 0
		.amdhsa_float_round_mode_32 0
		.amdhsa_float_round_mode_16_64 0
		.amdhsa_float_denorm_mode_32 3
		.amdhsa_float_denorm_mode_16_64 3
		.amdhsa_fp16_overflow 0
		.amdhsa_memory_ordered 1
		.amdhsa_forward_progress 1
		.amdhsa_inst_pref_size 0
		.amdhsa_round_robin_scheduling 0
		.amdhsa_exception_fp_ieee_invalid_op 0
		.amdhsa_exception_fp_denorm_src 0
		.amdhsa_exception_fp_ieee_div_zero 0
		.amdhsa_exception_fp_ieee_overflow 0
		.amdhsa_exception_fp_ieee_underflow 0
		.amdhsa_exception_fp_ieee_inexact 0
		.amdhsa_exception_int_div_zero 0
	.end_amdhsa_kernel
	.section	.text._ZN7rocprim17ROCPRIM_400000_NS6detail17trampoline_kernelINS0_14default_configENS1_38merge_sort_block_merge_config_selectorIlNS0_10empty_typeEEEZZNS1_27merge_sort_block_merge_implIS3_PlPS5_mZN2at6native12_GLOBAL__N_124unique_dim_cuda_templateIhEESt5tupleIJNSA_6TensorESF_SF_EERKSF_lbbbEUlllE_EE10hipError_tT0_T1_T2_jT3_P12ihipStream_tbPNSt15iterator_traitsISL_E10value_typeEPNSR_ISM_E10value_typeEPSN_NS1_7vsmem_tEENKUlT_SL_SM_SN_E_clIS8_S8_S9_S9_EESK_S10_SL_SM_SN_EUlS10_E_NS1_11comp_targetILNS1_3genE4ELNS1_11target_archE910ELNS1_3gpuE8ELNS1_3repE0EEENS1_48merge_mergepath_partition_config_static_selectorELNS0_4arch9wavefront6targetE0EEEvSM_,"axG",@progbits,_ZN7rocprim17ROCPRIM_400000_NS6detail17trampoline_kernelINS0_14default_configENS1_38merge_sort_block_merge_config_selectorIlNS0_10empty_typeEEEZZNS1_27merge_sort_block_merge_implIS3_PlPS5_mZN2at6native12_GLOBAL__N_124unique_dim_cuda_templateIhEESt5tupleIJNSA_6TensorESF_SF_EERKSF_lbbbEUlllE_EE10hipError_tT0_T1_T2_jT3_P12ihipStream_tbPNSt15iterator_traitsISL_E10value_typeEPNSR_ISM_E10value_typeEPSN_NS1_7vsmem_tEENKUlT_SL_SM_SN_E_clIS8_S8_S9_S9_EESK_S10_SL_SM_SN_EUlS10_E_NS1_11comp_targetILNS1_3genE4ELNS1_11target_archE910ELNS1_3gpuE8ELNS1_3repE0EEENS1_48merge_mergepath_partition_config_static_selectorELNS0_4arch9wavefront6targetE0EEEvSM_,comdat
.Lfunc_end21:
	.size	_ZN7rocprim17ROCPRIM_400000_NS6detail17trampoline_kernelINS0_14default_configENS1_38merge_sort_block_merge_config_selectorIlNS0_10empty_typeEEEZZNS1_27merge_sort_block_merge_implIS3_PlPS5_mZN2at6native12_GLOBAL__N_124unique_dim_cuda_templateIhEESt5tupleIJNSA_6TensorESF_SF_EERKSF_lbbbEUlllE_EE10hipError_tT0_T1_T2_jT3_P12ihipStream_tbPNSt15iterator_traitsISL_E10value_typeEPNSR_ISM_E10value_typeEPSN_NS1_7vsmem_tEENKUlT_SL_SM_SN_E_clIS8_S8_S9_S9_EESK_S10_SL_SM_SN_EUlS10_E_NS1_11comp_targetILNS1_3genE4ELNS1_11target_archE910ELNS1_3gpuE8ELNS1_3repE0EEENS1_48merge_mergepath_partition_config_static_selectorELNS0_4arch9wavefront6targetE0EEEvSM_, .Lfunc_end21-_ZN7rocprim17ROCPRIM_400000_NS6detail17trampoline_kernelINS0_14default_configENS1_38merge_sort_block_merge_config_selectorIlNS0_10empty_typeEEEZZNS1_27merge_sort_block_merge_implIS3_PlPS5_mZN2at6native12_GLOBAL__N_124unique_dim_cuda_templateIhEESt5tupleIJNSA_6TensorESF_SF_EERKSF_lbbbEUlllE_EE10hipError_tT0_T1_T2_jT3_P12ihipStream_tbPNSt15iterator_traitsISL_E10value_typeEPNSR_ISM_E10value_typeEPSN_NS1_7vsmem_tEENKUlT_SL_SM_SN_E_clIS8_S8_S9_S9_EESK_S10_SL_SM_SN_EUlS10_E_NS1_11comp_targetILNS1_3genE4ELNS1_11target_archE910ELNS1_3gpuE8ELNS1_3repE0EEENS1_48merge_mergepath_partition_config_static_selectorELNS0_4arch9wavefront6targetE0EEEvSM_
                                        ; -- End function
	.set _ZN7rocprim17ROCPRIM_400000_NS6detail17trampoline_kernelINS0_14default_configENS1_38merge_sort_block_merge_config_selectorIlNS0_10empty_typeEEEZZNS1_27merge_sort_block_merge_implIS3_PlPS5_mZN2at6native12_GLOBAL__N_124unique_dim_cuda_templateIhEESt5tupleIJNSA_6TensorESF_SF_EERKSF_lbbbEUlllE_EE10hipError_tT0_T1_T2_jT3_P12ihipStream_tbPNSt15iterator_traitsISL_E10value_typeEPNSR_ISM_E10value_typeEPSN_NS1_7vsmem_tEENKUlT_SL_SM_SN_E_clIS8_S8_S9_S9_EESK_S10_SL_SM_SN_EUlS10_E_NS1_11comp_targetILNS1_3genE4ELNS1_11target_archE910ELNS1_3gpuE8ELNS1_3repE0EEENS1_48merge_mergepath_partition_config_static_selectorELNS0_4arch9wavefront6targetE0EEEvSM_.num_vgpr, 0
	.set _ZN7rocprim17ROCPRIM_400000_NS6detail17trampoline_kernelINS0_14default_configENS1_38merge_sort_block_merge_config_selectorIlNS0_10empty_typeEEEZZNS1_27merge_sort_block_merge_implIS3_PlPS5_mZN2at6native12_GLOBAL__N_124unique_dim_cuda_templateIhEESt5tupleIJNSA_6TensorESF_SF_EERKSF_lbbbEUlllE_EE10hipError_tT0_T1_T2_jT3_P12ihipStream_tbPNSt15iterator_traitsISL_E10value_typeEPNSR_ISM_E10value_typeEPSN_NS1_7vsmem_tEENKUlT_SL_SM_SN_E_clIS8_S8_S9_S9_EESK_S10_SL_SM_SN_EUlS10_E_NS1_11comp_targetILNS1_3genE4ELNS1_11target_archE910ELNS1_3gpuE8ELNS1_3repE0EEENS1_48merge_mergepath_partition_config_static_selectorELNS0_4arch9wavefront6targetE0EEEvSM_.num_agpr, 0
	.set _ZN7rocprim17ROCPRIM_400000_NS6detail17trampoline_kernelINS0_14default_configENS1_38merge_sort_block_merge_config_selectorIlNS0_10empty_typeEEEZZNS1_27merge_sort_block_merge_implIS3_PlPS5_mZN2at6native12_GLOBAL__N_124unique_dim_cuda_templateIhEESt5tupleIJNSA_6TensorESF_SF_EERKSF_lbbbEUlllE_EE10hipError_tT0_T1_T2_jT3_P12ihipStream_tbPNSt15iterator_traitsISL_E10value_typeEPNSR_ISM_E10value_typeEPSN_NS1_7vsmem_tEENKUlT_SL_SM_SN_E_clIS8_S8_S9_S9_EESK_S10_SL_SM_SN_EUlS10_E_NS1_11comp_targetILNS1_3genE4ELNS1_11target_archE910ELNS1_3gpuE8ELNS1_3repE0EEENS1_48merge_mergepath_partition_config_static_selectorELNS0_4arch9wavefront6targetE0EEEvSM_.numbered_sgpr, 0
	.set _ZN7rocprim17ROCPRIM_400000_NS6detail17trampoline_kernelINS0_14default_configENS1_38merge_sort_block_merge_config_selectorIlNS0_10empty_typeEEEZZNS1_27merge_sort_block_merge_implIS3_PlPS5_mZN2at6native12_GLOBAL__N_124unique_dim_cuda_templateIhEESt5tupleIJNSA_6TensorESF_SF_EERKSF_lbbbEUlllE_EE10hipError_tT0_T1_T2_jT3_P12ihipStream_tbPNSt15iterator_traitsISL_E10value_typeEPNSR_ISM_E10value_typeEPSN_NS1_7vsmem_tEENKUlT_SL_SM_SN_E_clIS8_S8_S9_S9_EESK_S10_SL_SM_SN_EUlS10_E_NS1_11comp_targetILNS1_3genE4ELNS1_11target_archE910ELNS1_3gpuE8ELNS1_3repE0EEENS1_48merge_mergepath_partition_config_static_selectorELNS0_4arch9wavefront6targetE0EEEvSM_.num_named_barrier, 0
	.set _ZN7rocprim17ROCPRIM_400000_NS6detail17trampoline_kernelINS0_14default_configENS1_38merge_sort_block_merge_config_selectorIlNS0_10empty_typeEEEZZNS1_27merge_sort_block_merge_implIS3_PlPS5_mZN2at6native12_GLOBAL__N_124unique_dim_cuda_templateIhEESt5tupleIJNSA_6TensorESF_SF_EERKSF_lbbbEUlllE_EE10hipError_tT0_T1_T2_jT3_P12ihipStream_tbPNSt15iterator_traitsISL_E10value_typeEPNSR_ISM_E10value_typeEPSN_NS1_7vsmem_tEENKUlT_SL_SM_SN_E_clIS8_S8_S9_S9_EESK_S10_SL_SM_SN_EUlS10_E_NS1_11comp_targetILNS1_3genE4ELNS1_11target_archE910ELNS1_3gpuE8ELNS1_3repE0EEENS1_48merge_mergepath_partition_config_static_selectorELNS0_4arch9wavefront6targetE0EEEvSM_.private_seg_size, 0
	.set _ZN7rocprim17ROCPRIM_400000_NS6detail17trampoline_kernelINS0_14default_configENS1_38merge_sort_block_merge_config_selectorIlNS0_10empty_typeEEEZZNS1_27merge_sort_block_merge_implIS3_PlPS5_mZN2at6native12_GLOBAL__N_124unique_dim_cuda_templateIhEESt5tupleIJNSA_6TensorESF_SF_EERKSF_lbbbEUlllE_EE10hipError_tT0_T1_T2_jT3_P12ihipStream_tbPNSt15iterator_traitsISL_E10value_typeEPNSR_ISM_E10value_typeEPSN_NS1_7vsmem_tEENKUlT_SL_SM_SN_E_clIS8_S8_S9_S9_EESK_S10_SL_SM_SN_EUlS10_E_NS1_11comp_targetILNS1_3genE4ELNS1_11target_archE910ELNS1_3gpuE8ELNS1_3repE0EEENS1_48merge_mergepath_partition_config_static_selectorELNS0_4arch9wavefront6targetE0EEEvSM_.uses_vcc, 0
	.set _ZN7rocprim17ROCPRIM_400000_NS6detail17trampoline_kernelINS0_14default_configENS1_38merge_sort_block_merge_config_selectorIlNS0_10empty_typeEEEZZNS1_27merge_sort_block_merge_implIS3_PlPS5_mZN2at6native12_GLOBAL__N_124unique_dim_cuda_templateIhEESt5tupleIJNSA_6TensorESF_SF_EERKSF_lbbbEUlllE_EE10hipError_tT0_T1_T2_jT3_P12ihipStream_tbPNSt15iterator_traitsISL_E10value_typeEPNSR_ISM_E10value_typeEPSN_NS1_7vsmem_tEENKUlT_SL_SM_SN_E_clIS8_S8_S9_S9_EESK_S10_SL_SM_SN_EUlS10_E_NS1_11comp_targetILNS1_3genE4ELNS1_11target_archE910ELNS1_3gpuE8ELNS1_3repE0EEENS1_48merge_mergepath_partition_config_static_selectorELNS0_4arch9wavefront6targetE0EEEvSM_.uses_flat_scratch, 0
	.set _ZN7rocprim17ROCPRIM_400000_NS6detail17trampoline_kernelINS0_14default_configENS1_38merge_sort_block_merge_config_selectorIlNS0_10empty_typeEEEZZNS1_27merge_sort_block_merge_implIS3_PlPS5_mZN2at6native12_GLOBAL__N_124unique_dim_cuda_templateIhEESt5tupleIJNSA_6TensorESF_SF_EERKSF_lbbbEUlllE_EE10hipError_tT0_T1_T2_jT3_P12ihipStream_tbPNSt15iterator_traitsISL_E10value_typeEPNSR_ISM_E10value_typeEPSN_NS1_7vsmem_tEENKUlT_SL_SM_SN_E_clIS8_S8_S9_S9_EESK_S10_SL_SM_SN_EUlS10_E_NS1_11comp_targetILNS1_3genE4ELNS1_11target_archE910ELNS1_3gpuE8ELNS1_3repE0EEENS1_48merge_mergepath_partition_config_static_selectorELNS0_4arch9wavefront6targetE0EEEvSM_.has_dyn_sized_stack, 0
	.set _ZN7rocprim17ROCPRIM_400000_NS6detail17trampoline_kernelINS0_14default_configENS1_38merge_sort_block_merge_config_selectorIlNS0_10empty_typeEEEZZNS1_27merge_sort_block_merge_implIS3_PlPS5_mZN2at6native12_GLOBAL__N_124unique_dim_cuda_templateIhEESt5tupleIJNSA_6TensorESF_SF_EERKSF_lbbbEUlllE_EE10hipError_tT0_T1_T2_jT3_P12ihipStream_tbPNSt15iterator_traitsISL_E10value_typeEPNSR_ISM_E10value_typeEPSN_NS1_7vsmem_tEENKUlT_SL_SM_SN_E_clIS8_S8_S9_S9_EESK_S10_SL_SM_SN_EUlS10_E_NS1_11comp_targetILNS1_3genE4ELNS1_11target_archE910ELNS1_3gpuE8ELNS1_3repE0EEENS1_48merge_mergepath_partition_config_static_selectorELNS0_4arch9wavefront6targetE0EEEvSM_.has_recursion, 0
	.set _ZN7rocprim17ROCPRIM_400000_NS6detail17trampoline_kernelINS0_14default_configENS1_38merge_sort_block_merge_config_selectorIlNS0_10empty_typeEEEZZNS1_27merge_sort_block_merge_implIS3_PlPS5_mZN2at6native12_GLOBAL__N_124unique_dim_cuda_templateIhEESt5tupleIJNSA_6TensorESF_SF_EERKSF_lbbbEUlllE_EE10hipError_tT0_T1_T2_jT3_P12ihipStream_tbPNSt15iterator_traitsISL_E10value_typeEPNSR_ISM_E10value_typeEPSN_NS1_7vsmem_tEENKUlT_SL_SM_SN_E_clIS8_S8_S9_S9_EESK_S10_SL_SM_SN_EUlS10_E_NS1_11comp_targetILNS1_3genE4ELNS1_11target_archE910ELNS1_3gpuE8ELNS1_3repE0EEENS1_48merge_mergepath_partition_config_static_selectorELNS0_4arch9wavefront6targetE0EEEvSM_.has_indirect_call, 0
	.section	.AMDGPU.csdata,"",@progbits
; Kernel info:
; codeLenInByte = 0
; TotalNumSgprs: 0
; NumVgprs: 0
; ScratchSize: 0
; MemoryBound: 0
; FloatMode: 240
; IeeeMode: 1
; LDSByteSize: 0 bytes/workgroup (compile time only)
; SGPRBlocks: 0
; VGPRBlocks: 0
; NumSGPRsForWavesPerEU: 1
; NumVGPRsForWavesPerEU: 1
; NamedBarCnt: 0
; Occupancy: 16
; WaveLimiterHint : 0
; COMPUTE_PGM_RSRC2:SCRATCH_EN: 0
; COMPUTE_PGM_RSRC2:USER_SGPR: 2
; COMPUTE_PGM_RSRC2:TRAP_HANDLER: 0
; COMPUTE_PGM_RSRC2:TGID_X_EN: 1
; COMPUTE_PGM_RSRC2:TGID_Y_EN: 0
; COMPUTE_PGM_RSRC2:TGID_Z_EN: 0
; COMPUTE_PGM_RSRC2:TIDIG_COMP_CNT: 0
	.section	.text._ZN7rocprim17ROCPRIM_400000_NS6detail17trampoline_kernelINS0_14default_configENS1_38merge_sort_block_merge_config_selectorIlNS0_10empty_typeEEEZZNS1_27merge_sort_block_merge_implIS3_PlPS5_mZN2at6native12_GLOBAL__N_124unique_dim_cuda_templateIhEESt5tupleIJNSA_6TensorESF_SF_EERKSF_lbbbEUlllE_EE10hipError_tT0_T1_T2_jT3_P12ihipStream_tbPNSt15iterator_traitsISL_E10value_typeEPNSR_ISM_E10value_typeEPSN_NS1_7vsmem_tEENKUlT_SL_SM_SN_E_clIS8_S8_S9_S9_EESK_S10_SL_SM_SN_EUlS10_E_NS1_11comp_targetILNS1_3genE3ELNS1_11target_archE908ELNS1_3gpuE7ELNS1_3repE0EEENS1_48merge_mergepath_partition_config_static_selectorELNS0_4arch9wavefront6targetE0EEEvSM_,"axG",@progbits,_ZN7rocprim17ROCPRIM_400000_NS6detail17trampoline_kernelINS0_14default_configENS1_38merge_sort_block_merge_config_selectorIlNS0_10empty_typeEEEZZNS1_27merge_sort_block_merge_implIS3_PlPS5_mZN2at6native12_GLOBAL__N_124unique_dim_cuda_templateIhEESt5tupleIJNSA_6TensorESF_SF_EERKSF_lbbbEUlllE_EE10hipError_tT0_T1_T2_jT3_P12ihipStream_tbPNSt15iterator_traitsISL_E10value_typeEPNSR_ISM_E10value_typeEPSN_NS1_7vsmem_tEENKUlT_SL_SM_SN_E_clIS8_S8_S9_S9_EESK_S10_SL_SM_SN_EUlS10_E_NS1_11comp_targetILNS1_3genE3ELNS1_11target_archE908ELNS1_3gpuE7ELNS1_3repE0EEENS1_48merge_mergepath_partition_config_static_selectorELNS0_4arch9wavefront6targetE0EEEvSM_,comdat
	.globl	_ZN7rocprim17ROCPRIM_400000_NS6detail17trampoline_kernelINS0_14default_configENS1_38merge_sort_block_merge_config_selectorIlNS0_10empty_typeEEEZZNS1_27merge_sort_block_merge_implIS3_PlPS5_mZN2at6native12_GLOBAL__N_124unique_dim_cuda_templateIhEESt5tupleIJNSA_6TensorESF_SF_EERKSF_lbbbEUlllE_EE10hipError_tT0_T1_T2_jT3_P12ihipStream_tbPNSt15iterator_traitsISL_E10value_typeEPNSR_ISM_E10value_typeEPSN_NS1_7vsmem_tEENKUlT_SL_SM_SN_E_clIS8_S8_S9_S9_EESK_S10_SL_SM_SN_EUlS10_E_NS1_11comp_targetILNS1_3genE3ELNS1_11target_archE908ELNS1_3gpuE7ELNS1_3repE0EEENS1_48merge_mergepath_partition_config_static_selectorELNS0_4arch9wavefront6targetE0EEEvSM_ ; -- Begin function _ZN7rocprim17ROCPRIM_400000_NS6detail17trampoline_kernelINS0_14default_configENS1_38merge_sort_block_merge_config_selectorIlNS0_10empty_typeEEEZZNS1_27merge_sort_block_merge_implIS3_PlPS5_mZN2at6native12_GLOBAL__N_124unique_dim_cuda_templateIhEESt5tupleIJNSA_6TensorESF_SF_EERKSF_lbbbEUlllE_EE10hipError_tT0_T1_T2_jT3_P12ihipStream_tbPNSt15iterator_traitsISL_E10value_typeEPNSR_ISM_E10value_typeEPSN_NS1_7vsmem_tEENKUlT_SL_SM_SN_E_clIS8_S8_S9_S9_EESK_S10_SL_SM_SN_EUlS10_E_NS1_11comp_targetILNS1_3genE3ELNS1_11target_archE908ELNS1_3gpuE7ELNS1_3repE0EEENS1_48merge_mergepath_partition_config_static_selectorELNS0_4arch9wavefront6targetE0EEEvSM_
	.p2align	8
	.type	_ZN7rocprim17ROCPRIM_400000_NS6detail17trampoline_kernelINS0_14default_configENS1_38merge_sort_block_merge_config_selectorIlNS0_10empty_typeEEEZZNS1_27merge_sort_block_merge_implIS3_PlPS5_mZN2at6native12_GLOBAL__N_124unique_dim_cuda_templateIhEESt5tupleIJNSA_6TensorESF_SF_EERKSF_lbbbEUlllE_EE10hipError_tT0_T1_T2_jT3_P12ihipStream_tbPNSt15iterator_traitsISL_E10value_typeEPNSR_ISM_E10value_typeEPSN_NS1_7vsmem_tEENKUlT_SL_SM_SN_E_clIS8_S8_S9_S9_EESK_S10_SL_SM_SN_EUlS10_E_NS1_11comp_targetILNS1_3genE3ELNS1_11target_archE908ELNS1_3gpuE7ELNS1_3repE0EEENS1_48merge_mergepath_partition_config_static_selectorELNS0_4arch9wavefront6targetE0EEEvSM_,@function
_ZN7rocprim17ROCPRIM_400000_NS6detail17trampoline_kernelINS0_14default_configENS1_38merge_sort_block_merge_config_selectorIlNS0_10empty_typeEEEZZNS1_27merge_sort_block_merge_implIS3_PlPS5_mZN2at6native12_GLOBAL__N_124unique_dim_cuda_templateIhEESt5tupleIJNSA_6TensorESF_SF_EERKSF_lbbbEUlllE_EE10hipError_tT0_T1_T2_jT3_P12ihipStream_tbPNSt15iterator_traitsISL_E10value_typeEPNSR_ISM_E10value_typeEPSN_NS1_7vsmem_tEENKUlT_SL_SM_SN_E_clIS8_S8_S9_S9_EESK_S10_SL_SM_SN_EUlS10_E_NS1_11comp_targetILNS1_3genE3ELNS1_11target_archE908ELNS1_3gpuE7ELNS1_3repE0EEENS1_48merge_mergepath_partition_config_static_selectorELNS0_4arch9wavefront6targetE0EEEvSM_: ; @_ZN7rocprim17ROCPRIM_400000_NS6detail17trampoline_kernelINS0_14default_configENS1_38merge_sort_block_merge_config_selectorIlNS0_10empty_typeEEEZZNS1_27merge_sort_block_merge_implIS3_PlPS5_mZN2at6native12_GLOBAL__N_124unique_dim_cuda_templateIhEESt5tupleIJNSA_6TensorESF_SF_EERKSF_lbbbEUlllE_EE10hipError_tT0_T1_T2_jT3_P12ihipStream_tbPNSt15iterator_traitsISL_E10value_typeEPNSR_ISM_E10value_typeEPSN_NS1_7vsmem_tEENKUlT_SL_SM_SN_E_clIS8_S8_S9_S9_EESK_S10_SL_SM_SN_EUlS10_E_NS1_11comp_targetILNS1_3genE3ELNS1_11target_archE908ELNS1_3gpuE7ELNS1_3repE0EEENS1_48merge_mergepath_partition_config_static_selectorELNS0_4arch9wavefront6targetE0EEEvSM_
; %bb.0:
	.section	.rodata,"a",@progbits
	.p2align	6, 0x0
	.amdhsa_kernel _ZN7rocprim17ROCPRIM_400000_NS6detail17trampoline_kernelINS0_14default_configENS1_38merge_sort_block_merge_config_selectorIlNS0_10empty_typeEEEZZNS1_27merge_sort_block_merge_implIS3_PlPS5_mZN2at6native12_GLOBAL__N_124unique_dim_cuda_templateIhEESt5tupleIJNSA_6TensorESF_SF_EERKSF_lbbbEUlllE_EE10hipError_tT0_T1_T2_jT3_P12ihipStream_tbPNSt15iterator_traitsISL_E10value_typeEPNSR_ISM_E10value_typeEPSN_NS1_7vsmem_tEENKUlT_SL_SM_SN_E_clIS8_S8_S9_S9_EESK_S10_SL_SM_SN_EUlS10_E_NS1_11comp_targetILNS1_3genE3ELNS1_11target_archE908ELNS1_3gpuE7ELNS1_3repE0EEENS1_48merge_mergepath_partition_config_static_selectorELNS0_4arch9wavefront6targetE0EEEvSM_
		.amdhsa_group_segment_fixed_size 0
		.amdhsa_private_segment_fixed_size 0
		.amdhsa_kernarg_size 56
		.amdhsa_user_sgpr_count 2
		.amdhsa_user_sgpr_dispatch_ptr 0
		.amdhsa_user_sgpr_queue_ptr 0
		.amdhsa_user_sgpr_kernarg_segment_ptr 1
		.amdhsa_user_sgpr_dispatch_id 0
		.amdhsa_user_sgpr_kernarg_preload_length 0
		.amdhsa_user_sgpr_kernarg_preload_offset 0
		.amdhsa_user_sgpr_private_segment_size 0
		.amdhsa_wavefront_size32 1
		.amdhsa_uses_dynamic_stack 0
		.amdhsa_enable_private_segment 0
		.amdhsa_system_sgpr_workgroup_id_x 1
		.amdhsa_system_sgpr_workgroup_id_y 0
		.amdhsa_system_sgpr_workgroup_id_z 0
		.amdhsa_system_sgpr_workgroup_info 0
		.amdhsa_system_vgpr_workitem_id 0
		.amdhsa_next_free_vgpr 1
		.amdhsa_next_free_sgpr 1
		.amdhsa_named_barrier_count 0
		.amdhsa_reserve_vcc 0
		.amdhsa_float_round_mode_32 0
		.amdhsa_float_round_mode_16_64 0
		.amdhsa_float_denorm_mode_32 3
		.amdhsa_float_denorm_mode_16_64 3
		.amdhsa_fp16_overflow 0
		.amdhsa_memory_ordered 1
		.amdhsa_forward_progress 1
		.amdhsa_inst_pref_size 0
		.amdhsa_round_robin_scheduling 0
		.amdhsa_exception_fp_ieee_invalid_op 0
		.amdhsa_exception_fp_denorm_src 0
		.amdhsa_exception_fp_ieee_div_zero 0
		.amdhsa_exception_fp_ieee_overflow 0
		.amdhsa_exception_fp_ieee_underflow 0
		.amdhsa_exception_fp_ieee_inexact 0
		.amdhsa_exception_int_div_zero 0
	.end_amdhsa_kernel
	.section	.text._ZN7rocprim17ROCPRIM_400000_NS6detail17trampoline_kernelINS0_14default_configENS1_38merge_sort_block_merge_config_selectorIlNS0_10empty_typeEEEZZNS1_27merge_sort_block_merge_implIS3_PlPS5_mZN2at6native12_GLOBAL__N_124unique_dim_cuda_templateIhEESt5tupleIJNSA_6TensorESF_SF_EERKSF_lbbbEUlllE_EE10hipError_tT0_T1_T2_jT3_P12ihipStream_tbPNSt15iterator_traitsISL_E10value_typeEPNSR_ISM_E10value_typeEPSN_NS1_7vsmem_tEENKUlT_SL_SM_SN_E_clIS8_S8_S9_S9_EESK_S10_SL_SM_SN_EUlS10_E_NS1_11comp_targetILNS1_3genE3ELNS1_11target_archE908ELNS1_3gpuE7ELNS1_3repE0EEENS1_48merge_mergepath_partition_config_static_selectorELNS0_4arch9wavefront6targetE0EEEvSM_,"axG",@progbits,_ZN7rocprim17ROCPRIM_400000_NS6detail17trampoline_kernelINS0_14default_configENS1_38merge_sort_block_merge_config_selectorIlNS0_10empty_typeEEEZZNS1_27merge_sort_block_merge_implIS3_PlPS5_mZN2at6native12_GLOBAL__N_124unique_dim_cuda_templateIhEESt5tupleIJNSA_6TensorESF_SF_EERKSF_lbbbEUlllE_EE10hipError_tT0_T1_T2_jT3_P12ihipStream_tbPNSt15iterator_traitsISL_E10value_typeEPNSR_ISM_E10value_typeEPSN_NS1_7vsmem_tEENKUlT_SL_SM_SN_E_clIS8_S8_S9_S9_EESK_S10_SL_SM_SN_EUlS10_E_NS1_11comp_targetILNS1_3genE3ELNS1_11target_archE908ELNS1_3gpuE7ELNS1_3repE0EEENS1_48merge_mergepath_partition_config_static_selectorELNS0_4arch9wavefront6targetE0EEEvSM_,comdat
.Lfunc_end22:
	.size	_ZN7rocprim17ROCPRIM_400000_NS6detail17trampoline_kernelINS0_14default_configENS1_38merge_sort_block_merge_config_selectorIlNS0_10empty_typeEEEZZNS1_27merge_sort_block_merge_implIS3_PlPS5_mZN2at6native12_GLOBAL__N_124unique_dim_cuda_templateIhEESt5tupleIJNSA_6TensorESF_SF_EERKSF_lbbbEUlllE_EE10hipError_tT0_T1_T2_jT3_P12ihipStream_tbPNSt15iterator_traitsISL_E10value_typeEPNSR_ISM_E10value_typeEPSN_NS1_7vsmem_tEENKUlT_SL_SM_SN_E_clIS8_S8_S9_S9_EESK_S10_SL_SM_SN_EUlS10_E_NS1_11comp_targetILNS1_3genE3ELNS1_11target_archE908ELNS1_3gpuE7ELNS1_3repE0EEENS1_48merge_mergepath_partition_config_static_selectorELNS0_4arch9wavefront6targetE0EEEvSM_, .Lfunc_end22-_ZN7rocprim17ROCPRIM_400000_NS6detail17trampoline_kernelINS0_14default_configENS1_38merge_sort_block_merge_config_selectorIlNS0_10empty_typeEEEZZNS1_27merge_sort_block_merge_implIS3_PlPS5_mZN2at6native12_GLOBAL__N_124unique_dim_cuda_templateIhEESt5tupleIJNSA_6TensorESF_SF_EERKSF_lbbbEUlllE_EE10hipError_tT0_T1_T2_jT3_P12ihipStream_tbPNSt15iterator_traitsISL_E10value_typeEPNSR_ISM_E10value_typeEPSN_NS1_7vsmem_tEENKUlT_SL_SM_SN_E_clIS8_S8_S9_S9_EESK_S10_SL_SM_SN_EUlS10_E_NS1_11comp_targetILNS1_3genE3ELNS1_11target_archE908ELNS1_3gpuE7ELNS1_3repE0EEENS1_48merge_mergepath_partition_config_static_selectorELNS0_4arch9wavefront6targetE0EEEvSM_
                                        ; -- End function
	.set _ZN7rocprim17ROCPRIM_400000_NS6detail17trampoline_kernelINS0_14default_configENS1_38merge_sort_block_merge_config_selectorIlNS0_10empty_typeEEEZZNS1_27merge_sort_block_merge_implIS3_PlPS5_mZN2at6native12_GLOBAL__N_124unique_dim_cuda_templateIhEESt5tupleIJNSA_6TensorESF_SF_EERKSF_lbbbEUlllE_EE10hipError_tT0_T1_T2_jT3_P12ihipStream_tbPNSt15iterator_traitsISL_E10value_typeEPNSR_ISM_E10value_typeEPSN_NS1_7vsmem_tEENKUlT_SL_SM_SN_E_clIS8_S8_S9_S9_EESK_S10_SL_SM_SN_EUlS10_E_NS1_11comp_targetILNS1_3genE3ELNS1_11target_archE908ELNS1_3gpuE7ELNS1_3repE0EEENS1_48merge_mergepath_partition_config_static_selectorELNS0_4arch9wavefront6targetE0EEEvSM_.num_vgpr, 0
	.set _ZN7rocprim17ROCPRIM_400000_NS6detail17trampoline_kernelINS0_14default_configENS1_38merge_sort_block_merge_config_selectorIlNS0_10empty_typeEEEZZNS1_27merge_sort_block_merge_implIS3_PlPS5_mZN2at6native12_GLOBAL__N_124unique_dim_cuda_templateIhEESt5tupleIJNSA_6TensorESF_SF_EERKSF_lbbbEUlllE_EE10hipError_tT0_T1_T2_jT3_P12ihipStream_tbPNSt15iterator_traitsISL_E10value_typeEPNSR_ISM_E10value_typeEPSN_NS1_7vsmem_tEENKUlT_SL_SM_SN_E_clIS8_S8_S9_S9_EESK_S10_SL_SM_SN_EUlS10_E_NS1_11comp_targetILNS1_3genE3ELNS1_11target_archE908ELNS1_3gpuE7ELNS1_3repE0EEENS1_48merge_mergepath_partition_config_static_selectorELNS0_4arch9wavefront6targetE0EEEvSM_.num_agpr, 0
	.set _ZN7rocprim17ROCPRIM_400000_NS6detail17trampoline_kernelINS0_14default_configENS1_38merge_sort_block_merge_config_selectorIlNS0_10empty_typeEEEZZNS1_27merge_sort_block_merge_implIS3_PlPS5_mZN2at6native12_GLOBAL__N_124unique_dim_cuda_templateIhEESt5tupleIJNSA_6TensorESF_SF_EERKSF_lbbbEUlllE_EE10hipError_tT0_T1_T2_jT3_P12ihipStream_tbPNSt15iterator_traitsISL_E10value_typeEPNSR_ISM_E10value_typeEPSN_NS1_7vsmem_tEENKUlT_SL_SM_SN_E_clIS8_S8_S9_S9_EESK_S10_SL_SM_SN_EUlS10_E_NS1_11comp_targetILNS1_3genE3ELNS1_11target_archE908ELNS1_3gpuE7ELNS1_3repE0EEENS1_48merge_mergepath_partition_config_static_selectorELNS0_4arch9wavefront6targetE0EEEvSM_.numbered_sgpr, 0
	.set _ZN7rocprim17ROCPRIM_400000_NS6detail17trampoline_kernelINS0_14default_configENS1_38merge_sort_block_merge_config_selectorIlNS0_10empty_typeEEEZZNS1_27merge_sort_block_merge_implIS3_PlPS5_mZN2at6native12_GLOBAL__N_124unique_dim_cuda_templateIhEESt5tupleIJNSA_6TensorESF_SF_EERKSF_lbbbEUlllE_EE10hipError_tT0_T1_T2_jT3_P12ihipStream_tbPNSt15iterator_traitsISL_E10value_typeEPNSR_ISM_E10value_typeEPSN_NS1_7vsmem_tEENKUlT_SL_SM_SN_E_clIS8_S8_S9_S9_EESK_S10_SL_SM_SN_EUlS10_E_NS1_11comp_targetILNS1_3genE3ELNS1_11target_archE908ELNS1_3gpuE7ELNS1_3repE0EEENS1_48merge_mergepath_partition_config_static_selectorELNS0_4arch9wavefront6targetE0EEEvSM_.num_named_barrier, 0
	.set _ZN7rocprim17ROCPRIM_400000_NS6detail17trampoline_kernelINS0_14default_configENS1_38merge_sort_block_merge_config_selectorIlNS0_10empty_typeEEEZZNS1_27merge_sort_block_merge_implIS3_PlPS5_mZN2at6native12_GLOBAL__N_124unique_dim_cuda_templateIhEESt5tupleIJNSA_6TensorESF_SF_EERKSF_lbbbEUlllE_EE10hipError_tT0_T1_T2_jT3_P12ihipStream_tbPNSt15iterator_traitsISL_E10value_typeEPNSR_ISM_E10value_typeEPSN_NS1_7vsmem_tEENKUlT_SL_SM_SN_E_clIS8_S8_S9_S9_EESK_S10_SL_SM_SN_EUlS10_E_NS1_11comp_targetILNS1_3genE3ELNS1_11target_archE908ELNS1_3gpuE7ELNS1_3repE0EEENS1_48merge_mergepath_partition_config_static_selectorELNS0_4arch9wavefront6targetE0EEEvSM_.private_seg_size, 0
	.set _ZN7rocprim17ROCPRIM_400000_NS6detail17trampoline_kernelINS0_14default_configENS1_38merge_sort_block_merge_config_selectorIlNS0_10empty_typeEEEZZNS1_27merge_sort_block_merge_implIS3_PlPS5_mZN2at6native12_GLOBAL__N_124unique_dim_cuda_templateIhEESt5tupleIJNSA_6TensorESF_SF_EERKSF_lbbbEUlllE_EE10hipError_tT0_T1_T2_jT3_P12ihipStream_tbPNSt15iterator_traitsISL_E10value_typeEPNSR_ISM_E10value_typeEPSN_NS1_7vsmem_tEENKUlT_SL_SM_SN_E_clIS8_S8_S9_S9_EESK_S10_SL_SM_SN_EUlS10_E_NS1_11comp_targetILNS1_3genE3ELNS1_11target_archE908ELNS1_3gpuE7ELNS1_3repE0EEENS1_48merge_mergepath_partition_config_static_selectorELNS0_4arch9wavefront6targetE0EEEvSM_.uses_vcc, 0
	.set _ZN7rocprim17ROCPRIM_400000_NS6detail17trampoline_kernelINS0_14default_configENS1_38merge_sort_block_merge_config_selectorIlNS0_10empty_typeEEEZZNS1_27merge_sort_block_merge_implIS3_PlPS5_mZN2at6native12_GLOBAL__N_124unique_dim_cuda_templateIhEESt5tupleIJNSA_6TensorESF_SF_EERKSF_lbbbEUlllE_EE10hipError_tT0_T1_T2_jT3_P12ihipStream_tbPNSt15iterator_traitsISL_E10value_typeEPNSR_ISM_E10value_typeEPSN_NS1_7vsmem_tEENKUlT_SL_SM_SN_E_clIS8_S8_S9_S9_EESK_S10_SL_SM_SN_EUlS10_E_NS1_11comp_targetILNS1_3genE3ELNS1_11target_archE908ELNS1_3gpuE7ELNS1_3repE0EEENS1_48merge_mergepath_partition_config_static_selectorELNS0_4arch9wavefront6targetE0EEEvSM_.uses_flat_scratch, 0
	.set _ZN7rocprim17ROCPRIM_400000_NS6detail17trampoline_kernelINS0_14default_configENS1_38merge_sort_block_merge_config_selectorIlNS0_10empty_typeEEEZZNS1_27merge_sort_block_merge_implIS3_PlPS5_mZN2at6native12_GLOBAL__N_124unique_dim_cuda_templateIhEESt5tupleIJNSA_6TensorESF_SF_EERKSF_lbbbEUlllE_EE10hipError_tT0_T1_T2_jT3_P12ihipStream_tbPNSt15iterator_traitsISL_E10value_typeEPNSR_ISM_E10value_typeEPSN_NS1_7vsmem_tEENKUlT_SL_SM_SN_E_clIS8_S8_S9_S9_EESK_S10_SL_SM_SN_EUlS10_E_NS1_11comp_targetILNS1_3genE3ELNS1_11target_archE908ELNS1_3gpuE7ELNS1_3repE0EEENS1_48merge_mergepath_partition_config_static_selectorELNS0_4arch9wavefront6targetE0EEEvSM_.has_dyn_sized_stack, 0
	.set _ZN7rocprim17ROCPRIM_400000_NS6detail17trampoline_kernelINS0_14default_configENS1_38merge_sort_block_merge_config_selectorIlNS0_10empty_typeEEEZZNS1_27merge_sort_block_merge_implIS3_PlPS5_mZN2at6native12_GLOBAL__N_124unique_dim_cuda_templateIhEESt5tupleIJNSA_6TensorESF_SF_EERKSF_lbbbEUlllE_EE10hipError_tT0_T1_T2_jT3_P12ihipStream_tbPNSt15iterator_traitsISL_E10value_typeEPNSR_ISM_E10value_typeEPSN_NS1_7vsmem_tEENKUlT_SL_SM_SN_E_clIS8_S8_S9_S9_EESK_S10_SL_SM_SN_EUlS10_E_NS1_11comp_targetILNS1_3genE3ELNS1_11target_archE908ELNS1_3gpuE7ELNS1_3repE0EEENS1_48merge_mergepath_partition_config_static_selectorELNS0_4arch9wavefront6targetE0EEEvSM_.has_recursion, 0
	.set _ZN7rocprim17ROCPRIM_400000_NS6detail17trampoline_kernelINS0_14default_configENS1_38merge_sort_block_merge_config_selectorIlNS0_10empty_typeEEEZZNS1_27merge_sort_block_merge_implIS3_PlPS5_mZN2at6native12_GLOBAL__N_124unique_dim_cuda_templateIhEESt5tupleIJNSA_6TensorESF_SF_EERKSF_lbbbEUlllE_EE10hipError_tT0_T1_T2_jT3_P12ihipStream_tbPNSt15iterator_traitsISL_E10value_typeEPNSR_ISM_E10value_typeEPSN_NS1_7vsmem_tEENKUlT_SL_SM_SN_E_clIS8_S8_S9_S9_EESK_S10_SL_SM_SN_EUlS10_E_NS1_11comp_targetILNS1_3genE3ELNS1_11target_archE908ELNS1_3gpuE7ELNS1_3repE0EEENS1_48merge_mergepath_partition_config_static_selectorELNS0_4arch9wavefront6targetE0EEEvSM_.has_indirect_call, 0
	.section	.AMDGPU.csdata,"",@progbits
; Kernel info:
; codeLenInByte = 0
; TotalNumSgprs: 0
; NumVgprs: 0
; ScratchSize: 0
; MemoryBound: 0
; FloatMode: 240
; IeeeMode: 1
; LDSByteSize: 0 bytes/workgroup (compile time only)
; SGPRBlocks: 0
; VGPRBlocks: 0
; NumSGPRsForWavesPerEU: 1
; NumVGPRsForWavesPerEU: 1
; NamedBarCnt: 0
; Occupancy: 16
; WaveLimiterHint : 0
; COMPUTE_PGM_RSRC2:SCRATCH_EN: 0
; COMPUTE_PGM_RSRC2:USER_SGPR: 2
; COMPUTE_PGM_RSRC2:TRAP_HANDLER: 0
; COMPUTE_PGM_RSRC2:TGID_X_EN: 1
; COMPUTE_PGM_RSRC2:TGID_Y_EN: 0
; COMPUTE_PGM_RSRC2:TGID_Z_EN: 0
; COMPUTE_PGM_RSRC2:TIDIG_COMP_CNT: 0
	.section	.text._ZN7rocprim17ROCPRIM_400000_NS6detail17trampoline_kernelINS0_14default_configENS1_38merge_sort_block_merge_config_selectorIlNS0_10empty_typeEEEZZNS1_27merge_sort_block_merge_implIS3_PlPS5_mZN2at6native12_GLOBAL__N_124unique_dim_cuda_templateIhEESt5tupleIJNSA_6TensorESF_SF_EERKSF_lbbbEUlllE_EE10hipError_tT0_T1_T2_jT3_P12ihipStream_tbPNSt15iterator_traitsISL_E10value_typeEPNSR_ISM_E10value_typeEPSN_NS1_7vsmem_tEENKUlT_SL_SM_SN_E_clIS8_S8_S9_S9_EESK_S10_SL_SM_SN_EUlS10_E_NS1_11comp_targetILNS1_3genE2ELNS1_11target_archE906ELNS1_3gpuE6ELNS1_3repE0EEENS1_48merge_mergepath_partition_config_static_selectorELNS0_4arch9wavefront6targetE0EEEvSM_,"axG",@progbits,_ZN7rocprim17ROCPRIM_400000_NS6detail17trampoline_kernelINS0_14default_configENS1_38merge_sort_block_merge_config_selectorIlNS0_10empty_typeEEEZZNS1_27merge_sort_block_merge_implIS3_PlPS5_mZN2at6native12_GLOBAL__N_124unique_dim_cuda_templateIhEESt5tupleIJNSA_6TensorESF_SF_EERKSF_lbbbEUlllE_EE10hipError_tT0_T1_T2_jT3_P12ihipStream_tbPNSt15iterator_traitsISL_E10value_typeEPNSR_ISM_E10value_typeEPSN_NS1_7vsmem_tEENKUlT_SL_SM_SN_E_clIS8_S8_S9_S9_EESK_S10_SL_SM_SN_EUlS10_E_NS1_11comp_targetILNS1_3genE2ELNS1_11target_archE906ELNS1_3gpuE6ELNS1_3repE0EEENS1_48merge_mergepath_partition_config_static_selectorELNS0_4arch9wavefront6targetE0EEEvSM_,comdat
	.globl	_ZN7rocprim17ROCPRIM_400000_NS6detail17trampoline_kernelINS0_14default_configENS1_38merge_sort_block_merge_config_selectorIlNS0_10empty_typeEEEZZNS1_27merge_sort_block_merge_implIS3_PlPS5_mZN2at6native12_GLOBAL__N_124unique_dim_cuda_templateIhEESt5tupleIJNSA_6TensorESF_SF_EERKSF_lbbbEUlllE_EE10hipError_tT0_T1_T2_jT3_P12ihipStream_tbPNSt15iterator_traitsISL_E10value_typeEPNSR_ISM_E10value_typeEPSN_NS1_7vsmem_tEENKUlT_SL_SM_SN_E_clIS8_S8_S9_S9_EESK_S10_SL_SM_SN_EUlS10_E_NS1_11comp_targetILNS1_3genE2ELNS1_11target_archE906ELNS1_3gpuE6ELNS1_3repE0EEENS1_48merge_mergepath_partition_config_static_selectorELNS0_4arch9wavefront6targetE0EEEvSM_ ; -- Begin function _ZN7rocprim17ROCPRIM_400000_NS6detail17trampoline_kernelINS0_14default_configENS1_38merge_sort_block_merge_config_selectorIlNS0_10empty_typeEEEZZNS1_27merge_sort_block_merge_implIS3_PlPS5_mZN2at6native12_GLOBAL__N_124unique_dim_cuda_templateIhEESt5tupleIJNSA_6TensorESF_SF_EERKSF_lbbbEUlllE_EE10hipError_tT0_T1_T2_jT3_P12ihipStream_tbPNSt15iterator_traitsISL_E10value_typeEPNSR_ISM_E10value_typeEPSN_NS1_7vsmem_tEENKUlT_SL_SM_SN_E_clIS8_S8_S9_S9_EESK_S10_SL_SM_SN_EUlS10_E_NS1_11comp_targetILNS1_3genE2ELNS1_11target_archE906ELNS1_3gpuE6ELNS1_3repE0EEENS1_48merge_mergepath_partition_config_static_selectorELNS0_4arch9wavefront6targetE0EEEvSM_
	.p2align	8
	.type	_ZN7rocprim17ROCPRIM_400000_NS6detail17trampoline_kernelINS0_14default_configENS1_38merge_sort_block_merge_config_selectorIlNS0_10empty_typeEEEZZNS1_27merge_sort_block_merge_implIS3_PlPS5_mZN2at6native12_GLOBAL__N_124unique_dim_cuda_templateIhEESt5tupleIJNSA_6TensorESF_SF_EERKSF_lbbbEUlllE_EE10hipError_tT0_T1_T2_jT3_P12ihipStream_tbPNSt15iterator_traitsISL_E10value_typeEPNSR_ISM_E10value_typeEPSN_NS1_7vsmem_tEENKUlT_SL_SM_SN_E_clIS8_S8_S9_S9_EESK_S10_SL_SM_SN_EUlS10_E_NS1_11comp_targetILNS1_3genE2ELNS1_11target_archE906ELNS1_3gpuE6ELNS1_3repE0EEENS1_48merge_mergepath_partition_config_static_selectorELNS0_4arch9wavefront6targetE0EEEvSM_,@function
_ZN7rocprim17ROCPRIM_400000_NS6detail17trampoline_kernelINS0_14default_configENS1_38merge_sort_block_merge_config_selectorIlNS0_10empty_typeEEEZZNS1_27merge_sort_block_merge_implIS3_PlPS5_mZN2at6native12_GLOBAL__N_124unique_dim_cuda_templateIhEESt5tupleIJNSA_6TensorESF_SF_EERKSF_lbbbEUlllE_EE10hipError_tT0_T1_T2_jT3_P12ihipStream_tbPNSt15iterator_traitsISL_E10value_typeEPNSR_ISM_E10value_typeEPSN_NS1_7vsmem_tEENKUlT_SL_SM_SN_E_clIS8_S8_S9_S9_EESK_S10_SL_SM_SN_EUlS10_E_NS1_11comp_targetILNS1_3genE2ELNS1_11target_archE906ELNS1_3gpuE6ELNS1_3repE0EEENS1_48merge_mergepath_partition_config_static_selectorELNS0_4arch9wavefront6targetE0EEEvSM_: ; @_ZN7rocprim17ROCPRIM_400000_NS6detail17trampoline_kernelINS0_14default_configENS1_38merge_sort_block_merge_config_selectorIlNS0_10empty_typeEEEZZNS1_27merge_sort_block_merge_implIS3_PlPS5_mZN2at6native12_GLOBAL__N_124unique_dim_cuda_templateIhEESt5tupleIJNSA_6TensorESF_SF_EERKSF_lbbbEUlllE_EE10hipError_tT0_T1_T2_jT3_P12ihipStream_tbPNSt15iterator_traitsISL_E10value_typeEPNSR_ISM_E10value_typeEPSN_NS1_7vsmem_tEENKUlT_SL_SM_SN_E_clIS8_S8_S9_S9_EESK_S10_SL_SM_SN_EUlS10_E_NS1_11comp_targetILNS1_3genE2ELNS1_11target_archE906ELNS1_3gpuE6ELNS1_3repE0EEENS1_48merge_mergepath_partition_config_static_selectorELNS0_4arch9wavefront6targetE0EEEvSM_
; %bb.0:
	.section	.rodata,"a",@progbits
	.p2align	6, 0x0
	.amdhsa_kernel _ZN7rocprim17ROCPRIM_400000_NS6detail17trampoline_kernelINS0_14default_configENS1_38merge_sort_block_merge_config_selectorIlNS0_10empty_typeEEEZZNS1_27merge_sort_block_merge_implIS3_PlPS5_mZN2at6native12_GLOBAL__N_124unique_dim_cuda_templateIhEESt5tupleIJNSA_6TensorESF_SF_EERKSF_lbbbEUlllE_EE10hipError_tT0_T1_T2_jT3_P12ihipStream_tbPNSt15iterator_traitsISL_E10value_typeEPNSR_ISM_E10value_typeEPSN_NS1_7vsmem_tEENKUlT_SL_SM_SN_E_clIS8_S8_S9_S9_EESK_S10_SL_SM_SN_EUlS10_E_NS1_11comp_targetILNS1_3genE2ELNS1_11target_archE906ELNS1_3gpuE6ELNS1_3repE0EEENS1_48merge_mergepath_partition_config_static_selectorELNS0_4arch9wavefront6targetE0EEEvSM_
		.amdhsa_group_segment_fixed_size 0
		.amdhsa_private_segment_fixed_size 0
		.amdhsa_kernarg_size 56
		.amdhsa_user_sgpr_count 2
		.amdhsa_user_sgpr_dispatch_ptr 0
		.amdhsa_user_sgpr_queue_ptr 0
		.amdhsa_user_sgpr_kernarg_segment_ptr 1
		.amdhsa_user_sgpr_dispatch_id 0
		.amdhsa_user_sgpr_kernarg_preload_length 0
		.amdhsa_user_sgpr_kernarg_preload_offset 0
		.amdhsa_user_sgpr_private_segment_size 0
		.amdhsa_wavefront_size32 1
		.amdhsa_uses_dynamic_stack 0
		.amdhsa_enable_private_segment 0
		.amdhsa_system_sgpr_workgroup_id_x 1
		.amdhsa_system_sgpr_workgroup_id_y 0
		.amdhsa_system_sgpr_workgroup_id_z 0
		.amdhsa_system_sgpr_workgroup_info 0
		.amdhsa_system_vgpr_workitem_id 0
		.amdhsa_next_free_vgpr 1
		.amdhsa_next_free_sgpr 1
		.amdhsa_named_barrier_count 0
		.amdhsa_reserve_vcc 0
		.amdhsa_float_round_mode_32 0
		.amdhsa_float_round_mode_16_64 0
		.amdhsa_float_denorm_mode_32 3
		.amdhsa_float_denorm_mode_16_64 3
		.amdhsa_fp16_overflow 0
		.amdhsa_memory_ordered 1
		.amdhsa_forward_progress 1
		.amdhsa_inst_pref_size 0
		.amdhsa_round_robin_scheduling 0
		.amdhsa_exception_fp_ieee_invalid_op 0
		.amdhsa_exception_fp_denorm_src 0
		.amdhsa_exception_fp_ieee_div_zero 0
		.amdhsa_exception_fp_ieee_overflow 0
		.amdhsa_exception_fp_ieee_underflow 0
		.amdhsa_exception_fp_ieee_inexact 0
		.amdhsa_exception_int_div_zero 0
	.end_amdhsa_kernel
	.section	.text._ZN7rocprim17ROCPRIM_400000_NS6detail17trampoline_kernelINS0_14default_configENS1_38merge_sort_block_merge_config_selectorIlNS0_10empty_typeEEEZZNS1_27merge_sort_block_merge_implIS3_PlPS5_mZN2at6native12_GLOBAL__N_124unique_dim_cuda_templateIhEESt5tupleIJNSA_6TensorESF_SF_EERKSF_lbbbEUlllE_EE10hipError_tT0_T1_T2_jT3_P12ihipStream_tbPNSt15iterator_traitsISL_E10value_typeEPNSR_ISM_E10value_typeEPSN_NS1_7vsmem_tEENKUlT_SL_SM_SN_E_clIS8_S8_S9_S9_EESK_S10_SL_SM_SN_EUlS10_E_NS1_11comp_targetILNS1_3genE2ELNS1_11target_archE906ELNS1_3gpuE6ELNS1_3repE0EEENS1_48merge_mergepath_partition_config_static_selectorELNS0_4arch9wavefront6targetE0EEEvSM_,"axG",@progbits,_ZN7rocprim17ROCPRIM_400000_NS6detail17trampoline_kernelINS0_14default_configENS1_38merge_sort_block_merge_config_selectorIlNS0_10empty_typeEEEZZNS1_27merge_sort_block_merge_implIS3_PlPS5_mZN2at6native12_GLOBAL__N_124unique_dim_cuda_templateIhEESt5tupleIJNSA_6TensorESF_SF_EERKSF_lbbbEUlllE_EE10hipError_tT0_T1_T2_jT3_P12ihipStream_tbPNSt15iterator_traitsISL_E10value_typeEPNSR_ISM_E10value_typeEPSN_NS1_7vsmem_tEENKUlT_SL_SM_SN_E_clIS8_S8_S9_S9_EESK_S10_SL_SM_SN_EUlS10_E_NS1_11comp_targetILNS1_3genE2ELNS1_11target_archE906ELNS1_3gpuE6ELNS1_3repE0EEENS1_48merge_mergepath_partition_config_static_selectorELNS0_4arch9wavefront6targetE0EEEvSM_,comdat
.Lfunc_end23:
	.size	_ZN7rocprim17ROCPRIM_400000_NS6detail17trampoline_kernelINS0_14default_configENS1_38merge_sort_block_merge_config_selectorIlNS0_10empty_typeEEEZZNS1_27merge_sort_block_merge_implIS3_PlPS5_mZN2at6native12_GLOBAL__N_124unique_dim_cuda_templateIhEESt5tupleIJNSA_6TensorESF_SF_EERKSF_lbbbEUlllE_EE10hipError_tT0_T1_T2_jT3_P12ihipStream_tbPNSt15iterator_traitsISL_E10value_typeEPNSR_ISM_E10value_typeEPSN_NS1_7vsmem_tEENKUlT_SL_SM_SN_E_clIS8_S8_S9_S9_EESK_S10_SL_SM_SN_EUlS10_E_NS1_11comp_targetILNS1_3genE2ELNS1_11target_archE906ELNS1_3gpuE6ELNS1_3repE0EEENS1_48merge_mergepath_partition_config_static_selectorELNS0_4arch9wavefront6targetE0EEEvSM_, .Lfunc_end23-_ZN7rocprim17ROCPRIM_400000_NS6detail17trampoline_kernelINS0_14default_configENS1_38merge_sort_block_merge_config_selectorIlNS0_10empty_typeEEEZZNS1_27merge_sort_block_merge_implIS3_PlPS5_mZN2at6native12_GLOBAL__N_124unique_dim_cuda_templateIhEESt5tupleIJNSA_6TensorESF_SF_EERKSF_lbbbEUlllE_EE10hipError_tT0_T1_T2_jT3_P12ihipStream_tbPNSt15iterator_traitsISL_E10value_typeEPNSR_ISM_E10value_typeEPSN_NS1_7vsmem_tEENKUlT_SL_SM_SN_E_clIS8_S8_S9_S9_EESK_S10_SL_SM_SN_EUlS10_E_NS1_11comp_targetILNS1_3genE2ELNS1_11target_archE906ELNS1_3gpuE6ELNS1_3repE0EEENS1_48merge_mergepath_partition_config_static_selectorELNS0_4arch9wavefront6targetE0EEEvSM_
                                        ; -- End function
	.set _ZN7rocprim17ROCPRIM_400000_NS6detail17trampoline_kernelINS0_14default_configENS1_38merge_sort_block_merge_config_selectorIlNS0_10empty_typeEEEZZNS1_27merge_sort_block_merge_implIS3_PlPS5_mZN2at6native12_GLOBAL__N_124unique_dim_cuda_templateIhEESt5tupleIJNSA_6TensorESF_SF_EERKSF_lbbbEUlllE_EE10hipError_tT0_T1_T2_jT3_P12ihipStream_tbPNSt15iterator_traitsISL_E10value_typeEPNSR_ISM_E10value_typeEPSN_NS1_7vsmem_tEENKUlT_SL_SM_SN_E_clIS8_S8_S9_S9_EESK_S10_SL_SM_SN_EUlS10_E_NS1_11comp_targetILNS1_3genE2ELNS1_11target_archE906ELNS1_3gpuE6ELNS1_3repE0EEENS1_48merge_mergepath_partition_config_static_selectorELNS0_4arch9wavefront6targetE0EEEvSM_.num_vgpr, 0
	.set _ZN7rocprim17ROCPRIM_400000_NS6detail17trampoline_kernelINS0_14default_configENS1_38merge_sort_block_merge_config_selectorIlNS0_10empty_typeEEEZZNS1_27merge_sort_block_merge_implIS3_PlPS5_mZN2at6native12_GLOBAL__N_124unique_dim_cuda_templateIhEESt5tupleIJNSA_6TensorESF_SF_EERKSF_lbbbEUlllE_EE10hipError_tT0_T1_T2_jT3_P12ihipStream_tbPNSt15iterator_traitsISL_E10value_typeEPNSR_ISM_E10value_typeEPSN_NS1_7vsmem_tEENKUlT_SL_SM_SN_E_clIS8_S8_S9_S9_EESK_S10_SL_SM_SN_EUlS10_E_NS1_11comp_targetILNS1_3genE2ELNS1_11target_archE906ELNS1_3gpuE6ELNS1_3repE0EEENS1_48merge_mergepath_partition_config_static_selectorELNS0_4arch9wavefront6targetE0EEEvSM_.num_agpr, 0
	.set _ZN7rocprim17ROCPRIM_400000_NS6detail17trampoline_kernelINS0_14default_configENS1_38merge_sort_block_merge_config_selectorIlNS0_10empty_typeEEEZZNS1_27merge_sort_block_merge_implIS3_PlPS5_mZN2at6native12_GLOBAL__N_124unique_dim_cuda_templateIhEESt5tupleIJNSA_6TensorESF_SF_EERKSF_lbbbEUlllE_EE10hipError_tT0_T1_T2_jT3_P12ihipStream_tbPNSt15iterator_traitsISL_E10value_typeEPNSR_ISM_E10value_typeEPSN_NS1_7vsmem_tEENKUlT_SL_SM_SN_E_clIS8_S8_S9_S9_EESK_S10_SL_SM_SN_EUlS10_E_NS1_11comp_targetILNS1_3genE2ELNS1_11target_archE906ELNS1_3gpuE6ELNS1_3repE0EEENS1_48merge_mergepath_partition_config_static_selectorELNS0_4arch9wavefront6targetE0EEEvSM_.numbered_sgpr, 0
	.set _ZN7rocprim17ROCPRIM_400000_NS6detail17trampoline_kernelINS0_14default_configENS1_38merge_sort_block_merge_config_selectorIlNS0_10empty_typeEEEZZNS1_27merge_sort_block_merge_implIS3_PlPS5_mZN2at6native12_GLOBAL__N_124unique_dim_cuda_templateIhEESt5tupleIJNSA_6TensorESF_SF_EERKSF_lbbbEUlllE_EE10hipError_tT0_T1_T2_jT3_P12ihipStream_tbPNSt15iterator_traitsISL_E10value_typeEPNSR_ISM_E10value_typeEPSN_NS1_7vsmem_tEENKUlT_SL_SM_SN_E_clIS8_S8_S9_S9_EESK_S10_SL_SM_SN_EUlS10_E_NS1_11comp_targetILNS1_3genE2ELNS1_11target_archE906ELNS1_3gpuE6ELNS1_3repE0EEENS1_48merge_mergepath_partition_config_static_selectorELNS0_4arch9wavefront6targetE0EEEvSM_.num_named_barrier, 0
	.set _ZN7rocprim17ROCPRIM_400000_NS6detail17trampoline_kernelINS0_14default_configENS1_38merge_sort_block_merge_config_selectorIlNS0_10empty_typeEEEZZNS1_27merge_sort_block_merge_implIS3_PlPS5_mZN2at6native12_GLOBAL__N_124unique_dim_cuda_templateIhEESt5tupleIJNSA_6TensorESF_SF_EERKSF_lbbbEUlllE_EE10hipError_tT0_T1_T2_jT3_P12ihipStream_tbPNSt15iterator_traitsISL_E10value_typeEPNSR_ISM_E10value_typeEPSN_NS1_7vsmem_tEENKUlT_SL_SM_SN_E_clIS8_S8_S9_S9_EESK_S10_SL_SM_SN_EUlS10_E_NS1_11comp_targetILNS1_3genE2ELNS1_11target_archE906ELNS1_3gpuE6ELNS1_3repE0EEENS1_48merge_mergepath_partition_config_static_selectorELNS0_4arch9wavefront6targetE0EEEvSM_.private_seg_size, 0
	.set _ZN7rocprim17ROCPRIM_400000_NS6detail17trampoline_kernelINS0_14default_configENS1_38merge_sort_block_merge_config_selectorIlNS0_10empty_typeEEEZZNS1_27merge_sort_block_merge_implIS3_PlPS5_mZN2at6native12_GLOBAL__N_124unique_dim_cuda_templateIhEESt5tupleIJNSA_6TensorESF_SF_EERKSF_lbbbEUlllE_EE10hipError_tT0_T1_T2_jT3_P12ihipStream_tbPNSt15iterator_traitsISL_E10value_typeEPNSR_ISM_E10value_typeEPSN_NS1_7vsmem_tEENKUlT_SL_SM_SN_E_clIS8_S8_S9_S9_EESK_S10_SL_SM_SN_EUlS10_E_NS1_11comp_targetILNS1_3genE2ELNS1_11target_archE906ELNS1_3gpuE6ELNS1_3repE0EEENS1_48merge_mergepath_partition_config_static_selectorELNS0_4arch9wavefront6targetE0EEEvSM_.uses_vcc, 0
	.set _ZN7rocprim17ROCPRIM_400000_NS6detail17trampoline_kernelINS0_14default_configENS1_38merge_sort_block_merge_config_selectorIlNS0_10empty_typeEEEZZNS1_27merge_sort_block_merge_implIS3_PlPS5_mZN2at6native12_GLOBAL__N_124unique_dim_cuda_templateIhEESt5tupleIJNSA_6TensorESF_SF_EERKSF_lbbbEUlllE_EE10hipError_tT0_T1_T2_jT3_P12ihipStream_tbPNSt15iterator_traitsISL_E10value_typeEPNSR_ISM_E10value_typeEPSN_NS1_7vsmem_tEENKUlT_SL_SM_SN_E_clIS8_S8_S9_S9_EESK_S10_SL_SM_SN_EUlS10_E_NS1_11comp_targetILNS1_3genE2ELNS1_11target_archE906ELNS1_3gpuE6ELNS1_3repE0EEENS1_48merge_mergepath_partition_config_static_selectorELNS0_4arch9wavefront6targetE0EEEvSM_.uses_flat_scratch, 0
	.set _ZN7rocprim17ROCPRIM_400000_NS6detail17trampoline_kernelINS0_14default_configENS1_38merge_sort_block_merge_config_selectorIlNS0_10empty_typeEEEZZNS1_27merge_sort_block_merge_implIS3_PlPS5_mZN2at6native12_GLOBAL__N_124unique_dim_cuda_templateIhEESt5tupleIJNSA_6TensorESF_SF_EERKSF_lbbbEUlllE_EE10hipError_tT0_T1_T2_jT3_P12ihipStream_tbPNSt15iterator_traitsISL_E10value_typeEPNSR_ISM_E10value_typeEPSN_NS1_7vsmem_tEENKUlT_SL_SM_SN_E_clIS8_S8_S9_S9_EESK_S10_SL_SM_SN_EUlS10_E_NS1_11comp_targetILNS1_3genE2ELNS1_11target_archE906ELNS1_3gpuE6ELNS1_3repE0EEENS1_48merge_mergepath_partition_config_static_selectorELNS0_4arch9wavefront6targetE0EEEvSM_.has_dyn_sized_stack, 0
	.set _ZN7rocprim17ROCPRIM_400000_NS6detail17trampoline_kernelINS0_14default_configENS1_38merge_sort_block_merge_config_selectorIlNS0_10empty_typeEEEZZNS1_27merge_sort_block_merge_implIS3_PlPS5_mZN2at6native12_GLOBAL__N_124unique_dim_cuda_templateIhEESt5tupleIJNSA_6TensorESF_SF_EERKSF_lbbbEUlllE_EE10hipError_tT0_T1_T2_jT3_P12ihipStream_tbPNSt15iterator_traitsISL_E10value_typeEPNSR_ISM_E10value_typeEPSN_NS1_7vsmem_tEENKUlT_SL_SM_SN_E_clIS8_S8_S9_S9_EESK_S10_SL_SM_SN_EUlS10_E_NS1_11comp_targetILNS1_3genE2ELNS1_11target_archE906ELNS1_3gpuE6ELNS1_3repE0EEENS1_48merge_mergepath_partition_config_static_selectorELNS0_4arch9wavefront6targetE0EEEvSM_.has_recursion, 0
	.set _ZN7rocprim17ROCPRIM_400000_NS6detail17trampoline_kernelINS0_14default_configENS1_38merge_sort_block_merge_config_selectorIlNS0_10empty_typeEEEZZNS1_27merge_sort_block_merge_implIS3_PlPS5_mZN2at6native12_GLOBAL__N_124unique_dim_cuda_templateIhEESt5tupleIJNSA_6TensorESF_SF_EERKSF_lbbbEUlllE_EE10hipError_tT0_T1_T2_jT3_P12ihipStream_tbPNSt15iterator_traitsISL_E10value_typeEPNSR_ISM_E10value_typeEPSN_NS1_7vsmem_tEENKUlT_SL_SM_SN_E_clIS8_S8_S9_S9_EESK_S10_SL_SM_SN_EUlS10_E_NS1_11comp_targetILNS1_3genE2ELNS1_11target_archE906ELNS1_3gpuE6ELNS1_3repE0EEENS1_48merge_mergepath_partition_config_static_selectorELNS0_4arch9wavefront6targetE0EEEvSM_.has_indirect_call, 0
	.section	.AMDGPU.csdata,"",@progbits
; Kernel info:
; codeLenInByte = 0
; TotalNumSgprs: 0
; NumVgprs: 0
; ScratchSize: 0
; MemoryBound: 0
; FloatMode: 240
; IeeeMode: 1
; LDSByteSize: 0 bytes/workgroup (compile time only)
; SGPRBlocks: 0
; VGPRBlocks: 0
; NumSGPRsForWavesPerEU: 1
; NumVGPRsForWavesPerEU: 1
; NamedBarCnt: 0
; Occupancy: 16
; WaveLimiterHint : 0
; COMPUTE_PGM_RSRC2:SCRATCH_EN: 0
; COMPUTE_PGM_RSRC2:USER_SGPR: 2
; COMPUTE_PGM_RSRC2:TRAP_HANDLER: 0
; COMPUTE_PGM_RSRC2:TGID_X_EN: 1
; COMPUTE_PGM_RSRC2:TGID_Y_EN: 0
; COMPUTE_PGM_RSRC2:TGID_Z_EN: 0
; COMPUTE_PGM_RSRC2:TIDIG_COMP_CNT: 0
	.section	.text._ZN7rocprim17ROCPRIM_400000_NS6detail17trampoline_kernelINS0_14default_configENS1_38merge_sort_block_merge_config_selectorIlNS0_10empty_typeEEEZZNS1_27merge_sort_block_merge_implIS3_PlPS5_mZN2at6native12_GLOBAL__N_124unique_dim_cuda_templateIhEESt5tupleIJNSA_6TensorESF_SF_EERKSF_lbbbEUlllE_EE10hipError_tT0_T1_T2_jT3_P12ihipStream_tbPNSt15iterator_traitsISL_E10value_typeEPNSR_ISM_E10value_typeEPSN_NS1_7vsmem_tEENKUlT_SL_SM_SN_E_clIS8_S8_S9_S9_EESK_S10_SL_SM_SN_EUlS10_E_NS1_11comp_targetILNS1_3genE9ELNS1_11target_archE1100ELNS1_3gpuE3ELNS1_3repE0EEENS1_48merge_mergepath_partition_config_static_selectorELNS0_4arch9wavefront6targetE0EEEvSM_,"axG",@progbits,_ZN7rocprim17ROCPRIM_400000_NS6detail17trampoline_kernelINS0_14default_configENS1_38merge_sort_block_merge_config_selectorIlNS0_10empty_typeEEEZZNS1_27merge_sort_block_merge_implIS3_PlPS5_mZN2at6native12_GLOBAL__N_124unique_dim_cuda_templateIhEESt5tupleIJNSA_6TensorESF_SF_EERKSF_lbbbEUlllE_EE10hipError_tT0_T1_T2_jT3_P12ihipStream_tbPNSt15iterator_traitsISL_E10value_typeEPNSR_ISM_E10value_typeEPSN_NS1_7vsmem_tEENKUlT_SL_SM_SN_E_clIS8_S8_S9_S9_EESK_S10_SL_SM_SN_EUlS10_E_NS1_11comp_targetILNS1_3genE9ELNS1_11target_archE1100ELNS1_3gpuE3ELNS1_3repE0EEENS1_48merge_mergepath_partition_config_static_selectorELNS0_4arch9wavefront6targetE0EEEvSM_,comdat
	.globl	_ZN7rocprim17ROCPRIM_400000_NS6detail17trampoline_kernelINS0_14default_configENS1_38merge_sort_block_merge_config_selectorIlNS0_10empty_typeEEEZZNS1_27merge_sort_block_merge_implIS3_PlPS5_mZN2at6native12_GLOBAL__N_124unique_dim_cuda_templateIhEESt5tupleIJNSA_6TensorESF_SF_EERKSF_lbbbEUlllE_EE10hipError_tT0_T1_T2_jT3_P12ihipStream_tbPNSt15iterator_traitsISL_E10value_typeEPNSR_ISM_E10value_typeEPSN_NS1_7vsmem_tEENKUlT_SL_SM_SN_E_clIS8_S8_S9_S9_EESK_S10_SL_SM_SN_EUlS10_E_NS1_11comp_targetILNS1_3genE9ELNS1_11target_archE1100ELNS1_3gpuE3ELNS1_3repE0EEENS1_48merge_mergepath_partition_config_static_selectorELNS0_4arch9wavefront6targetE0EEEvSM_ ; -- Begin function _ZN7rocprim17ROCPRIM_400000_NS6detail17trampoline_kernelINS0_14default_configENS1_38merge_sort_block_merge_config_selectorIlNS0_10empty_typeEEEZZNS1_27merge_sort_block_merge_implIS3_PlPS5_mZN2at6native12_GLOBAL__N_124unique_dim_cuda_templateIhEESt5tupleIJNSA_6TensorESF_SF_EERKSF_lbbbEUlllE_EE10hipError_tT0_T1_T2_jT3_P12ihipStream_tbPNSt15iterator_traitsISL_E10value_typeEPNSR_ISM_E10value_typeEPSN_NS1_7vsmem_tEENKUlT_SL_SM_SN_E_clIS8_S8_S9_S9_EESK_S10_SL_SM_SN_EUlS10_E_NS1_11comp_targetILNS1_3genE9ELNS1_11target_archE1100ELNS1_3gpuE3ELNS1_3repE0EEENS1_48merge_mergepath_partition_config_static_selectorELNS0_4arch9wavefront6targetE0EEEvSM_
	.p2align	8
	.type	_ZN7rocprim17ROCPRIM_400000_NS6detail17trampoline_kernelINS0_14default_configENS1_38merge_sort_block_merge_config_selectorIlNS0_10empty_typeEEEZZNS1_27merge_sort_block_merge_implIS3_PlPS5_mZN2at6native12_GLOBAL__N_124unique_dim_cuda_templateIhEESt5tupleIJNSA_6TensorESF_SF_EERKSF_lbbbEUlllE_EE10hipError_tT0_T1_T2_jT3_P12ihipStream_tbPNSt15iterator_traitsISL_E10value_typeEPNSR_ISM_E10value_typeEPSN_NS1_7vsmem_tEENKUlT_SL_SM_SN_E_clIS8_S8_S9_S9_EESK_S10_SL_SM_SN_EUlS10_E_NS1_11comp_targetILNS1_3genE9ELNS1_11target_archE1100ELNS1_3gpuE3ELNS1_3repE0EEENS1_48merge_mergepath_partition_config_static_selectorELNS0_4arch9wavefront6targetE0EEEvSM_,@function
_ZN7rocprim17ROCPRIM_400000_NS6detail17trampoline_kernelINS0_14default_configENS1_38merge_sort_block_merge_config_selectorIlNS0_10empty_typeEEEZZNS1_27merge_sort_block_merge_implIS3_PlPS5_mZN2at6native12_GLOBAL__N_124unique_dim_cuda_templateIhEESt5tupleIJNSA_6TensorESF_SF_EERKSF_lbbbEUlllE_EE10hipError_tT0_T1_T2_jT3_P12ihipStream_tbPNSt15iterator_traitsISL_E10value_typeEPNSR_ISM_E10value_typeEPSN_NS1_7vsmem_tEENKUlT_SL_SM_SN_E_clIS8_S8_S9_S9_EESK_S10_SL_SM_SN_EUlS10_E_NS1_11comp_targetILNS1_3genE9ELNS1_11target_archE1100ELNS1_3gpuE3ELNS1_3repE0EEENS1_48merge_mergepath_partition_config_static_selectorELNS0_4arch9wavefront6targetE0EEEvSM_: ; @_ZN7rocprim17ROCPRIM_400000_NS6detail17trampoline_kernelINS0_14default_configENS1_38merge_sort_block_merge_config_selectorIlNS0_10empty_typeEEEZZNS1_27merge_sort_block_merge_implIS3_PlPS5_mZN2at6native12_GLOBAL__N_124unique_dim_cuda_templateIhEESt5tupleIJNSA_6TensorESF_SF_EERKSF_lbbbEUlllE_EE10hipError_tT0_T1_T2_jT3_P12ihipStream_tbPNSt15iterator_traitsISL_E10value_typeEPNSR_ISM_E10value_typeEPSN_NS1_7vsmem_tEENKUlT_SL_SM_SN_E_clIS8_S8_S9_S9_EESK_S10_SL_SM_SN_EUlS10_E_NS1_11comp_targetILNS1_3genE9ELNS1_11target_archE1100ELNS1_3gpuE3ELNS1_3repE0EEENS1_48merge_mergepath_partition_config_static_selectorELNS0_4arch9wavefront6targetE0EEEvSM_
; %bb.0:
	.section	.rodata,"a",@progbits
	.p2align	6, 0x0
	.amdhsa_kernel _ZN7rocprim17ROCPRIM_400000_NS6detail17trampoline_kernelINS0_14default_configENS1_38merge_sort_block_merge_config_selectorIlNS0_10empty_typeEEEZZNS1_27merge_sort_block_merge_implIS3_PlPS5_mZN2at6native12_GLOBAL__N_124unique_dim_cuda_templateIhEESt5tupleIJNSA_6TensorESF_SF_EERKSF_lbbbEUlllE_EE10hipError_tT0_T1_T2_jT3_P12ihipStream_tbPNSt15iterator_traitsISL_E10value_typeEPNSR_ISM_E10value_typeEPSN_NS1_7vsmem_tEENKUlT_SL_SM_SN_E_clIS8_S8_S9_S9_EESK_S10_SL_SM_SN_EUlS10_E_NS1_11comp_targetILNS1_3genE9ELNS1_11target_archE1100ELNS1_3gpuE3ELNS1_3repE0EEENS1_48merge_mergepath_partition_config_static_selectorELNS0_4arch9wavefront6targetE0EEEvSM_
		.amdhsa_group_segment_fixed_size 0
		.amdhsa_private_segment_fixed_size 0
		.amdhsa_kernarg_size 56
		.amdhsa_user_sgpr_count 2
		.amdhsa_user_sgpr_dispatch_ptr 0
		.amdhsa_user_sgpr_queue_ptr 0
		.amdhsa_user_sgpr_kernarg_segment_ptr 1
		.amdhsa_user_sgpr_dispatch_id 0
		.amdhsa_user_sgpr_kernarg_preload_length 0
		.amdhsa_user_sgpr_kernarg_preload_offset 0
		.amdhsa_user_sgpr_private_segment_size 0
		.amdhsa_wavefront_size32 1
		.amdhsa_uses_dynamic_stack 0
		.amdhsa_enable_private_segment 0
		.amdhsa_system_sgpr_workgroup_id_x 1
		.amdhsa_system_sgpr_workgroup_id_y 0
		.amdhsa_system_sgpr_workgroup_id_z 0
		.amdhsa_system_sgpr_workgroup_info 0
		.amdhsa_system_vgpr_workitem_id 0
		.amdhsa_next_free_vgpr 1
		.amdhsa_next_free_sgpr 1
		.amdhsa_named_barrier_count 0
		.amdhsa_reserve_vcc 0
		.amdhsa_float_round_mode_32 0
		.amdhsa_float_round_mode_16_64 0
		.amdhsa_float_denorm_mode_32 3
		.amdhsa_float_denorm_mode_16_64 3
		.amdhsa_fp16_overflow 0
		.amdhsa_memory_ordered 1
		.amdhsa_forward_progress 1
		.amdhsa_inst_pref_size 0
		.amdhsa_round_robin_scheduling 0
		.amdhsa_exception_fp_ieee_invalid_op 0
		.amdhsa_exception_fp_denorm_src 0
		.amdhsa_exception_fp_ieee_div_zero 0
		.amdhsa_exception_fp_ieee_overflow 0
		.amdhsa_exception_fp_ieee_underflow 0
		.amdhsa_exception_fp_ieee_inexact 0
		.amdhsa_exception_int_div_zero 0
	.end_amdhsa_kernel
	.section	.text._ZN7rocprim17ROCPRIM_400000_NS6detail17trampoline_kernelINS0_14default_configENS1_38merge_sort_block_merge_config_selectorIlNS0_10empty_typeEEEZZNS1_27merge_sort_block_merge_implIS3_PlPS5_mZN2at6native12_GLOBAL__N_124unique_dim_cuda_templateIhEESt5tupleIJNSA_6TensorESF_SF_EERKSF_lbbbEUlllE_EE10hipError_tT0_T1_T2_jT3_P12ihipStream_tbPNSt15iterator_traitsISL_E10value_typeEPNSR_ISM_E10value_typeEPSN_NS1_7vsmem_tEENKUlT_SL_SM_SN_E_clIS8_S8_S9_S9_EESK_S10_SL_SM_SN_EUlS10_E_NS1_11comp_targetILNS1_3genE9ELNS1_11target_archE1100ELNS1_3gpuE3ELNS1_3repE0EEENS1_48merge_mergepath_partition_config_static_selectorELNS0_4arch9wavefront6targetE0EEEvSM_,"axG",@progbits,_ZN7rocprim17ROCPRIM_400000_NS6detail17trampoline_kernelINS0_14default_configENS1_38merge_sort_block_merge_config_selectorIlNS0_10empty_typeEEEZZNS1_27merge_sort_block_merge_implIS3_PlPS5_mZN2at6native12_GLOBAL__N_124unique_dim_cuda_templateIhEESt5tupleIJNSA_6TensorESF_SF_EERKSF_lbbbEUlllE_EE10hipError_tT0_T1_T2_jT3_P12ihipStream_tbPNSt15iterator_traitsISL_E10value_typeEPNSR_ISM_E10value_typeEPSN_NS1_7vsmem_tEENKUlT_SL_SM_SN_E_clIS8_S8_S9_S9_EESK_S10_SL_SM_SN_EUlS10_E_NS1_11comp_targetILNS1_3genE9ELNS1_11target_archE1100ELNS1_3gpuE3ELNS1_3repE0EEENS1_48merge_mergepath_partition_config_static_selectorELNS0_4arch9wavefront6targetE0EEEvSM_,comdat
.Lfunc_end24:
	.size	_ZN7rocprim17ROCPRIM_400000_NS6detail17trampoline_kernelINS0_14default_configENS1_38merge_sort_block_merge_config_selectorIlNS0_10empty_typeEEEZZNS1_27merge_sort_block_merge_implIS3_PlPS5_mZN2at6native12_GLOBAL__N_124unique_dim_cuda_templateIhEESt5tupleIJNSA_6TensorESF_SF_EERKSF_lbbbEUlllE_EE10hipError_tT0_T1_T2_jT3_P12ihipStream_tbPNSt15iterator_traitsISL_E10value_typeEPNSR_ISM_E10value_typeEPSN_NS1_7vsmem_tEENKUlT_SL_SM_SN_E_clIS8_S8_S9_S9_EESK_S10_SL_SM_SN_EUlS10_E_NS1_11comp_targetILNS1_3genE9ELNS1_11target_archE1100ELNS1_3gpuE3ELNS1_3repE0EEENS1_48merge_mergepath_partition_config_static_selectorELNS0_4arch9wavefront6targetE0EEEvSM_, .Lfunc_end24-_ZN7rocprim17ROCPRIM_400000_NS6detail17trampoline_kernelINS0_14default_configENS1_38merge_sort_block_merge_config_selectorIlNS0_10empty_typeEEEZZNS1_27merge_sort_block_merge_implIS3_PlPS5_mZN2at6native12_GLOBAL__N_124unique_dim_cuda_templateIhEESt5tupleIJNSA_6TensorESF_SF_EERKSF_lbbbEUlllE_EE10hipError_tT0_T1_T2_jT3_P12ihipStream_tbPNSt15iterator_traitsISL_E10value_typeEPNSR_ISM_E10value_typeEPSN_NS1_7vsmem_tEENKUlT_SL_SM_SN_E_clIS8_S8_S9_S9_EESK_S10_SL_SM_SN_EUlS10_E_NS1_11comp_targetILNS1_3genE9ELNS1_11target_archE1100ELNS1_3gpuE3ELNS1_3repE0EEENS1_48merge_mergepath_partition_config_static_selectorELNS0_4arch9wavefront6targetE0EEEvSM_
                                        ; -- End function
	.set _ZN7rocprim17ROCPRIM_400000_NS6detail17trampoline_kernelINS0_14default_configENS1_38merge_sort_block_merge_config_selectorIlNS0_10empty_typeEEEZZNS1_27merge_sort_block_merge_implIS3_PlPS5_mZN2at6native12_GLOBAL__N_124unique_dim_cuda_templateIhEESt5tupleIJNSA_6TensorESF_SF_EERKSF_lbbbEUlllE_EE10hipError_tT0_T1_T2_jT3_P12ihipStream_tbPNSt15iterator_traitsISL_E10value_typeEPNSR_ISM_E10value_typeEPSN_NS1_7vsmem_tEENKUlT_SL_SM_SN_E_clIS8_S8_S9_S9_EESK_S10_SL_SM_SN_EUlS10_E_NS1_11comp_targetILNS1_3genE9ELNS1_11target_archE1100ELNS1_3gpuE3ELNS1_3repE0EEENS1_48merge_mergepath_partition_config_static_selectorELNS0_4arch9wavefront6targetE0EEEvSM_.num_vgpr, 0
	.set _ZN7rocprim17ROCPRIM_400000_NS6detail17trampoline_kernelINS0_14default_configENS1_38merge_sort_block_merge_config_selectorIlNS0_10empty_typeEEEZZNS1_27merge_sort_block_merge_implIS3_PlPS5_mZN2at6native12_GLOBAL__N_124unique_dim_cuda_templateIhEESt5tupleIJNSA_6TensorESF_SF_EERKSF_lbbbEUlllE_EE10hipError_tT0_T1_T2_jT3_P12ihipStream_tbPNSt15iterator_traitsISL_E10value_typeEPNSR_ISM_E10value_typeEPSN_NS1_7vsmem_tEENKUlT_SL_SM_SN_E_clIS8_S8_S9_S9_EESK_S10_SL_SM_SN_EUlS10_E_NS1_11comp_targetILNS1_3genE9ELNS1_11target_archE1100ELNS1_3gpuE3ELNS1_3repE0EEENS1_48merge_mergepath_partition_config_static_selectorELNS0_4arch9wavefront6targetE0EEEvSM_.num_agpr, 0
	.set _ZN7rocprim17ROCPRIM_400000_NS6detail17trampoline_kernelINS0_14default_configENS1_38merge_sort_block_merge_config_selectorIlNS0_10empty_typeEEEZZNS1_27merge_sort_block_merge_implIS3_PlPS5_mZN2at6native12_GLOBAL__N_124unique_dim_cuda_templateIhEESt5tupleIJNSA_6TensorESF_SF_EERKSF_lbbbEUlllE_EE10hipError_tT0_T1_T2_jT3_P12ihipStream_tbPNSt15iterator_traitsISL_E10value_typeEPNSR_ISM_E10value_typeEPSN_NS1_7vsmem_tEENKUlT_SL_SM_SN_E_clIS8_S8_S9_S9_EESK_S10_SL_SM_SN_EUlS10_E_NS1_11comp_targetILNS1_3genE9ELNS1_11target_archE1100ELNS1_3gpuE3ELNS1_3repE0EEENS1_48merge_mergepath_partition_config_static_selectorELNS0_4arch9wavefront6targetE0EEEvSM_.numbered_sgpr, 0
	.set _ZN7rocprim17ROCPRIM_400000_NS6detail17trampoline_kernelINS0_14default_configENS1_38merge_sort_block_merge_config_selectorIlNS0_10empty_typeEEEZZNS1_27merge_sort_block_merge_implIS3_PlPS5_mZN2at6native12_GLOBAL__N_124unique_dim_cuda_templateIhEESt5tupleIJNSA_6TensorESF_SF_EERKSF_lbbbEUlllE_EE10hipError_tT0_T1_T2_jT3_P12ihipStream_tbPNSt15iterator_traitsISL_E10value_typeEPNSR_ISM_E10value_typeEPSN_NS1_7vsmem_tEENKUlT_SL_SM_SN_E_clIS8_S8_S9_S9_EESK_S10_SL_SM_SN_EUlS10_E_NS1_11comp_targetILNS1_3genE9ELNS1_11target_archE1100ELNS1_3gpuE3ELNS1_3repE0EEENS1_48merge_mergepath_partition_config_static_selectorELNS0_4arch9wavefront6targetE0EEEvSM_.num_named_barrier, 0
	.set _ZN7rocprim17ROCPRIM_400000_NS6detail17trampoline_kernelINS0_14default_configENS1_38merge_sort_block_merge_config_selectorIlNS0_10empty_typeEEEZZNS1_27merge_sort_block_merge_implIS3_PlPS5_mZN2at6native12_GLOBAL__N_124unique_dim_cuda_templateIhEESt5tupleIJNSA_6TensorESF_SF_EERKSF_lbbbEUlllE_EE10hipError_tT0_T1_T2_jT3_P12ihipStream_tbPNSt15iterator_traitsISL_E10value_typeEPNSR_ISM_E10value_typeEPSN_NS1_7vsmem_tEENKUlT_SL_SM_SN_E_clIS8_S8_S9_S9_EESK_S10_SL_SM_SN_EUlS10_E_NS1_11comp_targetILNS1_3genE9ELNS1_11target_archE1100ELNS1_3gpuE3ELNS1_3repE0EEENS1_48merge_mergepath_partition_config_static_selectorELNS0_4arch9wavefront6targetE0EEEvSM_.private_seg_size, 0
	.set _ZN7rocprim17ROCPRIM_400000_NS6detail17trampoline_kernelINS0_14default_configENS1_38merge_sort_block_merge_config_selectorIlNS0_10empty_typeEEEZZNS1_27merge_sort_block_merge_implIS3_PlPS5_mZN2at6native12_GLOBAL__N_124unique_dim_cuda_templateIhEESt5tupleIJNSA_6TensorESF_SF_EERKSF_lbbbEUlllE_EE10hipError_tT0_T1_T2_jT3_P12ihipStream_tbPNSt15iterator_traitsISL_E10value_typeEPNSR_ISM_E10value_typeEPSN_NS1_7vsmem_tEENKUlT_SL_SM_SN_E_clIS8_S8_S9_S9_EESK_S10_SL_SM_SN_EUlS10_E_NS1_11comp_targetILNS1_3genE9ELNS1_11target_archE1100ELNS1_3gpuE3ELNS1_3repE0EEENS1_48merge_mergepath_partition_config_static_selectorELNS0_4arch9wavefront6targetE0EEEvSM_.uses_vcc, 0
	.set _ZN7rocprim17ROCPRIM_400000_NS6detail17trampoline_kernelINS0_14default_configENS1_38merge_sort_block_merge_config_selectorIlNS0_10empty_typeEEEZZNS1_27merge_sort_block_merge_implIS3_PlPS5_mZN2at6native12_GLOBAL__N_124unique_dim_cuda_templateIhEESt5tupleIJNSA_6TensorESF_SF_EERKSF_lbbbEUlllE_EE10hipError_tT0_T1_T2_jT3_P12ihipStream_tbPNSt15iterator_traitsISL_E10value_typeEPNSR_ISM_E10value_typeEPSN_NS1_7vsmem_tEENKUlT_SL_SM_SN_E_clIS8_S8_S9_S9_EESK_S10_SL_SM_SN_EUlS10_E_NS1_11comp_targetILNS1_3genE9ELNS1_11target_archE1100ELNS1_3gpuE3ELNS1_3repE0EEENS1_48merge_mergepath_partition_config_static_selectorELNS0_4arch9wavefront6targetE0EEEvSM_.uses_flat_scratch, 0
	.set _ZN7rocprim17ROCPRIM_400000_NS6detail17trampoline_kernelINS0_14default_configENS1_38merge_sort_block_merge_config_selectorIlNS0_10empty_typeEEEZZNS1_27merge_sort_block_merge_implIS3_PlPS5_mZN2at6native12_GLOBAL__N_124unique_dim_cuda_templateIhEESt5tupleIJNSA_6TensorESF_SF_EERKSF_lbbbEUlllE_EE10hipError_tT0_T1_T2_jT3_P12ihipStream_tbPNSt15iterator_traitsISL_E10value_typeEPNSR_ISM_E10value_typeEPSN_NS1_7vsmem_tEENKUlT_SL_SM_SN_E_clIS8_S8_S9_S9_EESK_S10_SL_SM_SN_EUlS10_E_NS1_11comp_targetILNS1_3genE9ELNS1_11target_archE1100ELNS1_3gpuE3ELNS1_3repE0EEENS1_48merge_mergepath_partition_config_static_selectorELNS0_4arch9wavefront6targetE0EEEvSM_.has_dyn_sized_stack, 0
	.set _ZN7rocprim17ROCPRIM_400000_NS6detail17trampoline_kernelINS0_14default_configENS1_38merge_sort_block_merge_config_selectorIlNS0_10empty_typeEEEZZNS1_27merge_sort_block_merge_implIS3_PlPS5_mZN2at6native12_GLOBAL__N_124unique_dim_cuda_templateIhEESt5tupleIJNSA_6TensorESF_SF_EERKSF_lbbbEUlllE_EE10hipError_tT0_T1_T2_jT3_P12ihipStream_tbPNSt15iterator_traitsISL_E10value_typeEPNSR_ISM_E10value_typeEPSN_NS1_7vsmem_tEENKUlT_SL_SM_SN_E_clIS8_S8_S9_S9_EESK_S10_SL_SM_SN_EUlS10_E_NS1_11comp_targetILNS1_3genE9ELNS1_11target_archE1100ELNS1_3gpuE3ELNS1_3repE0EEENS1_48merge_mergepath_partition_config_static_selectorELNS0_4arch9wavefront6targetE0EEEvSM_.has_recursion, 0
	.set _ZN7rocprim17ROCPRIM_400000_NS6detail17trampoline_kernelINS0_14default_configENS1_38merge_sort_block_merge_config_selectorIlNS0_10empty_typeEEEZZNS1_27merge_sort_block_merge_implIS3_PlPS5_mZN2at6native12_GLOBAL__N_124unique_dim_cuda_templateIhEESt5tupleIJNSA_6TensorESF_SF_EERKSF_lbbbEUlllE_EE10hipError_tT0_T1_T2_jT3_P12ihipStream_tbPNSt15iterator_traitsISL_E10value_typeEPNSR_ISM_E10value_typeEPSN_NS1_7vsmem_tEENKUlT_SL_SM_SN_E_clIS8_S8_S9_S9_EESK_S10_SL_SM_SN_EUlS10_E_NS1_11comp_targetILNS1_3genE9ELNS1_11target_archE1100ELNS1_3gpuE3ELNS1_3repE0EEENS1_48merge_mergepath_partition_config_static_selectorELNS0_4arch9wavefront6targetE0EEEvSM_.has_indirect_call, 0
	.section	.AMDGPU.csdata,"",@progbits
; Kernel info:
; codeLenInByte = 0
; TotalNumSgprs: 0
; NumVgprs: 0
; ScratchSize: 0
; MemoryBound: 0
; FloatMode: 240
; IeeeMode: 1
; LDSByteSize: 0 bytes/workgroup (compile time only)
; SGPRBlocks: 0
; VGPRBlocks: 0
; NumSGPRsForWavesPerEU: 1
; NumVGPRsForWavesPerEU: 1
; NamedBarCnt: 0
; Occupancy: 16
; WaveLimiterHint : 0
; COMPUTE_PGM_RSRC2:SCRATCH_EN: 0
; COMPUTE_PGM_RSRC2:USER_SGPR: 2
; COMPUTE_PGM_RSRC2:TRAP_HANDLER: 0
; COMPUTE_PGM_RSRC2:TGID_X_EN: 1
; COMPUTE_PGM_RSRC2:TGID_Y_EN: 0
; COMPUTE_PGM_RSRC2:TGID_Z_EN: 0
; COMPUTE_PGM_RSRC2:TIDIG_COMP_CNT: 0
	.section	.text._ZN7rocprim17ROCPRIM_400000_NS6detail17trampoline_kernelINS0_14default_configENS1_38merge_sort_block_merge_config_selectorIlNS0_10empty_typeEEEZZNS1_27merge_sort_block_merge_implIS3_PlPS5_mZN2at6native12_GLOBAL__N_124unique_dim_cuda_templateIhEESt5tupleIJNSA_6TensorESF_SF_EERKSF_lbbbEUlllE_EE10hipError_tT0_T1_T2_jT3_P12ihipStream_tbPNSt15iterator_traitsISL_E10value_typeEPNSR_ISM_E10value_typeEPSN_NS1_7vsmem_tEENKUlT_SL_SM_SN_E_clIS8_S8_S9_S9_EESK_S10_SL_SM_SN_EUlS10_E_NS1_11comp_targetILNS1_3genE8ELNS1_11target_archE1030ELNS1_3gpuE2ELNS1_3repE0EEENS1_48merge_mergepath_partition_config_static_selectorELNS0_4arch9wavefront6targetE0EEEvSM_,"axG",@progbits,_ZN7rocprim17ROCPRIM_400000_NS6detail17trampoline_kernelINS0_14default_configENS1_38merge_sort_block_merge_config_selectorIlNS0_10empty_typeEEEZZNS1_27merge_sort_block_merge_implIS3_PlPS5_mZN2at6native12_GLOBAL__N_124unique_dim_cuda_templateIhEESt5tupleIJNSA_6TensorESF_SF_EERKSF_lbbbEUlllE_EE10hipError_tT0_T1_T2_jT3_P12ihipStream_tbPNSt15iterator_traitsISL_E10value_typeEPNSR_ISM_E10value_typeEPSN_NS1_7vsmem_tEENKUlT_SL_SM_SN_E_clIS8_S8_S9_S9_EESK_S10_SL_SM_SN_EUlS10_E_NS1_11comp_targetILNS1_3genE8ELNS1_11target_archE1030ELNS1_3gpuE2ELNS1_3repE0EEENS1_48merge_mergepath_partition_config_static_selectorELNS0_4arch9wavefront6targetE0EEEvSM_,comdat
	.globl	_ZN7rocprim17ROCPRIM_400000_NS6detail17trampoline_kernelINS0_14default_configENS1_38merge_sort_block_merge_config_selectorIlNS0_10empty_typeEEEZZNS1_27merge_sort_block_merge_implIS3_PlPS5_mZN2at6native12_GLOBAL__N_124unique_dim_cuda_templateIhEESt5tupleIJNSA_6TensorESF_SF_EERKSF_lbbbEUlllE_EE10hipError_tT0_T1_T2_jT3_P12ihipStream_tbPNSt15iterator_traitsISL_E10value_typeEPNSR_ISM_E10value_typeEPSN_NS1_7vsmem_tEENKUlT_SL_SM_SN_E_clIS8_S8_S9_S9_EESK_S10_SL_SM_SN_EUlS10_E_NS1_11comp_targetILNS1_3genE8ELNS1_11target_archE1030ELNS1_3gpuE2ELNS1_3repE0EEENS1_48merge_mergepath_partition_config_static_selectorELNS0_4arch9wavefront6targetE0EEEvSM_ ; -- Begin function _ZN7rocprim17ROCPRIM_400000_NS6detail17trampoline_kernelINS0_14default_configENS1_38merge_sort_block_merge_config_selectorIlNS0_10empty_typeEEEZZNS1_27merge_sort_block_merge_implIS3_PlPS5_mZN2at6native12_GLOBAL__N_124unique_dim_cuda_templateIhEESt5tupleIJNSA_6TensorESF_SF_EERKSF_lbbbEUlllE_EE10hipError_tT0_T1_T2_jT3_P12ihipStream_tbPNSt15iterator_traitsISL_E10value_typeEPNSR_ISM_E10value_typeEPSN_NS1_7vsmem_tEENKUlT_SL_SM_SN_E_clIS8_S8_S9_S9_EESK_S10_SL_SM_SN_EUlS10_E_NS1_11comp_targetILNS1_3genE8ELNS1_11target_archE1030ELNS1_3gpuE2ELNS1_3repE0EEENS1_48merge_mergepath_partition_config_static_selectorELNS0_4arch9wavefront6targetE0EEEvSM_
	.p2align	8
	.type	_ZN7rocprim17ROCPRIM_400000_NS6detail17trampoline_kernelINS0_14default_configENS1_38merge_sort_block_merge_config_selectorIlNS0_10empty_typeEEEZZNS1_27merge_sort_block_merge_implIS3_PlPS5_mZN2at6native12_GLOBAL__N_124unique_dim_cuda_templateIhEESt5tupleIJNSA_6TensorESF_SF_EERKSF_lbbbEUlllE_EE10hipError_tT0_T1_T2_jT3_P12ihipStream_tbPNSt15iterator_traitsISL_E10value_typeEPNSR_ISM_E10value_typeEPSN_NS1_7vsmem_tEENKUlT_SL_SM_SN_E_clIS8_S8_S9_S9_EESK_S10_SL_SM_SN_EUlS10_E_NS1_11comp_targetILNS1_3genE8ELNS1_11target_archE1030ELNS1_3gpuE2ELNS1_3repE0EEENS1_48merge_mergepath_partition_config_static_selectorELNS0_4arch9wavefront6targetE0EEEvSM_,@function
_ZN7rocprim17ROCPRIM_400000_NS6detail17trampoline_kernelINS0_14default_configENS1_38merge_sort_block_merge_config_selectorIlNS0_10empty_typeEEEZZNS1_27merge_sort_block_merge_implIS3_PlPS5_mZN2at6native12_GLOBAL__N_124unique_dim_cuda_templateIhEESt5tupleIJNSA_6TensorESF_SF_EERKSF_lbbbEUlllE_EE10hipError_tT0_T1_T2_jT3_P12ihipStream_tbPNSt15iterator_traitsISL_E10value_typeEPNSR_ISM_E10value_typeEPSN_NS1_7vsmem_tEENKUlT_SL_SM_SN_E_clIS8_S8_S9_S9_EESK_S10_SL_SM_SN_EUlS10_E_NS1_11comp_targetILNS1_3genE8ELNS1_11target_archE1030ELNS1_3gpuE2ELNS1_3repE0EEENS1_48merge_mergepath_partition_config_static_selectorELNS0_4arch9wavefront6targetE0EEEvSM_: ; @_ZN7rocprim17ROCPRIM_400000_NS6detail17trampoline_kernelINS0_14default_configENS1_38merge_sort_block_merge_config_selectorIlNS0_10empty_typeEEEZZNS1_27merge_sort_block_merge_implIS3_PlPS5_mZN2at6native12_GLOBAL__N_124unique_dim_cuda_templateIhEESt5tupleIJNSA_6TensorESF_SF_EERKSF_lbbbEUlllE_EE10hipError_tT0_T1_T2_jT3_P12ihipStream_tbPNSt15iterator_traitsISL_E10value_typeEPNSR_ISM_E10value_typeEPSN_NS1_7vsmem_tEENKUlT_SL_SM_SN_E_clIS8_S8_S9_S9_EESK_S10_SL_SM_SN_EUlS10_E_NS1_11comp_targetILNS1_3genE8ELNS1_11target_archE1030ELNS1_3gpuE2ELNS1_3repE0EEENS1_48merge_mergepath_partition_config_static_selectorELNS0_4arch9wavefront6targetE0EEEvSM_
; %bb.0:
	.section	.rodata,"a",@progbits
	.p2align	6, 0x0
	.amdhsa_kernel _ZN7rocprim17ROCPRIM_400000_NS6detail17trampoline_kernelINS0_14default_configENS1_38merge_sort_block_merge_config_selectorIlNS0_10empty_typeEEEZZNS1_27merge_sort_block_merge_implIS3_PlPS5_mZN2at6native12_GLOBAL__N_124unique_dim_cuda_templateIhEESt5tupleIJNSA_6TensorESF_SF_EERKSF_lbbbEUlllE_EE10hipError_tT0_T1_T2_jT3_P12ihipStream_tbPNSt15iterator_traitsISL_E10value_typeEPNSR_ISM_E10value_typeEPSN_NS1_7vsmem_tEENKUlT_SL_SM_SN_E_clIS8_S8_S9_S9_EESK_S10_SL_SM_SN_EUlS10_E_NS1_11comp_targetILNS1_3genE8ELNS1_11target_archE1030ELNS1_3gpuE2ELNS1_3repE0EEENS1_48merge_mergepath_partition_config_static_selectorELNS0_4arch9wavefront6targetE0EEEvSM_
		.amdhsa_group_segment_fixed_size 0
		.amdhsa_private_segment_fixed_size 0
		.amdhsa_kernarg_size 56
		.amdhsa_user_sgpr_count 2
		.amdhsa_user_sgpr_dispatch_ptr 0
		.amdhsa_user_sgpr_queue_ptr 0
		.amdhsa_user_sgpr_kernarg_segment_ptr 1
		.amdhsa_user_sgpr_dispatch_id 0
		.amdhsa_user_sgpr_kernarg_preload_length 0
		.amdhsa_user_sgpr_kernarg_preload_offset 0
		.amdhsa_user_sgpr_private_segment_size 0
		.amdhsa_wavefront_size32 1
		.amdhsa_uses_dynamic_stack 0
		.amdhsa_enable_private_segment 0
		.amdhsa_system_sgpr_workgroup_id_x 1
		.amdhsa_system_sgpr_workgroup_id_y 0
		.amdhsa_system_sgpr_workgroup_id_z 0
		.amdhsa_system_sgpr_workgroup_info 0
		.amdhsa_system_vgpr_workitem_id 0
		.amdhsa_next_free_vgpr 1
		.amdhsa_next_free_sgpr 1
		.amdhsa_named_barrier_count 0
		.amdhsa_reserve_vcc 0
		.amdhsa_float_round_mode_32 0
		.amdhsa_float_round_mode_16_64 0
		.amdhsa_float_denorm_mode_32 3
		.amdhsa_float_denorm_mode_16_64 3
		.amdhsa_fp16_overflow 0
		.amdhsa_memory_ordered 1
		.amdhsa_forward_progress 1
		.amdhsa_inst_pref_size 0
		.amdhsa_round_robin_scheduling 0
		.amdhsa_exception_fp_ieee_invalid_op 0
		.amdhsa_exception_fp_denorm_src 0
		.amdhsa_exception_fp_ieee_div_zero 0
		.amdhsa_exception_fp_ieee_overflow 0
		.amdhsa_exception_fp_ieee_underflow 0
		.amdhsa_exception_fp_ieee_inexact 0
		.amdhsa_exception_int_div_zero 0
	.end_amdhsa_kernel
	.section	.text._ZN7rocprim17ROCPRIM_400000_NS6detail17trampoline_kernelINS0_14default_configENS1_38merge_sort_block_merge_config_selectorIlNS0_10empty_typeEEEZZNS1_27merge_sort_block_merge_implIS3_PlPS5_mZN2at6native12_GLOBAL__N_124unique_dim_cuda_templateIhEESt5tupleIJNSA_6TensorESF_SF_EERKSF_lbbbEUlllE_EE10hipError_tT0_T1_T2_jT3_P12ihipStream_tbPNSt15iterator_traitsISL_E10value_typeEPNSR_ISM_E10value_typeEPSN_NS1_7vsmem_tEENKUlT_SL_SM_SN_E_clIS8_S8_S9_S9_EESK_S10_SL_SM_SN_EUlS10_E_NS1_11comp_targetILNS1_3genE8ELNS1_11target_archE1030ELNS1_3gpuE2ELNS1_3repE0EEENS1_48merge_mergepath_partition_config_static_selectorELNS0_4arch9wavefront6targetE0EEEvSM_,"axG",@progbits,_ZN7rocprim17ROCPRIM_400000_NS6detail17trampoline_kernelINS0_14default_configENS1_38merge_sort_block_merge_config_selectorIlNS0_10empty_typeEEEZZNS1_27merge_sort_block_merge_implIS3_PlPS5_mZN2at6native12_GLOBAL__N_124unique_dim_cuda_templateIhEESt5tupleIJNSA_6TensorESF_SF_EERKSF_lbbbEUlllE_EE10hipError_tT0_T1_T2_jT3_P12ihipStream_tbPNSt15iterator_traitsISL_E10value_typeEPNSR_ISM_E10value_typeEPSN_NS1_7vsmem_tEENKUlT_SL_SM_SN_E_clIS8_S8_S9_S9_EESK_S10_SL_SM_SN_EUlS10_E_NS1_11comp_targetILNS1_3genE8ELNS1_11target_archE1030ELNS1_3gpuE2ELNS1_3repE0EEENS1_48merge_mergepath_partition_config_static_selectorELNS0_4arch9wavefront6targetE0EEEvSM_,comdat
.Lfunc_end25:
	.size	_ZN7rocprim17ROCPRIM_400000_NS6detail17trampoline_kernelINS0_14default_configENS1_38merge_sort_block_merge_config_selectorIlNS0_10empty_typeEEEZZNS1_27merge_sort_block_merge_implIS3_PlPS5_mZN2at6native12_GLOBAL__N_124unique_dim_cuda_templateIhEESt5tupleIJNSA_6TensorESF_SF_EERKSF_lbbbEUlllE_EE10hipError_tT0_T1_T2_jT3_P12ihipStream_tbPNSt15iterator_traitsISL_E10value_typeEPNSR_ISM_E10value_typeEPSN_NS1_7vsmem_tEENKUlT_SL_SM_SN_E_clIS8_S8_S9_S9_EESK_S10_SL_SM_SN_EUlS10_E_NS1_11comp_targetILNS1_3genE8ELNS1_11target_archE1030ELNS1_3gpuE2ELNS1_3repE0EEENS1_48merge_mergepath_partition_config_static_selectorELNS0_4arch9wavefront6targetE0EEEvSM_, .Lfunc_end25-_ZN7rocprim17ROCPRIM_400000_NS6detail17trampoline_kernelINS0_14default_configENS1_38merge_sort_block_merge_config_selectorIlNS0_10empty_typeEEEZZNS1_27merge_sort_block_merge_implIS3_PlPS5_mZN2at6native12_GLOBAL__N_124unique_dim_cuda_templateIhEESt5tupleIJNSA_6TensorESF_SF_EERKSF_lbbbEUlllE_EE10hipError_tT0_T1_T2_jT3_P12ihipStream_tbPNSt15iterator_traitsISL_E10value_typeEPNSR_ISM_E10value_typeEPSN_NS1_7vsmem_tEENKUlT_SL_SM_SN_E_clIS8_S8_S9_S9_EESK_S10_SL_SM_SN_EUlS10_E_NS1_11comp_targetILNS1_3genE8ELNS1_11target_archE1030ELNS1_3gpuE2ELNS1_3repE0EEENS1_48merge_mergepath_partition_config_static_selectorELNS0_4arch9wavefront6targetE0EEEvSM_
                                        ; -- End function
	.set _ZN7rocprim17ROCPRIM_400000_NS6detail17trampoline_kernelINS0_14default_configENS1_38merge_sort_block_merge_config_selectorIlNS0_10empty_typeEEEZZNS1_27merge_sort_block_merge_implIS3_PlPS5_mZN2at6native12_GLOBAL__N_124unique_dim_cuda_templateIhEESt5tupleIJNSA_6TensorESF_SF_EERKSF_lbbbEUlllE_EE10hipError_tT0_T1_T2_jT3_P12ihipStream_tbPNSt15iterator_traitsISL_E10value_typeEPNSR_ISM_E10value_typeEPSN_NS1_7vsmem_tEENKUlT_SL_SM_SN_E_clIS8_S8_S9_S9_EESK_S10_SL_SM_SN_EUlS10_E_NS1_11comp_targetILNS1_3genE8ELNS1_11target_archE1030ELNS1_3gpuE2ELNS1_3repE0EEENS1_48merge_mergepath_partition_config_static_selectorELNS0_4arch9wavefront6targetE0EEEvSM_.num_vgpr, 0
	.set _ZN7rocprim17ROCPRIM_400000_NS6detail17trampoline_kernelINS0_14default_configENS1_38merge_sort_block_merge_config_selectorIlNS0_10empty_typeEEEZZNS1_27merge_sort_block_merge_implIS3_PlPS5_mZN2at6native12_GLOBAL__N_124unique_dim_cuda_templateIhEESt5tupleIJNSA_6TensorESF_SF_EERKSF_lbbbEUlllE_EE10hipError_tT0_T1_T2_jT3_P12ihipStream_tbPNSt15iterator_traitsISL_E10value_typeEPNSR_ISM_E10value_typeEPSN_NS1_7vsmem_tEENKUlT_SL_SM_SN_E_clIS8_S8_S9_S9_EESK_S10_SL_SM_SN_EUlS10_E_NS1_11comp_targetILNS1_3genE8ELNS1_11target_archE1030ELNS1_3gpuE2ELNS1_3repE0EEENS1_48merge_mergepath_partition_config_static_selectorELNS0_4arch9wavefront6targetE0EEEvSM_.num_agpr, 0
	.set _ZN7rocprim17ROCPRIM_400000_NS6detail17trampoline_kernelINS0_14default_configENS1_38merge_sort_block_merge_config_selectorIlNS0_10empty_typeEEEZZNS1_27merge_sort_block_merge_implIS3_PlPS5_mZN2at6native12_GLOBAL__N_124unique_dim_cuda_templateIhEESt5tupleIJNSA_6TensorESF_SF_EERKSF_lbbbEUlllE_EE10hipError_tT0_T1_T2_jT3_P12ihipStream_tbPNSt15iterator_traitsISL_E10value_typeEPNSR_ISM_E10value_typeEPSN_NS1_7vsmem_tEENKUlT_SL_SM_SN_E_clIS8_S8_S9_S9_EESK_S10_SL_SM_SN_EUlS10_E_NS1_11comp_targetILNS1_3genE8ELNS1_11target_archE1030ELNS1_3gpuE2ELNS1_3repE0EEENS1_48merge_mergepath_partition_config_static_selectorELNS0_4arch9wavefront6targetE0EEEvSM_.numbered_sgpr, 0
	.set _ZN7rocprim17ROCPRIM_400000_NS6detail17trampoline_kernelINS0_14default_configENS1_38merge_sort_block_merge_config_selectorIlNS0_10empty_typeEEEZZNS1_27merge_sort_block_merge_implIS3_PlPS5_mZN2at6native12_GLOBAL__N_124unique_dim_cuda_templateIhEESt5tupleIJNSA_6TensorESF_SF_EERKSF_lbbbEUlllE_EE10hipError_tT0_T1_T2_jT3_P12ihipStream_tbPNSt15iterator_traitsISL_E10value_typeEPNSR_ISM_E10value_typeEPSN_NS1_7vsmem_tEENKUlT_SL_SM_SN_E_clIS8_S8_S9_S9_EESK_S10_SL_SM_SN_EUlS10_E_NS1_11comp_targetILNS1_3genE8ELNS1_11target_archE1030ELNS1_3gpuE2ELNS1_3repE0EEENS1_48merge_mergepath_partition_config_static_selectorELNS0_4arch9wavefront6targetE0EEEvSM_.num_named_barrier, 0
	.set _ZN7rocprim17ROCPRIM_400000_NS6detail17trampoline_kernelINS0_14default_configENS1_38merge_sort_block_merge_config_selectorIlNS0_10empty_typeEEEZZNS1_27merge_sort_block_merge_implIS3_PlPS5_mZN2at6native12_GLOBAL__N_124unique_dim_cuda_templateIhEESt5tupleIJNSA_6TensorESF_SF_EERKSF_lbbbEUlllE_EE10hipError_tT0_T1_T2_jT3_P12ihipStream_tbPNSt15iterator_traitsISL_E10value_typeEPNSR_ISM_E10value_typeEPSN_NS1_7vsmem_tEENKUlT_SL_SM_SN_E_clIS8_S8_S9_S9_EESK_S10_SL_SM_SN_EUlS10_E_NS1_11comp_targetILNS1_3genE8ELNS1_11target_archE1030ELNS1_3gpuE2ELNS1_3repE0EEENS1_48merge_mergepath_partition_config_static_selectorELNS0_4arch9wavefront6targetE0EEEvSM_.private_seg_size, 0
	.set _ZN7rocprim17ROCPRIM_400000_NS6detail17trampoline_kernelINS0_14default_configENS1_38merge_sort_block_merge_config_selectorIlNS0_10empty_typeEEEZZNS1_27merge_sort_block_merge_implIS3_PlPS5_mZN2at6native12_GLOBAL__N_124unique_dim_cuda_templateIhEESt5tupleIJNSA_6TensorESF_SF_EERKSF_lbbbEUlllE_EE10hipError_tT0_T1_T2_jT3_P12ihipStream_tbPNSt15iterator_traitsISL_E10value_typeEPNSR_ISM_E10value_typeEPSN_NS1_7vsmem_tEENKUlT_SL_SM_SN_E_clIS8_S8_S9_S9_EESK_S10_SL_SM_SN_EUlS10_E_NS1_11comp_targetILNS1_3genE8ELNS1_11target_archE1030ELNS1_3gpuE2ELNS1_3repE0EEENS1_48merge_mergepath_partition_config_static_selectorELNS0_4arch9wavefront6targetE0EEEvSM_.uses_vcc, 0
	.set _ZN7rocprim17ROCPRIM_400000_NS6detail17trampoline_kernelINS0_14default_configENS1_38merge_sort_block_merge_config_selectorIlNS0_10empty_typeEEEZZNS1_27merge_sort_block_merge_implIS3_PlPS5_mZN2at6native12_GLOBAL__N_124unique_dim_cuda_templateIhEESt5tupleIJNSA_6TensorESF_SF_EERKSF_lbbbEUlllE_EE10hipError_tT0_T1_T2_jT3_P12ihipStream_tbPNSt15iterator_traitsISL_E10value_typeEPNSR_ISM_E10value_typeEPSN_NS1_7vsmem_tEENKUlT_SL_SM_SN_E_clIS8_S8_S9_S9_EESK_S10_SL_SM_SN_EUlS10_E_NS1_11comp_targetILNS1_3genE8ELNS1_11target_archE1030ELNS1_3gpuE2ELNS1_3repE0EEENS1_48merge_mergepath_partition_config_static_selectorELNS0_4arch9wavefront6targetE0EEEvSM_.uses_flat_scratch, 0
	.set _ZN7rocprim17ROCPRIM_400000_NS6detail17trampoline_kernelINS0_14default_configENS1_38merge_sort_block_merge_config_selectorIlNS0_10empty_typeEEEZZNS1_27merge_sort_block_merge_implIS3_PlPS5_mZN2at6native12_GLOBAL__N_124unique_dim_cuda_templateIhEESt5tupleIJNSA_6TensorESF_SF_EERKSF_lbbbEUlllE_EE10hipError_tT0_T1_T2_jT3_P12ihipStream_tbPNSt15iterator_traitsISL_E10value_typeEPNSR_ISM_E10value_typeEPSN_NS1_7vsmem_tEENKUlT_SL_SM_SN_E_clIS8_S8_S9_S9_EESK_S10_SL_SM_SN_EUlS10_E_NS1_11comp_targetILNS1_3genE8ELNS1_11target_archE1030ELNS1_3gpuE2ELNS1_3repE0EEENS1_48merge_mergepath_partition_config_static_selectorELNS0_4arch9wavefront6targetE0EEEvSM_.has_dyn_sized_stack, 0
	.set _ZN7rocprim17ROCPRIM_400000_NS6detail17trampoline_kernelINS0_14default_configENS1_38merge_sort_block_merge_config_selectorIlNS0_10empty_typeEEEZZNS1_27merge_sort_block_merge_implIS3_PlPS5_mZN2at6native12_GLOBAL__N_124unique_dim_cuda_templateIhEESt5tupleIJNSA_6TensorESF_SF_EERKSF_lbbbEUlllE_EE10hipError_tT0_T1_T2_jT3_P12ihipStream_tbPNSt15iterator_traitsISL_E10value_typeEPNSR_ISM_E10value_typeEPSN_NS1_7vsmem_tEENKUlT_SL_SM_SN_E_clIS8_S8_S9_S9_EESK_S10_SL_SM_SN_EUlS10_E_NS1_11comp_targetILNS1_3genE8ELNS1_11target_archE1030ELNS1_3gpuE2ELNS1_3repE0EEENS1_48merge_mergepath_partition_config_static_selectorELNS0_4arch9wavefront6targetE0EEEvSM_.has_recursion, 0
	.set _ZN7rocprim17ROCPRIM_400000_NS6detail17trampoline_kernelINS0_14default_configENS1_38merge_sort_block_merge_config_selectorIlNS0_10empty_typeEEEZZNS1_27merge_sort_block_merge_implIS3_PlPS5_mZN2at6native12_GLOBAL__N_124unique_dim_cuda_templateIhEESt5tupleIJNSA_6TensorESF_SF_EERKSF_lbbbEUlllE_EE10hipError_tT0_T1_T2_jT3_P12ihipStream_tbPNSt15iterator_traitsISL_E10value_typeEPNSR_ISM_E10value_typeEPSN_NS1_7vsmem_tEENKUlT_SL_SM_SN_E_clIS8_S8_S9_S9_EESK_S10_SL_SM_SN_EUlS10_E_NS1_11comp_targetILNS1_3genE8ELNS1_11target_archE1030ELNS1_3gpuE2ELNS1_3repE0EEENS1_48merge_mergepath_partition_config_static_selectorELNS0_4arch9wavefront6targetE0EEEvSM_.has_indirect_call, 0
	.section	.AMDGPU.csdata,"",@progbits
; Kernel info:
; codeLenInByte = 0
; TotalNumSgprs: 0
; NumVgprs: 0
; ScratchSize: 0
; MemoryBound: 0
; FloatMode: 240
; IeeeMode: 1
; LDSByteSize: 0 bytes/workgroup (compile time only)
; SGPRBlocks: 0
; VGPRBlocks: 0
; NumSGPRsForWavesPerEU: 1
; NumVGPRsForWavesPerEU: 1
; NamedBarCnt: 0
; Occupancy: 16
; WaveLimiterHint : 0
; COMPUTE_PGM_RSRC2:SCRATCH_EN: 0
; COMPUTE_PGM_RSRC2:USER_SGPR: 2
; COMPUTE_PGM_RSRC2:TRAP_HANDLER: 0
; COMPUTE_PGM_RSRC2:TGID_X_EN: 1
; COMPUTE_PGM_RSRC2:TGID_Y_EN: 0
; COMPUTE_PGM_RSRC2:TGID_Z_EN: 0
; COMPUTE_PGM_RSRC2:TIDIG_COMP_CNT: 0
	.section	.text._ZN7rocprim17ROCPRIM_400000_NS6detail17trampoline_kernelINS0_14default_configENS1_38merge_sort_block_merge_config_selectorIlNS0_10empty_typeEEEZZNS1_27merge_sort_block_merge_implIS3_PlPS5_mZN2at6native12_GLOBAL__N_124unique_dim_cuda_templateIhEESt5tupleIJNSA_6TensorESF_SF_EERKSF_lbbbEUlllE_EE10hipError_tT0_T1_T2_jT3_P12ihipStream_tbPNSt15iterator_traitsISL_E10value_typeEPNSR_ISM_E10value_typeEPSN_NS1_7vsmem_tEENKUlT_SL_SM_SN_E_clIS8_S8_S9_S9_EESK_S10_SL_SM_SN_EUlS10_E0_NS1_11comp_targetILNS1_3genE0ELNS1_11target_archE4294967295ELNS1_3gpuE0ELNS1_3repE0EEENS1_38merge_mergepath_config_static_selectorELNS0_4arch9wavefront6targetE0EEEvSM_,"axG",@progbits,_ZN7rocprim17ROCPRIM_400000_NS6detail17trampoline_kernelINS0_14default_configENS1_38merge_sort_block_merge_config_selectorIlNS0_10empty_typeEEEZZNS1_27merge_sort_block_merge_implIS3_PlPS5_mZN2at6native12_GLOBAL__N_124unique_dim_cuda_templateIhEESt5tupleIJNSA_6TensorESF_SF_EERKSF_lbbbEUlllE_EE10hipError_tT0_T1_T2_jT3_P12ihipStream_tbPNSt15iterator_traitsISL_E10value_typeEPNSR_ISM_E10value_typeEPSN_NS1_7vsmem_tEENKUlT_SL_SM_SN_E_clIS8_S8_S9_S9_EESK_S10_SL_SM_SN_EUlS10_E0_NS1_11comp_targetILNS1_3genE0ELNS1_11target_archE4294967295ELNS1_3gpuE0ELNS1_3repE0EEENS1_38merge_mergepath_config_static_selectorELNS0_4arch9wavefront6targetE0EEEvSM_,comdat
	.globl	_ZN7rocprim17ROCPRIM_400000_NS6detail17trampoline_kernelINS0_14default_configENS1_38merge_sort_block_merge_config_selectorIlNS0_10empty_typeEEEZZNS1_27merge_sort_block_merge_implIS3_PlPS5_mZN2at6native12_GLOBAL__N_124unique_dim_cuda_templateIhEESt5tupleIJNSA_6TensorESF_SF_EERKSF_lbbbEUlllE_EE10hipError_tT0_T1_T2_jT3_P12ihipStream_tbPNSt15iterator_traitsISL_E10value_typeEPNSR_ISM_E10value_typeEPSN_NS1_7vsmem_tEENKUlT_SL_SM_SN_E_clIS8_S8_S9_S9_EESK_S10_SL_SM_SN_EUlS10_E0_NS1_11comp_targetILNS1_3genE0ELNS1_11target_archE4294967295ELNS1_3gpuE0ELNS1_3repE0EEENS1_38merge_mergepath_config_static_selectorELNS0_4arch9wavefront6targetE0EEEvSM_ ; -- Begin function _ZN7rocprim17ROCPRIM_400000_NS6detail17trampoline_kernelINS0_14default_configENS1_38merge_sort_block_merge_config_selectorIlNS0_10empty_typeEEEZZNS1_27merge_sort_block_merge_implIS3_PlPS5_mZN2at6native12_GLOBAL__N_124unique_dim_cuda_templateIhEESt5tupleIJNSA_6TensorESF_SF_EERKSF_lbbbEUlllE_EE10hipError_tT0_T1_T2_jT3_P12ihipStream_tbPNSt15iterator_traitsISL_E10value_typeEPNSR_ISM_E10value_typeEPSN_NS1_7vsmem_tEENKUlT_SL_SM_SN_E_clIS8_S8_S9_S9_EESK_S10_SL_SM_SN_EUlS10_E0_NS1_11comp_targetILNS1_3genE0ELNS1_11target_archE4294967295ELNS1_3gpuE0ELNS1_3repE0EEENS1_38merge_mergepath_config_static_selectorELNS0_4arch9wavefront6targetE0EEEvSM_
	.p2align	8
	.type	_ZN7rocprim17ROCPRIM_400000_NS6detail17trampoline_kernelINS0_14default_configENS1_38merge_sort_block_merge_config_selectorIlNS0_10empty_typeEEEZZNS1_27merge_sort_block_merge_implIS3_PlPS5_mZN2at6native12_GLOBAL__N_124unique_dim_cuda_templateIhEESt5tupleIJNSA_6TensorESF_SF_EERKSF_lbbbEUlllE_EE10hipError_tT0_T1_T2_jT3_P12ihipStream_tbPNSt15iterator_traitsISL_E10value_typeEPNSR_ISM_E10value_typeEPSN_NS1_7vsmem_tEENKUlT_SL_SM_SN_E_clIS8_S8_S9_S9_EESK_S10_SL_SM_SN_EUlS10_E0_NS1_11comp_targetILNS1_3genE0ELNS1_11target_archE4294967295ELNS1_3gpuE0ELNS1_3repE0EEENS1_38merge_mergepath_config_static_selectorELNS0_4arch9wavefront6targetE0EEEvSM_,@function
_ZN7rocprim17ROCPRIM_400000_NS6detail17trampoline_kernelINS0_14default_configENS1_38merge_sort_block_merge_config_selectorIlNS0_10empty_typeEEEZZNS1_27merge_sort_block_merge_implIS3_PlPS5_mZN2at6native12_GLOBAL__N_124unique_dim_cuda_templateIhEESt5tupleIJNSA_6TensorESF_SF_EERKSF_lbbbEUlllE_EE10hipError_tT0_T1_T2_jT3_P12ihipStream_tbPNSt15iterator_traitsISL_E10value_typeEPNSR_ISM_E10value_typeEPSN_NS1_7vsmem_tEENKUlT_SL_SM_SN_E_clIS8_S8_S9_S9_EESK_S10_SL_SM_SN_EUlS10_E0_NS1_11comp_targetILNS1_3genE0ELNS1_11target_archE4294967295ELNS1_3gpuE0ELNS1_3repE0EEENS1_38merge_mergepath_config_static_selectorELNS0_4arch9wavefront6targetE0EEEvSM_: ; @_ZN7rocprim17ROCPRIM_400000_NS6detail17trampoline_kernelINS0_14default_configENS1_38merge_sort_block_merge_config_selectorIlNS0_10empty_typeEEEZZNS1_27merge_sort_block_merge_implIS3_PlPS5_mZN2at6native12_GLOBAL__N_124unique_dim_cuda_templateIhEESt5tupleIJNSA_6TensorESF_SF_EERKSF_lbbbEUlllE_EE10hipError_tT0_T1_T2_jT3_P12ihipStream_tbPNSt15iterator_traitsISL_E10value_typeEPNSR_ISM_E10value_typeEPSN_NS1_7vsmem_tEENKUlT_SL_SM_SN_E_clIS8_S8_S9_S9_EESK_S10_SL_SM_SN_EUlS10_E0_NS1_11comp_targetILNS1_3genE0ELNS1_11target_archE4294967295ELNS1_3gpuE0ELNS1_3repE0EEENS1_38merge_mergepath_config_static_selectorELNS0_4arch9wavefront6targetE0EEEvSM_
; %bb.0:
	s_bfe_u32 s2, ttmp6, 0x40010
	s_and_b32 s4, ttmp7, 0xffff
	s_add_co_i32 s5, s2, 1
	s_clause 0x1
	s_load_b32 s6, s[0:1], 0x38
	s_load_b64 s[2:3], s[0:1], 0x58
	s_bfe_u32 s8, ttmp6, 0x4000c
	s_mul_i32 s5, s4, s5
	s_bfe_u32 s7, ttmp6, 0x40004
	s_add_co_i32 s8, s8, 1
	s_bfe_u32 s9, ttmp6, 0x40014
	s_add_co_i32 s7, s7, s5
	s_and_b32 s5, ttmp6, 15
	s_mul_i32 s8, ttmp9, s8
	s_lshr_b32 s10, ttmp7, 16
	s_add_co_i32 s9, s9, 1
	s_add_co_i32 s5, s5, s8
	s_mul_i32 s8, s10, s9
	s_bfe_u32 s9, ttmp6, 0x40008
	s_getreg_b32 s11, hwreg(HW_REG_IB_STS2, 6, 4)
	s_add_co_i32 s9, s9, s8
	s_cmp_eq_u32 s11, 0
	s_mov_b32 s19, 0
	s_cselect_b32 s8, s10, s9
	s_cselect_b32 s4, s4, s7
	s_wait_kmcnt 0x0
	s_mul_i32 s8, s3, s8
	s_cselect_b32 s3, ttmp9, s5
	s_add_co_i32 s4, s8, s4
	s_delay_alu instid0(SALU_CYCLE_1) | instskip(NEXT) | instid1(SALU_CYCLE_1)
	s_mul_i32 s4, s4, s2
	s_add_co_i32 s18, s4, s3
	s_delay_alu instid0(SALU_CYCLE_1)
	s_cmp_ge_u32 s18, s6
	s_cbranch_scc1 .LBB26_139
; %bb.1:
	s_clause 0x1
	s_load_b64 s[4:5], s[0:1], 0x50
	s_load_b128 s[8:11], s[0:1], 0x28
	s_lshl_b64 s[6:7], s[18:19], 3
	s_mov_b32 s23, s19
	s_add_nc_u64 s[20:21], s[0:1], 0x58
	s_wait_kmcnt 0x0
	s_add_nc_u64 s[16:17], s[4:5], s[6:7]
	s_load_b128 s[12:15], s[16:17], 0x0
	s_load_b128 s[4:7], s[0:1], 0x8
	s_wait_xcnt 0x0
	s_lshr_b64 s[16:17], s[10:11], 9
	s_delay_alu instid0(SALU_CYCLE_1) | instskip(NEXT) | instid1(SALU_CYCLE_1)
	s_and_b32 s16, s16, -2
	s_sub_co_i32 s30, 0, s16
	s_lshl_b64 s[16:17], s[18:19], 10
	s_and_b32 s22, s18, s30
	s_or_b32 s30, s18, s30
	s_lshl_b64 s[24:25], s[22:23], 10
	s_lshl_b64 s[22:23], s[22:23], 11
	s_sub_nc_u64 s[28:29], s[16:17], s[24:25]
	s_add_nc_u64 s[26:27], s[22:23], s[10:11]
	s_cmp_lg_u32 s30, -1
	s_add_nc_u64 s[22:23], s[26:27], s[28:29]
	s_mov_b32 s28, -1
	s_cbranch_scc0 .LBB26_3
; %bb.2:
	s_wait_kmcnt 0x0
	s_sub_nc_u64 s[10:11], s[22:23], s[14:15]
	v_mov_b64_e32 v[2:3], s[14:15]
	s_add_nc_u64 s[10:11], s[10:11], 0x400
	s_branch .LBB26_4
.LBB26_3:
	s_wait_kmcnt 0x0
	s_sub_nc_u64 s[14:15], s[26:27], s[24:25]
	s_delay_alu instid0(SALU_CYCLE_1)
	v_min_u64 v[2:3], s[8:9], s[14:15]
	s_add_nc_u64 s[10:11], s[14:15], s[10:11]
.LBB26_4:
	v_mov_b32_e32 v21, 0
	v_min_u64 v[4:5], s[8:9], s[10:11]
	s_sub_nc_u64 s[10:11], s[22:23], s[12:13]
	v_lshlrev_b32_e32 v20, 3, v0
	v_min_u64 v[6:7], s[8:9], s[10:11]
	global_load_b32 v1, v21, s[20:21] offset:14
	s_lshr_b64 s[10:11], s[8:9], 10
	s_delay_alu instid0(SALU_CYCLE_1)
	s_cmp_lg_u64 s[10:11], s[18:19]
	s_cselect_b32 s9, -1, 0
	s_lshl_b64 s[14:15], s[12:13], 3
	s_cmp_lt_u32 s3, s2
	s_mov_b32 s3, 0
	s_cselect_b32 s2, 12, 18
	s_cmp_eq_u64 s[10:11], s[18:19]
	s_add_nc_u64 s[2:3], s[20:21], s[2:3]
	s_add_nc_u64 s[10:11], s[4:5], s[14:15]
	s_load_u16 s2, s[2:3], 0x0
	v_lshlrev_b64_e32 v[8:9], 3, v[6:7]
	v_sub_nc_u32_e32 v25, v4, v6
	s_delay_alu instid0(VALU_DEP_2) | instskip(SKIP_3) | instid1(VALU_DEP_1)
	v_add_nc_u64_e32 v[22:23], s[4:5], v[8:9]
	s_wait_loadcnt 0x0
	v_lshrrev_b32_e32 v3, 16, v1
	v_and_b32_e32 v1, 0xffff, v1
	v_mul_lo_u32 v1, v1, v3
	s_wait_kmcnt 0x0
	s_delay_alu instid0(VALU_DEP_1)
	v_mul_lo_u32 v26, v1, s2
	v_subrev_nc_u32_e32 v1, s12, v2
	s_cbranch_scc1 .LBB26_6
; %bb.5:
	s_delay_alu instid0(VALU_DEP_1) | instskip(NEXT) | instid1(VALU_DEP_3)
	v_sub_co_u32 v4, vcc_lo, v0, v1
	v_dual_mov_b32 v5, v21 :: v_dual_add_nc_u32 v6, v26, v0
	v_dual_mov_b32 v7, v21 :: v_dual_mov_b32 v11, v21
	v_add_nc_u64_e32 v[2:3], s[10:11], v[20:21]
	s_delay_alu instid0(VALU_DEP_3) | instskip(NEXT) | instid1(VALU_DEP_4)
	v_lshl_add_u64 v[4:5], v[4:5], 3, v[22:23]
	v_sub_co_u32 v10, s2, v6, v1
	s_delay_alu instid0(VALU_DEP_4) | instskip(SKIP_1) | instid1(VALU_DEP_4)
	v_lshl_add_u64 v[8:9], v[6:7], 3, s[10:11]
	v_dual_mov_b32 v13, v21 :: v_dual_add_nc_u32 v6, v6, v26
	v_dual_cndmask_b32 v2, v4, v2 :: v_dual_cndmask_b32 v3, v5, v3
	s_delay_alu instid0(VALU_DEP_4) | instskip(NEXT) | instid1(VALU_DEP_3)
	v_lshl_add_u64 v[4:5], v[10:11], 3, v[22:23]
	v_lshl_add_u64 v[10:11], v[6:7], 3, s[10:11]
	v_sub_co_u32 v12, vcc_lo, v6, v1
	s_delay_alu instid0(VALU_DEP_3) | instskip(NEXT) | instid1(VALU_DEP_4)
	v_dual_add_nc_u32 v6, v6, v26 :: v_dual_cndmask_b32 v5, v5, v9, s2
	v_dual_cndmask_b32 v4, v4, v8, s2 :: v_dual_mov_b32 v15, v21
	s_delay_alu instid0(VALU_DEP_3) | instskip(NEXT) | instid1(VALU_DEP_3)
	v_lshl_add_u64 v[8:9], v[12:13], 3, v[22:23]
	v_lshl_add_u64 v[12:13], v[6:7], 3, s[10:11]
	v_sub_co_u32 v14, s2, v6, v1
	s_delay_alu instid0(VALU_DEP_3) | instskip(NEXT) | instid1(VALU_DEP_4)
	v_dual_cndmask_b32 v9, v9, v11 :: v_dual_add_nc_u32 v6, v6, v26
	v_dual_cndmask_b32 v8, v8, v10 :: v_dual_mov_b32 v17, v21
	s_delay_alu instid0(VALU_DEP_3) | instskip(NEXT) | instid1(VALU_DEP_3)
	v_lshl_add_u64 v[10:11], v[14:15], 3, v[22:23]
	v_dual_mov_b32 v19, v21 :: v_dual_add_nc_u32 v18, v6, v26
	v_sub_co_u32 v16, vcc_lo, v6, v1
	s_delay_alu instid0(VALU_DEP_3) | instskip(NEXT) | instid1(VALU_DEP_3)
	v_dual_cndmask_b32 v29, v11, v13, s2 :: v_dual_cndmask_b32 v28, v10, v12, s2
	v_dual_mov_b32 v13, v21 :: v_dual_add_nc_u32 v12, v18, v26
	v_lshl_add_u64 v[14:15], v[6:7], 3, s[10:11]
	global_load_b64 v[6:7], v[8:9], off
	s_wait_xcnt 0x0
	v_lshl_add_u64 v[8:9], v[16:17], 3, v[22:23]
	v_lshl_add_u64 v[10:11], v[18:19], 3, s[10:11]
	v_sub_co_u32 v16, s2, v18, v1
	s_delay_alu instid0(VALU_DEP_3) | instskip(SKIP_2) | instid1(VALU_DEP_3)
	v_dual_cndmask_b32 v35, v9, v15 :: v_dual_add_nc_u32 v18, v12, v26
	v_lshl_add_u64 v[30:31], v[12:13], 3, s[10:11]
	v_sub_co_u32 v12, s3, v12, v1
	v_lshl_add_u64 v[32:33], v[18:19], 3, s[10:11]
	v_sub_co_u32 v18, s4, v18, v1
	v_lshl_add_u64 v[16:17], v[16:17], 3, v[22:23]
	s_delay_alu instid0(VALU_DEP_4) | instskip(SKIP_1) | instid1(VALU_DEP_4)
	v_lshl_add_u64 v[12:13], v[12:13], 3, v[22:23]
	v_cndmask_b32_e32 v34, v8, v14, vcc_lo
	v_lshl_add_u64 v[8:9], v[18:19], 3, v[22:23]
	global_load_b64 v[2:3], v[2:3], off
	v_dual_cndmask_b32 v19, v17, v11, s2 :: v_dual_cndmask_b32 v18, v16, v10, s2
	v_dual_cndmask_b32 v31, v13, v31, s3 :: v_dual_cndmask_b32 v30, v12, v30, s3
	;; [unrolled: 1-line block ×3, first 2 shown]
	v_add_nc_u32_e32 v24, v1, v25
	global_load_b64 v[4:5], v[4:5], off
	global_load_b64 v[8:9], v[28:29], off
	;; [unrolled: 1-line block ×6, first 2 shown]
	s_cbranch_execz .LBB26_7
	s_branch .LBB26_24
.LBB26_6:
                                        ; implicit-def: $vgpr2_vgpr3_vgpr4_vgpr5_vgpr6_vgpr7_vgpr8_vgpr9_vgpr10_vgpr11_vgpr12_vgpr13_vgpr14_vgpr15_vgpr16_vgpr17
                                        ; implicit-def: $vgpr24
	s_and_not1_b32 vcc_lo, exec_lo, s28
	s_cbranch_vccnz .LBB26_24
.LBB26_7:
	s_wait_loadcnt 0x6
	s_wait_xcnt 0x6
	v_dual_add_nc_u32 v24, v1, v25 :: v_dual_mov_b32 v2, 0
	s_mov_b32 s2, exec_lo
	s_wait_loadcnt 0x5
	s_wait_xcnt 0x5
	s_delay_alu instid0(VALU_DEP_1)
	v_dual_mov_b32 v3, v2 :: v_dual_mov_b32 v4, v2
	v_dual_mov_b32 v5, v2 :: v_dual_mov_b32 v6, v2
	s_wait_loadcnt 0x4
	v_dual_mov_b32 v7, v2 :: v_dual_mov_b32 v8, v2
	s_wait_loadcnt 0x3
	;; [unrolled: 2-line block ×5, first 2 shown]
	v_dual_mov_b32 v15, v2 :: v_dual_mov_b32 v16, v2
	v_mov_b32_e32 v17, v2
	v_cmpx_lt_u32_e64 v0, v24
	s_cbranch_execz .LBB26_9
; %bb.8:
	v_dual_mov_b32 v21, v2 :: v_dual_mov_b32 v5, v2
	v_sub_co_u32 v4, vcc_lo, v0, v1
	v_dual_mov_b32 v18, v2 :: v_dual_mov_b32 v19, v2
	s_delay_alu instid0(VALU_DEP_3) | instskip(NEXT) | instid1(VALU_DEP_3)
	v_add_nc_u64_e32 v[6:7], s[10:11], v[20:21]
	v_lshl_add_u64 v[4:5], v[4:5], 3, v[22:23]
	v_dual_mov_b32 v8, v2 :: v_dual_mov_b32 v9, v2
	v_dual_mov_b32 v10, v2 :: v_dual_mov_b32 v11, v2
	;; [unrolled: 1-line block ×3, first 2 shown]
	s_delay_alu instid0(VALU_DEP_4)
	v_dual_cndmask_b32 v5, v5, v7 :: v_dual_cndmask_b32 v4, v4, v6
	v_dual_mov_b32 v6, v2 :: v_dual_mov_b32 v7, v2
	v_dual_mov_b32 v14, v2 :: v_dual_mov_b32 v15, v2
	global_load_b64 v[4:5], v[4:5], off
	v_dual_mov_b32 v16, v2 :: v_dual_mov_b32 v17, v2
	s_wait_loadcnt 0x0
	v_mov_b64_e32 v[2:3], v[4:5]
	v_mov_b64_e32 v[4:5], v[6:7]
	;; [unrolled: 1-line block ×8, first 2 shown]
.LBB26_9:
	s_or_b32 exec_lo, exec_lo, s2
	v_add_nc_u32_e32 v18, v26, v0
	s_mov_b32 s2, exec_lo
	s_delay_alu instid0(VALU_DEP_1)
	v_cmpx_lt_u32_e64 v18, v24
	s_cbranch_execz .LBB26_11
; %bb.10:
	v_sub_co_u32 v28, vcc_lo, v18, v1
	v_mov_b32_e32 v19, 0
	s_delay_alu instid0(VALU_DEP_1) | instskip(SKIP_1) | instid1(VALU_DEP_1)
	v_lshl_add_u64 v[4:5], v[18:19], 3, s[10:11]
	v_mov_b32_e32 v29, v19
	v_lshl_add_u64 v[28:29], v[28:29], 3, v[22:23]
	s_delay_alu instid0(VALU_DEP_1)
	v_dual_cndmask_b32 v5, v29, v5 :: v_dual_cndmask_b32 v4, v28, v4
	global_load_b64 v[4:5], v[4:5], off
.LBB26_11:
	s_wait_xcnt 0x0
	s_or_b32 exec_lo, exec_lo, s2
	v_add_nc_u32_e32 v18, v18, v26
	s_mov_b32 s2, exec_lo
	s_delay_alu instid0(VALU_DEP_1)
	v_cmpx_lt_u32_e64 v18, v24
	s_cbranch_execz .LBB26_13
; %bb.12:
	v_sub_co_u32 v28, vcc_lo, v18, v1
	v_mov_b32_e32 v19, 0
	s_delay_alu instid0(VALU_DEP_1) | instskip(SKIP_1) | instid1(VALU_DEP_1)
	v_lshl_add_u64 v[6:7], v[18:19], 3, s[10:11]
	v_mov_b32_e32 v29, v19
	v_lshl_add_u64 v[28:29], v[28:29], 3, v[22:23]
	s_delay_alu instid0(VALU_DEP_1)
	v_dual_cndmask_b32 v7, v29, v7 :: v_dual_cndmask_b32 v6, v28, v6
	global_load_b64 v[6:7], v[6:7], off
.LBB26_13:
	s_wait_xcnt 0x0
	;; [unrolled: 18-line block ×6, first 2 shown]
	s_or_b32 exec_lo, exec_lo, s2
	v_add_nc_u32_e32 v18, v18, v26
	s_mov_b32 s2, exec_lo
	s_delay_alu instid0(VALU_DEP_1)
	v_cmpx_lt_u32_e64 v18, v24
	s_cbranch_execz .LBB26_23
; %bb.22:
	v_mov_b32_e32 v19, 0
	s_delay_alu instid0(VALU_DEP_1) | instskip(SKIP_1) | instid1(VALU_DEP_1)
	v_lshl_add_u64 v[16:17], v[18:19], 3, s[10:11]
	v_sub_co_u32 v18, vcc_lo, v18, v1
	v_lshl_add_u64 v[18:19], v[18:19], 3, v[22:23]
	s_delay_alu instid0(VALU_DEP_1)
	v_dual_cndmask_b32 v17, v19, v17 :: v_dual_cndmask_b32 v16, v18, v16
	global_load_b64 v[16:17], v[16:17], off
.LBB26_23:
	s_wait_xcnt 0x0
	s_or_b32 exec_lo, exec_lo, s2
.LBB26_24:
	s_load_b128 s[12:15], s[0:1], 0x40
	v_min_u32_e32 v26, v24, v20
	s_wait_xcnt 0x0
	s_mov_b32 s1, exec_lo
	s_wait_loadcnt 0x0
	ds_store_2addr_stride64_b64 v20, v[2:3], v[4:5] offset1:2
	ds_store_2addr_stride64_b64 v20, v[6:7], v[8:9] offset0:4 offset1:6
	ds_store_2addr_stride64_b64 v20, v[10:11], v[12:13] offset0:8 offset1:10
	;; [unrolled: 1-line block ×3, first 2 shown]
	s_wait_dscnt 0x0
	s_barrier_signal -1
	v_sub_nc_u32_e64 v21, v26, v25 clamp
	v_min_u32_e32 v25, v26, v1
	s_barrier_wait -1
	s_delay_alu instid0(VALU_DEP_1)
	v_cmpx_lt_u32_e64 v21, v25
	s_cbranch_execz .LBB26_34
; %bb.25:
	v_lshlrev_b32_e32 v18, 3, v26
	s_wait_kmcnt 0x0
	v_cmp_gt_i64_e64 s4, s[12:13], 0
	s_mov_b32 s5, 0
	v_lshl_add_u32 v27, v1, 3, v18
	s_branch .LBB26_28
.LBB26_26:                              ;   in Loop: Header=BB26_28 Depth=1
	s_or_b32 exec_lo, exec_lo, s11
.LBB26_27:                              ;   in Loop: Header=BB26_28 Depth=1
	s_delay_alu instid0(VALU_DEP_1) | instskip(NEXT) | instid1(VALU_DEP_1)
	v_dual_add_nc_u32 v18, 1, v28 :: v_dual_cndmask_b32 v25, v25, v28, s10
	v_cndmask_b32_e64 v21, v18, v21, s10
	s_delay_alu instid0(VALU_DEP_1) | instskip(SKIP_1) | instid1(SALU_CYCLE_1)
	v_cmp_ge_u32_e32 vcc_lo, v21, v25
	s_or_b32 s5, vcc_lo, s5
	s_and_not1_b32 exec_lo, exec_lo, s5
	s_cbranch_execz .LBB26_33
.LBB26_28:                              ; =>This Loop Header: Depth=1
                                        ;     Child Loop BB26_31 Depth 2
	v_add_nc_u32_e32 v18, v25, v21
	s_and_not1_b32 vcc_lo, exec_lo, s4
	s_mov_b32 s10, 0
	s_delay_alu instid0(VALU_DEP_1)
	v_lshrrev_b32_e32 v28, 1, v18
	s_cbranch_vccnz .LBB26_27
; %bb.29:                               ;   in Loop: Header=BB26_28 Depth=1
	s_delay_alu instid0(VALU_DEP_1) | instskip(SKIP_3) | instid1(VALU_DEP_2)
	v_not_b32_e32 v18, v28
	v_lshlrev_b32_e32 v19, 3, v28
	s_mov_b32 s11, 0
	s_mov_b64 s[2:3], s[12:13]
                                        ; implicit-def: $sgpr10
                                        ; implicit-def: $sgpr18
                                        ; implicit-def: $sgpr19
                                        ; implicit-def: $sgpr20
	v_lshl_add_u32 v18, v18, 3, v27
	ds_load_b64 v[30:31], v18
	ds_load_b64 v[32:33], v19
	s_wait_dscnt 0x1
	v_mad_nc_u64_u32 v[18:19], v30, s12, s[14:15]
	s_wait_dscnt 0x0
	v_mad_nc_u64_u32 v[22:23], v32, s12, s[14:15]
	s_delay_alu instid0(VALU_DEP_2) | instskip(NEXT) | instid1(VALU_DEP_2)
	v_mad_u32 v19, v31, s12, v19
	v_mad_u32 v23, v33, s12, v23
	s_delay_alu instid0(VALU_DEP_2) | instskip(NEXT) | instid1(VALU_DEP_2)
	v_mad_u32 v19, v30, s13, v19
	v_mad_u32 v23, v32, s13, v23
	s_branch .LBB26_31
.LBB26_30:                              ;   in Loop: Header=BB26_31 Depth=2
	s_or_b32 exec_lo, exec_lo, s21
	s_delay_alu instid0(SALU_CYCLE_1) | instskip(NEXT) | instid1(SALU_CYCLE_1)
	s_and_b32 s21, exec_lo, s18
	s_or_b32 s11, s21, s11
	s_and_not1_b32 s20, s20, exec_lo
	s_and_b32 s0, s0, exec_lo
	s_and_not1_b32 s10, s10, exec_lo
	s_and_b32 s21, s19, exec_lo
	s_or_b32 s20, s20, s0
	s_or_b32 s10, s10, s21
	s_and_not1_b32 exec_lo, exec_lo, s11
	s_cbranch_execz .LBB26_26
.LBB26_31:                              ;   Parent Loop BB26_28 Depth=1
                                        ; =>  This Inner Loop Header: Depth=2
	global_load_u8 v29, v[18:19], off
	global_load_u8 v30, v[22:23], off
	s_and_not1_b32 s19, s19, exec_lo
	s_or_b32 s18, s18, exec_lo
	s_wait_loadcnt 0x1
	v_and_b32_e32 v29, 0xff, v29
	s_wait_loadcnt 0x0
	v_and_b32_e32 v30, 0xff, v30
	s_delay_alu instid0(VALU_DEP_1) | instskip(SKIP_2) | instid1(SALU_CYCLE_1)
	v_cmp_le_u16_e32 vcc_lo, v29, v30
	v_cmp_lt_u16_e64 s0, v29, v30
	s_and_b32 s21, vcc_lo, s20
	s_or_b32 s0, s0, s21
	s_delay_alu instid0(SALU_CYCLE_1) | instskip(NEXT) | instid1(SALU_CYCLE_1)
	s_and_b32 s21, s0, exec_lo
	s_or_b32 s19, s19, s21
	s_mov_b32 s21, exec_lo
	v_cmpx_eq_u16_e64 v29, v30
	s_cbranch_execz .LBB26_30
; %bb.32:                               ;   in Loop: Header=BB26_31 Depth=2
	s_add_nc_u64 s[2:3], s[2:3], -1
	v_add_nc_u64_e32 v[18:19], 1, v[18:19]
	s_cmp_eq_u64 s[2:3], 0
	v_add_nc_u64_e32 v[22:23], 1, v[22:23]
	s_cselect_b32 s20, -1, 0
	s_and_not1_b32 s18, s18, exec_lo
	s_and_b32 s20, s20, exec_lo
	s_and_not1_b32 s19, s19, exec_lo
	s_or_b32 s18, s18, s20
                                        ; implicit-def: $sgpr20
	s_branch .LBB26_30
.LBB26_33:
	s_or_b32 exec_lo, exec_lo, s5
.LBB26_34:
	s_delay_alu instid0(SALU_CYCLE_1) | instskip(SKIP_2) | instid1(VALU_DEP_2)
	s_or_b32 exec_lo, exec_lo, s1
	v_sub_nc_u32_e32 v18, v26, v21
	v_cmp_le_u32_e32 vcc_lo, v21, v1
	v_add_nc_u32_e32 v18, v18, v1
	s_delay_alu instid0(VALU_DEP_1) | instskip(SKIP_1) | instid1(SALU_CYCLE_1)
	v_cmp_le_u32_e64 s0, v18, v24
	s_or_b32 s0, vcc_lo, s0
	s_and_saveexec_b32 s1, s0
	s_cbranch_execz .LBB26_125
; %bb.35:
	s_mov_b32 s2, exec_lo
	v_cmp_ge_u32_e32 vcc_lo, v21, v1
                                        ; implicit-def: $vgpr2_vgpr3
	v_cmpx_lt_u32_e64 v21, v1
; %bb.36:
	v_lshlrev_b32_e32 v2, 3, v21
	ds_load_b64 v[2:3], v2
; %bb.37:
	s_or_b32 exec_lo, exec_lo, s2
	v_cmp_ge_u32_e64 s5, v18, v24
	s_mov_b32 s2, exec_lo
                                        ; implicit-def: $vgpr14_vgpr15
	v_cmpx_lt_u32_e64 v18, v24
; %bb.38:
	v_lshlrev_b32_e32 v4, 3, v18
	ds_load_b64 v[14:15], v4
; %bb.39:
	s_or_b32 exec_lo, exec_lo, s2
	s_wait_kmcnt 0x0
	v_cmp_gt_i64_e64 s4, s[12:13], 0
	s_nor_b32 s0, vcc_lo, s5
	s_delay_alu instid0(SALU_CYCLE_1)
	s_and_saveexec_b32 s10, s0
	s_cbranch_execz .LBB26_48
; %bb.40:
	s_and_not1_b32 vcc_lo, exec_lo, s4
	s_cbranch_vccnz .LBB26_46
; %bb.41:
	s_wait_dscnt 0x0
	v_mad_nc_u64_u32 v[4:5], v14, s12, s[14:15]
	v_mad_nc_u64_u32 v[6:7], v2, s12, s[14:15]
	s_mov_b32 s11, 0
	s_mov_b64 s[2:3], s[12:13]
                                        ; implicit-def: $sgpr18
                                        ; implicit-def: $sgpr19
                                        ; implicit-def: $sgpr20
                                        ; implicit-def: $sgpr21
	s_delay_alu instid0(VALU_DEP_2) | instskip(NEXT) | instid1(VALU_DEP_2)
	v_mad_u32 v5, v15, s12, v5
	v_mad_u32 v7, v3, s12, v7
	s_delay_alu instid0(VALU_DEP_2) | instskip(NEXT) | instid1(VALU_DEP_2)
	v_mad_u32 v5, v14, s13, v5
	v_mad_u32 v7, v2, s13, v7
	s_branch .LBB26_43
.LBB26_42:                              ;   in Loop: Header=BB26_43 Depth=1
	s_or_b32 exec_lo, exec_lo, s22
	s_delay_alu instid0(SALU_CYCLE_1) | instskip(NEXT) | instid1(SALU_CYCLE_1)
	s_and_b32 s22, exec_lo, s19
	s_or_b32 s11, s22, s11
	s_and_not1_b32 s21, s21, exec_lo
	s_and_b32 s0, s0, exec_lo
	s_and_not1_b32 s18, s18, exec_lo
	s_and_b32 s22, s20, exec_lo
	s_or_b32 s21, s21, s0
	s_or_b32 s18, s18, s22
	s_and_not1_b32 exec_lo, exec_lo, s11
	s_cbranch_execz .LBB26_45
.LBB26_43:                              ; =>This Inner Loop Header: Depth=1
	global_load_u8 v8, v[4:5], off
	global_load_u8 v9, v[6:7], off
	s_and_not1_b32 s20, s20, exec_lo
	s_or_b32 s19, s19, exec_lo
	s_wait_loadcnt 0x1
	v_and_b32_e32 v8, 0xff, v8
	s_wait_loadcnt 0x0
	v_and_b32_e32 v9, 0xff, v9
	s_delay_alu instid0(VALU_DEP_1) | instskip(SKIP_2) | instid1(SALU_CYCLE_1)
	v_cmp_le_u16_e32 vcc_lo, v8, v9
	v_cmp_lt_u16_e64 s0, v8, v9
	s_and_b32 s22, vcc_lo, s21
	s_or_b32 s0, s0, s22
	s_delay_alu instid0(SALU_CYCLE_1) | instskip(NEXT) | instid1(SALU_CYCLE_1)
	s_and_b32 s22, s0, exec_lo
	s_or_b32 s20, s20, s22
	s_mov_b32 s22, exec_lo
	v_cmpx_eq_u16_e64 v8, v9
	s_cbranch_execz .LBB26_42
; %bb.44:                               ;   in Loop: Header=BB26_43 Depth=1
	s_add_nc_u64 s[2:3], s[2:3], -1
	v_add_nc_u64_e32 v[4:5], 1, v[4:5]
	s_cmp_eq_u64 s[2:3], 0
	v_add_nc_u64_e32 v[6:7], 1, v[6:7]
	s_cselect_b32 s21, -1, 0
	s_and_not1_b32 s19, s19, exec_lo
	s_and_b32 s21, s21, exec_lo
	s_and_not1_b32 s20, s20, exec_lo
	s_or_b32 s19, s19, s21
                                        ; implicit-def: $sgpr21
	s_branch .LBB26_42
.LBB26_45:
	s_or_b32 exec_lo, exec_lo, s11
	s_xor_b32 s0, s18, -1
	s_branch .LBB26_47
.LBB26_46:
	s_mov_b32 s0, -1
.LBB26_47:
	s_and_not1_b32 s2, s5, exec_lo
	s_and_b32 s0, s0, exec_lo
	s_delay_alu instid0(SALU_CYCLE_1)
	s_or_b32 s5, s2, s0
.LBB26_48:
	s_or_b32 exec_lo, exec_lo, s10
	v_cndmask_b32_e64 v4, v18, v21, s5
	v_cndmask_b32_e64 v5, v24, v1, s5
	s_mov_b32 s11, -1
	s_mov_b32 s10, -1
	s_mov_b32 s18, exec_lo
	v_add_nc_u32_e32 v6, 1, v4
	s_delay_alu instid0(VALU_DEP_1) | instskip(SKIP_1) | instid1(VALU_DEP_2)
	v_add_min_u32_e64 v4, v5, -1, v6
	v_cndmask_b32_e64 v9, v21, v6, s5
	v_dual_cndmask_b32 v8, v6, v18, s5 :: v_dual_lshlrev_b32 v4, 3, v4
	ds_load_b64 v[4:5], v4
	s_wait_dscnt 0x0
	v_dual_cndmask_b32 v16, v5, v15, s5 :: v_dual_cndmask_b32 v17, v4, v14, s5
	v_dual_cndmask_b32 v21, v3, v5, s5 :: v_dual_cndmask_b32 v22, v2, v4, s5
	v_cmpx_lt_u32_e64 v8, v24
	s_cbranch_execz .LBB26_59
; %bb.49:
	s_mov_b32 s0, 0
	s_mov_b32 s10, exec_lo
	v_cmpx_lt_u32_e64 v9, v1
	s_cbranch_execz .LBB26_58
; %bb.50:
	s_and_not1_b32 vcc_lo, exec_lo, s4
	s_cbranch_vccnz .LBB26_56
; %bb.51:
	v_mad_nc_u64_u32 v[4:5], v17, s12, s[14:15]
	v_mad_nc_u64_u32 v[6:7], v22, s12, s[14:15]
	s_mov_b32 s19, 0
	s_mov_b64 s[2:3], s[12:13]
                                        ; implicit-def: $sgpr20
                                        ; implicit-def: $sgpr21
                                        ; implicit-def: $sgpr22
                                        ; implicit-def: $sgpr23
	s_delay_alu instid0(VALU_DEP_2) | instskip(NEXT) | instid1(VALU_DEP_2)
	v_mad_u32 v5, v16, s12, v5
	v_mad_u32 v7, v21, s12, v7
	s_delay_alu instid0(VALU_DEP_2) | instskip(NEXT) | instid1(VALU_DEP_2)
	v_mad_u32 v5, v17, s13, v5
	v_mad_u32 v7, v22, s13, v7
	s_branch .LBB26_53
.LBB26_52:                              ;   in Loop: Header=BB26_53 Depth=1
	s_or_b32 exec_lo, exec_lo, s24
	s_delay_alu instid0(SALU_CYCLE_1) | instskip(NEXT) | instid1(SALU_CYCLE_1)
	s_and_b32 s24, exec_lo, s21
	s_or_b32 s19, s24, s19
	s_and_not1_b32 s23, s23, exec_lo
	s_and_b32 s0, s0, exec_lo
	s_and_not1_b32 s20, s20, exec_lo
	s_and_b32 s24, s22, exec_lo
	s_or_b32 s23, s23, s0
	s_or_b32 s20, s20, s24
	s_and_not1_b32 exec_lo, exec_lo, s19
	s_cbranch_execz .LBB26_55
.LBB26_53:                              ; =>This Inner Loop Header: Depth=1
	global_load_u8 v10, v[4:5], off
	global_load_u8 v11, v[6:7], off
	s_and_not1_b32 s22, s22, exec_lo
	s_or_b32 s21, s21, exec_lo
	s_wait_loadcnt 0x1
	v_and_b32_e32 v10, 0xff, v10
	s_wait_loadcnt 0x0
	v_and_b32_e32 v11, 0xff, v11
	s_delay_alu instid0(VALU_DEP_1) | instskip(SKIP_2) | instid1(SALU_CYCLE_1)
	v_cmp_le_u16_e32 vcc_lo, v10, v11
	v_cmp_lt_u16_e64 s0, v10, v11
	s_and_b32 s24, vcc_lo, s23
	s_or_b32 s0, s0, s24
	s_delay_alu instid0(SALU_CYCLE_1) | instskip(NEXT) | instid1(SALU_CYCLE_1)
	s_and_b32 s24, s0, exec_lo
	s_or_b32 s22, s22, s24
	s_mov_b32 s24, exec_lo
	v_cmpx_eq_u16_e64 v10, v11
	s_cbranch_execz .LBB26_52
; %bb.54:                               ;   in Loop: Header=BB26_53 Depth=1
	s_add_nc_u64 s[2:3], s[2:3], -1
	v_add_nc_u64_e32 v[4:5], 1, v[4:5]
	s_cmp_eq_u64 s[2:3], 0
	v_add_nc_u64_e32 v[6:7], 1, v[6:7]
	s_cselect_b32 s23, -1, 0
	s_and_not1_b32 s21, s21, exec_lo
	s_and_b32 s23, s23, exec_lo
	s_and_not1_b32 s22, s22, exec_lo
	s_or_b32 s21, s21, s23
                                        ; implicit-def: $sgpr23
	s_branch .LBB26_52
.LBB26_55:
	s_or_b32 exec_lo, exec_lo, s19
	s_xor_b32 s0, s20, -1
	s_branch .LBB26_57
.LBB26_56:
	s_mov_b32 s0, -1
.LBB26_57:
	s_delay_alu instid0(SALU_CYCLE_1)
	s_and_b32 s0, s0, exec_lo
.LBB26_58:
	s_or_b32 exec_lo, exec_lo, s10
	s_delay_alu instid0(SALU_CYCLE_1)
	s_or_not1_b32 s10, s0, exec_lo
.LBB26_59:
	s_or_b32 exec_lo, exec_lo, s18
	v_cndmask_b32_e64 v4, v8, v9, s10
	v_cndmask_b32_e64 v5, v24, v1, s10
	s_mov_b32 s18, exec_lo
	s_delay_alu instid0(VALU_DEP_2) | instskip(NEXT) | instid1(VALU_DEP_1)
	v_add_nc_u32_e32 v6, 1, v4
	v_add_min_u32_e64 v4, v5, -1, v6
	v_dual_cndmask_b32 v8, v6, v8, s10 :: v_dual_cndmask_b32 v9, v9, v6, s10
	s_delay_alu instid0(VALU_DEP_2)
	v_lshlrev_b32_e32 v4, 3, v4
	ds_load_b64 v[4:5], v4
	s_wait_dscnt 0x0
	v_dual_cndmask_b32 v23, v5, v16, s10 :: v_dual_cndmask_b32 v25, v4, v17, s10
	v_dual_cndmask_b32 v26, v21, v5, s10 :: v_dual_cndmask_b32 v27, v22, v4, s10
	v_cmpx_lt_u32_e64 v8, v24
	s_cbranch_execz .LBB26_70
; %bb.60:
	s_mov_b32 s0, 0
	s_mov_b32 s11, exec_lo
	v_cmpx_lt_u32_e64 v9, v1
	s_cbranch_execz .LBB26_69
; %bb.61:
	s_and_not1_b32 vcc_lo, exec_lo, s4
	s_cbranch_vccnz .LBB26_67
; %bb.62:
	v_mad_nc_u64_u32 v[4:5], v25, s12, s[14:15]
	v_mad_nc_u64_u32 v[6:7], v27, s12, s[14:15]
	s_mov_b32 s19, 0
	s_mov_b64 s[2:3], s[12:13]
                                        ; implicit-def: $sgpr20
                                        ; implicit-def: $sgpr21
                                        ; implicit-def: $sgpr22
                                        ; implicit-def: $sgpr23
	s_delay_alu instid0(VALU_DEP_2) | instskip(NEXT) | instid1(VALU_DEP_2)
	v_mad_u32 v5, v23, s12, v5
	v_mad_u32 v7, v26, s12, v7
	s_delay_alu instid0(VALU_DEP_2) | instskip(NEXT) | instid1(VALU_DEP_2)
	v_mad_u32 v5, v25, s13, v5
	v_mad_u32 v7, v27, s13, v7
	s_branch .LBB26_64
.LBB26_63:                              ;   in Loop: Header=BB26_64 Depth=1
	s_or_b32 exec_lo, exec_lo, s24
	s_delay_alu instid0(SALU_CYCLE_1) | instskip(NEXT) | instid1(SALU_CYCLE_1)
	s_and_b32 s24, exec_lo, s21
	s_or_b32 s19, s24, s19
	s_and_not1_b32 s23, s23, exec_lo
	s_and_b32 s0, s0, exec_lo
	s_and_not1_b32 s20, s20, exec_lo
	s_and_b32 s24, s22, exec_lo
	s_or_b32 s23, s23, s0
	s_or_b32 s20, s20, s24
	s_and_not1_b32 exec_lo, exec_lo, s19
	s_cbranch_execz .LBB26_66
.LBB26_64:                              ; =>This Inner Loop Header: Depth=1
	global_load_u8 v10, v[4:5], off
	global_load_u8 v11, v[6:7], off
	s_and_not1_b32 s22, s22, exec_lo
	s_or_b32 s21, s21, exec_lo
	s_wait_loadcnt 0x1
	v_and_b32_e32 v10, 0xff, v10
	s_wait_loadcnt 0x0
	v_and_b32_e32 v11, 0xff, v11
	s_delay_alu instid0(VALU_DEP_1) | instskip(SKIP_2) | instid1(SALU_CYCLE_1)
	v_cmp_le_u16_e32 vcc_lo, v10, v11
	v_cmp_lt_u16_e64 s0, v10, v11
	s_and_b32 s24, vcc_lo, s23
	s_or_b32 s0, s0, s24
	s_delay_alu instid0(SALU_CYCLE_1) | instskip(NEXT) | instid1(SALU_CYCLE_1)
	s_and_b32 s24, s0, exec_lo
	s_or_b32 s22, s22, s24
	s_mov_b32 s24, exec_lo
	v_cmpx_eq_u16_e64 v10, v11
	s_cbranch_execz .LBB26_63
; %bb.65:                               ;   in Loop: Header=BB26_64 Depth=1
	s_add_nc_u64 s[2:3], s[2:3], -1
	v_add_nc_u64_e32 v[4:5], 1, v[4:5]
	s_cmp_eq_u64 s[2:3], 0
	v_add_nc_u64_e32 v[6:7], 1, v[6:7]
	s_cselect_b32 s23, -1, 0
	s_and_not1_b32 s21, s21, exec_lo
	s_and_b32 s23, s23, exec_lo
	s_and_not1_b32 s22, s22, exec_lo
	s_or_b32 s21, s21, s23
                                        ; implicit-def: $sgpr23
	s_branch .LBB26_63
.LBB26_66:
	s_or_b32 exec_lo, exec_lo, s19
	s_xor_b32 s0, s20, -1
	s_branch .LBB26_68
.LBB26_67:
	s_mov_b32 s0, -1
.LBB26_68:
	s_delay_alu instid0(SALU_CYCLE_1)
	s_and_b32 s0, s0, exec_lo
.LBB26_69:
	s_or_b32 exec_lo, exec_lo, s11
	s_delay_alu instid0(SALU_CYCLE_1)
	s_or_not1_b32 s11, s0, exec_lo
.LBB26_70:
	s_or_b32 exec_lo, exec_lo, s18
	v_cndmask_b32_e64 v4, v8, v9, s11
	v_cndmask_b32_e64 v5, v24, v1, s11
	s_mov_b32 s19, -1
	s_mov_b32 s18, -1
	s_mov_b32 s20, exec_lo
	v_add_nc_u32_e32 v6, 1, v4
	s_delay_alu instid0(VALU_DEP_1) | instskip(SKIP_1) | instid1(VALU_DEP_2)
	v_add_min_u32_e64 v4, v5, -1, v6
	v_dual_cndmask_b32 v10, v6, v8, s11 :: v_dual_cndmask_b32 v11, v9, v6, s11
	v_lshlrev_b32_e32 v4, 3, v4
	ds_load_b64 v[4:5], v4
	s_wait_dscnt 0x0
	v_dual_cndmask_b32 v8, v5, v23, s11 :: v_dual_cndmask_b32 v28, v4, v25, s11
	v_dual_cndmask_b32 v9, v26, v5, s11 :: v_dual_cndmask_b32 v29, v27, v4, s11
	v_cmpx_lt_u32_e64 v10, v24
	s_cbranch_execz .LBB26_81
; %bb.71:
	s_mov_b32 s0, 0
	s_mov_b32 s18, exec_lo
	v_cmpx_lt_u32_e64 v11, v1
	s_cbranch_execz .LBB26_80
; %bb.72:
	s_and_not1_b32 vcc_lo, exec_lo, s4
	s_cbranch_vccnz .LBB26_78
; %bb.73:
	v_mad_nc_u64_u32 v[4:5], v28, s12, s[14:15]
	v_mad_nc_u64_u32 v[6:7], v29, s12, s[14:15]
	s_mov_b32 s21, 0
	s_mov_b64 s[2:3], s[12:13]
                                        ; implicit-def: $sgpr22
                                        ; implicit-def: $sgpr23
                                        ; implicit-def: $sgpr24
                                        ; implicit-def: $sgpr25
	s_delay_alu instid0(VALU_DEP_2) | instskip(NEXT) | instid1(VALU_DEP_2)
	v_mad_u32 v5, v8, s12, v5
	v_mad_u32 v7, v9, s12, v7
	s_delay_alu instid0(VALU_DEP_2) | instskip(NEXT) | instid1(VALU_DEP_2)
	v_mad_u32 v5, v28, s13, v5
	v_mad_u32 v7, v29, s13, v7
	s_branch .LBB26_75
.LBB26_74:                              ;   in Loop: Header=BB26_75 Depth=1
	s_or_b32 exec_lo, exec_lo, s26
	s_delay_alu instid0(SALU_CYCLE_1) | instskip(NEXT) | instid1(SALU_CYCLE_1)
	s_and_b32 s26, exec_lo, s23
	s_or_b32 s21, s26, s21
	s_and_not1_b32 s25, s25, exec_lo
	s_and_b32 s0, s0, exec_lo
	s_and_not1_b32 s22, s22, exec_lo
	s_and_b32 s26, s24, exec_lo
	s_or_b32 s25, s25, s0
	s_or_b32 s22, s22, s26
	s_and_not1_b32 exec_lo, exec_lo, s21
	s_cbranch_execz .LBB26_77
.LBB26_75:                              ; =>This Inner Loop Header: Depth=1
	global_load_u8 v12, v[4:5], off
	global_load_u8 v13, v[6:7], off
	s_and_not1_b32 s24, s24, exec_lo
	s_or_b32 s23, s23, exec_lo
	s_wait_loadcnt 0x1
	v_and_b32_e32 v12, 0xff, v12
	s_wait_loadcnt 0x0
	v_and_b32_e32 v13, 0xff, v13
	s_delay_alu instid0(VALU_DEP_1) | instskip(SKIP_2) | instid1(SALU_CYCLE_1)
	v_cmp_le_u16_e32 vcc_lo, v12, v13
	v_cmp_lt_u16_e64 s0, v12, v13
	s_and_b32 s26, vcc_lo, s25
	s_or_b32 s0, s0, s26
	s_delay_alu instid0(SALU_CYCLE_1) | instskip(NEXT) | instid1(SALU_CYCLE_1)
	s_and_b32 s26, s0, exec_lo
	s_or_b32 s24, s24, s26
	s_mov_b32 s26, exec_lo
	v_cmpx_eq_u16_e64 v12, v13
	s_cbranch_execz .LBB26_74
; %bb.76:                               ;   in Loop: Header=BB26_75 Depth=1
	s_add_nc_u64 s[2:3], s[2:3], -1
	v_add_nc_u64_e32 v[4:5], 1, v[4:5]
	s_cmp_eq_u64 s[2:3], 0
	v_add_nc_u64_e32 v[6:7], 1, v[6:7]
	s_cselect_b32 s25, -1, 0
	s_and_not1_b32 s23, s23, exec_lo
	s_and_b32 s25, s25, exec_lo
	s_and_not1_b32 s24, s24, exec_lo
	s_or_b32 s23, s23, s25
                                        ; implicit-def: $sgpr25
	s_branch .LBB26_74
.LBB26_77:
	s_or_b32 exec_lo, exec_lo, s21
	s_xor_b32 s0, s22, -1
	s_branch .LBB26_79
.LBB26_78:
	s_mov_b32 s0, -1
.LBB26_79:
	s_delay_alu instid0(SALU_CYCLE_1)
	s_and_b32 s0, s0, exec_lo
.LBB26_80:
	s_or_b32 exec_lo, exec_lo, s18
	s_delay_alu instid0(SALU_CYCLE_1)
	s_or_not1_b32 s18, s0, exec_lo
.LBB26_81:
	s_or_b32 exec_lo, exec_lo, s20
	v_dual_cndmask_b32 v4, v10, v11, s18 :: v_dual_cndmask_b32 v5, v24, v1, s18
	s_mov_b32 s20, exec_lo
	s_delay_alu instid0(VALU_DEP_1) | instskip(NEXT) | instid1(VALU_DEP_1)
	v_add_nc_u32_e32 v6, 1, v4
	v_add_min_u32_e64 v4, v5, -1, v6
	s_delay_alu instid0(VALU_DEP_1)
	v_lshlrev_b32_e32 v4, 3, v4
	ds_load_b64 v[4:5], v4
	v_cndmask_b32_e64 v12, v6, v10, s18
	s_wait_dscnt 0x0
	v_dual_cndmask_b32 v13, v11, v6, s18 :: v_dual_cndmask_b32 v30, v4, v28, s18
	v_cndmask_b32_e64 v10, v5, v8, s18
	v_cndmask_b32_e64 v11, v9, v5, s18
	;; [unrolled: 1-line block ×3, first 2 shown]
	v_cmpx_lt_u32_e64 v12, v24
	s_cbranch_execz .LBB26_92
; %bb.82:
	s_mov_b32 s0, 0
	s_mov_b32 s19, exec_lo
	v_cmpx_lt_u32_e64 v13, v1
	s_cbranch_execz .LBB26_91
; %bb.83:
	s_and_not1_b32 vcc_lo, exec_lo, s4
	s_cbranch_vccnz .LBB26_89
; %bb.84:
	v_mad_nc_u64_u32 v[4:5], v30, s12, s[14:15]
	v_mad_nc_u64_u32 v[6:7], v31, s12, s[14:15]
	s_mov_b32 s21, 0
	s_mov_b64 s[2:3], s[12:13]
                                        ; implicit-def: $sgpr22
                                        ; implicit-def: $sgpr23
                                        ; implicit-def: $sgpr24
                                        ; implicit-def: $sgpr25
	s_delay_alu instid0(VALU_DEP_2) | instskip(NEXT) | instid1(VALU_DEP_2)
	v_mad_u32 v5, v10, s12, v5
	v_mad_u32 v7, v11, s12, v7
	s_delay_alu instid0(VALU_DEP_2) | instskip(NEXT) | instid1(VALU_DEP_2)
	v_mad_u32 v5, v30, s13, v5
	v_mad_u32 v7, v31, s13, v7
	s_branch .LBB26_86
.LBB26_85:                              ;   in Loop: Header=BB26_86 Depth=1
	s_or_b32 exec_lo, exec_lo, s26
	s_delay_alu instid0(SALU_CYCLE_1) | instskip(NEXT) | instid1(SALU_CYCLE_1)
	s_and_b32 s26, exec_lo, s23
	s_or_b32 s21, s26, s21
	s_and_not1_b32 s25, s25, exec_lo
	s_and_b32 s0, s0, exec_lo
	s_and_not1_b32 s22, s22, exec_lo
	s_and_b32 s26, s24, exec_lo
	s_or_b32 s25, s25, s0
	s_or_b32 s22, s22, s26
	s_and_not1_b32 exec_lo, exec_lo, s21
	s_cbranch_execz .LBB26_88
.LBB26_86:                              ; =>This Inner Loop Header: Depth=1
	global_load_u8 v18, v[4:5], off
	global_load_u8 v19, v[6:7], off
	s_and_not1_b32 s24, s24, exec_lo
	s_or_b32 s23, s23, exec_lo
	s_wait_loadcnt 0x1
	v_and_b32_e32 v18, 0xff, v18
	s_wait_loadcnt 0x0
	v_and_b32_e32 v19, 0xff, v19
	s_delay_alu instid0(VALU_DEP_1) | instskip(SKIP_2) | instid1(SALU_CYCLE_1)
	v_cmp_le_u16_e32 vcc_lo, v18, v19
	v_cmp_lt_u16_e64 s0, v18, v19
	s_and_b32 s26, vcc_lo, s25
	s_or_b32 s0, s0, s26
	s_delay_alu instid0(SALU_CYCLE_1) | instskip(NEXT) | instid1(SALU_CYCLE_1)
	s_and_b32 s26, s0, exec_lo
	s_or_b32 s24, s24, s26
	s_mov_b32 s26, exec_lo
	v_cmpx_eq_u16_e64 v18, v19
	s_cbranch_execz .LBB26_85
; %bb.87:                               ;   in Loop: Header=BB26_86 Depth=1
	s_add_nc_u64 s[2:3], s[2:3], -1
	v_add_nc_u64_e32 v[4:5], 1, v[4:5]
	s_cmp_eq_u64 s[2:3], 0
	v_add_nc_u64_e32 v[6:7], 1, v[6:7]
	s_cselect_b32 s25, -1, 0
	s_and_not1_b32 s23, s23, exec_lo
	s_and_b32 s25, s25, exec_lo
	s_and_not1_b32 s24, s24, exec_lo
	s_or_b32 s23, s23, s25
                                        ; implicit-def: $sgpr25
	s_branch .LBB26_85
.LBB26_88:
	s_or_b32 exec_lo, exec_lo, s21
	s_xor_b32 s0, s22, -1
	s_branch .LBB26_90
.LBB26_89:
	s_mov_b32 s0, -1
.LBB26_90:
	s_delay_alu instid0(SALU_CYCLE_1)
	s_and_b32 s0, s0, exec_lo
.LBB26_91:
	s_or_b32 exec_lo, exec_lo, s19
	s_delay_alu instid0(SALU_CYCLE_1)
	s_or_not1_b32 s19, s0, exec_lo
.LBB26_92:
	s_or_b32 exec_lo, exec_lo, s20
	v_cndmask_b32_e64 v4, v12, v13, s19
	v_cndmask_b32_e64 v5, v24, v1, s19
	s_mov_b32 s20, -1
	s_mov_b32 s21, -1
	s_mov_b32 s22, exec_lo
	v_add_nc_u32_e32 v6, 1, v4
	s_delay_alu instid0(VALU_DEP_1) | instskip(SKIP_1) | instid1(VALU_DEP_2)
	v_add_min_u32_e64 v4, v5, -1, v6
	v_dual_cndmask_b32 v18, v6, v12, s19 :: v_dual_cndmask_b32 v19, v13, v6, s19
	v_lshlrev_b32_e32 v4, 3, v4
	ds_load_b64 v[4:5], v4
	s_wait_dscnt 0x0
	v_dual_cndmask_b32 v12, v5, v10, s19 :: v_dual_cndmask_b32 v13, v11, v5, s19
	v_dual_cndmask_b32 v32, v4, v30, s19 :: v_dual_cndmask_b32 v33, v31, v4, s19
	v_cmpx_lt_u32_e64 v18, v24
	s_cbranch_execz .LBB26_103
; %bb.93:
	s_mov_b32 s0, 0
	s_mov_b32 s21, exec_lo
	v_cmpx_lt_u32_e64 v19, v1
	s_cbranch_execz .LBB26_102
; %bb.94:
	s_and_not1_b32 vcc_lo, exec_lo, s4
	s_cbranch_vccnz .LBB26_100
; %bb.95:
	v_mad_nc_u64_u32 v[4:5], v32, s12, s[14:15]
	v_mad_nc_u64_u32 v[6:7], v33, s12, s[14:15]
	s_mov_b32 s23, 0
	s_mov_b64 s[2:3], s[12:13]
                                        ; implicit-def: $sgpr24
                                        ; implicit-def: $sgpr25
                                        ; implicit-def: $sgpr26
                                        ; implicit-def: $sgpr27
	s_delay_alu instid0(VALU_DEP_2) | instskip(NEXT) | instid1(VALU_DEP_2)
	v_mad_u32 v5, v12, s12, v5
	v_mad_u32 v7, v13, s12, v7
	s_delay_alu instid0(VALU_DEP_2) | instskip(NEXT) | instid1(VALU_DEP_2)
	v_mad_u32 v5, v32, s13, v5
	v_mad_u32 v7, v33, s13, v7
	s_branch .LBB26_97
.LBB26_96:                              ;   in Loop: Header=BB26_97 Depth=1
	s_or_b32 exec_lo, exec_lo, s28
	s_delay_alu instid0(SALU_CYCLE_1) | instskip(NEXT) | instid1(SALU_CYCLE_1)
	s_and_b32 s28, exec_lo, s25
	s_or_b32 s23, s28, s23
	s_and_not1_b32 s27, s27, exec_lo
	s_and_b32 s0, s0, exec_lo
	s_and_not1_b32 s24, s24, exec_lo
	s_and_b32 s28, s26, exec_lo
	s_or_b32 s27, s27, s0
	s_or_b32 s24, s24, s28
	s_and_not1_b32 exec_lo, exec_lo, s23
	s_cbranch_execz .LBB26_99
.LBB26_97:                              ; =>This Inner Loop Header: Depth=1
	global_load_u8 v34, v[4:5], off
	global_load_u8 v35, v[6:7], off
	s_and_not1_b32 s26, s26, exec_lo
	s_or_b32 s25, s25, exec_lo
	s_wait_loadcnt 0x1
	v_and_b32_e32 v34, 0xff, v34
	s_wait_loadcnt 0x0
	v_and_b32_e32 v35, 0xff, v35
	s_delay_alu instid0(VALU_DEP_1) | instskip(SKIP_2) | instid1(SALU_CYCLE_1)
	v_cmp_le_u16_e32 vcc_lo, v34, v35
	v_cmp_lt_u16_e64 s0, v34, v35
	s_and_b32 s28, vcc_lo, s27
	s_or_b32 s0, s0, s28
	s_delay_alu instid0(SALU_CYCLE_1) | instskip(NEXT) | instid1(SALU_CYCLE_1)
	s_and_b32 s28, s0, exec_lo
	s_or_b32 s26, s26, s28
	s_mov_b32 s28, exec_lo
	v_cmpx_eq_u16_e64 v34, v35
	s_cbranch_execz .LBB26_96
; %bb.98:                               ;   in Loop: Header=BB26_97 Depth=1
	s_add_nc_u64 s[2:3], s[2:3], -1
	v_add_nc_u64_e32 v[4:5], 1, v[4:5]
	s_cmp_eq_u64 s[2:3], 0
	v_add_nc_u64_e32 v[6:7], 1, v[6:7]
	s_cselect_b32 s27, -1, 0
	s_and_not1_b32 s25, s25, exec_lo
	s_and_b32 s27, s27, exec_lo
	s_and_not1_b32 s26, s26, exec_lo
	s_or_b32 s25, s25, s27
                                        ; implicit-def: $sgpr27
	s_branch .LBB26_96
.LBB26_99:
	s_or_b32 exec_lo, exec_lo, s23
	s_xor_b32 s0, s24, -1
	s_branch .LBB26_101
.LBB26_100:
	s_mov_b32 s0, -1
.LBB26_101:
	s_delay_alu instid0(SALU_CYCLE_1)
	s_and_b32 s0, s0, exec_lo
.LBB26_102:
	s_or_b32 exec_lo, exec_lo, s21
	s_delay_alu instid0(SALU_CYCLE_1)
	s_or_not1_b32 s21, s0, exec_lo
.LBB26_103:
	s_or_b32 exec_lo, exec_lo, s22
	v_dual_cndmask_b32 v4, v18, v19, s21 :: v_dual_cndmask_b32 v5, v24, v1, s21
	s_mov_b32 s22, exec_lo
	s_delay_alu instid0(VALU_DEP_1) | instskip(NEXT) | instid1(VALU_DEP_1)
	v_add_nc_u32_e32 v6, 1, v4
	v_add_min_u32_e64 v4, v5, -1, v6
	s_delay_alu instid0(VALU_DEP_1)
	v_lshlrev_b32_e32 v4, 3, v4
	ds_load_b64 v[4:5], v4
	v_cndmask_b32_e64 v37, v6, v18, s21
	s_wait_dscnt 0x0
	v_dual_cndmask_b32 v34, v19, v6, s21 :: v_dual_cndmask_b32 v36, v4, v32, s21
	v_cndmask_b32_e64 v35, v5, v12, s21
	v_cndmask_b32_e64 v38, v13, v5, s21
	v_cndmask_b32_e64 v39, v33, v4, s21
	v_cmpx_lt_u32_e64 v37, v24
	s_cbranch_execz .LBB26_114
; %bb.104:
	s_mov_b32 s0, 0
	s_mov_b32 s20, exec_lo
	v_cmpx_lt_u32_e64 v34, v1
	s_cbranch_execz .LBB26_113
; %bb.105:
	s_and_not1_b32 vcc_lo, exec_lo, s4
	s_cbranch_vccnz .LBB26_111
; %bb.106:
	v_mad_nc_u64_u32 v[4:5], v36, s12, s[14:15]
	v_mad_nc_u64_u32 v[6:7], v39, s12, s[14:15]
	s_mov_b32 s23, 0
	s_mov_b64 s[2:3], s[12:13]
                                        ; implicit-def: $sgpr24
                                        ; implicit-def: $sgpr25
                                        ; implicit-def: $sgpr26
                                        ; implicit-def: $sgpr27
	s_delay_alu instid0(VALU_DEP_2) | instskip(NEXT) | instid1(VALU_DEP_2)
	v_mad_u32 v5, v35, s12, v5
	v_mad_u32 v7, v38, s12, v7
	s_delay_alu instid0(VALU_DEP_2) | instskip(NEXT) | instid1(VALU_DEP_2)
	v_mad_u32 v5, v36, s13, v5
	v_mad_u32 v7, v39, s13, v7
	s_branch .LBB26_108
.LBB26_107:                             ;   in Loop: Header=BB26_108 Depth=1
	s_or_b32 exec_lo, exec_lo, s28
	s_delay_alu instid0(SALU_CYCLE_1) | instskip(NEXT) | instid1(SALU_CYCLE_1)
	s_and_b32 s28, exec_lo, s25
	s_or_b32 s23, s28, s23
	s_and_not1_b32 s27, s27, exec_lo
	s_and_b32 s0, s0, exec_lo
	s_and_not1_b32 s24, s24, exec_lo
	s_and_b32 s28, s26, exec_lo
	s_or_b32 s27, s27, s0
	s_or_b32 s24, s24, s28
	s_and_not1_b32 exec_lo, exec_lo, s23
	s_cbranch_execz .LBB26_110
.LBB26_108:                             ; =>This Inner Loop Header: Depth=1
	global_load_u8 v18, v[4:5], off
	global_load_u8 v19, v[6:7], off
	s_and_not1_b32 s26, s26, exec_lo
	s_or_b32 s25, s25, exec_lo
	s_wait_loadcnt 0x1
	v_and_b32_e32 v18, 0xff, v18
	s_wait_loadcnt 0x0
	v_and_b32_e32 v19, 0xff, v19
	s_delay_alu instid0(VALU_DEP_1) | instskip(SKIP_2) | instid1(SALU_CYCLE_1)
	v_cmp_le_u16_e32 vcc_lo, v18, v19
	v_cmp_lt_u16_e64 s0, v18, v19
	s_and_b32 s28, vcc_lo, s27
	s_or_b32 s0, s0, s28
	s_delay_alu instid0(SALU_CYCLE_1) | instskip(NEXT) | instid1(SALU_CYCLE_1)
	s_and_b32 s28, s0, exec_lo
	s_or_b32 s26, s26, s28
	s_mov_b32 s28, exec_lo
	v_cmpx_eq_u16_e64 v18, v19
	s_cbranch_execz .LBB26_107
; %bb.109:                              ;   in Loop: Header=BB26_108 Depth=1
	s_add_nc_u64 s[2:3], s[2:3], -1
	v_add_nc_u64_e32 v[4:5], 1, v[4:5]
	s_cmp_eq_u64 s[2:3], 0
	v_add_nc_u64_e32 v[6:7], 1, v[6:7]
	s_cselect_b32 s27, -1, 0
	s_and_not1_b32 s25, s25, exec_lo
	s_and_b32 s27, s27, exec_lo
	s_and_not1_b32 s26, s26, exec_lo
	s_or_b32 s25, s25, s27
                                        ; implicit-def: $sgpr27
	s_branch .LBB26_107
.LBB26_110:
	s_or_b32 exec_lo, exec_lo, s23
	s_xor_b32 s0, s24, -1
	s_branch .LBB26_112
.LBB26_111:
	s_mov_b32 s0, -1
.LBB26_112:
	s_delay_alu instid0(SALU_CYCLE_1)
	s_and_b32 s0, s0, exec_lo
.LBB26_113:
	s_or_b32 exec_lo, exec_lo, s20
	s_delay_alu instid0(SALU_CYCLE_1)
	s_or_not1_b32 s20, s0, exec_lo
.LBB26_114:
	s_or_b32 exec_lo, exec_lo, s22
	v_dual_cndmask_b32 v4, v37, v34, s20 :: v_dual_cndmask_b32 v5, v24, v1, s20
	v_dual_cndmask_b32 v13, v12, v13, s21 :: v_dual_cndmask_b32 v11, v10, v11, s19
	;; [unrolled: 1-line block ×3, first 2 shown]
	s_delay_alu instid0(VALU_DEP_3) | instskip(SKIP_2) | instid1(VALU_DEP_3)
	v_dual_add_nc_u32 v40, 1, v4 :: v_dual_cndmask_b32 v9, v8, v9, s18
	v_dual_cndmask_b32 v7, v23, v26, s11 :: v_dual_cndmask_b32 v8, v28, v29, s18
	v_cndmask_b32_e64 v6, v25, v27, s11
	v_add_min_u32_e64 v4, v5, -1, v40
	v_dual_cndmask_b32 v5, v16, v21, s10 :: v_dual_cndmask_b32 v3, v15, v3, s5
	v_cndmask_b32_e64 v2, v14, v2, s5
	s_delay_alu instid0(VALU_DEP_3)
	v_dual_cndmask_b32 v15, v35, v38, s20 :: v_dual_lshlrev_b32 v4, 3, v4
	v_cndmask_b32_e64 v21, v40, v37, s20
	s_mov_b32 s2, exec_lo
	ds_load_b64 v[18:19], v4
	v_dual_cndmask_b32 v4, v17, v22, s10 :: v_dual_cndmask_b32 v14, v36, v39, s20
	s_wait_dscnt 0x0
	v_dual_cndmask_b32 v16, v39, v18, s20 :: v_dual_cndmask_b32 v17, v38, v19, s20
	v_cmpx_lt_u32_e64 v21, v24
	s_cbranch_execz .LBB26_124
; %bb.115:
	v_dual_cndmask_b32 v21, v34, v40, s20 :: v_dual_cndmask_b32 v19, v19, v35, s20
	v_cndmask_b32_e64 v18, v18, v36, s20
	s_mov_b32 s3, exec_lo
	s_delay_alu instid0(VALU_DEP_2)
	v_cmpx_lt_u32_e64 v21, v1
	s_cbranch_execz .LBB26_123
; %bb.116:
	s_and_not1_b32 vcc_lo, exec_lo, s4
	s_cbranch_vccnz .LBB26_122
; %bb.117:
	v_mad_nc_u64_u32 v[22:23], v18, s12, s[14:15]
	v_mad_nc_u64_u32 v[24:25], v16, s12, s[14:15]
	s_mov_b32 s4, 0
                                        ; implicit-def: $sgpr5
                                        ; implicit-def: $sgpr10
                                        ; implicit-def: $sgpr11
                                        ; implicit-def: $sgpr14
	s_delay_alu instid0(VALU_DEP_2) | instskip(NEXT) | instid1(VALU_DEP_2)
	v_mad_u32 v1, v19, s12, v23
	v_mad_u32 v21, v17, s12, v25
	s_delay_alu instid0(VALU_DEP_2) | instskip(NEXT) | instid1(VALU_DEP_2)
	v_mad_u32 v23, v18, s13, v1
	v_mad_u32 v25, v16, s13, v21
	s_branch .LBB26_119
.LBB26_118:                             ;   in Loop: Header=BB26_119 Depth=1
	s_or_b32 exec_lo, exec_lo, s15
	s_delay_alu instid0(SALU_CYCLE_1) | instskip(NEXT) | instid1(SALU_CYCLE_1)
	s_and_b32 s15, exec_lo, s10
	s_or_b32 s4, s15, s4
	s_and_not1_b32 s14, s14, exec_lo
	s_and_b32 s0, s0, exec_lo
	s_and_not1_b32 s5, s5, exec_lo
	s_and_b32 s15, s11, exec_lo
	s_or_b32 s14, s14, s0
	s_or_b32 s5, s5, s15
	s_and_not1_b32 exec_lo, exec_lo, s4
	s_cbranch_execz .LBB26_121
.LBB26_119:                             ; =>This Inner Loop Header: Depth=1
	global_load_u8 v1, v[22:23], off
	global_load_u8 v21, v[24:25], off
	s_and_not1_b32 s11, s11, exec_lo
	s_or_b32 s10, s10, exec_lo
	s_wait_loadcnt 0x1
	v_and_b32_e32 v1, 0xff, v1
	s_wait_loadcnt 0x0
	v_and_b32_e32 v21, 0xff, v21
	s_delay_alu instid0(VALU_DEP_1) | instskip(SKIP_2) | instid1(SALU_CYCLE_1)
	v_cmp_le_u16_e32 vcc_lo, v1, v21
	v_cmp_lt_u16_e64 s0, v1, v21
	s_and_b32 s15, vcc_lo, s14
	s_or_b32 s0, s0, s15
	s_delay_alu instid0(SALU_CYCLE_1) | instskip(NEXT) | instid1(SALU_CYCLE_1)
	s_and_b32 s15, s0, exec_lo
	s_or_b32 s11, s11, s15
	s_mov_b32 s15, exec_lo
	v_cmpx_eq_u16_e64 v1, v21
	s_cbranch_execz .LBB26_118
; %bb.120:                              ;   in Loop: Header=BB26_119 Depth=1
	s_add_nc_u64 s[12:13], s[12:13], -1
	v_add_nc_u64_e32 v[22:23], 1, v[22:23]
	s_cmp_eq_u64 s[12:13], 0
	v_add_nc_u64_e32 v[24:25], 1, v[24:25]
	s_cselect_b32 s14, -1, 0
	s_and_not1_b32 s10, s10, exec_lo
	s_and_b32 s14, s14, exec_lo
	s_and_not1_b32 s11, s11, exec_lo
	s_or_b32 s10, s10, s14
                                        ; implicit-def: $sgpr14
	s_branch .LBB26_118
.LBB26_121:
	s_or_b32 exec_lo, exec_lo, s4
	v_dual_cndmask_b32 v17, v17, v19, s5 :: v_dual_cndmask_b32 v16, v16, v18, s5
.LBB26_122:
	s_delay_alu instid0(VALU_DEP_1)
	v_mov_b64_e32 v[18:19], v[16:17]
.LBB26_123:
	s_or_b32 exec_lo, exec_lo, s3
	s_delay_alu instid0(VALU_DEP_1)
	v_mov_b64_e32 v[16:17], v[18:19]
.LBB26_124:
	s_or_b32 exec_lo, exec_lo, s2
.LBB26_125:
	s_delay_alu instid0(SALU_CYCLE_1) | instskip(SKIP_4) | instid1(VALU_DEP_4)
	s_or_b32 exec_lo, exec_lo, s1
	v_or_b32_e32 v25, 0x80, v0
	v_lshrrev_b32_e32 v1, 2, v0
	v_or_b32_e32 v22, 0x100, v0
	v_lshlrev_b32_e32 v18, 3, v20
	v_lshrrev_b32_e32 v19, 2, v25
	s_barrier_signal -1
	s_delay_alu instid0(VALU_DEP_3) | instskip(NEXT) | instid1(VALU_DEP_3)
	v_lshrrev_b32_e32 v21, 2, v22
	v_lshl_add_u32 v18, v1, 3, v18
	s_barrier_wait -1
	s_barrier_signal -1
	s_barrier_wait -1
	ds_store_2addr_b64 v18, v[2:3], v[4:5] offset1:1
	ds_store_2addr_b64 v18, v[6:7], v[8:9] offset0:2 offset1:3
	v_and_b32_e32 v2, 56, v19
	v_and_b32_e32 v1, 24, v1
	v_or_b32_e32 v24, 0x180, v0
	v_and_b32_e32 v3, 0x58, v21
	v_or_b32_e32 v23, 0x200, v0
	s_delay_alu instid0(VALU_DEP_4) | instskip(NEXT) | instid1(VALU_DEP_4)
	v_dual_add_nc_u32 v6, v2, v20 :: v_dual_add_nc_u32 v26, v1, v20
	v_lshrrev_b32_e32 v1, 2, v24
	ds_store_2addr_b64 v18, v[10:11], v[12:13] offset0:4 offset1:5
	ds_store_2addr_b64 v18, v[14:15], v[16:17] offset0:6 offset1:7
	v_or_b32_e32 v19, 0x280, v0
	v_add_nc_u32_e32 v7, v3, v20
	v_or_b32_e32 v18, 0x300, v0
	v_lshrrev_b32_e32 v3, 2, v23
	v_and_b32_e32 v2, 0x78, v1
	v_or_b32_e32 v1, 0x380, v0
	s_delay_alu instid0(VALU_DEP_4) | instskip(NEXT) | instid1(VALU_DEP_4)
	v_dual_lshrrev_b32 v4, 2, v19 :: v_dual_lshrrev_b32 v5, 2, v18
	v_and_b32_e32 v3, 0x98, v3
	s_delay_alu instid0(VALU_DEP_3)
	v_dual_add_nc_u32 v8, v2, v20 :: v_dual_lshrrev_b32 v2, 2, v1
	v_mov_b32_e32 v21, 0
	s_lshl_b64 s[0:1], s[16:17], 3
	v_and_b32_e32 v4, 0xb8, v4
	v_and_b32_e32 v5, 0xd8, v5
	;; [unrolled: 1-line block ×3, first 2 shown]
	s_add_nc_u64 s[0:1], s[6:7], s[0:1]
	s_delay_alu instid0(VALU_DEP_3) | instskip(SKIP_1) | instid1(VALU_DEP_3)
	v_dual_add_nc_u32 v9, v3, v20 :: v_dual_add_nc_u32 v27, v4, v20
	v_add_nc_u64_e32 v[2:3], s[0:1], v[20:21]
	v_dual_add_nc_u32 v28, v5, v20 :: v_dual_add_nc_u32 v20, v10, v20
	s_and_b32 vcc_lo, exec_lo, s9
	s_wait_dscnt 0x0
	s_cbranch_vccz .LBB26_127
; %bb.126:
	s_barrier_signal -1
	s_barrier_wait -1
	ds_load_b64 v[10:11], v26
	ds_load_b64 v[12:13], v6 offset:1024
	ds_load_b64 v[14:15], v7 offset:2048
	;; [unrolled: 1-line block ×7, first 2 shown]
	s_mov_b32 s0, -1
	s_wait_dscnt 0x7
	global_store_b64 v[2:3], v[10:11], off
	s_wait_dscnt 0x6
	global_store_b64 v[2:3], v[12:13], off offset:1024
	s_wait_dscnt 0x5
	global_store_b64 v[2:3], v[14:15], off offset:2048
	s_wait_dscnt 0x4
	global_store_b64 v[2:3], v[16:17], off offset:3072
	s_wait_dscnt 0x3
	global_store_b64 v[2:3], v[30:31], off offset:4096
	s_wait_dscnt 0x2
	global_store_b64 v[2:3], v[32:33], off offset:5120
	s_wait_dscnt 0x1
	global_store_b64 v[2:3], v[34:35], off offset:6144
	s_cbranch_execz .LBB26_128
	s_branch .LBB26_137
.LBB26_127:
	s_mov_b32 s0, 0
                                        ; implicit-def: $vgpr4_vgpr5
.LBB26_128:
	s_barrier_signal -1
	s_barrier_wait -1
	s_wait_storecnt_dscnt 0x0
	s_wait_xcnt 0x3
	ds_load_b64 v[16:17], v6 offset:1024
	ds_load_b64 v[14:15], v7 offset:2048
	;; [unrolled: 1-line block ×7, first 2 shown]
	s_sub_co_i32 s0, s8, s16
	s_mov_b32 s1, exec_lo
	s_wait_xcnt 0x0
	v_cmpx_gt_u32_e64 s0, v0
	s_cbranch_execnz .LBB26_140
; %bb.129:
	s_or_b32 exec_lo, exec_lo, s1
	s_delay_alu instid0(SALU_CYCLE_1)
	s_mov_b32 s1, exec_lo
	v_cmpx_gt_u32_e64 s0, v25
	s_cbranch_execnz .LBB26_141
.LBB26_130:
	s_or_b32 exec_lo, exec_lo, s1
	s_delay_alu instid0(SALU_CYCLE_1)
	s_mov_b32 s1, exec_lo
	v_cmpx_gt_u32_e64 s0, v22
	s_cbranch_execnz .LBB26_142
.LBB26_131:
	s_or_b32 exec_lo, exec_lo, s1
	s_delay_alu instid0(SALU_CYCLE_1)
	s_mov_b32 s1, exec_lo
	v_cmpx_gt_u32_e64 s0, v24
	s_cbranch_execnz .LBB26_143
.LBB26_132:
	s_or_b32 exec_lo, exec_lo, s1
	s_delay_alu instid0(SALU_CYCLE_1)
	s_mov_b32 s1, exec_lo
	v_cmpx_gt_u32_e64 s0, v23
	s_cbranch_execnz .LBB26_144
.LBB26_133:
	s_or_b32 exec_lo, exec_lo, s1
	s_delay_alu instid0(SALU_CYCLE_1)
	s_mov_b32 s1, exec_lo
	v_cmpx_gt_u32_e64 s0, v19
	s_cbranch_execnz .LBB26_145
.LBB26_134:
	s_or_b32 exec_lo, exec_lo, s1
	s_delay_alu instid0(SALU_CYCLE_1)
	s_mov_b32 s1, exec_lo
	v_cmpx_gt_u32_e64 s0, v18
	s_cbranch_execz .LBB26_136
.LBB26_135:
	s_wait_dscnt 0x1
	global_store_b64 v[2:3], v[6:7], off offset:6144
.LBB26_136:
	s_wait_xcnt 0x0
	s_or_b32 exec_lo, exec_lo, s1
	v_cmp_gt_u32_e64 s0, s0, v1
.LBB26_137:
	s_wait_xcnt 0x0
	s_delay_alu instid0(VALU_DEP_1)
	s_and_saveexec_b32 s1, s0
	s_cbranch_execz .LBB26_139
; %bb.138:
	s_wait_dscnt 0x0
	global_store_b64 v[2:3], v[4:5], off offset:7168
.LBB26_139:
	s_endpgm
.LBB26_140:
	ds_load_b64 v[20:21], v26
	s_wait_dscnt 0x0
	global_store_b64 v[2:3], v[20:21], off
	s_wait_xcnt 0x0
	s_or_b32 exec_lo, exec_lo, s1
	s_delay_alu instid0(SALU_CYCLE_1)
	s_mov_b32 s1, exec_lo
	v_cmpx_gt_u32_e64 s0, v25
	s_cbranch_execz .LBB26_130
.LBB26_141:
	s_wait_dscnt 0x6
	global_store_b64 v[2:3], v[16:17], off offset:1024
	s_wait_xcnt 0x0
	s_or_b32 exec_lo, exec_lo, s1
	s_delay_alu instid0(SALU_CYCLE_1)
	s_mov_b32 s1, exec_lo
	v_cmpx_gt_u32_e64 s0, v22
	s_cbranch_execz .LBB26_131
.LBB26_142:
	s_wait_dscnt 0x5
	global_store_b64 v[2:3], v[14:15], off offset:2048
	s_wait_xcnt 0x0
	s_or_b32 exec_lo, exec_lo, s1
	s_delay_alu instid0(SALU_CYCLE_1)
	s_mov_b32 s1, exec_lo
	v_cmpx_gt_u32_e64 s0, v24
	s_cbranch_execz .LBB26_132
.LBB26_143:
	s_wait_dscnt 0x4
	global_store_b64 v[2:3], v[12:13], off offset:3072
	s_wait_xcnt 0x0
	s_or_b32 exec_lo, exec_lo, s1
	s_delay_alu instid0(SALU_CYCLE_1)
	s_mov_b32 s1, exec_lo
	v_cmpx_gt_u32_e64 s0, v23
	s_cbranch_execz .LBB26_133
.LBB26_144:
	s_wait_dscnt 0x3
	global_store_b64 v[2:3], v[10:11], off offset:4096
	s_wait_xcnt 0x0
	s_or_b32 exec_lo, exec_lo, s1
	s_delay_alu instid0(SALU_CYCLE_1)
	s_mov_b32 s1, exec_lo
	v_cmpx_gt_u32_e64 s0, v19
	s_cbranch_execz .LBB26_134
.LBB26_145:
	s_wait_dscnt 0x2
	global_store_b64 v[2:3], v[8:9], off offset:5120
	s_wait_xcnt 0x0
	s_or_b32 exec_lo, exec_lo, s1
	s_delay_alu instid0(SALU_CYCLE_1)
	s_mov_b32 s1, exec_lo
	v_cmpx_gt_u32_e64 s0, v18
	s_cbranch_execnz .LBB26_135
	s_branch .LBB26_136
	.section	.rodata,"a",@progbits
	.p2align	6, 0x0
	.amdhsa_kernel _ZN7rocprim17ROCPRIM_400000_NS6detail17trampoline_kernelINS0_14default_configENS1_38merge_sort_block_merge_config_selectorIlNS0_10empty_typeEEEZZNS1_27merge_sort_block_merge_implIS3_PlPS5_mZN2at6native12_GLOBAL__N_124unique_dim_cuda_templateIhEESt5tupleIJNSA_6TensorESF_SF_EERKSF_lbbbEUlllE_EE10hipError_tT0_T1_T2_jT3_P12ihipStream_tbPNSt15iterator_traitsISL_E10value_typeEPNSR_ISM_E10value_typeEPSN_NS1_7vsmem_tEENKUlT_SL_SM_SN_E_clIS8_S8_S9_S9_EESK_S10_SL_SM_SN_EUlS10_E0_NS1_11comp_targetILNS1_3genE0ELNS1_11target_archE4294967295ELNS1_3gpuE0ELNS1_3repE0EEENS1_38merge_mergepath_config_static_selectorELNS0_4arch9wavefront6targetE0EEEvSM_
		.amdhsa_group_segment_fixed_size 8448
		.amdhsa_private_segment_fixed_size 0
		.amdhsa_kernarg_size 344
		.amdhsa_user_sgpr_count 2
		.amdhsa_user_sgpr_dispatch_ptr 0
		.amdhsa_user_sgpr_queue_ptr 0
		.amdhsa_user_sgpr_kernarg_segment_ptr 1
		.amdhsa_user_sgpr_dispatch_id 0
		.amdhsa_user_sgpr_kernarg_preload_length 0
		.amdhsa_user_sgpr_kernarg_preload_offset 0
		.amdhsa_user_sgpr_private_segment_size 0
		.amdhsa_wavefront_size32 1
		.amdhsa_uses_dynamic_stack 0
		.amdhsa_enable_private_segment 0
		.amdhsa_system_sgpr_workgroup_id_x 1
		.amdhsa_system_sgpr_workgroup_id_y 1
		.amdhsa_system_sgpr_workgroup_id_z 1
		.amdhsa_system_sgpr_workgroup_info 0
		.amdhsa_system_vgpr_workitem_id 0
		.amdhsa_next_free_vgpr 41
		.amdhsa_next_free_sgpr 31
		.amdhsa_named_barrier_count 0
		.amdhsa_reserve_vcc 1
		.amdhsa_float_round_mode_32 0
		.amdhsa_float_round_mode_16_64 0
		.amdhsa_float_denorm_mode_32 3
		.amdhsa_float_denorm_mode_16_64 3
		.amdhsa_fp16_overflow 0
		.amdhsa_memory_ordered 1
		.amdhsa_forward_progress 1
		.amdhsa_inst_pref_size 56
		.amdhsa_round_robin_scheduling 0
		.amdhsa_exception_fp_ieee_invalid_op 0
		.amdhsa_exception_fp_denorm_src 0
		.amdhsa_exception_fp_ieee_div_zero 0
		.amdhsa_exception_fp_ieee_overflow 0
		.amdhsa_exception_fp_ieee_underflow 0
		.amdhsa_exception_fp_ieee_inexact 0
		.amdhsa_exception_int_div_zero 0
	.end_amdhsa_kernel
	.section	.text._ZN7rocprim17ROCPRIM_400000_NS6detail17trampoline_kernelINS0_14default_configENS1_38merge_sort_block_merge_config_selectorIlNS0_10empty_typeEEEZZNS1_27merge_sort_block_merge_implIS3_PlPS5_mZN2at6native12_GLOBAL__N_124unique_dim_cuda_templateIhEESt5tupleIJNSA_6TensorESF_SF_EERKSF_lbbbEUlllE_EE10hipError_tT0_T1_T2_jT3_P12ihipStream_tbPNSt15iterator_traitsISL_E10value_typeEPNSR_ISM_E10value_typeEPSN_NS1_7vsmem_tEENKUlT_SL_SM_SN_E_clIS8_S8_S9_S9_EESK_S10_SL_SM_SN_EUlS10_E0_NS1_11comp_targetILNS1_3genE0ELNS1_11target_archE4294967295ELNS1_3gpuE0ELNS1_3repE0EEENS1_38merge_mergepath_config_static_selectorELNS0_4arch9wavefront6targetE0EEEvSM_,"axG",@progbits,_ZN7rocprim17ROCPRIM_400000_NS6detail17trampoline_kernelINS0_14default_configENS1_38merge_sort_block_merge_config_selectorIlNS0_10empty_typeEEEZZNS1_27merge_sort_block_merge_implIS3_PlPS5_mZN2at6native12_GLOBAL__N_124unique_dim_cuda_templateIhEESt5tupleIJNSA_6TensorESF_SF_EERKSF_lbbbEUlllE_EE10hipError_tT0_T1_T2_jT3_P12ihipStream_tbPNSt15iterator_traitsISL_E10value_typeEPNSR_ISM_E10value_typeEPSN_NS1_7vsmem_tEENKUlT_SL_SM_SN_E_clIS8_S8_S9_S9_EESK_S10_SL_SM_SN_EUlS10_E0_NS1_11comp_targetILNS1_3genE0ELNS1_11target_archE4294967295ELNS1_3gpuE0ELNS1_3repE0EEENS1_38merge_mergepath_config_static_selectorELNS0_4arch9wavefront6targetE0EEEvSM_,comdat
.Lfunc_end26:
	.size	_ZN7rocprim17ROCPRIM_400000_NS6detail17trampoline_kernelINS0_14default_configENS1_38merge_sort_block_merge_config_selectorIlNS0_10empty_typeEEEZZNS1_27merge_sort_block_merge_implIS3_PlPS5_mZN2at6native12_GLOBAL__N_124unique_dim_cuda_templateIhEESt5tupleIJNSA_6TensorESF_SF_EERKSF_lbbbEUlllE_EE10hipError_tT0_T1_T2_jT3_P12ihipStream_tbPNSt15iterator_traitsISL_E10value_typeEPNSR_ISM_E10value_typeEPSN_NS1_7vsmem_tEENKUlT_SL_SM_SN_E_clIS8_S8_S9_S9_EESK_S10_SL_SM_SN_EUlS10_E0_NS1_11comp_targetILNS1_3genE0ELNS1_11target_archE4294967295ELNS1_3gpuE0ELNS1_3repE0EEENS1_38merge_mergepath_config_static_selectorELNS0_4arch9wavefront6targetE0EEEvSM_, .Lfunc_end26-_ZN7rocprim17ROCPRIM_400000_NS6detail17trampoline_kernelINS0_14default_configENS1_38merge_sort_block_merge_config_selectorIlNS0_10empty_typeEEEZZNS1_27merge_sort_block_merge_implIS3_PlPS5_mZN2at6native12_GLOBAL__N_124unique_dim_cuda_templateIhEESt5tupleIJNSA_6TensorESF_SF_EERKSF_lbbbEUlllE_EE10hipError_tT0_T1_T2_jT3_P12ihipStream_tbPNSt15iterator_traitsISL_E10value_typeEPNSR_ISM_E10value_typeEPSN_NS1_7vsmem_tEENKUlT_SL_SM_SN_E_clIS8_S8_S9_S9_EESK_S10_SL_SM_SN_EUlS10_E0_NS1_11comp_targetILNS1_3genE0ELNS1_11target_archE4294967295ELNS1_3gpuE0ELNS1_3repE0EEENS1_38merge_mergepath_config_static_selectorELNS0_4arch9wavefront6targetE0EEEvSM_
                                        ; -- End function
	.set _ZN7rocprim17ROCPRIM_400000_NS6detail17trampoline_kernelINS0_14default_configENS1_38merge_sort_block_merge_config_selectorIlNS0_10empty_typeEEEZZNS1_27merge_sort_block_merge_implIS3_PlPS5_mZN2at6native12_GLOBAL__N_124unique_dim_cuda_templateIhEESt5tupleIJNSA_6TensorESF_SF_EERKSF_lbbbEUlllE_EE10hipError_tT0_T1_T2_jT3_P12ihipStream_tbPNSt15iterator_traitsISL_E10value_typeEPNSR_ISM_E10value_typeEPSN_NS1_7vsmem_tEENKUlT_SL_SM_SN_E_clIS8_S8_S9_S9_EESK_S10_SL_SM_SN_EUlS10_E0_NS1_11comp_targetILNS1_3genE0ELNS1_11target_archE4294967295ELNS1_3gpuE0ELNS1_3repE0EEENS1_38merge_mergepath_config_static_selectorELNS0_4arch9wavefront6targetE0EEEvSM_.num_vgpr, 41
	.set _ZN7rocprim17ROCPRIM_400000_NS6detail17trampoline_kernelINS0_14default_configENS1_38merge_sort_block_merge_config_selectorIlNS0_10empty_typeEEEZZNS1_27merge_sort_block_merge_implIS3_PlPS5_mZN2at6native12_GLOBAL__N_124unique_dim_cuda_templateIhEESt5tupleIJNSA_6TensorESF_SF_EERKSF_lbbbEUlllE_EE10hipError_tT0_T1_T2_jT3_P12ihipStream_tbPNSt15iterator_traitsISL_E10value_typeEPNSR_ISM_E10value_typeEPSN_NS1_7vsmem_tEENKUlT_SL_SM_SN_E_clIS8_S8_S9_S9_EESK_S10_SL_SM_SN_EUlS10_E0_NS1_11comp_targetILNS1_3genE0ELNS1_11target_archE4294967295ELNS1_3gpuE0ELNS1_3repE0EEENS1_38merge_mergepath_config_static_selectorELNS0_4arch9wavefront6targetE0EEEvSM_.num_agpr, 0
	.set _ZN7rocprim17ROCPRIM_400000_NS6detail17trampoline_kernelINS0_14default_configENS1_38merge_sort_block_merge_config_selectorIlNS0_10empty_typeEEEZZNS1_27merge_sort_block_merge_implIS3_PlPS5_mZN2at6native12_GLOBAL__N_124unique_dim_cuda_templateIhEESt5tupleIJNSA_6TensorESF_SF_EERKSF_lbbbEUlllE_EE10hipError_tT0_T1_T2_jT3_P12ihipStream_tbPNSt15iterator_traitsISL_E10value_typeEPNSR_ISM_E10value_typeEPSN_NS1_7vsmem_tEENKUlT_SL_SM_SN_E_clIS8_S8_S9_S9_EESK_S10_SL_SM_SN_EUlS10_E0_NS1_11comp_targetILNS1_3genE0ELNS1_11target_archE4294967295ELNS1_3gpuE0ELNS1_3repE0EEENS1_38merge_mergepath_config_static_selectorELNS0_4arch9wavefront6targetE0EEEvSM_.numbered_sgpr, 31
	.set _ZN7rocprim17ROCPRIM_400000_NS6detail17trampoline_kernelINS0_14default_configENS1_38merge_sort_block_merge_config_selectorIlNS0_10empty_typeEEEZZNS1_27merge_sort_block_merge_implIS3_PlPS5_mZN2at6native12_GLOBAL__N_124unique_dim_cuda_templateIhEESt5tupleIJNSA_6TensorESF_SF_EERKSF_lbbbEUlllE_EE10hipError_tT0_T1_T2_jT3_P12ihipStream_tbPNSt15iterator_traitsISL_E10value_typeEPNSR_ISM_E10value_typeEPSN_NS1_7vsmem_tEENKUlT_SL_SM_SN_E_clIS8_S8_S9_S9_EESK_S10_SL_SM_SN_EUlS10_E0_NS1_11comp_targetILNS1_3genE0ELNS1_11target_archE4294967295ELNS1_3gpuE0ELNS1_3repE0EEENS1_38merge_mergepath_config_static_selectorELNS0_4arch9wavefront6targetE0EEEvSM_.num_named_barrier, 0
	.set _ZN7rocprim17ROCPRIM_400000_NS6detail17trampoline_kernelINS0_14default_configENS1_38merge_sort_block_merge_config_selectorIlNS0_10empty_typeEEEZZNS1_27merge_sort_block_merge_implIS3_PlPS5_mZN2at6native12_GLOBAL__N_124unique_dim_cuda_templateIhEESt5tupleIJNSA_6TensorESF_SF_EERKSF_lbbbEUlllE_EE10hipError_tT0_T1_T2_jT3_P12ihipStream_tbPNSt15iterator_traitsISL_E10value_typeEPNSR_ISM_E10value_typeEPSN_NS1_7vsmem_tEENKUlT_SL_SM_SN_E_clIS8_S8_S9_S9_EESK_S10_SL_SM_SN_EUlS10_E0_NS1_11comp_targetILNS1_3genE0ELNS1_11target_archE4294967295ELNS1_3gpuE0ELNS1_3repE0EEENS1_38merge_mergepath_config_static_selectorELNS0_4arch9wavefront6targetE0EEEvSM_.private_seg_size, 0
	.set _ZN7rocprim17ROCPRIM_400000_NS6detail17trampoline_kernelINS0_14default_configENS1_38merge_sort_block_merge_config_selectorIlNS0_10empty_typeEEEZZNS1_27merge_sort_block_merge_implIS3_PlPS5_mZN2at6native12_GLOBAL__N_124unique_dim_cuda_templateIhEESt5tupleIJNSA_6TensorESF_SF_EERKSF_lbbbEUlllE_EE10hipError_tT0_T1_T2_jT3_P12ihipStream_tbPNSt15iterator_traitsISL_E10value_typeEPNSR_ISM_E10value_typeEPSN_NS1_7vsmem_tEENKUlT_SL_SM_SN_E_clIS8_S8_S9_S9_EESK_S10_SL_SM_SN_EUlS10_E0_NS1_11comp_targetILNS1_3genE0ELNS1_11target_archE4294967295ELNS1_3gpuE0ELNS1_3repE0EEENS1_38merge_mergepath_config_static_selectorELNS0_4arch9wavefront6targetE0EEEvSM_.uses_vcc, 1
	.set _ZN7rocprim17ROCPRIM_400000_NS6detail17trampoline_kernelINS0_14default_configENS1_38merge_sort_block_merge_config_selectorIlNS0_10empty_typeEEEZZNS1_27merge_sort_block_merge_implIS3_PlPS5_mZN2at6native12_GLOBAL__N_124unique_dim_cuda_templateIhEESt5tupleIJNSA_6TensorESF_SF_EERKSF_lbbbEUlllE_EE10hipError_tT0_T1_T2_jT3_P12ihipStream_tbPNSt15iterator_traitsISL_E10value_typeEPNSR_ISM_E10value_typeEPSN_NS1_7vsmem_tEENKUlT_SL_SM_SN_E_clIS8_S8_S9_S9_EESK_S10_SL_SM_SN_EUlS10_E0_NS1_11comp_targetILNS1_3genE0ELNS1_11target_archE4294967295ELNS1_3gpuE0ELNS1_3repE0EEENS1_38merge_mergepath_config_static_selectorELNS0_4arch9wavefront6targetE0EEEvSM_.uses_flat_scratch, 0
	.set _ZN7rocprim17ROCPRIM_400000_NS6detail17trampoline_kernelINS0_14default_configENS1_38merge_sort_block_merge_config_selectorIlNS0_10empty_typeEEEZZNS1_27merge_sort_block_merge_implIS3_PlPS5_mZN2at6native12_GLOBAL__N_124unique_dim_cuda_templateIhEESt5tupleIJNSA_6TensorESF_SF_EERKSF_lbbbEUlllE_EE10hipError_tT0_T1_T2_jT3_P12ihipStream_tbPNSt15iterator_traitsISL_E10value_typeEPNSR_ISM_E10value_typeEPSN_NS1_7vsmem_tEENKUlT_SL_SM_SN_E_clIS8_S8_S9_S9_EESK_S10_SL_SM_SN_EUlS10_E0_NS1_11comp_targetILNS1_3genE0ELNS1_11target_archE4294967295ELNS1_3gpuE0ELNS1_3repE0EEENS1_38merge_mergepath_config_static_selectorELNS0_4arch9wavefront6targetE0EEEvSM_.has_dyn_sized_stack, 0
	.set _ZN7rocprim17ROCPRIM_400000_NS6detail17trampoline_kernelINS0_14default_configENS1_38merge_sort_block_merge_config_selectorIlNS0_10empty_typeEEEZZNS1_27merge_sort_block_merge_implIS3_PlPS5_mZN2at6native12_GLOBAL__N_124unique_dim_cuda_templateIhEESt5tupleIJNSA_6TensorESF_SF_EERKSF_lbbbEUlllE_EE10hipError_tT0_T1_T2_jT3_P12ihipStream_tbPNSt15iterator_traitsISL_E10value_typeEPNSR_ISM_E10value_typeEPSN_NS1_7vsmem_tEENKUlT_SL_SM_SN_E_clIS8_S8_S9_S9_EESK_S10_SL_SM_SN_EUlS10_E0_NS1_11comp_targetILNS1_3genE0ELNS1_11target_archE4294967295ELNS1_3gpuE0ELNS1_3repE0EEENS1_38merge_mergepath_config_static_selectorELNS0_4arch9wavefront6targetE0EEEvSM_.has_recursion, 0
	.set _ZN7rocprim17ROCPRIM_400000_NS6detail17trampoline_kernelINS0_14default_configENS1_38merge_sort_block_merge_config_selectorIlNS0_10empty_typeEEEZZNS1_27merge_sort_block_merge_implIS3_PlPS5_mZN2at6native12_GLOBAL__N_124unique_dim_cuda_templateIhEESt5tupleIJNSA_6TensorESF_SF_EERKSF_lbbbEUlllE_EE10hipError_tT0_T1_T2_jT3_P12ihipStream_tbPNSt15iterator_traitsISL_E10value_typeEPNSR_ISM_E10value_typeEPSN_NS1_7vsmem_tEENKUlT_SL_SM_SN_E_clIS8_S8_S9_S9_EESK_S10_SL_SM_SN_EUlS10_E0_NS1_11comp_targetILNS1_3genE0ELNS1_11target_archE4294967295ELNS1_3gpuE0ELNS1_3repE0EEENS1_38merge_mergepath_config_static_selectorELNS0_4arch9wavefront6targetE0EEEvSM_.has_indirect_call, 0
	.section	.AMDGPU.csdata,"",@progbits
; Kernel info:
; codeLenInByte = 7152
; TotalNumSgprs: 33
; NumVgprs: 41
; ScratchSize: 0
; MemoryBound: 0
; FloatMode: 240
; IeeeMode: 1
; LDSByteSize: 8448 bytes/workgroup (compile time only)
; SGPRBlocks: 0
; VGPRBlocks: 2
; NumSGPRsForWavesPerEU: 33
; NumVGPRsForWavesPerEU: 41
; NamedBarCnt: 0
; Occupancy: 16
; WaveLimiterHint : 1
; COMPUTE_PGM_RSRC2:SCRATCH_EN: 0
; COMPUTE_PGM_RSRC2:USER_SGPR: 2
; COMPUTE_PGM_RSRC2:TRAP_HANDLER: 0
; COMPUTE_PGM_RSRC2:TGID_X_EN: 1
; COMPUTE_PGM_RSRC2:TGID_Y_EN: 1
; COMPUTE_PGM_RSRC2:TGID_Z_EN: 1
; COMPUTE_PGM_RSRC2:TIDIG_COMP_CNT: 0
	.section	.text._ZN7rocprim17ROCPRIM_400000_NS6detail17trampoline_kernelINS0_14default_configENS1_38merge_sort_block_merge_config_selectorIlNS0_10empty_typeEEEZZNS1_27merge_sort_block_merge_implIS3_PlPS5_mZN2at6native12_GLOBAL__N_124unique_dim_cuda_templateIhEESt5tupleIJNSA_6TensorESF_SF_EERKSF_lbbbEUlllE_EE10hipError_tT0_T1_T2_jT3_P12ihipStream_tbPNSt15iterator_traitsISL_E10value_typeEPNSR_ISM_E10value_typeEPSN_NS1_7vsmem_tEENKUlT_SL_SM_SN_E_clIS8_S8_S9_S9_EESK_S10_SL_SM_SN_EUlS10_E0_NS1_11comp_targetILNS1_3genE10ELNS1_11target_archE1201ELNS1_3gpuE5ELNS1_3repE0EEENS1_38merge_mergepath_config_static_selectorELNS0_4arch9wavefront6targetE0EEEvSM_,"axG",@progbits,_ZN7rocprim17ROCPRIM_400000_NS6detail17trampoline_kernelINS0_14default_configENS1_38merge_sort_block_merge_config_selectorIlNS0_10empty_typeEEEZZNS1_27merge_sort_block_merge_implIS3_PlPS5_mZN2at6native12_GLOBAL__N_124unique_dim_cuda_templateIhEESt5tupleIJNSA_6TensorESF_SF_EERKSF_lbbbEUlllE_EE10hipError_tT0_T1_T2_jT3_P12ihipStream_tbPNSt15iterator_traitsISL_E10value_typeEPNSR_ISM_E10value_typeEPSN_NS1_7vsmem_tEENKUlT_SL_SM_SN_E_clIS8_S8_S9_S9_EESK_S10_SL_SM_SN_EUlS10_E0_NS1_11comp_targetILNS1_3genE10ELNS1_11target_archE1201ELNS1_3gpuE5ELNS1_3repE0EEENS1_38merge_mergepath_config_static_selectorELNS0_4arch9wavefront6targetE0EEEvSM_,comdat
	.globl	_ZN7rocprim17ROCPRIM_400000_NS6detail17trampoline_kernelINS0_14default_configENS1_38merge_sort_block_merge_config_selectorIlNS0_10empty_typeEEEZZNS1_27merge_sort_block_merge_implIS3_PlPS5_mZN2at6native12_GLOBAL__N_124unique_dim_cuda_templateIhEESt5tupleIJNSA_6TensorESF_SF_EERKSF_lbbbEUlllE_EE10hipError_tT0_T1_T2_jT3_P12ihipStream_tbPNSt15iterator_traitsISL_E10value_typeEPNSR_ISM_E10value_typeEPSN_NS1_7vsmem_tEENKUlT_SL_SM_SN_E_clIS8_S8_S9_S9_EESK_S10_SL_SM_SN_EUlS10_E0_NS1_11comp_targetILNS1_3genE10ELNS1_11target_archE1201ELNS1_3gpuE5ELNS1_3repE0EEENS1_38merge_mergepath_config_static_selectorELNS0_4arch9wavefront6targetE0EEEvSM_ ; -- Begin function _ZN7rocprim17ROCPRIM_400000_NS6detail17trampoline_kernelINS0_14default_configENS1_38merge_sort_block_merge_config_selectorIlNS0_10empty_typeEEEZZNS1_27merge_sort_block_merge_implIS3_PlPS5_mZN2at6native12_GLOBAL__N_124unique_dim_cuda_templateIhEESt5tupleIJNSA_6TensorESF_SF_EERKSF_lbbbEUlllE_EE10hipError_tT0_T1_T2_jT3_P12ihipStream_tbPNSt15iterator_traitsISL_E10value_typeEPNSR_ISM_E10value_typeEPSN_NS1_7vsmem_tEENKUlT_SL_SM_SN_E_clIS8_S8_S9_S9_EESK_S10_SL_SM_SN_EUlS10_E0_NS1_11comp_targetILNS1_3genE10ELNS1_11target_archE1201ELNS1_3gpuE5ELNS1_3repE0EEENS1_38merge_mergepath_config_static_selectorELNS0_4arch9wavefront6targetE0EEEvSM_
	.p2align	8
	.type	_ZN7rocprim17ROCPRIM_400000_NS6detail17trampoline_kernelINS0_14default_configENS1_38merge_sort_block_merge_config_selectorIlNS0_10empty_typeEEEZZNS1_27merge_sort_block_merge_implIS3_PlPS5_mZN2at6native12_GLOBAL__N_124unique_dim_cuda_templateIhEESt5tupleIJNSA_6TensorESF_SF_EERKSF_lbbbEUlllE_EE10hipError_tT0_T1_T2_jT3_P12ihipStream_tbPNSt15iterator_traitsISL_E10value_typeEPNSR_ISM_E10value_typeEPSN_NS1_7vsmem_tEENKUlT_SL_SM_SN_E_clIS8_S8_S9_S9_EESK_S10_SL_SM_SN_EUlS10_E0_NS1_11comp_targetILNS1_3genE10ELNS1_11target_archE1201ELNS1_3gpuE5ELNS1_3repE0EEENS1_38merge_mergepath_config_static_selectorELNS0_4arch9wavefront6targetE0EEEvSM_,@function
_ZN7rocprim17ROCPRIM_400000_NS6detail17trampoline_kernelINS0_14default_configENS1_38merge_sort_block_merge_config_selectorIlNS0_10empty_typeEEEZZNS1_27merge_sort_block_merge_implIS3_PlPS5_mZN2at6native12_GLOBAL__N_124unique_dim_cuda_templateIhEESt5tupleIJNSA_6TensorESF_SF_EERKSF_lbbbEUlllE_EE10hipError_tT0_T1_T2_jT3_P12ihipStream_tbPNSt15iterator_traitsISL_E10value_typeEPNSR_ISM_E10value_typeEPSN_NS1_7vsmem_tEENKUlT_SL_SM_SN_E_clIS8_S8_S9_S9_EESK_S10_SL_SM_SN_EUlS10_E0_NS1_11comp_targetILNS1_3genE10ELNS1_11target_archE1201ELNS1_3gpuE5ELNS1_3repE0EEENS1_38merge_mergepath_config_static_selectorELNS0_4arch9wavefront6targetE0EEEvSM_: ; @_ZN7rocprim17ROCPRIM_400000_NS6detail17trampoline_kernelINS0_14default_configENS1_38merge_sort_block_merge_config_selectorIlNS0_10empty_typeEEEZZNS1_27merge_sort_block_merge_implIS3_PlPS5_mZN2at6native12_GLOBAL__N_124unique_dim_cuda_templateIhEESt5tupleIJNSA_6TensorESF_SF_EERKSF_lbbbEUlllE_EE10hipError_tT0_T1_T2_jT3_P12ihipStream_tbPNSt15iterator_traitsISL_E10value_typeEPNSR_ISM_E10value_typeEPSN_NS1_7vsmem_tEENKUlT_SL_SM_SN_E_clIS8_S8_S9_S9_EESK_S10_SL_SM_SN_EUlS10_E0_NS1_11comp_targetILNS1_3genE10ELNS1_11target_archE1201ELNS1_3gpuE5ELNS1_3repE0EEENS1_38merge_mergepath_config_static_selectorELNS0_4arch9wavefront6targetE0EEEvSM_
; %bb.0:
	.section	.rodata,"a",@progbits
	.p2align	6, 0x0
	.amdhsa_kernel _ZN7rocprim17ROCPRIM_400000_NS6detail17trampoline_kernelINS0_14default_configENS1_38merge_sort_block_merge_config_selectorIlNS0_10empty_typeEEEZZNS1_27merge_sort_block_merge_implIS3_PlPS5_mZN2at6native12_GLOBAL__N_124unique_dim_cuda_templateIhEESt5tupleIJNSA_6TensorESF_SF_EERKSF_lbbbEUlllE_EE10hipError_tT0_T1_T2_jT3_P12ihipStream_tbPNSt15iterator_traitsISL_E10value_typeEPNSR_ISM_E10value_typeEPSN_NS1_7vsmem_tEENKUlT_SL_SM_SN_E_clIS8_S8_S9_S9_EESK_S10_SL_SM_SN_EUlS10_E0_NS1_11comp_targetILNS1_3genE10ELNS1_11target_archE1201ELNS1_3gpuE5ELNS1_3repE0EEENS1_38merge_mergepath_config_static_selectorELNS0_4arch9wavefront6targetE0EEEvSM_
		.amdhsa_group_segment_fixed_size 0
		.amdhsa_private_segment_fixed_size 0
		.amdhsa_kernarg_size 88
		.amdhsa_user_sgpr_count 2
		.amdhsa_user_sgpr_dispatch_ptr 0
		.amdhsa_user_sgpr_queue_ptr 0
		.amdhsa_user_sgpr_kernarg_segment_ptr 1
		.amdhsa_user_sgpr_dispatch_id 0
		.amdhsa_user_sgpr_kernarg_preload_length 0
		.amdhsa_user_sgpr_kernarg_preload_offset 0
		.amdhsa_user_sgpr_private_segment_size 0
		.amdhsa_wavefront_size32 1
		.amdhsa_uses_dynamic_stack 0
		.amdhsa_enable_private_segment 0
		.amdhsa_system_sgpr_workgroup_id_x 1
		.amdhsa_system_sgpr_workgroup_id_y 0
		.amdhsa_system_sgpr_workgroup_id_z 0
		.amdhsa_system_sgpr_workgroup_info 0
		.amdhsa_system_vgpr_workitem_id 0
		.amdhsa_next_free_vgpr 1
		.amdhsa_next_free_sgpr 1
		.amdhsa_named_barrier_count 0
		.amdhsa_reserve_vcc 0
		.amdhsa_float_round_mode_32 0
		.amdhsa_float_round_mode_16_64 0
		.amdhsa_float_denorm_mode_32 3
		.amdhsa_float_denorm_mode_16_64 3
		.amdhsa_fp16_overflow 0
		.amdhsa_memory_ordered 1
		.amdhsa_forward_progress 1
		.amdhsa_inst_pref_size 0
		.amdhsa_round_robin_scheduling 0
		.amdhsa_exception_fp_ieee_invalid_op 0
		.amdhsa_exception_fp_denorm_src 0
		.amdhsa_exception_fp_ieee_div_zero 0
		.amdhsa_exception_fp_ieee_overflow 0
		.amdhsa_exception_fp_ieee_underflow 0
		.amdhsa_exception_fp_ieee_inexact 0
		.amdhsa_exception_int_div_zero 0
	.end_amdhsa_kernel
	.section	.text._ZN7rocprim17ROCPRIM_400000_NS6detail17trampoline_kernelINS0_14default_configENS1_38merge_sort_block_merge_config_selectorIlNS0_10empty_typeEEEZZNS1_27merge_sort_block_merge_implIS3_PlPS5_mZN2at6native12_GLOBAL__N_124unique_dim_cuda_templateIhEESt5tupleIJNSA_6TensorESF_SF_EERKSF_lbbbEUlllE_EE10hipError_tT0_T1_T2_jT3_P12ihipStream_tbPNSt15iterator_traitsISL_E10value_typeEPNSR_ISM_E10value_typeEPSN_NS1_7vsmem_tEENKUlT_SL_SM_SN_E_clIS8_S8_S9_S9_EESK_S10_SL_SM_SN_EUlS10_E0_NS1_11comp_targetILNS1_3genE10ELNS1_11target_archE1201ELNS1_3gpuE5ELNS1_3repE0EEENS1_38merge_mergepath_config_static_selectorELNS0_4arch9wavefront6targetE0EEEvSM_,"axG",@progbits,_ZN7rocprim17ROCPRIM_400000_NS6detail17trampoline_kernelINS0_14default_configENS1_38merge_sort_block_merge_config_selectorIlNS0_10empty_typeEEEZZNS1_27merge_sort_block_merge_implIS3_PlPS5_mZN2at6native12_GLOBAL__N_124unique_dim_cuda_templateIhEESt5tupleIJNSA_6TensorESF_SF_EERKSF_lbbbEUlllE_EE10hipError_tT0_T1_T2_jT3_P12ihipStream_tbPNSt15iterator_traitsISL_E10value_typeEPNSR_ISM_E10value_typeEPSN_NS1_7vsmem_tEENKUlT_SL_SM_SN_E_clIS8_S8_S9_S9_EESK_S10_SL_SM_SN_EUlS10_E0_NS1_11comp_targetILNS1_3genE10ELNS1_11target_archE1201ELNS1_3gpuE5ELNS1_3repE0EEENS1_38merge_mergepath_config_static_selectorELNS0_4arch9wavefront6targetE0EEEvSM_,comdat
.Lfunc_end27:
	.size	_ZN7rocprim17ROCPRIM_400000_NS6detail17trampoline_kernelINS0_14default_configENS1_38merge_sort_block_merge_config_selectorIlNS0_10empty_typeEEEZZNS1_27merge_sort_block_merge_implIS3_PlPS5_mZN2at6native12_GLOBAL__N_124unique_dim_cuda_templateIhEESt5tupleIJNSA_6TensorESF_SF_EERKSF_lbbbEUlllE_EE10hipError_tT0_T1_T2_jT3_P12ihipStream_tbPNSt15iterator_traitsISL_E10value_typeEPNSR_ISM_E10value_typeEPSN_NS1_7vsmem_tEENKUlT_SL_SM_SN_E_clIS8_S8_S9_S9_EESK_S10_SL_SM_SN_EUlS10_E0_NS1_11comp_targetILNS1_3genE10ELNS1_11target_archE1201ELNS1_3gpuE5ELNS1_3repE0EEENS1_38merge_mergepath_config_static_selectorELNS0_4arch9wavefront6targetE0EEEvSM_, .Lfunc_end27-_ZN7rocprim17ROCPRIM_400000_NS6detail17trampoline_kernelINS0_14default_configENS1_38merge_sort_block_merge_config_selectorIlNS0_10empty_typeEEEZZNS1_27merge_sort_block_merge_implIS3_PlPS5_mZN2at6native12_GLOBAL__N_124unique_dim_cuda_templateIhEESt5tupleIJNSA_6TensorESF_SF_EERKSF_lbbbEUlllE_EE10hipError_tT0_T1_T2_jT3_P12ihipStream_tbPNSt15iterator_traitsISL_E10value_typeEPNSR_ISM_E10value_typeEPSN_NS1_7vsmem_tEENKUlT_SL_SM_SN_E_clIS8_S8_S9_S9_EESK_S10_SL_SM_SN_EUlS10_E0_NS1_11comp_targetILNS1_3genE10ELNS1_11target_archE1201ELNS1_3gpuE5ELNS1_3repE0EEENS1_38merge_mergepath_config_static_selectorELNS0_4arch9wavefront6targetE0EEEvSM_
                                        ; -- End function
	.set _ZN7rocprim17ROCPRIM_400000_NS6detail17trampoline_kernelINS0_14default_configENS1_38merge_sort_block_merge_config_selectorIlNS0_10empty_typeEEEZZNS1_27merge_sort_block_merge_implIS3_PlPS5_mZN2at6native12_GLOBAL__N_124unique_dim_cuda_templateIhEESt5tupleIJNSA_6TensorESF_SF_EERKSF_lbbbEUlllE_EE10hipError_tT0_T1_T2_jT3_P12ihipStream_tbPNSt15iterator_traitsISL_E10value_typeEPNSR_ISM_E10value_typeEPSN_NS1_7vsmem_tEENKUlT_SL_SM_SN_E_clIS8_S8_S9_S9_EESK_S10_SL_SM_SN_EUlS10_E0_NS1_11comp_targetILNS1_3genE10ELNS1_11target_archE1201ELNS1_3gpuE5ELNS1_3repE0EEENS1_38merge_mergepath_config_static_selectorELNS0_4arch9wavefront6targetE0EEEvSM_.num_vgpr, 0
	.set _ZN7rocprim17ROCPRIM_400000_NS6detail17trampoline_kernelINS0_14default_configENS1_38merge_sort_block_merge_config_selectorIlNS0_10empty_typeEEEZZNS1_27merge_sort_block_merge_implIS3_PlPS5_mZN2at6native12_GLOBAL__N_124unique_dim_cuda_templateIhEESt5tupleIJNSA_6TensorESF_SF_EERKSF_lbbbEUlllE_EE10hipError_tT0_T1_T2_jT3_P12ihipStream_tbPNSt15iterator_traitsISL_E10value_typeEPNSR_ISM_E10value_typeEPSN_NS1_7vsmem_tEENKUlT_SL_SM_SN_E_clIS8_S8_S9_S9_EESK_S10_SL_SM_SN_EUlS10_E0_NS1_11comp_targetILNS1_3genE10ELNS1_11target_archE1201ELNS1_3gpuE5ELNS1_3repE0EEENS1_38merge_mergepath_config_static_selectorELNS0_4arch9wavefront6targetE0EEEvSM_.num_agpr, 0
	.set _ZN7rocprim17ROCPRIM_400000_NS6detail17trampoline_kernelINS0_14default_configENS1_38merge_sort_block_merge_config_selectorIlNS0_10empty_typeEEEZZNS1_27merge_sort_block_merge_implIS3_PlPS5_mZN2at6native12_GLOBAL__N_124unique_dim_cuda_templateIhEESt5tupleIJNSA_6TensorESF_SF_EERKSF_lbbbEUlllE_EE10hipError_tT0_T1_T2_jT3_P12ihipStream_tbPNSt15iterator_traitsISL_E10value_typeEPNSR_ISM_E10value_typeEPSN_NS1_7vsmem_tEENKUlT_SL_SM_SN_E_clIS8_S8_S9_S9_EESK_S10_SL_SM_SN_EUlS10_E0_NS1_11comp_targetILNS1_3genE10ELNS1_11target_archE1201ELNS1_3gpuE5ELNS1_3repE0EEENS1_38merge_mergepath_config_static_selectorELNS0_4arch9wavefront6targetE0EEEvSM_.numbered_sgpr, 0
	.set _ZN7rocprim17ROCPRIM_400000_NS6detail17trampoline_kernelINS0_14default_configENS1_38merge_sort_block_merge_config_selectorIlNS0_10empty_typeEEEZZNS1_27merge_sort_block_merge_implIS3_PlPS5_mZN2at6native12_GLOBAL__N_124unique_dim_cuda_templateIhEESt5tupleIJNSA_6TensorESF_SF_EERKSF_lbbbEUlllE_EE10hipError_tT0_T1_T2_jT3_P12ihipStream_tbPNSt15iterator_traitsISL_E10value_typeEPNSR_ISM_E10value_typeEPSN_NS1_7vsmem_tEENKUlT_SL_SM_SN_E_clIS8_S8_S9_S9_EESK_S10_SL_SM_SN_EUlS10_E0_NS1_11comp_targetILNS1_3genE10ELNS1_11target_archE1201ELNS1_3gpuE5ELNS1_3repE0EEENS1_38merge_mergepath_config_static_selectorELNS0_4arch9wavefront6targetE0EEEvSM_.num_named_barrier, 0
	.set _ZN7rocprim17ROCPRIM_400000_NS6detail17trampoline_kernelINS0_14default_configENS1_38merge_sort_block_merge_config_selectorIlNS0_10empty_typeEEEZZNS1_27merge_sort_block_merge_implIS3_PlPS5_mZN2at6native12_GLOBAL__N_124unique_dim_cuda_templateIhEESt5tupleIJNSA_6TensorESF_SF_EERKSF_lbbbEUlllE_EE10hipError_tT0_T1_T2_jT3_P12ihipStream_tbPNSt15iterator_traitsISL_E10value_typeEPNSR_ISM_E10value_typeEPSN_NS1_7vsmem_tEENKUlT_SL_SM_SN_E_clIS8_S8_S9_S9_EESK_S10_SL_SM_SN_EUlS10_E0_NS1_11comp_targetILNS1_3genE10ELNS1_11target_archE1201ELNS1_3gpuE5ELNS1_3repE0EEENS1_38merge_mergepath_config_static_selectorELNS0_4arch9wavefront6targetE0EEEvSM_.private_seg_size, 0
	.set _ZN7rocprim17ROCPRIM_400000_NS6detail17trampoline_kernelINS0_14default_configENS1_38merge_sort_block_merge_config_selectorIlNS0_10empty_typeEEEZZNS1_27merge_sort_block_merge_implIS3_PlPS5_mZN2at6native12_GLOBAL__N_124unique_dim_cuda_templateIhEESt5tupleIJNSA_6TensorESF_SF_EERKSF_lbbbEUlllE_EE10hipError_tT0_T1_T2_jT3_P12ihipStream_tbPNSt15iterator_traitsISL_E10value_typeEPNSR_ISM_E10value_typeEPSN_NS1_7vsmem_tEENKUlT_SL_SM_SN_E_clIS8_S8_S9_S9_EESK_S10_SL_SM_SN_EUlS10_E0_NS1_11comp_targetILNS1_3genE10ELNS1_11target_archE1201ELNS1_3gpuE5ELNS1_3repE0EEENS1_38merge_mergepath_config_static_selectorELNS0_4arch9wavefront6targetE0EEEvSM_.uses_vcc, 0
	.set _ZN7rocprim17ROCPRIM_400000_NS6detail17trampoline_kernelINS0_14default_configENS1_38merge_sort_block_merge_config_selectorIlNS0_10empty_typeEEEZZNS1_27merge_sort_block_merge_implIS3_PlPS5_mZN2at6native12_GLOBAL__N_124unique_dim_cuda_templateIhEESt5tupleIJNSA_6TensorESF_SF_EERKSF_lbbbEUlllE_EE10hipError_tT0_T1_T2_jT3_P12ihipStream_tbPNSt15iterator_traitsISL_E10value_typeEPNSR_ISM_E10value_typeEPSN_NS1_7vsmem_tEENKUlT_SL_SM_SN_E_clIS8_S8_S9_S9_EESK_S10_SL_SM_SN_EUlS10_E0_NS1_11comp_targetILNS1_3genE10ELNS1_11target_archE1201ELNS1_3gpuE5ELNS1_3repE0EEENS1_38merge_mergepath_config_static_selectorELNS0_4arch9wavefront6targetE0EEEvSM_.uses_flat_scratch, 0
	.set _ZN7rocprim17ROCPRIM_400000_NS6detail17trampoline_kernelINS0_14default_configENS1_38merge_sort_block_merge_config_selectorIlNS0_10empty_typeEEEZZNS1_27merge_sort_block_merge_implIS3_PlPS5_mZN2at6native12_GLOBAL__N_124unique_dim_cuda_templateIhEESt5tupleIJNSA_6TensorESF_SF_EERKSF_lbbbEUlllE_EE10hipError_tT0_T1_T2_jT3_P12ihipStream_tbPNSt15iterator_traitsISL_E10value_typeEPNSR_ISM_E10value_typeEPSN_NS1_7vsmem_tEENKUlT_SL_SM_SN_E_clIS8_S8_S9_S9_EESK_S10_SL_SM_SN_EUlS10_E0_NS1_11comp_targetILNS1_3genE10ELNS1_11target_archE1201ELNS1_3gpuE5ELNS1_3repE0EEENS1_38merge_mergepath_config_static_selectorELNS0_4arch9wavefront6targetE0EEEvSM_.has_dyn_sized_stack, 0
	.set _ZN7rocprim17ROCPRIM_400000_NS6detail17trampoline_kernelINS0_14default_configENS1_38merge_sort_block_merge_config_selectorIlNS0_10empty_typeEEEZZNS1_27merge_sort_block_merge_implIS3_PlPS5_mZN2at6native12_GLOBAL__N_124unique_dim_cuda_templateIhEESt5tupleIJNSA_6TensorESF_SF_EERKSF_lbbbEUlllE_EE10hipError_tT0_T1_T2_jT3_P12ihipStream_tbPNSt15iterator_traitsISL_E10value_typeEPNSR_ISM_E10value_typeEPSN_NS1_7vsmem_tEENKUlT_SL_SM_SN_E_clIS8_S8_S9_S9_EESK_S10_SL_SM_SN_EUlS10_E0_NS1_11comp_targetILNS1_3genE10ELNS1_11target_archE1201ELNS1_3gpuE5ELNS1_3repE0EEENS1_38merge_mergepath_config_static_selectorELNS0_4arch9wavefront6targetE0EEEvSM_.has_recursion, 0
	.set _ZN7rocprim17ROCPRIM_400000_NS6detail17trampoline_kernelINS0_14default_configENS1_38merge_sort_block_merge_config_selectorIlNS0_10empty_typeEEEZZNS1_27merge_sort_block_merge_implIS3_PlPS5_mZN2at6native12_GLOBAL__N_124unique_dim_cuda_templateIhEESt5tupleIJNSA_6TensorESF_SF_EERKSF_lbbbEUlllE_EE10hipError_tT0_T1_T2_jT3_P12ihipStream_tbPNSt15iterator_traitsISL_E10value_typeEPNSR_ISM_E10value_typeEPSN_NS1_7vsmem_tEENKUlT_SL_SM_SN_E_clIS8_S8_S9_S9_EESK_S10_SL_SM_SN_EUlS10_E0_NS1_11comp_targetILNS1_3genE10ELNS1_11target_archE1201ELNS1_3gpuE5ELNS1_3repE0EEENS1_38merge_mergepath_config_static_selectorELNS0_4arch9wavefront6targetE0EEEvSM_.has_indirect_call, 0
	.section	.AMDGPU.csdata,"",@progbits
; Kernel info:
; codeLenInByte = 0
; TotalNumSgprs: 0
; NumVgprs: 0
; ScratchSize: 0
; MemoryBound: 0
; FloatMode: 240
; IeeeMode: 1
; LDSByteSize: 0 bytes/workgroup (compile time only)
; SGPRBlocks: 0
; VGPRBlocks: 0
; NumSGPRsForWavesPerEU: 1
; NumVGPRsForWavesPerEU: 1
; NamedBarCnt: 0
; Occupancy: 16
; WaveLimiterHint : 0
; COMPUTE_PGM_RSRC2:SCRATCH_EN: 0
; COMPUTE_PGM_RSRC2:USER_SGPR: 2
; COMPUTE_PGM_RSRC2:TRAP_HANDLER: 0
; COMPUTE_PGM_RSRC2:TGID_X_EN: 1
; COMPUTE_PGM_RSRC2:TGID_Y_EN: 0
; COMPUTE_PGM_RSRC2:TGID_Z_EN: 0
; COMPUTE_PGM_RSRC2:TIDIG_COMP_CNT: 0
	.section	.text._ZN7rocprim17ROCPRIM_400000_NS6detail17trampoline_kernelINS0_14default_configENS1_38merge_sort_block_merge_config_selectorIlNS0_10empty_typeEEEZZNS1_27merge_sort_block_merge_implIS3_PlPS5_mZN2at6native12_GLOBAL__N_124unique_dim_cuda_templateIhEESt5tupleIJNSA_6TensorESF_SF_EERKSF_lbbbEUlllE_EE10hipError_tT0_T1_T2_jT3_P12ihipStream_tbPNSt15iterator_traitsISL_E10value_typeEPNSR_ISM_E10value_typeEPSN_NS1_7vsmem_tEENKUlT_SL_SM_SN_E_clIS8_S8_S9_S9_EESK_S10_SL_SM_SN_EUlS10_E0_NS1_11comp_targetILNS1_3genE5ELNS1_11target_archE942ELNS1_3gpuE9ELNS1_3repE0EEENS1_38merge_mergepath_config_static_selectorELNS0_4arch9wavefront6targetE0EEEvSM_,"axG",@progbits,_ZN7rocprim17ROCPRIM_400000_NS6detail17trampoline_kernelINS0_14default_configENS1_38merge_sort_block_merge_config_selectorIlNS0_10empty_typeEEEZZNS1_27merge_sort_block_merge_implIS3_PlPS5_mZN2at6native12_GLOBAL__N_124unique_dim_cuda_templateIhEESt5tupleIJNSA_6TensorESF_SF_EERKSF_lbbbEUlllE_EE10hipError_tT0_T1_T2_jT3_P12ihipStream_tbPNSt15iterator_traitsISL_E10value_typeEPNSR_ISM_E10value_typeEPSN_NS1_7vsmem_tEENKUlT_SL_SM_SN_E_clIS8_S8_S9_S9_EESK_S10_SL_SM_SN_EUlS10_E0_NS1_11comp_targetILNS1_3genE5ELNS1_11target_archE942ELNS1_3gpuE9ELNS1_3repE0EEENS1_38merge_mergepath_config_static_selectorELNS0_4arch9wavefront6targetE0EEEvSM_,comdat
	.globl	_ZN7rocprim17ROCPRIM_400000_NS6detail17trampoline_kernelINS0_14default_configENS1_38merge_sort_block_merge_config_selectorIlNS0_10empty_typeEEEZZNS1_27merge_sort_block_merge_implIS3_PlPS5_mZN2at6native12_GLOBAL__N_124unique_dim_cuda_templateIhEESt5tupleIJNSA_6TensorESF_SF_EERKSF_lbbbEUlllE_EE10hipError_tT0_T1_T2_jT3_P12ihipStream_tbPNSt15iterator_traitsISL_E10value_typeEPNSR_ISM_E10value_typeEPSN_NS1_7vsmem_tEENKUlT_SL_SM_SN_E_clIS8_S8_S9_S9_EESK_S10_SL_SM_SN_EUlS10_E0_NS1_11comp_targetILNS1_3genE5ELNS1_11target_archE942ELNS1_3gpuE9ELNS1_3repE0EEENS1_38merge_mergepath_config_static_selectorELNS0_4arch9wavefront6targetE0EEEvSM_ ; -- Begin function _ZN7rocprim17ROCPRIM_400000_NS6detail17trampoline_kernelINS0_14default_configENS1_38merge_sort_block_merge_config_selectorIlNS0_10empty_typeEEEZZNS1_27merge_sort_block_merge_implIS3_PlPS5_mZN2at6native12_GLOBAL__N_124unique_dim_cuda_templateIhEESt5tupleIJNSA_6TensorESF_SF_EERKSF_lbbbEUlllE_EE10hipError_tT0_T1_T2_jT3_P12ihipStream_tbPNSt15iterator_traitsISL_E10value_typeEPNSR_ISM_E10value_typeEPSN_NS1_7vsmem_tEENKUlT_SL_SM_SN_E_clIS8_S8_S9_S9_EESK_S10_SL_SM_SN_EUlS10_E0_NS1_11comp_targetILNS1_3genE5ELNS1_11target_archE942ELNS1_3gpuE9ELNS1_3repE0EEENS1_38merge_mergepath_config_static_selectorELNS0_4arch9wavefront6targetE0EEEvSM_
	.p2align	8
	.type	_ZN7rocprim17ROCPRIM_400000_NS6detail17trampoline_kernelINS0_14default_configENS1_38merge_sort_block_merge_config_selectorIlNS0_10empty_typeEEEZZNS1_27merge_sort_block_merge_implIS3_PlPS5_mZN2at6native12_GLOBAL__N_124unique_dim_cuda_templateIhEESt5tupleIJNSA_6TensorESF_SF_EERKSF_lbbbEUlllE_EE10hipError_tT0_T1_T2_jT3_P12ihipStream_tbPNSt15iterator_traitsISL_E10value_typeEPNSR_ISM_E10value_typeEPSN_NS1_7vsmem_tEENKUlT_SL_SM_SN_E_clIS8_S8_S9_S9_EESK_S10_SL_SM_SN_EUlS10_E0_NS1_11comp_targetILNS1_3genE5ELNS1_11target_archE942ELNS1_3gpuE9ELNS1_3repE0EEENS1_38merge_mergepath_config_static_selectorELNS0_4arch9wavefront6targetE0EEEvSM_,@function
_ZN7rocprim17ROCPRIM_400000_NS6detail17trampoline_kernelINS0_14default_configENS1_38merge_sort_block_merge_config_selectorIlNS0_10empty_typeEEEZZNS1_27merge_sort_block_merge_implIS3_PlPS5_mZN2at6native12_GLOBAL__N_124unique_dim_cuda_templateIhEESt5tupleIJNSA_6TensorESF_SF_EERKSF_lbbbEUlllE_EE10hipError_tT0_T1_T2_jT3_P12ihipStream_tbPNSt15iterator_traitsISL_E10value_typeEPNSR_ISM_E10value_typeEPSN_NS1_7vsmem_tEENKUlT_SL_SM_SN_E_clIS8_S8_S9_S9_EESK_S10_SL_SM_SN_EUlS10_E0_NS1_11comp_targetILNS1_3genE5ELNS1_11target_archE942ELNS1_3gpuE9ELNS1_3repE0EEENS1_38merge_mergepath_config_static_selectorELNS0_4arch9wavefront6targetE0EEEvSM_: ; @_ZN7rocprim17ROCPRIM_400000_NS6detail17trampoline_kernelINS0_14default_configENS1_38merge_sort_block_merge_config_selectorIlNS0_10empty_typeEEEZZNS1_27merge_sort_block_merge_implIS3_PlPS5_mZN2at6native12_GLOBAL__N_124unique_dim_cuda_templateIhEESt5tupleIJNSA_6TensorESF_SF_EERKSF_lbbbEUlllE_EE10hipError_tT0_T1_T2_jT3_P12ihipStream_tbPNSt15iterator_traitsISL_E10value_typeEPNSR_ISM_E10value_typeEPSN_NS1_7vsmem_tEENKUlT_SL_SM_SN_E_clIS8_S8_S9_S9_EESK_S10_SL_SM_SN_EUlS10_E0_NS1_11comp_targetILNS1_3genE5ELNS1_11target_archE942ELNS1_3gpuE9ELNS1_3repE0EEENS1_38merge_mergepath_config_static_selectorELNS0_4arch9wavefront6targetE0EEEvSM_
; %bb.0:
	.section	.rodata,"a",@progbits
	.p2align	6, 0x0
	.amdhsa_kernel _ZN7rocprim17ROCPRIM_400000_NS6detail17trampoline_kernelINS0_14default_configENS1_38merge_sort_block_merge_config_selectorIlNS0_10empty_typeEEEZZNS1_27merge_sort_block_merge_implIS3_PlPS5_mZN2at6native12_GLOBAL__N_124unique_dim_cuda_templateIhEESt5tupleIJNSA_6TensorESF_SF_EERKSF_lbbbEUlllE_EE10hipError_tT0_T1_T2_jT3_P12ihipStream_tbPNSt15iterator_traitsISL_E10value_typeEPNSR_ISM_E10value_typeEPSN_NS1_7vsmem_tEENKUlT_SL_SM_SN_E_clIS8_S8_S9_S9_EESK_S10_SL_SM_SN_EUlS10_E0_NS1_11comp_targetILNS1_3genE5ELNS1_11target_archE942ELNS1_3gpuE9ELNS1_3repE0EEENS1_38merge_mergepath_config_static_selectorELNS0_4arch9wavefront6targetE0EEEvSM_
		.amdhsa_group_segment_fixed_size 0
		.amdhsa_private_segment_fixed_size 0
		.amdhsa_kernarg_size 88
		.amdhsa_user_sgpr_count 2
		.amdhsa_user_sgpr_dispatch_ptr 0
		.amdhsa_user_sgpr_queue_ptr 0
		.amdhsa_user_sgpr_kernarg_segment_ptr 1
		.amdhsa_user_sgpr_dispatch_id 0
		.amdhsa_user_sgpr_kernarg_preload_length 0
		.amdhsa_user_sgpr_kernarg_preload_offset 0
		.amdhsa_user_sgpr_private_segment_size 0
		.amdhsa_wavefront_size32 1
		.amdhsa_uses_dynamic_stack 0
		.amdhsa_enable_private_segment 0
		.amdhsa_system_sgpr_workgroup_id_x 1
		.amdhsa_system_sgpr_workgroup_id_y 0
		.amdhsa_system_sgpr_workgroup_id_z 0
		.amdhsa_system_sgpr_workgroup_info 0
		.amdhsa_system_vgpr_workitem_id 0
		.amdhsa_next_free_vgpr 1
		.amdhsa_next_free_sgpr 1
		.amdhsa_named_barrier_count 0
		.amdhsa_reserve_vcc 0
		.amdhsa_float_round_mode_32 0
		.amdhsa_float_round_mode_16_64 0
		.amdhsa_float_denorm_mode_32 3
		.amdhsa_float_denorm_mode_16_64 3
		.amdhsa_fp16_overflow 0
		.amdhsa_memory_ordered 1
		.amdhsa_forward_progress 1
		.amdhsa_inst_pref_size 0
		.amdhsa_round_robin_scheduling 0
		.amdhsa_exception_fp_ieee_invalid_op 0
		.amdhsa_exception_fp_denorm_src 0
		.amdhsa_exception_fp_ieee_div_zero 0
		.amdhsa_exception_fp_ieee_overflow 0
		.amdhsa_exception_fp_ieee_underflow 0
		.amdhsa_exception_fp_ieee_inexact 0
		.amdhsa_exception_int_div_zero 0
	.end_amdhsa_kernel
	.section	.text._ZN7rocprim17ROCPRIM_400000_NS6detail17trampoline_kernelINS0_14default_configENS1_38merge_sort_block_merge_config_selectorIlNS0_10empty_typeEEEZZNS1_27merge_sort_block_merge_implIS3_PlPS5_mZN2at6native12_GLOBAL__N_124unique_dim_cuda_templateIhEESt5tupleIJNSA_6TensorESF_SF_EERKSF_lbbbEUlllE_EE10hipError_tT0_T1_T2_jT3_P12ihipStream_tbPNSt15iterator_traitsISL_E10value_typeEPNSR_ISM_E10value_typeEPSN_NS1_7vsmem_tEENKUlT_SL_SM_SN_E_clIS8_S8_S9_S9_EESK_S10_SL_SM_SN_EUlS10_E0_NS1_11comp_targetILNS1_3genE5ELNS1_11target_archE942ELNS1_3gpuE9ELNS1_3repE0EEENS1_38merge_mergepath_config_static_selectorELNS0_4arch9wavefront6targetE0EEEvSM_,"axG",@progbits,_ZN7rocprim17ROCPRIM_400000_NS6detail17trampoline_kernelINS0_14default_configENS1_38merge_sort_block_merge_config_selectorIlNS0_10empty_typeEEEZZNS1_27merge_sort_block_merge_implIS3_PlPS5_mZN2at6native12_GLOBAL__N_124unique_dim_cuda_templateIhEESt5tupleIJNSA_6TensorESF_SF_EERKSF_lbbbEUlllE_EE10hipError_tT0_T1_T2_jT3_P12ihipStream_tbPNSt15iterator_traitsISL_E10value_typeEPNSR_ISM_E10value_typeEPSN_NS1_7vsmem_tEENKUlT_SL_SM_SN_E_clIS8_S8_S9_S9_EESK_S10_SL_SM_SN_EUlS10_E0_NS1_11comp_targetILNS1_3genE5ELNS1_11target_archE942ELNS1_3gpuE9ELNS1_3repE0EEENS1_38merge_mergepath_config_static_selectorELNS0_4arch9wavefront6targetE0EEEvSM_,comdat
.Lfunc_end28:
	.size	_ZN7rocprim17ROCPRIM_400000_NS6detail17trampoline_kernelINS0_14default_configENS1_38merge_sort_block_merge_config_selectorIlNS0_10empty_typeEEEZZNS1_27merge_sort_block_merge_implIS3_PlPS5_mZN2at6native12_GLOBAL__N_124unique_dim_cuda_templateIhEESt5tupleIJNSA_6TensorESF_SF_EERKSF_lbbbEUlllE_EE10hipError_tT0_T1_T2_jT3_P12ihipStream_tbPNSt15iterator_traitsISL_E10value_typeEPNSR_ISM_E10value_typeEPSN_NS1_7vsmem_tEENKUlT_SL_SM_SN_E_clIS8_S8_S9_S9_EESK_S10_SL_SM_SN_EUlS10_E0_NS1_11comp_targetILNS1_3genE5ELNS1_11target_archE942ELNS1_3gpuE9ELNS1_3repE0EEENS1_38merge_mergepath_config_static_selectorELNS0_4arch9wavefront6targetE0EEEvSM_, .Lfunc_end28-_ZN7rocprim17ROCPRIM_400000_NS6detail17trampoline_kernelINS0_14default_configENS1_38merge_sort_block_merge_config_selectorIlNS0_10empty_typeEEEZZNS1_27merge_sort_block_merge_implIS3_PlPS5_mZN2at6native12_GLOBAL__N_124unique_dim_cuda_templateIhEESt5tupleIJNSA_6TensorESF_SF_EERKSF_lbbbEUlllE_EE10hipError_tT0_T1_T2_jT3_P12ihipStream_tbPNSt15iterator_traitsISL_E10value_typeEPNSR_ISM_E10value_typeEPSN_NS1_7vsmem_tEENKUlT_SL_SM_SN_E_clIS8_S8_S9_S9_EESK_S10_SL_SM_SN_EUlS10_E0_NS1_11comp_targetILNS1_3genE5ELNS1_11target_archE942ELNS1_3gpuE9ELNS1_3repE0EEENS1_38merge_mergepath_config_static_selectorELNS0_4arch9wavefront6targetE0EEEvSM_
                                        ; -- End function
	.set _ZN7rocprim17ROCPRIM_400000_NS6detail17trampoline_kernelINS0_14default_configENS1_38merge_sort_block_merge_config_selectorIlNS0_10empty_typeEEEZZNS1_27merge_sort_block_merge_implIS3_PlPS5_mZN2at6native12_GLOBAL__N_124unique_dim_cuda_templateIhEESt5tupleIJNSA_6TensorESF_SF_EERKSF_lbbbEUlllE_EE10hipError_tT0_T1_T2_jT3_P12ihipStream_tbPNSt15iterator_traitsISL_E10value_typeEPNSR_ISM_E10value_typeEPSN_NS1_7vsmem_tEENKUlT_SL_SM_SN_E_clIS8_S8_S9_S9_EESK_S10_SL_SM_SN_EUlS10_E0_NS1_11comp_targetILNS1_3genE5ELNS1_11target_archE942ELNS1_3gpuE9ELNS1_3repE0EEENS1_38merge_mergepath_config_static_selectorELNS0_4arch9wavefront6targetE0EEEvSM_.num_vgpr, 0
	.set _ZN7rocprim17ROCPRIM_400000_NS6detail17trampoline_kernelINS0_14default_configENS1_38merge_sort_block_merge_config_selectorIlNS0_10empty_typeEEEZZNS1_27merge_sort_block_merge_implIS3_PlPS5_mZN2at6native12_GLOBAL__N_124unique_dim_cuda_templateIhEESt5tupleIJNSA_6TensorESF_SF_EERKSF_lbbbEUlllE_EE10hipError_tT0_T1_T2_jT3_P12ihipStream_tbPNSt15iterator_traitsISL_E10value_typeEPNSR_ISM_E10value_typeEPSN_NS1_7vsmem_tEENKUlT_SL_SM_SN_E_clIS8_S8_S9_S9_EESK_S10_SL_SM_SN_EUlS10_E0_NS1_11comp_targetILNS1_3genE5ELNS1_11target_archE942ELNS1_3gpuE9ELNS1_3repE0EEENS1_38merge_mergepath_config_static_selectorELNS0_4arch9wavefront6targetE0EEEvSM_.num_agpr, 0
	.set _ZN7rocprim17ROCPRIM_400000_NS6detail17trampoline_kernelINS0_14default_configENS1_38merge_sort_block_merge_config_selectorIlNS0_10empty_typeEEEZZNS1_27merge_sort_block_merge_implIS3_PlPS5_mZN2at6native12_GLOBAL__N_124unique_dim_cuda_templateIhEESt5tupleIJNSA_6TensorESF_SF_EERKSF_lbbbEUlllE_EE10hipError_tT0_T1_T2_jT3_P12ihipStream_tbPNSt15iterator_traitsISL_E10value_typeEPNSR_ISM_E10value_typeEPSN_NS1_7vsmem_tEENKUlT_SL_SM_SN_E_clIS8_S8_S9_S9_EESK_S10_SL_SM_SN_EUlS10_E0_NS1_11comp_targetILNS1_3genE5ELNS1_11target_archE942ELNS1_3gpuE9ELNS1_3repE0EEENS1_38merge_mergepath_config_static_selectorELNS0_4arch9wavefront6targetE0EEEvSM_.numbered_sgpr, 0
	.set _ZN7rocprim17ROCPRIM_400000_NS6detail17trampoline_kernelINS0_14default_configENS1_38merge_sort_block_merge_config_selectorIlNS0_10empty_typeEEEZZNS1_27merge_sort_block_merge_implIS3_PlPS5_mZN2at6native12_GLOBAL__N_124unique_dim_cuda_templateIhEESt5tupleIJNSA_6TensorESF_SF_EERKSF_lbbbEUlllE_EE10hipError_tT0_T1_T2_jT3_P12ihipStream_tbPNSt15iterator_traitsISL_E10value_typeEPNSR_ISM_E10value_typeEPSN_NS1_7vsmem_tEENKUlT_SL_SM_SN_E_clIS8_S8_S9_S9_EESK_S10_SL_SM_SN_EUlS10_E0_NS1_11comp_targetILNS1_3genE5ELNS1_11target_archE942ELNS1_3gpuE9ELNS1_3repE0EEENS1_38merge_mergepath_config_static_selectorELNS0_4arch9wavefront6targetE0EEEvSM_.num_named_barrier, 0
	.set _ZN7rocprim17ROCPRIM_400000_NS6detail17trampoline_kernelINS0_14default_configENS1_38merge_sort_block_merge_config_selectorIlNS0_10empty_typeEEEZZNS1_27merge_sort_block_merge_implIS3_PlPS5_mZN2at6native12_GLOBAL__N_124unique_dim_cuda_templateIhEESt5tupleIJNSA_6TensorESF_SF_EERKSF_lbbbEUlllE_EE10hipError_tT0_T1_T2_jT3_P12ihipStream_tbPNSt15iterator_traitsISL_E10value_typeEPNSR_ISM_E10value_typeEPSN_NS1_7vsmem_tEENKUlT_SL_SM_SN_E_clIS8_S8_S9_S9_EESK_S10_SL_SM_SN_EUlS10_E0_NS1_11comp_targetILNS1_3genE5ELNS1_11target_archE942ELNS1_3gpuE9ELNS1_3repE0EEENS1_38merge_mergepath_config_static_selectorELNS0_4arch9wavefront6targetE0EEEvSM_.private_seg_size, 0
	.set _ZN7rocprim17ROCPRIM_400000_NS6detail17trampoline_kernelINS0_14default_configENS1_38merge_sort_block_merge_config_selectorIlNS0_10empty_typeEEEZZNS1_27merge_sort_block_merge_implIS3_PlPS5_mZN2at6native12_GLOBAL__N_124unique_dim_cuda_templateIhEESt5tupleIJNSA_6TensorESF_SF_EERKSF_lbbbEUlllE_EE10hipError_tT0_T1_T2_jT3_P12ihipStream_tbPNSt15iterator_traitsISL_E10value_typeEPNSR_ISM_E10value_typeEPSN_NS1_7vsmem_tEENKUlT_SL_SM_SN_E_clIS8_S8_S9_S9_EESK_S10_SL_SM_SN_EUlS10_E0_NS1_11comp_targetILNS1_3genE5ELNS1_11target_archE942ELNS1_3gpuE9ELNS1_3repE0EEENS1_38merge_mergepath_config_static_selectorELNS0_4arch9wavefront6targetE0EEEvSM_.uses_vcc, 0
	.set _ZN7rocprim17ROCPRIM_400000_NS6detail17trampoline_kernelINS0_14default_configENS1_38merge_sort_block_merge_config_selectorIlNS0_10empty_typeEEEZZNS1_27merge_sort_block_merge_implIS3_PlPS5_mZN2at6native12_GLOBAL__N_124unique_dim_cuda_templateIhEESt5tupleIJNSA_6TensorESF_SF_EERKSF_lbbbEUlllE_EE10hipError_tT0_T1_T2_jT3_P12ihipStream_tbPNSt15iterator_traitsISL_E10value_typeEPNSR_ISM_E10value_typeEPSN_NS1_7vsmem_tEENKUlT_SL_SM_SN_E_clIS8_S8_S9_S9_EESK_S10_SL_SM_SN_EUlS10_E0_NS1_11comp_targetILNS1_3genE5ELNS1_11target_archE942ELNS1_3gpuE9ELNS1_3repE0EEENS1_38merge_mergepath_config_static_selectorELNS0_4arch9wavefront6targetE0EEEvSM_.uses_flat_scratch, 0
	.set _ZN7rocprim17ROCPRIM_400000_NS6detail17trampoline_kernelINS0_14default_configENS1_38merge_sort_block_merge_config_selectorIlNS0_10empty_typeEEEZZNS1_27merge_sort_block_merge_implIS3_PlPS5_mZN2at6native12_GLOBAL__N_124unique_dim_cuda_templateIhEESt5tupleIJNSA_6TensorESF_SF_EERKSF_lbbbEUlllE_EE10hipError_tT0_T1_T2_jT3_P12ihipStream_tbPNSt15iterator_traitsISL_E10value_typeEPNSR_ISM_E10value_typeEPSN_NS1_7vsmem_tEENKUlT_SL_SM_SN_E_clIS8_S8_S9_S9_EESK_S10_SL_SM_SN_EUlS10_E0_NS1_11comp_targetILNS1_3genE5ELNS1_11target_archE942ELNS1_3gpuE9ELNS1_3repE0EEENS1_38merge_mergepath_config_static_selectorELNS0_4arch9wavefront6targetE0EEEvSM_.has_dyn_sized_stack, 0
	.set _ZN7rocprim17ROCPRIM_400000_NS6detail17trampoline_kernelINS0_14default_configENS1_38merge_sort_block_merge_config_selectorIlNS0_10empty_typeEEEZZNS1_27merge_sort_block_merge_implIS3_PlPS5_mZN2at6native12_GLOBAL__N_124unique_dim_cuda_templateIhEESt5tupleIJNSA_6TensorESF_SF_EERKSF_lbbbEUlllE_EE10hipError_tT0_T1_T2_jT3_P12ihipStream_tbPNSt15iterator_traitsISL_E10value_typeEPNSR_ISM_E10value_typeEPSN_NS1_7vsmem_tEENKUlT_SL_SM_SN_E_clIS8_S8_S9_S9_EESK_S10_SL_SM_SN_EUlS10_E0_NS1_11comp_targetILNS1_3genE5ELNS1_11target_archE942ELNS1_3gpuE9ELNS1_3repE0EEENS1_38merge_mergepath_config_static_selectorELNS0_4arch9wavefront6targetE0EEEvSM_.has_recursion, 0
	.set _ZN7rocprim17ROCPRIM_400000_NS6detail17trampoline_kernelINS0_14default_configENS1_38merge_sort_block_merge_config_selectorIlNS0_10empty_typeEEEZZNS1_27merge_sort_block_merge_implIS3_PlPS5_mZN2at6native12_GLOBAL__N_124unique_dim_cuda_templateIhEESt5tupleIJNSA_6TensorESF_SF_EERKSF_lbbbEUlllE_EE10hipError_tT0_T1_T2_jT3_P12ihipStream_tbPNSt15iterator_traitsISL_E10value_typeEPNSR_ISM_E10value_typeEPSN_NS1_7vsmem_tEENKUlT_SL_SM_SN_E_clIS8_S8_S9_S9_EESK_S10_SL_SM_SN_EUlS10_E0_NS1_11comp_targetILNS1_3genE5ELNS1_11target_archE942ELNS1_3gpuE9ELNS1_3repE0EEENS1_38merge_mergepath_config_static_selectorELNS0_4arch9wavefront6targetE0EEEvSM_.has_indirect_call, 0
	.section	.AMDGPU.csdata,"",@progbits
; Kernel info:
; codeLenInByte = 0
; TotalNumSgprs: 0
; NumVgprs: 0
; ScratchSize: 0
; MemoryBound: 0
; FloatMode: 240
; IeeeMode: 1
; LDSByteSize: 0 bytes/workgroup (compile time only)
; SGPRBlocks: 0
; VGPRBlocks: 0
; NumSGPRsForWavesPerEU: 1
; NumVGPRsForWavesPerEU: 1
; NamedBarCnt: 0
; Occupancy: 16
; WaveLimiterHint : 0
; COMPUTE_PGM_RSRC2:SCRATCH_EN: 0
; COMPUTE_PGM_RSRC2:USER_SGPR: 2
; COMPUTE_PGM_RSRC2:TRAP_HANDLER: 0
; COMPUTE_PGM_RSRC2:TGID_X_EN: 1
; COMPUTE_PGM_RSRC2:TGID_Y_EN: 0
; COMPUTE_PGM_RSRC2:TGID_Z_EN: 0
; COMPUTE_PGM_RSRC2:TIDIG_COMP_CNT: 0
	.section	.text._ZN7rocprim17ROCPRIM_400000_NS6detail17trampoline_kernelINS0_14default_configENS1_38merge_sort_block_merge_config_selectorIlNS0_10empty_typeEEEZZNS1_27merge_sort_block_merge_implIS3_PlPS5_mZN2at6native12_GLOBAL__N_124unique_dim_cuda_templateIhEESt5tupleIJNSA_6TensorESF_SF_EERKSF_lbbbEUlllE_EE10hipError_tT0_T1_T2_jT3_P12ihipStream_tbPNSt15iterator_traitsISL_E10value_typeEPNSR_ISM_E10value_typeEPSN_NS1_7vsmem_tEENKUlT_SL_SM_SN_E_clIS8_S8_S9_S9_EESK_S10_SL_SM_SN_EUlS10_E0_NS1_11comp_targetILNS1_3genE4ELNS1_11target_archE910ELNS1_3gpuE8ELNS1_3repE0EEENS1_38merge_mergepath_config_static_selectorELNS0_4arch9wavefront6targetE0EEEvSM_,"axG",@progbits,_ZN7rocprim17ROCPRIM_400000_NS6detail17trampoline_kernelINS0_14default_configENS1_38merge_sort_block_merge_config_selectorIlNS0_10empty_typeEEEZZNS1_27merge_sort_block_merge_implIS3_PlPS5_mZN2at6native12_GLOBAL__N_124unique_dim_cuda_templateIhEESt5tupleIJNSA_6TensorESF_SF_EERKSF_lbbbEUlllE_EE10hipError_tT0_T1_T2_jT3_P12ihipStream_tbPNSt15iterator_traitsISL_E10value_typeEPNSR_ISM_E10value_typeEPSN_NS1_7vsmem_tEENKUlT_SL_SM_SN_E_clIS8_S8_S9_S9_EESK_S10_SL_SM_SN_EUlS10_E0_NS1_11comp_targetILNS1_3genE4ELNS1_11target_archE910ELNS1_3gpuE8ELNS1_3repE0EEENS1_38merge_mergepath_config_static_selectorELNS0_4arch9wavefront6targetE0EEEvSM_,comdat
	.globl	_ZN7rocprim17ROCPRIM_400000_NS6detail17trampoline_kernelINS0_14default_configENS1_38merge_sort_block_merge_config_selectorIlNS0_10empty_typeEEEZZNS1_27merge_sort_block_merge_implIS3_PlPS5_mZN2at6native12_GLOBAL__N_124unique_dim_cuda_templateIhEESt5tupleIJNSA_6TensorESF_SF_EERKSF_lbbbEUlllE_EE10hipError_tT0_T1_T2_jT3_P12ihipStream_tbPNSt15iterator_traitsISL_E10value_typeEPNSR_ISM_E10value_typeEPSN_NS1_7vsmem_tEENKUlT_SL_SM_SN_E_clIS8_S8_S9_S9_EESK_S10_SL_SM_SN_EUlS10_E0_NS1_11comp_targetILNS1_3genE4ELNS1_11target_archE910ELNS1_3gpuE8ELNS1_3repE0EEENS1_38merge_mergepath_config_static_selectorELNS0_4arch9wavefront6targetE0EEEvSM_ ; -- Begin function _ZN7rocprim17ROCPRIM_400000_NS6detail17trampoline_kernelINS0_14default_configENS1_38merge_sort_block_merge_config_selectorIlNS0_10empty_typeEEEZZNS1_27merge_sort_block_merge_implIS3_PlPS5_mZN2at6native12_GLOBAL__N_124unique_dim_cuda_templateIhEESt5tupleIJNSA_6TensorESF_SF_EERKSF_lbbbEUlllE_EE10hipError_tT0_T1_T2_jT3_P12ihipStream_tbPNSt15iterator_traitsISL_E10value_typeEPNSR_ISM_E10value_typeEPSN_NS1_7vsmem_tEENKUlT_SL_SM_SN_E_clIS8_S8_S9_S9_EESK_S10_SL_SM_SN_EUlS10_E0_NS1_11comp_targetILNS1_3genE4ELNS1_11target_archE910ELNS1_3gpuE8ELNS1_3repE0EEENS1_38merge_mergepath_config_static_selectorELNS0_4arch9wavefront6targetE0EEEvSM_
	.p2align	8
	.type	_ZN7rocprim17ROCPRIM_400000_NS6detail17trampoline_kernelINS0_14default_configENS1_38merge_sort_block_merge_config_selectorIlNS0_10empty_typeEEEZZNS1_27merge_sort_block_merge_implIS3_PlPS5_mZN2at6native12_GLOBAL__N_124unique_dim_cuda_templateIhEESt5tupleIJNSA_6TensorESF_SF_EERKSF_lbbbEUlllE_EE10hipError_tT0_T1_T2_jT3_P12ihipStream_tbPNSt15iterator_traitsISL_E10value_typeEPNSR_ISM_E10value_typeEPSN_NS1_7vsmem_tEENKUlT_SL_SM_SN_E_clIS8_S8_S9_S9_EESK_S10_SL_SM_SN_EUlS10_E0_NS1_11comp_targetILNS1_3genE4ELNS1_11target_archE910ELNS1_3gpuE8ELNS1_3repE0EEENS1_38merge_mergepath_config_static_selectorELNS0_4arch9wavefront6targetE0EEEvSM_,@function
_ZN7rocprim17ROCPRIM_400000_NS6detail17trampoline_kernelINS0_14default_configENS1_38merge_sort_block_merge_config_selectorIlNS0_10empty_typeEEEZZNS1_27merge_sort_block_merge_implIS3_PlPS5_mZN2at6native12_GLOBAL__N_124unique_dim_cuda_templateIhEESt5tupleIJNSA_6TensorESF_SF_EERKSF_lbbbEUlllE_EE10hipError_tT0_T1_T2_jT3_P12ihipStream_tbPNSt15iterator_traitsISL_E10value_typeEPNSR_ISM_E10value_typeEPSN_NS1_7vsmem_tEENKUlT_SL_SM_SN_E_clIS8_S8_S9_S9_EESK_S10_SL_SM_SN_EUlS10_E0_NS1_11comp_targetILNS1_3genE4ELNS1_11target_archE910ELNS1_3gpuE8ELNS1_3repE0EEENS1_38merge_mergepath_config_static_selectorELNS0_4arch9wavefront6targetE0EEEvSM_: ; @_ZN7rocprim17ROCPRIM_400000_NS6detail17trampoline_kernelINS0_14default_configENS1_38merge_sort_block_merge_config_selectorIlNS0_10empty_typeEEEZZNS1_27merge_sort_block_merge_implIS3_PlPS5_mZN2at6native12_GLOBAL__N_124unique_dim_cuda_templateIhEESt5tupleIJNSA_6TensorESF_SF_EERKSF_lbbbEUlllE_EE10hipError_tT0_T1_T2_jT3_P12ihipStream_tbPNSt15iterator_traitsISL_E10value_typeEPNSR_ISM_E10value_typeEPSN_NS1_7vsmem_tEENKUlT_SL_SM_SN_E_clIS8_S8_S9_S9_EESK_S10_SL_SM_SN_EUlS10_E0_NS1_11comp_targetILNS1_3genE4ELNS1_11target_archE910ELNS1_3gpuE8ELNS1_3repE0EEENS1_38merge_mergepath_config_static_selectorELNS0_4arch9wavefront6targetE0EEEvSM_
; %bb.0:
	.section	.rodata,"a",@progbits
	.p2align	6, 0x0
	.amdhsa_kernel _ZN7rocprim17ROCPRIM_400000_NS6detail17trampoline_kernelINS0_14default_configENS1_38merge_sort_block_merge_config_selectorIlNS0_10empty_typeEEEZZNS1_27merge_sort_block_merge_implIS3_PlPS5_mZN2at6native12_GLOBAL__N_124unique_dim_cuda_templateIhEESt5tupleIJNSA_6TensorESF_SF_EERKSF_lbbbEUlllE_EE10hipError_tT0_T1_T2_jT3_P12ihipStream_tbPNSt15iterator_traitsISL_E10value_typeEPNSR_ISM_E10value_typeEPSN_NS1_7vsmem_tEENKUlT_SL_SM_SN_E_clIS8_S8_S9_S9_EESK_S10_SL_SM_SN_EUlS10_E0_NS1_11comp_targetILNS1_3genE4ELNS1_11target_archE910ELNS1_3gpuE8ELNS1_3repE0EEENS1_38merge_mergepath_config_static_selectorELNS0_4arch9wavefront6targetE0EEEvSM_
		.amdhsa_group_segment_fixed_size 0
		.amdhsa_private_segment_fixed_size 0
		.amdhsa_kernarg_size 88
		.amdhsa_user_sgpr_count 2
		.amdhsa_user_sgpr_dispatch_ptr 0
		.amdhsa_user_sgpr_queue_ptr 0
		.amdhsa_user_sgpr_kernarg_segment_ptr 1
		.amdhsa_user_sgpr_dispatch_id 0
		.amdhsa_user_sgpr_kernarg_preload_length 0
		.amdhsa_user_sgpr_kernarg_preload_offset 0
		.amdhsa_user_sgpr_private_segment_size 0
		.amdhsa_wavefront_size32 1
		.amdhsa_uses_dynamic_stack 0
		.amdhsa_enable_private_segment 0
		.amdhsa_system_sgpr_workgroup_id_x 1
		.amdhsa_system_sgpr_workgroup_id_y 0
		.amdhsa_system_sgpr_workgroup_id_z 0
		.amdhsa_system_sgpr_workgroup_info 0
		.amdhsa_system_vgpr_workitem_id 0
		.amdhsa_next_free_vgpr 1
		.amdhsa_next_free_sgpr 1
		.amdhsa_named_barrier_count 0
		.amdhsa_reserve_vcc 0
		.amdhsa_float_round_mode_32 0
		.amdhsa_float_round_mode_16_64 0
		.amdhsa_float_denorm_mode_32 3
		.amdhsa_float_denorm_mode_16_64 3
		.amdhsa_fp16_overflow 0
		.amdhsa_memory_ordered 1
		.amdhsa_forward_progress 1
		.amdhsa_inst_pref_size 0
		.amdhsa_round_robin_scheduling 0
		.amdhsa_exception_fp_ieee_invalid_op 0
		.amdhsa_exception_fp_denorm_src 0
		.amdhsa_exception_fp_ieee_div_zero 0
		.amdhsa_exception_fp_ieee_overflow 0
		.amdhsa_exception_fp_ieee_underflow 0
		.amdhsa_exception_fp_ieee_inexact 0
		.amdhsa_exception_int_div_zero 0
	.end_amdhsa_kernel
	.section	.text._ZN7rocprim17ROCPRIM_400000_NS6detail17trampoline_kernelINS0_14default_configENS1_38merge_sort_block_merge_config_selectorIlNS0_10empty_typeEEEZZNS1_27merge_sort_block_merge_implIS3_PlPS5_mZN2at6native12_GLOBAL__N_124unique_dim_cuda_templateIhEESt5tupleIJNSA_6TensorESF_SF_EERKSF_lbbbEUlllE_EE10hipError_tT0_T1_T2_jT3_P12ihipStream_tbPNSt15iterator_traitsISL_E10value_typeEPNSR_ISM_E10value_typeEPSN_NS1_7vsmem_tEENKUlT_SL_SM_SN_E_clIS8_S8_S9_S9_EESK_S10_SL_SM_SN_EUlS10_E0_NS1_11comp_targetILNS1_3genE4ELNS1_11target_archE910ELNS1_3gpuE8ELNS1_3repE0EEENS1_38merge_mergepath_config_static_selectorELNS0_4arch9wavefront6targetE0EEEvSM_,"axG",@progbits,_ZN7rocprim17ROCPRIM_400000_NS6detail17trampoline_kernelINS0_14default_configENS1_38merge_sort_block_merge_config_selectorIlNS0_10empty_typeEEEZZNS1_27merge_sort_block_merge_implIS3_PlPS5_mZN2at6native12_GLOBAL__N_124unique_dim_cuda_templateIhEESt5tupleIJNSA_6TensorESF_SF_EERKSF_lbbbEUlllE_EE10hipError_tT0_T1_T2_jT3_P12ihipStream_tbPNSt15iterator_traitsISL_E10value_typeEPNSR_ISM_E10value_typeEPSN_NS1_7vsmem_tEENKUlT_SL_SM_SN_E_clIS8_S8_S9_S9_EESK_S10_SL_SM_SN_EUlS10_E0_NS1_11comp_targetILNS1_3genE4ELNS1_11target_archE910ELNS1_3gpuE8ELNS1_3repE0EEENS1_38merge_mergepath_config_static_selectorELNS0_4arch9wavefront6targetE0EEEvSM_,comdat
.Lfunc_end29:
	.size	_ZN7rocprim17ROCPRIM_400000_NS6detail17trampoline_kernelINS0_14default_configENS1_38merge_sort_block_merge_config_selectorIlNS0_10empty_typeEEEZZNS1_27merge_sort_block_merge_implIS3_PlPS5_mZN2at6native12_GLOBAL__N_124unique_dim_cuda_templateIhEESt5tupleIJNSA_6TensorESF_SF_EERKSF_lbbbEUlllE_EE10hipError_tT0_T1_T2_jT3_P12ihipStream_tbPNSt15iterator_traitsISL_E10value_typeEPNSR_ISM_E10value_typeEPSN_NS1_7vsmem_tEENKUlT_SL_SM_SN_E_clIS8_S8_S9_S9_EESK_S10_SL_SM_SN_EUlS10_E0_NS1_11comp_targetILNS1_3genE4ELNS1_11target_archE910ELNS1_3gpuE8ELNS1_3repE0EEENS1_38merge_mergepath_config_static_selectorELNS0_4arch9wavefront6targetE0EEEvSM_, .Lfunc_end29-_ZN7rocprim17ROCPRIM_400000_NS6detail17trampoline_kernelINS0_14default_configENS1_38merge_sort_block_merge_config_selectorIlNS0_10empty_typeEEEZZNS1_27merge_sort_block_merge_implIS3_PlPS5_mZN2at6native12_GLOBAL__N_124unique_dim_cuda_templateIhEESt5tupleIJNSA_6TensorESF_SF_EERKSF_lbbbEUlllE_EE10hipError_tT0_T1_T2_jT3_P12ihipStream_tbPNSt15iterator_traitsISL_E10value_typeEPNSR_ISM_E10value_typeEPSN_NS1_7vsmem_tEENKUlT_SL_SM_SN_E_clIS8_S8_S9_S9_EESK_S10_SL_SM_SN_EUlS10_E0_NS1_11comp_targetILNS1_3genE4ELNS1_11target_archE910ELNS1_3gpuE8ELNS1_3repE0EEENS1_38merge_mergepath_config_static_selectorELNS0_4arch9wavefront6targetE0EEEvSM_
                                        ; -- End function
	.set _ZN7rocprim17ROCPRIM_400000_NS6detail17trampoline_kernelINS0_14default_configENS1_38merge_sort_block_merge_config_selectorIlNS0_10empty_typeEEEZZNS1_27merge_sort_block_merge_implIS3_PlPS5_mZN2at6native12_GLOBAL__N_124unique_dim_cuda_templateIhEESt5tupleIJNSA_6TensorESF_SF_EERKSF_lbbbEUlllE_EE10hipError_tT0_T1_T2_jT3_P12ihipStream_tbPNSt15iterator_traitsISL_E10value_typeEPNSR_ISM_E10value_typeEPSN_NS1_7vsmem_tEENKUlT_SL_SM_SN_E_clIS8_S8_S9_S9_EESK_S10_SL_SM_SN_EUlS10_E0_NS1_11comp_targetILNS1_3genE4ELNS1_11target_archE910ELNS1_3gpuE8ELNS1_3repE0EEENS1_38merge_mergepath_config_static_selectorELNS0_4arch9wavefront6targetE0EEEvSM_.num_vgpr, 0
	.set _ZN7rocprim17ROCPRIM_400000_NS6detail17trampoline_kernelINS0_14default_configENS1_38merge_sort_block_merge_config_selectorIlNS0_10empty_typeEEEZZNS1_27merge_sort_block_merge_implIS3_PlPS5_mZN2at6native12_GLOBAL__N_124unique_dim_cuda_templateIhEESt5tupleIJNSA_6TensorESF_SF_EERKSF_lbbbEUlllE_EE10hipError_tT0_T1_T2_jT3_P12ihipStream_tbPNSt15iterator_traitsISL_E10value_typeEPNSR_ISM_E10value_typeEPSN_NS1_7vsmem_tEENKUlT_SL_SM_SN_E_clIS8_S8_S9_S9_EESK_S10_SL_SM_SN_EUlS10_E0_NS1_11comp_targetILNS1_3genE4ELNS1_11target_archE910ELNS1_3gpuE8ELNS1_3repE0EEENS1_38merge_mergepath_config_static_selectorELNS0_4arch9wavefront6targetE0EEEvSM_.num_agpr, 0
	.set _ZN7rocprim17ROCPRIM_400000_NS6detail17trampoline_kernelINS0_14default_configENS1_38merge_sort_block_merge_config_selectorIlNS0_10empty_typeEEEZZNS1_27merge_sort_block_merge_implIS3_PlPS5_mZN2at6native12_GLOBAL__N_124unique_dim_cuda_templateIhEESt5tupleIJNSA_6TensorESF_SF_EERKSF_lbbbEUlllE_EE10hipError_tT0_T1_T2_jT3_P12ihipStream_tbPNSt15iterator_traitsISL_E10value_typeEPNSR_ISM_E10value_typeEPSN_NS1_7vsmem_tEENKUlT_SL_SM_SN_E_clIS8_S8_S9_S9_EESK_S10_SL_SM_SN_EUlS10_E0_NS1_11comp_targetILNS1_3genE4ELNS1_11target_archE910ELNS1_3gpuE8ELNS1_3repE0EEENS1_38merge_mergepath_config_static_selectorELNS0_4arch9wavefront6targetE0EEEvSM_.numbered_sgpr, 0
	.set _ZN7rocprim17ROCPRIM_400000_NS6detail17trampoline_kernelINS0_14default_configENS1_38merge_sort_block_merge_config_selectorIlNS0_10empty_typeEEEZZNS1_27merge_sort_block_merge_implIS3_PlPS5_mZN2at6native12_GLOBAL__N_124unique_dim_cuda_templateIhEESt5tupleIJNSA_6TensorESF_SF_EERKSF_lbbbEUlllE_EE10hipError_tT0_T1_T2_jT3_P12ihipStream_tbPNSt15iterator_traitsISL_E10value_typeEPNSR_ISM_E10value_typeEPSN_NS1_7vsmem_tEENKUlT_SL_SM_SN_E_clIS8_S8_S9_S9_EESK_S10_SL_SM_SN_EUlS10_E0_NS1_11comp_targetILNS1_3genE4ELNS1_11target_archE910ELNS1_3gpuE8ELNS1_3repE0EEENS1_38merge_mergepath_config_static_selectorELNS0_4arch9wavefront6targetE0EEEvSM_.num_named_barrier, 0
	.set _ZN7rocprim17ROCPRIM_400000_NS6detail17trampoline_kernelINS0_14default_configENS1_38merge_sort_block_merge_config_selectorIlNS0_10empty_typeEEEZZNS1_27merge_sort_block_merge_implIS3_PlPS5_mZN2at6native12_GLOBAL__N_124unique_dim_cuda_templateIhEESt5tupleIJNSA_6TensorESF_SF_EERKSF_lbbbEUlllE_EE10hipError_tT0_T1_T2_jT3_P12ihipStream_tbPNSt15iterator_traitsISL_E10value_typeEPNSR_ISM_E10value_typeEPSN_NS1_7vsmem_tEENKUlT_SL_SM_SN_E_clIS8_S8_S9_S9_EESK_S10_SL_SM_SN_EUlS10_E0_NS1_11comp_targetILNS1_3genE4ELNS1_11target_archE910ELNS1_3gpuE8ELNS1_3repE0EEENS1_38merge_mergepath_config_static_selectorELNS0_4arch9wavefront6targetE0EEEvSM_.private_seg_size, 0
	.set _ZN7rocprim17ROCPRIM_400000_NS6detail17trampoline_kernelINS0_14default_configENS1_38merge_sort_block_merge_config_selectorIlNS0_10empty_typeEEEZZNS1_27merge_sort_block_merge_implIS3_PlPS5_mZN2at6native12_GLOBAL__N_124unique_dim_cuda_templateIhEESt5tupleIJNSA_6TensorESF_SF_EERKSF_lbbbEUlllE_EE10hipError_tT0_T1_T2_jT3_P12ihipStream_tbPNSt15iterator_traitsISL_E10value_typeEPNSR_ISM_E10value_typeEPSN_NS1_7vsmem_tEENKUlT_SL_SM_SN_E_clIS8_S8_S9_S9_EESK_S10_SL_SM_SN_EUlS10_E0_NS1_11comp_targetILNS1_3genE4ELNS1_11target_archE910ELNS1_3gpuE8ELNS1_3repE0EEENS1_38merge_mergepath_config_static_selectorELNS0_4arch9wavefront6targetE0EEEvSM_.uses_vcc, 0
	.set _ZN7rocprim17ROCPRIM_400000_NS6detail17trampoline_kernelINS0_14default_configENS1_38merge_sort_block_merge_config_selectorIlNS0_10empty_typeEEEZZNS1_27merge_sort_block_merge_implIS3_PlPS5_mZN2at6native12_GLOBAL__N_124unique_dim_cuda_templateIhEESt5tupleIJNSA_6TensorESF_SF_EERKSF_lbbbEUlllE_EE10hipError_tT0_T1_T2_jT3_P12ihipStream_tbPNSt15iterator_traitsISL_E10value_typeEPNSR_ISM_E10value_typeEPSN_NS1_7vsmem_tEENKUlT_SL_SM_SN_E_clIS8_S8_S9_S9_EESK_S10_SL_SM_SN_EUlS10_E0_NS1_11comp_targetILNS1_3genE4ELNS1_11target_archE910ELNS1_3gpuE8ELNS1_3repE0EEENS1_38merge_mergepath_config_static_selectorELNS0_4arch9wavefront6targetE0EEEvSM_.uses_flat_scratch, 0
	.set _ZN7rocprim17ROCPRIM_400000_NS6detail17trampoline_kernelINS0_14default_configENS1_38merge_sort_block_merge_config_selectorIlNS0_10empty_typeEEEZZNS1_27merge_sort_block_merge_implIS3_PlPS5_mZN2at6native12_GLOBAL__N_124unique_dim_cuda_templateIhEESt5tupleIJNSA_6TensorESF_SF_EERKSF_lbbbEUlllE_EE10hipError_tT0_T1_T2_jT3_P12ihipStream_tbPNSt15iterator_traitsISL_E10value_typeEPNSR_ISM_E10value_typeEPSN_NS1_7vsmem_tEENKUlT_SL_SM_SN_E_clIS8_S8_S9_S9_EESK_S10_SL_SM_SN_EUlS10_E0_NS1_11comp_targetILNS1_3genE4ELNS1_11target_archE910ELNS1_3gpuE8ELNS1_3repE0EEENS1_38merge_mergepath_config_static_selectorELNS0_4arch9wavefront6targetE0EEEvSM_.has_dyn_sized_stack, 0
	.set _ZN7rocprim17ROCPRIM_400000_NS6detail17trampoline_kernelINS0_14default_configENS1_38merge_sort_block_merge_config_selectorIlNS0_10empty_typeEEEZZNS1_27merge_sort_block_merge_implIS3_PlPS5_mZN2at6native12_GLOBAL__N_124unique_dim_cuda_templateIhEESt5tupleIJNSA_6TensorESF_SF_EERKSF_lbbbEUlllE_EE10hipError_tT0_T1_T2_jT3_P12ihipStream_tbPNSt15iterator_traitsISL_E10value_typeEPNSR_ISM_E10value_typeEPSN_NS1_7vsmem_tEENKUlT_SL_SM_SN_E_clIS8_S8_S9_S9_EESK_S10_SL_SM_SN_EUlS10_E0_NS1_11comp_targetILNS1_3genE4ELNS1_11target_archE910ELNS1_3gpuE8ELNS1_3repE0EEENS1_38merge_mergepath_config_static_selectorELNS0_4arch9wavefront6targetE0EEEvSM_.has_recursion, 0
	.set _ZN7rocprim17ROCPRIM_400000_NS6detail17trampoline_kernelINS0_14default_configENS1_38merge_sort_block_merge_config_selectorIlNS0_10empty_typeEEEZZNS1_27merge_sort_block_merge_implIS3_PlPS5_mZN2at6native12_GLOBAL__N_124unique_dim_cuda_templateIhEESt5tupleIJNSA_6TensorESF_SF_EERKSF_lbbbEUlllE_EE10hipError_tT0_T1_T2_jT3_P12ihipStream_tbPNSt15iterator_traitsISL_E10value_typeEPNSR_ISM_E10value_typeEPSN_NS1_7vsmem_tEENKUlT_SL_SM_SN_E_clIS8_S8_S9_S9_EESK_S10_SL_SM_SN_EUlS10_E0_NS1_11comp_targetILNS1_3genE4ELNS1_11target_archE910ELNS1_3gpuE8ELNS1_3repE0EEENS1_38merge_mergepath_config_static_selectorELNS0_4arch9wavefront6targetE0EEEvSM_.has_indirect_call, 0
	.section	.AMDGPU.csdata,"",@progbits
; Kernel info:
; codeLenInByte = 0
; TotalNumSgprs: 0
; NumVgprs: 0
; ScratchSize: 0
; MemoryBound: 0
; FloatMode: 240
; IeeeMode: 1
; LDSByteSize: 0 bytes/workgroup (compile time only)
; SGPRBlocks: 0
; VGPRBlocks: 0
; NumSGPRsForWavesPerEU: 1
; NumVGPRsForWavesPerEU: 1
; NamedBarCnt: 0
; Occupancy: 16
; WaveLimiterHint : 0
; COMPUTE_PGM_RSRC2:SCRATCH_EN: 0
; COMPUTE_PGM_RSRC2:USER_SGPR: 2
; COMPUTE_PGM_RSRC2:TRAP_HANDLER: 0
; COMPUTE_PGM_RSRC2:TGID_X_EN: 1
; COMPUTE_PGM_RSRC2:TGID_Y_EN: 0
; COMPUTE_PGM_RSRC2:TGID_Z_EN: 0
; COMPUTE_PGM_RSRC2:TIDIG_COMP_CNT: 0
	.section	.text._ZN7rocprim17ROCPRIM_400000_NS6detail17trampoline_kernelINS0_14default_configENS1_38merge_sort_block_merge_config_selectorIlNS0_10empty_typeEEEZZNS1_27merge_sort_block_merge_implIS3_PlPS5_mZN2at6native12_GLOBAL__N_124unique_dim_cuda_templateIhEESt5tupleIJNSA_6TensorESF_SF_EERKSF_lbbbEUlllE_EE10hipError_tT0_T1_T2_jT3_P12ihipStream_tbPNSt15iterator_traitsISL_E10value_typeEPNSR_ISM_E10value_typeEPSN_NS1_7vsmem_tEENKUlT_SL_SM_SN_E_clIS8_S8_S9_S9_EESK_S10_SL_SM_SN_EUlS10_E0_NS1_11comp_targetILNS1_3genE3ELNS1_11target_archE908ELNS1_3gpuE7ELNS1_3repE0EEENS1_38merge_mergepath_config_static_selectorELNS0_4arch9wavefront6targetE0EEEvSM_,"axG",@progbits,_ZN7rocprim17ROCPRIM_400000_NS6detail17trampoline_kernelINS0_14default_configENS1_38merge_sort_block_merge_config_selectorIlNS0_10empty_typeEEEZZNS1_27merge_sort_block_merge_implIS3_PlPS5_mZN2at6native12_GLOBAL__N_124unique_dim_cuda_templateIhEESt5tupleIJNSA_6TensorESF_SF_EERKSF_lbbbEUlllE_EE10hipError_tT0_T1_T2_jT3_P12ihipStream_tbPNSt15iterator_traitsISL_E10value_typeEPNSR_ISM_E10value_typeEPSN_NS1_7vsmem_tEENKUlT_SL_SM_SN_E_clIS8_S8_S9_S9_EESK_S10_SL_SM_SN_EUlS10_E0_NS1_11comp_targetILNS1_3genE3ELNS1_11target_archE908ELNS1_3gpuE7ELNS1_3repE0EEENS1_38merge_mergepath_config_static_selectorELNS0_4arch9wavefront6targetE0EEEvSM_,comdat
	.globl	_ZN7rocprim17ROCPRIM_400000_NS6detail17trampoline_kernelINS0_14default_configENS1_38merge_sort_block_merge_config_selectorIlNS0_10empty_typeEEEZZNS1_27merge_sort_block_merge_implIS3_PlPS5_mZN2at6native12_GLOBAL__N_124unique_dim_cuda_templateIhEESt5tupleIJNSA_6TensorESF_SF_EERKSF_lbbbEUlllE_EE10hipError_tT0_T1_T2_jT3_P12ihipStream_tbPNSt15iterator_traitsISL_E10value_typeEPNSR_ISM_E10value_typeEPSN_NS1_7vsmem_tEENKUlT_SL_SM_SN_E_clIS8_S8_S9_S9_EESK_S10_SL_SM_SN_EUlS10_E0_NS1_11comp_targetILNS1_3genE3ELNS1_11target_archE908ELNS1_3gpuE7ELNS1_3repE0EEENS1_38merge_mergepath_config_static_selectorELNS0_4arch9wavefront6targetE0EEEvSM_ ; -- Begin function _ZN7rocprim17ROCPRIM_400000_NS6detail17trampoline_kernelINS0_14default_configENS1_38merge_sort_block_merge_config_selectorIlNS0_10empty_typeEEEZZNS1_27merge_sort_block_merge_implIS3_PlPS5_mZN2at6native12_GLOBAL__N_124unique_dim_cuda_templateIhEESt5tupleIJNSA_6TensorESF_SF_EERKSF_lbbbEUlllE_EE10hipError_tT0_T1_T2_jT3_P12ihipStream_tbPNSt15iterator_traitsISL_E10value_typeEPNSR_ISM_E10value_typeEPSN_NS1_7vsmem_tEENKUlT_SL_SM_SN_E_clIS8_S8_S9_S9_EESK_S10_SL_SM_SN_EUlS10_E0_NS1_11comp_targetILNS1_3genE3ELNS1_11target_archE908ELNS1_3gpuE7ELNS1_3repE0EEENS1_38merge_mergepath_config_static_selectorELNS0_4arch9wavefront6targetE0EEEvSM_
	.p2align	8
	.type	_ZN7rocprim17ROCPRIM_400000_NS6detail17trampoline_kernelINS0_14default_configENS1_38merge_sort_block_merge_config_selectorIlNS0_10empty_typeEEEZZNS1_27merge_sort_block_merge_implIS3_PlPS5_mZN2at6native12_GLOBAL__N_124unique_dim_cuda_templateIhEESt5tupleIJNSA_6TensorESF_SF_EERKSF_lbbbEUlllE_EE10hipError_tT0_T1_T2_jT3_P12ihipStream_tbPNSt15iterator_traitsISL_E10value_typeEPNSR_ISM_E10value_typeEPSN_NS1_7vsmem_tEENKUlT_SL_SM_SN_E_clIS8_S8_S9_S9_EESK_S10_SL_SM_SN_EUlS10_E0_NS1_11comp_targetILNS1_3genE3ELNS1_11target_archE908ELNS1_3gpuE7ELNS1_3repE0EEENS1_38merge_mergepath_config_static_selectorELNS0_4arch9wavefront6targetE0EEEvSM_,@function
_ZN7rocprim17ROCPRIM_400000_NS6detail17trampoline_kernelINS0_14default_configENS1_38merge_sort_block_merge_config_selectorIlNS0_10empty_typeEEEZZNS1_27merge_sort_block_merge_implIS3_PlPS5_mZN2at6native12_GLOBAL__N_124unique_dim_cuda_templateIhEESt5tupleIJNSA_6TensorESF_SF_EERKSF_lbbbEUlllE_EE10hipError_tT0_T1_T2_jT3_P12ihipStream_tbPNSt15iterator_traitsISL_E10value_typeEPNSR_ISM_E10value_typeEPSN_NS1_7vsmem_tEENKUlT_SL_SM_SN_E_clIS8_S8_S9_S9_EESK_S10_SL_SM_SN_EUlS10_E0_NS1_11comp_targetILNS1_3genE3ELNS1_11target_archE908ELNS1_3gpuE7ELNS1_3repE0EEENS1_38merge_mergepath_config_static_selectorELNS0_4arch9wavefront6targetE0EEEvSM_: ; @_ZN7rocprim17ROCPRIM_400000_NS6detail17trampoline_kernelINS0_14default_configENS1_38merge_sort_block_merge_config_selectorIlNS0_10empty_typeEEEZZNS1_27merge_sort_block_merge_implIS3_PlPS5_mZN2at6native12_GLOBAL__N_124unique_dim_cuda_templateIhEESt5tupleIJNSA_6TensorESF_SF_EERKSF_lbbbEUlllE_EE10hipError_tT0_T1_T2_jT3_P12ihipStream_tbPNSt15iterator_traitsISL_E10value_typeEPNSR_ISM_E10value_typeEPSN_NS1_7vsmem_tEENKUlT_SL_SM_SN_E_clIS8_S8_S9_S9_EESK_S10_SL_SM_SN_EUlS10_E0_NS1_11comp_targetILNS1_3genE3ELNS1_11target_archE908ELNS1_3gpuE7ELNS1_3repE0EEENS1_38merge_mergepath_config_static_selectorELNS0_4arch9wavefront6targetE0EEEvSM_
; %bb.0:
	.section	.rodata,"a",@progbits
	.p2align	6, 0x0
	.amdhsa_kernel _ZN7rocprim17ROCPRIM_400000_NS6detail17trampoline_kernelINS0_14default_configENS1_38merge_sort_block_merge_config_selectorIlNS0_10empty_typeEEEZZNS1_27merge_sort_block_merge_implIS3_PlPS5_mZN2at6native12_GLOBAL__N_124unique_dim_cuda_templateIhEESt5tupleIJNSA_6TensorESF_SF_EERKSF_lbbbEUlllE_EE10hipError_tT0_T1_T2_jT3_P12ihipStream_tbPNSt15iterator_traitsISL_E10value_typeEPNSR_ISM_E10value_typeEPSN_NS1_7vsmem_tEENKUlT_SL_SM_SN_E_clIS8_S8_S9_S9_EESK_S10_SL_SM_SN_EUlS10_E0_NS1_11comp_targetILNS1_3genE3ELNS1_11target_archE908ELNS1_3gpuE7ELNS1_3repE0EEENS1_38merge_mergepath_config_static_selectorELNS0_4arch9wavefront6targetE0EEEvSM_
		.amdhsa_group_segment_fixed_size 0
		.amdhsa_private_segment_fixed_size 0
		.amdhsa_kernarg_size 88
		.amdhsa_user_sgpr_count 2
		.amdhsa_user_sgpr_dispatch_ptr 0
		.amdhsa_user_sgpr_queue_ptr 0
		.amdhsa_user_sgpr_kernarg_segment_ptr 1
		.amdhsa_user_sgpr_dispatch_id 0
		.amdhsa_user_sgpr_kernarg_preload_length 0
		.amdhsa_user_sgpr_kernarg_preload_offset 0
		.amdhsa_user_sgpr_private_segment_size 0
		.amdhsa_wavefront_size32 1
		.amdhsa_uses_dynamic_stack 0
		.amdhsa_enable_private_segment 0
		.amdhsa_system_sgpr_workgroup_id_x 1
		.amdhsa_system_sgpr_workgroup_id_y 0
		.amdhsa_system_sgpr_workgroup_id_z 0
		.amdhsa_system_sgpr_workgroup_info 0
		.amdhsa_system_vgpr_workitem_id 0
		.amdhsa_next_free_vgpr 1
		.amdhsa_next_free_sgpr 1
		.amdhsa_named_barrier_count 0
		.amdhsa_reserve_vcc 0
		.amdhsa_float_round_mode_32 0
		.amdhsa_float_round_mode_16_64 0
		.amdhsa_float_denorm_mode_32 3
		.amdhsa_float_denorm_mode_16_64 3
		.amdhsa_fp16_overflow 0
		.amdhsa_memory_ordered 1
		.amdhsa_forward_progress 1
		.amdhsa_inst_pref_size 0
		.amdhsa_round_robin_scheduling 0
		.amdhsa_exception_fp_ieee_invalid_op 0
		.amdhsa_exception_fp_denorm_src 0
		.amdhsa_exception_fp_ieee_div_zero 0
		.amdhsa_exception_fp_ieee_overflow 0
		.amdhsa_exception_fp_ieee_underflow 0
		.amdhsa_exception_fp_ieee_inexact 0
		.amdhsa_exception_int_div_zero 0
	.end_amdhsa_kernel
	.section	.text._ZN7rocprim17ROCPRIM_400000_NS6detail17trampoline_kernelINS0_14default_configENS1_38merge_sort_block_merge_config_selectorIlNS0_10empty_typeEEEZZNS1_27merge_sort_block_merge_implIS3_PlPS5_mZN2at6native12_GLOBAL__N_124unique_dim_cuda_templateIhEESt5tupleIJNSA_6TensorESF_SF_EERKSF_lbbbEUlllE_EE10hipError_tT0_T1_T2_jT3_P12ihipStream_tbPNSt15iterator_traitsISL_E10value_typeEPNSR_ISM_E10value_typeEPSN_NS1_7vsmem_tEENKUlT_SL_SM_SN_E_clIS8_S8_S9_S9_EESK_S10_SL_SM_SN_EUlS10_E0_NS1_11comp_targetILNS1_3genE3ELNS1_11target_archE908ELNS1_3gpuE7ELNS1_3repE0EEENS1_38merge_mergepath_config_static_selectorELNS0_4arch9wavefront6targetE0EEEvSM_,"axG",@progbits,_ZN7rocprim17ROCPRIM_400000_NS6detail17trampoline_kernelINS0_14default_configENS1_38merge_sort_block_merge_config_selectorIlNS0_10empty_typeEEEZZNS1_27merge_sort_block_merge_implIS3_PlPS5_mZN2at6native12_GLOBAL__N_124unique_dim_cuda_templateIhEESt5tupleIJNSA_6TensorESF_SF_EERKSF_lbbbEUlllE_EE10hipError_tT0_T1_T2_jT3_P12ihipStream_tbPNSt15iterator_traitsISL_E10value_typeEPNSR_ISM_E10value_typeEPSN_NS1_7vsmem_tEENKUlT_SL_SM_SN_E_clIS8_S8_S9_S9_EESK_S10_SL_SM_SN_EUlS10_E0_NS1_11comp_targetILNS1_3genE3ELNS1_11target_archE908ELNS1_3gpuE7ELNS1_3repE0EEENS1_38merge_mergepath_config_static_selectorELNS0_4arch9wavefront6targetE0EEEvSM_,comdat
.Lfunc_end30:
	.size	_ZN7rocprim17ROCPRIM_400000_NS6detail17trampoline_kernelINS0_14default_configENS1_38merge_sort_block_merge_config_selectorIlNS0_10empty_typeEEEZZNS1_27merge_sort_block_merge_implIS3_PlPS5_mZN2at6native12_GLOBAL__N_124unique_dim_cuda_templateIhEESt5tupleIJNSA_6TensorESF_SF_EERKSF_lbbbEUlllE_EE10hipError_tT0_T1_T2_jT3_P12ihipStream_tbPNSt15iterator_traitsISL_E10value_typeEPNSR_ISM_E10value_typeEPSN_NS1_7vsmem_tEENKUlT_SL_SM_SN_E_clIS8_S8_S9_S9_EESK_S10_SL_SM_SN_EUlS10_E0_NS1_11comp_targetILNS1_3genE3ELNS1_11target_archE908ELNS1_3gpuE7ELNS1_3repE0EEENS1_38merge_mergepath_config_static_selectorELNS0_4arch9wavefront6targetE0EEEvSM_, .Lfunc_end30-_ZN7rocprim17ROCPRIM_400000_NS6detail17trampoline_kernelINS0_14default_configENS1_38merge_sort_block_merge_config_selectorIlNS0_10empty_typeEEEZZNS1_27merge_sort_block_merge_implIS3_PlPS5_mZN2at6native12_GLOBAL__N_124unique_dim_cuda_templateIhEESt5tupleIJNSA_6TensorESF_SF_EERKSF_lbbbEUlllE_EE10hipError_tT0_T1_T2_jT3_P12ihipStream_tbPNSt15iterator_traitsISL_E10value_typeEPNSR_ISM_E10value_typeEPSN_NS1_7vsmem_tEENKUlT_SL_SM_SN_E_clIS8_S8_S9_S9_EESK_S10_SL_SM_SN_EUlS10_E0_NS1_11comp_targetILNS1_3genE3ELNS1_11target_archE908ELNS1_3gpuE7ELNS1_3repE0EEENS1_38merge_mergepath_config_static_selectorELNS0_4arch9wavefront6targetE0EEEvSM_
                                        ; -- End function
	.set _ZN7rocprim17ROCPRIM_400000_NS6detail17trampoline_kernelINS0_14default_configENS1_38merge_sort_block_merge_config_selectorIlNS0_10empty_typeEEEZZNS1_27merge_sort_block_merge_implIS3_PlPS5_mZN2at6native12_GLOBAL__N_124unique_dim_cuda_templateIhEESt5tupleIJNSA_6TensorESF_SF_EERKSF_lbbbEUlllE_EE10hipError_tT0_T1_T2_jT3_P12ihipStream_tbPNSt15iterator_traitsISL_E10value_typeEPNSR_ISM_E10value_typeEPSN_NS1_7vsmem_tEENKUlT_SL_SM_SN_E_clIS8_S8_S9_S9_EESK_S10_SL_SM_SN_EUlS10_E0_NS1_11comp_targetILNS1_3genE3ELNS1_11target_archE908ELNS1_3gpuE7ELNS1_3repE0EEENS1_38merge_mergepath_config_static_selectorELNS0_4arch9wavefront6targetE0EEEvSM_.num_vgpr, 0
	.set _ZN7rocprim17ROCPRIM_400000_NS6detail17trampoline_kernelINS0_14default_configENS1_38merge_sort_block_merge_config_selectorIlNS0_10empty_typeEEEZZNS1_27merge_sort_block_merge_implIS3_PlPS5_mZN2at6native12_GLOBAL__N_124unique_dim_cuda_templateIhEESt5tupleIJNSA_6TensorESF_SF_EERKSF_lbbbEUlllE_EE10hipError_tT0_T1_T2_jT3_P12ihipStream_tbPNSt15iterator_traitsISL_E10value_typeEPNSR_ISM_E10value_typeEPSN_NS1_7vsmem_tEENKUlT_SL_SM_SN_E_clIS8_S8_S9_S9_EESK_S10_SL_SM_SN_EUlS10_E0_NS1_11comp_targetILNS1_3genE3ELNS1_11target_archE908ELNS1_3gpuE7ELNS1_3repE0EEENS1_38merge_mergepath_config_static_selectorELNS0_4arch9wavefront6targetE0EEEvSM_.num_agpr, 0
	.set _ZN7rocprim17ROCPRIM_400000_NS6detail17trampoline_kernelINS0_14default_configENS1_38merge_sort_block_merge_config_selectorIlNS0_10empty_typeEEEZZNS1_27merge_sort_block_merge_implIS3_PlPS5_mZN2at6native12_GLOBAL__N_124unique_dim_cuda_templateIhEESt5tupleIJNSA_6TensorESF_SF_EERKSF_lbbbEUlllE_EE10hipError_tT0_T1_T2_jT3_P12ihipStream_tbPNSt15iterator_traitsISL_E10value_typeEPNSR_ISM_E10value_typeEPSN_NS1_7vsmem_tEENKUlT_SL_SM_SN_E_clIS8_S8_S9_S9_EESK_S10_SL_SM_SN_EUlS10_E0_NS1_11comp_targetILNS1_3genE3ELNS1_11target_archE908ELNS1_3gpuE7ELNS1_3repE0EEENS1_38merge_mergepath_config_static_selectorELNS0_4arch9wavefront6targetE0EEEvSM_.numbered_sgpr, 0
	.set _ZN7rocprim17ROCPRIM_400000_NS6detail17trampoline_kernelINS0_14default_configENS1_38merge_sort_block_merge_config_selectorIlNS0_10empty_typeEEEZZNS1_27merge_sort_block_merge_implIS3_PlPS5_mZN2at6native12_GLOBAL__N_124unique_dim_cuda_templateIhEESt5tupleIJNSA_6TensorESF_SF_EERKSF_lbbbEUlllE_EE10hipError_tT0_T1_T2_jT3_P12ihipStream_tbPNSt15iterator_traitsISL_E10value_typeEPNSR_ISM_E10value_typeEPSN_NS1_7vsmem_tEENKUlT_SL_SM_SN_E_clIS8_S8_S9_S9_EESK_S10_SL_SM_SN_EUlS10_E0_NS1_11comp_targetILNS1_3genE3ELNS1_11target_archE908ELNS1_3gpuE7ELNS1_3repE0EEENS1_38merge_mergepath_config_static_selectorELNS0_4arch9wavefront6targetE0EEEvSM_.num_named_barrier, 0
	.set _ZN7rocprim17ROCPRIM_400000_NS6detail17trampoline_kernelINS0_14default_configENS1_38merge_sort_block_merge_config_selectorIlNS0_10empty_typeEEEZZNS1_27merge_sort_block_merge_implIS3_PlPS5_mZN2at6native12_GLOBAL__N_124unique_dim_cuda_templateIhEESt5tupleIJNSA_6TensorESF_SF_EERKSF_lbbbEUlllE_EE10hipError_tT0_T1_T2_jT3_P12ihipStream_tbPNSt15iterator_traitsISL_E10value_typeEPNSR_ISM_E10value_typeEPSN_NS1_7vsmem_tEENKUlT_SL_SM_SN_E_clIS8_S8_S9_S9_EESK_S10_SL_SM_SN_EUlS10_E0_NS1_11comp_targetILNS1_3genE3ELNS1_11target_archE908ELNS1_3gpuE7ELNS1_3repE0EEENS1_38merge_mergepath_config_static_selectorELNS0_4arch9wavefront6targetE0EEEvSM_.private_seg_size, 0
	.set _ZN7rocprim17ROCPRIM_400000_NS6detail17trampoline_kernelINS0_14default_configENS1_38merge_sort_block_merge_config_selectorIlNS0_10empty_typeEEEZZNS1_27merge_sort_block_merge_implIS3_PlPS5_mZN2at6native12_GLOBAL__N_124unique_dim_cuda_templateIhEESt5tupleIJNSA_6TensorESF_SF_EERKSF_lbbbEUlllE_EE10hipError_tT0_T1_T2_jT3_P12ihipStream_tbPNSt15iterator_traitsISL_E10value_typeEPNSR_ISM_E10value_typeEPSN_NS1_7vsmem_tEENKUlT_SL_SM_SN_E_clIS8_S8_S9_S9_EESK_S10_SL_SM_SN_EUlS10_E0_NS1_11comp_targetILNS1_3genE3ELNS1_11target_archE908ELNS1_3gpuE7ELNS1_3repE0EEENS1_38merge_mergepath_config_static_selectorELNS0_4arch9wavefront6targetE0EEEvSM_.uses_vcc, 0
	.set _ZN7rocprim17ROCPRIM_400000_NS6detail17trampoline_kernelINS0_14default_configENS1_38merge_sort_block_merge_config_selectorIlNS0_10empty_typeEEEZZNS1_27merge_sort_block_merge_implIS3_PlPS5_mZN2at6native12_GLOBAL__N_124unique_dim_cuda_templateIhEESt5tupleIJNSA_6TensorESF_SF_EERKSF_lbbbEUlllE_EE10hipError_tT0_T1_T2_jT3_P12ihipStream_tbPNSt15iterator_traitsISL_E10value_typeEPNSR_ISM_E10value_typeEPSN_NS1_7vsmem_tEENKUlT_SL_SM_SN_E_clIS8_S8_S9_S9_EESK_S10_SL_SM_SN_EUlS10_E0_NS1_11comp_targetILNS1_3genE3ELNS1_11target_archE908ELNS1_3gpuE7ELNS1_3repE0EEENS1_38merge_mergepath_config_static_selectorELNS0_4arch9wavefront6targetE0EEEvSM_.uses_flat_scratch, 0
	.set _ZN7rocprim17ROCPRIM_400000_NS6detail17trampoline_kernelINS0_14default_configENS1_38merge_sort_block_merge_config_selectorIlNS0_10empty_typeEEEZZNS1_27merge_sort_block_merge_implIS3_PlPS5_mZN2at6native12_GLOBAL__N_124unique_dim_cuda_templateIhEESt5tupleIJNSA_6TensorESF_SF_EERKSF_lbbbEUlllE_EE10hipError_tT0_T1_T2_jT3_P12ihipStream_tbPNSt15iterator_traitsISL_E10value_typeEPNSR_ISM_E10value_typeEPSN_NS1_7vsmem_tEENKUlT_SL_SM_SN_E_clIS8_S8_S9_S9_EESK_S10_SL_SM_SN_EUlS10_E0_NS1_11comp_targetILNS1_3genE3ELNS1_11target_archE908ELNS1_3gpuE7ELNS1_3repE0EEENS1_38merge_mergepath_config_static_selectorELNS0_4arch9wavefront6targetE0EEEvSM_.has_dyn_sized_stack, 0
	.set _ZN7rocprim17ROCPRIM_400000_NS6detail17trampoline_kernelINS0_14default_configENS1_38merge_sort_block_merge_config_selectorIlNS0_10empty_typeEEEZZNS1_27merge_sort_block_merge_implIS3_PlPS5_mZN2at6native12_GLOBAL__N_124unique_dim_cuda_templateIhEESt5tupleIJNSA_6TensorESF_SF_EERKSF_lbbbEUlllE_EE10hipError_tT0_T1_T2_jT3_P12ihipStream_tbPNSt15iterator_traitsISL_E10value_typeEPNSR_ISM_E10value_typeEPSN_NS1_7vsmem_tEENKUlT_SL_SM_SN_E_clIS8_S8_S9_S9_EESK_S10_SL_SM_SN_EUlS10_E0_NS1_11comp_targetILNS1_3genE3ELNS1_11target_archE908ELNS1_3gpuE7ELNS1_3repE0EEENS1_38merge_mergepath_config_static_selectorELNS0_4arch9wavefront6targetE0EEEvSM_.has_recursion, 0
	.set _ZN7rocprim17ROCPRIM_400000_NS6detail17trampoline_kernelINS0_14default_configENS1_38merge_sort_block_merge_config_selectorIlNS0_10empty_typeEEEZZNS1_27merge_sort_block_merge_implIS3_PlPS5_mZN2at6native12_GLOBAL__N_124unique_dim_cuda_templateIhEESt5tupleIJNSA_6TensorESF_SF_EERKSF_lbbbEUlllE_EE10hipError_tT0_T1_T2_jT3_P12ihipStream_tbPNSt15iterator_traitsISL_E10value_typeEPNSR_ISM_E10value_typeEPSN_NS1_7vsmem_tEENKUlT_SL_SM_SN_E_clIS8_S8_S9_S9_EESK_S10_SL_SM_SN_EUlS10_E0_NS1_11comp_targetILNS1_3genE3ELNS1_11target_archE908ELNS1_3gpuE7ELNS1_3repE0EEENS1_38merge_mergepath_config_static_selectorELNS0_4arch9wavefront6targetE0EEEvSM_.has_indirect_call, 0
	.section	.AMDGPU.csdata,"",@progbits
; Kernel info:
; codeLenInByte = 0
; TotalNumSgprs: 0
; NumVgprs: 0
; ScratchSize: 0
; MemoryBound: 0
; FloatMode: 240
; IeeeMode: 1
; LDSByteSize: 0 bytes/workgroup (compile time only)
; SGPRBlocks: 0
; VGPRBlocks: 0
; NumSGPRsForWavesPerEU: 1
; NumVGPRsForWavesPerEU: 1
; NamedBarCnt: 0
; Occupancy: 16
; WaveLimiterHint : 0
; COMPUTE_PGM_RSRC2:SCRATCH_EN: 0
; COMPUTE_PGM_RSRC2:USER_SGPR: 2
; COMPUTE_PGM_RSRC2:TRAP_HANDLER: 0
; COMPUTE_PGM_RSRC2:TGID_X_EN: 1
; COMPUTE_PGM_RSRC2:TGID_Y_EN: 0
; COMPUTE_PGM_RSRC2:TGID_Z_EN: 0
; COMPUTE_PGM_RSRC2:TIDIG_COMP_CNT: 0
	.section	.text._ZN7rocprim17ROCPRIM_400000_NS6detail17trampoline_kernelINS0_14default_configENS1_38merge_sort_block_merge_config_selectorIlNS0_10empty_typeEEEZZNS1_27merge_sort_block_merge_implIS3_PlPS5_mZN2at6native12_GLOBAL__N_124unique_dim_cuda_templateIhEESt5tupleIJNSA_6TensorESF_SF_EERKSF_lbbbEUlllE_EE10hipError_tT0_T1_T2_jT3_P12ihipStream_tbPNSt15iterator_traitsISL_E10value_typeEPNSR_ISM_E10value_typeEPSN_NS1_7vsmem_tEENKUlT_SL_SM_SN_E_clIS8_S8_S9_S9_EESK_S10_SL_SM_SN_EUlS10_E0_NS1_11comp_targetILNS1_3genE2ELNS1_11target_archE906ELNS1_3gpuE6ELNS1_3repE0EEENS1_38merge_mergepath_config_static_selectorELNS0_4arch9wavefront6targetE0EEEvSM_,"axG",@progbits,_ZN7rocprim17ROCPRIM_400000_NS6detail17trampoline_kernelINS0_14default_configENS1_38merge_sort_block_merge_config_selectorIlNS0_10empty_typeEEEZZNS1_27merge_sort_block_merge_implIS3_PlPS5_mZN2at6native12_GLOBAL__N_124unique_dim_cuda_templateIhEESt5tupleIJNSA_6TensorESF_SF_EERKSF_lbbbEUlllE_EE10hipError_tT0_T1_T2_jT3_P12ihipStream_tbPNSt15iterator_traitsISL_E10value_typeEPNSR_ISM_E10value_typeEPSN_NS1_7vsmem_tEENKUlT_SL_SM_SN_E_clIS8_S8_S9_S9_EESK_S10_SL_SM_SN_EUlS10_E0_NS1_11comp_targetILNS1_3genE2ELNS1_11target_archE906ELNS1_3gpuE6ELNS1_3repE0EEENS1_38merge_mergepath_config_static_selectorELNS0_4arch9wavefront6targetE0EEEvSM_,comdat
	.globl	_ZN7rocprim17ROCPRIM_400000_NS6detail17trampoline_kernelINS0_14default_configENS1_38merge_sort_block_merge_config_selectorIlNS0_10empty_typeEEEZZNS1_27merge_sort_block_merge_implIS3_PlPS5_mZN2at6native12_GLOBAL__N_124unique_dim_cuda_templateIhEESt5tupleIJNSA_6TensorESF_SF_EERKSF_lbbbEUlllE_EE10hipError_tT0_T1_T2_jT3_P12ihipStream_tbPNSt15iterator_traitsISL_E10value_typeEPNSR_ISM_E10value_typeEPSN_NS1_7vsmem_tEENKUlT_SL_SM_SN_E_clIS8_S8_S9_S9_EESK_S10_SL_SM_SN_EUlS10_E0_NS1_11comp_targetILNS1_3genE2ELNS1_11target_archE906ELNS1_3gpuE6ELNS1_3repE0EEENS1_38merge_mergepath_config_static_selectorELNS0_4arch9wavefront6targetE0EEEvSM_ ; -- Begin function _ZN7rocprim17ROCPRIM_400000_NS6detail17trampoline_kernelINS0_14default_configENS1_38merge_sort_block_merge_config_selectorIlNS0_10empty_typeEEEZZNS1_27merge_sort_block_merge_implIS3_PlPS5_mZN2at6native12_GLOBAL__N_124unique_dim_cuda_templateIhEESt5tupleIJNSA_6TensorESF_SF_EERKSF_lbbbEUlllE_EE10hipError_tT0_T1_T2_jT3_P12ihipStream_tbPNSt15iterator_traitsISL_E10value_typeEPNSR_ISM_E10value_typeEPSN_NS1_7vsmem_tEENKUlT_SL_SM_SN_E_clIS8_S8_S9_S9_EESK_S10_SL_SM_SN_EUlS10_E0_NS1_11comp_targetILNS1_3genE2ELNS1_11target_archE906ELNS1_3gpuE6ELNS1_3repE0EEENS1_38merge_mergepath_config_static_selectorELNS0_4arch9wavefront6targetE0EEEvSM_
	.p2align	8
	.type	_ZN7rocprim17ROCPRIM_400000_NS6detail17trampoline_kernelINS0_14default_configENS1_38merge_sort_block_merge_config_selectorIlNS0_10empty_typeEEEZZNS1_27merge_sort_block_merge_implIS3_PlPS5_mZN2at6native12_GLOBAL__N_124unique_dim_cuda_templateIhEESt5tupleIJNSA_6TensorESF_SF_EERKSF_lbbbEUlllE_EE10hipError_tT0_T1_T2_jT3_P12ihipStream_tbPNSt15iterator_traitsISL_E10value_typeEPNSR_ISM_E10value_typeEPSN_NS1_7vsmem_tEENKUlT_SL_SM_SN_E_clIS8_S8_S9_S9_EESK_S10_SL_SM_SN_EUlS10_E0_NS1_11comp_targetILNS1_3genE2ELNS1_11target_archE906ELNS1_3gpuE6ELNS1_3repE0EEENS1_38merge_mergepath_config_static_selectorELNS0_4arch9wavefront6targetE0EEEvSM_,@function
_ZN7rocprim17ROCPRIM_400000_NS6detail17trampoline_kernelINS0_14default_configENS1_38merge_sort_block_merge_config_selectorIlNS0_10empty_typeEEEZZNS1_27merge_sort_block_merge_implIS3_PlPS5_mZN2at6native12_GLOBAL__N_124unique_dim_cuda_templateIhEESt5tupleIJNSA_6TensorESF_SF_EERKSF_lbbbEUlllE_EE10hipError_tT0_T1_T2_jT3_P12ihipStream_tbPNSt15iterator_traitsISL_E10value_typeEPNSR_ISM_E10value_typeEPSN_NS1_7vsmem_tEENKUlT_SL_SM_SN_E_clIS8_S8_S9_S9_EESK_S10_SL_SM_SN_EUlS10_E0_NS1_11comp_targetILNS1_3genE2ELNS1_11target_archE906ELNS1_3gpuE6ELNS1_3repE0EEENS1_38merge_mergepath_config_static_selectorELNS0_4arch9wavefront6targetE0EEEvSM_: ; @_ZN7rocprim17ROCPRIM_400000_NS6detail17trampoline_kernelINS0_14default_configENS1_38merge_sort_block_merge_config_selectorIlNS0_10empty_typeEEEZZNS1_27merge_sort_block_merge_implIS3_PlPS5_mZN2at6native12_GLOBAL__N_124unique_dim_cuda_templateIhEESt5tupleIJNSA_6TensorESF_SF_EERKSF_lbbbEUlllE_EE10hipError_tT0_T1_T2_jT3_P12ihipStream_tbPNSt15iterator_traitsISL_E10value_typeEPNSR_ISM_E10value_typeEPSN_NS1_7vsmem_tEENKUlT_SL_SM_SN_E_clIS8_S8_S9_S9_EESK_S10_SL_SM_SN_EUlS10_E0_NS1_11comp_targetILNS1_3genE2ELNS1_11target_archE906ELNS1_3gpuE6ELNS1_3repE0EEENS1_38merge_mergepath_config_static_selectorELNS0_4arch9wavefront6targetE0EEEvSM_
; %bb.0:
	.section	.rodata,"a",@progbits
	.p2align	6, 0x0
	.amdhsa_kernel _ZN7rocprim17ROCPRIM_400000_NS6detail17trampoline_kernelINS0_14default_configENS1_38merge_sort_block_merge_config_selectorIlNS0_10empty_typeEEEZZNS1_27merge_sort_block_merge_implIS3_PlPS5_mZN2at6native12_GLOBAL__N_124unique_dim_cuda_templateIhEESt5tupleIJNSA_6TensorESF_SF_EERKSF_lbbbEUlllE_EE10hipError_tT0_T1_T2_jT3_P12ihipStream_tbPNSt15iterator_traitsISL_E10value_typeEPNSR_ISM_E10value_typeEPSN_NS1_7vsmem_tEENKUlT_SL_SM_SN_E_clIS8_S8_S9_S9_EESK_S10_SL_SM_SN_EUlS10_E0_NS1_11comp_targetILNS1_3genE2ELNS1_11target_archE906ELNS1_3gpuE6ELNS1_3repE0EEENS1_38merge_mergepath_config_static_selectorELNS0_4arch9wavefront6targetE0EEEvSM_
		.amdhsa_group_segment_fixed_size 0
		.amdhsa_private_segment_fixed_size 0
		.amdhsa_kernarg_size 88
		.amdhsa_user_sgpr_count 2
		.amdhsa_user_sgpr_dispatch_ptr 0
		.amdhsa_user_sgpr_queue_ptr 0
		.amdhsa_user_sgpr_kernarg_segment_ptr 1
		.amdhsa_user_sgpr_dispatch_id 0
		.amdhsa_user_sgpr_kernarg_preload_length 0
		.amdhsa_user_sgpr_kernarg_preload_offset 0
		.amdhsa_user_sgpr_private_segment_size 0
		.amdhsa_wavefront_size32 1
		.amdhsa_uses_dynamic_stack 0
		.amdhsa_enable_private_segment 0
		.amdhsa_system_sgpr_workgroup_id_x 1
		.amdhsa_system_sgpr_workgroup_id_y 0
		.amdhsa_system_sgpr_workgroup_id_z 0
		.amdhsa_system_sgpr_workgroup_info 0
		.amdhsa_system_vgpr_workitem_id 0
		.amdhsa_next_free_vgpr 1
		.amdhsa_next_free_sgpr 1
		.amdhsa_named_barrier_count 0
		.amdhsa_reserve_vcc 0
		.amdhsa_float_round_mode_32 0
		.amdhsa_float_round_mode_16_64 0
		.amdhsa_float_denorm_mode_32 3
		.amdhsa_float_denorm_mode_16_64 3
		.amdhsa_fp16_overflow 0
		.amdhsa_memory_ordered 1
		.amdhsa_forward_progress 1
		.amdhsa_inst_pref_size 0
		.amdhsa_round_robin_scheduling 0
		.amdhsa_exception_fp_ieee_invalid_op 0
		.amdhsa_exception_fp_denorm_src 0
		.amdhsa_exception_fp_ieee_div_zero 0
		.amdhsa_exception_fp_ieee_overflow 0
		.amdhsa_exception_fp_ieee_underflow 0
		.amdhsa_exception_fp_ieee_inexact 0
		.amdhsa_exception_int_div_zero 0
	.end_amdhsa_kernel
	.section	.text._ZN7rocprim17ROCPRIM_400000_NS6detail17trampoline_kernelINS0_14default_configENS1_38merge_sort_block_merge_config_selectorIlNS0_10empty_typeEEEZZNS1_27merge_sort_block_merge_implIS3_PlPS5_mZN2at6native12_GLOBAL__N_124unique_dim_cuda_templateIhEESt5tupleIJNSA_6TensorESF_SF_EERKSF_lbbbEUlllE_EE10hipError_tT0_T1_T2_jT3_P12ihipStream_tbPNSt15iterator_traitsISL_E10value_typeEPNSR_ISM_E10value_typeEPSN_NS1_7vsmem_tEENKUlT_SL_SM_SN_E_clIS8_S8_S9_S9_EESK_S10_SL_SM_SN_EUlS10_E0_NS1_11comp_targetILNS1_3genE2ELNS1_11target_archE906ELNS1_3gpuE6ELNS1_3repE0EEENS1_38merge_mergepath_config_static_selectorELNS0_4arch9wavefront6targetE0EEEvSM_,"axG",@progbits,_ZN7rocprim17ROCPRIM_400000_NS6detail17trampoline_kernelINS0_14default_configENS1_38merge_sort_block_merge_config_selectorIlNS0_10empty_typeEEEZZNS1_27merge_sort_block_merge_implIS3_PlPS5_mZN2at6native12_GLOBAL__N_124unique_dim_cuda_templateIhEESt5tupleIJNSA_6TensorESF_SF_EERKSF_lbbbEUlllE_EE10hipError_tT0_T1_T2_jT3_P12ihipStream_tbPNSt15iterator_traitsISL_E10value_typeEPNSR_ISM_E10value_typeEPSN_NS1_7vsmem_tEENKUlT_SL_SM_SN_E_clIS8_S8_S9_S9_EESK_S10_SL_SM_SN_EUlS10_E0_NS1_11comp_targetILNS1_3genE2ELNS1_11target_archE906ELNS1_3gpuE6ELNS1_3repE0EEENS1_38merge_mergepath_config_static_selectorELNS0_4arch9wavefront6targetE0EEEvSM_,comdat
.Lfunc_end31:
	.size	_ZN7rocprim17ROCPRIM_400000_NS6detail17trampoline_kernelINS0_14default_configENS1_38merge_sort_block_merge_config_selectorIlNS0_10empty_typeEEEZZNS1_27merge_sort_block_merge_implIS3_PlPS5_mZN2at6native12_GLOBAL__N_124unique_dim_cuda_templateIhEESt5tupleIJNSA_6TensorESF_SF_EERKSF_lbbbEUlllE_EE10hipError_tT0_T1_T2_jT3_P12ihipStream_tbPNSt15iterator_traitsISL_E10value_typeEPNSR_ISM_E10value_typeEPSN_NS1_7vsmem_tEENKUlT_SL_SM_SN_E_clIS8_S8_S9_S9_EESK_S10_SL_SM_SN_EUlS10_E0_NS1_11comp_targetILNS1_3genE2ELNS1_11target_archE906ELNS1_3gpuE6ELNS1_3repE0EEENS1_38merge_mergepath_config_static_selectorELNS0_4arch9wavefront6targetE0EEEvSM_, .Lfunc_end31-_ZN7rocprim17ROCPRIM_400000_NS6detail17trampoline_kernelINS0_14default_configENS1_38merge_sort_block_merge_config_selectorIlNS0_10empty_typeEEEZZNS1_27merge_sort_block_merge_implIS3_PlPS5_mZN2at6native12_GLOBAL__N_124unique_dim_cuda_templateIhEESt5tupleIJNSA_6TensorESF_SF_EERKSF_lbbbEUlllE_EE10hipError_tT0_T1_T2_jT3_P12ihipStream_tbPNSt15iterator_traitsISL_E10value_typeEPNSR_ISM_E10value_typeEPSN_NS1_7vsmem_tEENKUlT_SL_SM_SN_E_clIS8_S8_S9_S9_EESK_S10_SL_SM_SN_EUlS10_E0_NS1_11comp_targetILNS1_3genE2ELNS1_11target_archE906ELNS1_3gpuE6ELNS1_3repE0EEENS1_38merge_mergepath_config_static_selectorELNS0_4arch9wavefront6targetE0EEEvSM_
                                        ; -- End function
	.set _ZN7rocprim17ROCPRIM_400000_NS6detail17trampoline_kernelINS0_14default_configENS1_38merge_sort_block_merge_config_selectorIlNS0_10empty_typeEEEZZNS1_27merge_sort_block_merge_implIS3_PlPS5_mZN2at6native12_GLOBAL__N_124unique_dim_cuda_templateIhEESt5tupleIJNSA_6TensorESF_SF_EERKSF_lbbbEUlllE_EE10hipError_tT0_T1_T2_jT3_P12ihipStream_tbPNSt15iterator_traitsISL_E10value_typeEPNSR_ISM_E10value_typeEPSN_NS1_7vsmem_tEENKUlT_SL_SM_SN_E_clIS8_S8_S9_S9_EESK_S10_SL_SM_SN_EUlS10_E0_NS1_11comp_targetILNS1_3genE2ELNS1_11target_archE906ELNS1_3gpuE6ELNS1_3repE0EEENS1_38merge_mergepath_config_static_selectorELNS0_4arch9wavefront6targetE0EEEvSM_.num_vgpr, 0
	.set _ZN7rocprim17ROCPRIM_400000_NS6detail17trampoline_kernelINS0_14default_configENS1_38merge_sort_block_merge_config_selectorIlNS0_10empty_typeEEEZZNS1_27merge_sort_block_merge_implIS3_PlPS5_mZN2at6native12_GLOBAL__N_124unique_dim_cuda_templateIhEESt5tupleIJNSA_6TensorESF_SF_EERKSF_lbbbEUlllE_EE10hipError_tT0_T1_T2_jT3_P12ihipStream_tbPNSt15iterator_traitsISL_E10value_typeEPNSR_ISM_E10value_typeEPSN_NS1_7vsmem_tEENKUlT_SL_SM_SN_E_clIS8_S8_S9_S9_EESK_S10_SL_SM_SN_EUlS10_E0_NS1_11comp_targetILNS1_3genE2ELNS1_11target_archE906ELNS1_3gpuE6ELNS1_3repE0EEENS1_38merge_mergepath_config_static_selectorELNS0_4arch9wavefront6targetE0EEEvSM_.num_agpr, 0
	.set _ZN7rocprim17ROCPRIM_400000_NS6detail17trampoline_kernelINS0_14default_configENS1_38merge_sort_block_merge_config_selectorIlNS0_10empty_typeEEEZZNS1_27merge_sort_block_merge_implIS3_PlPS5_mZN2at6native12_GLOBAL__N_124unique_dim_cuda_templateIhEESt5tupleIJNSA_6TensorESF_SF_EERKSF_lbbbEUlllE_EE10hipError_tT0_T1_T2_jT3_P12ihipStream_tbPNSt15iterator_traitsISL_E10value_typeEPNSR_ISM_E10value_typeEPSN_NS1_7vsmem_tEENKUlT_SL_SM_SN_E_clIS8_S8_S9_S9_EESK_S10_SL_SM_SN_EUlS10_E0_NS1_11comp_targetILNS1_3genE2ELNS1_11target_archE906ELNS1_3gpuE6ELNS1_3repE0EEENS1_38merge_mergepath_config_static_selectorELNS0_4arch9wavefront6targetE0EEEvSM_.numbered_sgpr, 0
	.set _ZN7rocprim17ROCPRIM_400000_NS6detail17trampoline_kernelINS0_14default_configENS1_38merge_sort_block_merge_config_selectorIlNS0_10empty_typeEEEZZNS1_27merge_sort_block_merge_implIS3_PlPS5_mZN2at6native12_GLOBAL__N_124unique_dim_cuda_templateIhEESt5tupleIJNSA_6TensorESF_SF_EERKSF_lbbbEUlllE_EE10hipError_tT0_T1_T2_jT3_P12ihipStream_tbPNSt15iterator_traitsISL_E10value_typeEPNSR_ISM_E10value_typeEPSN_NS1_7vsmem_tEENKUlT_SL_SM_SN_E_clIS8_S8_S9_S9_EESK_S10_SL_SM_SN_EUlS10_E0_NS1_11comp_targetILNS1_3genE2ELNS1_11target_archE906ELNS1_3gpuE6ELNS1_3repE0EEENS1_38merge_mergepath_config_static_selectorELNS0_4arch9wavefront6targetE0EEEvSM_.num_named_barrier, 0
	.set _ZN7rocprim17ROCPRIM_400000_NS6detail17trampoline_kernelINS0_14default_configENS1_38merge_sort_block_merge_config_selectorIlNS0_10empty_typeEEEZZNS1_27merge_sort_block_merge_implIS3_PlPS5_mZN2at6native12_GLOBAL__N_124unique_dim_cuda_templateIhEESt5tupleIJNSA_6TensorESF_SF_EERKSF_lbbbEUlllE_EE10hipError_tT0_T1_T2_jT3_P12ihipStream_tbPNSt15iterator_traitsISL_E10value_typeEPNSR_ISM_E10value_typeEPSN_NS1_7vsmem_tEENKUlT_SL_SM_SN_E_clIS8_S8_S9_S9_EESK_S10_SL_SM_SN_EUlS10_E0_NS1_11comp_targetILNS1_3genE2ELNS1_11target_archE906ELNS1_3gpuE6ELNS1_3repE0EEENS1_38merge_mergepath_config_static_selectorELNS0_4arch9wavefront6targetE0EEEvSM_.private_seg_size, 0
	.set _ZN7rocprim17ROCPRIM_400000_NS6detail17trampoline_kernelINS0_14default_configENS1_38merge_sort_block_merge_config_selectorIlNS0_10empty_typeEEEZZNS1_27merge_sort_block_merge_implIS3_PlPS5_mZN2at6native12_GLOBAL__N_124unique_dim_cuda_templateIhEESt5tupleIJNSA_6TensorESF_SF_EERKSF_lbbbEUlllE_EE10hipError_tT0_T1_T2_jT3_P12ihipStream_tbPNSt15iterator_traitsISL_E10value_typeEPNSR_ISM_E10value_typeEPSN_NS1_7vsmem_tEENKUlT_SL_SM_SN_E_clIS8_S8_S9_S9_EESK_S10_SL_SM_SN_EUlS10_E0_NS1_11comp_targetILNS1_3genE2ELNS1_11target_archE906ELNS1_3gpuE6ELNS1_3repE0EEENS1_38merge_mergepath_config_static_selectorELNS0_4arch9wavefront6targetE0EEEvSM_.uses_vcc, 0
	.set _ZN7rocprim17ROCPRIM_400000_NS6detail17trampoline_kernelINS0_14default_configENS1_38merge_sort_block_merge_config_selectorIlNS0_10empty_typeEEEZZNS1_27merge_sort_block_merge_implIS3_PlPS5_mZN2at6native12_GLOBAL__N_124unique_dim_cuda_templateIhEESt5tupleIJNSA_6TensorESF_SF_EERKSF_lbbbEUlllE_EE10hipError_tT0_T1_T2_jT3_P12ihipStream_tbPNSt15iterator_traitsISL_E10value_typeEPNSR_ISM_E10value_typeEPSN_NS1_7vsmem_tEENKUlT_SL_SM_SN_E_clIS8_S8_S9_S9_EESK_S10_SL_SM_SN_EUlS10_E0_NS1_11comp_targetILNS1_3genE2ELNS1_11target_archE906ELNS1_3gpuE6ELNS1_3repE0EEENS1_38merge_mergepath_config_static_selectorELNS0_4arch9wavefront6targetE0EEEvSM_.uses_flat_scratch, 0
	.set _ZN7rocprim17ROCPRIM_400000_NS6detail17trampoline_kernelINS0_14default_configENS1_38merge_sort_block_merge_config_selectorIlNS0_10empty_typeEEEZZNS1_27merge_sort_block_merge_implIS3_PlPS5_mZN2at6native12_GLOBAL__N_124unique_dim_cuda_templateIhEESt5tupleIJNSA_6TensorESF_SF_EERKSF_lbbbEUlllE_EE10hipError_tT0_T1_T2_jT3_P12ihipStream_tbPNSt15iterator_traitsISL_E10value_typeEPNSR_ISM_E10value_typeEPSN_NS1_7vsmem_tEENKUlT_SL_SM_SN_E_clIS8_S8_S9_S9_EESK_S10_SL_SM_SN_EUlS10_E0_NS1_11comp_targetILNS1_3genE2ELNS1_11target_archE906ELNS1_3gpuE6ELNS1_3repE0EEENS1_38merge_mergepath_config_static_selectorELNS0_4arch9wavefront6targetE0EEEvSM_.has_dyn_sized_stack, 0
	.set _ZN7rocprim17ROCPRIM_400000_NS6detail17trampoline_kernelINS0_14default_configENS1_38merge_sort_block_merge_config_selectorIlNS0_10empty_typeEEEZZNS1_27merge_sort_block_merge_implIS3_PlPS5_mZN2at6native12_GLOBAL__N_124unique_dim_cuda_templateIhEESt5tupleIJNSA_6TensorESF_SF_EERKSF_lbbbEUlllE_EE10hipError_tT0_T1_T2_jT3_P12ihipStream_tbPNSt15iterator_traitsISL_E10value_typeEPNSR_ISM_E10value_typeEPSN_NS1_7vsmem_tEENKUlT_SL_SM_SN_E_clIS8_S8_S9_S9_EESK_S10_SL_SM_SN_EUlS10_E0_NS1_11comp_targetILNS1_3genE2ELNS1_11target_archE906ELNS1_3gpuE6ELNS1_3repE0EEENS1_38merge_mergepath_config_static_selectorELNS0_4arch9wavefront6targetE0EEEvSM_.has_recursion, 0
	.set _ZN7rocprim17ROCPRIM_400000_NS6detail17trampoline_kernelINS0_14default_configENS1_38merge_sort_block_merge_config_selectorIlNS0_10empty_typeEEEZZNS1_27merge_sort_block_merge_implIS3_PlPS5_mZN2at6native12_GLOBAL__N_124unique_dim_cuda_templateIhEESt5tupleIJNSA_6TensorESF_SF_EERKSF_lbbbEUlllE_EE10hipError_tT0_T1_T2_jT3_P12ihipStream_tbPNSt15iterator_traitsISL_E10value_typeEPNSR_ISM_E10value_typeEPSN_NS1_7vsmem_tEENKUlT_SL_SM_SN_E_clIS8_S8_S9_S9_EESK_S10_SL_SM_SN_EUlS10_E0_NS1_11comp_targetILNS1_3genE2ELNS1_11target_archE906ELNS1_3gpuE6ELNS1_3repE0EEENS1_38merge_mergepath_config_static_selectorELNS0_4arch9wavefront6targetE0EEEvSM_.has_indirect_call, 0
	.section	.AMDGPU.csdata,"",@progbits
; Kernel info:
; codeLenInByte = 0
; TotalNumSgprs: 0
; NumVgprs: 0
; ScratchSize: 0
; MemoryBound: 0
; FloatMode: 240
; IeeeMode: 1
; LDSByteSize: 0 bytes/workgroup (compile time only)
; SGPRBlocks: 0
; VGPRBlocks: 0
; NumSGPRsForWavesPerEU: 1
; NumVGPRsForWavesPerEU: 1
; NamedBarCnt: 0
; Occupancy: 16
; WaveLimiterHint : 0
; COMPUTE_PGM_RSRC2:SCRATCH_EN: 0
; COMPUTE_PGM_RSRC2:USER_SGPR: 2
; COMPUTE_PGM_RSRC2:TRAP_HANDLER: 0
; COMPUTE_PGM_RSRC2:TGID_X_EN: 1
; COMPUTE_PGM_RSRC2:TGID_Y_EN: 0
; COMPUTE_PGM_RSRC2:TGID_Z_EN: 0
; COMPUTE_PGM_RSRC2:TIDIG_COMP_CNT: 0
	.section	.text._ZN7rocprim17ROCPRIM_400000_NS6detail17trampoline_kernelINS0_14default_configENS1_38merge_sort_block_merge_config_selectorIlNS0_10empty_typeEEEZZNS1_27merge_sort_block_merge_implIS3_PlPS5_mZN2at6native12_GLOBAL__N_124unique_dim_cuda_templateIhEESt5tupleIJNSA_6TensorESF_SF_EERKSF_lbbbEUlllE_EE10hipError_tT0_T1_T2_jT3_P12ihipStream_tbPNSt15iterator_traitsISL_E10value_typeEPNSR_ISM_E10value_typeEPSN_NS1_7vsmem_tEENKUlT_SL_SM_SN_E_clIS8_S8_S9_S9_EESK_S10_SL_SM_SN_EUlS10_E0_NS1_11comp_targetILNS1_3genE9ELNS1_11target_archE1100ELNS1_3gpuE3ELNS1_3repE0EEENS1_38merge_mergepath_config_static_selectorELNS0_4arch9wavefront6targetE0EEEvSM_,"axG",@progbits,_ZN7rocprim17ROCPRIM_400000_NS6detail17trampoline_kernelINS0_14default_configENS1_38merge_sort_block_merge_config_selectorIlNS0_10empty_typeEEEZZNS1_27merge_sort_block_merge_implIS3_PlPS5_mZN2at6native12_GLOBAL__N_124unique_dim_cuda_templateIhEESt5tupleIJNSA_6TensorESF_SF_EERKSF_lbbbEUlllE_EE10hipError_tT0_T1_T2_jT3_P12ihipStream_tbPNSt15iterator_traitsISL_E10value_typeEPNSR_ISM_E10value_typeEPSN_NS1_7vsmem_tEENKUlT_SL_SM_SN_E_clIS8_S8_S9_S9_EESK_S10_SL_SM_SN_EUlS10_E0_NS1_11comp_targetILNS1_3genE9ELNS1_11target_archE1100ELNS1_3gpuE3ELNS1_3repE0EEENS1_38merge_mergepath_config_static_selectorELNS0_4arch9wavefront6targetE0EEEvSM_,comdat
	.globl	_ZN7rocprim17ROCPRIM_400000_NS6detail17trampoline_kernelINS0_14default_configENS1_38merge_sort_block_merge_config_selectorIlNS0_10empty_typeEEEZZNS1_27merge_sort_block_merge_implIS3_PlPS5_mZN2at6native12_GLOBAL__N_124unique_dim_cuda_templateIhEESt5tupleIJNSA_6TensorESF_SF_EERKSF_lbbbEUlllE_EE10hipError_tT0_T1_T2_jT3_P12ihipStream_tbPNSt15iterator_traitsISL_E10value_typeEPNSR_ISM_E10value_typeEPSN_NS1_7vsmem_tEENKUlT_SL_SM_SN_E_clIS8_S8_S9_S9_EESK_S10_SL_SM_SN_EUlS10_E0_NS1_11comp_targetILNS1_3genE9ELNS1_11target_archE1100ELNS1_3gpuE3ELNS1_3repE0EEENS1_38merge_mergepath_config_static_selectorELNS0_4arch9wavefront6targetE0EEEvSM_ ; -- Begin function _ZN7rocprim17ROCPRIM_400000_NS6detail17trampoline_kernelINS0_14default_configENS1_38merge_sort_block_merge_config_selectorIlNS0_10empty_typeEEEZZNS1_27merge_sort_block_merge_implIS3_PlPS5_mZN2at6native12_GLOBAL__N_124unique_dim_cuda_templateIhEESt5tupleIJNSA_6TensorESF_SF_EERKSF_lbbbEUlllE_EE10hipError_tT0_T1_T2_jT3_P12ihipStream_tbPNSt15iterator_traitsISL_E10value_typeEPNSR_ISM_E10value_typeEPSN_NS1_7vsmem_tEENKUlT_SL_SM_SN_E_clIS8_S8_S9_S9_EESK_S10_SL_SM_SN_EUlS10_E0_NS1_11comp_targetILNS1_3genE9ELNS1_11target_archE1100ELNS1_3gpuE3ELNS1_3repE0EEENS1_38merge_mergepath_config_static_selectorELNS0_4arch9wavefront6targetE0EEEvSM_
	.p2align	8
	.type	_ZN7rocprim17ROCPRIM_400000_NS6detail17trampoline_kernelINS0_14default_configENS1_38merge_sort_block_merge_config_selectorIlNS0_10empty_typeEEEZZNS1_27merge_sort_block_merge_implIS3_PlPS5_mZN2at6native12_GLOBAL__N_124unique_dim_cuda_templateIhEESt5tupleIJNSA_6TensorESF_SF_EERKSF_lbbbEUlllE_EE10hipError_tT0_T1_T2_jT3_P12ihipStream_tbPNSt15iterator_traitsISL_E10value_typeEPNSR_ISM_E10value_typeEPSN_NS1_7vsmem_tEENKUlT_SL_SM_SN_E_clIS8_S8_S9_S9_EESK_S10_SL_SM_SN_EUlS10_E0_NS1_11comp_targetILNS1_3genE9ELNS1_11target_archE1100ELNS1_3gpuE3ELNS1_3repE0EEENS1_38merge_mergepath_config_static_selectorELNS0_4arch9wavefront6targetE0EEEvSM_,@function
_ZN7rocprim17ROCPRIM_400000_NS6detail17trampoline_kernelINS0_14default_configENS1_38merge_sort_block_merge_config_selectorIlNS0_10empty_typeEEEZZNS1_27merge_sort_block_merge_implIS3_PlPS5_mZN2at6native12_GLOBAL__N_124unique_dim_cuda_templateIhEESt5tupleIJNSA_6TensorESF_SF_EERKSF_lbbbEUlllE_EE10hipError_tT0_T1_T2_jT3_P12ihipStream_tbPNSt15iterator_traitsISL_E10value_typeEPNSR_ISM_E10value_typeEPSN_NS1_7vsmem_tEENKUlT_SL_SM_SN_E_clIS8_S8_S9_S9_EESK_S10_SL_SM_SN_EUlS10_E0_NS1_11comp_targetILNS1_3genE9ELNS1_11target_archE1100ELNS1_3gpuE3ELNS1_3repE0EEENS1_38merge_mergepath_config_static_selectorELNS0_4arch9wavefront6targetE0EEEvSM_: ; @_ZN7rocprim17ROCPRIM_400000_NS6detail17trampoline_kernelINS0_14default_configENS1_38merge_sort_block_merge_config_selectorIlNS0_10empty_typeEEEZZNS1_27merge_sort_block_merge_implIS3_PlPS5_mZN2at6native12_GLOBAL__N_124unique_dim_cuda_templateIhEESt5tupleIJNSA_6TensorESF_SF_EERKSF_lbbbEUlllE_EE10hipError_tT0_T1_T2_jT3_P12ihipStream_tbPNSt15iterator_traitsISL_E10value_typeEPNSR_ISM_E10value_typeEPSN_NS1_7vsmem_tEENKUlT_SL_SM_SN_E_clIS8_S8_S9_S9_EESK_S10_SL_SM_SN_EUlS10_E0_NS1_11comp_targetILNS1_3genE9ELNS1_11target_archE1100ELNS1_3gpuE3ELNS1_3repE0EEENS1_38merge_mergepath_config_static_selectorELNS0_4arch9wavefront6targetE0EEEvSM_
; %bb.0:
	.section	.rodata,"a",@progbits
	.p2align	6, 0x0
	.amdhsa_kernel _ZN7rocprim17ROCPRIM_400000_NS6detail17trampoline_kernelINS0_14default_configENS1_38merge_sort_block_merge_config_selectorIlNS0_10empty_typeEEEZZNS1_27merge_sort_block_merge_implIS3_PlPS5_mZN2at6native12_GLOBAL__N_124unique_dim_cuda_templateIhEESt5tupleIJNSA_6TensorESF_SF_EERKSF_lbbbEUlllE_EE10hipError_tT0_T1_T2_jT3_P12ihipStream_tbPNSt15iterator_traitsISL_E10value_typeEPNSR_ISM_E10value_typeEPSN_NS1_7vsmem_tEENKUlT_SL_SM_SN_E_clIS8_S8_S9_S9_EESK_S10_SL_SM_SN_EUlS10_E0_NS1_11comp_targetILNS1_3genE9ELNS1_11target_archE1100ELNS1_3gpuE3ELNS1_3repE0EEENS1_38merge_mergepath_config_static_selectorELNS0_4arch9wavefront6targetE0EEEvSM_
		.amdhsa_group_segment_fixed_size 0
		.amdhsa_private_segment_fixed_size 0
		.amdhsa_kernarg_size 88
		.amdhsa_user_sgpr_count 2
		.amdhsa_user_sgpr_dispatch_ptr 0
		.amdhsa_user_sgpr_queue_ptr 0
		.amdhsa_user_sgpr_kernarg_segment_ptr 1
		.amdhsa_user_sgpr_dispatch_id 0
		.amdhsa_user_sgpr_kernarg_preload_length 0
		.amdhsa_user_sgpr_kernarg_preload_offset 0
		.amdhsa_user_sgpr_private_segment_size 0
		.amdhsa_wavefront_size32 1
		.amdhsa_uses_dynamic_stack 0
		.amdhsa_enable_private_segment 0
		.amdhsa_system_sgpr_workgroup_id_x 1
		.amdhsa_system_sgpr_workgroup_id_y 0
		.amdhsa_system_sgpr_workgroup_id_z 0
		.amdhsa_system_sgpr_workgroup_info 0
		.amdhsa_system_vgpr_workitem_id 0
		.amdhsa_next_free_vgpr 1
		.amdhsa_next_free_sgpr 1
		.amdhsa_named_barrier_count 0
		.amdhsa_reserve_vcc 0
		.amdhsa_float_round_mode_32 0
		.amdhsa_float_round_mode_16_64 0
		.amdhsa_float_denorm_mode_32 3
		.amdhsa_float_denorm_mode_16_64 3
		.amdhsa_fp16_overflow 0
		.amdhsa_memory_ordered 1
		.amdhsa_forward_progress 1
		.amdhsa_inst_pref_size 0
		.amdhsa_round_robin_scheduling 0
		.amdhsa_exception_fp_ieee_invalid_op 0
		.amdhsa_exception_fp_denorm_src 0
		.amdhsa_exception_fp_ieee_div_zero 0
		.amdhsa_exception_fp_ieee_overflow 0
		.amdhsa_exception_fp_ieee_underflow 0
		.amdhsa_exception_fp_ieee_inexact 0
		.amdhsa_exception_int_div_zero 0
	.end_amdhsa_kernel
	.section	.text._ZN7rocprim17ROCPRIM_400000_NS6detail17trampoline_kernelINS0_14default_configENS1_38merge_sort_block_merge_config_selectorIlNS0_10empty_typeEEEZZNS1_27merge_sort_block_merge_implIS3_PlPS5_mZN2at6native12_GLOBAL__N_124unique_dim_cuda_templateIhEESt5tupleIJNSA_6TensorESF_SF_EERKSF_lbbbEUlllE_EE10hipError_tT0_T1_T2_jT3_P12ihipStream_tbPNSt15iterator_traitsISL_E10value_typeEPNSR_ISM_E10value_typeEPSN_NS1_7vsmem_tEENKUlT_SL_SM_SN_E_clIS8_S8_S9_S9_EESK_S10_SL_SM_SN_EUlS10_E0_NS1_11comp_targetILNS1_3genE9ELNS1_11target_archE1100ELNS1_3gpuE3ELNS1_3repE0EEENS1_38merge_mergepath_config_static_selectorELNS0_4arch9wavefront6targetE0EEEvSM_,"axG",@progbits,_ZN7rocprim17ROCPRIM_400000_NS6detail17trampoline_kernelINS0_14default_configENS1_38merge_sort_block_merge_config_selectorIlNS0_10empty_typeEEEZZNS1_27merge_sort_block_merge_implIS3_PlPS5_mZN2at6native12_GLOBAL__N_124unique_dim_cuda_templateIhEESt5tupleIJNSA_6TensorESF_SF_EERKSF_lbbbEUlllE_EE10hipError_tT0_T1_T2_jT3_P12ihipStream_tbPNSt15iterator_traitsISL_E10value_typeEPNSR_ISM_E10value_typeEPSN_NS1_7vsmem_tEENKUlT_SL_SM_SN_E_clIS8_S8_S9_S9_EESK_S10_SL_SM_SN_EUlS10_E0_NS1_11comp_targetILNS1_3genE9ELNS1_11target_archE1100ELNS1_3gpuE3ELNS1_3repE0EEENS1_38merge_mergepath_config_static_selectorELNS0_4arch9wavefront6targetE0EEEvSM_,comdat
.Lfunc_end32:
	.size	_ZN7rocprim17ROCPRIM_400000_NS6detail17trampoline_kernelINS0_14default_configENS1_38merge_sort_block_merge_config_selectorIlNS0_10empty_typeEEEZZNS1_27merge_sort_block_merge_implIS3_PlPS5_mZN2at6native12_GLOBAL__N_124unique_dim_cuda_templateIhEESt5tupleIJNSA_6TensorESF_SF_EERKSF_lbbbEUlllE_EE10hipError_tT0_T1_T2_jT3_P12ihipStream_tbPNSt15iterator_traitsISL_E10value_typeEPNSR_ISM_E10value_typeEPSN_NS1_7vsmem_tEENKUlT_SL_SM_SN_E_clIS8_S8_S9_S9_EESK_S10_SL_SM_SN_EUlS10_E0_NS1_11comp_targetILNS1_3genE9ELNS1_11target_archE1100ELNS1_3gpuE3ELNS1_3repE0EEENS1_38merge_mergepath_config_static_selectorELNS0_4arch9wavefront6targetE0EEEvSM_, .Lfunc_end32-_ZN7rocprim17ROCPRIM_400000_NS6detail17trampoline_kernelINS0_14default_configENS1_38merge_sort_block_merge_config_selectorIlNS0_10empty_typeEEEZZNS1_27merge_sort_block_merge_implIS3_PlPS5_mZN2at6native12_GLOBAL__N_124unique_dim_cuda_templateIhEESt5tupleIJNSA_6TensorESF_SF_EERKSF_lbbbEUlllE_EE10hipError_tT0_T1_T2_jT3_P12ihipStream_tbPNSt15iterator_traitsISL_E10value_typeEPNSR_ISM_E10value_typeEPSN_NS1_7vsmem_tEENKUlT_SL_SM_SN_E_clIS8_S8_S9_S9_EESK_S10_SL_SM_SN_EUlS10_E0_NS1_11comp_targetILNS1_3genE9ELNS1_11target_archE1100ELNS1_3gpuE3ELNS1_3repE0EEENS1_38merge_mergepath_config_static_selectorELNS0_4arch9wavefront6targetE0EEEvSM_
                                        ; -- End function
	.set _ZN7rocprim17ROCPRIM_400000_NS6detail17trampoline_kernelINS0_14default_configENS1_38merge_sort_block_merge_config_selectorIlNS0_10empty_typeEEEZZNS1_27merge_sort_block_merge_implIS3_PlPS5_mZN2at6native12_GLOBAL__N_124unique_dim_cuda_templateIhEESt5tupleIJNSA_6TensorESF_SF_EERKSF_lbbbEUlllE_EE10hipError_tT0_T1_T2_jT3_P12ihipStream_tbPNSt15iterator_traitsISL_E10value_typeEPNSR_ISM_E10value_typeEPSN_NS1_7vsmem_tEENKUlT_SL_SM_SN_E_clIS8_S8_S9_S9_EESK_S10_SL_SM_SN_EUlS10_E0_NS1_11comp_targetILNS1_3genE9ELNS1_11target_archE1100ELNS1_3gpuE3ELNS1_3repE0EEENS1_38merge_mergepath_config_static_selectorELNS0_4arch9wavefront6targetE0EEEvSM_.num_vgpr, 0
	.set _ZN7rocprim17ROCPRIM_400000_NS6detail17trampoline_kernelINS0_14default_configENS1_38merge_sort_block_merge_config_selectorIlNS0_10empty_typeEEEZZNS1_27merge_sort_block_merge_implIS3_PlPS5_mZN2at6native12_GLOBAL__N_124unique_dim_cuda_templateIhEESt5tupleIJNSA_6TensorESF_SF_EERKSF_lbbbEUlllE_EE10hipError_tT0_T1_T2_jT3_P12ihipStream_tbPNSt15iterator_traitsISL_E10value_typeEPNSR_ISM_E10value_typeEPSN_NS1_7vsmem_tEENKUlT_SL_SM_SN_E_clIS8_S8_S9_S9_EESK_S10_SL_SM_SN_EUlS10_E0_NS1_11comp_targetILNS1_3genE9ELNS1_11target_archE1100ELNS1_3gpuE3ELNS1_3repE0EEENS1_38merge_mergepath_config_static_selectorELNS0_4arch9wavefront6targetE0EEEvSM_.num_agpr, 0
	.set _ZN7rocprim17ROCPRIM_400000_NS6detail17trampoline_kernelINS0_14default_configENS1_38merge_sort_block_merge_config_selectorIlNS0_10empty_typeEEEZZNS1_27merge_sort_block_merge_implIS3_PlPS5_mZN2at6native12_GLOBAL__N_124unique_dim_cuda_templateIhEESt5tupleIJNSA_6TensorESF_SF_EERKSF_lbbbEUlllE_EE10hipError_tT0_T1_T2_jT3_P12ihipStream_tbPNSt15iterator_traitsISL_E10value_typeEPNSR_ISM_E10value_typeEPSN_NS1_7vsmem_tEENKUlT_SL_SM_SN_E_clIS8_S8_S9_S9_EESK_S10_SL_SM_SN_EUlS10_E0_NS1_11comp_targetILNS1_3genE9ELNS1_11target_archE1100ELNS1_3gpuE3ELNS1_3repE0EEENS1_38merge_mergepath_config_static_selectorELNS0_4arch9wavefront6targetE0EEEvSM_.numbered_sgpr, 0
	.set _ZN7rocprim17ROCPRIM_400000_NS6detail17trampoline_kernelINS0_14default_configENS1_38merge_sort_block_merge_config_selectorIlNS0_10empty_typeEEEZZNS1_27merge_sort_block_merge_implIS3_PlPS5_mZN2at6native12_GLOBAL__N_124unique_dim_cuda_templateIhEESt5tupleIJNSA_6TensorESF_SF_EERKSF_lbbbEUlllE_EE10hipError_tT0_T1_T2_jT3_P12ihipStream_tbPNSt15iterator_traitsISL_E10value_typeEPNSR_ISM_E10value_typeEPSN_NS1_7vsmem_tEENKUlT_SL_SM_SN_E_clIS8_S8_S9_S9_EESK_S10_SL_SM_SN_EUlS10_E0_NS1_11comp_targetILNS1_3genE9ELNS1_11target_archE1100ELNS1_3gpuE3ELNS1_3repE0EEENS1_38merge_mergepath_config_static_selectorELNS0_4arch9wavefront6targetE0EEEvSM_.num_named_barrier, 0
	.set _ZN7rocprim17ROCPRIM_400000_NS6detail17trampoline_kernelINS0_14default_configENS1_38merge_sort_block_merge_config_selectorIlNS0_10empty_typeEEEZZNS1_27merge_sort_block_merge_implIS3_PlPS5_mZN2at6native12_GLOBAL__N_124unique_dim_cuda_templateIhEESt5tupleIJNSA_6TensorESF_SF_EERKSF_lbbbEUlllE_EE10hipError_tT0_T1_T2_jT3_P12ihipStream_tbPNSt15iterator_traitsISL_E10value_typeEPNSR_ISM_E10value_typeEPSN_NS1_7vsmem_tEENKUlT_SL_SM_SN_E_clIS8_S8_S9_S9_EESK_S10_SL_SM_SN_EUlS10_E0_NS1_11comp_targetILNS1_3genE9ELNS1_11target_archE1100ELNS1_3gpuE3ELNS1_3repE0EEENS1_38merge_mergepath_config_static_selectorELNS0_4arch9wavefront6targetE0EEEvSM_.private_seg_size, 0
	.set _ZN7rocprim17ROCPRIM_400000_NS6detail17trampoline_kernelINS0_14default_configENS1_38merge_sort_block_merge_config_selectorIlNS0_10empty_typeEEEZZNS1_27merge_sort_block_merge_implIS3_PlPS5_mZN2at6native12_GLOBAL__N_124unique_dim_cuda_templateIhEESt5tupleIJNSA_6TensorESF_SF_EERKSF_lbbbEUlllE_EE10hipError_tT0_T1_T2_jT3_P12ihipStream_tbPNSt15iterator_traitsISL_E10value_typeEPNSR_ISM_E10value_typeEPSN_NS1_7vsmem_tEENKUlT_SL_SM_SN_E_clIS8_S8_S9_S9_EESK_S10_SL_SM_SN_EUlS10_E0_NS1_11comp_targetILNS1_3genE9ELNS1_11target_archE1100ELNS1_3gpuE3ELNS1_3repE0EEENS1_38merge_mergepath_config_static_selectorELNS0_4arch9wavefront6targetE0EEEvSM_.uses_vcc, 0
	.set _ZN7rocprim17ROCPRIM_400000_NS6detail17trampoline_kernelINS0_14default_configENS1_38merge_sort_block_merge_config_selectorIlNS0_10empty_typeEEEZZNS1_27merge_sort_block_merge_implIS3_PlPS5_mZN2at6native12_GLOBAL__N_124unique_dim_cuda_templateIhEESt5tupleIJNSA_6TensorESF_SF_EERKSF_lbbbEUlllE_EE10hipError_tT0_T1_T2_jT3_P12ihipStream_tbPNSt15iterator_traitsISL_E10value_typeEPNSR_ISM_E10value_typeEPSN_NS1_7vsmem_tEENKUlT_SL_SM_SN_E_clIS8_S8_S9_S9_EESK_S10_SL_SM_SN_EUlS10_E0_NS1_11comp_targetILNS1_3genE9ELNS1_11target_archE1100ELNS1_3gpuE3ELNS1_3repE0EEENS1_38merge_mergepath_config_static_selectorELNS0_4arch9wavefront6targetE0EEEvSM_.uses_flat_scratch, 0
	.set _ZN7rocprim17ROCPRIM_400000_NS6detail17trampoline_kernelINS0_14default_configENS1_38merge_sort_block_merge_config_selectorIlNS0_10empty_typeEEEZZNS1_27merge_sort_block_merge_implIS3_PlPS5_mZN2at6native12_GLOBAL__N_124unique_dim_cuda_templateIhEESt5tupleIJNSA_6TensorESF_SF_EERKSF_lbbbEUlllE_EE10hipError_tT0_T1_T2_jT3_P12ihipStream_tbPNSt15iterator_traitsISL_E10value_typeEPNSR_ISM_E10value_typeEPSN_NS1_7vsmem_tEENKUlT_SL_SM_SN_E_clIS8_S8_S9_S9_EESK_S10_SL_SM_SN_EUlS10_E0_NS1_11comp_targetILNS1_3genE9ELNS1_11target_archE1100ELNS1_3gpuE3ELNS1_3repE0EEENS1_38merge_mergepath_config_static_selectorELNS0_4arch9wavefront6targetE0EEEvSM_.has_dyn_sized_stack, 0
	.set _ZN7rocprim17ROCPRIM_400000_NS6detail17trampoline_kernelINS0_14default_configENS1_38merge_sort_block_merge_config_selectorIlNS0_10empty_typeEEEZZNS1_27merge_sort_block_merge_implIS3_PlPS5_mZN2at6native12_GLOBAL__N_124unique_dim_cuda_templateIhEESt5tupleIJNSA_6TensorESF_SF_EERKSF_lbbbEUlllE_EE10hipError_tT0_T1_T2_jT3_P12ihipStream_tbPNSt15iterator_traitsISL_E10value_typeEPNSR_ISM_E10value_typeEPSN_NS1_7vsmem_tEENKUlT_SL_SM_SN_E_clIS8_S8_S9_S9_EESK_S10_SL_SM_SN_EUlS10_E0_NS1_11comp_targetILNS1_3genE9ELNS1_11target_archE1100ELNS1_3gpuE3ELNS1_3repE0EEENS1_38merge_mergepath_config_static_selectorELNS0_4arch9wavefront6targetE0EEEvSM_.has_recursion, 0
	.set _ZN7rocprim17ROCPRIM_400000_NS6detail17trampoline_kernelINS0_14default_configENS1_38merge_sort_block_merge_config_selectorIlNS0_10empty_typeEEEZZNS1_27merge_sort_block_merge_implIS3_PlPS5_mZN2at6native12_GLOBAL__N_124unique_dim_cuda_templateIhEESt5tupleIJNSA_6TensorESF_SF_EERKSF_lbbbEUlllE_EE10hipError_tT0_T1_T2_jT3_P12ihipStream_tbPNSt15iterator_traitsISL_E10value_typeEPNSR_ISM_E10value_typeEPSN_NS1_7vsmem_tEENKUlT_SL_SM_SN_E_clIS8_S8_S9_S9_EESK_S10_SL_SM_SN_EUlS10_E0_NS1_11comp_targetILNS1_3genE9ELNS1_11target_archE1100ELNS1_3gpuE3ELNS1_3repE0EEENS1_38merge_mergepath_config_static_selectorELNS0_4arch9wavefront6targetE0EEEvSM_.has_indirect_call, 0
	.section	.AMDGPU.csdata,"",@progbits
; Kernel info:
; codeLenInByte = 0
; TotalNumSgprs: 0
; NumVgprs: 0
; ScratchSize: 0
; MemoryBound: 0
; FloatMode: 240
; IeeeMode: 1
; LDSByteSize: 0 bytes/workgroup (compile time only)
; SGPRBlocks: 0
; VGPRBlocks: 0
; NumSGPRsForWavesPerEU: 1
; NumVGPRsForWavesPerEU: 1
; NamedBarCnt: 0
; Occupancy: 16
; WaveLimiterHint : 0
; COMPUTE_PGM_RSRC2:SCRATCH_EN: 0
; COMPUTE_PGM_RSRC2:USER_SGPR: 2
; COMPUTE_PGM_RSRC2:TRAP_HANDLER: 0
; COMPUTE_PGM_RSRC2:TGID_X_EN: 1
; COMPUTE_PGM_RSRC2:TGID_Y_EN: 0
; COMPUTE_PGM_RSRC2:TGID_Z_EN: 0
; COMPUTE_PGM_RSRC2:TIDIG_COMP_CNT: 0
	.section	.text._ZN7rocprim17ROCPRIM_400000_NS6detail17trampoline_kernelINS0_14default_configENS1_38merge_sort_block_merge_config_selectorIlNS0_10empty_typeEEEZZNS1_27merge_sort_block_merge_implIS3_PlPS5_mZN2at6native12_GLOBAL__N_124unique_dim_cuda_templateIhEESt5tupleIJNSA_6TensorESF_SF_EERKSF_lbbbEUlllE_EE10hipError_tT0_T1_T2_jT3_P12ihipStream_tbPNSt15iterator_traitsISL_E10value_typeEPNSR_ISM_E10value_typeEPSN_NS1_7vsmem_tEENKUlT_SL_SM_SN_E_clIS8_S8_S9_S9_EESK_S10_SL_SM_SN_EUlS10_E0_NS1_11comp_targetILNS1_3genE8ELNS1_11target_archE1030ELNS1_3gpuE2ELNS1_3repE0EEENS1_38merge_mergepath_config_static_selectorELNS0_4arch9wavefront6targetE0EEEvSM_,"axG",@progbits,_ZN7rocprim17ROCPRIM_400000_NS6detail17trampoline_kernelINS0_14default_configENS1_38merge_sort_block_merge_config_selectorIlNS0_10empty_typeEEEZZNS1_27merge_sort_block_merge_implIS3_PlPS5_mZN2at6native12_GLOBAL__N_124unique_dim_cuda_templateIhEESt5tupleIJNSA_6TensorESF_SF_EERKSF_lbbbEUlllE_EE10hipError_tT0_T1_T2_jT3_P12ihipStream_tbPNSt15iterator_traitsISL_E10value_typeEPNSR_ISM_E10value_typeEPSN_NS1_7vsmem_tEENKUlT_SL_SM_SN_E_clIS8_S8_S9_S9_EESK_S10_SL_SM_SN_EUlS10_E0_NS1_11comp_targetILNS1_3genE8ELNS1_11target_archE1030ELNS1_3gpuE2ELNS1_3repE0EEENS1_38merge_mergepath_config_static_selectorELNS0_4arch9wavefront6targetE0EEEvSM_,comdat
	.globl	_ZN7rocprim17ROCPRIM_400000_NS6detail17trampoline_kernelINS0_14default_configENS1_38merge_sort_block_merge_config_selectorIlNS0_10empty_typeEEEZZNS1_27merge_sort_block_merge_implIS3_PlPS5_mZN2at6native12_GLOBAL__N_124unique_dim_cuda_templateIhEESt5tupleIJNSA_6TensorESF_SF_EERKSF_lbbbEUlllE_EE10hipError_tT0_T1_T2_jT3_P12ihipStream_tbPNSt15iterator_traitsISL_E10value_typeEPNSR_ISM_E10value_typeEPSN_NS1_7vsmem_tEENKUlT_SL_SM_SN_E_clIS8_S8_S9_S9_EESK_S10_SL_SM_SN_EUlS10_E0_NS1_11comp_targetILNS1_3genE8ELNS1_11target_archE1030ELNS1_3gpuE2ELNS1_3repE0EEENS1_38merge_mergepath_config_static_selectorELNS0_4arch9wavefront6targetE0EEEvSM_ ; -- Begin function _ZN7rocprim17ROCPRIM_400000_NS6detail17trampoline_kernelINS0_14default_configENS1_38merge_sort_block_merge_config_selectorIlNS0_10empty_typeEEEZZNS1_27merge_sort_block_merge_implIS3_PlPS5_mZN2at6native12_GLOBAL__N_124unique_dim_cuda_templateIhEESt5tupleIJNSA_6TensorESF_SF_EERKSF_lbbbEUlllE_EE10hipError_tT0_T1_T2_jT3_P12ihipStream_tbPNSt15iterator_traitsISL_E10value_typeEPNSR_ISM_E10value_typeEPSN_NS1_7vsmem_tEENKUlT_SL_SM_SN_E_clIS8_S8_S9_S9_EESK_S10_SL_SM_SN_EUlS10_E0_NS1_11comp_targetILNS1_3genE8ELNS1_11target_archE1030ELNS1_3gpuE2ELNS1_3repE0EEENS1_38merge_mergepath_config_static_selectorELNS0_4arch9wavefront6targetE0EEEvSM_
	.p2align	8
	.type	_ZN7rocprim17ROCPRIM_400000_NS6detail17trampoline_kernelINS0_14default_configENS1_38merge_sort_block_merge_config_selectorIlNS0_10empty_typeEEEZZNS1_27merge_sort_block_merge_implIS3_PlPS5_mZN2at6native12_GLOBAL__N_124unique_dim_cuda_templateIhEESt5tupleIJNSA_6TensorESF_SF_EERKSF_lbbbEUlllE_EE10hipError_tT0_T1_T2_jT3_P12ihipStream_tbPNSt15iterator_traitsISL_E10value_typeEPNSR_ISM_E10value_typeEPSN_NS1_7vsmem_tEENKUlT_SL_SM_SN_E_clIS8_S8_S9_S9_EESK_S10_SL_SM_SN_EUlS10_E0_NS1_11comp_targetILNS1_3genE8ELNS1_11target_archE1030ELNS1_3gpuE2ELNS1_3repE0EEENS1_38merge_mergepath_config_static_selectorELNS0_4arch9wavefront6targetE0EEEvSM_,@function
_ZN7rocprim17ROCPRIM_400000_NS6detail17trampoline_kernelINS0_14default_configENS1_38merge_sort_block_merge_config_selectorIlNS0_10empty_typeEEEZZNS1_27merge_sort_block_merge_implIS3_PlPS5_mZN2at6native12_GLOBAL__N_124unique_dim_cuda_templateIhEESt5tupleIJNSA_6TensorESF_SF_EERKSF_lbbbEUlllE_EE10hipError_tT0_T1_T2_jT3_P12ihipStream_tbPNSt15iterator_traitsISL_E10value_typeEPNSR_ISM_E10value_typeEPSN_NS1_7vsmem_tEENKUlT_SL_SM_SN_E_clIS8_S8_S9_S9_EESK_S10_SL_SM_SN_EUlS10_E0_NS1_11comp_targetILNS1_3genE8ELNS1_11target_archE1030ELNS1_3gpuE2ELNS1_3repE0EEENS1_38merge_mergepath_config_static_selectorELNS0_4arch9wavefront6targetE0EEEvSM_: ; @_ZN7rocprim17ROCPRIM_400000_NS6detail17trampoline_kernelINS0_14default_configENS1_38merge_sort_block_merge_config_selectorIlNS0_10empty_typeEEEZZNS1_27merge_sort_block_merge_implIS3_PlPS5_mZN2at6native12_GLOBAL__N_124unique_dim_cuda_templateIhEESt5tupleIJNSA_6TensorESF_SF_EERKSF_lbbbEUlllE_EE10hipError_tT0_T1_T2_jT3_P12ihipStream_tbPNSt15iterator_traitsISL_E10value_typeEPNSR_ISM_E10value_typeEPSN_NS1_7vsmem_tEENKUlT_SL_SM_SN_E_clIS8_S8_S9_S9_EESK_S10_SL_SM_SN_EUlS10_E0_NS1_11comp_targetILNS1_3genE8ELNS1_11target_archE1030ELNS1_3gpuE2ELNS1_3repE0EEENS1_38merge_mergepath_config_static_selectorELNS0_4arch9wavefront6targetE0EEEvSM_
; %bb.0:
	.section	.rodata,"a",@progbits
	.p2align	6, 0x0
	.amdhsa_kernel _ZN7rocprim17ROCPRIM_400000_NS6detail17trampoline_kernelINS0_14default_configENS1_38merge_sort_block_merge_config_selectorIlNS0_10empty_typeEEEZZNS1_27merge_sort_block_merge_implIS3_PlPS5_mZN2at6native12_GLOBAL__N_124unique_dim_cuda_templateIhEESt5tupleIJNSA_6TensorESF_SF_EERKSF_lbbbEUlllE_EE10hipError_tT0_T1_T2_jT3_P12ihipStream_tbPNSt15iterator_traitsISL_E10value_typeEPNSR_ISM_E10value_typeEPSN_NS1_7vsmem_tEENKUlT_SL_SM_SN_E_clIS8_S8_S9_S9_EESK_S10_SL_SM_SN_EUlS10_E0_NS1_11comp_targetILNS1_3genE8ELNS1_11target_archE1030ELNS1_3gpuE2ELNS1_3repE0EEENS1_38merge_mergepath_config_static_selectorELNS0_4arch9wavefront6targetE0EEEvSM_
		.amdhsa_group_segment_fixed_size 0
		.amdhsa_private_segment_fixed_size 0
		.amdhsa_kernarg_size 88
		.amdhsa_user_sgpr_count 2
		.amdhsa_user_sgpr_dispatch_ptr 0
		.amdhsa_user_sgpr_queue_ptr 0
		.amdhsa_user_sgpr_kernarg_segment_ptr 1
		.amdhsa_user_sgpr_dispatch_id 0
		.amdhsa_user_sgpr_kernarg_preload_length 0
		.amdhsa_user_sgpr_kernarg_preload_offset 0
		.amdhsa_user_sgpr_private_segment_size 0
		.amdhsa_wavefront_size32 1
		.amdhsa_uses_dynamic_stack 0
		.amdhsa_enable_private_segment 0
		.amdhsa_system_sgpr_workgroup_id_x 1
		.amdhsa_system_sgpr_workgroup_id_y 0
		.amdhsa_system_sgpr_workgroup_id_z 0
		.amdhsa_system_sgpr_workgroup_info 0
		.amdhsa_system_vgpr_workitem_id 0
		.amdhsa_next_free_vgpr 1
		.amdhsa_next_free_sgpr 1
		.amdhsa_named_barrier_count 0
		.amdhsa_reserve_vcc 0
		.amdhsa_float_round_mode_32 0
		.amdhsa_float_round_mode_16_64 0
		.amdhsa_float_denorm_mode_32 3
		.amdhsa_float_denorm_mode_16_64 3
		.amdhsa_fp16_overflow 0
		.amdhsa_memory_ordered 1
		.amdhsa_forward_progress 1
		.amdhsa_inst_pref_size 0
		.amdhsa_round_robin_scheduling 0
		.amdhsa_exception_fp_ieee_invalid_op 0
		.amdhsa_exception_fp_denorm_src 0
		.amdhsa_exception_fp_ieee_div_zero 0
		.amdhsa_exception_fp_ieee_overflow 0
		.amdhsa_exception_fp_ieee_underflow 0
		.amdhsa_exception_fp_ieee_inexact 0
		.amdhsa_exception_int_div_zero 0
	.end_amdhsa_kernel
	.section	.text._ZN7rocprim17ROCPRIM_400000_NS6detail17trampoline_kernelINS0_14default_configENS1_38merge_sort_block_merge_config_selectorIlNS0_10empty_typeEEEZZNS1_27merge_sort_block_merge_implIS3_PlPS5_mZN2at6native12_GLOBAL__N_124unique_dim_cuda_templateIhEESt5tupleIJNSA_6TensorESF_SF_EERKSF_lbbbEUlllE_EE10hipError_tT0_T1_T2_jT3_P12ihipStream_tbPNSt15iterator_traitsISL_E10value_typeEPNSR_ISM_E10value_typeEPSN_NS1_7vsmem_tEENKUlT_SL_SM_SN_E_clIS8_S8_S9_S9_EESK_S10_SL_SM_SN_EUlS10_E0_NS1_11comp_targetILNS1_3genE8ELNS1_11target_archE1030ELNS1_3gpuE2ELNS1_3repE0EEENS1_38merge_mergepath_config_static_selectorELNS0_4arch9wavefront6targetE0EEEvSM_,"axG",@progbits,_ZN7rocprim17ROCPRIM_400000_NS6detail17trampoline_kernelINS0_14default_configENS1_38merge_sort_block_merge_config_selectorIlNS0_10empty_typeEEEZZNS1_27merge_sort_block_merge_implIS3_PlPS5_mZN2at6native12_GLOBAL__N_124unique_dim_cuda_templateIhEESt5tupleIJNSA_6TensorESF_SF_EERKSF_lbbbEUlllE_EE10hipError_tT0_T1_T2_jT3_P12ihipStream_tbPNSt15iterator_traitsISL_E10value_typeEPNSR_ISM_E10value_typeEPSN_NS1_7vsmem_tEENKUlT_SL_SM_SN_E_clIS8_S8_S9_S9_EESK_S10_SL_SM_SN_EUlS10_E0_NS1_11comp_targetILNS1_3genE8ELNS1_11target_archE1030ELNS1_3gpuE2ELNS1_3repE0EEENS1_38merge_mergepath_config_static_selectorELNS0_4arch9wavefront6targetE0EEEvSM_,comdat
.Lfunc_end33:
	.size	_ZN7rocprim17ROCPRIM_400000_NS6detail17trampoline_kernelINS0_14default_configENS1_38merge_sort_block_merge_config_selectorIlNS0_10empty_typeEEEZZNS1_27merge_sort_block_merge_implIS3_PlPS5_mZN2at6native12_GLOBAL__N_124unique_dim_cuda_templateIhEESt5tupleIJNSA_6TensorESF_SF_EERKSF_lbbbEUlllE_EE10hipError_tT0_T1_T2_jT3_P12ihipStream_tbPNSt15iterator_traitsISL_E10value_typeEPNSR_ISM_E10value_typeEPSN_NS1_7vsmem_tEENKUlT_SL_SM_SN_E_clIS8_S8_S9_S9_EESK_S10_SL_SM_SN_EUlS10_E0_NS1_11comp_targetILNS1_3genE8ELNS1_11target_archE1030ELNS1_3gpuE2ELNS1_3repE0EEENS1_38merge_mergepath_config_static_selectorELNS0_4arch9wavefront6targetE0EEEvSM_, .Lfunc_end33-_ZN7rocprim17ROCPRIM_400000_NS6detail17trampoline_kernelINS0_14default_configENS1_38merge_sort_block_merge_config_selectorIlNS0_10empty_typeEEEZZNS1_27merge_sort_block_merge_implIS3_PlPS5_mZN2at6native12_GLOBAL__N_124unique_dim_cuda_templateIhEESt5tupleIJNSA_6TensorESF_SF_EERKSF_lbbbEUlllE_EE10hipError_tT0_T1_T2_jT3_P12ihipStream_tbPNSt15iterator_traitsISL_E10value_typeEPNSR_ISM_E10value_typeEPSN_NS1_7vsmem_tEENKUlT_SL_SM_SN_E_clIS8_S8_S9_S9_EESK_S10_SL_SM_SN_EUlS10_E0_NS1_11comp_targetILNS1_3genE8ELNS1_11target_archE1030ELNS1_3gpuE2ELNS1_3repE0EEENS1_38merge_mergepath_config_static_selectorELNS0_4arch9wavefront6targetE0EEEvSM_
                                        ; -- End function
	.set _ZN7rocprim17ROCPRIM_400000_NS6detail17trampoline_kernelINS0_14default_configENS1_38merge_sort_block_merge_config_selectorIlNS0_10empty_typeEEEZZNS1_27merge_sort_block_merge_implIS3_PlPS5_mZN2at6native12_GLOBAL__N_124unique_dim_cuda_templateIhEESt5tupleIJNSA_6TensorESF_SF_EERKSF_lbbbEUlllE_EE10hipError_tT0_T1_T2_jT3_P12ihipStream_tbPNSt15iterator_traitsISL_E10value_typeEPNSR_ISM_E10value_typeEPSN_NS1_7vsmem_tEENKUlT_SL_SM_SN_E_clIS8_S8_S9_S9_EESK_S10_SL_SM_SN_EUlS10_E0_NS1_11comp_targetILNS1_3genE8ELNS1_11target_archE1030ELNS1_3gpuE2ELNS1_3repE0EEENS1_38merge_mergepath_config_static_selectorELNS0_4arch9wavefront6targetE0EEEvSM_.num_vgpr, 0
	.set _ZN7rocprim17ROCPRIM_400000_NS6detail17trampoline_kernelINS0_14default_configENS1_38merge_sort_block_merge_config_selectorIlNS0_10empty_typeEEEZZNS1_27merge_sort_block_merge_implIS3_PlPS5_mZN2at6native12_GLOBAL__N_124unique_dim_cuda_templateIhEESt5tupleIJNSA_6TensorESF_SF_EERKSF_lbbbEUlllE_EE10hipError_tT0_T1_T2_jT3_P12ihipStream_tbPNSt15iterator_traitsISL_E10value_typeEPNSR_ISM_E10value_typeEPSN_NS1_7vsmem_tEENKUlT_SL_SM_SN_E_clIS8_S8_S9_S9_EESK_S10_SL_SM_SN_EUlS10_E0_NS1_11comp_targetILNS1_3genE8ELNS1_11target_archE1030ELNS1_3gpuE2ELNS1_3repE0EEENS1_38merge_mergepath_config_static_selectorELNS0_4arch9wavefront6targetE0EEEvSM_.num_agpr, 0
	.set _ZN7rocprim17ROCPRIM_400000_NS6detail17trampoline_kernelINS0_14default_configENS1_38merge_sort_block_merge_config_selectorIlNS0_10empty_typeEEEZZNS1_27merge_sort_block_merge_implIS3_PlPS5_mZN2at6native12_GLOBAL__N_124unique_dim_cuda_templateIhEESt5tupleIJNSA_6TensorESF_SF_EERKSF_lbbbEUlllE_EE10hipError_tT0_T1_T2_jT3_P12ihipStream_tbPNSt15iterator_traitsISL_E10value_typeEPNSR_ISM_E10value_typeEPSN_NS1_7vsmem_tEENKUlT_SL_SM_SN_E_clIS8_S8_S9_S9_EESK_S10_SL_SM_SN_EUlS10_E0_NS1_11comp_targetILNS1_3genE8ELNS1_11target_archE1030ELNS1_3gpuE2ELNS1_3repE0EEENS1_38merge_mergepath_config_static_selectorELNS0_4arch9wavefront6targetE0EEEvSM_.numbered_sgpr, 0
	.set _ZN7rocprim17ROCPRIM_400000_NS6detail17trampoline_kernelINS0_14default_configENS1_38merge_sort_block_merge_config_selectorIlNS0_10empty_typeEEEZZNS1_27merge_sort_block_merge_implIS3_PlPS5_mZN2at6native12_GLOBAL__N_124unique_dim_cuda_templateIhEESt5tupleIJNSA_6TensorESF_SF_EERKSF_lbbbEUlllE_EE10hipError_tT0_T1_T2_jT3_P12ihipStream_tbPNSt15iterator_traitsISL_E10value_typeEPNSR_ISM_E10value_typeEPSN_NS1_7vsmem_tEENKUlT_SL_SM_SN_E_clIS8_S8_S9_S9_EESK_S10_SL_SM_SN_EUlS10_E0_NS1_11comp_targetILNS1_3genE8ELNS1_11target_archE1030ELNS1_3gpuE2ELNS1_3repE0EEENS1_38merge_mergepath_config_static_selectorELNS0_4arch9wavefront6targetE0EEEvSM_.num_named_barrier, 0
	.set _ZN7rocprim17ROCPRIM_400000_NS6detail17trampoline_kernelINS0_14default_configENS1_38merge_sort_block_merge_config_selectorIlNS0_10empty_typeEEEZZNS1_27merge_sort_block_merge_implIS3_PlPS5_mZN2at6native12_GLOBAL__N_124unique_dim_cuda_templateIhEESt5tupleIJNSA_6TensorESF_SF_EERKSF_lbbbEUlllE_EE10hipError_tT0_T1_T2_jT3_P12ihipStream_tbPNSt15iterator_traitsISL_E10value_typeEPNSR_ISM_E10value_typeEPSN_NS1_7vsmem_tEENKUlT_SL_SM_SN_E_clIS8_S8_S9_S9_EESK_S10_SL_SM_SN_EUlS10_E0_NS1_11comp_targetILNS1_3genE8ELNS1_11target_archE1030ELNS1_3gpuE2ELNS1_3repE0EEENS1_38merge_mergepath_config_static_selectorELNS0_4arch9wavefront6targetE0EEEvSM_.private_seg_size, 0
	.set _ZN7rocprim17ROCPRIM_400000_NS6detail17trampoline_kernelINS0_14default_configENS1_38merge_sort_block_merge_config_selectorIlNS0_10empty_typeEEEZZNS1_27merge_sort_block_merge_implIS3_PlPS5_mZN2at6native12_GLOBAL__N_124unique_dim_cuda_templateIhEESt5tupleIJNSA_6TensorESF_SF_EERKSF_lbbbEUlllE_EE10hipError_tT0_T1_T2_jT3_P12ihipStream_tbPNSt15iterator_traitsISL_E10value_typeEPNSR_ISM_E10value_typeEPSN_NS1_7vsmem_tEENKUlT_SL_SM_SN_E_clIS8_S8_S9_S9_EESK_S10_SL_SM_SN_EUlS10_E0_NS1_11comp_targetILNS1_3genE8ELNS1_11target_archE1030ELNS1_3gpuE2ELNS1_3repE0EEENS1_38merge_mergepath_config_static_selectorELNS0_4arch9wavefront6targetE0EEEvSM_.uses_vcc, 0
	.set _ZN7rocprim17ROCPRIM_400000_NS6detail17trampoline_kernelINS0_14default_configENS1_38merge_sort_block_merge_config_selectorIlNS0_10empty_typeEEEZZNS1_27merge_sort_block_merge_implIS3_PlPS5_mZN2at6native12_GLOBAL__N_124unique_dim_cuda_templateIhEESt5tupleIJNSA_6TensorESF_SF_EERKSF_lbbbEUlllE_EE10hipError_tT0_T1_T2_jT3_P12ihipStream_tbPNSt15iterator_traitsISL_E10value_typeEPNSR_ISM_E10value_typeEPSN_NS1_7vsmem_tEENKUlT_SL_SM_SN_E_clIS8_S8_S9_S9_EESK_S10_SL_SM_SN_EUlS10_E0_NS1_11comp_targetILNS1_3genE8ELNS1_11target_archE1030ELNS1_3gpuE2ELNS1_3repE0EEENS1_38merge_mergepath_config_static_selectorELNS0_4arch9wavefront6targetE0EEEvSM_.uses_flat_scratch, 0
	.set _ZN7rocprim17ROCPRIM_400000_NS6detail17trampoline_kernelINS0_14default_configENS1_38merge_sort_block_merge_config_selectorIlNS0_10empty_typeEEEZZNS1_27merge_sort_block_merge_implIS3_PlPS5_mZN2at6native12_GLOBAL__N_124unique_dim_cuda_templateIhEESt5tupleIJNSA_6TensorESF_SF_EERKSF_lbbbEUlllE_EE10hipError_tT0_T1_T2_jT3_P12ihipStream_tbPNSt15iterator_traitsISL_E10value_typeEPNSR_ISM_E10value_typeEPSN_NS1_7vsmem_tEENKUlT_SL_SM_SN_E_clIS8_S8_S9_S9_EESK_S10_SL_SM_SN_EUlS10_E0_NS1_11comp_targetILNS1_3genE8ELNS1_11target_archE1030ELNS1_3gpuE2ELNS1_3repE0EEENS1_38merge_mergepath_config_static_selectorELNS0_4arch9wavefront6targetE0EEEvSM_.has_dyn_sized_stack, 0
	.set _ZN7rocprim17ROCPRIM_400000_NS6detail17trampoline_kernelINS0_14default_configENS1_38merge_sort_block_merge_config_selectorIlNS0_10empty_typeEEEZZNS1_27merge_sort_block_merge_implIS3_PlPS5_mZN2at6native12_GLOBAL__N_124unique_dim_cuda_templateIhEESt5tupleIJNSA_6TensorESF_SF_EERKSF_lbbbEUlllE_EE10hipError_tT0_T1_T2_jT3_P12ihipStream_tbPNSt15iterator_traitsISL_E10value_typeEPNSR_ISM_E10value_typeEPSN_NS1_7vsmem_tEENKUlT_SL_SM_SN_E_clIS8_S8_S9_S9_EESK_S10_SL_SM_SN_EUlS10_E0_NS1_11comp_targetILNS1_3genE8ELNS1_11target_archE1030ELNS1_3gpuE2ELNS1_3repE0EEENS1_38merge_mergepath_config_static_selectorELNS0_4arch9wavefront6targetE0EEEvSM_.has_recursion, 0
	.set _ZN7rocprim17ROCPRIM_400000_NS6detail17trampoline_kernelINS0_14default_configENS1_38merge_sort_block_merge_config_selectorIlNS0_10empty_typeEEEZZNS1_27merge_sort_block_merge_implIS3_PlPS5_mZN2at6native12_GLOBAL__N_124unique_dim_cuda_templateIhEESt5tupleIJNSA_6TensorESF_SF_EERKSF_lbbbEUlllE_EE10hipError_tT0_T1_T2_jT3_P12ihipStream_tbPNSt15iterator_traitsISL_E10value_typeEPNSR_ISM_E10value_typeEPSN_NS1_7vsmem_tEENKUlT_SL_SM_SN_E_clIS8_S8_S9_S9_EESK_S10_SL_SM_SN_EUlS10_E0_NS1_11comp_targetILNS1_3genE8ELNS1_11target_archE1030ELNS1_3gpuE2ELNS1_3repE0EEENS1_38merge_mergepath_config_static_selectorELNS0_4arch9wavefront6targetE0EEEvSM_.has_indirect_call, 0
	.section	.AMDGPU.csdata,"",@progbits
; Kernel info:
; codeLenInByte = 0
; TotalNumSgprs: 0
; NumVgprs: 0
; ScratchSize: 0
; MemoryBound: 0
; FloatMode: 240
; IeeeMode: 1
; LDSByteSize: 0 bytes/workgroup (compile time only)
; SGPRBlocks: 0
; VGPRBlocks: 0
; NumSGPRsForWavesPerEU: 1
; NumVGPRsForWavesPerEU: 1
; NamedBarCnt: 0
; Occupancy: 16
; WaveLimiterHint : 0
; COMPUTE_PGM_RSRC2:SCRATCH_EN: 0
; COMPUTE_PGM_RSRC2:USER_SGPR: 2
; COMPUTE_PGM_RSRC2:TRAP_HANDLER: 0
; COMPUTE_PGM_RSRC2:TGID_X_EN: 1
; COMPUTE_PGM_RSRC2:TGID_Y_EN: 0
; COMPUTE_PGM_RSRC2:TGID_Z_EN: 0
; COMPUTE_PGM_RSRC2:TIDIG_COMP_CNT: 0
	.section	.text._ZN7rocprim17ROCPRIM_400000_NS6detail17trampoline_kernelINS0_14default_configENS1_38merge_sort_block_merge_config_selectorIlNS0_10empty_typeEEEZZNS1_27merge_sort_block_merge_implIS3_PlPS5_mZN2at6native12_GLOBAL__N_124unique_dim_cuda_templateIhEESt5tupleIJNSA_6TensorESF_SF_EERKSF_lbbbEUlllE_EE10hipError_tT0_T1_T2_jT3_P12ihipStream_tbPNSt15iterator_traitsISL_E10value_typeEPNSR_ISM_E10value_typeEPSN_NS1_7vsmem_tEENKUlT_SL_SM_SN_E_clIS8_S8_S9_S9_EESK_S10_SL_SM_SN_EUlS10_E1_NS1_11comp_targetILNS1_3genE0ELNS1_11target_archE4294967295ELNS1_3gpuE0ELNS1_3repE0EEENS1_36merge_oddeven_config_static_selectorELNS0_4arch9wavefront6targetE0EEEvSM_,"axG",@progbits,_ZN7rocprim17ROCPRIM_400000_NS6detail17trampoline_kernelINS0_14default_configENS1_38merge_sort_block_merge_config_selectorIlNS0_10empty_typeEEEZZNS1_27merge_sort_block_merge_implIS3_PlPS5_mZN2at6native12_GLOBAL__N_124unique_dim_cuda_templateIhEESt5tupleIJNSA_6TensorESF_SF_EERKSF_lbbbEUlllE_EE10hipError_tT0_T1_T2_jT3_P12ihipStream_tbPNSt15iterator_traitsISL_E10value_typeEPNSR_ISM_E10value_typeEPSN_NS1_7vsmem_tEENKUlT_SL_SM_SN_E_clIS8_S8_S9_S9_EESK_S10_SL_SM_SN_EUlS10_E1_NS1_11comp_targetILNS1_3genE0ELNS1_11target_archE4294967295ELNS1_3gpuE0ELNS1_3repE0EEENS1_36merge_oddeven_config_static_selectorELNS0_4arch9wavefront6targetE0EEEvSM_,comdat
	.globl	_ZN7rocprim17ROCPRIM_400000_NS6detail17trampoline_kernelINS0_14default_configENS1_38merge_sort_block_merge_config_selectorIlNS0_10empty_typeEEEZZNS1_27merge_sort_block_merge_implIS3_PlPS5_mZN2at6native12_GLOBAL__N_124unique_dim_cuda_templateIhEESt5tupleIJNSA_6TensorESF_SF_EERKSF_lbbbEUlllE_EE10hipError_tT0_T1_T2_jT3_P12ihipStream_tbPNSt15iterator_traitsISL_E10value_typeEPNSR_ISM_E10value_typeEPSN_NS1_7vsmem_tEENKUlT_SL_SM_SN_E_clIS8_S8_S9_S9_EESK_S10_SL_SM_SN_EUlS10_E1_NS1_11comp_targetILNS1_3genE0ELNS1_11target_archE4294967295ELNS1_3gpuE0ELNS1_3repE0EEENS1_36merge_oddeven_config_static_selectorELNS0_4arch9wavefront6targetE0EEEvSM_ ; -- Begin function _ZN7rocprim17ROCPRIM_400000_NS6detail17trampoline_kernelINS0_14default_configENS1_38merge_sort_block_merge_config_selectorIlNS0_10empty_typeEEEZZNS1_27merge_sort_block_merge_implIS3_PlPS5_mZN2at6native12_GLOBAL__N_124unique_dim_cuda_templateIhEESt5tupleIJNSA_6TensorESF_SF_EERKSF_lbbbEUlllE_EE10hipError_tT0_T1_T2_jT3_P12ihipStream_tbPNSt15iterator_traitsISL_E10value_typeEPNSR_ISM_E10value_typeEPSN_NS1_7vsmem_tEENKUlT_SL_SM_SN_E_clIS8_S8_S9_S9_EESK_S10_SL_SM_SN_EUlS10_E1_NS1_11comp_targetILNS1_3genE0ELNS1_11target_archE4294967295ELNS1_3gpuE0ELNS1_3repE0EEENS1_36merge_oddeven_config_static_selectorELNS0_4arch9wavefront6targetE0EEEvSM_
	.p2align	8
	.type	_ZN7rocprim17ROCPRIM_400000_NS6detail17trampoline_kernelINS0_14default_configENS1_38merge_sort_block_merge_config_selectorIlNS0_10empty_typeEEEZZNS1_27merge_sort_block_merge_implIS3_PlPS5_mZN2at6native12_GLOBAL__N_124unique_dim_cuda_templateIhEESt5tupleIJNSA_6TensorESF_SF_EERKSF_lbbbEUlllE_EE10hipError_tT0_T1_T2_jT3_P12ihipStream_tbPNSt15iterator_traitsISL_E10value_typeEPNSR_ISM_E10value_typeEPSN_NS1_7vsmem_tEENKUlT_SL_SM_SN_E_clIS8_S8_S9_S9_EESK_S10_SL_SM_SN_EUlS10_E1_NS1_11comp_targetILNS1_3genE0ELNS1_11target_archE4294967295ELNS1_3gpuE0ELNS1_3repE0EEENS1_36merge_oddeven_config_static_selectorELNS0_4arch9wavefront6targetE0EEEvSM_,@function
_ZN7rocprim17ROCPRIM_400000_NS6detail17trampoline_kernelINS0_14default_configENS1_38merge_sort_block_merge_config_selectorIlNS0_10empty_typeEEEZZNS1_27merge_sort_block_merge_implIS3_PlPS5_mZN2at6native12_GLOBAL__N_124unique_dim_cuda_templateIhEESt5tupleIJNSA_6TensorESF_SF_EERKSF_lbbbEUlllE_EE10hipError_tT0_T1_T2_jT3_P12ihipStream_tbPNSt15iterator_traitsISL_E10value_typeEPNSR_ISM_E10value_typeEPSN_NS1_7vsmem_tEENKUlT_SL_SM_SN_E_clIS8_S8_S9_S9_EESK_S10_SL_SM_SN_EUlS10_E1_NS1_11comp_targetILNS1_3genE0ELNS1_11target_archE4294967295ELNS1_3gpuE0ELNS1_3repE0EEENS1_36merge_oddeven_config_static_selectorELNS0_4arch9wavefront6targetE0EEEvSM_: ; @_ZN7rocprim17ROCPRIM_400000_NS6detail17trampoline_kernelINS0_14default_configENS1_38merge_sort_block_merge_config_selectorIlNS0_10empty_typeEEEZZNS1_27merge_sort_block_merge_implIS3_PlPS5_mZN2at6native12_GLOBAL__N_124unique_dim_cuda_templateIhEESt5tupleIJNSA_6TensorESF_SF_EERKSF_lbbbEUlllE_EE10hipError_tT0_T1_T2_jT3_P12ihipStream_tbPNSt15iterator_traitsISL_E10value_typeEPNSR_ISM_E10value_typeEPSN_NS1_7vsmem_tEENKUlT_SL_SM_SN_E_clIS8_S8_S9_S9_EESK_S10_SL_SM_SN_EUlS10_E1_NS1_11comp_targetILNS1_3genE0ELNS1_11target_archE4294967295ELNS1_3gpuE0ELNS1_3repE0EEENS1_36merge_oddeven_config_static_selectorELNS0_4arch9wavefront6targetE0EEEvSM_
; %bb.0:
	s_load_b32 s3, s[0:1], 0x20
	s_bfe_u32 s2, ttmp6, 0x4000c
	s_and_b32 s4, ttmp6, 15
	s_add_co_i32 s2, s2, 1
	s_getreg_b32 s5, hwreg(HW_REG_IB_STS2, 6, 4)
	s_mul_i32 s2, ttmp9, s2
	s_mov_b32 s13, 0
	s_add_co_i32 s4, s4, s2
	s_cmp_eq_u32 s5, 0
	s_cselect_b32 s9, ttmp9, s4
	s_wait_kmcnt 0x0
	s_lshr_b32 s2, s3, 8
	s_delay_alu instid0(SALU_CYCLE_1) | instskip(SKIP_4) | instid1(SALU_CYCLE_1)
	s_cmp_lg_u32 s9, s2
	s_cselect_b32 s8, -1, 0
	s_cmp_eq_u32 s9, s2
	s_cselect_b32 s16, -1, 0
	s_lshl_b32 s12, s9, 8
	s_sub_co_i32 s2, s3, s12
	s_delay_alu instid0(SALU_CYCLE_1) | instskip(SKIP_1) | instid1(SALU_CYCLE_1)
	v_cmp_gt_u32_e64 s2, s2, v0
	s_or_b32 s4, s8, s2
	s_and_saveexec_b32 s5, s4
	s_cbranch_execz .LBB34_54
; %bb.1:
	s_clause 0x1
	s_load_b128 s[4:7], s[0:1], 0x0
	s_load_b32 s17, s[0:1], 0x28
	s_lshl_b64 s[10:11], s[12:13], 3
	s_wait_kmcnt 0x0
	s_add_nc_u64 s[10:11], s[4:5], s[10:11]
	global_load_b64 v[2:3], v0, s[10:11] scale_offset
	s_wait_xcnt 0x0
	s_lshr_b32 s10, s17, 8
	s_delay_alu instid0(SALU_CYCLE_1) | instskip(NEXT) | instid1(SALU_CYCLE_1)
	s_sub_co_i32 s11, 0, s10
	s_and_b32 s9, s9, s11
	s_delay_alu instid0(SALU_CYCLE_1) | instskip(NEXT) | instid1(SALU_CYCLE_1)
	s_and_b32 s10, s9, s10
	s_cmp_lg_u32 s10, 0
	s_cselect_b32 s14, -1, 0
	s_lshl_b32 s18, s9, 8
	s_sub_co_i32 s9, 0, s17
	s_cmp_eq_u32 s10, 0
	s_cselect_b32 s15, s17, s9
	s_delay_alu instid0(SALU_CYCLE_1) | instskip(NEXT) | instid1(SALU_CYCLE_1)
	s_add_co_i32 s15, s15, s18
	s_cmp_lt_u32 s15, s3
	s_cbranch_scc1 .LBB34_3
; %bb.2:
	v_add_nc_u32_e32 v1, s12, v0
	s_delay_alu instid0(VALU_DEP_1) | instskip(SKIP_1) | instid1(SALU_CYCLE_1)
	v_cmp_gt_u32_e32 vcc_lo, s3, v1
	s_or_b32 s9, vcc_lo, s8
	s_and_b32 s13, s9, exec_lo
	s_cbranch_execz .LBB34_4
	s_branch .LBB34_52
.LBB34_3:
                                        ; implicit-def: $vgpr1
.LBB34_4:
	s_load_b128 s[8:11], s[0:1], 0x30
	v_add_nc_u32_e32 v0, s12, v0
	s_min_u32 s12, s15, s3
	s_and_b32 vcc_lo, exec_lo, s16
	s_wait_xcnt 0x0
	s_add_co_i32 s0, s18, s12
	s_delay_alu instid0(SALU_CYCLE_1) | instskip(SKIP_3) | instid1(VALU_DEP_1)
	v_subrev_nc_u32_e32 v0, s0, v0
	s_add_co_i32 s0, s12, s17
	s_min_u32 s17, s18, s12
	s_min_u32 s16, s0, s3
	v_add_nc_u32_e32 v12, s17, v0
	s_wait_loadcnt 0x0
	s_wait_kmcnt 0x0
	v_mul_u64_e32 v[4:5], s[8:9], v[2:3]
	v_cmp_gt_i64_e64 s1, s[8:9], 0
	s_cbranch_vccz .LBB34_26
; %bb.5:
                                        ; implicit-def: $vgpr1
	s_and_saveexec_b32 s17, s2
	s_cbranch_execz .LBB34_29
; %bb.6:
	v_mov_b32_e32 v13, s12
	s_cmp_ge_u32 s15, s16
	s_cbranch_scc1 .LBB34_28
; %bb.7:
	v_add_nc_u64_e32 v[0:1], s[10:11], v[4:5]
	v_dual_mov_b32 v14, s16 :: v_dual_mov_b32 v13, s12
	s_mov_b32 s18, 0
	s_branch .LBB34_10
.LBB34_8:                               ;   in Loop: Header=BB34_10 Depth=1
	s_or_b32 exec_lo, exec_lo, s20
.LBB34_9:                               ;   in Loop: Header=BB34_10 Depth=1
	s_wait_loadcnt 0x0
	v_dual_add_nc_u32 v6, 1, v15 :: v_dual_cndmask_b32 v14, v15, v14, s19
	s_delay_alu instid0(VALU_DEP_1) | instskip(NEXT) | instid1(VALU_DEP_1)
	v_cndmask_b32_e64 v13, v13, v6, s19
	v_cmp_ge_u32_e32 vcc_lo, v13, v14
	s_or_b32 s18, vcc_lo, s18
	s_delay_alu instid0(SALU_CYCLE_1)
	s_and_not1_b32 exec_lo, exec_lo, s18
	s_cbranch_execz .LBB34_27
.LBB34_10:                              ; =>This Loop Header: Depth=1
                                        ;     Child Loop BB34_14 Depth 2
                                        ;     Child Loop BB34_23 Depth 2
	s_delay_alu instid0(VALU_DEP_1) | instskip(SKIP_2) | instid1(VALU_DEP_1)
	v_add_nc_u32_e32 v6, v13, v14
	s_and_not1_b32 vcc_lo, exec_lo, s14
	s_mov_b32 s0, -1
                                        ; implicit-def: $sgpr19
	v_lshrrev_b32_e32 v15, 1, v6
	global_load_b64 v[6:7], v15, s[4:5] scale_offset
	s_cbranch_vccnz .LBB34_19
; %bb.11:                               ;   in Loop: Header=BB34_10 Depth=1
	s_and_not1_b32 vcc_lo, exec_lo, s1
	s_cbranch_vccnz .LBB34_17
; %bb.12:                               ;   in Loop: Header=BB34_10 Depth=1
	s_wait_loadcnt 0x0
	v_mad_nc_u64_u32 v[8:9], v6, s8, s[10:11]
	v_mov_b64_e32 v[10:11], v[0:1]
	s_mov_b32 s19, 0
	s_mov_b64 s[2:3], s[8:9]
                                        ; implicit-def: $sgpr20
                                        ; implicit-def: $sgpr21
                                        ; implicit-def: $sgpr22
                                        ; implicit-def: $sgpr23
	s_delay_alu instid0(VALU_DEP_2) | instskip(NEXT) | instid1(VALU_DEP_1)
	v_mad_u32 v9, v7, s8, v9
	v_mad_u32 v9, v6, s9, v9
	s_branch .LBB34_14
.LBB34_13:                              ;   in Loop: Header=BB34_14 Depth=2
	s_or_b32 exec_lo, exec_lo, s24
	s_delay_alu instid0(SALU_CYCLE_1) | instskip(NEXT) | instid1(SALU_CYCLE_1)
	s_and_b32 s24, exec_lo, s21
	s_or_b32 s19, s24, s19
	s_and_not1_b32 s23, s23, exec_lo
	s_and_b32 s0, s0, exec_lo
	s_and_not1_b32 s20, s20, exec_lo
	s_and_b32 s24, s22, exec_lo
	s_or_b32 s23, s23, s0
	s_or_b32 s20, s20, s24
	s_and_not1_b32 exec_lo, exec_lo, s19
	s_cbranch_execz .LBB34_16
.LBB34_14:                              ;   Parent Loop BB34_10 Depth=1
                                        ; =>  This Inner Loop Header: Depth=2
	global_load_u8 v16, v[10:11], off
	global_load_u8 v17, v[8:9], off
	s_and_not1_b32 s22, s22, exec_lo
	s_or_b32 s21, s21, exec_lo
	s_wait_loadcnt 0x1
	v_and_b32_e32 v16, 0xff, v16
	s_wait_loadcnt 0x0
	v_and_b32_e32 v17, 0xff, v17
	s_delay_alu instid0(VALU_DEP_1) | instskip(SKIP_2) | instid1(SALU_CYCLE_1)
	v_cmp_le_u16_e32 vcc_lo, v16, v17
	v_cmp_lt_u16_e64 s0, v16, v17
	s_and_b32 s24, vcc_lo, s23
	s_or_b32 s0, s0, s24
	s_delay_alu instid0(SALU_CYCLE_1) | instskip(NEXT) | instid1(SALU_CYCLE_1)
	s_and_b32 s24, s0, exec_lo
	s_or_b32 s22, s22, s24
	s_mov_b32 s24, exec_lo
	v_cmpx_eq_u16_e64 v16, v17
	s_cbranch_execz .LBB34_13
; %bb.15:                               ;   in Loop: Header=BB34_14 Depth=2
	s_add_nc_u64 s[2:3], s[2:3], -1
	v_add_nc_u64_e32 v[10:11], 1, v[10:11]
	s_cmp_eq_u64 s[2:3], 0
	v_add_nc_u64_e32 v[8:9], 1, v[8:9]
	s_cselect_b32 s23, -1, 0
	s_and_not1_b32 s21, s21, exec_lo
	s_and_b32 s23, s23, exec_lo
	s_and_not1_b32 s22, s22, exec_lo
	s_or_b32 s21, s21, s23
                                        ; implicit-def: $sgpr23
	s_branch .LBB34_13
.LBB34_16:                              ;   in Loop: Header=BB34_10 Depth=1
	s_or_b32 exec_lo, exec_lo, s19
	s_xor_b32 s19, s20, -1
	s_branch .LBB34_18
.LBB34_17:                              ;   in Loop: Header=BB34_10 Depth=1
	s_mov_b32 s19, -1
.LBB34_18:                              ;   in Loop: Header=BB34_10 Depth=1
	s_mov_b32 s0, 0
.LBB34_19:                              ;   in Loop: Header=BB34_10 Depth=1
	s_delay_alu instid0(SALU_CYCLE_1)
	s_and_not1_b32 vcc_lo, exec_lo, s0
	s_cbranch_vccnz .LBB34_9
; %bb.20:                               ;   in Loop: Header=BB34_10 Depth=1
	s_and_not1_b32 vcc_lo, exec_lo, s1
	s_cbranch_vccnz .LBB34_25
; %bb.21:                               ;   in Loop: Header=BB34_10 Depth=1
	s_wait_loadcnt 0x0
	v_mad_nc_u64_u32 v[8:9], v6, s8, s[10:11]
	s_mov_b32 s20, 0
	s_mov_b64 s[2:3], s[8:9]
                                        ; implicit-def: $sgpr19
                                        ; implicit-def: $sgpr21
                                        ; implicit-def: $sgpr22
                                        ; implicit-def: $sgpr23
	s_delay_alu instid0(VALU_DEP_1) | instskip(NEXT) | instid1(VALU_DEP_1)
	v_mad_u32 v7, v7, s8, v9
	v_mad_u32 v9, v6, s9, v7
	v_mov_b64_e32 v[6:7], v[0:1]
	s_branch .LBB34_23
.LBB34_22:                              ;   in Loop: Header=BB34_23 Depth=2
	s_or_b32 exec_lo, exec_lo, s24
	s_delay_alu instid0(SALU_CYCLE_1) | instskip(NEXT) | instid1(SALU_CYCLE_1)
	s_and_b32 s24, exec_lo, s21
	s_or_b32 s20, s24, s20
	s_and_not1_b32 s23, s23, exec_lo
	s_and_b32 s0, s0, exec_lo
	s_and_not1_b32 s19, s19, exec_lo
	s_and_b32 s24, s22, exec_lo
	s_or_b32 s23, s23, s0
	s_or_b32 s19, s19, s24
	s_and_not1_b32 exec_lo, exec_lo, s20
	s_cbranch_execz .LBB34_8
.LBB34_23:                              ;   Parent Loop BB34_10 Depth=1
                                        ; =>  This Inner Loop Header: Depth=2
	global_load_u8 v10, v[8:9], off
	global_load_u8 v11, v[6:7], off
	s_and_not1_b32 s22, s22, exec_lo
	s_or_b32 s21, s21, exec_lo
	s_wait_loadcnt 0x1
	v_and_b32_e32 v10, 0xff, v10
	s_wait_loadcnt 0x0
	v_and_b32_e32 v11, 0xff, v11
	s_delay_alu instid0(VALU_DEP_1) | instskip(SKIP_2) | instid1(SALU_CYCLE_1)
	v_cmp_le_u16_e32 vcc_lo, v10, v11
	v_cmp_lt_u16_e64 s0, v10, v11
	s_and_b32 s24, vcc_lo, s23
	s_or_b32 s0, s0, s24
	s_delay_alu instid0(SALU_CYCLE_1) | instskip(NEXT) | instid1(SALU_CYCLE_1)
	s_and_b32 s24, s0, exec_lo
	s_or_b32 s22, s22, s24
	s_mov_b32 s24, exec_lo
	v_cmpx_eq_u16_e64 v10, v11
	s_cbranch_execz .LBB34_22
; %bb.24:                               ;   in Loop: Header=BB34_23 Depth=2
	s_add_nc_u64 s[2:3], s[2:3], -1
	v_add_nc_u64_e32 v[8:9], 1, v[8:9]
	s_cmp_eq_u64 s[2:3], 0
	v_add_nc_u64_e32 v[6:7], 1, v[6:7]
	s_cselect_b32 s23, -1, 0
	s_and_not1_b32 s21, s21, exec_lo
	s_and_b32 s23, s23, exec_lo
	s_and_not1_b32 s22, s22, exec_lo
	s_or_b32 s21, s21, s23
                                        ; implicit-def: $sgpr23
	s_branch .LBB34_22
.LBB34_25:                              ;   in Loop: Header=BB34_10 Depth=1
	s_mov_b32 s19, 0
	s_branch .LBB34_9
.LBB34_26:
                                        ; implicit-def: $vgpr1
	s_cbranch_execnz .LBB34_30
	s_branch .LBB34_52
.LBB34_27:
	s_or_b32 exec_lo, exec_lo, s18
.LBB34_28:
	s_delay_alu instid0(VALU_DEP_1)
	v_add_nc_u32_e32 v1, v13, v12
	s_or_b32 s13, s13, exec_lo
.LBB34_29:
	s_or_b32 exec_lo, exec_lo, s17
	s_branch .LBB34_52
.LBB34_30:
	v_mov_b32_e32 v10, s12
	s_cmp_ge_u32 s15, s16
	s_cbranch_scc1 .LBB34_51
; %bb.31:
	v_add_nc_u64_e32 v[0:1], s[10:11], v[4:5]
	v_dual_mov_b32 v11, s16 :: v_dual_mov_b32 v10, s12
	v_cndmask_b32_e64 v13, 0, 1, s1
	s_mov_b32 s12, 0
	s_branch .LBB34_34
.LBB34_32:                              ;   in Loop: Header=BB34_34 Depth=1
	s_or_b32 exec_lo, exec_lo, s15
.LBB34_33:                              ;   in Loop: Header=BB34_34 Depth=1
	s_wait_loadcnt 0x0
	v_dual_add_nc_u32 v4, 1, v14 :: v_dual_cndmask_b32 v11, v14, v11, s13
	s_delay_alu instid0(VALU_DEP_1) | instskip(NEXT) | instid1(VALU_DEP_1)
	v_cndmask_b32_e64 v10, v10, v4, s13
	v_cmp_ge_u32_e32 vcc_lo, v10, v11
	s_or_b32 s12, vcc_lo, s12
	s_delay_alu instid0(SALU_CYCLE_1)
	s_and_not1_b32 exec_lo, exec_lo, s12
	s_cbranch_execz .LBB34_50
.LBB34_34:                              ; =>This Loop Header: Depth=1
                                        ;     Child Loop BB34_38 Depth 2
                                        ;     Child Loop BB34_47 Depth 2
	s_delay_alu instid0(VALU_DEP_2) | instskip(NEXT) | instid1(VALU_DEP_2)
	v_add_nc_u32_e32 v4, v10, v11
	v_cmp_ne_u32_e64 s0, 1, v13
	s_and_not1_b32 vcc_lo, exec_lo, s14
	s_mov_b32 s2, -1
                                        ; implicit-def: $sgpr13
	v_lshrrev_b32_e32 v14, 1, v4
	global_load_b64 v[4:5], v14, s[4:5] scale_offset
	s_cbranch_vccnz .LBB34_43
; %bb.35:                               ;   in Loop: Header=BB34_34 Depth=1
	s_and_b32 vcc_lo, exec_lo, s0
	s_cbranch_vccnz .LBB34_41
; %bb.36:                               ;   in Loop: Header=BB34_34 Depth=1
	s_wait_loadcnt 0x0
	v_mad_nc_u64_u32 v[6:7], v4, s8, s[10:11]
	v_mov_b64_e32 v[8:9], v[0:1]
	s_mov_b32 s13, 0
	s_mov_b64 s[2:3], s[8:9]
                                        ; implicit-def: $sgpr15
                                        ; implicit-def: $sgpr16
                                        ; implicit-def: $sgpr17
                                        ; implicit-def: $sgpr18
	s_delay_alu instid0(VALU_DEP_2) | instskip(NEXT) | instid1(VALU_DEP_1)
	v_mad_u32 v7, v5, s8, v7
	v_mad_u32 v7, v4, s9, v7
	s_branch .LBB34_38
.LBB34_37:                              ;   in Loop: Header=BB34_38 Depth=2
	s_or_b32 exec_lo, exec_lo, s19
	s_delay_alu instid0(SALU_CYCLE_1) | instskip(NEXT) | instid1(SALU_CYCLE_1)
	s_and_b32 s19, exec_lo, s16
	s_or_b32 s13, s19, s13
	s_and_not1_b32 s18, s18, exec_lo
	s_and_b32 s0, s0, exec_lo
	s_and_not1_b32 s15, s15, exec_lo
	s_and_b32 s19, s17, exec_lo
	s_or_b32 s18, s18, s0
	s_or_b32 s15, s15, s19
	s_and_not1_b32 exec_lo, exec_lo, s13
	s_cbranch_execz .LBB34_40
.LBB34_38:                              ;   Parent Loop BB34_34 Depth=1
                                        ; =>  This Inner Loop Header: Depth=2
	global_load_u8 v15, v[8:9], off
	global_load_u8 v16, v[6:7], off
	s_and_not1_b32 s17, s17, exec_lo
	s_or_b32 s16, s16, exec_lo
	s_wait_loadcnt 0x1
	v_and_b32_e32 v15, 0xff, v15
	s_wait_loadcnt 0x0
	v_and_b32_e32 v16, 0xff, v16
	s_delay_alu instid0(VALU_DEP_1) | instskip(SKIP_2) | instid1(SALU_CYCLE_1)
	v_cmp_le_u16_e32 vcc_lo, v15, v16
	v_cmp_lt_u16_e64 s0, v15, v16
	s_and_b32 s19, vcc_lo, s18
	s_or_b32 s0, s0, s19
	s_delay_alu instid0(SALU_CYCLE_1) | instskip(NEXT) | instid1(SALU_CYCLE_1)
	s_and_b32 s19, s0, exec_lo
	s_or_b32 s17, s17, s19
	s_mov_b32 s19, exec_lo
	v_cmpx_eq_u16_e64 v15, v16
	s_cbranch_execz .LBB34_37
; %bb.39:                               ;   in Loop: Header=BB34_38 Depth=2
	s_add_nc_u64 s[2:3], s[2:3], -1
	v_add_nc_u64_e32 v[8:9], 1, v[8:9]
	s_cmp_eq_u64 s[2:3], 0
	v_add_nc_u64_e32 v[6:7], 1, v[6:7]
	s_cselect_b32 s18, -1, 0
	s_and_not1_b32 s16, s16, exec_lo
	s_and_b32 s18, s18, exec_lo
	s_and_not1_b32 s17, s17, exec_lo
	s_or_b32 s16, s16, s18
                                        ; implicit-def: $sgpr18
	s_branch .LBB34_37
.LBB34_40:                              ;   in Loop: Header=BB34_34 Depth=1
	s_or_b32 exec_lo, exec_lo, s13
	s_xor_b32 s13, s15, -1
	s_branch .LBB34_42
.LBB34_41:                              ;   in Loop: Header=BB34_34 Depth=1
	s_mov_b32 s13, -1
.LBB34_42:                              ;   in Loop: Header=BB34_34 Depth=1
	s_mov_b32 s2, 0
.LBB34_43:                              ;   in Loop: Header=BB34_34 Depth=1
	s_delay_alu instid0(SALU_CYCLE_1)
	s_and_not1_b32 vcc_lo, exec_lo, s2
	s_cbranch_vccnz .LBB34_33
; %bb.44:                               ;   in Loop: Header=BB34_34 Depth=1
	s_and_not1_b32 vcc_lo, exec_lo, s1
	s_cbranch_vccnz .LBB34_49
; %bb.45:                               ;   in Loop: Header=BB34_34 Depth=1
	s_wait_loadcnt 0x0
	v_mad_nc_u64_u32 v[6:7], v4, s8, s[10:11]
	s_mov_b32 s15, 0
	s_mov_b64 s[2:3], s[8:9]
                                        ; implicit-def: $sgpr13
                                        ; implicit-def: $sgpr16
                                        ; implicit-def: $sgpr17
                                        ; implicit-def: $sgpr18
	s_delay_alu instid0(VALU_DEP_1) | instskip(NEXT) | instid1(VALU_DEP_1)
	v_mad_u32 v5, v5, s8, v7
	v_mad_u32 v7, v4, s9, v5
	v_mov_b64_e32 v[4:5], v[0:1]
	s_branch .LBB34_47
.LBB34_46:                              ;   in Loop: Header=BB34_47 Depth=2
	s_or_b32 exec_lo, exec_lo, s19
	s_delay_alu instid0(SALU_CYCLE_1) | instskip(NEXT) | instid1(SALU_CYCLE_1)
	s_and_b32 s19, exec_lo, s16
	s_or_b32 s15, s19, s15
	s_and_not1_b32 s18, s18, exec_lo
	s_and_b32 s0, s0, exec_lo
	s_and_not1_b32 s13, s13, exec_lo
	s_and_b32 s19, s17, exec_lo
	s_or_b32 s18, s18, s0
	s_or_b32 s13, s13, s19
	s_and_not1_b32 exec_lo, exec_lo, s15
	s_cbranch_execz .LBB34_32
.LBB34_47:                              ;   Parent Loop BB34_34 Depth=1
                                        ; =>  This Inner Loop Header: Depth=2
	global_load_u8 v8, v[6:7], off
	global_load_u8 v9, v[4:5], off
	s_and_not1_b32 s17, s17, exec_lo
	s_or_b32 s16, s16, exec_lo
	s_wait_loadcnt 0x1
	v_and_b32_e32 v8, 0xff, v8
	s_wait_loadcnt 0x0
	v_and_b32_e32 v9, 0xff, v9
	s_delay_alu instid0(VALU_DEP_1) | instskip(SKIP_2) | instid1(SALU_CYCLE_1)
	v_cmp_le_u16_e32 vcc_lo, v8, v9
	v_cmp_lt_u16_e64 s0, v8, v9
	s_and_b32 s19, vcc_lo, s18
	s_or_b32 s0, s0, s19
	s_delay_alu instid0(SALU_CYCLE_1) | instskip(NEXT) | instid1(SALU_CYCLE_1)
	s_and_b32 s19, s0, exec_lo
	s_or_b32 s17, s17, s19
	s_mov_b32 s19, exec_lo
	v_cmpx_eq_u16_e64 v8, v9
	s_cbranch_execz .LBB34_46
; %bb.48:                               ;   in Loop: Header=BB34_47 Depth=2
	s_add_nc_u64 s[2:3], s[2:3], -1
	v_add_nc_u64_e32 v[6:7], 1, v[6:7]
	s_cmp_eq_u64 s[2:3], 0
	v_add_nc_u64_e32 v[4:5], 1, v[4:5]
	s_cselect_b32 s18, -1, 0
	s_and_not1_b32 s16, s16, exec_lo
	s_and_b32 s18, s18, exec_lo
	s_and_not1_b32 s17, s17, exec_lo
	s_or_b32 s16, s16, s18
                                        ; implicit-def: $sgpr18
	s_branch .LBB34_46
.LBB34_49:                              ;   in Loop: Header=BB34_34 Depth=1
	s_mov_b32 s13, 0
	s_branch .LBB34_33
.LBB34_50:
	s_or_b32 exec_lo, exec_lo, s12
.LBB34_51:
	s_delay_alu instid0(VALU_DEP_1)
	v_add_nc_u32_e32 v1, v10, v12
	s_mov_b32 s13, -1
.LBB34_52:
	s_delay_alu instid0(SALU_CYCLE_1)
	s_and_b32 exec_lo, exec_lo, s13
	s_cbranch_execz .LBB34_54
; %bb.53:
	s_wait_loadcnt 0x0
	global_store_b64 v1, v[2:3], s[6:7] scale_offset
.LBB34_54:
	s_endpgm
	.section	.rodata,"a",@progbits
	.p2align	6, 0x0
	.amdhsa_kernel _ZN7rocprim17ROCPRIM_400000_NS6detail17trampoline_kernelINS0_14default_configENS1_38merge_sort_block_merge_config_selectorIlNS0_10empty_typeEEEZZNS1_27merge_sort_block_merge_implIS3_PlPS5_mZN2at6native12_GLOBAL__N_124unique_dim_cuda_templateIhEESt5tupleIJNSA_6TensorESF_SF_EERKSF_lbbbEUlllE_EE10hipError_tT0_T1_T2_jT3_P12ihipStream_tbPNSt15iterator_traitsISL_E10value_typeEPNSR_ISM_E10value_typeEPSN_NS1_7vsmem_tEENKUlT_SL_SM_SN_E_clIS8_S8_S9_S9_EESK_S10_SL_SM_SN_EUlS10_E1_NS1_11comp_targetILNS1_3genE0ELNS1_11target_archE4294967295ELNS1_3gpuE0ELNS1_3repE0EEENS1_36merge_oddeven_config_static_selectorELNS0_4arch9wavefront6targetE0EEEvSM_
		.amdhsa_group_segment_fixed_size 0
		.amdhsa_private_segment_fixed_size 0
		.amdhsa_kernarg_size 64
		.amdhsa_user_sgpr_count 2
		.amdhsa_user_sgpr_dispatch_ptr 0
		.amdhsa_user_sgpr_queue_ptr 0
		.amdhsa_user_sgpr_kernarg_segment_ptr 1
		.amdhsa_user_sgpr_dispatch_id 0
		.amdhsa_user_sgpr_kernarg_preload_length 0
		.amdhsa_user_sgpr_kernarg_preload_offset 0
		.amdhsa_user_sgpr_private_segment_size 0
		.amdhsa_wavefront_size32 1
		.amdhsa_uses_dynamic_stack 0
		.amdhsa_enable_private_segment 0
		.amdhsa_system_sgpr_workgroup_id_x 1
		.amdhsa_system_sgpr_workgroup_id_y 0
		.amdhsa_system_sgpr_workgroup_id_z 0
		.amdhsa_system_sgpr_workgroup_info 0
		.amdhsa_system_vgpr_workitem_id 0
		.amdhsa_next_free_vgpr 18
		.amdhsa_next_free_sgpr 25
		.amdhsa_named_barrier_count 0
		.amdhsa_reserve_vcc 1
		.amdhsa_float_round_mode_32 0
		.amdhsa_float_round_mode_16_64 0
		.amdhsa_float_denorm_mode_32 3
		.amdhsa_float_denorm_mode_16_64 3
		.amdhsa_fp16_overflow 0
		.amdhsa_memory_ordered 1
		.amdhsa_forward_progress 1
		.amdhsa_inst_pref_size 14
		.amdhsa_round_robin_scheduling 0
		.amdhsa_exception_fp_ieee_invalid_op 0
		.amdhsa_exception_fp_denorm_src 0
		.amdhsa_exception_fp_ieee_div_zero 0
		.amdhsa_exception_fp_ieee_overflow 0
		.amdhsa_exception_fp_ieee_underflow 0
		.amdhsa_exception_fp_ieee_inexact 0
		.amdhsa_exception_int_div_zero 0
	.end_amdhsa_kernel
	.section	.text._ZN7rocprim17ROCPRIM_400000_NS6detail17trampoline_kernelINS0_14default_configENS1_38merge_sort_block_merge_config_selectorIlNS0_10empty_typeEEEZZNS1_27merge_sort_block_merge_implIS3_PlPS5_mZN2at6native12_GLOBAL__N_124unique_dim_cuda_templateIhEESt5tupleIJNSA_6TensorESF_SF_EERKSF_lbbbEUlllE_EE10hipError_tT0_T1_T2_jT3_P12ihipStream_tbPNSt15iterator_traitsISL_E10value_typeEPNSR_ISM_E10value_typeEPSN_NS1_7vsmem_tEENKUlT_SL_SM_SN_E_clIS8_S8_S9_S9_EESK_S10_SL_SM_SN_EUlS10_E1_NS1_11comp_targetILNS1_3genE0ELNS1_11target_archE4294967295ELNS1_3gpuE0ELNS1_3repE0EEENS1_36merge_oddeven_config_static_selectorELNS0_4arch9wavefront6targetE0EEEvSM_,"axG",@progbits,_ZN7rocprim17ROCPRIM_400000_NS6detail17trampoline_kernelINS0_14default_configENS1_38merge_sort_block_merge_config_selectorIlNS0_10empty_typeEEEZZNS1_27merge_sort_block_merge_implIS3_PlPS5_mZN2at6native12_GLOBAL__N_124unique_dim_cuda_templateIhEESt5tupleIJNSA_6TensorESF_SF_EERKSF_lbbbEUlllE_EE10hipError_tT0_T1_T2_jT3_P12ihipStream_tbPNSt15iterator_traitsISL_E10value_typeEPNSR_ISM_E10value_typeEPSN_NS1_7vsmem_tEENKUlT_SL_SM_SN_E_clIS8_S8_S9_S9_EESK_S10_SL_SM_SN_EUlS10_E1_NS1_11comp_targetILNS1_3genE0ELNS1_11target_archE4294967295ELNS1_3gpuE0ELNS1_3repE0EEENS1_36merge_oddeven_config_static_selectorELNS0_4arch9wavefront6targetE0EEEvSM_,comdat
.Lfunc_end34:
	.size	_ZN7rocprim17ROCPRIM_400000_NS6detail17trampoline_kernelINS0_14default_configENS1_38merge_sort_block_merge_config_selectorIlNS0_10empty_typeEEEZZNS1_27merge_sort_block_merge_implIS3_PlPS5_mZN2at6native12_GLOBAL__N_124unique_dim_cuda_templateIhEESt5tupleIJNSA_6TensorESF_SF_EERKSF_lbbbEUlllE_EE10hipError_tT0_T1_T2_jT3_P12ihipStream_tbPNSt15iterator_traitsISL_E10value_typeEPNSR_ISM_E10value_typeEPSN_NS1_7vsmem_tEENKUlT_SL_SM_SN_E_clIS8_S8_S9_S9_EESK_S10_SL_SM_SN_EUlS10_E1_NS1_11comp_targetILNS1_3genE0ELNS1_11target_archE4294967295ELNS1_3gpuE0ELNS1_3repE0EEENS1_36merge_oddeven_config_static_selectorELNS0_4arch9wavefront6targetE0EEEvSM_, .Lfunc_end34-_ZN7rocprim17ROCPRIM_400000_NS6detail17trampoline_kernelINS0_14default_configENS1_38merge_sort_block_merge_config_selectorIlNS0_10empty_typeEEEZZNS1_27merge_sort_block_merge_implIS3_PlPS5_mZN2at6native12_GLOBAL__N_124unique_dim_cuda_templateIhEESt5tupleIJNSA_6TensorESF_SF_EERKSF_lbbbEUlllE_EE10hipError_tT0_T1_T2_jT3_P12ihipStream_tbPNSt15iterator_traitsISL_E10value_typeEPNSR_ISM_E10value_typeEPSN_NS1_7vsmem_tEENKUlT_SL_SM_SN_E_clIS8_S8_S9_S9_EESK_S10_SL_SM_SN_EUlS10_E1_NS1_11comp_targetILNS1_3genE0ELNS1_11target_archE4294967295ELNS1_3gpuE0ELNS1_3repE0EEENS1_36merge_oddeven_config_static_selectorELNS0_4arch9wavefront6targetE0EEEvSM_
                                        ; -- End function
	.set _ZN7rocprim17ROCPRIM_400000_NS6detail17trampoline_kernelINS0_14default_configENS1_38merge_sort_block_merge_config_selectorIlNS0_10empty_typeEEEZZNS1_27merge_sort_block_merge_implIS3_PlPS5_mZN2at6native12_GLOBAL__N_124unique_dim_cuda_templateIhEESt5tupleIJNSA_6TensorESF_SF_EERKSF_lbbbEUlllE_EE10hipError_tT0_T1_T2_jT3_P12ihipStream_tbPNSt15iterator_traitsISL_E10value_typeEPNSR_ISM_E10value_typeEPSN_NS1_7vsmem_tEENKUlT_SL_SM_SN_E_clIS8_S8_S9_S9_EESK_S10_SL_SM_SN_EUlS10_E1_NS1_11comp_targetILNS1_3genE0ELNS1_11target_archE4294967295ELNS1_3gpuE0ELNS1_3repE0EEENS1_36merge_oddeven_config_static_selectorELNS0_4arch9wavefront6targetE0EEEvSM_.num_vgpr, 18
	.set _ZN7rocprim17ROCPRIM_400000_NS6detail17trampoline_kernelINS0_14default_configENS1_38merge_sort_block_merge_config_selectorIlNS0_10empty_typeEEEZZNS1_27merge_sort_block_merge_implIS3_PlPS5_mZN2at6native12_GLOBAL__N_124unique_dim_cuda_templateIhEESt5tupleIJNSA_6TensorESF_SF_EERKSF_lbbbEUlllE_EE10hipError_tT0_T1_T2_jT3_P12ihipStream_tbPNSt15iterator_traitsISL_E10value_typeEPNSR_ISM_E10value_typeEPSN_NS1_7vsmem_tEENKUlT_SL_SM_SN_E_clIS8_S8_S9_S9_EESK_S10_SL_SM_SN_EUlS10_E1_NS1_11comp_targetILNS1_3genE0ELNS1_11target_archE4294967295ELNS1_3gpuE0ELNS1_3repE0EEENS1_36merge_oddeven_config_static_selectorELNS0_4arch9wavefront6targetE0EEEvSM_.num_agpr, 0
	.set _ZN7rocprim17ROCPRIM_400000_NS6detail17trampoline_kernelINS0_14default_configENS1_38merge_sort_block_merge_config_selectorIlNS0_10empty_typeEEEZZNS1_27merge_sort_block_merge_implIS3_PlPS5_mZN2at6native12_GLOBAL__N_124unique_dim_cuda_templateIhEESt5tupleIJNSA_6TensorESF_SF_EERKSF_lbbbEUlllE_EE10hipError_tT0_T1_T2_jT3_P12ihipStream_tbPNSt15iterator_traitsISL_E10value_typeEPNSR_ISM_E10value_typeEPSN_NS1_7vsmem_tEENKUlT_SL_SM_SN_E_clIS8_S8_S9_S9_EESK_S10_SL_SM_SN_EUlS10_E1_NS1_11comp_targetILNS1_3genE0ELNS1_11target_archE4294967295ELNS1_3gpuE0ELNS1_3repE0EEENS1_36merge_oddeven_config_static_selectorELNS0_4arch9wavefront6targetE0EEEvSM_.numbered_sgpr, 25
	.set _ZN7rocprim17ROCPRIM_400000_NS6detail17trampoline_kernelINS0_14default_configENS1_38merge_sort_block_merge_config_selectorIlNS0_10empty_typeEEEZZNS1_27merge_sort_block_merge_implIS3_PlPS5_mZN2at6native12_GLOBAL__N_124unique_dim_cuda_templateIhEESt5tupleIJNSA_6TensorESF_SF_EERKSF_lbbbEUlllE_EE10hipError_tT0_T1_T2_jT3_P12ihipStream_tbPNSt15iterator_traitsISL_E10value_typeEPNSR_ISM_E10value_typeEPSN_NS1_7vsmem_tEENKUlT_SL_SM_SN_E_clIS8_S8_S9_S9_EESK_S10_SL_SM_SN_EUlS10_E1_NS1_11comp_targetILNS1_3genE0ELNS1_11target_archE4294967295ELNS1_3gpuE0ELNS1_3repE0EEENS1_36merge_oddeven_config_static_selectorELNS0_4arch9wavefront6targetE0EEEvSM_.num_named_barrier, 0
	.set _ZN7rocprim17ROCPRIM_400000_NS6detail17trampoline_kernelINS0_14default_configENS1_38merge_sort_block_merge_config_selectorIlNS0_10empty_typeEEEZZNS1_27merge_sort_block_merge_implIS3_PlPS5_mZN2at6native12_GLOBAL__N_124unique_dim_cuda_templateIhEESt5tupleIJNSA_6TensorESF_SF_EERKSF_lbbbEUlllE_EE10hipError_tT0_T1_T2_jT3_P12ihipStream_tbPNSt15iterator_traitsISL_E10value_typeEPNSR_ISM_E10value_typeEPSN_NS1_7vsmem_tEENKUlT_SL_SM_SN_E_clIS8_S8_S9_S9_EESK_S10_SL_SM_SN_EUlS10_E1_NS1_11comp_targetILNS1_3genE0ELNS1_11target_archE4294967295ELNS1_3gpuE0ELNS1_3repE0EEENS1_36merge_oddeven_config_static_selectorELNS0_4arch9wavefront6targetE0EEEvSM_.private_seg_size, 0
	.set _ZN7rocprim17ROCPRIM_400000_NS6detail17trampoline_kernelINS0_14default_configENS1_38merge_sort_block_merge_config_selectorIlNS0_10empty_typeEEEZZNS1_27merge_sort_block_merge_implIS3_PlPS5_mZN2at6native12_GLOBAL__N_124unique_dim_cuda_templateIhEESt5tupleIJNSA_6TensorESF_SF_EERKSF_lbbbEUlllE_EE10hipError_tT0_T1_T2_jT3_P12ihipStream_tbPNSt15iterator_traitsISL_E10value_typeEPNSR_ISM_E10value_typeEPSN_NS1_7vsmem_tEENKUlT_SL_SM_SN_E_clIS8_S8_S9_S9_EESK_S10_SL_SM_SN_EUlS10_E1_NS1_11comp_targetILNS1_3genE0ELNS1_11target_archE4294967295ELNS1_3gpuE0ELNS1_3repE0EEENS1_36merge_oddeven_config_static_selectorELNS0_4arch9wavefront6targetE0EEEvSM_.uses_vcc, 1
	.set _ZN7rocprim17ROCPRIM_400000_NS6detail17trampoline_kernelINS0_14default_configENS1_38merge_sort_block_merge_config_selectorIlNS0_10empty_typeEEEZZNS1_27merge_sort_block_merge_implIS3_PlPS5_mZN2at6native12_GLOBAL__N_124unique_dim_cuda_templateIhEESt5tupleIJNSA_6TensorESF_SF_EERKSF_lbbbEUlllE_EE10hipError_tT0_T1_T2_jT3_P12ihipStream_tbPNSt15iterator_traitsISL_E10value_typeEPNSR_ISM_E10value_typeEPSN_NS1_7vsmem_tEENKUlT_SL_SM_SN_E_clIS8_S8_S9_S9_EESK_S10_SL_SM_SN_EUlS10_E1_NS1_11comp_targetILNS1_3genE0ELNS1_11target_archE4294967295ELNS1_3gpuE0ELNS1_3repE0EEENS1_36merge_oddeven_config_static_selectorELNS0_4arch9wavefront6targetE0EEEvSM_.uses_flat_scratch, 0
	.set _ZN7rocprim17ROCPRIM_400000_NS6detail17trampoline_kernelINS0_14default_configENS1_38merge_sort_block_merge_config_selectorIlNS0_10empty_typeEEEZZNS1_27merge_sort_block_merge_implIS3_PlPS5_mZN2at6native12_GLOBAL__N_124unique_dim_cuda_templateIhEESt5tupleIJNSA_6TensorESF_SF_EERKSF_lbbbEUlllE_EE10hipError_tT0_T1_T2_jT3_P12ihipStream_tbPNSt15iterator_traitsISL_E10value_typeEPNSR_ISM_E10value_typeEPSN_NS1_7vsmem_tEENKUlT_SL_SM_SN_E_clIS8_S8_S9_S9_EESK_S10_SL_SM_SN_EUlS10_E1_NS1_11comp_targetILNS1_3genE0ELNS1_11target_archE4294967295ELNS1_3gpuE0ELNS1_3repE0EEENS1_36merge_oddeven_config_static_selectorELNS0_4arch9wavefront6targetE0EEEvSM_.has_dyn_sized_stack, 0
	.set _ZN7rocprim17ROCPRIM_400000_NS6detail17trampoline_kernelINS0_14default_configENS1_38merge_sort_block_merge_config_selectorIlNS0_10empty_typeEEEZZNS1_27merge_sort_block_merge_implIS3_PlPS5_mZN2at6native12_GLOBAL__N_124unique_dim_cuda_templateIhEESt5tupleIJNSA_6TensorESF_SF_EERKSF_lbbbEUlllE_EE10hipError_tT0_T1_T2_jT3_P12ihipStream_tbPNSt15iterator_traitsISL_E10value_typeEPNSR_ISM_E10value_typeEPSN_NS1_7vsmem_tEENKUlT_SL_SM_SN_E_clIS8_S8_S9_S9_EESK_S10_SL_SM_SN_EUlS10_E1_NS1_11comp_targetILNS1_3genE0ELNS1_11target_archE4294967295ELNS1_3gpuE0ELNS1_3repE0EEENS1_36merge_oddeven_config_static_selectorELNS0_4arch9wavefront6targetE0EEEvSM_.has_recursion, 0
	.set _ZN7rocprim17ROCPRIM_400000_NS6detail17trampoline_kernelINS0_14default_configENS1_38merge_sort_block_merge_config_selectorIlNS0_10empty_typeEEEZZNS1_27merge_sort_block_merge_implIS3_PlPS5_mZN2at6native12_GLOBAL__N_124unique_dim_cuda_templateIhEESt5tupleIJNSA_6TensorESF_SF_EERKSF_lbbbEUlllE_EE10hipError_tT0_T1_T2_jT3_P12ihipStream_tbPNSt15iterator_traitsISL_E10value_typeEPNSR_ISM_E10value_typeEPSN_NS1_7vsmem_tEENKUlT_SL_SM_SN_E_clIS8_S8_S9_S9_EESK_S10_SL_SM_SN_EUlS10_E1_NS1_11comp_targetILNS1_3genE0ELNS1_11target_archE4294967295ELNS1_3gpuE0ELNS1_3repE0EEENS1_36merge_oddeven_config_static_selectorELNS0_4arch9wavefront6targetE0EEEvSM_.has_indirect_call, 0
	.section	.AMDGPU.csdata,"",@progbits
; Kernel info:
; codeLenInByte = 1756
; TotalNumSgprs: 27
; NumVgprs: 18
; ScratchSize: 0
; MemoryBound: 0
; FloatMode: 240
; IeeeMode: 1
; LDSByteSize: 0 bytes/workgroup (compile time only)
; SGPRBlocks: 0
; VGPRBlocks: 1
; NumSGPRsForWavesPerEU: 27
; NumVGPRsForWavesPerEU: 18
; NamedBarCnt: 0
; Occupancy: 16
; WaveLimiterHint : 0
; COMPUTE_PGM_RSRC2:SCRATCH_EN: 0
; COMPUTE_PGM_RSRC2:USER_SGPR: 2
; COMPUTE_PGM_RSRC2:TRAP_HANDLER: 0
; COMPUTE_PGM_RSRC2:TGID_X_EN: 1
; COMPUTE_PGM_RSRC2:TGID_Y_EN: 0
; COMPUTE_PGM_RSRC2:TGID_Z_EN: 0
; COMPUTE_PGM_RSRC2:TIDIG_COMP_CNT: 0
	.section	.text._ZN7rocprim17ROCPRIM_400000_NS6detail17trampoline_kernelINS0_14default_configENS1_38merge_sort_block_merge_config_selectorIlNS0_10empty_typeEEEZZNS1_27merge_sort_block_merge_implIS3_PlPS5_mZN2at6native12_GLOBAL__N_124unique_dim_cuda_templateIhEESt5tupleIJNSA_6TensorESF_SF_EERKSF_lbbbEUlllE_EE10hipError_tT0_T1_T2_jT3_P12ihipStream_tbPNSt15iterator_traitsISL_E10value_typeEPNSR_ISM_E10value_typeEPSN_NS1_7vsmem_tEENKUlT_SL_SM_SN_E_clIS8_S8_S9_S9_EESK_S10_SL_SM_SN_EUlS10_E1_NS1_11comp_targetILNS1_3genE10ELNS1_11target_archE1201ELNS1_3gpuE5ELNS1_3repE0EEENS1_36merge_oddeven_config_static_selectorELNS0_4arch9wavefront6targetE0EEEvSM_,"axG",@progbits,_ZN7rocprim17ROCPRIM_400000_NS6detail17trampoline_kernelINS0_14default_configENS1_38merge_sort_block_merge_config_selectorIlNS0_10empty_typeEEEZZNS1_27merge_sort_block_merge_implIS3_PlPS5_mZN2at6native12_GLOBAL__N_124unique_dim_cuda_templateIhEESt5tupleIJNSA_6TensorESF_SF_EERKSF_lbbbEUlllE_EE10hipError_tT0_T1_T2_jT3_P12ihipStream_tbPNSt15iterator_traitsISL_E10value_typeEPNSR_ISM_E10value_typeEPSN_NS1_7vsmem_tEENKUlT_SL_SM_SN_E_clIS8_S8_S9_S9_EESK_S10_SL_SM_SN_EUlS10_E1_NS1_11comp_targetILNS1_3genE10ELNS1_11target_archE1201ELNS1_3gpuE5ELNS1_3repE0EEENS1_36merge_oddeven_config_static_selectorELNS0_4arch9wavefront6targetE0EEEvSM_,comdat
	.globl	_ZN7rocprim17ROCPRIM_400000_NS6detail17trampoline_kernelINS0_14default_configENS1_38merge_sort_block_merge_config_selectorIlNS0_10empty_typeEEEZZNS1_27merge_sort_block_merge_implIS3_PlPS5_mZN2at6native12_GLOBAL__N_124unique_dim_cuda_templateIhEESt5tupleIJNSA_6TensorESF_SF_EERKSF_lbbbEUlllE_EE10hipError_tT0_T1_T2_jT3_P12ihipStream_tbPNSt15iterator_traitsISL_E10value_typeEPNSR_ISM_E10value_typeEPSN_NS1_7vsmem_tEENKUlT_SL_SM_SN_E_clIS8_S8_S9_S9_EESK_S10_SL_SM_SN_EUlS10_E1_NS1_11comp_targetILNS1_3genE10ELNS1_11target_archE1201ELNS1_3gpuE5ELNS1_3repE0EEENS1_36merge_oddeven_config_static_selectorELNS0_4arch9wavefront6targetE0EEEvSM_ ; -- Begin function _ZN7rocprim17ROCPRIM_400000_NS6detail17trampoline_kernelINS0_14default_configENS1_38merge_sort_block_merge_config_selectorIlNS0_10empty_typeEEEZZNS1_27merge_sort_block_merge_implIS3_PlPS5_mZN2at6native12_GLOBAL__N_124unique_dim_cuda_templateIhEESt5tupleIJNSA_6TensorESF_SF_EERKSF_lbbbEUlllE_EE10hipError_tT0_T1_T2_jT3_P12ihipStream_tbPNSt15iterator_traitsISL_E10value_typeEPNSR_ISM_E10value_typeEPSN_NS1_7vsmem_tEENKUlT_SL_SM_SN_E_clIS8_S8_S9_S9_EESK_S10_SL_SM_SN_EUlS10_E1_NS1_11comp_targetILNS1_3genE10ELNS1_11target_archE1201ELNS1_3gpuE5ELNS1_3repE0EEENS1_36merge_oddeven_config_static_selectorELNS0_4arch9wavefront6targetE0EEEvSM_
	.p2align	8
	.type	_ZN7rocprim17ROCPRIM_400000_NS6detail17trampoline_kernelINS0_14default_configENS1_38merge_sort_block_merge_config_selectorIlNS0_10empty_typeEEEZZNS1_27merge_sort_block_merge_implIS3_PlPS5_mZN2at6native12_GLOBAL__N_124unique_dim_cuda_templateIhEESt5tupleIJNSA_6TensorESF_SF_EERKSF_lbbbEUlllE_EE10hipError_tT0_T1_T2_jT3_P12ihipStream_tbPNSt15iterator_traitsISL_E10value_typeEPNSR_ISM_E10value_typeEPSN_NS1_7vsmem_tEENKUlT_SL_SM_SN_E_clIS8_S8_S9_S9_EESK_S10_SL_SM_SN_EUlS10_E1_NS1_11comp_targetILNS1_3genE10ELNS1_11target_archE1201ELNS1_3gpuE5ELNS1_3repE0EEENS1_36merge_oddeven_config_static_selectorELNS0_4arch9wavefront6targetE0EEEvSM_,@function
_ZN7rocprim17ROCPRIM_400000_NS6detail17trampoline_kernelINS0_14default_configENS1_38merge_sort_block_merge_config_selectorIlNS0_10empty_typeEEEZZNS1_27merge_sort_block_merge_implIS3_PlPS5_mZN2at6native12_GLOBAL__N_124unique_dim_cuda_templateIhEESt5tupleIJNSA_6TensorESF_SF_EERKSF_lbbbEUlllE_EE10hipError_tT0_T1_T2_jT3_P12ihipStream_tbPNSt15iterator_traitsISL_E10value_typeEPNSR_ISM_E10value_typeEPSN_NS1_7vsmem_tEENKUlT_SL_SM_SN_E_clIS8_S8_S9_S9_EESK_S10_SL_SM_SN_EUlS10_E1_NS1_11comp_targetILNS1_3genE10ELNS1_11target_archE1201ELNS1_3gpuE5ELNS1_3repE0EEENS1_36merge_oddeven_config_static_selectorELNS0_4arch9wavefront6targetE0EEEvSM_: ; @_ZN7rocprim17ROCPRIM_400000_NS6detail17trampoline_kernelINS0_14default_configENS1_38merge_sort_block_merge_config_selectorIlNS0_10empty_typeEEEZZNS1_27merge_sort_block_merge_implIS3_PlPS5_mZN2at6native12_GLOBAL__N_124unique_dim_cuda_templateIhEESt5tupleIJNSA_6TensorESF_SF_EERKSF_lbbbEUlllE_EE10hipError_tT0_T1_T2_jT3_P12ihipStream_tbPNSt15iterator_traitsISL_E10value_typeEPNSR_ISM_E10value_typeEPSN_NS1_7vsmem_tEENKUlT_SL_SM_SN_E_clIS8_S8_S9_S9_EESK_S10_SL_SM_SN_EUlS10_E1_NS1_11comp_targetILNS1_3genE10ELNS1_11target_archE1201ELNS1_3gpuE5ELNS1_3repE0EEENS1_36merge_oddeven_config_static_selectorELNS0_4arch9wavefront6targetE0EEEvSM_
; %bb.0:
	.section	.rodata,"a",@progbits
	.p2align	6, 0x0
	.amdhsa_kernel _ZN7rocprim17ROCPRIM_400000_NS6detail17trampoline_kernelINS0_14default_configENS1_38merge_sort_block_merge_config_selectorIlNS0_10empty_typeEEEZZNS1_27merge_sort_block_merge_implIS3_PlPS5_mZN2at6native12_GLOBAL__N_124unique_dim_cuda_templateIhEESt5tupleIJNSA_6TensorESF_SF_EERKSF_lbbbEUlllE_EE10hipError_tT0_T1_T2_jT3_P12ihipStream_tbPNSt15iterator_traitsISL_E10value_typeEPNSR_ISM_E10value_typeEPSN_NS1_7vsmem_tEENKUlT_SL_SM_SN_E_clIS8_S8_S9_S9_EESK_S10_SL_SM_SN_EUlS10_E1_NS1_11comp_targetILNS1_3genE10ELNS1_11target_archE1201ELNS1_3gpuE5ELNS1_3repE0EEENS1_36merge_oddeven_config_static_selectorELNS0_4arch9wavefront6targetE0EEEvSM_
		.amdhsa_group_segment_fixed_size 0
		.amdhsa_private_segment_fixed_size 0
		.amdhsa_kernarg_size 64
		.amdhsa_user_sgpr_count 2
		.amdhsa_user_sgpr_dispatch_ptr 0
		.amdhsa_user_sgpr_queue_ptr 0
		.amdhsa_user_sgpr_kernarg_segment_ptr 1
		.amdhsa_user_sgpr_dispatch_id 0
		.amdhsa_user_sgpr_kernarg_preload_length 0
		.amdhsa_user_sgpr_kernarg_preload_offset 0
		.amdhsa_user_sgpr_private_segment_size 0
		.amdhsa_wavefront_size32 1
		.amdhsa_uses_dynamic_stack 0
		.amdhsa_enable_private_segment 0
		.amdhsa_system_sgpr_workgroup_id_x 1
		.amdhsa_system_sgpr_workgroup_id_y 0
		.amdhsa_system_sgpr_workgroup_id_z 0
		.amdhsa_system_sgpr_workgroup_info 0
		.amdhsa_system_vgpr_workitem_id 0
		.amdhsa_next_free_vgpr 1
		.amdhsa_next_free_sgpr 1
		.amdhsa_named_barrier_count 0
		.amdhsa_reserve_vcc 0
		.amdhsa_float_round_mode_32 0
		.amdhsa_float_round_mode_16_64 0
		.amdhsa_float_denorm_mode_32 3
		.amdhsa_float_denorm_mode_16_64 3
		.amdhsa_fp16_overflow 0
		.amdhsa_memory_ordered 1
		.amdhsa_forward_progress 1
		.amdhsa_inst_pref_size 0
		.amdhsa_round_robin_scheduling 0
		.amdhsa_exception_fp_ieee_invalid_op 0
		.amdhsa_exception_fp_denorm_src 0
		.amdhsa_exception_fp_ieee_div_zero 0
		.amdhsa_exception_fp_ieee_overflow 0
		.amdhsa_exception_fp_ieee_underflow 0
		.amdhsa_exception_fp_ieee_inexact 0
		.amdhsa_exception_int_div_zero 0
	.end_amdhsa_kernel
	.section	.text._ZN7rocprim17ROCPRIM_400000_NS6detail17trampoline_kernelINS0_14default_configENS1_38merge_sort_block_merge_config_selectorIlNS0_10empty_typeEEEZZNS1_27merge_sort_block_merge_implIS3_PlPS5_mZN2at6native12_GLOBAL__N_124unique_dim_cuda_templateIhEESt5tupleIJNSA_6TensorESF_SF_EERKSF_lbbbEUlllE_EE10hipError_tT0_T1_T2_jT3_P12ihipStream_tbPNSt15iterator_traitsISL_E10value_typeEPNSR_ISM_E10value_typeEPSN_NS1_7vsmem_tEENKUlT_SL_SM_SN_E_clIS8_S8_S9_S9_EESK_S10_SL_SM_SN_EUlS10_E1_NS1_11comp_targetILNS1_3genE10ELNS1_11target_archE1201ELNS1_3gpuE5ELNS1_3repE0EEENS1_36merge_oddeven_config_static_selectorELNS0_4arch9wavefront6targetE0EEEvSM_,"axG",@progbits,_ZN7rocprim17ROCPRIM_400000_NS6detail17trampoline_kernelINS0_14default_configENS1_38merge_sort_block_merge_config_selectorIlNS0_10empty_typeEEEZZNS1_27merge_sort_block_merge_implIS3_PlPS5_mZN2at6native12_GLOBAL__N_124unique_dim_cuda_templateIhEESt5tupleIJNSA_6TensorESF_SF_EERKSF_lbbbEUlllE_EE10hipError_tT0_T1_T2_jT3_P12ihipStream_tbPNSt15iterator_traitsISL_E10value_typeEPNSR_ISM_E10value_typeEPSN_NS1_7vsmem_tEENKUlT_SL_SM_SN_E_clIS8_S8_S9_S9_EESK_S10_SL_SM_SN_EUlS10_E1_NS1_11comp_targetILNS1_3genE10ELNS1_11target_archE1201ELNS1_3gpuE5ELNS1_3repE0EEENS1_36merge_oddeven_config_static_selectorELNS0_4arch9wavefront6targetE0EEEvSM_,comdat
.Lfunc_end35:
	.size	_ZN7rocprim17ROCPRIM_400000_NS6detail17trampoline_kernelINS0_14default_configENS1_38merge_sort_block_merge_config_selectorIlNS0_10empty_typeEEEZZNS1_27merge_sort_block_merge_implIS3_PlPS5_mZN2at6native12_GLOBAL__N_124unique_dim_cuda_templateIhEESt5tupleIJNSA_6TensorESF_SF_EERKSF_lbbbEUlllE_EE10hipError_tT0_T1_T2_jT3_P12ihipStream_tbPNSt15iterator_traitsISL_E10value_typeEPNSR_ISM_E10value_typeEPSN_NS1_7vsmem_tEENKUlT_SL_SM_SN_E_clIS8_S8_S9_S9_EESK_S10_SL_SM_SN_EUlS10_E1_NS1_11comp_targetILNS1_3genE10ELNS1_11target_archE1201ELNS1_3gpuE5ELNS1_3repE0EEENS1_36merge_oddeven_config_static_selectorELNS0_4arch9wavefront6targetE0EEEvSM_, .Lfunc_end35-_ZN7rocprim17ROCPRIM_400000_NS6detail17trampoline_kernelINS0_14default_configENS1_38merge_sort_block_merge_config_selectorIlNS0_10empty_typeEEEZZNS1_27merge_sort_block_merge_implIS3_PlPS5_mZN2at6native12_GLOBAL__N_124unique_dim_cuda_templateIhEESt5tupleIJNSA_6TensorESF_SF_EERKSF_lbbbEUlllE_EE10hipError_tT0_T1_T2_jT3_P12ihipStream_tbPNSt15iterator_traitsISL_E10value_typeEPNSR_ISM_E10value_typeEPSN_NS1_7vsmem_tEENKUlT_SL_SM_SN_E_clIS8_S8_S9_S9_EESK_S10_SL_SM_SN_EUlS10_E1_NS1_11comp_targetILNS1_3genE10ELNS1_11target_archE1201ELNS1_3gpuE5ELNS1_3repE0EEENS1_36merge_oddeven_config_static_selectorELNS0_4arch9wavefront6targetE0EEEvSM_
                                        ; -- End function
	.set _ZN7rocprim17ROCPRIM_400000_NS6detail17trampoline_kernelINS0_14default_configENS1_38merge_sort_block_merge_config_selectorIlNS0_10empty_typeEEEZZNS1_27merge_sort_block_merge_implIS3_PlPS5_mZN2at6native12_GLOBAL__N_124unique_dim_cuda_templateIhEESt5tupleIJNSA_6TensorESF_SF_EERKSF_lbbbEUlllE_EE10hipError_tT0_T1_T2_jT3_P12ihipStream_tbPNSt15iterator_traitsISL_E10value_typeEPNSR_ISM_E10value_typeEPSN_NS1_7vsmem_tEENKUlT_SL_SM_SN_E_clIS8_S8_S9_S9_EESK_S10_SL_SM_SN_EUlS10_E1_NS1_11comp_targetILNS1_3genE10ELNS1_11target_archE1201ELNS1_3gpuE5ELNS1_3repE0EEENS1_36merge_oddeven_config_static_selectorELNS0_4arch9wavefront6targetE0EEEvSM_.num_vgpr, 0
	.set _ZN7rocprim17ROCPRIM_400000_NS6detail17trampoline_kernelINS0_14default_configENS1_38merge_sort_block_merge_config_selectorIlNS0_10empty_typeEEEZZNS1_27merge_sort_block_merge_implIS3_PlPS5_mZN2at6native12_GLOBAL__N_124unique_dim_cuda_templateIhEESt5tupleIJNSA_6TensorESF_SF_EERKSF_lbbbEUlllE_EE10hipError_tT0_T1_T2_jT3_P12ihipStream_tbPNSt15iterator_traitsISL_E10value_typeEPNSR_ISM_E10value_typeEPSN_NS1_7vsmem_tEENKUlT_SL_SM_SN_E_clIS8_S8_S9_S9_EESK_S10_SL_SM_SN_EUlS10_E1_NS1_11comp_targetILNS1_3genE10ELNS1_11target_archE1201ELNS1_3gpuE5ELNS1_3repE0EEENS1_36merge_oddeven_config_static_selectorELNS0_4arch9wavefront6targetE0EEEvSM_.num_agpr, 0
	.set _ZN7rocprim17ROCPRIM_400000_NS6detail17trampoline_kernelINS0_14default_configENS1_38merge_sort_block_merge_config_selectorIlNS0_10empty_typeEEEZZNS1_27merge_sort_block_merge_implIS3_PlPS5_mZN2at6native12_GLOBAL__N_124unique_dim_cuda_templateIhEESt5tupleIJNSA_6TensorESF_SF_EERKSF_lbbbEUlllE_EE10hipError_tT0_T1_T2_jT3_P12ihipStream_tbPNSt15iterator_traitsISL_E10value_typeEPNSR_ISM_E10value_typeEPSN_NS1_7vsmem_tEENKUlT_SL_SM_SN_E_clIS8_S8_S9_S9_EESK_S10_SL_SM_SN_EUlS10_E1_NS1_11comp_targetILNS1_3genE10ELNS1_11target_archE1201ELNS1_3gpuE5ELNS1_3repE0EEENS1_36merge_oddeven_config_static_selectorELNS0_4arch9wavefront6targetE0EEEvSM_.numbered_sgpr, 0
	.set _ZN7rocprim17ROCPRIM_400000_NS6detail17trampoline_kernelINS0_14default_configENS1_38merge_sort_block_merge_config_selectorIlNS0_10empty_typeEEEZZNS1_27merge_sort_block_merge_implIS3_PlPS5_mZN2at6native12_GLOBAL__N_124unique_dim_cuda_templateIhEESt5tupleIJNSA_6TensorESF_SF_EERKSF_lbbbEUlllE_EE10hipError_tT0_T1_T2_jT3_P12ihipStream_tbPNSt15iterator_traitsISL_E10value_typeEPNSR_ISM_E10value_typeEPSN_NS1_7vsmem_tEENKUlT_SL_SM_SN_E_clIS8_S8_S9_S9_EESK_S10_SL_SM_SN_EUlS10_E1_NS1_11comp_targetILNS1_3genE10ELNS1_11target_archE1201ELNS1_3gpuE5ELNS1_3repE0EEENS1_36merge_oddeven_config_static_selectorELNS0_4arch9wavefront6targetE0EEEvSM_.num_named_barrier, 0
	.set _ZN7rocprim17ROCPRIM_400000_NS6detail17trampoline_kernelINS0_14default_configENS1_38merge_sort_block_merge_config_selectorIlNS0_10empty_typeEEEZZNS1_27merge_sort_block_merge_implIS3_PlPS5_mZN2at6native12_GLOBAL__N_124unique_dim_cuda_templateIhEESt5tupleIJNSA_6TensorESF_SF_EERKSF_lbbbEUlllE_EE10hipError_tT0_T1_T2_jT3_P12ihipStream_tbPNSt15iterator_traitsISL_E10value_typeEPNSR_ISM_E10value_typeEPSN_NS1_7vsmem_tEENKUlT_SL_SM_SN_E_clIS8_S8_S9_S9_EESK_S10_SL_SM_SN_EUlS10_E1_NS1_11comp_targetILNS1_3genE10ELNS1_11target_archE1201ELNS1_3gpuE5ELNS1_3repE0EEENS1_36merge_oddeven_config_static_selectorELNS0_4arch9wavefront6targetE0EEEvSM_.private_seg_size, 0
	.set _ZN7rocprim17ROCPRIM_400000_NS6detail17trampoline_kernelINS0_14default_configENS1_38merge_sort_block_merge_config_selectorIlNS0_10empty_typeEEEZZNS1_27merge_sort_block_merge_implIS3_PlPS5_mZN2at6native12_GLOBAL__N_124unique_dim_cuda_templateIhEESt5tupleIJNSA_6TensorESF_SF_EERKSF_lbbbEUlllE_EE10hipError_tT0_T1_T2_jT3_P12ihipStream_tbPNSt15iterator_traitsISL_E10value_typeEPNSR_ISM_E10value_typeEPSN_NS1_7vsmem_tEENKUlT_SL_SM_SN_E_clIS8_S8_S9_S9_EESK_S10_SL_SM_SN_EUlS10_E1_NS1_11comp_targetILNS1_3genE10ELNS1_11target_archE1201ELNS1_3gpuE5ELNS1_3repE0EEENS1_36merge_oddeven_config_static_selectorELNS0_4arch9wavefront6targetE0EEEvSM_.uses_vcc, 0
	.set _ZN7rocprim17ROCPRIM_400000_NS6detail17trampoline_kernelINS0_14default_configENS1_38merge_sort_block_merge_config_selectorIlNS0_10empty_typeEEEZZNS1_27merge_sort_block_merge_implIS3_PlPS5_mZN2at6native12_GLOBAL__N_124unique_dim_cuda_templateIhEESt5tupleIJNSA_6TensorESF_SF_EERKSF_lbbbEUlllE_EE10hipError_tT0_T1_T2_jT3_P12ihipStream_tbPNSt15iterator_traitsISL_E10value_typeEPNSR_ISM_E10value_typeEPSN_NS1_7vsmem_tEENKUlT_SL_SM_SN_E_clIS8_S8_S9_S9_EESK_S10_SL_SM_SN_EUlS10_E1_NS1_11comp_targetILNS1_3genE10ELNS1_11target_archE1201ELNS1_3gpuE5ELNS1_3repE0EEENS1_36merge_oddeven_config_static_selectorELNS0_4arch9wavefront6targetE0EEEvSM_.uses_flat_scratch, 0
	.set _ZN7rocprim17ROCPRIM_400000_NS6detail17trampoline_kernelINS0_14default_configENS1_38merge_sort_block_merge_config_selectorIlNS0_10empty_typeEEEZZNS1_27merge_sort_block_merge_implIS3_PlPS5_mZN2at6native12_GLOBAL__N_124unique_dim_cuda_templateIhEESt5tupleIJNSA_6TensorESF_SF_EERKSF_lbbbEUlllE_EE10hipError_tT0_T1_T2_jT3_P12ihipStream_tbPNSt15iterator_traitsISL_E10value_typeEPNSR_ISM_E10value_typeEPSN_NS1_7vsmem_tEENKUlT_SL_SM_SN_E_clIS8_S8_S9_S9_EESK_S10_SL_SM_SN_EUlS10_E1_NS1_11comp_targetILNS1_3genE10ELNS1_11target_archE1201ELNS1_3gpuE5ELNS1_3repE0EEENS1_36merge_oddeven_config_static_selectorELNS0_4arch9wavefront6targetE0EEEvSM_.has_dyn_sized_stack, 0
	.set _ZN7rocprim17ROCPRIM_400000_NS6detail17trampoline_kernelINS0_14default_configENS1_38merge_sort_block_merge_config_selectorIlNS0_10empty_typeEEEZZNS1_27merge_sort_block_merge_implIS3_PlPS5_mZN2at6native12_GLOBAL__N_124unique_dim_cuda_templateIhEESt5tupleIJNSA_6TensorESF_SF_EERKSF_lbbbEUlllE_EE10hipError_tT0_T1_T2_jT3_P12ihipStream_tbPNSt15iterator_traitsISL_E10value_typeEPNSR_ISM_E10value_typeEPSN_NS1_7vsmem_tEENKUlT_SL_SM_SN_E_clIS8_S8_S9_S9_EESK_S10_SL_SM_SN_EUlS10_E1_NS1_11comp_targetILNS1_3genE10ELNS1_11target_archE1201ELNS1_3gpuE5ELNS1_3repE0EEENS1_36merge_oddeven_config_static_selectorELNS0_4arch9wavefront6targetE0EEEvSM_.has_recursion, 0
	.set _ZN7rocprim17ROCPRIM_400000_NS6detail17trampoline_kernelINS0_14default_configENS1_38merge_sort_block_merge_config_selectorIlNS0_10empty_typeEEEZZNS1_27merge_sort_block_merge_implIS3_PlPS5_mZN2at6native12_GLOBAL__N_124unique_dim_cuda_templateIhEESt5tupleIJNSA_6TensorESF_SF_EERKSF_lbbbEUlllE_EE10hipError_tT0_T1_T2_jT3_P12ihipStream_tbPNSt15iterator_traitsISL_E10value_typeEPNSR_ISM_E10value_typeEPSN_NS1_7vsmem_tEENKUlT_SL_SM_SN_E_clIS8_S8_S9_S9_EESK_S10_SL_SM_SN_EUlS10_E1_NS1_11comp_targetILNS1_3genE10ELNS1_11target_archE1201ELNS1_3gpuE5ELNS1_3repE0EEENS1_36merge_oddeven_config_static_selectorELNS0_4arch9wavefront6targetE0EEEvSM_.has_indirect_call, 0
	.section	.AMDGPU.csdata,"",@progbits
; Kernel info:
; codeLenInByte = 0
; TotalNumSgprs: 0
; NumVgprs: 0
; ScratchSize: 0
; MemoryBound: 0
; FloatMode: 240
; IeeeMode: 1
; LDSByteSize: 0 bytes/workgroup (compile time only)
; SGPRBlocks: 0
; VGPRBlocks: 0
; NumSGPRsForWavesPerEU: 1
; NumVGPRsForWavesPerEU: 1
; NamedBarCnt: 0
; Occupancy: 16
; WaveLimiterHint : 0
; COMPUTE_PGM_RSRC2:SCRATCH_EN: 0
; COMPUTE_PGM_RSRC2:USER_SGPR: 2
; COMPUTE_PGM_RSRC2:TRAP_HANDLER: 0
; COMPUTE_PGM_RSRC2:TGID_X_EN: 1
; COMPUTE_PGM_RSRC2:TGID_Y_EN: 0
; COMPUTE_PGM_RSRC2:TGID_Z_EN: 0
; COMPUTE_PGM_RSRC2:TIDIG_COMP_CNT: 0
	.section	.text._ZN7rocprim17ROCPRIM_400000_NS6detail17trampoline_kernelINS0_14default_configENS1_38merge_sort_block_merge_config_selectorIlNS0_10empty_typeEEEZZNS1_27merge_sort_block_merge_implIS3_PlPS5_mZN2at6native12_GLOBAL__N_124unique_dim_cuda_templateIhEESt5tupleIJNSA_6TensorESF_SF_EERKSF_lbbbEUlllE_EE10hipError_tT0_T1_T2_jT3_P12ihipStream_tbPNSt15iterator_traitsISL_E10value_typeEPNSR_ISM_E10value_typeEPSN_NS1_7vsmem_tEENKUlT_SL_SM_SN_E_clIS8_S8_S9_S9_EESK_S10_SL_SM_SN_EUlS10_E1_NS1_11comp_targetILNS1_3genE5ELNS1_11target_archE942ELNS1_3gpuE9ELNS1_3repE0EEENS1_36merge_oddeven_config_static_selectorELNS0_4arch9wavefront6targetE0EEEvSM_,"axG",@progbits,_ZN7rocprim17ROCPRIM_400000_NS6detail17trampoline_kernelINS0_14default_configENS1_38merge_sort_block_merge_config_selectorIlNS0_10empty_typeEEEZZNS1_27merge_sort_block_merge_implIS3_PlPS5_mZN2at6native12_GLOBAL__N_124unique_dim_cuda_templateIhEESt5tupleIJNSA_6TensorESF_SF_EERKSF_lbbbEUlllE_EE10hipError_tT0_T1_T2_jT3_P12ihipStream_tbPNSt15iterator_traitsISL_E10value_typeEPNSR_ISM_E10value_typeEPSN_NS1_7vsmem_tEENKUlT_SL_SM_SN_E_clIS8_S8_S9_S9_EESK_S10_SL_SM_SN_EUlS10_E1_NS1_11comp_targetILNS1_3genE5ELNS1_11target_archE942ELNS1_3gpuE9ELNS1_3repE0EEENS1_36merge_oddeven_config_static_selectorELNS0_4arch9wavefront6targetE0EEEvSM_,comdat
	.globl	_ZN7rocprim17ROCPRIM_400000_NS6detail17trampoline_kernelINS0_14default_configENS1_38merge_sort_block_merge_config_selectorIlNS0_10empty_typeEEEZZNS1_27merge_sort_block_merge_implIS3_PlPS5_mZN2at6native12_GLOBAL__N_124unique_dim_cuda_templateIhEESt5tupleIJNSA_6TensorESF_SF_EERKSF_lbbbEUlllE_EE10hipError_tT0_T1_T2_jT3_P12ihipStream_tbPNSt15iterator_traitsISL_E10value_typeEPNSR_ISM_E10value_typeEPSN_NS1_7vsmem_tEENKUlT_SL_SM_SN_E_clIS8_S8_S9_S9_EESK_S10_SL_SM_SN_EUlS10_E1_NS1_11comp_targetILNS1_3genE5ELNS1_11target_archE942ELNS1_3gpuE9ELNS1_3repE0EEENS1_36merge_oddeven_config_static_selectorELNS0_4arch9wavefront6targetE0EEEvSM_ ; -- Begin function _ZN7rocprim17ROCPRIM_400000_NS6detail17trampoline_kernelINS0_14default_configENS1_38merge_sort_block_merge_config_selectorIlNS0_10empty_typeEEEZZNS1_27merge_sort_block_merge_implIS3_PlPS5_mZN2at6native12_GLOBAL__N_124unique_dim_cuda_templateIhEESt5tupleIJNSA_6TensorESF_SF_EERKSF_lbbbEUlllE_EE10hipError_tT0_T1_T2_jT3_P12ihipStream_tbPNSt15iterator_traitsISL_E10value_typeEPNSR_ISM_E10value_typeEPSN_NS1_7vsmem_tEENKUlT_SL_SM_SN_E_clIS8_S8_S9_S9_EESK_S10_SL_SM_SN_EUlS10_E1_NS1_11comp_targetILNS1_3genE5ELNS1_11target_archE942ELNS1_3gpuE9ELNS1_3repE0EEENS1_36merge_oddeven_config_static_selectorELNS0_4arch9wavefront6targetE0EEEvSM_
	.p2align	8
	.type	_ZN7rocprim17ROCPRIM_400000_NS6detail17trampoline_kernelINS0_14default_configENS1_38merge_sort_block_merge_config_selectorIlNS0_10empty_typeEEEZZNS1_27merge_sort_block_merge_implIS3_PlPS5_mZN2at6native12_GLOBAL__N_124unique_dim_cuda_templateIhEESt5tupleIJNSA_6TensorESF_SF_EERKSF_lbbbEUlllE_EE10hipError_tT0_T1_T2_jT3_P12ihipStream_tbPNSt15iterator_traitsISL_E10value_typeEPNSR_ISM_E10value_typeEPSN_NS1_7vsmem_tEENKUlT_SL_SM_SN_E_clIS8_S8_S9_S9_EESK_S10_SL_SM_SN_EUlS10_E1_NS1_11comp_targetILNS1_3genE5ELNS1_11target_archE942ELNS1_3gpuE9ELNS1_3repE0EEENS1_36merge_oddeven_config_static_selectorELNS0_4arch9wavefront6targetE0EEEvSM_,@function
_ZN7rocprim17ROCPRIM_400000_NS6detail17trampoline_kernelINS0_14default_configENS1_38merge_sort_block_merge_config_selectorIlNS0_10empty_typeEEEZZNS1_27merge_sort_block_merge_implIS3_PlPS5_mZN2at6native12_GLOBAL__N_124unique_dim_cuda_templateIhEESt5tupleIJNSA_6TensorESF_SF_EERKSF_lbbbEUlllE_EE10hipError_tT0_T1_T2_jT3_P12ihipStream_tbPNSt15iterator_traitsISL_E10value_typeEPNSR_ISM_E10value_typeEPSN_NS1_7vsmem_tEENKUlT_SL_SM_SN_E_clIS8_S8_S9_S9_EESK_S10_SL_SM_SN_EUlS10_E1_NS1_11comp_targetILNS1_3genE5ELNS1_11target_archE942ELNS1_3gpuE9ELNS1_3repE0EEENS1_36merge_oddeven_config_static_selectorELNS0_4arch9wavefront6targetE0EEEvSM_: ; @_ZN7rocprim17ROCPRIM_400000_NS6detail17trampoline_kernelINS0_14default_configENS1_38merge_sort_block_merge_config_selectorIlNS0_10empty_typeEEEZZNS1_27merge_sort_block_merge_implIS3_PlPS5_mZN2at6native12_GLOBAL__N_124unique_dim_cuda_templateIhEESt5tupleIJNSA_6TensorESF_SF_EERKSF_lbbbEUlllE_EE10hipError_tT0_T1_T2_jT3_P12ihipStream_tbPNSt15iterator_traitsISL_E10value_typeEPNSR_ISM_E10value_typeEPSN_NS1_7vsmem_tEENKUlT_SL_SM_SN_E_clIS8_S8_S9_S9_EESK_S10_SL_SM_SN_EUlS10_E1_NS1_11comp_targetILNS1_3genE5ELNS1_11target_archE942ELNS1_3gpuE9ELNS1_3repE0EEENS1_36merge_oddeven_config_static_selectorELNS0_4arch9wavefront6targetE0EEEvSM_
; %bb.0:
	.section	.rodata,"a",@progbits
	.p2align	6, 0x0
	.amdhsa_kernel _ZN7rocprim17ROCPRIM_400000_NS6detail17trampoline_kernelINS0_14default_configENS1_38merge_sort_block_merge_config_selectorIlNS0_10empty_typeEEEZZNS1_27merge_sort_block_merge_implIS3_PlPS5_mZN2at6native12_GLOBAL__N_124unique_dim_cuda_templateIhEESt5tupleIJNSA_6TensorESF_SF_EERKSF_lbbbEUlllE_EE10hipError_tT0_T1_T2_jT3_P12ihipStream_tbPNSt15iterator_traitsISL_E10value_typeEPNSR_ISM_E10value_typeEPSN_NS1_7vsmem_tEENKUlT_SL_SM_SN_E_clIS8_S8_S9_S9_EESK_S10_SL_SM_SN_EUlS10_E1_NS1_11comp_targetILNS1_3genE5ELNS1_11target_archE942ELNS1_3gpuE9ELNS1_3repE0EEENS1_36merge_oddeven_config_static_selectorELNS0_4arch9wavefront6targetE0EEEvSM_
		.amdhsa_group_segment_fixed_size 0
		.amdhsa_private_segment_fixed_size 0
		.amdhsa_kernarg_size 64
		.amdhsa_user_sgpr_count 2
		.amdhsa_user_sgpr_dispatch_ptr 0
		.amdhsa_user_sgpr_queue_ptr 0
		.amdhsa_user_sgpr_kernarg_segment_ptr 1
		.amdhsa_user_sgpr_dispatch_id 0
		.amdhsa_user_sgpr_kernarg_preload_length 0
		.amdhsa_user_sgpr_kernarg_preload_offset 0
		.amdhsa_user_sgpr_private_segment_size 0
		.amdhsa_wavefront_size32 1
		.amdhsa_uses_dynamic_stack 0
		.amdhsa_enable_private_segment 0
		.amdhsa_system_sgpr_workgroup_id_x 1
		.amdhsa_system_sgpr_workgroup_id_y 0
		.amdhsa_system_sgpr_workgroup_id_z 0
		.amdhsa_system_sgpr_workgroup_info 0
		.amdhsa_system_vgpr_workitem_id 0
		.amdhsa_next_free_vgpr 1
		.amdhsa_next_free_sgpr 1
		.amdhsa_named_barrier_count 0
		.amdhsa_reserve_vcc 0
		.amdhsa_float_round_mode_32 0
		.amdhsa_float_round_mode_16_64 0
		.amdhsa_float_denorm_mode_32 3
		.amdhsa_float_denorm_mode_16_64 3
		.amdhsa_fp16_overflow 0
		.amdhsa_memory_ordered 1
		.amdhsa_forward_progress 1
		.amdhsa_inst_pref_size 0
		.amdhsa_round_robin_scheduling 0
		.amdhsa_exception_fp_ieee_invalid_op 0
		.amdhsa_exception_fp_denorm_src 0
		.amdhsa_exception_fp_ieee_div_zero 0
		.amdhsa_exception_fp_ieee_overflow 0
		.amdhsa_exception_fp_ieee_underflow 0
		.amdhsa_exception_fp_ieee_inexact 0
		.amdhsa_exception_int_div_zero 0
	.end_amdhsa_kernel
	.section	.text._ZN7rocprim17ROCPRIM_400000_NS6detail17trampoline_kernelINS0_14default_configENS1_38merge_sort_block_merge_config_selectorIlNS0_10empty_typeEEEZZNS1_27merge_sort_block_merge_implIS3_PlPS5_mZN2at6native12_GLOBAL__N_124unique_dim_cuda_templateIhEESt5tupleIJNSA_6TensorESF_SF_EERKSF_lbbbEUlllE_EE10hipError_tT0_T1_T2_jT3_P12ihipStream_tbPNSt15iterator_traitsISL_E10value_typeEPNSR_ISM_E10value_typeEPSN_NS1_7vsmem_tEENKUlT_SL_SM_SN_E_clIS8_S8_S9_S9_EESK_S10_SL_SM_SN_EUlS10_E1_NS1_11comp_targetILNS1_3genE5ELNS1_11target_archE942ELNS1_3gpuE9ELNS1_3repE0EEENS1_36merge_oddeven_config_static_selectorELNS0_4arch9wavefront6targetE0EEEvSM_,"axG",@progbits,_ZN7rocprim17ROCPRIM_400000_NS6detail17trampoline_kernelINS0_14default_configENS1_38merge_sort_block_merge_config_selectorIlNS0_10empty_typeEEEZZNS1_27merge_sort_block_merge_implIS3_PlPS5_mZN2at6native12_GLOBAL__N_124unique_dim_cuda_templateIhEESt5tupleIJNSA_6TensorESF_SF_EERKSF_lbbbEUlllE_EE10hipError_tT0_T1_T2_jT3_P12ihipStream_tbPNSt15iterator_traitsISL_E10value_typeEPNSR_ISM_E10value_typeEPSN_NS1_7vsmem_tEENKUlT_SL_SM_SN_E_clIS8_S8_S9_S9_EESK_S10_SL_SM_SN_EUlS10_E1_NS1_11comp_targetILNS1_3genE5ELNS1_11target_archE942ELNS1_3gpuE9ELNS1_3repE0EEENS1_36merge_oddeven_config_static_selectorELNS0_4arch9wavefront6targetE0EEEvSM_,comdat
.Lfunc_end36:
	.size	_ZN7rocprim17ROCPRIM_400000_NS6detail17trampoline_kernelINS0_14default_configENS1_38merge_sort_block_merge_config_selectorIlNS0_10empty_typeEEEZZNS1_27merge_sort_block_merge_implIS3_PlPS5_mZN2at6native12_GLOBAL__N_124unique_dim_cuda_templateIhEESt5tupleIJNSA_6TensorESF_SF_EERKSF_lbbbEUlllE_EE10hipError_tT0_T1_T2_jT3_P12ihipStream_tbPNSt15iterator_traitsISL_E10value_typeEPNSR_ISM_E10value_typeEPSN_NS1_7vsmem_tEENKUlT_SL_SM_SN_E_clIS8_S8_S9_S9_EESK_S10_SL_SM_SN_EUlS10_E1_NS1_11comp_targetILNS1_3genE5ELNS1_11target_archE942ELNS1_3gpuE9ELNS1_3repE0EEENS1_36merge_oddeven_config_static_selectorELNS0_4arch9wavefront6targetE0EEEvSM_, .Lfunc_end36-_ZN7rocprim17ROCPRIM_400000_NS6detail17trampoline_kernelINS0_14default_configENS1_38merge_sort_block_merge_config_selectorIlNS0_10empty_typeEEEZZNS1_27merge_sort_block_merge_implIS3_PlPS5_mZN2at6native12_GLOBAL__N_124unique_dim_cuda_templateIhEESt5tupleIJNSA_6TensorESF_SF_EERKSF_lbbbEUlllE_EE10hipError_tT0_T1_T2_jT3_P12ihipStream_tbPNSt15iterator_traitsISL_E10value_typeEPNSR_ISM_E10value_typeEPSN_NS1_7vsmem_tEENKUlT_SL_SM_SN_E_clIS8_S8_S9_S9_EESK_S10_SL_SM_SN_EUlS10_E1_NS1_11comp_targetILNS1_3genE5ELNS1_11target_archE942ELNS1_3gpuE9ELNS1_3repE0EEENS1_36merge_oddeven_config_static_selectorELNS0_4arch9wavefront6targetE0EEEvSM_
                                        ; -- End function
	.set _ZN7rocprim17ROCPRIM_400000_NS6detail17trampoline_kernelINS0_14default_configENS1_38merge_sort_block_merge_config_selectorIlNS0_10empty_typeEEEZZNS1_27merge_sort_block_merge_implIS3_PlPS5_mZN2at6native12_GLOBAL__N_124unique_dim_cuda_templateIhEESt5tupleIJNSA_6TensorESF_SF_EERKSF_lbbbEUlllE_EE10hipError_tT0_T1_T2_jT3_P12ihipStream_tbPNSt15iterator_traitsISL_E10value_typeEPNSR_ISM_E10value_typeEPSN_NS1_7vsmem_tEENKUlT_SL_SM_SN_E_clIS8_S8_S9_S9_EESK_S10_SL_SM_SN_EUlS10_E1_NS1_11comp_targetILNS1_3genE5ELNS1_11target_archE942ELNS1_3gpuE9ELNS1_3repE0EEENS1_36merge_oddeven_config_static_selectorELNS0_4arch9wavefront6targetE0EEEvSM_.num_vgpr, 0
	.set _ZN7rocprim17ROCPRIM_400000_NS6detail17trampoline_kernelINS0_14default_configENS1_38merge_sort_block_merge_config_selectorIlNS0_10empty_typeEEEZZNS1_27merge_sort_block_merge_implIS3_PlPS5_mZN2at6native12_GLOBAL__N_124unique_dim_cuda_templateIhEESt5tupleIJNSA_6TensorESF_SF_EERKSF_lbbbEUlllE_EE10hipError_tT0_T1_T2_jT3_P12ihipStream_tbPNSt15iterator_traitsISL_E10value_typeEPNSR_ISM_E10value_typeEPSN_NS1_7vsmem_tEENKUlT_SL_SM_SN_E_clIS8_S8_S9_S9_EESK_S10_SL_SM_SN_EUlS10_E1_NS1_11comp_targetILNS1_3genE5ELNS1_11target_archE942ELNS1_3gpuE9ELNS1_3repE0EEENS1_36merge_oddeven_config_static_selectorELNS0_4arch9wavefront6targetE0EEEvSM_.num_agpr, 0
	.set _ZN7rocprim17ROCPRIM_400000_NS6detail17trampoline_kernelINS0_14default_configENS1_38merge_sort_block_merge_config_selectorIlNS0_10empty_typeEEEZZNS1_27merge_sort_block_merge_implIS3_PlPS5_mZN2at6native12_GLOBAL__N_124unique_dim_cuda_templateIhEESt5tupleIJNSA_6TensorESF_SF_EERKSF_lbbbEUlllE_EE10hipError_tT0_T1_T2_jT3_P12ihipStream_tbPNSt15iterator_traitsISL_E10value_typeEPNSR_ISM_E10value_typeEPSN_NS1_7vsmem_tEENKUlT_SL_SM_SN_E_clIS8_S8_S9_S9_EESK_S10_SL_SM_SN_EUlS10_E1_NS1_11comp_targetILNS1_3genE5ELNS1_11target_archE942ELNS1_3gpuE9ELNS1_3repE0EEENS1_36merge_oddeven_config_static_selectorELNS0_4arch9wavefront6targetE0EEEvSM_.numbered_sgpr, 0
	.set _ZN7rocprim17ROCPRIM_400000_NS6detail17trampoline_kernelINS0_14default_configENS1_38merge_sort_block_merge_config_selectorIlNS0_10empty_typeEEEZZNS1_27merge_sort_block_merge_implIS3_PlPS5_mZN2at6native12_GLOBAL__N_124unique_dim_cuda_templateIhEESt5tupleIJNSA_6TensorESF_SF_EERKSF_lbbbEUlllE_EE10hipError_tT0_T1_T2_jT3_P12ihipStream_tbPNSt15iterator_traitsISL_E10value_typeEPNSR_ISM_E10value_typeEPSN_NS1_7vsmem_tEENKUlT_SL_SM_SN_E_clIS8_S8_S9_S9_EESK_S10_SL_SM_SN_EUlS10_E1_NS1_11comp_targetILNS1_3genE5ELNS1_11target_archE942ELNS1_3gpuE9ELNS1_3repE0EEENS1_36merge_oddeven_config_static_selectorELNS0_4arch9wavefront6targetE0EEEvSM_.num_named_barrier, 0
	.set _ZN7rocprim17ROCPRIM_400000_NS6detail17trampoline_kernelINS0_14default_configENS1_38merge_sort_block_merge_config_selectorIlNS0_10empty_typeEEEZZNS1_27merge_sort_block_merge_implIS3_PlPS5_mZN2at6native12_GLOBAL__N_124unique_dim_cuda_templateIhEESt5tupleIJNSA_6TensorESF_SF_EERKSF_lbbbEUlllE_EE10hipError_tT0_T1_T2_jT3_P12ihipStream_tbPNSt15iterator_traitsISL_E10value_typeEPNSR_ISM_E10value_typeEPSN_NS1_7vsmem_tEENKUlT_SL_SM_SN_E_clIS8_S8_S9_S9_EESK_S10_SL_SM_SN_EUlS10_E1_NS1_11comp_targetILNS1_3genE5ELNS1_11target_archE942ELNS1_3gpuE9ELNS1_3repE0EEENS1_36merge_oddeven_config_static_selectorELNS0_4arch9wavefront6targetE0EEEvSM_.private_seg_size, 0
	.set _ZN7rocprim17ROCPRIM_400000_NS6detail17trampoline_kernelINS0_14default_configENS1_38merge_sort_block_merge_config_selectorIlNS0_10empty_typeEEEZZNS1_27merge_sort_block_merge_implIS3_PlPS5_mZN2at6native12_GLOBAL__N_124unique_dim_cuda_templateIhEESt5tupleIJNSA_6TensorESF_SF_EERKSF_lbbbEUlllE_EE10hipError_tT0_T1_T2_jT3_P12ihipStream_tbPNSt15iterator_traitsISL_E10value_typeEPNSR_ISM_E10value_typeEPSN_NS1_7vsmem_tEENKUlT_SL_SM_SN_E_clIS8_S8_S9_S9_EESK_S10_SL_SM_SN_EUlS10_E1_NS1_11comp_targetILNS1_3genE5ELNS1_11target_archE942ELNS1_3gpuE9ELNS1_3repE0EEENS1_36merge_oddeven_config_static_selectorELNS0_4arch9wavefront6targetE0EEEvSM_.uses_vcc, 0
	.set _ZN7rocprim17ROCPRIM_400000_NS6detail17trampoline_kernelINS0_14default_configENS1_38merge_sort_block_merge_config_selectorIlNS0_10empty_typeEEEZZNS1_27merge_sort_block_merge_implIS3_PlPS5_mZN2at6native12_GLOBAL__N_124unique_dim_cuda_templateIhEESt5tupleIJNSA_6TensorESF_SF_EERKSF_lbbbEUlllE_EE10hipError_tT0_T1_T2_jT3_P12ihipStream_tbPNSt15iterator_traitsISL_E10value_typeEPNSR_ISM_E10value_typeEPSN_NS1_7vsmem_tEENKUlT_SL_SM_SN_E_clIS8_S8_S9_S9_EESK_S10_SL_SM_SN_EUlS10_E1_NS1_11comp_targetILNS1_3genE5ELNS1_11target_archE942ELNS1_3gpuE9ELNS1_3repE0EEENS1_36merge_oddeven_config_static_selectorELNS0_4arch9wavefront6targetE0EEEvSM_.uses_flat_scratch, 0
	.set _ZN7rocprim17ROCPRIM_400000_NS6detail17trampoline_kernelINS0_14default_configENS1_38merge_sort_block_merge_config_selectorIlNS0_10empty_typeEEEZZNS1_27merge_sort_block_merge_implIS3_PlPS5_mZN2at6native12_GLOBAL__N_124unique_dim_cuda_templateIhEESt5tupleIJNSA_6TensorESF_SF_EERKSF_lbbbEUlllE_EE10hipError_tT0_T1_T2_jT3_P12ihipStream_tbPNSt15iterator_traitsISL_E10value_typeEPNSR_ISM_E10value_typeEPSN_NS1_7vsmem_tEENKUlT_SL_SM_SN_E_clIS8_S8_S9_S9_EESK_S10_SL_SM_SN_EUlS10_E1_NS1_11comp_targetILNS1_3genE5ELNS1_11target_archE942ELNS1_3gpuE9ELNS1_3repE0EEENS1_36merge_oddeven_config_static_selectorELNS0_4arch9wavefront6targetE0EEEvSM_.has_dyn_sized_stack, 0
	.set _ZN7rocprim17ROCPRIM_400000_NS6detail17trampoline_kernelINS0_14default_configENS1_38merge_sort_block_merge_config_selectorIlNS0_10empty_typeEEEZZNS1_27merge_sort_block_merge_implIS3_PlPS5_mZN2at6native12_GLOBAL__N_124unique_dim_cuda_templateIhEESt5tupleIJNSA_6TensorESF_SF_EERKSF_lbbbEUlllE_EE10hipError_tT0_T1_T2_jT3_P12ihipStream_tbPNSt15iterator_traitsISL_E10value_typeEPNSR_ISM_E10value_typeEPSN_NS1_7vsmem_tEENKUlT_SL_SM_SN_E_clIS8_S8_S9_S9_EESK_S10_SL_SM_SN_EUlS10_E1_NS1_11comp_targetILNS1_3genE5ELNS1_11target_archE942ELNS1_3gpuE9ELNS1_3repE0EEENS1_36merge_oddeven_config_static_selectorELNS0_4arch9wavefront6targetE0EEEvSM_.has_recursion, 0
	.set _ZN7rocprim17ROCPRIM_400000_NS6detail17trampoline_kernelINS0_14default_configENS1_38merge_sort_block_merge_config_selectorIlNS0_10empty_typeEEEZZNS1_27merge_sort_block_merge_implIS3_PlPS5_mZN2at6native12_GLOBAL__N_124unique_dim_cuda_templateIhEESt5tupleIJNSA_6TensorESF_SF_EERKSF_lbbbEUlllE_EE10hipError_tT0_T1_T2_jT3_P12ihipStream_tbPNSt15iterator_traitsISL_E10value_typeEPNSR_ISM_E10value_typeEPSN_NS1_7vsmem_tEENKUlT_SL_SM_SN_E_clIS8_S8_S9_S9_EESK_S10_SL_SM_SN_EUlS10_E1_NS1_11comp_targetILNS1_3genE5ELNS1_11target_archE942ELNS1_3gpuE9ELNS1_3repE0EEENS1_36merge_oddeven_config_static_selectorELNS0_4arch9wavefront6targetE0EEEvSM_.has_indirect_call, 0
	.section	.AMDGPU.csdata,"",@progbits
; Kernel info:
; codeLenInByte = 0
; TotalNumSgprs: 0
; NumVgprs: 0
; ScratchSize: 0
; MemoryBound: 0
; FloatMode: 240
; IeeeMode: 1
; LDSByteSize: 0 bytes/workgroup (compile time only)
; SGPRBlocks: 0
; VGPRBlocks: 0
; NumSGPRsForWavesPerEU: 1
; NumVGPRsForWavesPerEU: 1
; NamedBarCnt: 0
; Occupancy: 16
; WaveLimiterHint : 0
; COMPUTE_PGM_RSRC2:SCRATCH_EN: 0
; COMPUTE_PGM_RSRC2:USER_SGPR: 2
; COMPUTE_PGM_RSRC2:TRAP_HANDLER: 0
; COMPUTE_PGM_RSRC2:TGID_X_EN: 1
; COMPUTE_PGM_RSRC2:TGID_Y_EN: 0
; COMPUTE_PGM_RSRC2:TGID_Z_EN: 0
; COMPUTE_PGM_RSRC2:TIDIG_COMP_CNT: 0
	.section	.text._ZN7rocprim17ROCPRIM_400000_NS6detail17trampoline_kernelINS0_14default_configENS1_38merge_sort_block_merge_config_selectorIlNS0_10empty_typeEEEZZNS1_27merge_sort_block_merge_implIS3_PlPS5_mZN2at6native12_GLOBAL__N_124unique_dim_cuda_templateIhEESt5tupleIJNSA_6TensorESF_SF_EERKSF_lbbbEUlllE_EE10hipError_tT0_T1_T2_jT3_P12ihipStream_tbPNSt15iterator_traitsISL_E10value_typeEPNSR_ISM_E10value_typeEPSN_NS1_7vsmem_tEENKUlT_SL_SM_SN_E_clIS8_S8_S9_S9_EESK_S10_SL_SM_SN_EUlS10_E1_NS1_11comp_targetILNS1_3genE4ELNS1_11target_archE910ELNS1_3gpuE8ELNS1_3repE0EEENS1_36merge_oddeven_config_static_selectorELNS0_4arch9wavefront6targetE0EEEvSM_,"axG",@progbits,_ZN7rocprim17ROCPRIM_400000_NS6detail17trampoline_kernelINS0_14default_configENS1_38merge_sort_block_merge_config_selectorIlNS0_10empty_typeEEEZZNS1_27merge_sort_block_merge_implIS3_PlPS5_mZN2at6native12_GLOBAL__N_124unique_dim_cuda_templateIhEESt5tupleIJNSA_6TensorESF_SF_EERKSF_lbbbEUlllE_EE10hipError_tT0_T1_T2_jT3_P12ihipStream_tbPNSt15iterator_traitsISL_E10value_typeEPNSR_ISM_E10value_typeEPSN_NS1_7vsmem_tEENKUlT_SL_SM_SN_E_clIS8_S8_S9_S9_EESK_S10_SL_SM_SN_EUlS10_E1_NS1_11comp_targetILNS1_3genE4ELNS1_11target_archE910ELNS1_3gpuE8ELNS1_3repE0EEENS1_36merge_oddeven_config_static_selectorELNS0_4arch9wavefront6targetE0EEEvSM_,comdat
	.globl	_ZN7rocprim17ROCPRIM_400000_NS6detail17trampoline_kernelINS0_14default_configENS1_38merge_sort_block_merge_config_selectorIlNS0_10empty_typeEEEZZNS1_27merge_sort_block_merge_implIS3_PlPS5_mZN2at6native12_GLOBAL__N_124unique_dim_cuda_templateIhEESt5tupleIJNSA_6TensorESF_SF_EERKSF_lbbbEUlllE_EE10hipError_tT0_T1_T2_jT3_P12ihipStream_tbPNSt15iterator_traitsISL_E10value_typeEPNSR_ISM_E10value_typeEPSN_NS1_7vsmem_tEENKUlT_SL_SM_SN_E_clIS8_S8_S9_S9_EESK_S10_SL_SM_SN_EUlS10_E1_NS1_11comp_targetILNS1_3genE4ELNS1_11target_archE910ELNS1_3gpuE8ELNS1_3repE0EEENS1_36merge_oddeven_config_static_selectorELNS0_4arch9wavefront6targetE0EEEvSM_ ; -- Begin function _ZN7rocprim17ROCPRIM_400000_NS6detail17trampoline_kernelINS0_14default_configENS1_38merge_sort_block_merge_config_selectorIlNS0_10empty_typeEEEZZNS1_27merge_sort_block_merge_implIS3_PlPS5_mZN2at6native12_GLOBAL__N_124unique_dim_cuda_templateIhEESt5tupleIJNSA_6TensorESF_SF_EERKSF_lbbbEUlllE_EE10hipError_tT0_T1_T2_jT3_P12ihipStream_tbPNSt15iterator_traitsISL_E10value_typeEPNSR_ISM_E10value_typeEPSN_NS1_7vsmem_tEENKUlT_SL_SM_SN_E_clIS8_S8_S9_S9_EESK_S10_SL_SM_SN_EUlS10_E1_NS1_11comp_targetILNS1_3genE4ELNS1_11target_archE910ELNS1_3gpuE8ELNS1_3repE0EEENS1_36merge_oddeven_config_static_selectorELNS0_4arch9wavefront6targetE0EEEvSM_
	.p2align	8
	.type	_ZN7rocprim17ROCPRIM_400000_NS6detail17trampoline_kernelINS0_14default_configENS1_38merge_sort_block_merge_config_selectorIlNS0_10empty_typeEEEZZNS1_27merge_sort_block_merge_implIS3_PlPS5_mZN2at6native12_GLOBAL__N_124unique_dim_cuda_templateIhEESt5tupleIJNSA_6TensorESF_SF_EERKSF_lbbbEUlllE_EE10hipError_tT0_T1_T2_jT3_P12ihipStream_tbPNSt15iterator_traitsISL_E10value_typeEPNSR_ISM_E10value_typeEPSN_NS1_7vsmem_tEENKUlT_SL_SM_SN_E_clIS8_S8_S9_S9_EESK_S10_SL_SM_SN_EUlS10_E1_NS1_11comp_targetILNS1_3genE4ELNS1_11target_archE910ELNS1_3gpuE8ELNS1_3repE0EEENS1_36merge_oddeven_config_static_selectorELNS0_4arch9wavefront6targetE0EEEvSM_,@function
_ZN7rocprim17ROCPRIM_400000_NS6detail17trampoline_kernelINS0_14default_configENS1_38merge_sort_block_merge_config_selectorIlNS0_10empty_typeEEEZZNS1_27merge_sort_block_merge_implIS3_PlPS5_mZN2at6native12_GLOBAL__N_124unique_dim_cuda_templateIhEESt5tupleIJNSA_6TensorESF_SF_EERKSF_lbbbEUlllE_EE10hipError_tT0_T1_T2_jT3_P12ihipStream_tbPNSt15iterator_traitsISL_E10value_typeEPNSR_ISM_E10value_typeEPSN_NS1_7vsmem_tEENKUlT_SL_SM_SN_E_clIS8_S8_S9_S9_EESK_S10_SL_SM_SN_EUlS10_E1_NS1_11comp_targetILNS1_3genE4ELNS1_11target_archE910ELNS1_3gpuE8ELNS1_3repE0EEENS1_36merge_oddeven_config_static_selectorELNS0_4arch9wavefront6targetE0EEEvSM_: ; @_ZN7rocprim17ROCPRIM_400000_NS6detail17trampoline_kernelINS0_14default_configENS1_38merge_sort_block_merge_config_selectorIlNS0_10empty_typeEEEZZNS1_27merge_sort_block_merge_implIS3_PlPS5_mZN2at6native12_GLOBAL__N_124unique_dim_cuda_templateIhEESt5tupleIJNSA_6TensorESF_SF_EERKSF_lbbbEUlllE_EE10hipError_tT0_T1_T2_jT3_P12ihipStream_tbPNSt15iterator_traitsISL_E10value_typeEPNSR_ISM_E10value_typeEPSN_NS1_7vsmem_tEENKUlT_SL_SM_SN_E_clIS8_S8_S9_S9_EESK_S10_SL_SM_SN_EUlS10_E1_NS1_11comp_targetILNS1_3genE4ELNS1_11target_archE910ELNS1_3gpuE8ELNS1_3repE0EEENS1_36merge_oddeven_config_static_selectorELNS0_4arch9wavefront6targetE0EEEvSM_
; %bb.0:
	.section	.rodata,"a",@progbits
	.p2align	6, 0x0
	.amdhsa_kernel _ZN7rocprim17ROCPRIM_400000_NS6detail17trampoline_kernelINS0_14default_configENS1_38merge_sort_block_merge_config_selectorIlNS0_10empty_typeEEEZZNS1_27merge_sort_block_merge_implIS3_PlPS5_mZN2at6native12_GLOBAL__N_124unique_dim_cuda_templateIhEESt5tupleIJNSA_6TensorESF_SF_EERKSF_lbbbEUlllE_EE10hipError_tT0_T1_T2_jT3_P12ihipStream_tbPNSt15iterator_traitsISL_E10value_typeEPNSR_ISM_E10value_typeEPSN_NS1_7vsmem_tEENKUlT_SL_SM_SN_E_clIS8_S8_S9_S9_EESK_S10_SL_SM_SN_EUlS10_E1_NS1_11comp_targetILNS1_3genE4ELNS1_11target_archE910ELNS1_3gpuE8ELNS1_3repE0EEENS1_36merge_oddeven_config_static_selectorELNS0_4arch9wavefront6targetE0EEEvSM_
		.amdhsa_group_segment_fixed_size 0
		.amdhsa_private_segment_fixed_size 0
		.amdhsa_kernarg_size 64
		.amdhsa_user_sgpr_count 2
		.amdhsa_user_sgpr_dispatch_ptr 0
		.amdhsa_user_sgpr_queue_ptr 0
		.amdhsa_user_sgpr_kernarg_segment_ptr 1
		.amdhsa_user_sgpr_dispatch_id 0
		.amdhsa_user_sgpr_kernarg_preload_length 0
		.amdhsa_user_sgpr_kernarg_preload_offset 0
		.amdhsa_user_sgpr_private_segment_size 0
		.amdhsa_wavefront_size32 1
		.amdhsa_uses_dynamic_stack 0
		.amdhsa_enable_private_segment 0
		.amdhsa_system_sgpr_workgroup_id_x 1
		.amdhsa_system_sgpr_workgroup_id_y 0
		.amdhsa_system_sgpr_workgroup_id_z 0
		.amdhsa_system_sgpr_workgroup_info 0
		.amdhsa_system_vgpr_workitem_id 0
		.amdhsa_next_free_vgpr 1
		.amdhsa_next_free_sgpr 1
		.amdhsa_named_barrier_count 0
		.amdhsa_reserve_vcc 0
		.amdhsa_float_round_mode_32 0
		.amdhsa_float_round_mode_16_64 0
		.amdhsa_float_denorm_mode_32 3
		.amdhsa_float_denorm_mode_16_64 3
		.amdhsa_fp16_overflow 0
		.amdhsa_memory_ordered 1
		.amdhsa_forward_progress 1
		.amdhsa_inst_pref_size 0
		.amdhsa_round_robin_scheduling 0
		.amdhsa_exception_fp_ieee_invalid_op 0
		.amdhsa_exception_fp_denorm_src 0
		.amdhsa_exception_fp_ieee_div_zero 0
		.amdhsa_exception_fp_ieee_overflow 0
		.amdhsa_exception_fp_ieee_underflow 0
		.amdhsa_exception_fp_ieee_inexact 0
		.amdhsa_exception_int_div_zero 0
	.end_amdhsa_kernel
	.section	.text._ZN7rocprim17ROCPRIM_400000_NS6detail17trampoline_kernelINS0_14default_configENS1_38merge_sort_block_merge_config_selectorIlNS0_10empty_typeEEEZZNS1_27merge_sort_block_merge_implIS3_PlPS5_mZN2at6native12_GLOBAL__N_124unique_dim_cuda_templateIhEESt5tupleIJNSA_6TensorESF_SF_EERKSF_lbbbEUlllE_EE10hipError_tT0_T1_T2_jT3_P12ihipStream_tbPNSt15iterator_traitsISL_E10value_typeEPNSR_ISM_E10value_typeEPSN_NS1_7vsmem_tEENKUlT_SL_SM_SN_E_clIS8_S8_S9_S9_EESK_S10_SL_SM_SN_EUlS10_E1_NS1_11comp_targetILNS1_3genE4ELNS1_11target_archE910ELNS1_3gpuE8ELNS1_3repE0EEENS1_36merge_oddeven_config_static_selectorELNS0_4arch9wavefront6targetE0EEEvSM_,"axG",@progbits,_ZN7rocprim17ROCPRIM_400000_NS6detail17trampoline_kernelINS0_14default_configENS1_38merge_sort_block_merge_config_selectorIlNS0_10empty_typeEEEZZNS1_27merge_sort_block_merge_implIS3_PlPS5_mZN2at6native12_GLOBAL__N_124unique_dim_cuda_templateIhEESt5tupleIJNSA_6TensorESF_SF_EERKSF_lbbbEUlllE_EE10hipError_tT0_T1_T2_jT3_P12ihipStream_tbPNSt15iterator_traitsISL_E10value_typeEPNSR_ISM_E10value_typeEPSN_NS1_7vsmem_tEENKUlT_SL_SM_SN_E_clIS8_S8_S9_S9_EESK_S10_SL_SM_SN_EUlS10_E1_NS1_11comp_targetILNS1_3genE4ELNS1_11target_archE910ELNS1_3gpuE8ELNS1_3repE0EEENS1_36merge_oddeven_config_static_selectorELNS0_4arch9wavefront6targetE0EEEvSM_,comdat
.Lfunc_end37:
	.size	_ZN7rocprim17ROCPRIM_400000_NS6detail17trampoline_kernelINS0_14default_configENS1_38merge_sort_block_merge_config_selectorIlNS0_10empty_typeEEEZZNS1_27merge_sort_block_merge_implIS3_PlPS5_mZN2at6native12_GLOBAL__N_124unique_dim_cuda_templateIhEESt5tupleIJNSA_6TensorESF_SF_EERKSF_lbbbEUlllE_EE10hipError_tT0_T1_T2_jT3_P12ihipStream_tbPNSt15iterator_traitsISL_E10value_typeEPNSR_ISM_E10value_typeEPSN_NS1_7vsmem_tEENKUlT_SL_SM_SN_E_clIS8_S8_S9_S9_EESK_S10_SL_SM_SN_EUlS10_E1_NS1_11comp_targetILNS1_3genE4ELNS1_11target_archE910ELNS1_3gpuE8ELNS1_3repE0EEENS1_36merge_oddeven_config_static_selectorELNS0_4arch9wavefront6targetE0EEEvSM_, .Lfunc_end37-_ZN7rocprim17ROCPRIM_400000_NS6detail17trampoline_kernelINS0_14default_configENS1_38merge_sort_block_merge_config_selectorIlNS0_10empty_typeEEEZZNS1_27merge_sort_block_merge_implIS3_PlPS5_mZN2at6native12_GLOBAL__N_124unique_dim_cuda_templateIhEESt5tupleIJNSA_6TensorESF_SF_EERKSF_lbbbEUlllE_EE10hipError_tT0_T1_T2_jT3_P12ihipStream_tbPNSt15iterator_traitsISL_E10value_typeEPNSR_ISM_E10value_typeEPSN_NS1_7vsmem_tEENKUlT_SL_SM_SN_E_clIS8_S8_S9_S9_EESK_S10_SL_SM_SN_EUlS10_E1_NS1_11comp_targetILNS1_3genE4ELNS1_11target_archE910ELNS1_3gpuE8ELNS1_3repE0EEENS1_36merge_oddeven_config_static_selectorELNS0_4arch9wavefront6targetE0EEEvSM_
                                        ; -- End function
	.set _ZN7rocprim17ROCPRIM_400000_NS6detail17trampoline_kernelINS0_14default_configENS1_38merge_sort_block_merge_config_selectorIlNS0_10empty_typeEEEZZNS1_27merge_sort_block_merge_implIS3_PlPS5_mZN2at6native12_GLOBAL__N_124unique_dim_cuda_templateIhEESt5tupleIJNSA_6TensorESF_SF_EERKSF_lbbbEUlllE_EE10hipError_tT0_T1_T2_jT3_P12ihipStream_tbPNSt15iterator_traitsISL_E10value_typeEPNSR_ISM_E10value_typeEPSN_NS1_7vsmem_tEENKUlT_SL_SM_SN_E_clIS8_S8_S9_S9_EESK_S10_SL_SM_SN_EUlS10_E1_NS1_11comp_targetILNS1_3genE4ELNS1_11target_archE910ELNS1_3gpuE8ELNS1_3repE0EEENS1_36merge_oddeven_config_static_selectorELNS0_4arch9wavefront6targetE0EEEvSM_.num_vgpr, 0
	.set _ZN7rocprim17ROCPRIM_400000_NS6detail17trampoline_kernelINS0_14default_configENS1_38merge_sort_block_merge_config_selectorIlNS0_10empty_typeEEEZZNS1_27merge_sort_block_merge_implIS3_PlPS5_mZN2at6native12_GLOBAL__N_124unique_dim_cuda_templateIhEESt5tupleIJNSA_6TensorESF_SF_EERKSF_lbbbEUlllE_EE10hipError_tT0_T1_T2_jT3_P12ihipStream_tbPNSt15iterator_traitsISL_E10value_typeEPNSR_ISM_E10value_typeEPSN_NS1_7vsmem_tEENKUlT_SL_SM_SN_E_clIS8_S8_S9_S9_EESK_S10_SL_SM_SN_EUlS10_E1_NS1_11comp_targetILNS1_3genE4ELNS1_11target_archE910ELNS1_3gpuE8ELNS1_3repE0EEENS1_36merge_oddeven_config_static_selectorELNS0_4arch9wavefront6targetE0EEEvSM_.num_agpr, 0
	.set _ZN7rocprim17ROCPRIM_400000_NS6detail17trampoline_kernelINS0_14default_configENS1_38merge_sort_block_merge_config_selectorIlNS0_10empty_typeEEEZZNS1_27merge_sort_block_merge_implIS3_PlPS5_mZN2at6native12_GLOBAL__N_124unique_dim_cuda_templateIhEESt5tupleIJNSA_6TensorESF_SF_EERKSF_lbbbEUlllE_EE10hipError_tT0_T1_T2_jT3_P12ihipStream_tbPNSt15iterator_traitsISL_E10value_typeEPNSR_ISM_E10value_typeEPSN_NS1_7vsmem_tEENKUlT_SL_SM_SN_E_clIS8_S8_S9_S9_EESK_S10_SL_SM_SN_EUlS10_E1_NS1_11comp_targetILNS1_3genE4ELNS1_11target_archE910ELNS1_3gpuE8ELNS1_3repE0EEENS1_36merge_oddeven_config_static_selectorELNS0_4arch9wavefront6targetE0EEEvSM_.numbered_sgpr, 0
	.set _ZN7rocprim17ROCPRIM_400000_NS6detail17trampoline_kernelINS0_14default_configENS1_38merge_sort_block_merge_config_selectorIlNS0_10empty_typeEEEZZNS1_27merge_sort_block_merge_implIS3_PlPS5_mZN2at6native12_GLOBAL__N_124unique_dim_cuda_templateIhEESt5tupleIJNSA_6TensorESF_SF_EERKSF_lbbbEUlllE_EE10hipError_tT0_T1_T2_jT3_P12ihipStream_tbPNSt15iterator_traitsISL_E10value_typeEPNSR_ISM_E10value_typeEPSN_NS1_7vsmem_tEENKUlT_SL_SM_SN_E_clIS8_S8_S9_S9_EESK_S10_SL_SM_SN_EUlS10_E1_NS1_11comp_targetILNS1_3genE4ELNS1_11target_archE910ELNS1_3gpuE8ELNS1_3repE0EEENS1_36merge_oddeven_config_static_selectorELNS0_4arch9wavefront6targetE0EEEvSM_.num_named_barrier, 0
	.set _ZN7rocprim17ROCPRIM_400000_NS6detail17trampoline_kernelINS0_14default_configENS1_38merge_sort_block_merge_config_selectorIlNS0_10empty_typeEEEZZNS1_27merge_sort_block_merge_implIS3_PlPS5_mZN2at6native12_GLOBAL__N_124unique_dim_cuda_templateIhEESt5tupleIJNSA_6TensorESF_SF_EERKSF_lbbbEUlllE_EE10hipError_tT0_T1_T2_jT3_P12ihipStream_tbPNSt15iterator_traitsISL_E10value_typeEPNSR_ISM_E10value_typeEPSN_NS1_7vsmem_tEENKUlT_SL_SM_SN_E_clIS8_S8_S9_S9_EESK_S10_SL_SM_SN_EUlS10_E1_NS1_11comp_targetILNS1_3genE4ELNS1_11target_archE910ELNS1_3gpuE8ELNS1_3repE0EEENS1_36merge_oddeven_config_static_selectorELNS0_4arch9wavefront6targetE0EEEvSM_.private_seg_size, 0
	.set _ZN7rocprim17ROCPRIM_400000_NS6detail17trampoline_kernelINS0_14default_configENS1_38merge_sort_block_merge_config_selectorIlNS0_10empty_typeEEEZZNS1_27merge_sort_block_merge_implIS3_PlPS5_mZN2at6native12_GLOBAL__N_124unique_dim_cuda_templateIhEESt5tupleIJNSA_6TensorESF_SF_EERKSF_lbbbEUlllE_EE10hipError_tT0_T1_T2_jT3_P12ihipStream_tbPNSt15iterator_traitsISL_E10value_typeEPNSR_ISM_E10value_typeEPSN_NS1_7vsmem_tEENKUlT_SL_SM_SN_E_clIS8_S8_S9_S9_EESK_S10_SL_SM_SN_EUlS10_E1_NS1_11comp_targetILNS1_3genE4ELNS1_11target_archE910ELNS1_3gpuE8ELNS1_3repE0EEENS1_36merge_oddeven_config_static_selectorELNS0_4arch9wavefront6targetE0EEEvSM_.uses_vcc, 0
	.set _ZN7rocprim17ROCPRIM_400000_NS6detail17trampoline_kernelINS0_14default_configENS1_38merge_sort_block_merge_config_selectorIlNS0_10empty_typeEEEZZNS1_27merge_sort_block_merge_implIS3_PlPS5_mZN2at6native12_GLOBAL__N_124unique_dim_cuda_templateIhEESt5tupleIJNSA_6TensorESF_SF_EERKSF_lbbbEUlllE_EE10hipError_tT0_T1_T2_jT3_P12ihipStream_tbPNSt15iterator_traitsISL_E10value_typeEPNSR_ISM_E10value_typeEPSN_NS1_7vsmem_tEENKUlT_SL_SM_SN_E_clIS8_S8_S9_S9_EESK_S10_SL_SM_SN_EUlS10_E1_NS1_11comp_targetILNS1_3genE4ELNS1_11target_archE910ELNS1_3gpuE8ELNS1_3repE0EEENS1_36merge_oddeven_config_static_selectorELNS0_4arch9wavefront6targetE0EEEvSM_.uses_flat_scratch, 0
	.set _ZN7rocprim17ROCPRIM_400000_NS6detail17trampoline_kernelINS0_14default_configENS1_38merge_sort_block_merge_config_selectorIlNS0_10empty_typeEEEZZNS1_27merge_sort_block_merge_implIS3_PlPS5_mZN2at6native12_GLOBAL__N_124unique_dim_cuda_templateIhEESt5tupleIJNSA_6TensorESF_SF_EERKSF_lbbbEUlllE_EE10hipError_tT0_T1_T2_jT3_P12ihipStream_tbPNSt15iterator_traitsISL_E10value_typeEPNSR_ISM_E10value_typeEPSN_NS1_7vsmem_tEENKUlT_SL_SM_SN_E_clIS8_S8_S9_S9_EESK_S10_SL_SM_SN_EUlS10_E1_NS1_11comp_targetILNS1_3genE4ELNS1_11target_archE910ELNS1_3gpuE8ELNS1_3repE0EEENS1_36merge_oddeven_config_static_selectorELNS0_4arch9wavefront6targetE0EEEvSM_.has_dyn_sized_stack, 0
	.set _ZN7rocprim17ROCPRIM_400000_NS6detail17trampoline_kernelINS0_14default_configENS1_38merge_sort_block_merge_config_selectorIlNS0_10empty_typeEEEZZNS1_27merge_sort_block_merge_implIS3_PlPS5_mZN2at6native12_GLOBAL__N_124unique_dim_cuda_templateIhEESt5tupleIJNSA_6TensorESF_SF_EERKSF_lbbbEUlllE_EE10hipError_tT0_T1_T2_jT3_P12ihipStream_tbPNSt15iterator_traitsISL_E10value_typeEPNSR_ISM_E10value_typeEPSN_NS1_7vsmem_tEENKUlT_SL_SM_SN_E_clIS8_S8_S9_S9_EESK_S10_SL_SM_SN_EUlS10_E1_NS1_11comp_targetILNS1_3genE4ELNS1_11target_archE910ELNS1_3gpuE8ELNS1_3repE0EEENS1_36merge_oddeven_config_static_selectorELNS0_4arch9wavefront6targetE0EEEvSM_.has_recursion, 0
	.set _ZN7rocprim17ROCPRIM_400000_NS6detail17trampoline_kernelINS0_14default_configENS1_38merge_sort_block_merge_config_selectorIlNS0_10empty_typeEEEZZNS1_27merge_sort_block_merge_implIS3_PlPS5_mZN2at6native12_GLOBAL__N_124unique_dim_cuda_templateIhEESt5tupleIJNSA_6TensorESF_SF_EERKSF_lbbbEUlllE_EE10hipError_tT0_T1_T2_jT3_P12ihipStream_tbPNSt15iterator_traitsISL_E10value_typeEPNSR_ISM_E10value_typeEPSN_NS1_7vsmem_tEENKUlT_SL_SM_SN_E_clIS8_S8_S9_S9_EESK_S10_SL_SM_SN_EUlS10_E1_NS1_11comp_targetILNS1_3genE4ELNS1_11target_archE910ELNS1_3gpuE8ELNS1_3repE0EEENS1_36merge_oddeven_config_static_selectorELNS0_4arch9wavefront6targetE0EEEvSM_.has_indirect_call, 0
	.section	.AMDGPU.csdata,"",@progbits
; Kernel info:
; codeLenInByte = 0
; TotalNumSgprs: 0
; NumVgprs: 0
; ScratchSize: 0
; MemoryBound: 0
; FloatMode: 240
; IeeeMode: 1
; LDSByteSize: 0 bytes/workgroup (compile time only)
; SGPRBlocks: 0
; VGPRBlocks: 0
; NumSGPRsForWavesPerEU: 1
; NumVGPRsForWavesPerEU: 1
; NamedBarCnt: 0
; Occupancy: 16
; WaveLimiterHint : 0
; COMPUTE_PGM_RSRC2:SCRATCH_EN: 0
; COMPUTE_PGM_RSRC2:USER_SGPR: 2
; COMPUTE_PGM_RSRC2:TRAP_HANDLER: 0
; COMPUTE_PGM_RSRC2:TGID_X_EN: 1
; COMPUTE_PGM_RSRC2:TGID_Y_EN: 0
; COMPUTE_PGM_RSRC2:TGID_Z_EN: 0
; COMPUTE_PGM_RSRC2:TIDIG_COMP_CNT: 0
	.section	.text._ZN7rocprim17ROCPRIM_400000_NS6detail17trampoline_kernelINS0_14default_configENS1_38merge_sort_block_merge_config_selectorIlNS0_10empty_typeEEEZZNS1_27merge_sort_block_merge_implIS3_PlPS5_mZN2at6native12_GLOBAL__N_124unique_dim_cuda_templateIhEESt5tupleIJNSA_6TensorESF_SF_EERKSF_lbbbEUlllE_EE10hipError_tT0_T1_T2_jT3_P12ihipStream_tbPNSt15iterator_traitsISL_E10value_typeEPNSR_ISM_E10value_typeEPSN_NS1_7vsmem_tEENKUlT_SL_SM_SN_E_clIS8_S8_S9_S9_EESK_S10_SL_SM_SN_EUlS10_E1_NS1_11comp_targetILNS1_3genE3ELNS1_11target_archE908ELNS1_3gpuE7ELNS1_3repE0EEENS1_36merge_oddeven_config_static_selectorELNS0_4arch9wavefront6targetE0EEEvSM_,"axG",@progbits,_ZN7rocprim17ROCPRIM_400000_NS6detail17trampoline_kernelINS0_14default_configENS1_38merge_sort_block_merge_config_selectorIlNS0_10empty_typeEEEZZNS1_27merge_sort_block_merge_implIS3_PlPS5_mZN2at6native12_GLOBAL__N_124unique_dim_cuda_templateIhEESt5tupleIJNSA_6TensorESF_SF_EERKSF_lbbbEUlllE_EE10hipError_tT0_T1_T2_jT3_P12ihipStream_tbPNSt15iterator_traitsISL_E10value_typeEPNSR_ISM_E10value_typeEPSN_NS1_7vsmem_tEENKUlT_SL_SM_SN_E_clIS8_S8_S9_S9_EESK_S10_SL_SM_SN_EUlS10_E1_NS1_11comp_targetILNS1_3genE3ELNS1_11target_archE908ELNS1_3gpuE7ELNS1_3repE0EEENS1_36merge_oddeven_config_static_selectorELNS0_4arch9wavefront6targetE0EEEvSM_,comdat
	.globl	_ZN7rocprim17ROCPRIM_400000_NS6detail17trampoline_kernelINS0_14default_configENS1_38merge_sort_block_merge_config_selectorIlNS0_10empty_typeEEEZZNS1_27merge_sort_block_merge_implIS3_PlPS5_mZN2at6native12_GLOBAL__N_124unique_dim_cuda_templateIhEESt5tupleIJNSA_6TensorESF_SF_EERKSF_lbbbEUlllE_EE10hipError_tT0_T1_T2_jT3_P12ihipStream_tbPNSt15iterator_traitsISL_E10value_typeEPNSR_ISM_E10value_typeEPSN_NS1_7vsmem_tEENKUlT_SL_SM_SN_E_clIS8_S8_S9_S9_EESK_S10_SL_SM_SN_EUlS10_E1_NS1_11comp_targetILNS1_3genE3ELNS1_11target_archE908ELNS1_3gpuE7ELNS1_3repE0EEENS1_36merge_oddeven_config_static_selectorELNS0_4arch9wavefront6targetE0EEEvSM_ ; -- Begin function _ZN7rocprim17ROCPRIM_400000_NS6detail17trampoline_kernelINS0_14default_configENS1_38merge_sort_block_merge_config_selectorIlNS0_10empty_typeEEEZZNS1_27merge_sort_block_merge_implIS3_PlPS5_mZN2at6native12_GLOBAL__N_124unique_dim_cuda_templateIhEESt5tupleIJNSA_6TensorESF_SF_EERKSF_lbbbEUlllE_EE10hipError_tT0_T1_T2_jT3_P12ihipStream_tbPNSt15iterator_traitsISL_E10value_typeEPNSR_ISM_E10value_typeEPSN_NS1_7vsmem_tEENKUlT_SL_SM_SN_E_clIS8_S8_S9_S9_EESK_S10_SL_SM_SN_EUlS10_E1_NS1_11comp_targetILNS1_3genE3ELNS1_11target_archE908ELNS1_3gpuE7ELNS1_3repE0EEENS1_36merge_oddeven_config_static_selectorELNS0_4arch9wavefront6targetE0EEEvSM_
	.p2align	8
	.type	_ZN7rocprim17ROCPRIM_400000_NS6detail17trampoline_kernelINS0_14default_configENS1_38merge_sort_block_merge_config_selectorIlNS0_10empty_typeEEEZZNS1_27merge_sort_block_merge_implIS3_PlPS5_mZN2at6native12_GLOBAL__N_124unique_dim_cuda_templateIhEESt5tupleIJNSA_6TensorESF_SF_EERKSF_lbbbEUlllE_EE10hipError_tT0_T1_T2_jT3_P12ihipStream_tbPNSt15iterator_traitsISL_E10value_typeEPNSR_ISM_E10value_typeEPSN_NS1_7vsmem_tEENKUlT_SL_SM_SN_E_clIS8_S8_S9_S9_EESK_S10_SL_SM_SN_EUlS10_E1_NS1_11comp_targetILNS1_3genE3ELNS1_11target_archE908ELNS1_3gpuE7ELNS1_3repE0EEENS1_36merge_oddeven_config_static_selectorELNS0_4arch9wavefront6targetE0EEEvSM_,@function
_ZN7rocprim17ROCPRIM_400000_NS6detail17trampoline_kernelINS0_14default_configENS1_38merge_sort_block_merge_config_selectorIlNS0_10empty_typeEEEZZNS1_27merge_sort_block_merge_implIS3_PlPS5_mZN2at6native12_GLOBAL__N_124unique_dim_cuda_templateIhEESt5tupleIJNSA_6TensorESF_SF_EERKSF_lbbbEUlllE_EE10hipError_tT0_T1_T2_jT3_P12ihipStream_tbPNSt15iterator_traitsISL_E10value_typeEPNSR_ISM_E10value_typeEPSN_NS1_7vsmem_tEENKUlT_SL_SM_SN_E_clIS8_S8_S9_S9_EESK_S10_SL_SM_SN_EUlS10_E1_NS1_11comp_targetILNS1_3genE3ELNS1_11target_archE908ELNS1_3gpuE7ELNS1_3repE0EEENS1_36merge_oddeven_config_static_selectorELNS0_4arch9wavefront6targetE0EEEvSM_: ; @_ZN7rocprim17ROCPRIM_400000_NS6detail17trampoline_kernelINS0_14default_configENS1_38merge_sort_block_merge_config_selectorIlNS0_10empty_typeEEEZZNS1_27merge_sort_block_merge_implIS3_PlPS5_mZN2at6native12_GLOBAL__N_124unique_dim_cuda_templateIhEESt5tupleIJNSA_6TensorESF_SF_EERKSF_lbbbEUlllE_EE10hipError_tT0_T1_T2_jT3_P12ihipStream_tbPNSt15iterator_traitsISL_E10value_typeEPNSR_ISM_E10value_typeEPSN_NS1_7vsmem_tEENKUlT_SL_SM_SN_E_clIS8_S8_S9_S9_EESK_S10_SL_SM_SN_EUlS10_E1_NS1_11comp_targetILNS1_3genE3ELNS1_11target_archE908ELNS1_3gpuE7ELNS1_3repE0EEENS1_36merge_oddeven_config_static_selectorELNS0_4arch9wavefront6targetE0EEEvSM_
; %bb.0:
	.section	.rodata,"a",@progbits
	.p2align	6, 0x0
	.amdhsa_kernel _ZN7rocprim17ROCPRIM_400000_NS6detail17trampoline_kernelINS0_14default_configENS1_38merge_sort_block_merge_config_selectorIlNS0_10empty_typeEEEZZNS1_27merge_sort_block_merge_implIS3_PlPS5_mZN2at6native12_GLOBAL__N_124unique_dim_cuda_templateIhEESt5tupleIJNSA_6TensorESF_SF_EERKSF_lbbbEUlllE_EE10hipError_tT0_T1_T2_jT3_P12ihipStream_tbPNSt15iterator_traitsISL_E10value_typeEPNSR_ISM_E10value_typeEPSN_NS1_7vsmem_tEENKUlT_SL_SM_SN_E_clIS8_S8_S9_S9_EESK_S10_SL_SM_SN_EUlS10_E1_NS1_11comp_targetILNS1_3genE3ELNS1_11target_archE908ELNS1_3gpuE7ELNS1_3repE0EEENS1_36merge_oddeven_config_static_selectorELNS0_4arch9wavefront6targetE0EEEvSM_
		.amdhsa_group_segment_fixed_size 0
		.amdhsa_private_segment_fixed_size 0
		.amdhsa_kernarg_size 64
		.amdhsa_user_sgpr_count 2
		.amdhsa_user_sgpr_dispatch_ptr 0
		.amdhsa_user_sgpr_queue_ptr 0
		.amdhsa_user_sgpr_kernarg_segment_ptr 1
		.amdhsa_user_sgpr_dispatch_id 0
		.amdhsa_user_sgpr_kernarg_preload_length 0
		.amdhsa_user_sgpr_kernarg_preload_offset 0
		.amdhsa_user_sgpr_private_segment_size 0
		.amdhsa_wavefront_size32 1
		.amdhsa_uses_dynamic_stack 0
		.amdhsa_enable_private_segment 0
		.amdhsa_system_sgpr_workgroup_id_x 1
		.amdhsa_system_sgpr_workgroup_id_y 0
		.amdhsa_system_sgpr_workgroup_id_z 0
		.amdhsa_system_sgpr_workgroup_info 0
		.amdhsa_system_vgpr_workitem_id 0
		.amdhsa_next_free_vgpr 1
		.amdhsa_next_free_sgpr 1
		.amdhsa_named_barrier_count 0
		.amdhsa_reserve_vcc 0
		.amdhsa_float_round_mode_32 0
		.amdhsa_float_round_mode_16_64 0
		.amdhsa_float_denorm_mode_32 3
		.amdhsa_float_denorm_mode_16_64 3
		.amdhsa_fp16_overflow 0
		.amdhsa_memory_ordered 1
		.amdhsa_forward_progress 1
		.amdhsa_inst_pref_size 0
		.amdhsa_round_robin_scheduling 0
		.amdhsa_exception_fp_ieee_invalid_op 0
		.amdhsa_exception_fp_denorm_src 0
		.amdhsa_exception_fp_ieee_div_zero 0
		.amdhsa_exception_fp_ieee_overflow 0
		.amdhsa_exception_fp_ieee_underflow 0
		.amdhsa_exception_fp_ieee_inexact 0
		.amdhsa_exception_int_div_zero 0
	.end_amdhsa_kernel
	.section	.text._ZN7rocprim17ROCPRIM_400000_NS6detail17trampoline_kernelINS0_14default_configENS1_38merge_sort_block_merge_config_selectorIlNS0_10empty_typeEEEZZNS1_27merge_sort_block_merge_implIS3_PlPS5_mZN2at6native12_GLOBAL__N_124unique_dim_cuda_templateIhEESt5tupleIJNSA_6TensorESF_SF_EERKSF_lbbbEUlllE_EE10hipError_tT0_T1_T2_jT3_P12ihipStream_tbPNSt15iterator_traitsISL_E10value_typeEPNSR_ISM_E10value_typeEPSN_NS1_7vsmem_tEENKUlT_SL_SM_SN_E_clIS8_S8_S9_S9_EESK_S10_SL_SM_SN_EUlS10_E1_NS1_11comp_targetILNS1_3genE3ELNS1_11target_archE908ELNS1_3gpuE7ELNS1_3repE0EEENS1_36merge_oddeven_config_static_selectorELNS0_4arch9wavefront6targetE0EEEvSM_,"axG",@progbits,_ZN7rocprim17ROCPRIM_400000_NS6detail17trampoline_kernelINS0_14default_configENS1_38merge_sort_block_merge_config_selectorIlNS0_10empty_typeEEEZZNS1_27merge_sort_block_merge_implIS3_PlPS5_mZN2at6native12_GLOBAL__N_124unique_dim_cuda_templateIhEESt5tupleIJNSA_6TensorESF_SF_EERKSF_lbbbEUlllE_EE10hipError_tT0_T1_T2_jT3_P12ihipStream_tbPNSt15iterator_traitsISL_E10value_typeEPNSR_ISM_E10value_typeEPSN_NS1_7vsmem_tEENKUlT_SL_SM_SN_E_clIS8_S8_S9_S9_EESK_S10_SL_SM_SN_EUlS10_E1_NS1_11comp_targetILNS1_3genE3ELNS1_11target_archE908ELNS1_3gpuE7ELNS1_3repE0EEENS1_36merge_oddeven_config_static_selectorELNS0_4arch9wavefront6targetE0EEEvSM_,comdat
.Lfunc_end38:
	.size	_ZN7rocprim17ROCPRIM_400000_NS6detail17trampoline_kernelINS0_14default_configENS1_38merge_sort_block_merge_config_selectorIlNS0_10empty_typeEEEZZNS1_27merge_sort_block_merge_implIS3_PlPS5_mZN2at6native12_GLOBAL__N_124unique_dim_cuda_templateIhEESt5tupleIJNSA_6TensorESF_SF_EERKSF_lbbbEUlllE_EE10hipError_tT0_T1_T2_jT3_P12ihipStream_tbPNSt15iterator_traitsISL_E10value_typeEPNSR_ISM_E10value_typeEPSN_NS1_7vsmem_tEENKUlT_SL_SM_SN_E_clIS8_S8_S9_S9_EESK_S10_SL_SM_SN_EUlS10_E1_NS1_11comp_targetILNS1_3genE3ELNS1_11target_archE908ELNS1_3gpuE7ELNS1_3repE0EEENS1_36merge_oddeven_config_static_selectorELNS0_4arch9wavefront6targetE0EEEvSM_, .Lfunc_end38-_ZN7rocprim17ROCPRIM_400000_NS6detail17trampoline_kernelINS0_14default_configENS1_38merge_sort_block_merge_config_selectorIlNS0_10empty_typeEEEZZNS1_27merge_sort_block_merge_implIS3_PlPS5_mZN2at6native12_GLOBAL__N_124unique_dim_cuda_templateIhEESt5tupleIJNSA_6TensorESF_SF_EERKSF_lbbbEUlllE_EE10hipError_tT0_T1_T2_jT3_P12ihipStream_tbPNSt15iterator_traitsISL_E10value_typeEPNSR_ISM_E10value_typeEPSN_NS1_7vsmem_tEENKUlT_SL_SM_SN_E_clIS8_S8_S9_S9_EESK_S10_SL_SM_SN_EUlS10_E1_NS1_11comp_targetILNS1_3genE3ELNS1_11target_archE908ELNS1_3gpuE7ELNS1_3repE0EEENS1_36merge_oddeven_config_static_selectorELNS0_4arch9wavefront6targetE0EEEvSM_
                                        ; -- End function
	.set _ZN7rocprim17ROCPRIM_400000_NS6detail17trampoline_kernelINS0_14default_configENS1_38merge_sort_block_merge_config_selectorIlNS0_10empty_typeEEEZZNS1_27merge_sort_block_merge_implIS3_PlPS5_mZN2at6native12_GLOBAL__N_124unique_dim_cuda_templateIhEESt5tupleIJNSA_6TensorESF_SF_EERKSF_lbbbEUlllE_EE10hipError_tT0_T1_T2_jT3_P12ihipStream_tbPNSt15iterator_traitsISL_E10value_typeEPNSR_ISM_E10value_typeEPSN_NS1_7vsmem_tEENKUlT_SL_SM_SN_E_clIS8_S8_S9_S9_EESK_S10_SL_SM_SN_EUlS10_E1_NS1_11comp_targetILNS1_3genE3ELNS1_11target_archE908ELNS1_3gpuE7ELNS1_3repE0EEENS1_36merge_oddeven_config_static_selectorELNS0_4arch9wavefront6targetE0EEEvSM_.num_vgpr, 0
	.set _ZN7rocprim17ROCPRIM_400000_NS6detail17trampoline_kernelINS0_14default_configENS1_38merge_sort_block_merge_config_selectorIlNS0_10empty_typeEEEZZNS1_27merge_sort_block_merge_implIS3_PlPS5_mZN2at6native12_GLOBAL__N_124unique_dim_cuda_templateIhEESt5tupleIJNSA_6TensorESF_SF_EERKSF_lbbbEUlllE_EE10hipError_tT0_T1_T2_jT3_P12ihipStream_tbPNSt15iterator_traitsISL_E10value_typeEPNSR_ISM_E10value_typeEPSN_NS1_7vsmem_tEENKUlT_SL_SM_SN_E_clIS8_S8_S9_S9_EESK_S10_SL_SM_SN_EUlS10_E1_NS1_11comp_targetILNS1_3genE3ELNS1_11target_archE908ELNS1_3gpuE7ELNS1_3repE0EEENS1_36merge_oddeven_config_static_selectorELNS0_4arch9wavefront6targetE0EEEvSM_.num_agpr, 0
	.set _ZN7rocprim17ROCPRIM_400000_NS6detail17trampoline_kernelINS0_14default_configENS1_38merge_sort_block_merge_config_selectorIlNS0_10empty_typeEEEZZNS1_27merge_sort_block_merge_implIS3_PlPS5_mZN2at6native12_GLOBAL__N_124unique_dim_cuda_templateIhEESt5tupleIJNSA_6TensorESF_SF_EERKSF_lbbbEUlllE_EE10hipError_tT0_T1_T2_jT3_P12ihipStream_tbPNSt15iterator_traitsISL_E10value_typeEPNSR_ISM_E10value_typeEPSN_NS1_7vsmem_tEENKUlT_SL_SM_SN_E_clIS8_S8_S9_S9_EESK_S10_SL_SM_SN_EUlS10_E1_NS1_11comp_targetILNS1_3genE3ELNS1_11target_archE908ELNS1_3gpuE7ELNS1_3repE0EEENS1_36merge_oddeven_config_static_selectorELNS0_4arch9wavefront6targetE0EEEvSM_.numbered_sgpr, 0
	.set _ZN7rocprim17ROCPRIM_400000_NS6detail17trampoline_kernelINS0_14default_configENS1_38merge_sort_block_merge_config_selectorIlNS0_10empty_typeEEEZZNS1_27merge_sort_block_merge_implIS3_PlPS5_mZN2at6native12_GLOBAL__N_124unique_dim_cuda_templateIhEESt5tupleIJNSA_6TensorESF_SF_EERKSF_lbbbEUlllE_EE10hipError_tT0_T1_T2_jT3_P12ihipStream_tbPNSt15iterator_traitsISL_E10value_typeEPNSR_ISM_E10value_typeEPSN_NS1_7vsmem_tEENKUlT_SL_SM_SN_E_clIS8_S8_S9_S9_EESK_S10_SL_SM_SN_EUlS10_E1_NS1_11comp_targetILNS1_3genE3ELNS1_11target_archE908ELNS1_3gpuE7ELNS1_3repE0EEENS1_36merge_oddeven_config_static_selectorELNS0_4arch9wavefront6targetE0EEEvSM_.num_named_barrier, 0
	.set _ZN7rocprim17ROCPRIM_400000_NS6detail17trampoline_kernelINS0_14default_configENS1_38merge_sort_block_merge_config_selectorIlNS0_10empty_typeEEEZZNS1_27merge_sort_block_merge_implIS3_PlPS5_mZN2at6native12_GLOBAL__N_124unique_dim_cuda_templateIhEESt5tupleIJNSA_6TensorESF_SF_EERKSF_lbbbEUlllE_EE10hipError_tT0_T1_T2_jT3_P12ihipStream_tbPNSt15iterator_traitsISL_E10value_typeEPNSR_ISM_E10value_typeEPSN_NS1_7vsmem_tEENKUlT_SL_SM_SN_E_clIS8_S8_S9_S9_EESK_S10_SL_SM_SN_EUlS10_E1_NS1_11comp_targetILNS1_3genE3ELNS1_11target_archE908ELNS1_3gpuE7ELNS1_3repE0EEENS1_36merge_oddeven_config_static_selectorELNS0_4arch9wavefront6targetE0EEEvSM_.private_seg_size, 0
	.set _ZN7rocprim17ROCPRIM_400000_NS6detail17trampoline_kernelINS0_14default_configENS1_38merge_sort_block_merge_config_selectorIlNS0_10empty_typeEEEZZNS1_27merge_sort_block_merge_implIS3_PlPS5_mZN2at6native12_GLOBAL__N_124unique_dim_cuda_templateIhEESt5tupleIJNSA_6TensorESF_SF_EERKSF_lbbbEUlllE_EE10hipError_tT0_T1_T2_jT3_P12ihipStream_tbPNSt15iterator_traitsISL_E10value_typeEPNSR_ISM_E10value_typeEPSN_NS1_7vsmem_tEENKUlT_SL_SM_SN_E_clIS8_S8_S9_S9_EESK_S10_SL_SM_SN_EUlS10_E1_NS1_11comp_targetILNS1_3genE3ELNS1_11target_archE908ELNS1_3gpuE7ELNS1_3repE0EEENS1_36merge_oddeven_config_static_selectorELNS0_4arch9wavefront6targetE0EEEvSM_.uses_vcc, 0
	.set _ZN7rocprim17ROCPRIM_400000_NS6detail17trampoline_kernelINS0_14default_configENS1_38merge_sort_block_merge_config_selectorIlNS0_10empty_typeEEEZZNS1_27merge_sort_block_merge_implIS3_PlPS5_mZN2at6native12_GLOBAL__N_124unique_dim_cuda_templateIhEESt5tupleIJNSA_6TensorESF_SF_EERKSF_lbbbEUlllE_EE10hipError_tT0_T1_T2_jT3_P12ihipStream_tbPNSt15iterator_traitsISL_E10value_typeEPNSR_ISM_E10value_typeEPSN_NS1_7vsmem_tEENKUlT_SL_SM_SN_E_clIS8_S8_S9_S9_EESK_S10_SL_SM_SN_EUlS10_E1_NS1_11comp_targetILNS1_3genE3ELNS1_11target_archE908ELNS1_3gpuE7ELNS1_3repE0EEENS1_36merge_oddeven_config_static_selectorELNS0_4arch9wavefront6targetE0EEEvSM_.uses_flat_scratch, 0
	.set _ZN7rocprim17ROCPRIM_400000_NS6detail17trampoline_kernelINS0_14default_configENS1_38merge_sort_block_merge_config_selectorIlNS0_10empty_typeEEEZZNS1_27merge_sort_block_merge_implIS3_PlPS5_mZN2at6native12_GLOBAL__N_124unique_dim_cuda_templateIhEESt5tupleIJNSA_6TensorESF_SF_EERKSF_lbbbEUlllE_EE10hipError_tT0_T1_T2_jT3_P12ihipStream_tbPNSt15iterator_traitsISL_E10value_typeEPNSR_ISM_E10value_typeEPSN_NS1_7vsmem_tEENKUlT_SL_SM_SN_E_clIS8_S8_S9_S9_EESK_S10_SL_SM_SN_EUlS10_E1_NS1_11comp_targetILNS1_3genE3ELNS1_11target_archE908ELNS1_3gpuE7ELNS1_3repE0EEENS1_36merge_oddeven_config_static_selectorELNS0_4arch9wavefront6targetE0EEEvSM_.has_dyn_sized_stack, 0
	.set _ZN7rocprim17ROCPRIM_400000_NS6detail17trampoline_kernelINS0_14default_configENS1_38merge_sort_block_merge_config_selectorIlNS0_10empty_typeEEEZZNS1_27merge_sort_block_merge_implIS3_PlPS5_mZN2at6native12_GLOBAL__N_124unique_dim_cuda_templateIhEESt5tupleIJNSA_6TensorESF_SF_EERKSF_lbbbEUlllE_EE10hipError_tT0_T1_T2_jT3_P12ihipStream_tbPNSt15iterator_traitsISL_E10value_typeEPNSR_ISM_E10value_typeEPSN_NS1_7vsmem_tEENKUlT_SL_SM_SN_E_clIS8_S8_S9_S9_EESK_S10_SL_SM_SN_EUlS10_E1_NS1_11comp_targetILNS1_3genE3ELNS1_11target_archE908ELNS1_3gpuE7ELNS1_3repE0EEENS1_36merge_oddeven_config_static_selectorELNS0_4arch9wavefront6targetE0EEEvSM_.has_recursion, 0
	.set _ZN7rocprim17ROCPRIM_400000_NS6detail17trampoline_kernelINS0_14default_configENS1_38merge_sort_block_merge_config_selectorIlNS0_10empty_typeEEEZZNS1_27merge_sort_block_merge_implIS3_PlPS5_mZN2at6native12_GLOBAL__N_124unique_dim_cuda_templateIhEESt5tupleIJNSA_6TensorESF_SF_EERKSF_lbbbEUlllE_EE10hipError_tT0_T1_T2_jT3_P12ihipStream_tbPNSt15iterator_traitsISL_E10value_typeEPNSR_ISM_E10value_typeEPSN_NS1_7vsmem_tEENKUlT_SL_SM_SN_E_clIS8_S8_S9_S9_EESK_S10_SL_SM_SN_EUlS10_E1_NS1_11comp_targetILNS1_3genE3ELNS1_11target_archE908ELNS1_3gpuE7ELNS1_3repE0EEENS1_36merge_oddeven_config_static_selectorELNS0_4arch9wavefront6targetE0EEEvSM_.has_indirect_call, 0
	.section	.AMDGPU.csdata,"",@progbits
; Kernel info:
; codeLenInByte = 0
; TotalNumSgprs: 0
; NumVgprs: 0
; ScratchSize: 0
; MemoryBound: 0
; FloatMode: 240
; IeeeMode: 1
; LDSByteSize: 0 bytes/workgroup (compile time only)
; SGPRBlocks: 0
; VGPRBlocks: 0
; NumSGPRsForWavesPerEU: 1
; NumVGPRsForWavesPerEU: 1
; NamedBarCnt: 0
; Occupancy: 16
; WaveLimiterHint : 0
; COMPUTE_PGM_RSRC2:SCRATCH_EN: 0
; COMPUTE_PGM_RSRC2:USER_SGPR: 2
; COMPUTE_PGM_RSRC2:TRAP_HANDLER: 0
; COMPUTE_PGM_RSRC2:TGID_X_EN: 1
; COMPUTE_PGM_RSRC2:TGID_Y_EN: 0
; COMPUTE_PGM_RSRC2:TGID_Z_EN: 0
; COMPUTE_PGM_RSRC2:TIDIG_COMP_CNT: 0
	.section	.text._ZN7rocprim17ROCPRIM_400000_NS6detail17trampoline_kernelINS0_14default_configENS1_38merge_sort_block_merge_config_selectorIlNS0_10empty_typeEEEZZNS1_27merge_sort_block_merge_implIS3_PlPS5_mZN2at6native12_GLOBAL__N_124unique_dim_cuda_templateIhEESt5tupleIJNSA_6TensorESF_SF_EERKSF_lbbbEUlllE_EE10hipError_tT0_T1_T2_jT3_P12ihipStream_tbPNSt15iterator_traitsISL_E10value_typeEPNSR_ISM_E10value_typeEPSN_NS1_7vsmem_tEENKUlT_SL_SM_SN_E_clIS8_S8_S9_S9_EESK_S10_SL_SM_SN_EUlS10_E1_NS1_11comp_targetILNS1_3genE2ELNS1_11target_archE906ELNS1_3gpuE6ELNS1_3repE0EEENS1_36merge_oddeven_config_static_selectorELNS0_4arch9wavefront6targetE0EEEvSM_,"axG",@progbits,_ZN7rocprim17ROCPRIM_400000_NS6detail17trampoline_kernelINS0_14default_configENS1_38merge_sort_block_merge_config_selectorIlNS0_10empty_typeEEEZZNS1_27merge_sort_block_merge_implIS3_PlPS5_mZN2at6native12_GLOBAL__N_124unique_dim_cuda_templateIhEESt5tupleIJNSA_6TensorESF_SF_EERKSF_lbbbEUlllE_EE10hipError_tT0_T1_T2_jT3_P12ihipStream_tbPNSt15iterator_traitsISL_E10value_typeEPNSR_ISM_E10value_typeEPSN_NS1_7vsmem_tEENKUlT_SL_SM_SN_E_clIS8_S8_S9_S9_EESK_S10_SL_SM_SN_EUlS10_E1_NS1_11comp_targetILNS1_3genE2ELNS1_11target_archE906ELNS1_3gpuE6ELNS1_3repE0EEENS1_36merge_oddeven_config_static_selectorELNS0_4arch9wavefront6targetE0EEEvSM_,comdat
	.globl	_ZN7rocprim17ROCPRIM_400000_NS6detail17trampoline_kernelINS0_14default_configENS1_38merge_sort_block_merge_config_selectorIlNS0_10empty_typeEEEZZNS1_27merge_sort_block_merge_implIS3_PlPS5_mZN2at6native12_GLOBAL__N_124unique_dim_cuda_templateIhEESt5tupleIJNSA_6TensorESF_SF_EERKSF_lbbbEUlllE_EE10hipError_tT0_T1_T2_jT3_P12ihipStream_tbPNSt15iterator_traitsISL_E10value_typeEPNSR_ISM_E10value_typeEPSN_NS1_7vsmem_tEENKUlT_SL_SM_SN_E_clIS8_S8_S9_S9_EESK_S10_SL_SM_SN_EUlS10_E1_NS1_11comp_targetILNS1_3genE2ELNS1_11target_archE906ELNS1_3gpuE6ELNS1_3repE0EEENS1_36merge_oddeven_config_static_selectorELNS0_4arch9wavefront6targetE0EEEvSM_ ; -- Begin function _ZN7rocprim17ROCPRIM_400000_NS6detail17trampoline_kernelINS0_14default_configENS1_38merge_sort_block_merge_config_selectorIlNS0_10empty_typeEEEZZNS1_27merge_sort_block_merge_implIS3_PlPS5_mZN2at6native12_GLOBAL__N_124unique_dim_cuda_templateIhEESt5tupleIJNSA_6TensorESF_SF_EERKSF_lbbbEUlllE_EE10hipError_tT0_T1_T2_jT3_P12ihipStream_tbPNSt15iterator_traitsISL_E10value_typeEPNSR_ISM_E10value_typeEPSN_NS1_7vsmem_tEENKUlT_SL_SM_SN_E_clIS8_S8_S9_S9_EESK_S10_SL_SM_SN_EUlS10_E1_NS1_11comp_targetILNS1_3genE2ELNS1_11target_archE906ELNS1_3gpuE6ELNS1_3repE0EEENS1_36merge_oddeven_config_static_selectorELNS0_4arch9wavefront6targetE0EEEvSM_
	.p2align	8
	.type	_ZN7rocprim17ROCPRIM_400000_NS6detail17trampoline_kernelINS0_14default_configENS1_38merge_sort_block_merge_config_selectorIlNS0_10empty_typeEEEZZNS1_27merge_sort_block_merge_implIS3_PlPS5_mZN2at6native12_GLOBAL__N_124unique_dim_cuda_templateIhEESt5tupleIJNSA_6TensorESF_SF_EERKSF_lbbbEUlllE_EE10hipError_tT0_T1_T2_jT3_P12ihipStream_tbPNSt15iterator_traitsISL_E10value_typeEPNSR_ISM_E10value_typeEPSN_NS1_7vsmem_tEENKUlT_SL_SM_SN_E_clIS8_S8_S9_S9_EESK_S10_SL_SM_SN_EUlS10_E1_NS1_11comp_targetILNS1_3genE2ELNS1_11target_archE906ELNS1_3gpuE6ELNS1_3repE0EEENS1_36merge_oddeven_config_static_selectorELNS0_4arch9wavefront6targetE0EEEvSM_,@function
_ZN7rocprim17ROCPRIM_400000_NS6detail17trampoline_kernelINS0_14default_configENS1_38merge_sort_block_merge_config_selectorIlNS0_10empty_typeEEEZZNS1_27merge_sort_block_merge_implIS3_PlPS5_mZN2at6native12_GLOBAL__N_124unique_dim_cuda_templateIhEESt5tupleIJNSA_6TensorESF_SF_EERKSF_lbbbEUlllE_EE10hipError_tT0_T1_T2_jT3_P12ihipStream_tbPNSt15iterator_traitsISL_E10value_typeEPNSR_ISM_E10value_typeEPSN_NS1_7vsmem_tEENKUlT_SL_SM_SN_E_clIS8_S8_S9_S9_EESK_S10_SL_SM_SN_EUlS10_E1_NS1_11comp_targetILNS1_3genE2ELNS1_11target_archE906ELNS1_3gpuE6ELNS1_3repE0EEENS1_36merge_oddeven_config_static_selectorELNS0_4arch9wavefront6targetE0EEEvSM_: ; @_ZN7rocprim17ROCPRIM_400000_NS6detail17trampoline_kernelINS0_14default_configENS1_38merge_sort_block_merge_config_selectorIlNS0_10empty_typeEEEZZNS1_27merge_sort_block_merge_implIS3_PlPS5_mZN2at6native12_GLOBAL__N_124unique_dim_cuda_templateIhEESt5tupleIJNSA_6TensorESF_SF_EERKSF_lbbbEUlllE_EE10hipError_tT0_T1_T2_jT3_P12ihipStream_tbPNSt15iterator_traitsISL_E10value_typeEPNSR_ISM_E10value_typeEPSN_NS1_7vsmem_tEENKUlT_SL_SM_SN_E_clIS8_S8_S9_S9_EESK_S10_SL_SM_SN_EUlS10_E1_NS1_11comp_targetILNS1_3genE2ELNS1_11target_archE906ELNS1_3gpuE6ELNS1_3repE0EEENS1_36merge_oddeven_config_static_selectorELNS0_4arch9wavefront6targetE0EEEvSM_
; %bb.0:
	.section	.rodata,"a",@progbits
	.p2align	6, 0x0
	.amdhsa_kernel _ZN7rocprim17ROCPRIM_400000_NS6detail17trampoline_kernelINS0_14default_configENS1_38merge_sort_block_merge_config_selectorIlNS0_10empty_typeEEEZZNS1_27merge_sort_block_merge_implIS3_PlPS5_mZN2at6native12_GLOBAL__N_124unique_dim_cuda_templateIhEESt5tupleIJNSA_6TensorESF_SF_EERKSF_lbbbEUlllE_EE10hipError_tT0_T1_T2_jT3_P12ihipStream_tbPNSt15iterator_traitsISL_E10value_typeEPNSR_ISM_E10value_typeEPSN_NS1_7vsmem_tEENKUlT_SL_SM_SN_E_clIS8_S8_S9_S9_EESK_S10_SL_SM_SN_EUlS10_E1_NS1_11comp_targetILNS1_3genE2ELNS1_11target_archE906ELNS1_3gpuE6ELNS1_3repE0EEENS1_36merge_oddeven_config_static_selectorELNS0_4arch9wavefront6targetE0EEEvSM_
		.amdhsa_group_segment_fixed_size 0
		.amdhsa_private_segment_fixed_size 0
		.amdhsa_kernarg_size 64
		.amdhsa_user_sgpr_count 2
		.amdhsa_user_sgpr_dispatch_ptr 0
		.amdhsa_user_sgpr_queue_ptr 0
		.amdhsa_user_sgpr_kernarg_segment_ptr 1
		.amdhsa_user_sgpr_dispatch_id 0
		.amdhsa_user_sgpr_kernarg_preload_length 0
		.amdhsa_user_sgpr_kernarg_preload_offset 0
		.amdhsa_user_sgpr_private_segment_size 0
		.amdhsa_wavefront_size32 1
		.amdhsa_uses_dynamic_stack 0
		.amdhsa_enable_private_segment 0
		.amdhsa_system_sgpr_workgroup_id_x 1
		.amdhsa_system_sgpr_workgroup_id_y 0
		.amdhsa_system_sgpr_workgroup_id_z 0
		.amdhsa_system_sgpr_workgroup_info 0
		.amdhsa_system_vgpr_workitem_id 0
		.amdhsa_next_free_vgpr 1
		.amdhsa_next_free_sgpr 1
		.amdhsa_named_barrier_count 0
		.amdhsa_reserve_vcc 0
		.amdhsa_float_round_mode_32 0
		.amdhsa_float_round_mode_16_64 0
		.amdhsa_float_denorm_mode_32 3
		.amdhsa_float_denorm_mode_16_64 3
		.amdhsa_fp16_overflow 0
		.amdhsa_memory_ordered 1
		.amdhsa_forward_progress 1
		.amdhsa_inst_pref_size 0
		.amdhsa_round_robin_scheduling 0
		.amdhsa_exception_fp_ieee_invalid_op 0
		.amdhsa_exception_fp_denorm_src 0
		.amdhsa_exception_fp_ieee_div_zero 0
		.amdhsa_exception_fp_ieee_overflow 0
		.amdhsa_exception_fp_ieee_underflow 0
		.amdhsa_exception_fp_ieee_inexact 0
		.amdhsa_exception_int_div_zero 0
	.end_amdhsa_kernel
	.section	.text._ZN7rocprim17ROCPRIM_400000_NS6detail17trampoline_kernelINS0_14default_configENS1_38merge_sort_block_merge_config_selectorIlNS0_10empty_typeEEEZZNS1_27merge_sort_block_merge_implIS3_PlPS5_mZN2at6native12_GLOBAL__N_124unique_dim_cuda_templateIhEESt5tupleIJNSA_6TensorESF_SF_EERKSF_lbbbEUlllE_EE10hipError_tT0_T1_T2_jT3_P12ihipStream_tbPNSt15iterator_traitsISL_E10value_typeEPNSR_ISM_E10value_typeEPSN_NS1_7vsmem_tEENKUlT_SL_SM_SN_E_clIS8_S8_S9_S9_EESK_S10_SL_SM_SN_EUlS10_E1_NS1_11comp_targetILNS1_3genE2ELNS1_11target_archE906ELNS1_3gpuE6ELNS1_3repE0EEENS1_36merge_oddeven_config_static_selectorELNS0_4arch9wavefront6targetE0EEEvSM_,"axG",@progbits,_ZN7rocprim17ROCPRIM_400000_NS6detail17trampoline_kernelINS0_14default_configENS1_38merge_sort_block_merge_config_selectorIlNS0_10empty_typeEEEZZNS1_27merge_sort_block_merge_implIS3_PlPS5_mZN2at6native12_GLOBAL__N_124unique_dim_cuda_templateIhEESt5tupleIJNSA_6TensorESF_SF_EERKSF_lbbbEUlllE_EE10hipError_tT0_T1_T2_jT3_P12ihipStream_tbPNSt15iterator_traitsISL_E10value_typeEPNSR_ISM_E10value_typeEPSN_NS1_7vsmem_tEENKUlT_SL_SM_SN_E_clIS8_S8_S9_S9_EESK_S10_SL_SM_SN_EUlS10_E1_NS1_11comp_targetILNS1_3genE2ELNS1_11target_archE906ELNS1_3gpuE6ELNS1_3repE0EEENS1_36merge_oddeven_config_static_selectorELNS0_4arch9wavefront6targetE0EEEvSM_,comdat
.Lfunc_end39:
	.size	_ZN7rocprim17ROCPRIM_400000_NS6detail17trampoline_kernelINS0_14default_configENS1_38merge_sort_block_merge_config_selectorIlNS0_10empty_typeEEEZZNS1_27merge_sort_block_merge_implIS3_PlPS5_mZN2at6native12_GLOBAL__N_124unique_dim_cuda_templateIhEESt5tupleIJNSA_6TensorESF_SF_EERKSF_lbbbEUlllE_EE10hipError_tT0_T1_T2_jT3_P12ihipStream_tbPNSt15iterator_traitsISL_E10value_typeEPNSR_ISM_E10value_typeEPSN_NS1_7vsmem_tEENKUlT_SL_SM_SN_E_clIS8_S8_S9_S9_EESK_S10_SL_SM_SN_EUlS10_E1_NS1_11comp_targetILNS1_3genE2ELNS1_11target_archE906ELNS1_3gpuE6ELNS1_3repE0EEENS1_36merge_oddeven_config_static_selectorELNS0_4arch9wavefront6targetE0EEEvSM_, .Lfunc_end39-_ZN7rocprim17ROCPRIM_400000_NS6detail17trampoline_kernelINS0_14default_configENS1_38merge_sort_block_merge_config_selectorIlNS0_10empty_typeEEEZZNS1_27merge_sort_block_merge_implIS3_PlPS5_mZN2at6native12_GLOBAL__N_124unique_dim_cuda_templateIhEESt5tupleIJNSA_6TensorESF_SF_EERKSF_lbbbEUlllE_EE10hipError_tT0_T1_T2_jT3_P12ihipStream_tbPNSt15iterator_traitsISL_E10value_typeEPNSR_ISM_E10value_typeEPSN_NS1_7vsmem_tEENKUlT_SL_SM_SN_E_clIS8_S8_S9_S9_EESK_S10_SL_SM_SN_EUlS10_E1_NS1_11comp_targetILNS1_3genE2ELNS1_11target_archE906ELNS1_3gpuE6ELNS1_3repE0EEENS1_36merge_oddeven_config_static_selectorELNS0_4arch9wavefront6targetE0EEEvSM_
                                        ; -- End function
	.set _ZN7rocprim17ROCPRIM_400000_NS6detail17trampoline_kernelINS0_14default_configENS1_38merge_sort_block_merge_config_selectorIlNS0_10empty_typeEEEZZNS1_27merge_sort_block_merge_implIS3_PlPS5_mZN2at6native12_GLOBAL__N_124unique_dim_cuda_templateIhEESt5tupleIJNSA_6TensorESF_SF_EERKSF_lbbbEUlllE_EE10hipError_tT0_T1_T2_jT3_P12ihipStream_tbPNSt15iterator_traitsISL_E10value_typeEPNSR_ISM_E10value_typeEPSN_NS1_7vsmem_tEENKUlT_SL_SM_SN_E_clIS8_S8_S9_S9_EESK_S10_SL_SM_SN_EUlS10_E1_NS1_11comp_targetILNS1_3genE2ELNS1_11target_archE906ELNS1_3gpuE6ELNS1_3repE0EEENS1_36merge_oddeven_config_static_selectorELNS0_4arch9wavefront6targetE0EEEvSM_.num_vgpr, 0
	.set _ZN7rocprim17ROCPRIM_400000_NS6detail17trampoline_kernelINS0_14default_configENS1_38merge_sort_block_merge_config_selectorIlNS0_10empty_typeEEEZZNS1_27merge_sort_block_merge_implIS3_PlPS5_mZN2at6native12_GLOBAL__N_124unique_dim_cuda_templateIhEESt5tupleIJNSA_6TensorESF_SF_EERKSF_lbbbEUlllE_EE10hipError_tT0_T1_T2_jT3_P12ihipStream_tbPNSt15iterator_traitsISL_E10value_typeEPNSR_ISM_E10value_typeEPSN_NS1_7vsmem_tEENKUlT_SL_SM_SN_E_clIS8_S8_S9_S9_EESK_S10_SL_SM_SN_EUlS10_E1_NS1_11comp_targetILNS1_3genE2ELNS1_11target_archE906ELNS1_3gpuE6ELNS1_3repE0EEENS1_36merge_oddeven_config_static_selectorELNS0_4arch9wavefront6targetE0EEEvSM_.num_agpr, 0
	.set _ZN7rocprim17ROCPRIM_400000_NS6detail17trampoline_kernelINS0_14default_configENS1_38merge_sort_block_merge_config_selectorIlNS0_10empty_typeEEEZZNS1_27merge_sort_block_merge_implIS3_PlPS5_mZN2at6native12_GLOBAL__N_124unique_dim_cuda_templateIhEESt5tupleIJNSA_6TensorESF_SF_EERKSF_lbbbEUlllE_EE10hipError_tT0_T1_T2_jT3_P12ihipStream_tbPNSt15iterator_traitsISL_E10value_typeEPNSR_ISM_E10value_typeEPSN_NS1_7vsmem_tEENKUlT_SL_SM_SN_E_clIS8_S8_S9_S9_EESK_S10_SL_SM_SN_EUlS10_E1_NS1_11comp_targetILNS1_3genE2ELNS1_11target_archE906ELNS1_3gpuE6ELNS1_3repE0EEENS1_36merge_oddeven_config_static_selectorELNS0_4arch9wavefront6targetE0EEEvSM_.numbered_sgpr, 0
	.set _ZN7rocprim17ROCPRIM_400000_NS6detail17trampoline_kernelINS0_14default_configENS1_38merge_sort_block_merge_config_selectorIlNS0_10empty_typeEEEZZNS1_27merge_sort_block_merge_implIS3_PlPS5_mZN2at6native12_GLOBAL__N_124unique_dim_cuda_templateIhEESt5tupleIJNSA_6TensorESF_SF_EERKSF_lbbbEUlllE_EE10hipError_tT0_T1_T2_jT3_P12ihipStream_tbPNSt15iterator_traitsISL_E10value_typeEPNSR_ISM_E10value_typeEPSN_NS1_7vsmem_tEENKUlT_SL_SM_SN_E_clIS8_S8_S9_S9_EESK_S10_SL_SM_SN_EUlS10_E1_NS1_11comp_targetILNS1_3genE2ELNS1_11target_archE906ELNS1_3gpuE6ELNS1_3repE0EEENS1_36merge_oddeven_config_static_selectorELNS0_4arch9wavefront6targetE0EEEvSM_.num_named_barrier, 0
	.set _ZN7rocprim17ROCPRIM_400000_NS6detail17trampoline_kernelINS0_14default_configENS1_38merge_sort_block_merge_config_selectorIlNS0_10empty_typeEEEZZNS1_27merge_sort_block_merge_implIS3_PlPS5_mZN2at6native12_GLOBAL__N_124unique_dim_cuda_templateIhEESt5tupleIJNSA_6TensorESF_SF_EERKSF_lbbbEUlllE_EE10hipError_tT0_T1_T2_jT3_P12ihipStream_tbPNSt15iterator_traitsISL_E10value_typeEPNSR_ISM_E10value_typeEPSN_NS1_7vsmem_tEENKUlT_SL_SM_SN_E_clIS8_S8_S9_S9_EESK_S10_SL_SM_SN_EUlS10_E1_NS1_11comp_targetILNS1_3genE2ELNS1_11target_archE906ELNS1_3gpuE6ELNS1_3repE0EEENS1_36merge_oddeven_config_static_selectorELNS0_4arch9wavefront6targetE0EEEvSM_.private_seg_size, 0
	.set _ZN7rocprim17ROCPRIM_400000_NS6detail17trampoline_kernelINS0_14default_configENS1_38merge_sort_block_merge_config_selectorIlNS0_10empty_typeEEEZZNS1_27merge_sort_block_merge_implIS3_PlPS5_mZN2at6native12_GLOBAL__N_124unique_dim_cuda_templateIhEESt5tupleIJNSA_6TensorESF_SF_EERKSF_lbbbEUlllE_EE10hipError_tT0_T1_T2_jT3_P12ihipStream_tbPNSt15iterator_traitsISL_E10value_typeEPNSR_ISM_E10value_typeEPSN_NS1_7vsmem_tEENKUlT_SL_SM_SN_E_clIS8_S8_S9_S9_EESK_S10_SL_SM_SN_EUlS10_E1_NS1_11comp_targetILNS1_3genE2ELNS1_11target_archE906ELNS1_3gpuE6ELNS1_3repE0EEENS1_36merge_oddeven_config_static_selectorELNS0_4arch9wavefront6targetE0EEEvSM_.uses_vcc, 0
	.set _ZN7rocprim17ROCPRIM_400000_NS6detail17trampoline_kernelINS0_14default_configENS1_38merge_sort_block_merge_config_selectorIlNS0_10empty_typeEEEZZNS1_27merge_sort_block_merge_implIS3_PlPS5_mZN2at6native12_GLOBAL__N_124unique_dim_cuda_templateIhEESt5tupleIJNSA_6TensorESF_SF_EERKSF_lbbbEUlllE_EE10hipError_tT0_T1_T2_jT3_P12ihipStream_tbPNSt15iterator_traitsISL_E10value_typeEPNSR_ISM_E10value_typeEPSN_NS1_7vsmem_tEENKUlT_SL_SM_SN_E_clIS8_S8_S9_S9_EESK_S10_SL_SM_SN_EUlS10_E1_NS1_11comp_targetILNS1_3genE2ELNS1_11target_archE906ELNS1_3gpuE6ELNS1_3repE0EEENS1_36merge_oddeven_config_static_selectorELNS0_4arch9wavefront6targetE0EEEvSM_.uses_flat_scratch, 0
	.set _ZN7rocprim17ROCPRIM_400000_NS6detail17trampoline_kernelINS0_14default_configENS1_38merge_sort_block_merge_config_selectorIlNS0_10empty_typeEEEZZNS1_27merge_sort_block_merge_implIS3_PlPS5_mZN2at6native12_GLOBAL__N_124unique_dim_cuda_templateIhEESt5tupleIJNSA_6TensorESF_SF_EERKSF_lbbbEUlllE_EE10hipError_tT0_T1_T2_jT3_P12ihipStream_tbPNSt15iterator_traitsISL_E10value_typeEPNSR_ISM_E10value_typeEPSN_NS1_7vsmem_tEENKUlT_SL_SM_SN_E_clIS8_S8_S9_S9_EESK_S10_SL_SM_SN_EUlS10_E1_NS1_11comp_targetILNS1_3genE2ELNS1_11target_archE906ELNS1_3gpuE6ELNS1_3repE0EEENS1_36merge_oddeven_config_static_selectorELNS0_4arch9wavefront6targetE0EEEvSM_.has_dyn_sized_stack, 0
	.set _ZN7rocprim17ROCPRIM_400000_NS6detail17trampoline_kernelINS0_14default_configENS1_38merge_sort_block_merge_config_selectorIlNS0_10empty_typeEEEZZNS1_27merge_sort_block_merge_implIS3_PlPS5_mZN2at6native12_GLOBAL__N_124unique_dim_cuda_templateIhEESt5tupleIJNSA_6TensorESF_SF_EERKSF_lbbbEUlllE_EE10hipError_tT0_T1_T2_jT3_P12ihipStream_tbPNSt15iterator_traitsISL_E10value_typeEPNSR_ISM_E10value_typeEPSN_NS1_7vsmem_tEENKUlT_SL_SM_SN_E_clIS8_S8_S9_S9_EESK_S10_SL_SM_SN_EUlS10_E1_NS1_11comp_targetILNS1_3genE2ELNS1_11target_archE906ELNS1_3gpuE6ELNS1_3repE0EEENS1_36merge_oddeven_config_static_selectorELNS0_4arch9wavefront6targetE0EEEvSM_.has_recursion, 0
	.set _ZN7rocprim17ROCPRIM_400000_NS6detail17trampoline_kernelINS0_14default_configENS1_38merge_sort_block_merge_config_selectorIlNS0_10empty_typeEEEZZNS1_27merge_sort_block_merge_implIS3_PlPS5_mZN2at6native12_GLOBAL__N_124unique_dim_cuda_templateIhEESt5tupleIJNSA_6TensorESF_SF_EERKSF_lbbbEUlllE_EE10hipError_tT0_T1_T2_jT3_P12ihipStream_tbPNSt15iterator_traitsISL_E10value_typeEPNSR_ISM_E10value_typeEPSN_NS1_7vsmem_tEENKUlT_SL_SM_SN_E_clIS8_S8_S9_S9_EESK_S10_SL_SM_SN_EUlS10_E1_NS1_11comp_targetILNS1_3genE2ELNS1_11target_archE906ELNS1_3gpuE6ELNS1_3repE0EEENS1_36merge_oddeven_config_static_selectorELNS0_4arch9wavefront6targetE0EEEvSM_.has_indirect_call, 0
	.section	.AMDGPU.csdata,"",@progbits
; Kernel info:
; codeLenInByte = 0
; TotalNumSgprs: 0
; NumVgprs: 0
; ScratchSize: 0
; MemoryBound: 0
; FloatMode: 240
; IeeeMode: 1
; LDSByteSize: 0 bytes/workgroup (compile time only)
; SGPRBlocks: 0
; VGPRBlocks: 0
; NumSGPRsForWavesPerEU: 1
; NumVGPRsForWavesPerEU: 1
; NamedBarCnt: 0
; Occupancy: 16
; WaveLimiterHint : 0
; COMPUTE_PGM_RSRC2:SCRATCH_EN: 0
; COMPUTE_PGM_RSRC2:USER_SGPR: 2
; COMPUTE_PGM_RSRC2:TRAP_HANDLER: 0
; COMPUTE_PGM_RSRC2:TGID_X_EN: 1
; COMPUTE_PGM_RSRC2:TGID_Y_EN: 0
; COMPUTE_PGM_RSRC2:TGID_Z_EN: 0
; COMPUTE_PGM_RSRC2:TIDIG_COMP_CNT: 0
	.section	.text._ZN7rocprim17ROCPRIM_400000_NS6detail17trampoline_kernelINS0_14default_configENS1_38merge_sort_block_merge_config_selectorIlNS0_10empty_typeEEEZZNS1_27merge_sort_block_merge_implIS3_PlPS5_mZN2at6native12_GLOBAL__N_124unique_dim_cuda_templateIhEESt5tupleIJNSA_6TensorESF_SF_EERKSF_lbbbEUlllE_EE10hipError_tT0_T1_T2_jT3_P12ihipStream_tbPNSt15iterator_traitsISL_E10value_typeEPNSR_ISM_E10value_typeEPSN_NS1_7vsmem_tEENKUlT_SL_SM_SN_E_clIS8_S8_S9_S9_EESK_S10_SL_SM_SN_EUlS10_E1_NS1_11comp_targetILNS1_3genE9ELNS1_11target_archE1100ELNS1_3gpuE3ELNS1_3repE0EEENS1_36merge_oddeven_config_static_selectorELNS0_4arch9wavefront6targetE0EEEvSM_,"axG",@progbits,_ZN7rocprim17ROCPRIM_400000_NS6detail17trampoline_kernelINS0_14default_configENS1_38merge_sort_block_merge_config_selectorIlNS0_10empty_typeEEEZZNS1_27merge_sort_block_merge_implIS3_PlPS5_mZN2at6native12_GLOBAL__N_124unique_dim_cuda_templateIhEESt5tupleIJNSA_6TensorESF_SF_EERKSF_lbbbEUlllE_EE10hipError_tT0_T1_T2_jT3_P12ihipStream_tbPNSt15iterator_traitsISL_E10value_typeEPNSR_ISM_E10value_typeEPSN_NS1_7vsmem_tEENKUlT_SL_SM_SN_E_clIS8_S8_S9_S9_EESK_S10_SL_SM_SN_EUlS10_E1_NS1_11comp_targetILNS1_3genE9ELNS1_11target_archE1100ELNS1_3gpuE3ELNS1_3repE0EEENS1_36merge_oddeven_config_static_selectorELNS0_4arch9wavefront6targetE0EEEvSM_,comdat
	.globl	_ZN7rocprim17ROCPRIM_400000_NS6detail17trampoline_kernelINS0_14default_configENS1_38merge_sort_block_merge_config_selectorIlNS0_10empty_typeEEEZZNS1_27merge_sort_block_merge_implIS3_PlPS5_mZN2at6native12_GLOBAL__N_124unique_dim_cuda_templateIhEESt5tupleIJNSA_6TensorESF_SF_EERKSF_lbbbEUlllE_EE10hipError_tT0_T1_T2_jT3_P12ihipStream_tbPNSt15iterator_traitsISL_E10value_typeEPNSR_ISM_E10value_typeEPSN_NS1_7vsmem_tEENKUlT_SL_SM_SN_E_clIS8_S8_S9_S9_EESK_S10_SL_SM_SN_EUlS10_E1_NS1_11comp_targetILNS1_3genE9ELNS1_11target_archE1100ELNS1_3gpuE3ELNS1_3repE0EEENS1_36merge_oddeven_config_static_selectorELNS0_4arch9wavefront6targetE0EEEvSM_ ; -- Begin function _ZN7rocprim17ROCPRIM_400000_NS6detail17trampoline_kernelINS0_14default_configENS1_38merge_sort_block_merge_config_selectorIlNS0_10empty_typeEEEZZNS1_27merge_sort_block_merge_implIS3_PlPS5_mZN2at6native12_GLOBAL__N_124unique_dim_cuda_templateIhEESt5tupleIJNSA_6TensorESF_SF_EERKSF_lbbbEUlllE_EE10hipError_tT0_T1_T2_jT3_P12ihipStream_tbPNSt15iterator_traitsISL_E10value_typeEPNSR_ISM_E10value_typeEPSN_NS1_7vsmem_tEENKUlT_SL_SM_SN_E_clIS8_S8_S9_S9_EESK_S10_SL_SM_SN_EUlS10_E1_NS1_11comp_targetILNS1_3genE9ELNS1_11target_archE1100ELNS1_3gpuE3ELNS1_3repE0EEENS1_36merge_oddeven_config_static_selectorELNS0_4arch9wavefront6targetE0EEEvSM_
	.p2align	8
	.type	_ZN7rocprim17ROCPRIM_400000_NS6detail17trampoline_kernelINS0_14default_configENS1_38merge_sort_block_merge_config_selectorIlNS0_10empty_typeEEEZZNS1_27merge_sort_block_merge_implIS3_PlPS5_mZN2at6native12_GLOBAL__N_124unique_dim_cuda_templateIhEESt5tupleIJNSA_6TensorESF_SF_EERKSF_lbbbEUlllE_EE10hipError_tT0_T1_T2_jT3_P12ihipStream_tbPNSt15iterator_traitsISL_E10value_typeEPNSR_ISM_E10value_typeEPSN_NS1_7vsmem_tEENKUlT_SL_SM_SN_E_clIS8_S8_S9_S9_EESK_S10_SL_SM_SN_EUlS10_E1_NS1_11comp_targetILNS1_3genE9ELNS1_11target_archE1100ELNS1_3gpuE3ELNS1_3repE0EEENS1_36merge_oddeven_config_static_selectorELNS0_4arch9wavefront6targetE0EEEvSM_,@function
_ZN7rocprim17ROCPRIM_400000_NS6detail17trampoline_kernelINS0_14default_configENS1_38merge_sort_block_merge_config_selectorIlNS0_10empty_typeEEEZZNS1_27merge_sort_block_merge_implIS3_PlPS5_mZN2at6native12_GLOBAL__N_124unique_dim_cuda_templateIhEESt5tupleIJNSA_6TensorESF_SF_EERKSF_lbbbEUlllE_EE10hipError_tT0_T1_T2_jT3_P12ihipStream_tbPNSt15iterator_traitsISL_E10value_typeEPNSR_ISM_E10value_typeEPSN_NS1_7vsmem_tEENKUlT_SL_SM_SN_E_clIS8_S8_S9_S9_EESK_S10_SL_SM_SN_EUlS10_E1_NS1_11comp_targetILNS1_3genE9ELNS1_11target_archE1100ELNS1_3gpuE3ELNS1_3repE0EEENS1_36merge_oddeven_config_static_selectorELNS0_4arch9wavefront6targetE0EEEvSM_: ; @_ZN7rocprim17ROCPRIM_400000_NS6detail17trampoline_kernelINS0_14default_configENS1_38merge_sort_block_merge_config_selectorIlNS0_10empty_typeEEEZZNS1_27merge_sort_block_merge_implIS3_PlPS5_mZN2at6native12_GLOBAL__N_124unique_dim_cuda_templateIhEESt5tupleIJNSA_6TensorESF_SF_EERKSF_lbbbEUlllE_EE10hipError_tT0_T1_T2_jT3_P12ihipStream_tbPNSt15iterator_traitsISL_E10value_typeEPNSR_ISM_E10value_typeEPSN_NS1_7vsmem_tEENKUlT_SL_SM_SN_E_clIS8_S8_S9_S9_EESK_S10_SL_SM_SN_EUlS10_E1_NS1_11comp_targetILNS1_3genE9ELNS1_11target_archE1100ELNS1_3gpuE3ELNS1_3repE0EEENS1_36merge_oddeven_config_static_selectorELNS0_4arch9wavefront6targetE0EEEvSM_
; %bb.0:
	.section	.rodata,"a",@progbits
	.p2align	6, 0x0
	.amdhsa_kernel _ZN7rocprim17ROCPRIM_400000_NS6detail17trampoline_kernelINS0_14default_configENS1_38merge_sort_block_merge_config_selectorIlNS0_10empty_typeEEEZZNS1_27merge_sort_block_merge_implIS3_PlPS5_mZN2at6native12_GLOBAL__N_124unique_dim_cuda_templateIhEESt5tupleIJNSA_6TensorESF_SF_EERKSF_lbbbEUlllE_EE10hipError_tT0_T1_T2_jT3_P12ihipStream_tbPNSt15iterator_traitsISL_E10value_typeEPNSR_ISM_E10value_typeEPSN_NS1_7vsmem_tEENKUlT_SL_SM_SN_E_clIS8_S8_S9_S9_EESK_S10_SL_SM_SN_EUlS10_E1_NS1_11comp_targetILNS1_3genE9ELNS1_11target_archE1100ELNS1_3gpuE3ELNS1_3repE0EEENS1_36merge_oddeven_config_static_selectorELNS0_4arch9wavefront6targetE0EEEvSM_
		.amdhsa_group_segment_fixed_size 0
		.amdhsa_private_segment_fixed_size 0
		.amdhsa_kernarg_size 64
		.amdhsa_user_sgpr_count 2
		.amdhsa_user_sgpr_dispatch_ptr 0
		.amdhsa_user_sgpr_queue_ptr 0
		.amdhsa_user_sgpr_kernarg_segment_ptr 1
		.amdhsa_user_sgpr_dispatch_id 0
		.amdhsa_user_sgpr_kernarg_preload_length 0
		.amdhsa_user_sgpr_kernarg_preload_offset 0
		.amdhsa_user_sgpr_private_segment_size 0
		.amdhsa_wavefront_size32 1
		.amdhsa_uses_dynamic_stack 0
		.amdhsa_enable_private_segment 0
		.amdhsa_system_sgpr_workgroup_id_x 1
		.amdhsa_system_sgpr_workgroup_id_y 0
		.amdhsa_system_sgpr_workgroup_id_z 0
		.amdhsa_system_sgpr_workgroup_info 0
		.amdhsa_system_vgpr_workitem_id 0
		.amdhsa_next_free_vgpr 1
		.amdhsa_next_free_sgpr 1
		.amdhsa_named_barrier_count 0
		.amdhsa_reserve_vcc 0
		.amdhsa_float_round_mode_32 0
		.amdhsa_float_round_mode_16_64 0
		.amdhsa_float_denorm_mode_32 3
		.amdhsa_float_denorm_mode_16_64 3
		.amdhsa_fp16_overflow 0
		.amdhsa_memory_ordered 1
		.amdhsa_forward_progress 1
		.amdhsa_inst_pref_size 0
		.amdhsa_round_robin_scheduling 0
		.amdhsa_exception_fp_ieee_invalid_op 0
		.amdhsa_exception_fp_denorm_src 0
		.amdhsa_exception_fp_ieee_div_zero 0
		.amdhsa_exception_fp_ieee_overflow 0
		.amdhsa_exception_fp_ieee_underflow 0
		.amdhsa_exception_fp_ieee_inexact 0
		.amdhsa_exception_int_div_zero 0
	.end_amdhsa_kernel
	.section	.text._ZN7rocprim17ROCPRIM_400000_NS6detail17trampoline_kernelINS0_14default_configENS1_38merge_sort_block_merge_config_selectorIlNS0_10empty_typeEEEZZNS1_27merge_sort_block_merge_implIS3_PlPS5_mZN2at6native12_GLOBAL__N_124unique_dim_cuda_templateIhEESt5tupleIJNSA_6TensorESF_SF_EERKSF_lbbbEUlllE_EE10hipError_tT0_T1_T2_jT3_P12ihipStream_tbPNSt15iterator_traitsISL_E10value_typeEPNSR_ISM_E10value_typeEPSN_NS1_7vsmem_tEENKUlT_SL_SM_SN_E_clIS8_S8_S9_S9_EESK_S10_SL_SM_SN_EUlS10_E1_NS1_11comp_targetILNS1_3genE9ELNS1_11target_archE1100ELNS1_3gpuE3ELNS1_3repE0EEENS1_36merge_oddeven_config_static_selectorELNS0_4arch9wavefront6targetE0EEEvSM_,"axG",@progbits,_ZN7rocprim17ROCPRIM_400000_NS6detail17trampoline_kernelINS0_14default_configENS1_38merge_sort_block_merge_config_selectorIlNS0_10empty_typeEEEZZNS1_27merge_sort_block_merge_implIS3_PlPS5_mZN2at6native12_GLOBAL__N_124unique_dim_cuda_templateIhEESt5tupleIJNSA_6TensorESF_SF_EERKSF_lbbbEUlllE_EE10hipError_tT0_T1_T2_jT3_P12ihipStream_tbPNSt15iterator_traitsISL_E10value_typeEPNSR_ISM_E10value_typeEPSN_NS1_7vsmem_tEENKUlT_SL_SM_SN_E_clIS8_S8_S9_S9_EESK_S10_SL_SM_SN_EUlS10_E1_NS1_11comp_targetILNS1_3genE9ELNS1_11target_archE1100ELNS1_3gpuE3ELNS1_3repE0EEENS1_36merge_oddeven_config_static_selectorELNS0_4arch9wavefront6targetE0EEEvSM_,comdat
.Lfunc_end40:
	.size	_ZN7rocprim17ROCPRIM_400000_NS6detail17trampoline_kernelINS0_14default_configENS1_38merge_sort_block_merge_config_selectorIlNS0_10empty_typeEEEZZNS1_27merge_sort_block_merge_implIS3_PlPS5_mZN2at6native12_GLOBAL__N_124unique_dim_cuda_templateIhEESt5tupleIJNSA_6TensorESF_SF_EERKSF_lbbbEUlllE_EE10hipError_tT0_T1_T2_jT3_P12ihipStream_tbPNSt15iterator_traitsISL_E10value_typeEPNSR_ISM_E10value_typeEPSN_NS1_7vsmem_tEENKUlT_SL_SM_SN_E_clIS8_S8_S9_S9_EESK_S10_SL_SM_SN_EUlS10_E1_NS1_11comp_targetILNS1_3genE9ELNS1_11target_archE1100ELNS1_3gpuE3ELNS1_3repE0EEENS1_36merge_oddeven_config_static_selectorELNS0_4arch9wavefront6targetE0EEEvSM_, .Lfunc_end40-_ZN7rocprim17ROCPRIM_400000_NS6detail17trampoline_kernelINS0_14default_configENS1_38merge_sort_block_merge_config_selectorIlNS0_10empty_typeEEEZZNS1_27merge_sort_block_merge_implIS3_PlPS5_mZN2at6native12_GLOBAL__N_124unique_dim_cuda_templateIhEESt5tupleIJNSA_6TensorESF_SF_EERKSF_lbbbEUlllE_EE10hipError_tT0_T1_T2_jT3_P12ihipStream_tbPNSt15iterator_traitsISL_E10value_typeEPNSR_ISM_E10value_typeEPSN_NS1_7vsmem_tEENKUlT_SL_SM_SN_E_clIS8_S8_S9_S9_EESK_S10_SL_SM_SN_EUlS10_E1_NS1_11comp_targetILNS1_3genE9ELNS1_11target_archE1100ELNS1_3gpuE3ELNS1_3repE0EEENS1_36merge_oddeven_config_static_selectorELNS0_4arch9wavefront6targetE0EEEvSM_
                                        ; -- End function
	.set _ZN7rocprim17ROCPRIM_400000_NS6detail17trampoline_kernelINS0_14default_configENS1_38merge_sort_block_merge_config_selectorIlNS0_10empty_typeEEEZZNS1_27merge_sort_block_merge_implIS3_PlPS5_mZN2at6native12_GLOBAL__N_124unique_dim_cuda_templateIhEESt5tupleIJNSA_6TensorESF_SF_EERKSF_lbbbEUlllE_EE10hipError_tT0_T1_T2_jT3_P12ihipStream_tbPNSt15iterator_traitsISL_E10value_typeEPNSR_ISM_E10value_typeEPSN_NS1_7vsmem_tEENKUlT_SL_SM_SN_E_clIS8_S8_S9_S9_EESK_S10_SL_SM_SN_EUlS10_E1_NS1_11comp_targetILNS1_3genE9ELNS1_11target_archE1100ELNS1_3gpuE3ELNS1_3repE0EEENS1_36merge_oddeven_config_static_selectorELNS0_4arch9wavefront6targetE0EEEvSM_.num_vgpr, 0
	.set _ZN7rocprim17ROCPRIM_400000_NS6detail17trampoline_kernelINS0_14default_configENS1_38merge_sort_block_merge_config_selectorIlNS0_10empty_typeEEEZZNS1_27merge_sort_block_merge_implIS3_PlPS5_mZN2at6native12_GLOBAL__N_124unique_dim_cuda_templateIhEESt5tupleIJNSA_6TensorESF_SF_EERKSF_lbbbEUlllE_EE10hipError_tT0_T1_T2_jT3_P12ihipStream_tbPNSt15iterator_traitsISL_E10value_typeEPNSR_ISM_E10value_typeEPSN_NS1_7vsmem_tEENKUlT_SL_SM_SN_E_clIS8_S8_S9_S9_EESK_S10_SL_SM_SN_EUlS10_E1_NS1_11comp_targetILNS1_3genE9ELNS1_11target_archE1100ELNS1_3gpuE3ELNS1_3repE0EEENS1_36merge_oddeven_config_static_selectorELNS0_4arch9wavefront6targetE0EEEvSM_.num_agpr, 0
	.set _ZN7rocprim17ROCPRIM_400000_NS6detail17trampoline_kernelINS0_14default_configENS1_38merge_sort_block_merge_config_selectorIlNS0_10empty_typeEEEZZNS1_27merge_sort_block_merge_implIS3_PlPS5_mZN2at6native12_GLOBAL__N_124unique_dim_cuda_templateIhEESt5tupleIJNSA_6TensorESF_SF_EERKSF_lbbbEUlllE_EE10hipError_tT0_T1_T2_jT3_P12ihipStream_tbPNSt15iterator_traitsISL_E10value_typeEPNSR_ISM_E10value_typeEPSN_NS1_7vsmem_tEENKUlT_SL_SM_SN_E_clIS8_S8_S9_S9_EESK_S10_SL_SM_SN_EUlS10_E1_NS1_11comp_targetILNS1_3genE9ELNS1_11target_archE1100ELNS1_3gpuE3ELNS1_3repE0EEENS1_36merge_oddeven_config_static_selectorELNS0_4arch9wavefront6targetE0EEEvSM_.numbered_sgpr, 0
	.set _ZN7rocprim17ROCPRIM_400000_NS6detail17trampoline_kernelINS0_14default_configENS1_38merge_sort_block_merge_config_selectorIlNS0_10empty_typeEEEZZNS1_27merge_sort_block_merge_implIS3_PlPS5_mZN2at6native12_GLOBAL__N_124unique_dim_cuda_templateIhEESt5tupleIJNSA_6TensorESF_SF_EERKSF_lbbbEUlllE_EE10hipError_tT0_T1_T2_jT3_P12ihipStream_tbPNSt15iterator_traitsISL_E10value_typeEPNSR_ISM_E10value_typeEPSN_NS1_7vsmem_tEENKUlT_SL_SM_SN_E_clIS8_S8_S9_S9_EESK_S10_SL_SM_SN_EUlS10_E1_NS1_11comp_targetILNS1_3genE9ELNS1_11target_archE1100ELNS1_3gpuE3ELNS1_3repE0EEENS1_36merge_oddeven_config_static_selectorELNS0_4arch9wavefront6targetE0EEEvSM_.num_named_barrier, 0
	.set _ZN7rocprim17ROCPRIM_400000_NS6detail17trampoline_kernelINS0_14default_configENS1_38merge_sort_block_merge_config_selectorIlNS0_10empty_typeEEEZZNS1_27merge_sort_block_merge_implIS3_PlPS5_mZN2at6native12_GLOBAL__N_124unique_dim_cuda_templateIhEESt5tupleIJNSA_6TensorESF_SF_EERKSF_lbbbEUlllE_EE10hipError_tT0_T1_T2_jT3_P12ihipStream_tbPNSt15iterator_traitsISL_E10value_typeEPNSR_ISM_E10value_typeEPSN_NS1_7vsmem_tEENKUlT_SL_SM_SN_E_clIS8_S8_S9_S9_EESK_S10_SL_SM_SN_EUlS10_E1_NS1_11comp_targetILNS1_3genE9ELNS1_11target_archE1100ELNS1_3gpuE3ELNS1_3repE0EEENS1_36merge_oddeven_config_static_selectorELNS0_4arch9wavefront6targetE0EEEvSM_.private_seg_size, 0
	.set _ZN7rocprim17ROCPRIM_400000_NS6detail17trampoline_kernelINS0_14default_configENS1_38merge_sort_block_merge_config_selectorIlNS0_10empty_typeEEEZZNS1_27merge_sort_block_merge_implIS3_PlPS5_mZN2at6native12_GLOBAL__N_124unique_dim_cuda_templateIhEESt5tupleIJNSA_6TensorESF_SF_EERKSF_lbbbEUlllE_EE10hipError_tT0_T1_T2_jT3_P12ihipStream_tbPNSt15iterator_traitsISL_E10value_typeEPNSR_ISM_E10value_typeEPSN_NS1_7vsmem_tEENKUlT_SL_SM_SN_E_clIS8_S8_S9_S9_EESK_S10_SL_SM_SN_EUlS10_E1_NS1_11comp_targetILNS1_3genE9ELNS1_11target_archE1100ELNS1_3gpuE3ELNS1_3repE0EEENS1_36merge_oddeven_config_static_selectorELNS0_4arch9wavefront6targetE0EEEvSM_.uses_vcc, 0
	.set _ZN7rocprim17ROCPRIM_400000_NS6detail17trampoline_kernelINS0_14default_configENS1_38merge_sort_block_merge_config_selectorIlNS0_10empty_typeEEEZZNS1_27merge_sort_block_merge_implIS3_PlPS5_mZN2at6native12_GLOBAL__N_124unique_dim_cuda_templateIhEESt5tupleIJNSA_6TensorESF_SF_EERKSF_lbbbEUlllE_EE10hipError_tT0_T1_T2_jT3_P12ihipStream_tbPNSt15iterator_traitsISL_E10value_typeEPNSR_ISM_E10value_typeEPSN_NS1_7vsmem_tEENKUlT_SL_SM_SN_E_clIS8_S8_S9_S9_EESK_S10_SL_SM_SN_EUlS10_E1_NS1_11comp_targetILNS1_3genE9ELNS1_11target_archE1100ELNS1_3gpuE3ELNS1_3repE0EEENS1_36merge_oddeven_config_static_selectorELNS0_4arch9wavefront6targetE0EEEvSM_.uses_flat_scratch, 0
	.set _ZN7rocprim17ROCPRIM_400000_NS6detail17trampoline_kernelINS0_14default_configENS1_38merge_sort_block_merge_config_selectorIlNS0_10empty_typeEEEZZNS1_27merge_sort_block_merge_implIS3_PlPS5_mZN2at6native12_GLOBAL__N_124unique_dim_cuda_templateIhEESt5tupleIJNSA_6TensorESF_SF_EERKSF_lbbbEUlllE_EE10hipError_tT0_T1_T2_jT3_P12ihipStream_tbPNSt15iterator_traitsISL_E10value_typeEPNSR_ISM_E10value_typeEPSN_NS1_7vsmem_tEENKUlT_SL_SM_SN_E_clIS8_S8_S9_S9_EESK_S10_SL_SM_SN_EUlS10_E1_NS1_11comp_targetILNS1_3genE9ELNS1_11target_archE1100ELNS1_3gpuE3ELNS1_3repE0EEENS1_36merge_oddeven_config_static_selectorELNS0_4arch9wavefront6targetE0EEEvSM_.has_dyn_sized_stack, 0
	.set _ZN7rocprim17ROCPRIM_400000_NS6detail17trampoline_kernelINS0_14default_configENS1_38merge_sort_block_merge_config_selectorIlNS0_10empty_typeEEEZZNS1_27merge_sort_block_merge_implIS3_PlPS5_mZN2at6native12_GLOBAL__N_124unique_dim_cuda_templateIhEESt5tupleIJNSA_6TensorESF_SF_EERKSF_lbbbEUlllE_EE10hipError_tT0_T1_T2_jT3_P12ihipStream_tbPNSt15iterator_traitsISL_E10value_typeEPNSR_ISM_E10value_typeEPSN_NS1_7vsmem_tEENKUlT_SL_SM_SN_E_clIS8_S8_S9_S9_EESK_S10_SL_SM_SN_EUlS10_E1_NS1_11comp_targetILNS1_3genE9ELNS1_11target_archE1100ELNS1_3gpuE3ELNS1_3repE0EEENS1_36merge_oddeven_config_static_selectorELNS0_4arch9wavefront6targetE0EEEvSM_.has_recursion, 0
	.set _ZN7rocprim17ROCPRIM_400000_NS6detail17trampoline_kernelINS0_14default_configENS1_38merge_sort_block_merge_config_selectorIlNS0_10empty_typeEEEZZNS1_27merge_sort_block_merge_implIS3_PlPS5_mZN2at6native12_GLOBAL__N_124unique_dim_cuda_templateIhEESt5tupleIJNSA_6TensorESF_SF_EERKSF_lbbbEUlllE_EE10hipError_tT0_T1_T2_jT3_P12ihipStream_tbPNSt15iterator_traitsISL_E10value_typeEPNSR_ISM_E10value_typeEPSN_NS1_7vsmem_tEENKUlT_SL_SM_SN_E_clIS8_S8_S9_S9_EESK_S10_SL_SM_SN_EUlS10_E1_NS1_11comp_targetILNS1_3genE9ELNS1_11target_archE1100ELNS1_3gpuE3ELNS1_3repE0EEENS1_36merge_oddeven_config_static_selectorELNS0_4arch9wavefront6targetE0EEEvSM_.has_indirect_call, 0
	.section	.AMDGPU.csdata,"",@progbits
; Kernel info:
; codeLenInByte = 0
; TotalNumSgprs: 0
; NumVgprs: 0
; ScratchSize: 0
; MemoryBound: 0
; FloatMode: 240
; IeeeMode: 1
; LDSByteSize: 0 bytes/workgroup (compile time only)
; SGPRBlocks: 0
; VGPRBlocks: 0
; NumSGPRsForWavesPerEU: 1
; NumVGPRsForWavesPerEU: 1
; NamedBarCnt: 0
; Occupancy: 16
; WaveLimiterHint : 0
; COMPUTE_PGM_RSRC2:SCRATCH_EN: 0
; COMPUTE_PGM_RSRC2:USER_SGPR: 2
; COMPUTE_PGM_RSRC2:TRAP_HANDLER: 0
; COMPUTE_PGM_RSRC2:TGID_X_EN: 1
; COMPUTE_PGM_RSRC2:TGID_Y_EN: 0
; COMPUTE_PGM_RSRC2:TGID_Z_EN: 0
; COMPUTE_PGM_RSRC2:TIDIG_COMP_CNT: 0
	.section	.text._ZN7rocprim17ROCPRIM_400000_NS6detail17trampoline_kernelINS0_14default_configENS1_38merge_sort_block_merge_config_selectorIlNS0_10empty_typeEEEZZNS1_27merge_sort_block_merge_implIS3_PlPS5_mZN2at6native12_GLOBAL__N_124unique_dim_cuda_templateIhEESt5tupleIJNSA_6TensorESF_SF_EERKSF_lbbbEUlllE_EE10hipError_tT0_T1_T2_jT3_P12ihipStream_tbPNSt15iterator_traitsISL_E10value_typeEPNSR_ISM_E10value_typeEPSN_NS1_7vsmem_tEENKUlT_SL_SM_SN_E_clIS8_S8_S9_S9_EESK_S10_SL_SM_SN_EUlS10_E1_NS1_11comp_targetILNS1_3genE8ELNS1_11target_archE1030ELNS1_3gpuE2ELNS1_3repE0EEENS1_36merge_oddeven_config_static_selectorELNS0_4arch9wavefront6targetE0EEEvSM_,"axG",@progbits,_ZN7rocprim17ROCPRIM_400000_NS6detail17trampoline_kernelINS0_14default_configENS1_38merge_sort_block_merge_config_selectorIlNS0_10empty_typeEEEZZNS1_27merge_sort_block_merge_implIS3_PlPS5_mZN2at6native12_GLOBAL__N_124unique_dim_cuda_templateIhEESt5tupleIJNSA_6TensorESF_SF_EERKSF_lbbbEUlllE_EE10hipError_tT0_T1_T2_jT3_P12ihipStream_tbPNSt15iterator_traitsISL_E10value_typeEPNSR_ISM_E10value_typeEPSN_NS1_7vsmem_tEENKUlT_SL_SM_SN_E_clIS8_S8_S9_S9_EESK_S10_SL_SM_SN_EUlS10_E1_NS1_11comp_targetILNS1_3genE8ELNS1_11target_archE1030ELNS1_3gpuE2ELNS1_3repE0EEENS1_36merge_oddeven_config_static_selectorELNS0_4arch9wavefront6targetE0EEEvSM_,comdat
	.globl	_ZN7rocprim17ROCPRIM_400000_NS6detail17trampoline_kernelINS0_14default_configENS1_38merge_sort_block_merge_config_selectorIlNS0_10empty_typeEEEZZNS1_27merge_sort_block_merge_implIS3_PlPS5_mZN2at6native12_GLOBAL__N_124unique_dim_cuda_templateIhEESt5tupleIJNSA_6TensorESF_SF_EERKSF_lbbbEUlllE_EE10hipError_tT0_T1_T2_jT3_P12ihipStream_tbPNSt15iterator_traitsISL_E10value_typeEPNSR_ISM_E10value_typeEPSN_NS1_7vsmem_tEENKUlT_SL_SM_SN_E_clIS8_S8_S9_S9_EESK_S10_SL_SM_SN_EUlS10_E1_NS1_11comp_targetILNS1_3genE8ELNS1_11target_archE1030ELNS1_3gpuE2ELNS1_3repE0EEENS1_36merge_oddeven_config_static_selectorELNS0_4arch9wavefront6targetE0EEEvSM_ ; -- Begin function _ZN7rocprim17ROCPRIM_400000_NS6detail17trampoline_kernelINS0_14default_configENS1_38merge_sort_block_merge_config_selectorIlNS0_10empty_typeEEEZZNS1_27merge_sort_block_merge_implIS3_PlPS5_mZN2at6native12_GLOBAL__N_124unique_dim_cuda_templateIhEESt5tupleIJNSA_6TensorESF_SF_EERKSF_lbbbEUlllE_EE10hipError_tT0_T1_T2_jT3_P12ihipStream_tbPNSt15iterator_traitsISL_E10value_typeEPNSR_ISM_E10value_typeEPSN_NS1_7vsmem_tEENKUlT_SL_SM_SN_E_clIS8_S8_S9_S9_EESK_S10_SL_SM_SN_EUlS10_E1_NS1_11comp_targetILNS1_3genE8ELNS1_11target_archE1030ELNS1_3gpuE2ELNS1_3repE0EEENS1_36merge_oddeven_config_static_selectorELNS0_4arch9wavefront6targetE0EEEvSM_
	.p2align	8
	.type	_ZN7rocprim17ROCPRIM_400000_NS6detail17trampoline_kernelINS0_14default_configENS1_38merge_sort_block_merge_config_selectorIlNS0_10empty_typeEEEZZNS1_27merge_sort_block_merge_implIS3_PlPS5_mZN2at6native12_GLOBAL__N_124unique_dim_cuda_templateIhEESt5tupleIJNSA_6TensorESF_SF_EERKSF_lbbbEUlllE_EE10hipError_tT0_T1_T2_jT3_P12ihipStream_tbPNSt15iterator_traitsISL_E10value_typeEPNSR_ISM_E10value_typeEPSN_NS1_7vsmem_tEENKUlT_SL_SM_SN_E_clIS8_S8_S9_S9_EESK_S10_SL_SM_SN_EUlS10_E1_NS1_11comp_targetILNS1_3genE8ELNS1_11target_archE1030ELNS1_3gpuE2ELNS1_3repE0EEENS1_36merge_oddeven_config_static_selectorELNS0_4arch9wavefront6targetE0EEEvSM_,@function
_ZN7rocprim17ROCPRIM_400000_NS6detail17trampoline_kernelINS0_14default_configENS1_38merge_sort_block_merge_config_selectorIlNS0_10empty_typeEEEZZNS1_27merge_sort_block_merge_implIS3_PlPS5_mZN2at6native12_GLOBAL__N_124unique_dim_cuda_templateIhEESt5tupleIJNSA_6TensorESF_SF_EERKSF_lbbbEUlllE_EE10hipError_tT0_T1_T2_jT3_P12ihipStream_tbPNSt15iterator_traitsISL_E10value_typeEPNSR_ISM_E10value_typeEPSN_NS1_7vsmem_tEENKUlT_SL_SM_SN_E_clIS8_S8_S9_S9_EESK_S10_SL_SM_SN_EUlS10_E1_NS1_11comp_targetILNS1_3genE8ELNS1_11target_archE1030ELNS1_3gpuE2ELNS1_3repE0EEENS1_36merge_oddeven_config_static_selectorELNS0_4arch9wavefront6targetE0EEEvSM_: ; @_ZN7rocprim17ROCPRIM_400000_NS6detail17trampoline_kernelINS0_14default_configENS1_38merge_sort_block_merge_config_selectorIlNS0_10empty_typeEEEZZNS1_27merge_sort_block_merge_implIS3_PlPS5_mZN2at6native12_GLOBAL__N_124unique_dim_cuda_templateIhEESt5tupleIJNSA_6TensorESF_SF_EERKSF_lbbbEUlllE_EE10hipError_tT0_T1_T2_jT3_P12ihipStream_tbPNSt15iterator_traitsISL_E10value_typeEPNSR_ISM_E10value_typeEPSN_NS1_7vsmem_tEENKUlT_SL_SM_SN_E_clIS8_S8_S9_S9_EESK_S10_SL_SM_SN_EUlS10_E1_NS1_11comp_targetILNS1_3genE8ELNS1_11target_archE1030ELNS1_3gpuE2ELNS1_3repE0EEENS1_36merge_oddeven_config_static_selectorELNS0_4arch9wavefront6targetE0EEEvSM_
; %bb.0:
	.section	.rodata,"a",@progbits
	.p2align	6, 0x0
	.amdhsa_kernel _ZN7rocprim17ROCPRIM_400000_NS6detail17trampoline_kernelINS0_14default_configENS1_38merge_sort_block_merge_config_selectorIlNS0_10empty_typeEEEZZNS1_27merge_sort_block_merge_implIS3_PlPS5_mZN2at6native12_GLOBAL__N_124unique_dim_cuda_templateIhEESt5tupleIJNSA_6TensorESF_SF_EERKSF_lbbbEUlllE_EE10hipError_tT0_T1_T2_jT3_P12ihipStream_tbPNSt15iterator_traitsISL_E10value_typeEPNSR_ISM_E10value_typeEPSN_NS1_7vsmem_tEENKUlT_SL_SM_SN_E_clIS8_S8_S9_S9_EESK_S10_SL_SM_SN_EUlS10_E1_NS1_11comp_targetILNS1_3genE8ELNS1_11target_archE1030ELNS1_3gpuE2ELNS1_3repE0EEENS1_36merge_oddeven_config_static_selectorELNS0_4arch9wavefront6targetE0EEEvSM_
		.amdhsa_group_segment_fixed_size 0
		.amdhsa_private_segment_fixed_size 0
		.amdhsa_kernarg_size 64
		.amdhsa_user_sgpr_count 2
		.amdhsa_user_sgpr_dispatch_ptr 0
		.amdhsa_user_sgpr_queue_ptr 0
		.amdhsa_user_sgpr_kernarg_segment_ptr 1
		.amdhsa_user_sgpr_dispatch_id 0
		.amdhsa_user_sgpr_kernarg_preload_length 0
		.amdhsa_user_sgpr_kernarg_preload_offset 0
		.amdhsa_user_sgpr_private_segment_size 0
		.amdhsa_wavefront_size32 1
		.amdhsa_uses_dynamic_stack 0
		.amdhsa_enable_private_segment 0
		.amdhsa_system_sgpr_workgroup_id_x 1
		.amdhsa_system_sgpr_workgroup_id_y 0
		.amdhsa_system_sgpr_workgroup_id_z 0
		.amdhsa_system_sgpr_workgroup_info 0
		.amdhsa_system_vgpr_workitem_id 0
		.amdhsa_next_free_vgpr 1
		.amdhsa_next_free_sgpr 1
		.amdhsa_named_barrier_count 0
		.amdhsa_reserve_vcc 0
		.amdhsa_float_round_mode_32 0
		.amdhsa_float_round_mode_16_64 0
		.amdhsa_float_denorm_mode_32 3
		.amdhsa_float_denorm_mode_16_64 3
		.amdhsa_fp16_overflow 0
		.amdhsa_memory_ordered 1
		.amdhsa_forward_progress 1
		.amdhsa_inst_pref_size 0
		.amdhsa_round_robin_scheduling 0
		.amdhsa_exception_fp_ieee_invalid_op 0
		.amdhsa_exception_fp_denorm_src 0
		.amdhsa_exception_fp_ieee_div_zero 0
		.amdhsa_exception_fp_ieee_overflow 0
		.amdhsa_exception_fp_ieee_underflow 0
		.amdhsa_exception_fp_ieee_inexact 0
		.amdhsa_exception_int_div_zero 0
	.end_amdhsa_kernel
	.section	.text._ZN7rocprim17ROCPRIM_400000_NS6detail17trampoline_kernelINS0_14default_configENS1_38merge_sort_block_merge_config_selectorIlNS0_10empty_typeEEEZZNS1_27merge_sort_block_merge_implIS3_PlPS5_mZN2at6native12_GLOBAL__N_124unique_dim_cuda_templateIhEESt5tupleIJNSA_6TensorESF_SF_EERKSF_lbbbEUlllE_EE10hipError_tT0_T1_T2_jT3_P12ihipStream_tbPNSt15iterator_traitsISL_E10value_typeEPNSR_ISM_E10value_typeEPSN_NS1_7vsmem_tEENKUlT_SL_SM_SN_E_clIS8_S8_S9_S9_EESK_S10_SL_SM_SN_EUlS10_E1_NS1_11comp_targetILNS1_3genE8ELNS1_11target_archE1030ELNS1_3gpuE2ELNS1_3repE0EEENS1_36merge_oddeven_config_static_selectorELNS0_4arch9wavefront6targetE0EEEvSM_,"axG",@progbits,_ZN7rocprim17ROCPRIM_400000_NS6detail17trampoline_kernelINS0_14default_configENS1_38merge_sort_block_merge_config_selectorIlNS0_10empty_typeEEEZZNS1_27merge_sort_block_merge_implIS3_PlPS5_mZN2at6native12_GLOBAL__N_124unique_dim_cuda_templateIhEESt5tupleIJNSA_6TensorESF_SF_EERKSF_lbbbEUlllE_EE10hipError_tT0_T1_T2_jT3_P12ihipStream_tbPNSt15iterator_traitsISL_E10value_typeEPNSR_ISM_E10value_typeEPSN_NS1_7vsmem_tEENKUlT_SL_SM_SN_E_clIS8_S8_S9_S9_EESK_S10_SL_SM_SN_EUlS10_E1_NS1_11comp_targetILNS1_3genE8ELNS1_11target_archE1030ELNS1_3gpuE2ELNS1_3repE0EEENS1_36merge_oddeven_config_static_selectorELNS0_4arch9wavefront6targetE0EEEvSM_,comdat
.Lfunc_end41:
	.size	_ZN7rocprim17ROCPRIM_400000_NS6detail17trampoline_kernelINS0_14default_configENS1_38merge_sort_block_merge_config_selectorIlNS0_10empty_typeEEEZZNS1_27merge_sort_block_merge_implIS3_PlPS5_mZN2at6native12_GLOBAL__N_124unique_dim_cuda_templateIhEESt5tupleIJNSA_6TensorESF_SF_EERKSF_lbbbEUlllE_EE10hipError_tT0_T1_T2_jT3_P12ihipStream_tbPNSt15iterator_traitsISL_E10value_typeEPNSR_ISM_E10value_typeEPSN_NS1_7vsmem_tEENKUlT_SL_SM_SN_E_clIS8_S8_S9_S9_EESK_S10_SL_SM_SN_EUlS10_E1_NS1_11comp_targetILNS1_3genE8ELNS1_11target_archE1030ELNS1_3gpuE2ELNS1_3repE0EEENS1_36merge_oddeven_config_static_selectorELNS0_4arch9wavefront6targetE0EEEvSM_, .Lfunc_end41-_ZN7rocprim17ROCPRIM_400000_NS6detail17trampoline_kernelINS0_14default_configENS1_38merge_sort_block_merge_config_selectorIlNS0_10empty_typeEEEZZNS1_27merge_sort_block_merge_implIS3_PlPS5_mZN2at6native12_GLOBAL__N_124unique_dim_cuda_templateIhEESt5tupleIJNSA_6TensorESF_SF_EERKSF_lbbbEUlllE_EE10hipError_tT0_T1_T2_jT3_P12ihipStream_tbPNSt15iterator_traitsISL_E10value_typeEPNSR_ISM_E10value_typeEPSN_NS1_7vsmem_tEENKUlT_SL_SM_SN_E_clIS8_S8_S9_S9_EESK_S10_SL_SM_SN_EUlS10_E1_NS1_11comp_targetILNS1_3genE8ELNS1_11target_archE1030ELNS1_3gpuE2ELNS1_3repE0EEENS1_36merge_oddeven_config_static_selectorELNS0_4arch9wavefront6targetE0EEEvSM_
                                        ; -- End function
	.set _ZN7rocprim17ROCPRIM_400000_NS6detail17trampoline_kernelINS0_14default_configENS1_38merge_sort_block_merge_config_selectorIlNS0_10empty_typeEEEZZNS1_27merge_sort_block_merge_implIS3_PlPS5_mZN2at6native12_GLOBAL__N_124unique_dim_cuda_templateIhEESt5tupleIJNSA_6TensorESF_SF_EERKSF_lbbbEUlllE_EE10hipError_tT0_T1_T2_jT3_P12ihipStream_tbPNSt15iterator_traitsISL_E10value_typeEPNSR_ISM_E10value_typeEPSN_NS1_7vsmem_tEENKUlT_SL_SM_SN_E_clIS8_S8_S9_S9_EESK_S10_SL_SM_SN_EUlS10_E1_NS1_11comp_targetILNS1_3genE8ELNS1_11target_archE1030ELNS1_3gpuE2ELNS1_3repE0EEENS1_36merge_oddeven_config_static_selectorELNS0_4arch9wavefront6targetE0EEEvSM_.num_vgpr, 0
	.set _ZN7rocprim17ROCPRIM_400000_NS6detail17trampoline_kernelINS0_14default_configENS1_38merge_sort_block_merge_config_selectorIlNS0_10empty_typeEEEZZNS1_27merge_sort_block_merge_implIS3_PlPS5_mZN2at6native12_GLOBAL__N_124unique_dim_cuda_templateIhEESt5tupleIJNSA_6TensorESF_SF_EERKSF_lbbbEUlllE_EE10hipError_tT0_T1_T2_jT3_P12ihipStream_tbPNSt15iterator_traitsISL_E10value_typeEPNSR_ISM_E10value_typeEPSN_NS1_7vsmem_tEENKUlT_SL_SM_SN_E_clIS8_S8_S9_S9_EESK_S10_SL_SM_SN_EUlS10_E1_NS1_11comp_targetILNS1_3genE8ELNS1_11target_archE1030ELNS1_3gpuE2ELNS1_3repE0EEENS1_36merge_oddeven_config_static_selectorELNS0_4arch9wavefront6targetE0EEEvSM_.num_agpr, 0
	.set _ZN7rocprim17ROCPRIM_400000_NS6detail17trampoline_kernelINS0_14default_configENS1_38merge_sort_block_merge_config_selectorIlNS0_10empty_typeEEEZZNS1_27merge_sort_block_merge_implIS3_PlPS5_mZN2at6native12_GLOBAL__N_124unique_dim_cuda_templateIhEESt5tupleIJNSA_6TensorESF_SF_EERKSF_lbbbEUlllE_EE10hipError_tT0_T1_T2_jT3_P12ihipStream_tbPNSt15iterator_traitsISL_E10value_typeEPNSR_ISM_E10value_typeEPSN_NS1_7vsmem_tEENKUlT_SL_SM_SN_E_clIS8_S8_S9_S9_EESK_S10_SL_SM_SN_EUlS10_E1_NS1_11comp_targetILNS1_3genE8ELNS1_11target_archE1030ELNS1_3gpuE2ELNS1_3repE0EEENS1_36merge_oddeven_config_static_selectorELNS0_4arch9wavefront6targetE0EEEvSM_.numbered_sgpr, 0
	.set _ZN7rocprim17ROCPRIM_400000_NS6detail17trampoline_kernelINS0_14default_configENS1_38merge_sort_block_merge_config_selectorIlNS0_10empty_typeEEEZZNS1_27merge_sort_block_merge_implIS3_PlPS5_mZN2at6native12_GLOBAL__N_124unique_dim_cuda_templateIhEESt5tupleIJNSA_6TensorESF_SF_EERKSF_lbbbEUlllE_EE10hipError_tT0_T1_T2_jT3_P12ihipStream_tbPNSt15iterator_traitsISL_E10value_typeEPNSR_ISM_E10value_typeEPSN_NS1_7vsmem_tEENKUlT_SL_SM_SN_E_clIS8_S8_S9_S9_EESK_S10_SL_SM_SN_EUlS10_E1_NS1_11comp_targetILNS1_3genE8ELNS1_11target_archE1030ELNS1_3gpuE2ELNS1_3repE0EEENS1_36merge_oddeven_config_static_selectorELNS0_4arch9wavefront6targetE0EEEvSM_.num_named_barrier, 0
	.set _ZN7rocprim17ROCPRIM_400000_NS6detail17trampoline_kernelINS0_14default_configENS1_38merge_sort_block_merge_config_selectorIlNS0_10empty_typeEEEZZNS1_27merge_sort_block_merge_implIS3_PlPS5_mZN2at6native12_GLOBAL__N_124unique_dim_cuda_templateIhEESt5tupleIJNSA_6TensorESF_SF_EERKSF_lbbbEUlllE_EE10hipError_tT0_T1_T2_jT3_P12ihipStream_tbPNSt15iterator_traitsISL_E10value_typeEPNSR_ISM_E10value_typeEPSN_NS1_7vsmem_tEENKUlT_SL_SM_SN_E_clIS8_S8_S9_S9_EESK_S10_SL_SM_SN_EUlS10_E1_NS1_11comp_targetILNS1_3genE8ELNS1_11target_archE1030ELNS1_3gpuE2ELNS1_3repE0EEENS1_36merge_oddeven_config_static_selectorELNS0_4arch9wavefront6targetE0EEEvSM_.private_seg_size, 0
	.set _ZN7rocprim17ROCPRIM_400000_NS6detail17trampoline_kernelINS0_14default_configENS1_38merge_sort_block_merge_config_selectorIlNS0_10empty_typeEEEZZNS1_27merge_sort_block_merge_implIS3_PlPS5_mZN2at6native12_GLOBAL__N_124unique_dim_cuda_templateIhEESt5tupleIJNSA_6TensorESF_SF_EERKSF_lbbbEUlllE_EE10hipError_tT0_T1_T2_jT3_P12ihipStream_tbPNSt15iterator_traitsISL_E10value_typeEPNSR_ISM_E10value_typeEPSN_NS1_7vsmem_tEENKUlT_SL_SM_SN_E_clIS8_S8_S9_S9_EESK_S10_SL_SM_SN_EUlS10_E1_NS1_11comp_targetILNS1_3genE8ELNS1_11target_archE1030ELNS1_3gpuE2ELNS1_3repE0EEENS1_36merge_oddeven_config_static_selectorELNS0_4arch9wavefront6targetE0EEEvSM_.uses_vcc, 0
	.set _ZN7rocprim17ROCPRIM_400000_NS6detail17trampoline_kernelINS0_14default_configENS1_38merge_sort_block_merge_config_selectorIlNS0_10empty_typeEEEZZNS1_27merge_sort_block_merge_implIS3_PlPS5_mZN2at6native12_GLOBAL__N_124unique_dim_cuda_templateIhEESt5tupleIJNSA_6TensorESF_SF_EERKSF_lbbbEUlllE_EE10hipError_tT0_T1_T2_jT3_P12ihipStream_tbPNSt15iterator_traitsISL_E10value_typeEPNSR_ISM_E10value_typeEPSN_NS1_7vsmem_tEENKUlT_SL_SM_SN_E_clIS8_S8_S9_S9_EESK_S10_SL_SM_SN_EUlS10_E1_NS1_11comp_targetILNS1_3genE8ELNS1_11target_archE1030ELNS1_3gpuE2ELNS1_3repE0EEENS1_36merge_oddeven_config_static_selectorELNS0_4arch9wavefront6targetE0EEEvSM_.uses_flat_scratch, 0
	.set _ZN7rocprim17ROCPRIM_400000_NS6detail17trampoline_kernelINS0_14default_configENS1_38merge_sort_block_merge_config_selectorIlNS0_10empty_typeEEEZZNS1_27merge_sort_block_merge_implIS3_PlPS5_mZN2at6native12_GLOBAL__N_124unique_dim_cuda_templateIhEESt5tupleIJNSA_6TensorESF_SF_EERKSF_lbbbEUlllE_EE10hipError_tT0_T1_T2_jT3_P12ihipStream_tbPNSt15iterator_traitsISL_E10value_typeEPNSR_ISM_E10value_typeEPSN_NS1_7vsmem_tEENKUlT_SL_SM_SN_E_clIS8_S8_S9_S9_EESK_S10_SL_SM_SN_EUlS10_E1_NS1_11comp_targetILNS1_3genE8ELNS1_11target_archE1030ELNS1_3gpuE2ELNS1_3repE0EEENS1_36merge_oddeven_config_static_selectorELNS0_4arch9wavefront6targetE0EEEvSM_.has_dyn_sized_stack, 0
	.set _ZN7rocprim17ROCPRIM_400000_NS6detail17trampoline_kernelINS0_14default_configENS1_38merge_sort_block_merge_config_selectorIlNS0_10empty_typeEEEZZNS1_27merge_sort_block_merge_implIS3_PlPS5_mZN2at6native12_GLOBAL__N_124unique_dim_cuda_templateIhEESt5tupleIJNSA_6TensorESF_SF_EERKSF_lbbbEUlllE_EE10hipError_tT0_T1_T2_jT3_P12ihipStream_tbPNSt15iterator_traitsISL_E10value_typeEPNSR_ISM_E10value_typeEPSN_NS1_7vsmem_tEENKUlT_SL_SM_SN_E_clIS8_S8_S9_S9_EESK_S10_SL_SM_SN_EUlS10_E1_NS1_11comp_targetILNS1_3genE8ELNS1_11target_archE1030ELNS1_3gpuE2ELNS1_3repE0EEENS1_36merge_oddeven_config_static_selectorELNS0_4arch9wavefront6targetE0EEEvSM_.has_recursion, 0
	.set _ZN7rocprim17ROCPRIM_400000_NS6detail17trampoline_kernelINS0_14default_configENS1_38merge_sort_block_merge_config_selectorIlNS0_10empty_typeEEEZZNS1_27merge_sort_block_merge_implIS3_PlPS5_mZN2at6native12_GLOBAL__N_124unique_dim_cuda_templateIhEESt5tupleIJNSA_6TensorESF_SF_EERKSF_lbbbEUlllE_EE10hipError_tT0_T1_T2_jT3_P12ihipStream_tbPNSt15iterator_traitsISL_E10value_typeEPNSR_ISM_E10value_typeEPSN_NS1_7vsmem_tEENKUlT_SL_SM_SN_E_clIS8_S8_S9_S9_EESK_S10_SL_SM_SN_EUlS10_E1_NS1_11comp_targetILNS1_3genE8ELNS1_11target_archE1030ELNS1_3gpuE2ELNS1_3repE0EEENS1_36merge_oddeven_config_static_selectorELNS0_4arch9wavefront6targetE0EEEvSM_.has_indirect_call, 0
	.section	.AMDGPU.csdata,"",@progbits
; Kernel info:
; codeLenInByte = 0
; TotalNumSgprs: 0
; NumVgprs: 0
; ScratchSize: 0
; MemoryBound: 0
; FloatMode: 240
; IeeeMode: 1
; LDSByteSize: 0 bytes/workgroup (compile time only)
; SGPRBlocks: 0
; VGPRBlocks: 0
; NumSGPRsForWavesPerEU: 1
; NumVGPRsForWavesPerEU: 1
; NamedBarCnt: 0
; Occupancy: 16
; WaveLimiterHint : 0
; COMPUTE_PGM_RSRC2:SCRATCH_EN: 0
; COMPUTE_PGM_RSRC2:USER_SGPR: 2
; COMPUTE_PGM_RSRC2:TRAP_HANDLER: 0
; COMPUTE_PGM_RSRC2:TGID_X_EN: 1
; COMPUTE_PGM_RSRC2:TGID_Y_EN: 0
; COMPUTE_PGM_RSRC2:TGID_Z_EN: 0
; COMPUTE_PGM_RSRC2:TIDIG_COMP_CNT: 0
	.section	.text._ZN7rocprim17ROCPRIM_400000_NS6detail17trampoline_kernelINS0_14default_configENS1_25transform_config_selectorIlLb1EEEZNS1_14transform_implILb1ES3_S5_PlS7_NS0_8identityIlEEEE10hipError_tT2_T3_mT4_P12ihipStream_tbEUlT_E_NS1_11comp_targetILNS1_3genE0ELNS1_11target_archE4294967295ELNS1_3gpuE0ELNS1_3repE0EEENS1_30default_config_static_selectorELNS0_4arch9wavefront6targetE0EEEvT1_,"axG",@progbits,_ZN7rocprim17ROCPRIM_400000_NS6detail17trampoline_kernelINS0_14default_configENS1_25transform_config_selectorIlLb1EEEZNS1_14transform_implILb1ES3_S5_PlS7_NS0_8identityIlEEEE10hipError_tT2_T3_mT4_P12ihipStream_tbEUlT_E_NS1_11comp_targetILNS1_3genE0ELNS1_11target_archE4294967295ELNS1_3gpuE0ELNS1_3repE0EEENS1_30default_config_static_selectorELNS0_4arch9wavefront6targetE0EEEvT1_,comdat
	.protected	_ZN7rocprim17ROCPRIM_400000_NS6detail17trampoline_kernelINS0_14default_configENS1_25transform_config_selectorIlLb1EEEZNS1_14transform_implILb1ES3_S5_PlS7_NS0_8identityIlEEEE10hipError_tT2_T3_mT4_P12ihipStream_tbEUlT_E_NS1_11comp_targetILNS1_3genE0ELNS1_11target_archE4294967295ELNS1_3gpuE0ELNS1_3repE0EEENS1_30default_config_static_selectorELNS0_4arch9wavefront6targetE0EEEvT1_ ; -- Begin function _ZN7rocprim17ROCPRIM_400000_NS6detail17trampoline_kernelINS0_14default_configENS1_25transform_config_selectorIlLb1EEEZNS1_14transform_implILb1ES3_S5_PlS7_NS0_8identityIlEEEE10hipError_tT2_T3_mT4_P12ihipStream_tbEUlT_E_NS1_11comp_targetILNS1_3genE0ELNS1_11target_archE4294967295ELNS1_3gpuE0ELNS1_3repE0EEENS1_30default_config_static_selectorELNS0_4arch9wavefront6targetE0EEEvT1_
	.globl	_ZN7rocprim17ROCPRIM_400000_NS6detail17trampoline_kernelINS0_14default_configENS1_25transform_config_selectorIlLb1EEEZNS1_14transform_implILb1ES3_S5_PlS7_NS0_8identityIlEEEE10hipError_tT2_T3_mT4_P12ihipStream_tbEUlT_E_NS1_11comp_targetILNS1_3genE0ELNS1_11target_archE4294967295ELNS1_3gpuE0ELNS1_3repE0EEENS1_30default_config_static_selectorELNS0_4arch9wavefront6targetE0EEEvT1_
	.p2align	8
	.type	_ZN7rocprim17ROCPRIM_400000_NS6detail17trampoline_kernelINS0_14default_configENS1_25transform_config_selectorIlLb1EEEZNS1_14transform_implILb1ES3_S5_PlS7_NS0_8identityIlEEEE10hipError_tT2_T3_mT4_P12ihipStream_tbEUlT_E_NS1_11comp_targetILNS1_3genE0ELNS1_11target_archE4294967295ELNS1_3gpuE0ELNS1_3repE0EEENS1_30default_config_static_selectorELNS0_4arch9wavefront6targetE0EEEvT1_,@function
_ZN7rocprim17ROCPRIM_400000_NS6detail17trampoline_kernelINS0_14default_configENS1_25transform_config_selectorIlLb1EEEZNS1_14transform_implILb1ES3_S5_PlS7_NS0_8identityIlEEEE10hipError_tT2_T3_mT4_P12ihipStream_tbEUlT_E_NS1_11comp_targetILNS1_3genE0ELNS1_11target_archE4294967295ELNS1_3gpuE0ELNS1_3repE0EEENS1_30default_config_static_selectorELNS0_4arch9wavefront6targetE0EEEvT1_: ; @_ZN7rocprim17ROCPRIM_400000_NS6detail17trampoline_kernelINS0_14default_configENS1_25transform_config_selectorIlLb1EEEZNS1_14transform_implILb1ES3_S5_PlS7_NS0_8identityIlEEEE10hipError_tT2_T3_mT4_P12ihipStream_tbEUlT_E_NS1_11comp_targetILNS1_3genE0ELNS1_11target_archE4294967295ELNS1_3gpuE0ELNS1_3repE0EEENS1_30default_config_static_selectorELNS0_4arch9wavefront6targetE0EEEvT1_
; %bb.0:
	s_clause 0x1
	s_load_b32 s2, s[0:1], 0x28
	s_load_b32 s3, s[0:1], 0x10
	s_bfe_u32 s4, ttmp6, 0x4000c
	s_and_b32 s5, ttmp6, 15
	s_add_co_i32 s4, s4, 1
	s_getreg_b32 s6, hwreg(HW_REG_IB_STS2, 6, 4)
	s_mul_i32 s4, ttmp9, s4
	s_delay_alu instid0(SALU_CYCLE_1)
	s_add_co_i32 s5, s5, s4
	s_cmp_eq_u32 s6, 0
	s_cselect_b32 s4, ttmp9, s5
	s_wait_kmcnt 0x0
	s_add_co_i32 s5, s2, -1
	s_lshl_b32 s2, s4, 7
	s_cmp_lg_u32 s4, s5
	s_cselect_b32 s4, -1, 0
	s_sub_co_i32 s3, s3, s2
	s_delay_alu instid0(SALU_CYCLE_1) | instskip(SKIP_2) | instid1(SALU_CYCLE_1)
	v_cmp_gt_u32_e32 vcc_lo, s3, v0
	s_mov_b32 s3, 0
	s_or_b32 s4, vcc_lo, s4
	s_and_saveexec_b32 s5, s4
	s_cbranch_execz .LBB42_2
; %bb.1:
	s_clause 0x1
	s_load_b128 s[4:7], s[0:1], 0x0
	s_load_b64 s[8:9], s[0:1], 0x18
	s_lshl_b64 s[2:3], s[2:3], 3
	s_wait_kmcnt 0x0
	s_lshl_b64 s[0:1], s[6:7], 3
	s_delay_alu instid0(SALU_CYCLE_1)
	s_add_nc_u64 s[4:5], s[4:5], s[0:1]
	s_add_nc_u64 s[0:1], s[8:9], s[0:1]
	;; [unrolled: 1-line block ×4, first 2 shown]
	global_load_b64 v[2:3], v0, s[4:5] scale_offset
	s_wait_loadcnt 0x0
	global_store_b64 v0, v[2:3], s[0:1] scale_offset
.LBB42_2:
	s_endpgm
	.section	.rodata,"a",@progbits
	.p2align	6, 0x0
	.amdhsa_kernel _ZN7rocprim17ROCPRIM_400000_NS6detail17trampoline_kernelINS0_14default_configENS1_25transform_config_selectorIlLb1EEEZNS1_14transform_implILb1ES3_S5_PlS7_NS0_8identityIlEEEE10hipError_tT2_T3_mT4_P12ihipStream_tbEUlT_E_NS1_11comp_targetILNS1_3genE0ELNS1_11target_archE4294967295ELNS1_3gpuE0ELNS1_3repE0EEENS1_30default_config_static_selectorELNS0_4arch9wavefront6targetE0EEEvT1_
		.amdhsa_group_segment_fixed_size 0
		.amdhsa_private_segment_fixed_size 0
		.amdhsa_kernarg_size 296
		.amdhsa_user_sgpr_count 2
		.amdhsa_user_sgpr_dispatch_ptr 0
		.amdhsa_user_sgpr_queue_ptr 0
		.amdhsa_user_sgpr_kernarg_segment_ptr 1
		.amdhsa_user_sgpr_dispatch_id 0
		.amdhsa_user_sgpr_kernarg_preload_length 0
		.amdhsa_user_sgpr_kernarg_preload_offset 0
		.amdhsa_user_sgpr_private_segment_size 0
		.amdhsa_wavefront_size32 1
		.amdhsa_uses_dynamic_stack 0
		.amdhsa_enable_private_segment 0
		.amdhsa_system_sgpr_workgroup_id_x 1
		.amdhsa_system_sgpr_workgroup_id_y 0
		.amdhsa_system_sgpr_workgroup_id_z 0
		.amdhsa_system_sgpr_workgroup_info 0
		.amdhsa_system_vgpr_workitem_id 0
		.amdhsa_next_free_vgpr 4
		.amdhsa_next_free_sgpr 10
		.amdhsa_named_barrier_count 0
		.amdhsa_reserve_vcc 1
		.amdhsa_float_round_mode_32 0
		.amdhsa_float_round_mode_16_64 0
		.amdhsa_float_denorm_mode_32 3
		.amdhsa_float_denorm_mode_16_64 3
		.amdhsa_fp16_overflow 0
		.amdhsa_memory_ordered 1
		.amdhsa_forward_progress 1
		.amdhsa_inst_pref_size 2
		.amdhsa_round_robin_scheduling 0
		.amdhsa_exception_fp_ieee_invalid_op 0
		.amdhsa_exception_fp_denorm_src 0
		.amdhsa_exception_fp_ieee_div_zero 0
		.amdhsa_exception_fp_ieee_overflow 0
		.amdhsa_exception_fp_ieee_underflow 0
		.amdhsa_exception_fp_ieee_inexact 0
		.amdhsa_exception_int_div_zero 0
	.end_amdhsa_kernel
	.section	.text._ZN7rocprim17ROCPRIM_400000_NS6detail17trampoline_kernelINS0_14default_configENS1_25transform_config_selectorIlLb1EEEZNS1_14transform_implILb1ES3_S5_PlS7_NS0_8identityIlEEEE10hipError_tT2_T3_mT4_P12ihipStream_tbEUlT_E_NS1_11comp_targetILNS1_3genE0ELNS1_11target_archE4294967295ELNS1_3gpuE0ELNS1_3repE0EEENS1_30default_config_static_selectorELNS0_4arch9wavefront6targetE0EEEvT1_,"axG",@progbits,_ZN7rocprim17ROCPRIM_400000_NS6detail17trampoline_kernelINS0_14default_configENS1_25transform_config_selectorIlLb1EEEZNS1_14transform_implILb1ES3_S5_PlS7_NS0_8identityIlEEEE10hipError_tT2_T3_mT4_P12ihipStream_tbEUlT_E_NS1_11comp_targetILNS1_3genE0ELNS1_11target_archE4294967295ELNS1_3gpuE0ELNS1_3repE0EEENS1_30default_config_static_selectorELNS0_4arch9wavefront6targetE0EEEvT1_,comdat
.Lfunc_end42:
	.size	_ZN7rocprim17ROCPRIM_400000_NS6detail17trampoline_kernelINS0_14default_configENS1_25transform_config_selectorIlLb1EEEZNS1_14transform_implILb1ES3_S5_PlS7_NS0_8identityIlEEEE10hipError_tT2_T3_mT4_P12ihipStream_tbEUlT_E_NS1_11comp_targetILNS1_3genE0ELNS1_11target_archE4294967295ELNS1_3gpuE0ELNS1_3repE0EEENS1_30default_config_static_selectorELNS0_4arch9wavefront6targetE0EEEvT1_, .Lfunc_end42-_ZN7rocprim17ROCPRIM_400000_NS6detail17trampoline_kernelINS0_14default_configENS1_25transform_config_selectorIlLb1EEEZNS1_14transform_implILb1ES3_S5_PlS7_NS0_8identityIlEEEE10hipError_tT2_T3_mT4_P12ihipStream_tbEUlT_E_NS1_11comp_targetILNS1_3genE0ELNS1_11target_archE4294967295ELNS1_3gpuE0ELNS1_3repE0EEENS1_30default_config_static_selectorELNS0_4arch9wavefront6targetE0EEEvT1_
                                        ; -- End function
	.set _ZN7rocprim17ROCPRIM_400000_NS6detail17trampoline_kernelINS0_14default_configENS1_25transform_config_selectorIlLb1EEEZNS1_14transform_implILb1ES3_S5_PlS7_NS0_8identityIlEEEE10hipError_tT2_T3_mT4_P12ihipStream_tbEUlT_E_NS1_11comp_targetILNS1_3genE0ELNS1_11target_archE4294967295ELNS1_3gpuE0ELNS1_3repE0EEENS1_30default_config_static_selectorELNS0_4arch9wavefront6targetE0EEEvT1_.num_vgpr, 4
	.set _ZN7rocprim17ROCPRIM_400000_NS6detail17trampoline_kernelINS0_14default_configENS1_25transform_config_selectorIlLb1EEEZNS1_14transform_implILb1ES3_S5_PlS7_NS0_8identityIlEEEE10hipError_tT2_T3_mT4_P12ihipStream_tbEUlT_E_NS1_11comp_targetILNS1_3genE0ELNS1_11target_archE4294967295ELNS1_3gpuE0ELNS1_3repE0EEENS1_30default_config_static_selectorELNS0_4arch9wavefront6targetE0EEEvT1_.num_agpr, 0
	.set _ZN7rocprim17ROCPRIM_400000_NS6detail17trampoline_kernelINS0_14default_configENS1_25transform_config_selectorIlLb1EEEZNS1_14transform_implILb1ES3_S5_PlS7_NS0_8identityIlEEEE10hipError_tT2_T3_mT4_P12ihipStream_tbEUlT_E_NS1_11comp_targetILNS1_3genE0ELNS1_11target_archE4294967295ELNS1_3gpuE0ELNS1_3repE0EEENS1_30default_config_static_selectorELNS0_4arch9wavefront6targetE0EEEvT1_.numbered_sgpr, 10
	.set _ZN7rocprim17ROCPRIM_400000_NS6detail17trampoline_kernelINS0_14default_configENS1_25transform_config_selectorIlLb1EEEZNS1_14transform_implILb1ES3_S5_PlS7_NS0_8identityIlEEEE10hipError_tT2_T3_mT4_P12ihipStream_tbEUlT_E_NS1_11comp_targetILNS1_3genE0ELNS1_11target_archE4294967295ELNS1_3gpuE0ELNS1_3repE0EEENS1_30default_config_static_selectorELNS0_4arch9wavefront6targetE0EEEvT1_.num_named_barrier, 0
	.set _ZN7rocprim17ROCPRIM_400000_NS6detail17trampoline_kernelINS0_14default_configENS1_25transform_config_selectorIlLb1EEEZNS1_14transform_implILb1ES3_S5_PlS7_NS0_8identityIlEEEE10hipError_tT2_T3_mT4_P12ihipStream_tbEUlT_E_NS1_11comp_targetILNS1_3genE0ELNS1_11target_archE4294967295ELNS1_3gpuE0ELNS1_3repE0EEENS1_30default_config_static_selectorELNS0_4arch9wavefront6targetE0EEEvT1_.private_seg_size, 0
	.set _ZN7rocprim17ROCPRIM_400000_NS6detail17trampoline_kernelINS0_14default_configENS1_25transform_config_selectorIlLb1EEEZNS1_14transform_implILb1ES3_S5_PlS7_NS0_8identityIlEEEE10hipError_tT2_T3_mT4_P12ihipStream_tbEUlT_E_NS1_11comp_targetILNS1_3genE0ELNS1_11target_archE4294967295ELNS1_3gpuE0ELNS1_3repE0EEENS1_30default_config_static_selectorELNS0_4arch9wavefront6targetE0EEEvT1_.uses_vcc, 1
	.set _ZN7rocprim17ROCPRIM_400000_NS6detail17trampoline_kernelINS0_14default_configENS1_25transform_config_selectorIlLb1EEEZNS1_14transform_implILb1ES3_S5_PlS7_NS0_8identityIlEEEE10hipError_tT2_T3_mT4_P12ihipStream_tbEUlT_E_NS1_11comp_targetILNS1_3genE0ELNS1_11target_archE4294967295ELNS1_3gpuE0ELNS1_3repE0EEENS1_30default_config_static_selectorELNS0_4arch9wavefront6targetE0EEEvT1_.uses_flat_scratch, 0
	.set _ZN7rocprim17ROCPRIM_400000_NS6detail17trampoline_kernelINS0_14default_configENS1_25transform_config_selectorIlLb1EEEZNS1_14transform_implILb1ES3_S5_PlS7_NS0_8identityIlEEEE10hipError_tT2_T3_mT4_P12ihipStream_tbEUlT_E_NS1_11comp_targetILNS1_3genE0ELNS1_11target_archE4294967295ELNS1_3gpuE0ELNS1_3repE0EEENS1_30default_config_static_selectorELNS0_4arch9wavefront6targetE0EEEvT1_.has_dyn_sized_stack, 0
	.set _ZN7rocprim17ROCPRIM_400000_NS6detail17trampoline_kernelINS0_14default_configENS1_25transform_config_selectorIlLb1EEEZNS1_14transform_implILb1ES3_S5_PlS7_NS0_8identityIlEEEE10hipError_tT2_T3_mT4_P12ihipStream_tbEUlT_E_NS1_11comp_targetILNS1_3genE0ELNS1_11target_archE4294967295ELNS1_3gpuE0ELNS1_3repE0EEENS1_30default_config_static_selectorELNS0_4arch9wavefront6targetE0EEEvT1_.has_recursion, 0
	.set _ZN7rocprim17ROCPRIM_400000_NS6detail17trampoline_kernelINS0_14default_configENS1_25transform_config_selectorIlLb1EEEZNS1_14transform_implILb1ES3_S5_PlS7_NS0_8identityIlEEEE10hipError_tT2_T3_mT4_P12ihipStream_tbEUlT_E_NS1_11comp_targetILNS1_3genE0ELNS1_11target_archE4294967295ELNS1_3gpuE0ELNS1_3repE0EEENS1_30default_config_static_selectorELNS0_4arch9wavefront6targetE0EEEvT1_.has_indirect_call, 0
	.section	.AMDGPU.csdata,"",@progbits
; Kernel info:
; codeLenInByte = 192
; TotalNumSgprs: 12
; NumVgprs: 4
; ScratchSize: 0
; MemoryBound: 0
; FloatMode: 240
; IeeeMode: 1
; LDSByteSize: 0 bytes/workgroup (compile time only)
; SGPRBlocks: 0
; VGPRBlocks: 0
; NumSGPRsForWavesPerEU: 12
; NumVGPRsForWavesPerEU: 4
; NamedBarCnt: 0
; Occupancy: 16
; WaveLimiterHint : 0
; COMPUTE_PGM_RSRC2:SCRATCH_EN: 0
; COMPUTE_PGM_RSRC2:USER_SGPR: 2
; COMPUTE_PGM_RSRC2:TRAP_HANDLER: 0
; COMPUTE_PGM_RSRC2:TGID_X_EN: 1
; COMPUTE_PGM_RSRC2:TGID_Y_EN: 0
; COMPUTE_PGM_RSRC2:TGID_Z_EN: 0
; COMPUTE_PGM_RSRC2:TIDIG_COMP_CNT: 0
	.section	.text._ZN7rocprim17ROCPRIM_400000_NS6detail17trampoline_kernelINS0_14default_configENS1_25transform_config_selectorIlLb1EEEZNS1_14transform_implILb1ES3_S5_PlS7_NS0_8identityIlEEEE10hipError_tT2_T3_mT4_P12ihipStream_tbEUlT_E_NS1_11comp_targetILNS1_3genE10ELNS1_11target_archE1201ELNS1_3gpuE5ELNS1_3repE0EEENS1_30default_config_static_selectorELNS0_4arch9wavefront6targetE0EEEvT1_,"axG",@progbits,_ZN7rocprim17ROCPRIM_400000_NS6detail17trampoline_kernelINS0_14default_configENS1_25transform_config_selectorIlLb1EEEZNS1_14transform_implILb1ES3_S5_PlS7_NS0_8identityIlEEEE10hipError_tT2_T3_mT4_P12ihipStream_tbEUlT_E_NS1_11comp_targetILNS1_3genE10ELNS1_11target_archE1201ELNS1_3gpuE5ELNS1_3repE0EEENS1_30default_config_static_selectorELNS0_4arch9wavefront6targetE0EEEvT1_,comdat
	.protected	_ZN7rocprim17ROCPRIM_400000_NS6detail17trampoline_kernelINS0_14default_configENS1_25transform_config_selectorIlLb1EEEZNS1_14transform_implILb1ES3_S5_PlS7_NS0_8identityIlEEEE10hipError_tT2_T3_mT4_P12ihipStream_tbEUlT_E_NS1_11comp_targetILNS1_3genE10ELNS1_11target_archE1201ELNS1_3gpuE5ELNS1_3repE0EEENS1_30default_config_static_selectorELNS0_4arch9wavefront6targetE0EEEvT1_ ; -- Begin function _ZN7rocprim17ROCPRIM_400000_NS6detail17trampoline_kernelINS0_14default_configENS1_25transform_config_selectorIlLb1EEEZNS1_14transform_implILb1ES3_S5_PlS7_NS0_8identityIlEEEE10hipError_tT2_T3_mT4_P12ihipStream_tbEUlT_E_NS1_11comp_targetILNS1_3genE10ELNS1_11target_archE1201ELNS1_3gpuE5ELNS1_3repE0EEENS1_30default_config_static_selectorELNS0_4arch9wavefront6targetE0EEEvT1_
	.globl	_ZN7rocprim17ROCPRIM_400000_NS6detail17trampoline_kernelINS0_14default_configENS1_25transform_config_selectorIlLb1EEEZNS1_14transform_implILb1ES3_S5_PlS7_NS0_8identityIlEEEE10hipError_tT2_T3_mT4_P12ihipStream_tbEUlT_E_NS1_11comp_targetILNS1_3genE10ELNS1_11target_archE1201ELNS1_3gpuE5ELNS1_3repE0EEENS1_30default_config_static_selectorELNS0_4arch9wavefront6targetE0EEEvT1_
	.p2align	8
	.type	_ZN7rocprim17ROCPRIM_400000_NS6detail17trampoline_kernelINS0_14default_configENS1_25transform_config_selectorIlLb1EEEZNS1_14transform_implILb1ES3_S5_PlS7_NS0_8identityIlEEEE10hipError_tT2_T3_mT4_P12ihipStream_tbEUlT_E_NS1_11comp_targetILNS1_3genE10ELNS1_11target_archE1201ELNS1_3gpuE5ELNS1_3repE0EEENS1_30default_config_static_selectorELNS0_4arch9wavefront6targetE0EEEvT1_,@function
_ZN7rocprim17ROCPRIM_400000_NS6detail17trampoline_kernelINS0_14default_configENS1_25transform_config_selectorIlLb1EEEZNS1_14transform_implILb1ES3_S5_PlS7_NS0_8identityIlEEEE10hipError_tT2_T3_mT4_P12ihipStream_tbEUlT_E_NS1_11comp_targetILNS1_3genE10ELNS1_11target_archE1201ELNS1_3gpuE5ELNS1_3repE0EEENS1_30default_config_static_selectorELNS0_4arch9wavefront6targetE0EEEvT1_: ; @_ZN7rocprim17ROCPRIM_400000_NS6detail17trampoline_kernelINS0_14default_configENS1_25transform_config_selectorIlLb1EEEZNS1_14transform_implILb1ES3_S5_PlS7_NS0_8identityIlEEEE10hipError_tT2_T3_mT4_P12ihipStream_tbEUlT_E_NS1_11comp_targetILNS1_3genE10ELNS1_11target_archE1201ELNS1_3gpuE5ELNS1_3repE0EEENS1_30default_config_static_selectorELNS0_4arch9wavefront6targetE0EEEvT1_
; %bb.0:
	.section	.rodata,"a",@progbits
	.p2align	6, 0x0
	.amdhsa_kernel _ZN7rocprim17ROCPRIM_400000_NS6detail17trampoline_kernelINS0_14default_configENS1_25transform_config_selectorIlLb1EEEZNS1_14transform_implILb1ES3_S5_PlS7_NS0_8identityIlEEEE10hipError_tT2_T3_mT4_P12ihipStream_tbEUlT_E_NS1_11comp_targetILNS1_3genE10ELNS1_11target_archE1201ELNS1_3gpuE5ELNS1_3repE0EEENS1_30default_config_static_selectorELNS0_4arch9wavefront6targetE0EEEvT1_
		.amdhsa_group_segment_fixed_size 0
		.amdhsa_private_segment_fixed_size 0
		.amdhsa_kernarg_size 40
		.amdhsa_user_sgpr_count 2
		.amdhsa_user_sgpr_dispatch_ptr 0
		.amdhsa_user_sgpr_queue_ptr 0
		.amdhsa_user_sgpr_kernarg_segment_ptr 1
		.amdhsa_user_sgpr_dispatch_id 0
		.amdhsa_user_sgpr_kernarg_preload_length 0
		.amdhsa_user_sgpr_kernarg_preload_offset 0
		.amdhsa_user_sgpr_private_segment_size 0
		.amdhsa_wavefront_size32 1
		.amdhsa_uses_dynamic_stack 0
		.amdhsa_enable_private_segment 0
		.amdhsa_system_sgpr_workgroup_id_x 1
		.amdhsa_system_sgpr_workgroup_id_y 0
		.amdhsa_system_sgpr_workgroup_id_z 0
		.amdhsa_system_sgpr_workgroup_info 0
		.amdhsa_system_vgpr_workitem_id 0
		.amdhsa_next_free_vgpr 1
		.amdhsa_next_free_sgpr 1
		.amdhsa_named_barrier_count 0
		.amdhsa_reserve_vcc 0
		.amdhsa_float_round_mode_32 0
		.amdhsa_float_round_mode_16_64 0
		.amdhsa_float_denorm_mode_32 3
		.amdhsa_float_denorm_mode_16_64 3
		.amdhsa_fp16_overflow 0
		.amdhsa_memory_ordered 1
		.amdhsa_forward_progress 1
		.amdhsa_inst_pref_size 0
		.amdhsa_round_robin_scheduling 0
		.amdhsa_exception_fp_ieee_invalid_op 0
		.amdhsa_exception_fp_denorm_src 0
		.amdhsa_exception_fp_ieee_div_zero 0
		.amdhsa_exception_fp_ieee_overflow 0
		.amdhsa_exception_fp_ieee_underflow 0
		.amdhsa_exception_fp_ieee_inexact 0
		.amdhsa_exception_int_div_zero 0
	.end_amdhsa_kernel
	.section	.text._ZN7rocprim17ROCPRIM_400000_NS6detail17trampoline_kernelINS0_14default_configENS1_25transform_config_selectorIlLb1EEEZNS1_14transform_implILb1ES3_S5_PlS7_NS0_8identityIlEEEE10hipError_tT2_T3_mT4_P12ihipStream_tbEUlT_E_NS1_11comp_targetILNS1_3genE10ELNS1_11target_archE1201ELNS1_3gpuE5ELNS1_3repE0EEENS1_30default_config_static_selectorELNS0_4arch9wavefront6targetE0EEEvT1_,"axG",@progbits,_ZN7rocprim17ROCPRIM_400000_NS6detail17trampoline_kernelINS0_14default_configENS1_25transform_config_selectorIlLb1EEEZNS1_14transform_implILb1ES3_S5_PlS7_NS0_8identityIlEEEE10hipError_tT2_T3_mT4_P12ihipStream_tbEUlT_E_NS1_11comp_targetILNS1_3genE10ELNS1_11target_archE1201ELNS1_3gpuE5ELNS1_3repE0EEENS1_30default_config_static_selectorELNS0_4arch9wavefront6targetE0EEEvT1_,comdat
.Lfunc_end43:
	.size	_ZN7rocprim17ROCPRIM_400000_NS6detail17trampoline_kernelINS0_14default_configENS1_25transform_config_selectorIlLb1EEEZNS1_14transform_implILb1ES3_S5_PlS7_NS0_8identityIlEEEE10hipError_tT2_T3_mT4_P12ihipStream_tbEUlT_E_NS1_11comp_targetILNS1_3genE10ELNS1_11target_archE1201ELNS1_3gpuE5ELNS1_3repE0EEENS1_30default_config_static_selectorELNS0_4arch9wavefront6targetE0EEEvT1_, .Lfunc_end43-_ZN7rocprim17ROCPRIM_400000_NS6detail17trampoline_kernelINS0_14default_configENS1_25transform_config_selectorIlLb1EEEZNS1_14transform_implILb1ES3_S5_PlS7_NS0_8identityIlEEEE10hipError_tT2_T3_mT4_P12ihipStream_tbEUlT_E_NS1_11comp_targetILNS1_3genE10ELNS1_11target_archE1201ELNS1_3gpuE5ELNS1_3repE0EEENS1_30default_config_static_selectorELNS0_4arch9wavefront6targetE0EEEvT1_
                                        ; -- End function
	.set _ZN7rocprim17ROCPRIM_400000_NS6detail17trampoline_kernelINS0_14default_configENS1_25transform_config_selectorIlLb1EEEZNS1_14transform_implILb1ES3_S5_PlS7_NS0_8identityIlEEEE10hipError_tT2_T3_mT4_P12ihipStream_tbEUlT_E_NS1_11comp_targetILNS1_3genE10ELNS1_11target_archE1201ELNS1_3gpuE5ELNS1_3repE0EEENS1_30default_config_static_selectorELNS0_4arch9wavefront6targetE0EEEvT1_.num_vgpr, 0
	.set _ZN7rocprim17ROCPRIM_400000_NS6detail17trampoline_kernelINS0_14default_configENS1_25transform_config_selectorIlLb1EEEZNS1_14transform_implILb1ES3_S5_PlS7_NS0_8identityIlEEEE10hipError_tT2_T3_mT4_P12ihipStream_tbEUlT_E_NS1_11comp_targetILNS1_3genE10ELNS1_11target_archE1201ELNS1_3gpuE5ELNS1_3repE0EEENS1_30default_config_static_selectorELNS0_4arch9wavefront6targetE0EEEvT1_.num_agpr, 0
	.set _ZN7rocprim17ROCPRIM_400000_NS6detail17trampoline_kernelINS0_14default_configENS1_25transform_config_selectorIlLb1EEEZNS1_14transform_implILb1ES3_S5_PlS7_NS0_8identityIlEEEE10hipError_tT2_T3_mT4_P12ihipStream_tbEUlT_E_NS1_11comp_targetILNS1_3genE10ELNS1_11target_archE1201ELNS1_3gpuE5ELNS1_3repE0EEENS1_30default_config_static_selectorELNS0_4arch9wavefront6targetE0EEEvT1_.numbered_sgpr, 0
	.set _ZN7rocprim17ROCPRIM_400000_NS6detail17trampoline_kernelINS0_14default_configENS1_25transform_config_selectorIlLb1EEEZNS1_14transform_implILb1ES3_S5_PlS7_NS0_8identityIlEEEE10hipError_tT2_T3_mT4_P12ihipStream_tbEUlT_E_NS1_11comp_targetILNS1_3genE10ELNS1_11target_archE1201ELNS1_3gpuE5ELNS1_3repE0EEENS1_30default_config_static_selectorELNS0_4arch9wavefront6targetE0EEEvT1_.num_named_barrier, 0
	.set _ZN7rocprim17ROCPRIM_400000_NS6detail17trampoline_kernelINS0_14default_configENS1_25transform_config_selectorIlLb1EEEZNS1_14transform_implILb1ES3_S5_PlS7_NS0_8identityIlEEEE10hipError_tT2_T3_mT4_P12ihipStream_tbEUlT_E_NS1_11comp_targetILNS1_3genE10ELNS1_11target_archE1201ELNS1_3gpuE5ELNS1_3repE0EEENS1_30default_config_static_selectorELNS0_4arch9wavefront6targetE0EEEvT1_.private_seg_size, 0
	.set _ZN7rocprim17ROCPRIM_400000_NS6detail17trampoline_kernelINS0_14default_configENS1_25transform_config_selectorIlLb1EEEZNS1_14transform_implILb1ES3_S5_PlS7_NS0_8identityIlEEEE10hipError_tT2_T3_mT4_P12ihipStream_tbEUlT_E_NS1_11comp_targetILNS1_3genE10ELNS1_11target_archE1201ELNS1_3gpuE5ELNS1_3repE0EEENS1_30default_config_static_selectorELNS0_4arch9wavefront6targetE0EEEvT1_.uses_vcc, 0
	.set _ZN7rocprim17ROCPRIM_400000_NS6detail17trampoline_kernelINS0_14default_configENS1_25transform_config_selectorIlLb1EEEZNS1_14transform_implILb1ES3_S5_PlS7_NS0_8identityIlEEEE10hipError_tT2_T3_mT4_P12ihipStream_tbEUlT_E_NS1_11comp_targetILNS1_3genE10ELNS1_11target_archE1201ELNS1_3gpuE5ELNS1_3repE0EEENS1_30default_config_static_selectorELNS0_4arch9wavefront6targetE0EEEvT1_.uses_flat_scratch, 0
	.set _ZN7rocprim17ROCPRIM_400000_NS6detail17trampoline_kernelINS0_14default_configENS1_25transform_config_selectorIlLb1EEEZNS1_14transform_implILb1ES3_S5_PlS7_NS0_8identityIlEEEE10hipError_tT2_T3_mT4_P12ihipStream_tbEUlT_E_NS1_11comp_targetILNS1_3genE10ELNS1_11target_archE1201ELNS1_3gpuE5ELNS1_3repE0EEENS1_30default_config_static_selectorELNS0_4arch9wavefront6targetE0EEEvT1_.has_dyn_sized_stack, 0
	.set _ZN7rocprim17ROCPRIM_400000_NS6detail17trampoline_kernelINS0_14default_configENS1_25transform_config_selectorIlLb1EEEZNS1_14transform_implILb1ES3_S5_PlS7_NS0_8identityIlEEEE10hipError_tT2_T3_mT4_P12ihipStream_tbEUlT_E_NS1_11comp_targetILNS1_3genE10ELNS1_11target_archE1201ELNS1_3gpuE5ELNS1_3repE0EEENS1_30default_config_static_selectorELNS0_4arch9wavefront6targetE0EEEvT1_.has_recursion, 0
	.set _ZN7rocprim17ROCPRIM_400000_NS6detail17trampoline_kernelINS0_14default_configENS1_25transform_config_selectorIlLb1EEEZNS1_14transform_implILb1ES3_S5_PlS7_NS0_8identityIlEEEE10hipError_tT2_T3_mT4_P12ihipStream_tbEUlT_E_NS1_11comp_targetILNS1_3genE10ELNS1_11target_archE1201ELNS1_3gpuE5ELNS1_3repE0EEENS1_30default_config_static_selectorELNS0_4arch9wavefront6targetE0EEEvT1_.has_indirect_call, 0
	.section	.AMDGPU.csdata,"",@progbits
; Kernel info:
; codeLenInByte = 0
; TotalNumSgprs: 0
; NumVgprs: 0
; ScratchSize: 0
; MemoryBound: 0
; FloatMode: 240
; IeeeMode: 1
; LDSByteSize: 0 bytes/workgroup (compile time only)
; SGPRBlocks: 0
; VGPRBlocks: 0
; NumSGPRsForWavesPerEU: 1
; NumVGPRsForWavesPerEU: 1
; NamedBarCnt: 0
; Occupancy: 16
; WaveLimiterHint : 0
; COMPUTE_PGM_RSRC2:SCRATCH_EN: 0
; COMPUTE_PGM_RSRC2:USER_SGPR: 2
; COMPUTE_PGM_RSRC2:TRAP_HANDLER: 0
; COMPUTE_PGM_RSRC2:TGID_X_EN: 1
; COMPUTE_PGM_RSRC2:TGID_Y_EN: 0
; COMPUTE_PGM_RSRC2:TGID_Z_EN: 0
; COMPUTE_PGM_RSRC2:TIDIG_COMP_CNT: 0
	.section	.text._ZN7rocprim17ROCPRIM_400000_NS6detail17trampoline_kernelINS0_14default_configENS1_25transform_config_selectorIlLb1EEEZNS1_14transform_implILb1ES3_S5_PlS7_NS0_8identityIlEEEE10hipError_tT2_T3_mT4_P12ihipStream_tbEUlT_E_NS1_11comp_targetILNS1_3genE5ELNS1_11target_archE942ELNS1_3gpuE9ELNS1_3repE0EEENS1_30default_config_static_selectorELNS0_4arch9wavefront6targetE0EEEvT1_,"axG",@progbits,_ZN7rocprim17ROCPRIM_400000_NS6detail17trampoline_kernelINS0_14default_configENS1_25transform_config_selectorIlLb1EEEZNS1_14transform_implILb1ES3_S5_PlS7_NS0_8identityIlEEEE10hipError_tT2_T3_mT4_P12ihipStream_tbEUlT_E_NS1_11comp_targetILNS1_3genE5ELNS1_11target_archE942ELNS1_3gpuE9ELNS1_3repE0EEENS1_30default_config_static_selectorELNS0_4arch9wavefront6targetE0EEEvT1_,comdat
	.protected	_ZN7rocprim17ROCPRIM_400000_NS6detail17trampoline_kernelINS0_14default_configENS1_25transform_config_selectorIlLb1EEEZNS1_14transform_implILb1ES3_S5_PlS7_NS0_8identityIlEEEE10hipError_tT2_T3_mT4_P12ihipStream_tbEUlT_E_NS1_11comp_targetILNS1_3genE5ELNS1_11target_archE942ELNS1_3gpuE9ELNS1_3repE0EEENS1_30default_config_static_selectorELNS0_4arch9wavefront6targetE0EEEvT1_ ; -- Begin function _ZN7rocprim17ROCPRIM_400000_NS6detail17trampoline_kernelINS0_14default_configENS1_25transform_config_selectorIlLb1EEEZNS1_14transform_implILb1ES3_S5_PlS7_NS0_8identityIlEEEE10hipError_tT2_T3_mT4_P12ihipStream_tbEUlT_E_NS1_11comp_targetILNS1_3genE5ELNS1_11target_archE942ELNS1_3gpuE9ELNS1_3repE0EEENS1_30default_config_static_selectorELNS0_4arch9wavefront6targetE0EEEvT1_
	.globl	_ZN7rocprim17ROCPRIM_400000_NS6detail17trampoline_kernelINS0_14default_configENS1_25transform_config_selectorIlLb1EEEZNS1_14transform_implILb1ES3_S5_PlS7_NS0_8identityIlEEEE10hipError_tT2_T3_mT4_P12ihipStream_tbEUlT_E_NS1_11comp_targetILNS1_3genE5ELNS1_11target_archE942ELNS1_3gpuE9ELNS1_3repE0EEENS1_30default_config_static_selectorELNS0_4arch9wavefront6targetE0EEEvT1_
	.p2align	8
	.type	_ZN7rocprim17ROCPRIM_400000_NS6detail17trampoline_kernelINS0_14default_configENS1_25transform_config_selectorIlLb1EEEZNS1_14transform_implILb1ES3_S5_PlS7_NS0_8identityIlEEEE10hipError_tT2_T3_mT4_P12ihipStream_tbEUlT_E_NS1_11comp_targetILNS1_3genE5ELNS1_11target_archE942ELNS1_3gpuE9ELNS1_3repE0EEENS1_30default_config_static_selectorELNS0_4arch9wavefront6targetE0EEEvT1_,@function
_ZN7rocprim17ROCPRIM_400000_NS6detail17trampoline_kernelINS0_14default_configENS1_25transform_config_selectorIlLb1EEEZNS1_14transform_implILb1ES3_S5_PlS7_NS0_8identityIlEEEE10hipError_tT2_T3_mT4_P12ihipStream_tbEUlT_E_NS1_11comp_targetILNS1_3genE5ELNS1_11target_archE942ELNS1_3gpuE9ELNS1_3repE0EEENS1_30default_config_static_selectorELNS0_4arch9wavefront6targetE0EEEvT1_: ; @_ZN7rocprim17ROCPRIM_400000_NS6detail17trampoline_kernelINS0_14default_configENS1_25transform_config_selectorIlLb1EEEZNS1_14transform_implILb1ES3_S5_PlS7_NS0_8identityIlEEEE10hipError_tT2_T3_mT4_P12ihipStream_tbEUlT_E_NS1_11comp_targetILNS1_3genE5ELNS1_11target_archE942ELNS1_3gpuE9ELNS1_3repE0EEENS1_30default_config_static_selectorELNS0_4arch9wavefront6targetE0EEEvT1_
; %bb.0:
	.section	.rodata,"a",@progbits
	.p2align	6, 0x0
	.amdhsa_kernel _ZN7rocprim17ROCPRIM_400000_NS6detail17trampoline_kernelINS0_14default_configENS1_25transform_config_selectorIlLb1EEEZNS1_14transform_implILb1ES3_S5_PlS7_NS0_8identityIlEEEE10hipError_tT2_T3_mT4_P12ihipStream_tbEUlT_E_NS1_11comp_targetILNS1_3genE5ELNS1_11target_archE942ELNS1_3gpuE9ELNS1_3repE0EEENS1_30default_config_static_selectorELNS0_4arch9wavefront6targetE0EEEvT1_
		.amdhsa_group_segment_fixed_size 0
		.amdhsa_private_segment_fixed_size 0
		.amdhsa_kernarg_size 40
		.amdhsa_user_sgpr_count 2
		.amdhsa_user_sgpr_dispatch_ptr 0
		.amdhsa_user_sgpr_queue_ptr 0
		.amdhsa_user_sgpr_kernarg_segment_ptr 1
		.amdhsa_user_sgpr_dispatch_id 0
		.amdhsa_user_sgpr_kernarg_preload_length 0
		.amdhsa_user_sgpr_kernarg_preload_offset 0
		.amdhsa_user_sgpr_private_segment_size 0
		.amdhsa_wavefront_size32 1
		.amdhsa_uses_dynamic_stack 0
		.amdhsa_enable_private_segment 0
		.amdhsa_system_sgpr_workgroup_id_x 1
		.amdhsa_system_sgpr_workgroup_id_y 0
		.amdhsa_system_sgpr_workgroup_id_z 0
		.amdhsa_system_sgpr_workgroup_info 0
		.amdhsa_system_vgpr_workitem_id 0
		.amdhsa_next_free_vgpr 1
		.amdhsa_next_free_sgpr 1
		.amdhsa_named_barrier_count 0
		.amdhsa_reserve_vcc 0
		.amdhsa_float_round_mode_32 0
		.amdhsa_float_round_mode_16_64 0
		.amdhsa_float_denorm_mode_32 3
		.amdhsa_float_denorm_mode_16_64 3
		.amdhsa_fp16_overflow 0
		.amdhsa_memory_ordered 1
		.amdhsa_forward_progress 1
		.amdhsa_inst_pref_size 0
		.amdhsa_round_robin_scheduling 0
		.amdhsa_exception_fp_ieee_invalid_op 0
		.amdhsa_exception_fp_denorm_src 0
		.amdhsa_exception_fp_ieee_div_zero 0
		.amdhsa_exception_fp_ieee_overflow 0
		.amdhsa_exception_fp_ieee_underflow 0
		.amdhsa_exception_fp_ieee_inexact 0
		.amdhsa_exception_int_div_zero 0
	.end_amdhsa_kernel
	.section	.text._ZN7rocprim17ROCPRIM_400000_NS6detail17trampoline_kernelINS0_14default_configENS1_25transform_config_selectorIlLb1EEEZNS1_14transform_implILb1ES3_S5_PlS7_NS0_8identityIlEEEE10hipError_tT2_T3_mT4_P12ihipStream_tbEUlT_E_NS1_11comp_targetILNS1_3genE5ELNS1_11target_archE942ELNS1_3gpuE9ELNS1_3repE0EEENS1_30default_config_static_selectorELNS0_4arch9wavefront6targetE0EEEvT1_,"axG",@progbits,_ZN7rocprim17ROCPRIM_400000_NS6detail17trampoline_kernelINS0_14default_configENS1_25transform_config_selectorIlLb1EEEZNS1_14transform_implILb1ES3_S5_PlS7_NS0_8identityIlEEEE10hipError_tT2_T3_mT4_P12ihipStream_tbEUlT_E_NS1_11comp_targetILNS1_3genE5ELNS1_11target_archE942ELNS1_3gpuE9ELNS1_3repE0EEENS1_30default_config_static_selectorELNS0_4arch9wavefront6targetE0EEEvT1_,comdat
.Lfunc_end44:
	.size	_ZN7rocprim17ROCPRIM_400000_NS6detail17trampoline_kernelINS0_14default_configENS1_25transform_config_selectorIlLb1EEEZNS1_14transform_implILb1ES3_S5_PlS7_NS0_8identityIlEEEE10hipError_tT2_T3_mT4_P12ihipStream_tbEUlT_E_NS1_11comp_targetILNS1_3genE5ELNS1_11target_archE942ELNS1_3gpuE9ELNS1_3repE0EEENS1_30default_config_static_selectorELNS0_4arch9wavefront6targetE0EEEvT1_, .Lfunc_end44-_ZN7rocprim17ROCPRIM_400000_NS6detail17trampoline_kernelINS0_14default_configENS1_25transform_config_selectorIlLb1EEEZNS1_14transform_implILb1ES3_S5_PlS7_NS0_8identityIlEEEE10hipError_tT2_T3_mT4_P12ihipStream_tbEUlT_E_NS1_11comp_targetILNS1_3genE5ELNS1_11target_archE942ELNS1_3gpuE9ELNS1_3repE0EEENS1_30default_config_static_selectorELNS0_4arch9wavefront6targetE0EEEvT1_
                                        ; -- End function
	.set _ZN7rocprim17ROCPRIM_400000_NS6detail17trampoline_kernelINS0_14default_configENS1_25transform_config_selectorIlLb1EEEZNS1_14transform_implILb1ES3_S5_PlS7_NS0_8identityIlEEEE10hipError_tT2_T3_mT4_P12ihipStream_tbEUlT_E_NS1_11comp_targetILNS1_3genE5ELNS1_11target_archE942ELNS1_3gpuE9ELNS1_3repE0EEENS1_30default_config_static_selectorELNS0_4arch9wavefront6targetE0EEEvT1_.num_vgpr, 0
	.set _ZN7rocprim17ROCPRIM_400000_NS6detail17trampoline_kernelINS0_14default_configENS1_25transform_config_selectorIlLb1EEEZNS1_14transform_implILb1ES3_S5_PlS7_NS0_8identityIlEEEE10hipError_tT2_T3_mT4_P12ihipStream_tbEUlT_E_NS1_11comp_targetILNS1_3genE5ELNS1_11target_archE942ELNS1_3gpuE9ELNS1_3repE0EEENS1_30default_config_static_selectorELNS0_4arch9wavefront6targetE0EEEvT1_.num_agpr, 0
	.set _ZN7rocprim17ROCPRIM_400000_NS6detail17trampoline_kernelINS0_14default_configENS1_25transform_config_selectorIlLb1EEEZNS1_14transform_implILb1ES3_S5_PlS7_NS0_8identityIlEEEE10hipError_tT2_T3_mT4_P12ihipStream_tbEUlT_E_NS1_11comp_targetILNS1_3genE5ELNS1_11target_archE942ELNS1_3gpuE9ELNS1_3repE0EEENS1_30default_config_static_selectorELNS0_4arch9wavefront6targetE0EEEvT1_.numbered_sgpr, 0
	.set _ZN7rocprim17ROCPRIM_400000_NS6detail17trampoline_kernelINS0_14default_configENS1_25transform_config_selectorIlLb1EEEZNS1_14transform_implILb1ES3_S5_PlS7_NS0_8identityIlEEEE10hipError_tT2_T3_mT4_P12ihipStream_tbEUlT_E_NS1_11comp_targetILNS1_3genE5ELNS1_11target_archE942ELNS1_3gpuE9ELNS1_3repE0EEENS1_30default_config_static_selectorELNS0_4arch9wavefront6targetE0EEEvT1_.num_named_barrier, 0
	.set _ZN7rocprim17ROCPRIM_400000_NS6detail17trampoline_kernelINS0_14default_configENS1_25transform_config_selectorIlLb1EEEZNS1_14transform_implILb1ES3_S5_PlS7_NS0_8identityIlEEEE10hipError_tT2_T3_mT4_P12ihipStream_tbEUlT_E_NS1_11comp_targetILNS1_3genE5ELNS1_11target_archE942ELNS1_3gpuE9ELNS1_3repE0EEENS1_30default_config_static_selectorELNS0_4arch9wavefront6targetE0EEEvT1_.private_seg_size, 0
	.set _ZN7rocprim17ROCPRIM_400000_NS6detail17trampoline_kernelINS0_14default_configENS1_25transform_config_selectorIlLb1EEEZNS1_14transform_implILb1ES3_S5_PlS7_NS0_8identityIlEEEE10hipError_tT2_T3_mT4_P12ihipStream_tbEUlT_E_NS1_11comp_targetILNS1_3genE5ELNS1_11target_archE942ELNS1_3gpuE9ELNS1_3repE0EEENS1_30default_config_static_selectorELNS0_4arch9wavefront6targetE0EEEvT1_.uses_vcc, 0
	.set _ZN7rocprim17ROCPRIM_400000_NS6detail17trampoline_kernelINS0_14default_configENS1_25transform_config_selectorIlLb1EEEZNS1_14transform_implILb1ES3_S5_PlS7_NS0_8identityIlEEEE10hipError_tT2_T3_mT4_P12ihipStream_tbEUlT_E_NS1_11comp_targetILNS1_3genE5ELNS1_11target_archE942ELNS1_3gpuE9ELNS1_3repE0EEENS1_30default_config_static_selectorELNS0_4arch9wavefront6targetE0EEEvT1_.uses_flat_scratch, 0
	.set _ZN7rocprim17ROCPRIM_400000_NS6detail17trampoline_kernelINS0_14default_configENS1_25transform_config_selectorIlLb1EEEZNS1_14transform_implILb1ES3_S5_PlS7_NS0_8identityIlEEEE10hipError_tT2_T3_mT4_P12ihipStream_tbEUlT_E_NS1_11comp_targetILNS1_3genE5ELNS1_11target_archE942ELNS1_3gpuE9ELNS1_3repE0EEENS1_30default_config_static_selectorELNS0_4arch9wavefront6targetE0EEEvT1_.has_dyn_sized_stack, 0
	.set _ZN7rocprim17ROCPRIM_400000_NS6detail17trampoline_kernelINS0_14default_configENS1_25transform_config_selectorIlLb1EEEZNS1_14transform_implILb1ES3_S5_PlS7_NS0_8identityIlEEEE10hipError_tT2_T3_mT4_P12ihipStream_tbEUlT_E_NS1_11comp_targetILNS1_3genE5ELNS1_11target_archE942ELNS1_3gpuE9ELNS1_3repE0EEENS1_30default_config_static_selectorELNS0_4arch9wavefront6targetE0EEEvT1_.has_recursion, 0
	.set _ZN7rocprim17ROCPRIM_400000_NS6detail17trampoline_kernelINS0_14default_configENS1_25transform_config_selectorIlLb1EEEZNS1_14transform_implILb1ES3_S5_PlS7_NS0_8identityIlEEEE10hipError_tT2_T3_mT4_P12ihipStream_tbEUlT_E_NS1_11comp_targetILNS1_3genE5ELNS1_11target_archE942ELNS1_3gpuE9ELNS1_3repE0EEENS1_30default_config_static_selectorELNS0_4arch9wavefront6targetE0EEEvT1_.has_indirect_call, 0
	.section	.AMDGPU.csdata,"",@progbits
; Kernel info:
; codeLenInByte = 0
; TotalNumSgprs: 0
; NumVgprs: 0
; ScratchSize: 0
; MemoryBound: 0
; FloatMode: 240
; IeeeMode: 1
; LDSByteSize: 0 bytes/workgroup (compile time only)
; SGPRBlocks: 0
; VGPRBlocks: 0
; NumSGPRsForWavesPerEU: 1
; NumVGPRsForWavesPerEU: 1
; NamedBarCnt: 0
; Occupancy: 16
; WaveLimiterHint : 0
; COMPUTE_PGM_RSRC2:SCRATCH_EN: 0
; COMPUTE_PGM_RSRC2:USER_SGPR: 2
; COMPUTE_PGM_RSRC2:TRAP_HANDLER: 0
; COMPUTE_PGM_RSRC2:TGID_X_EN: 1
; COMPUTE_PGM_RSRC2:TGID_Y_EN: 0
; COMPUTE_PGM_RSRC2:TGID_Z_EN: 0
; COMPUTE_PGM_RSRC2:TIDIG_COMP_CNT: 0
	.section	.text._ZN7rocprim17ROCPRIM_400000_NS6detail17trampoline_kernelINS0_14default_configENS1_25transform_config_selectorIlLb1EEEZNS1_14transform_implILb1ES3_S5_PlS7_NS0_8identityIlEEEE10hipError_tT2_T3_mT4_P12ihipStream_tbEUlT_E_NS1_11comp_targetILNS1_3genE4ELNS1_11target_archE910ELNS1_3gpuE8ELNS1_3repE0EEENS1_30default_config_static_selectorELNS0_4arch9wavefront6targetE0EEEvT1_,"axG",@progbits,_ZN7rocprim17ROCPRIM_400000_NS6detail17trampoline_kernelINS0_14default_configENS1_25transform_config_selectorIlLb1EEEZNS1_14transform_implILb1ES3_S5_PlS7_NS0_8identityIlEEEE10hipError_tT2_T3_mT4_P12ihipStream_tbEUlT_E_NS1_11comp_targetILNS1_3genE4ELNS1_11target_archE910ELNS1_3gpuE8ELNS1_3repE0EEENS1_30default_config_static_selectorELNS0_4arch9wavefront6targetE0EEEvT1_,comdat
	.protected	_ZN7rocprim17ROCPRIM_400000_NS6detail17trampoline_kernelINS0_14default_configENS1_25transform_config_selectorIlLb1EEEZNS1_14transform_implILb1ES3_S5_PlS7_NS0_8identityIlEEEE10hipError_tT2_T3_mT4_P12ihipStream_tbEUlT_E_NS1_11comp_targetILNS1_3genE4ELNS1_11target_archE910ELNS1_3gpuE8ELNS1_3repE0EEENS1_30default_config_static_selectorELNS0_4arch9wavefront6targetE0EEEvT1_ ; -- Begin function _ZN7rocprim17ROCPRIM_400000_NS6detail17trampoline_kernelINS0_14default_configENS1_25transform_config_selectorIlLb1EEEZNS1_14transform_implILb1ES3_S5_PlS7_NS0_8identityIlEEEE10hipError_tT2_T3_mT4_P12ihipStream_tbEUlT_E_NS1_11comp_targetILNS1_3genE4ELNS1_11target_archE910ELNS1_3gpuE8ELNS1_3repE0EEENS1_30default_config_static_selectorELNS0_4arch9wavefront6targetE0EEEvT1_
	.globl	_ZN7rocprim17ROCPRIM_400000_NS6detail17trampoline_kernelINS0_14default_configENS1_25transform_config_selectorIlLb1EEEZNS1_14transform_implILb1ES3_S5_PlS7_NS0_8identityIlEEEE10hipError_tT2_T3_mT4_P12ihipStream_tbEUlT_E_NS1_11comp_targetILNS1_3genE4ELNS1_11target_archE910ELNS1_3gpuE8ELNS1_3repE0EEENS1_30default_config_static_selectorELNS0_4arch9wavefront6targetE0EEEvT1_
	.p2align	8
	.type	_ZN7rocprim17ROCPRIM_400000_NS6detail17trampoline_kernelINS0_14default_configENS1_25transform_config_selectorIlLb1EEEZNS1_14transform_implILb1ES3_S5_PlS7_NS0_8identityIlEEEE10hipError_tT2_T3_mT4_P12ihipStream_tbEUlT_E_NS1_11comp_targetILNS1_3genE4ELNS1_11target_archE910ELNS1_3gpuE8ELNS1_3repE0EEENS1_30default_config_static_selectorELNS0_4arch9wavefront6targetE0EEEvT1_,@function
_ZN7rocprim17ROCPRIM_400000_NS6detail17trampoline_kernelINS0_14default_configENS1_25transform_config_selectorIlLb1EEEZNS1_14transform_implILb1ES3_S5_PlS7_NS0_8identityIlEEEE10hipError_tT2_T3_mT4_P12ihipStream_tbEUlT_E_NS1_11comp_targetILNS1_3genE4ELNS1_11target_archE910ELNS1_3gpuE8ELNS1_3repE0EEENS1_30default_config_static_selectorELNS0_4arch9wavefront6targetE0EEEvT1_: ; @_ZN7rocprim17ROCPRIM_400000_NS6detail17trampoline_kernelINS0_14default_configENS1_25transform_config_selectorIlLb1EEEZNS1_14transform_implILb1ES3_S5_PlS7_NS0_8identityIlEEEE10hipError_tT2_T3_mT4_P12ihipStream_tbEUlT_E_NS1_11comp_targetILNS1_3genE4ELNS1_11target_archE910ELNS1_3gpuE8ELNS1_3repE0EEENS1_30default_config_static_selectorELNS0_4arch9wavefront6targetE0EEEvT1_
; %bb.0:
	.section	.rodata,"a",@progbits
	.p2align	6, 0x0
	.amdhsa_kernel _ZN7rocprim17ROCPRIM_400000_NS6detail17trampoline_kernelINS0_14default_configENS1_25transform_config_selectorIlLb1EEEZNS1_14transform_implILb1ES3_S5_PlS7_NS0_8identityIlEEEE10hipError_tT2_T3_mT4_P12ihipStream_tbEUlT_E_NS1_11comp_targetILNS1_3genE4ELNS1_11target_archE910ELNS1_3gpuE8ELNS1_3repE0EEENS1_30default_config_static_selectorELNS0_4arch9wavefront6targetE0EEEvT1_
		.amdhsa_group_segment_fixed_size 0
		.amdhsa_private_segment_fixed_size 0
		.amdhsa_kernarg_size 40
		.amdhsa_user_sgpr_count 2
		.amdhsa_user_sgpr_dispatch_ptr 0
		.amdhsa_user_sgpr_queue_ptr 0
		.amdhsa_user_sgpr_kernarg_segment_ptr 1
		.amdhsa_user_sgpr_dispatch_id 0
		.amdhsa_user_sgpr_kernarg_preload_length 0
		.amdhsa_user_sgpr_kernarg_preload_offset 0
		.amdhsa_user_sgpr_private_segment_size 0
		.amdhsa_wavefront_size32 1
		.amdhsa_uses_dynamic_stack 0
		.amdhsa_enable_private_segment 0
		.amdhsa_system_sgpr_workgroup_id_x 1
		.amdhsa_system_sgpr_workgroup_id_y 0
		.amdhsa_system_sgpr_workgroup_id_z 0
		.amdhsa_system_sgpr_workgroup_info 0
		.amdhsa_system_vgpr_workitem_id 0
		.amdhsa_next_free_vgpr 1
		.amdhsa_next_free_sgpr 1
		.amdhsa_named_barrier_count 0
		.amdhsa_reserve_vcc 0
		.amdhsa_float_round_mode_32 0
		.amdhsa_float_round_mode_16_64 0
		.amdhsa_float_denorm_mode_32 3
		.amdhsa_float_denorm_mode_16_64 3
		.amdhsa_fp16_overflow 0
		.amdhsa_memory_ordered 1
		.amdhsa_forward_progress 1
		.amdhsa_inst_pref_size 0
		.amdhsa_round_robin_scheduling 0
		.amdhsa_exception_fp_ieee_invalid_op 0
		.amdhsa_exception_fp_denorm_src 0
		.amdhsa_exception_fp_ieee_div_zero 0
		.amdhsa_exception_fp_ieee_overflow 0
		.amdhsa_exception_fp_ieee_underflow 0
		.amdhsa_exception_fp_ieee_inexact 0
		.amdhsa_exception_int_div_zero 0
	.end_amdhsa_kernel
	.section	.text._ZN7rocprim17ROCPRIM_400000_NS6detail17trampoline_kernelINS0_14default_configENS1_25transform_config_selectorIlLb1EEEZNS1_14transform_implILb1ES3_S5_PlS7_NS0_8identityIlEEEE10hipError_tT2_T3_mT4_P12ihipStream_tbEUlT_E_NS1_11comp_targetILNS1_3genE4ELNS1_11target_archE910ELNS1_3gpuE8ELNS1_3repE0EEENS1_30default_config_static_selectorELNS0_4arch9wavefront6targetE0EEEvT1_,"axG",@progbits,_ZN7rocprim17ROCPRIM_400000_NS6detail17trampoline_kernelINS0_14default_configENS1_25transform_config_selectorIlLb1EEEZNS1_14transform_implILb1ES3_S5_PlS7_NS0_8identityIlEEEE10hipError_tT2_T3_mT4_P12ihipStream_tbEUlT_E_NS1_11comp_targetILNS1_3genE4ELNS1_11target_archE910ELNS1_3gpuE8ELNS1_3repE0EEENS1_30default_config_static_selectorELNS0_4arch9wavefront6targetE0EEEvT1_,comdat
.Lfunc_end45:
	.size	_ZN7rocprim17ROCPRIM_400000_NS6detail17trampoline_kernelINS0_14default_configENS1_25transform_config_selectorIlLb1EEEZNS1_14transform_implILb1ES3_S5_PlS7_NS0_8identityIlEEEE10hipError_tT2_T3_mT4_P12ihipStream_tbEUlT_E_NS1_11comp_targetILNS1_3genE4ELNS1_11target_archE910ELNS1_3gpuE8ELNS1_3repE0EEENS1_30default_config_static_selectorELNS0_4arch9wavefront6targetE0EEEvT1_, .Lfunc_end45-_ZN7rocprim17ROCPRIM_400000_NS6detail17trampoline_kernelINS0_14default_configENS1_25transform_config_selectorIlLb1EEEZNS1_14transform_implILb1ES3_S5_PlS7_NS0_8identityIlEEEE10hipError_tT2_T3_mT4_P12ihipStream_tbEUlT_E_NS1_11comp_targetILNS1_3genE4ELNS1_11target_archE910ELNS1_3gpuE8ELNS1_3repE0EEENS1_30default_config_static_selectorELNS0_4arch9wavefront6targetE0EEEvT1_
                                        ; -- End function
	.set _ZN7rocprim17ROCPRIM_400000_NS6detail17trampoline_kernelINS0_14default_configENS1_25transform_config_selectorIlLb1EEEZNS1_14transform_implILb1ES3_S5_PlS7_NS0_8identityIlEEEE10hipError_tT2_T3_mT4_P12ihipStream_tbEUlT_E_NS1_11comp_targetILNS1_3genE4ELNS1_11target_archE910ELNS1_3gpuE8ELNS1_3repE0EEENS1_30default_config_static_selectorELNS0_4arch9wavefront6targetE0EEEvT1_.num_vgpr, 0
	.set _ZN7rocprim17ROCPRIM_400000_NS6detail17trampoline_kernelINS0_14default_configENS1_25transform_config_selectorIlLb1EEEZNS1_14transform_implILb1ES3_S5_PlS7_NS0_8identityIlEEEE10hipError_tT2_T3_mT4_P12ihipStream_tbEUlT_E_NS1_11comp_targetILNS1_3genE4ELNS1_11target_archE910ELNS1_3gpuE8ELNS1_3repE0EEENS1_30default_config_static_selectorELNS0_4arch9wavefront6targetE0EEEvT1_.num_agpr, 0
	.set _ZN7rocprim17ROCPRIM_400000_NS6detail17trampoline_kernelINS0_14default_configENS1_25transform_config_selectorIlLb1EEEZNS1_14transform_implILb1ES3_S5_PlS7_NS0_8identityIlEEEE10hipError_tT2_T3_mT4_P12ihipStream_tbEUlT_E_NS1_11comp_targetILNS1_3genE4ELNS1_11target_archE910ELNS1_3gpuE8ELNS1_3repE0EEENS1_30default_config_static_selectorELNS0_4arch9wavefront6targetE0EEEvT1_.numbered_sgpr, 0
	.set _ZN7rocprim17ROCPRIM_400000_NS6detail17trampoline_kernelINS0_14default_configENS1_25transform_config_selectorIlLb1EEEZNS1_14transform_implILb1ES3_S5_PlS7_NS0_8identityIlEEEE10hipError_tT2_T3_mT4_P12ihipStream_tbEUlT_E_NS1_11comp_targetILNS1_3genE4ELNS1_11target_archE910ELNS1_3gpuE8ELNS1_3repE0EEENS1_30default_config_static_selectorELNS0_4arch9wavefront6targetE0EEEvT1_.num_named_barrier, 0
	.set _ZN7rocprim17ROCPRIM_400000_NS6detail17trampoline_kernelINS0_14default_configENS1_25transform_config_selectorIlLb1EEEZNS1_14transform_implILb1ES3_S5_PlS7_NS0_8identityIlEEEE10hipError_tT2_T3_mT4_P12ihipStream_tbEUlT_E_NS1_11comp_targetILNS1_3genE4ELNS1_11target_archE910ELNS1_3gpuE8ELNS1_3repE0EEENS1_30default_config_static_selectorELNS0_4arch9wavefront6targetE0EEEvT1_.private_seg_size, 0
	.set _ZN7rocprim17ROCPRIM_400000_NS6detail17trampoline_kernelINS0_14default_configENS1_25transform_config_selectorIlLb1EEEZNS1_14transform_implILb1ES3_S5_PlS7_NS0_8identityIlEEEE10hipError_tT2_T3_mT4_P12ihipStream_tbEUlT_E_NS1_11comp_targetILNS1_3genE4ELNS1_11target_archE910ELNS1_3gpuE8ELNS1_3repE0EEENS1_30default_config_static_selectorELNS0_4arch9wavefront6targetE0EEEvT1_.uses_vcc, 0
	.set _ZN7rocprim17ROCPRIM_400000_NS6detail17trampoline_kernelINS0_14default_configENS1_25transform_config_selectorIlLb1EEEZNS1_14transform_implILb1ES3_S5_PlS7_NS0_8identityIlEEEE10hipError_tT2_T3_mT4_P12ihipStream_tbEUlT_E_NS1_11comp_targetILNS1_3genE4ELNS1_11target_archE910ELNS1_3gpuE8ELNS1_3repE0EEENS1_30default_config_static_selectorELNS0_4arch9wavefront6targetE0EEEvT1_.uses_flat_scratch, 0
	.set _ZN7rocprim17ROCPRIM_400000_NS6detail17trampoline_kernelINS0_14default_configENS1_25transform_config_selectorIlLb1EEEZNS1_14transform_implILb1ES3_S5_PlS7_NS0_8identityIlEEEE10hipError_tT2_T3_mT4_P12ihipStream_tbEUlT_E_NS1_11comp_targetILNS1_3genE4ELNS1_11target_archE910ELNS1_3gpuE8ELNS1_3repE0EEENS1_30default_config_static_selectorELNS0_4arch9wavefront6targetE0EEEvT1_.has_dyn_sized_stack, 0
	.set _ZN7rocprim17ROCPRIM_400000_NS6detail17trampoline_kernelINS0_14default_configENS1_25transform_config_selectorIlLb1EEEZNS1_14transform_implILb1ES3_S5_PlS7_NS0_8identityIlEEEE10hipError_tT2_T3_mT4_P12ihipStream_tbEUlT_E_NS1_11comp_targetILNS1_3genE4ELNS1_11target_archE910ELNS1_3gpuE8ELNS1_3repE0EEENS1_30default_config_static_selectorELNS0_4arch9wavefront6targetE0EEEvT1_.has_recursion, 0
	.set _ZN7rocprim17ROCPRIM_400000_NS6detail17trampoline_kernelINS0_14default_configENS1_25transform_config_selectorIlLb1EEEZNS1_14transform_implILb1ES3_S5_PlS7_NS0_8identityIlEEEE10hipError_tT2_T3_mT4_P12ihipStream_tbEUlT_E_NS1_11comp_targetILNS1_3genE4ELNS1_11target_archE910ELNS1_3gpuE8ELNS1_3repE0EEENS1_30default_config_static_selectorELNS0_4arch9wavefront6targetE0EEEvT1_.has_indirect_call, 0
	.section	.AMDGPU.csdata,"",@progbits
; Kernel info:
; codeLenInByte = 0
; TotalNumSgprs: 0
; NumVgprs: 0
; ScratchSize: 0
; MemoryBound: 0
; FloatMode: 240
; IeeeMode: 1
; LDSByteSize: 0 bytes/workgroup (compile time only)
; SGPRBlocks: 0
; VGPRBlocks: 0
; NumSGPRsForWavesPerEU: 1
; NumVGPRsForWavesPerEU: 1
; NamedBarCnt: 0
; Occupancy: 16
; WaveLimiterHint : 0
; COMPUTE_PGM_RSRC2:SCRATCH_EN: 0
; COMPUTE_PGM_RSRC2:USER_SGPR: 2
; COMPUTE_PGM_RSRC2:TRAP_HANDLER: 0
; COMPUTE_PGM_RSRC2:TGID_X_EN: 1
; COMPUTE_PGM_RSRC2:TGID_Y_EN: 0
; COMPUTE_PGM_RSRC2:TGID_Z_EN: 0
; COMPUTE_PGM_RSRC2:TIDIG_COMP_CNT: 0
	.section	.text._ZN7rocprim17ROCPRIM_400000_NS6detail17trampoline_kernelINS0_14default_configENS1_25transform_config_selectorIlLb1EEEZNS1_14transform_implILb1ES3_S5_PlS7_NS0_8identityIlEEEE10hipError_tT2_T3_mT4_P12ihipStream_tbEUlT_E_NS1_11comp_targetILNS1_3genE3ELNS1_11target_archE908ELNS1_3gpuE7ELNS1_3repE0EEENS1_30default_config_static_selectorELNS0_4arch9wavefront6targetE0EEEvT1_,"axG",@progbits,_ZN7rocprim17ROCPRIM_400000_NS6detail17trampoline_kernelINS0_14default_configENS1_25transform_config_selectorIlLb1EEEZNS1_14transform_implILb1ES3_S5_PlS7_NS0_8identityIlEEEE10hipError_tT2_T3_mT4_P12ihipStream_tbEUlT_E_NS1_11comp_targetILNS1_3genE3ELNS1_11target_archE908ELNS1_3gpuE7ELNS1_3repE0EEENS1_30default_config_static_selectorELNS0_4arch9wavefront6targetE0EEEvT1_,comdat
	.protected	_ZN7rocprim17ROCPRIM_400000_NS6detail17trampoline_kernelINS0_14default_configENS1_25transform_config_selectorIlLb1EEEZNS1_14transform_implILb1ES3_S5_PlS7_NS0_8identityIlEEEE10hipError_tT2_T3_mT4_P12ihipStream_tbEUlT_E_NS1_11comp_targetILNS1_3genE3ELNS1_11target_archE908ELNS1_3gpuE7ELNS1_3repE0EEENS1_30default_config_static_selectorELNS0_4arch9wavefront6targetE0EEEvT1_ ; -- Begin function _ZN7rocprim17ROCPRIM_400000_NS6detail17trampoline_kernelINS0_14default_configENS1_25transform_config_selectorIlLb1EEEZNS1_14transform_implILb1ES3_S5_PlS7_NS0_8identityIlEEEE10hipError_tT2_T3_mT4_P12ihipStream_tbEUlT_E_NS1_11comp_targetILNS1_3genE3ELNS1_11target_archE908ELNS1_3gpuE7ELNS1_3repE0EEENS1_30default_config_static_selectorELNS0_4arch9wavefront6targetE0EEEvT1_
	.globl	_ZN7rocprim17ROCPRIM_400000_NS6detail17trampoline_kernelINS0_14default_configENS1_25transform_config_selectorIlLb1EEEZNS1_14transform_implILb1ES3_S5_PlS7_NS0_8identityIlEEEE10hipError_tT2_T3_mT4_P12ihipStream_tbEUlT_E_NS1_11comp_targetILNS1_3genE3ELNS1_11target_archE908ELNS1_3gpuE7ELNS1_3repE0EEENS1_30default_config_static_selectorELNS0_4arch9wavefront6targetE0EEEvT1_
	.p2align	8
	.type	_ZN7rocprim17ROCPRIM_400000_NS6detail17trampoline_kernelINS0_14default_configENS1_25transform_config_selectorIlLb1EEEZNS1_14transform_implILb1ES3_S5_PlS7_NS0_8identityIlEEEE10hipError_tT2_T3_mT4_P12ihipStream_tbEUlT_E_NS1_11comp_targetILNS1_3genE3ELNS1_11target_archE908ELNS1_3gpuE7ELNS1_3repE0EEENS1_30default_config_static_selectorELNS0_4arch9wavefront6targetE0EEEvT1_,@function
_ZN7rocprim17ROCPRIM_400000_NS6detail17trampoline_kernelINS0_14default_configENS1_25transform_config_selectorIlLb1EEEZNS1_14transform_implILb1ES3_S5_PlS7_NS0_8identityIlEEEE10hipError_tT2_T3_mT4_P12ihipStream_tbEUlT_E_NS1_11comp_targetILNS1_3genE3ELNS1_11target_archE908ELNS1_3gpuE7ELNS1_3repE0EEENS1_30default_config_static_selectorELNS0_4arch9wavefront6targetE0EEEvT1_: ; @_ZN7rocprim17ROCPRIM_400000_NS6detail17trampoline_kernelINS0_14default_configENS1_25transform_config_selectorIlLb1EEEZNS1_14transform_implILb1ES3_S5_PlS7_NS0_8identityIlEEEE10hipError_tT2_T3_mT4_P12ihipStream_tbEUlT_E_NS1_11comp_targetILNS1_3genE3ELNS1_11target_archE908ELNS1_3gpuE7ELNS1_3repE0EEENS1_30default_config_static_selectorELNS0_4arch9wavefront6targetE0EEEvT1_
; %bb.0:
	.section	.rodata,"a",@progbits
	.p2align	6, 0x0
	.amdhsa_kernel _ZN7rocprim17ROCPRIM_400000_NS6detail17trampoline_kernelINS0_14default_configENS1_25transform_config_selectorIlLb1EEEZNS1_14transform_implILb1ES3_S5_PlS7_NS0_8identityIlEEEE10hipError_tT2_T3_mT4_P12ihipStream_tbEUlT_E_NS1_11comp_targetILNS1_3genE3ELNS1_11target_archE908ELNS1_3gpuE7ELNS1_3repE0EEENS1_30default_config_static_selectorELNS0_4arch9wavefront6targetE0EEEvT1_
		.amdhsa_group_segment_fixed_size 0
		.amdhsa_private_segment_fixed_size 0
		.amdhsa_kernarg_size 40
		.amdhsa_user_sgpr_count 2
		.amdhsa_user_sgpr_dispatch_ptr 0
		.amdhsa_user_sgpr_queue_ptr 0
		.amdhsa_user_sgpr_kernarg_segment_ptr 1
		.amdhsa_user_sgpr_dispatch_id 0
		.amdhsa_user_sgpr_kernarg_preload_length 0
		.amdhsa_user_sgpr_kernarg_preload_offset 0
		.amdhsa_user_sgpr_private_segment_size 0
		.amdhsa_wavefront_size32 1
		.amdhsa_uses_dynamic_stack 0
		.amdhsa_enable_private_segment 0
		.amdhsa_system_sgpr_workgroup_id_x 1
		.amdhsa_system_sgpr_workgroup_id_y 0
		.amdhsa_system_sgpr_workgroup_id_z 0
		.amdhsa_system_sgpr_workgroup_info 0
		.amdhsa_system_vgpr_workitem_id 0
		.amdhsa_next_free_vgpr 1
		.amdhsa_next_free_sgpr 1
		.amdhsa_named_barrier_count 0
		.amdhsa_reserve_vcc 0
		.amdhsa_float_round_mode_32 0
		.amdhsa_float_round_mode_16_64 0
		.amdhsa_float_denorm_mode_32 3
		.amdhsa_float_denorm_mode_16_64 3
		.amdhsa_fp16_overflow 0
		.amdhsa_memory_ordered 1
		.amdhsa_forward_progress 1
		.amdhsa_inst_pref_size 0
		.amdhsa_round_robin_scheduling 0
		.amdhsa_exception_fp_ieee_invalid_op 0
		.amdhsa_exception_fp_denorm_src 0
		.amdhsa_exception_fp_ieee_div_zero 0
		.amdhsa_exception_fp_ieee_overflow 0
		.amdhsa_exception_fp_ieee_underflow 0
		.amdhsa_exception_fp_ieee_inexact 0
		.amdhsa_exception_int_div_zero 0
	.end_amdhsa_kernel
	.section	.text._ZN7rocprim17ROCPRIM_400000_NS6detail17trampoline_kernelINS0_14default_configENS1_25transform_config_selectorIlLb1EEEZNS1_14transform_implILb1ES3_S5_PlS7_NS0_8identityIlEEEE10hipError_tT2_T3_mT4_P12ihipStream_tbEUlT_E_NS1_11comp_targetILNS1_3genE3ELNS1_11target_archE908ELNS1_3gpuE7ELNS1_3repE0EEENS1_30default_config_static_selectorELNS0_4arch9wavefront6targetE0EEEvT1_,"axG",@progbits,_ZN7rocprim17ROCPRIM_400000_NS6detail17trampoline_kernelINS0_14default_configENS1_25transform_config_selectorIlLb1EEEZNS1_14transform_implILb1ES3_S5_PlS7_NS0_8identityIlEEEE10hipError_tT2_T3_mT4_P12ihipStream_tbEUlT_E_NS1_11comp_targetILNS1_3genE3ELNS1_11target_archE908ELNS1_3gpuE7ELNS1_3repE0EEENS1_30default_config_static_selectorELNS0_4arch9wavefront6targetE0EEEvT1_,comdat
.Lfunc_end46:
	.size	_ZN7rocprim17ROCPRIM_400000_NS6detail17trampoline_kernelINS0_14default_configENS1_25transform_config_selectorIlLb1EEEZNS1_14transform_implILb1ES3_S5_PlS7_NS0_8identityIlEEEE10hipError_tT2_T3_mT4_P12ihipStream_tbEUlT_E_NS1_11comp_targetILNS1_3genE3ELNS1_11target_archE908ELNS1_3gpuE7ELNS1_3repE0EEENS1_30default_config_static_selectorELNS0_4arch9wavefront6targetE0EEEvT1_, .Lfunc_end46-_ZN7rocprim17ROCPRIM_400000_NS6detail17trampoline_kernelINS0_14default_configENS1_25transform_config_selectorIlLb1EEEZNS1_14transform_implILb1ES3_S5_PlS7_NS0_8identityIlEEEE10hipError_tT2_T3_mT4_P12ihipStream_tbEUlT_E_NS1_11comp_targetILNS1_3genE3ELNS1_11target_archE908ELNS1_3gpuE7ELNS1_3repE0EEENS1_30default_config_static_selectorELNS0_4arch9wavefront6targetE0EEEvT1_
                                        ; -- End function
	.set _ZN7rocprim17ROCPRIM_400000_NS6detail17trampoline_kernelINS0_14default_configENS1_25transform_config_selectorIlLb1EEEZNS1_14transform_implILb1ES3_S5_PlS7_NS0_8identityIlEEEE10hipError_tT2_T3_mT4_P12ihipStream_tbEUlT_E_NS1_11comp_targetILNS1_3genE3ELNS1_11target_archE908ELNS1_3gpuE7ELNS1_3repE0EEENS1_30default_config_static_selectorELNS0_4arch9wavefront6targetE0EEEvT1_.num_vgpr, 0
	.set _ZN7rocprim17ROCPRIM_400000_NS6detail17trampoline_kernelINS0_14default_configENS1_25transform_config_selectorIlLb1EEEZNS1_14transform_implILb1ES3_S5_PlS7_NS0_8identityIlEEEE10hipError_tT2_T3_mT4_P12ihipStream_tbEUlT_E_NS1_11comp_targetILNS1_3genE3ELNS1_11target_archE908ELNS1_3gpuE7ELNS1_3repE0EEENS1_30default_config_static_selectorELNS0_4arch9wavefront6targetE0EEEvT1_.num_agpr, 0
	.set _ZN7rocprim17ROCPRIM_400000_NS6detail17trampoline_kernelINS0_14default_configENS1_25transform_config_selectorIlLb1EEEZNS1_14transform_implILb1ES3_S5_PlS7_NS0_8identityIlEEEE10hipError_tT2_T3_mT4_P12ihipStream_tbEUlT_E_NS1_11comp_targetILNS1_3genE3ELNS1_11target_archE908ELNS1_3gpuE7ELNS1_3repE0EEENS1_30default_config_static_selectorELNS0_4arch9wavefront6targetE0EEEvT1_.numbered_sgpr, 0
	.set _ZN7rocprim17ROCPRIM_400000_NS6detail17trampoline_kernelINS0_14default_configENS1_25transform_config_selectorIlLb1EEEZNS1_14transform_implILb1ES3_S5_PlS7_NS0_8identityIlEEEE10hipError_tT2_T3_mT4_P12ihipStream_tbEUlT_E_NS1_11comp_targetILNS1_3genE3ELNS1_11target_archE908ELNS1_3gpuE7ELNS1_3repE0EEENS1_30default_config_static_selectorELNS0_4arch9wavefront6targetE0EEEvT1_.num_named_barrier, 0
	.set _ZN7rocprim17ROCPRIM_400000_NS6detail17trampoline_kernelINS0_14default_configENS1_25transform_config_selectorIlLb1EEEZNS1_14transform_implILb1ES3_S5_PlS7_NS0_8identityIlEEEE10hipError_tT2_T3_mT4_P12ihipStream_tbEUlT_E_NS1_11comp_targetILNS1_3genE3ELNS1_11target_archE908ELNS1_3gpuE7ELNS1_3repE0EEENS1_30default_config_static_selectorELNS0_4arch9wavefront6targetE0EEEvT1_.private_seg_size, 0
	.set _ZN7rocprim17ROCPRIM_400000_NS6detail17trampoline_kernelINS0_14default_configENS1_25transform_config_selectorIlLb1EEEZNS1_14transform_implILb1ES3_S5_PlS7_NS0_8identityIlEEEE10hipError_tT2_T3_mT4_P12ihipStream_tbEUlT_E_NS1_11comp_targetILNS1_3genE3ELNS1_11target_archE908ELNS1_3gpuE7ELNS1_3repE0EEENS1_30default_config_static_selectorELNS0_4arch9wavefront6targetE0EEEvT1_.uses_vcc, 0
	.set _ZN7rocprim17ROCPRIM_400000_NS6detail17trampoline_kernelINS0_14default_configENS1_25transform_config_selectorIlLb1EEEZNS1_14transform_implILb1ES3_S5_PlS7_NS0_8identityIlEEEE10hipError_tT2_T3_mT4_P12ihipStream_tbEUlT_E_NS1_11comp_targetILNS1_3genE3ELNS1_11target_archE908ELNS1_3gpuE7ELNS1_3repE0EEENS1_30default_config_static_selectorELNS0_4arch9wavefront6targetE0EEEvT1_.uses_flat_scratch, 0
	.set _ZN7rocprim17ROCPRIM_400000_NS6detail17trampoline_kernelINS0_14default_configENS1_25transform_config_selectorIlLb1EEEZNS1_14transform_implILb1ES3_S5_PlS7_NS0_8identityIlEEEE10hipError_tT2_T3_mT4_P12ihipStream_tbEUlT_E_NS1_11comp_targetILNS1_3genE3ELNS1_11target_archE908ELNS1_3gpuE7ELNS1_3repE0EEENS1_30default_config_static_selectorELNS0_4arch9wavefront6targetE0EEEvT1_.has_dyn_sized_stack, 0
	.set _ZN7rocprim17ROCPRIM_400000_NS6detail17trampoline_kernelINS0_14default_configENS1_25transform_config_selectorIlLb1EEEZNS1_14transform_implILb1ES3_S5_PlS7_NS0_8identityIlEEEE10hipError_tT2_T3_mT4_P12ihipStream_tbEUlT_E_NS1_11comp_targetILNS1_3genE3ELNS1_11target_archE908ELNS1_3gpuE7ELNS1_3repE0EEENS1_30default_config_static_selectorELNS0_4arch9wavefront6targetE0EEEvT1_.has_recursion, 0
	.set _ZN7rocprim17ROCPRIM_400000_NS6detail17trampoline_kernelINS0_14default_configENS1_25transform_config_selectorIlLb1EEEZNS1_14transform_implILb1ES3_S5_PlS7_NS0_8identityIlEEEE10hipError_tT2_T3_mT4_P12ihipStream_tbEUlT_E_NS1_11comp_targetILNS1_3genE3ELNS1_11target_archE908ELNS1_3gpuE7ELNS1_3repE0EEENS1_30default_config_static_selectorELNS0_4arch9wavefront6targetE0EEEvT1_.has_indirect_call, 0
	.section	.AMDGPU.csdata,"",@progbits
; Kernel info:
; codeLenInByte = 0
; TotalNumSgprs: 0
; NumVgprs: 0
; ScratchSize: 0
; MemoryBound: 0
; FloatMode: 240
; IeeeMode: 1
; LDSByteSize: 0 bytes/workgroup (compile time only)
; SGPRBlocks: 0
; VGPRBlocks: 0
; NumSGPRsForWavesPerEU: 1
; NumVGPRsForWavesPerEU: 1
; NamedBarCnt: 0
; Occupancy: 16
; WaveLimiterHint : 0
; COMPUTE_PGM_RSRC2:SCRATCH_EN: 0
; COMPUTE_PGM_RSRC2:USER_SGPR: 2
; COMPUTE_PGM_RSRC2:TRAP_HANDLER: 0
; COMPUTE_PGM_RSRC2:TGID_X_EN: 1
; COMPUTE_PGM_RSRC2:TGID_Y_EN: 0
; COMPUTE_PGM_RSRC2:TGID_Z_EN: 0
; COMPUTE_PGM_RSRC2:TIDIG_COMP_CNT: 0
	.section	.text._ZN7rocprim17ROCPRIM_400000_NS6detail17trampoline_kernelINS0_14default_configENS1_25transform_config_selectorIlLb1EEEZNS1_14transform_implILb1ES3_S5_PlS7_NS0_8identityIlEEEE10hipError_tT2_T3_mT4_P12ihipStream_tbEUlT_E_NS1_11comp_targetILNS1_3genE2ELNS1_11target_archE906ELNS1_3gpuE6ELNS1_3repE0EEENS1_30default_config_static_selectorELNS0_4arch9wavefront6targetE0EEEvT1_,"axG",@progbits,_ZN7rocprim17ROCPRIM_400000_NS6detail17trampoline_kernelINS0_14default_configENS1_25transform_config_selectorIlLb1EEEZNS1_14transform_implILb1ES3_S5_PlS7_NS0_8identityIlEEEE10hipError_tT2_T3_mT4_P12ihipStream_tbEUlT_E_NS1_11comp_targetILNS1_3genE2ELNS1_11target_archE906ELNS1_3gpuE6ELNS1_3repE0EEENS1_30default_config_static_selectorELNS0_4arch9wavefront6targetE0EEEvT1_,comdat
	.protected	_ZN7rocprim17ROCPRIM_400000_NS6detail17trampoline_kernelINS0_14default_configENS1_25transform_config_selectorIlLb1EEEZNS1_14transform_implILb1ES3_S5_PlS7_NS0_8identityIlEEEE10hipError_tT2_T3_mT4_P12ihipStream_tbEUlT_E_NS1_11comp_targetILNS1_3genE2ELNS1_11target_archE906ELNS1_3gpuE6ELNS1_3repE0EEENS1_30default_config_static_selectorELNS0_4arch9wavefront6targetE0EEEvT1_ ; -- Begin function _ZN7rocprim17ROCPRIM_400000_NS6detail17trampoline_kernelINS0_14default_configENS1_25transform_config_selectorIlLb1EEEZNS1_14transform_implILb1ES3_S5_PlS7_NS0_8identityIlEEEE10hipError_tT2_T3_mT4_P12ihipStream_tbEUlT_E_NS1_11comp_targetILNS1_3genE2ELNS1_11target_archE906ELNS1_3gpuE6ELNS1_3repE0EEENS1_30default_config_static_selectorELNS0_4arch9wavefront6targetE0EEEvT1_
	.globl	_ZN7rocprim17ROCPRIM_400000_NS6detail17trampoline_kernelINS0_14default_configENS1_25transform_config_selectorIlLb1EEEZNS1_14transform_implILb1ES3_S5_PlS7_NS0_8identityIlEEEE10hipError_tT2_T3_mT4_P12ihipStream_tbEUlT_E_NS1_11comp_targetILNS1_3genE2ELNS1_11target_archE906ELNS1_3gpuE6ELNS1_3repE0EEENS1_30default_config_static_selectorELNS0_4arch9wavefront6targetE0EEEvT1_
	.p2align	8
	.type	_ZN7rocprim17ROCPRIM_400000_NS6detail17trampoline_kernelINS0_14default_configENS1_25transform_config_selectorIlLb1EEEZNS1_14transform_implILb1ES3_S5_PlS7_NS0_8identityIlEEEE10hipError_tT2_T3_mT4_P12ihipStream_tbEUlT_E_NS1_11comp_targetILNS1_3genE2ELNS1_11target_archE906ELNS1_3gpuE6ELNS1_3repE0EEENS1_30default_config_static_selectorELNS0_4arch9wavefront6targetE0EEEvT1_,@function
_ZN7rocprim17ROCPRIM_400000_NS6detail17trampoline_kernelINS0_14default_configENS1_25transform_config_selectorIlLb1EEEZNS1_14transform_implILb1ES3_S5_PlS7_NS0_8identityIlEEEE10hipError_tT2_T3_mT4_P12ihipStream_tbEUlT_E_NS1_11comp_targetILNS1_3genE2ELNS1_11target_archE906ELNS1_3gpuE6ELNS1_3repE0EEENS1_30default_config_static_selectorELNS0_4arch9wavefront6targetE0EEEvT1_: ; @_ZN7rocprim17ROCPRIM_400000_NS6detail17trampoline_kernelINS0_14default_configENS1_25transform_config_selectorIlLb1EEEZNS1_14transform_implILb1ES3_S5_PlS7_NS0_8identityIlEEEE10hipError_tT2_T3_mT4_P12ihipStream_tbEUlT_E_NS1_11comp_targetILNS1_3genE2ELNS1_11target_archE906ELNS1_3gpuE6ELNS1_3repE0EEENS1_30default_config_static_selectorELNS0_4arch9wavefront6targetE0EEEvT1_
; %bb.0:
	.section	.rodata,"a",@progbits
	.p2align	6, 0x0
	.amdhsa_kernel _ZN7rocprim17ROCPRIM_400000_NS6detail17trampoline_kernelINS0_14default_configENS1_25transform_config_selectorIlLb1EEEZNS1_14transform_implILb1ES3_S5_PlS7_NS0_8identityIlEEEE10hipError_tT2_T3_mT4_P12ihipStream_tbEUlT_E_NS1_11comp_targetILNS1_3genE2ELNS1_11target_archE906ELNS1_3gpuE6ELNS1_3repE0EEENS1_30default_config_static_selectorELNS0_4arch9wavefront6targetE0EEEvT1_
		.amdhsa_group_segment_fixed_size 0
		.amdhsa_private_segment_fixed_size 0
		.amdhsa_kernarg_size 40
		.amdhsa_user_sgpr_count 2
		.amdhsa_user_sgpr_dispatch_ptr 0
		.amdhsa_user_sgpr_queue_ptr 0
		.amdhsa_user_sgpr_kernarg_segment_ptr 1
		.amdhsa_user_sgpr_dispatch_id 0
		.amdhsa_user_sgpr_kernarg_preload_length 0
		.amdhsa_user_sgpr_kernarg_preload_offset 0
		.amdhsa_user_sgpr_private_segment_size 0
		.amdhsa_wavefront_size32 1
		.amdhsa_uses_dynamic_stack 0
		.amdhsa_enable_private_segment 0
		.amdhsa_system_sgpr_workgroup_id_x 1
		.amdhsa_system_sgpr_workgroup_id_y 0
		.amdhsa_system_sgpr_workgroup_id_z 0
		.amdhsa_system_sgpr_workgroup_info 0
		.amdhsa_system_vgpr_workitem_id 0
		.amdhsa_next_free_vgpr 1
		.amdhsa_next_free_sgpr 1
		.amdhsa_named_barrier_count 0
		.amdhsa_reserve_vcc 0
		.amdhsa_float_round_mode_32 0
		.amdhsa_float_round_mode_16_64 0
		.amdhsa_float_denorm_mode_32 3
		.amdhsa_float_denorm_mode_16_64 3
		.amdhsa_fp16_overflow 0
		.amdhsa_memory_ordered 1
		.amdhsa_forward_progress 1
		.amdhsa_inst_pref_size 0
		.amdhsa_round_robin_scheduling 0
		.amdhsa_exception_fp_ieee_invalid_op 0
		.amdhsa_exception_fp_denorm_src 0
		.amdhsa_exception_fp_ieee_div_zero 0
		.amdhsa_exception_fp_ieee_overflow 0
		.amdhsa_exception_fp_ieee_underflow 0
		.amdhsa_exception_fp_ieee_inexact 0
		.amdhsa_exception_int_div_zero 0
	.end_amdhsa_kernel
	.section	.text._ZN7rocprim17ROCPRIM_400000_NS6detail17trampoline_kernelINS0_14default_configENS1_25transform_config_selectorIlLb1EEEZNS1_14transform_implILb1ES3_S5_PlS7_NS0_8identityIlEEEE10hipError_tT2_T3_mT4_P12ihipStream_tbEUlT_E_NS1_11comp_targetILNS1_3genE2ELNS1_11target_archE906ELNS1_3gpuE6ELNS1_3repE0EEENS1_30default_config_static_selectorELNS0_4arch9wavefront6targetE0EEEvT1_,"axG",@progbits,_ZN7rocprim17ROCPRIM_400000_NS6detail17trampoline_kernelINS0_14default_configENS1_25transform_config_selectorIlLb1EEEZNS1_14transform_implILb1ES3_S5_PlS7_NS0_8identityIlEEEE10hipError_tT2_T3_mT4_P12ihipStream_tbEUlT_E_NS1_11comp_targetILNS1_3genE2ELNS1_11target_archE906ELNS1_3gpuE6ELNS1_3repE0EEENS1_30default_config_static_selectorELNS0_4arch9wavefront6targetE0EEEvT1_,comdat
.Lfunc_end47:
	.size	_ZN7rocprim17ROCPRIM_400000_NS6detail17trampoline_kernelINS0_14default_configENS1_25transform_config_selectorIlLb1EEEZNS1_14transform_implILb1ES3_S5_PlS7_NS0_8identityIlEEEE10hipError_tT2_T3_mT4_P12ihipStream_tbEUlT_E_NS1_11comp_targetILNS1_3genE2ELNS1_11target_archE906ELNS1_3gpuE6ELNS1_3repE0EEENS1_30default_config_static_selectorELNS0_4arch9wavefront6targetE0EEEvT1_, .Lfunc_end47-_ZN7rocprim17ROCPRIM_400000_NS6detail17trampoline_kernelINS0_14default_configENS1_25transform_config_selectorIlLb1EEEZNS1_14transform_implILb1ES3_S5_PlS7_NS0_8identityIlEEEE10hipError_tT2_T3_mT4_P12ihipStream_tbEUlT_E_NS1_11comp_targetILNS1_3genE2ELNS1_11target_archE906ELNS1_3gpuE6ELNS1_3repE0EEENS1_30default_config_static_selectorELNS0_4arch9wavefront6targetE0EEEvT1_
                                        ; -- End function
	.set _ZN7rocprim17ROCPRIM_400000_NS6detail17trampoline_kernelINS0_14default_configENS1_25transform_config_selectorIlLb1EEEZNS1_14transform_implILb1ES3_S5_PlS7_NS0_8identityIlEEEE10hipError_tT2_T3_mT4_P12ihipStream_tbEUlT_E_NS1_11comp_targetILNS1_3genE2ELNS1_11target_archE906ELNS1_3gpuE6ELNS1_3repE0EEENS1_30default_config_static_selectorELNS0_4arch9wavefront6targetE0EEEvT1_.num_vgpr, 0
	.set _ZN7rocprim17ROCPRIM_400000_NS6detail17trampoline_kernelINS0_14default_configENS1_25transform_config_selectorIlLb1EEEZNS1_14transform_implILb1ES3_S5_PlS7_NS0_8identityIlEEEE10hipError_tT2_T3_mT4_P12ihipStream_tbEUlT_E_NS1_11comp_targetILNS1_3genE2ELNS1_11target_archE906ELNS1_3gpuE6ELNS1_3repE0EEENS1_30default_config_static_selectorELNS0_4arch9wavefront6targetE0EEEvT1_.num_agpr, 0
	.set _ZN7rocprim17ROCPRIM_400000_NS6detail17trampoline_kernelINS0_14default_configENS1_25transform_config_selectorIlLb1EEEZNS1_14transform_implILb1ES3_S5_PlS7_NS0_8identityIlEEEE10hipError_tT2_T3_mT4_P12ihipStream_tbEUlT_E_NS1_11comp_targetILNS1_3genE2ELNS1_11target_archE906ELNS1_3gpuE6ELNS1_3repE0EEENS1_30default_config_static_selectorELNS0_4arch9wavefront6targetE0EEEvT1_.numbered_sgpr, 0
	.set _ZN7rocprim17ROCPRIM_400000_NS6detail17trampoline_kernelINS0_14default_configENS1_25transform_config_selectorIlLb1EEEZNS1_14transform_implILb1ES3_S5_PlS7_NS0_8identityIlEEEE10hipError_tT2_T3_mT4_P12ihipStream_tbEUlT_E_NS1_11comp_targetILNS1_3genE2ELNS1_11target_archE906ELNS1_3gpuE6ELNS1_3repE0EEENS1_30default_config_static_selectorELNS0_4arch9wavefront6targetE0EEEvT1_.num_named_barrier, 0
	.set _ZN7rocprim17ROCPRIM_400000_NS6detail17trampoline_kernelINS0_14default_configENS1_25transform_config_selectorIlLb1EEEZNS1_14transform_implILb1ES3_S5_PlS7_NS0_8identityIlEEEE10hipError_tT2_T3_mT4_P12ihipStream_tbEUlT_E_NS1_11comp_targetILNS1_3genE2ELNS1_11target_archE906ELNS1_3gpuE6ELNS1_3repE0EEENS1_30default_config_static_selectorELNS0_4arch9wavefront6targetE0EEEvT1_.private_seg_size, 0
	.set _ZN7rocprim17ROCPRIM_400000_NS6detail17trampoline_kernelINS0_14default_configENS1_25transform_config_selectorIlLb1EEEZNS1_14transform_implILb1ES3_S5_PlS7_NS0_8identityIlEEEE10hipError_tT2_T3_mT4_P12ihipStream_tbEUlT_E_NS1_11comp_targetILNS1_3genE2ELNS1_11target_archE906ELNS1_3gpuE6ELNS1_3repE0EEENS1_30default_config_static_selectorELNS0_4arch9wavefront6targetE0EEEvT1_.uses_vcc, 0
	.set _ZN7rocprim17ROCPRIM_400000_NS6detail17trampoline_kernelINS0_14default_configENS1_25transform_config_selectorIlLb1EEEZNS1_14transform_implILb1ES3_S5_PlS7_NS0_8identityIlEEEE10hipError_tT2_T3_mT4_P12ihipStream_tbEUlT_E_NS1_11comp_targetILNS1_3genE2ELNS1_11target_archE906ELNS1_3gpuE6ELNS1_3repE0EEENS1_30default_config_static_selectorELNS0_4arch9wavefront6targetE0EEEvT1_.uses_flat_scratch, 0
	.set _ZN7rocprim17ROCPRIM_400000_NS6detail17trampoline_kernelINS0_14default_configENS1_25transform_config_selectorIlLb1EEEZNS1_14transform_implILb1ES3_S5_PlS7_NS0_8identityIlEEEE10hipError_tT2_T3_mT4_P12ihipStream_tbEUlT_E_NS1_11comp_targetILNS1_3genE2ELNS1_11target_archE906ELNS1_3gpuE6ELNS1_3repE0EEENS1_30default_config_static_selectorELNS0_4arch9wavefront6targetE0EEEvT1_.has_dyn_sized_stack, 0
	.set _ZN7rocprim17ROCPRIM_400000_NS6detail17trampoline_kernelINS0_14default_configENS1_25transform_config_selectorIlLb1EEEZNS1_14transform_implILb1ES3_S5_PlS7_NS0_8identityIlEEEE10hipError_tT2_T3_mT4_P12ihipStream_tbEUlT_E_NS1_11comp_targetILNS1_3genE2ELNS1_11target_archE906ELNS1_3gpuE6ELNS1_3repE0EEENS1_30default_config_static_selectorELNS0_4arch9wavefront6targetE0EEEvT1_.has_recursion, 0
	.set _ZN7rocprim17ROCPRIM_400000_NS6detail17trampoline_kernelINS0_14default_configENS1_25transform_config_selectorIlLb1EEEZNS1_14transform_implILb1ES3_S5_PlS7_NS0_8identityIlEEEE10hipError_tT2_T3_mT4_P12ihipStream_tbEUlT_E_NS1_11comp_targetILNS1_3genE2ELNS1_11target_archE906ELNS1_3gpuE6ELNS1_3repE0EEENS1_30default_config_static_selectorELNS0_4arch9wavefront6targetE0EEEvT1_.has_indirect_call, 0
	.section	.AMDGPU.csdata,"",@progbits
; Kernel info:
; codeLenInByte = 0
; TotalNumSgprs: 0
; NumVgprs: 0
; ScratchSize: 0
; MemoryBound: 0
; FloatMode: 240
; IeeeMode: 1
; LDSByteSize: 0 bytes/workgroup (compile time only)
; SGPRBlocks: 0
; VGPRBlocks: 0
; NumSGPRsForWavesPerEU: 1
; NumVGPRsForWavesPerEU: 1
; NamedBarCnt: 0
; Occupancy: 16
; WaveLimiterHint : 0
; COMPUTE_PGM_RSRC2:SCRATCH_EN: 0
; COMPUTE_PGM_RSRC2:USER_SGPR: 2
; COMPUTE_PGM_RSRC2:TRAP_HANDLER: 0
; COMPUTE_PGM_RSRC2:TGID_X_EN: 1
; COMPUTE_PGM_RSRC2:TGID_Y_EN: 0
; COMPUTE_PGM_RSRC2:TGID_Z_EN: 0
; COMPUTE_PGM_RSRC2:TIDIG_COMP_CNT: 0
	.section	.text._ZN7rocprim17ROCPRIM_400000_NS6detail17trampoline_kernelINS0_14default_configENS1_25transform_config_selectorIlLb1EEEZNS1_14transform_implILb1ES3_S5_PlS7_NS0_8identityIlEEEE10hipError_tT2_T3_mT4_P12ihipStream_tbEUlT_E_NS1_11comp_targetILNS1_3genE9ELNS1_11target_archE1100ELNS1_3gpuE3ELNS1_3repE0EEENS1_30default_config_static_selectorELNS0_4arch9wavefront6targetE0EEEvT1_,"axG",@progbits,_ZN7rocprim17ROCPRIM_400000_NS6detail17trampoline_kernelINS0_14default_configENS1_25transform_config_selectorIlLb1EEEZNS1_14transform_implILb1ES3_S5_PlS7_NS0_8identityIlEEEE10hipError_tT2_T3_mT4_P12ihipStream_tbEUlT_E_NS1_11comp_targetILNS1_3genE9ELNS1_11target_archE1100ELNS1_3gpuE3ELNS1_3repE0EEENS1_30default_config_static_selectorELNS0_4arch9wavefront6targetE0EEEvT1_,comdat
	.protected	_ZN7rocprim17ROCPRIM_400000_NS6detail17trampoline_kernelINS0_14default_configENS1_25transform_config_selectorIlLb1EEEZNS1_14transform_implILb1ES3_S5_PlS7_NS0_8identityIlEEEE10hipError_tT2_T3_mT4_P12ihipStream_tbEUlT_E_NS1_11comp_targetILNS1_3genE9ELNS1_11target_archE1100ELNS1_3gpuE3ELNS1_3repE0EEENS1_30default_config_static_selectorELNS0_4arch9wavefront6targetE0EEEvT1_ ; -- Begin function _ZN7rocprim17ROCPRIM_400000_NS6detail17trampoline_kernelINS0_14default_configENS1_25transform_config_selectorIlLb1EEEZNS1_14transform_implILb1ES3_S5_PlS7_NS0_8identityIlEEEE10hipError_tT2_T3_mT4_P12ihipStream_tbEUlT_E_NS1_11comp_targetILNS1_3genE9ELNS1_11target_archE1100ELNS1_3gpuE3ELNS1_3repE0EEENS1_30default_config_static_selectorELNS0_4arch9wavefront6targetE0EEEvT1_
	.globl	_ZN7rocprim17ROCPRIM_400000_NS6detail17trampoline_kernelINS0_14default_configENS1_25transform_config_selectorIlLb1EEEZNS1_14transform_implILb1ES3_S5_PlS7_NS0_8identityIlEEEE10hipError_tT2_T3_mT4_P12ihipStream_tbEUlT_E_NS1_11comp_targetILNS1_3genE9ELNS1_11target_archE1100ELNS1_3gpuE3ELNS1_3repE0EEENS1_30default_config_static_selectorELNS0_4arch9wavefront6targetE0EEEvT1_
	.p2align	8
	.type	_ZN7rocprim17ROCPRIM_400000_NS6detail17trampoline_kernelINS0_14default_configENS1_25transform_config_selectorIlLb1EEEZNS1_14transform_implILb1ES3_S5_PlS7_NS0_8identityIlEEEE10hipError_tT2_T3_mT4_P12ihipStream_tbEUlT_E_NS1_11comp_targetILNS1_3genE9ELNS1_11target_archE1100ELNS1_3gpuE3ELNS1_3repE0EEENS1_30default_config_static_selectorELNS0_4arch9wavefront6targetE0EEEvT1_,@function
_ZN7rocprim17ROCPRIM_400000_NS6detail17trampoline_kernelINS0_14default_configENS1_25transform_config_selectorIlLb1EEEZNS1_14transform_implILb1ES3_S5_PlS7_NS0_8identityIlEEEE10hipError_tT2_T3_mT4_P12ihipStream_tbEUlT_E_NS1_11comp_targetILNS1_3genE9ELNS1_11target_archE1100ELNS1_3gpuE3ELNS1_3repE0EEENS1_30default_config_static_selectorELNS0_4arch9wavefront6targetE0EEEvT1_: ; @_ZN7rocprim17ROCPRIM_400000_NS6detail17trampoline_kernelINS0_14default_configENS1_25transform_config_selectorIlLb1EEEZNS1_14transform_implILb1ES3_S5_PlS7_NS0_8identityIlEEEE10hipError_tT2_T3_mT4_P12ihipStream_tbEUlT_E_NS1_11comp_targetILNS1_3genE9ELNS1_11target_archE1100ELNS1_3gpuE3ELNS1_3repE0EEENS1_30default_config_static_selectorELNS0_4arch9wavefront6targetE0EEEvT1_
; %bb.0:
	.section	.rodata,"a",@progbits
	.p2align	6, 0x0
	.amdhsa_kernel _ZN7rocprim17ROCPRIM_400000_NS6detail17trampoline_kernelINS0_14default_configENS1_25transform_config_selectorIlLb1EEEZNS1_14transform_implILb1ES3_S5_PlS7_NS0_8identityIlEEEE10hipError_tT2_T3_mT4_P12ihipStream_tbEUlT_E_NS1_11comp_targetILNS1_3genE9ELNS1_11target_archE1100ELNS1_3gpuE3ELNS1_3repE0EEENS1_30default_config_static_selectorELNS0_4arch9wavefront6targetE0EEEvT1_
		.amdhsa_group_segment_fixed_size 0
		.amdhsa_private_segment_fixed_size 0
		.amdhsa_kernarg_size 40
		.amdhsa_user_sgpr_count 2
		.amdhsa_user_sgpr_dispatch_ptr 0
		.amdhsa_user_sgpr_queue_ptr 0
		.amdhsa_user_sgpr_kernarg_segment_ptr 1
		.amdhsa_user_sgpr_dispatch_id 0
		.amdhsa_user_sgpr_kernarg_preload_length 0
		.amdhsa_user_sgpr_kernarg_preload_offset 0
		.amdhsa_user_sgpr_private_segment_size 0
		.amdhsa_wavefront_size32 1
		.amdhsa_uses_dynamic_stack 0
		.amdhsa_enable_private_segment 0
		.amdhsa_system_sgpr_workgroup_id_x 1
		.amdhsa_system_sgpr_workgroup_id_y 0
		.amdhsa_system_sgpr_workgroup_id_z 0
		.amdhsa_system_sgpr_workgroup_info 0
		.amdhsa_system_vgpr_workitem_id 0
		.amdhsa_next_free_vgpr 1
		.amdhsa_next_free_sgpr 1
		.amdhsa_named_barrier_count 0
		.amdhsa_reserve_vcc 0
		.amdhsa_float_round_mode_32 0
		.amdhsa_float_round_mode_16_64 0
		.amdhsa_float_denorm_mode_32 3
		.amdhsa_float_denorm_mode_16_64 3
		.amdhsa_fp16_overflow 0
		.amdhsa_memory_ordered 1
		.amdhsa_forward_progress 1
		.amdhsa_inst_pref_size 0
		.amdhsa_round_robin_scheduling 0
		.amdhsa_exception_fp_ieee_invalid_op 0
		.amdhsa_exception_fp_denorm_src 0
		.amdhsa_exception_fp_ieee_div_zero 0
		.amdhsa_exception_fp_ieee_overflow 0
		.amdhsa_exception_fp_ieee_underflow 0
		.amdhsa_exception_fp_ieee_inexact 0
		.amdhsa_exception_int_div_zero 0
	.end_amdhsa_kernel
	.section	.text._ZN7rocprim17ROCPRIM_400000_NS6detail17trampoline_kernelINS0_14default_configENS1_25transform_config_selectorIlLb1EEEZNS1_14transform_implILb1ES3_S5_PlS7_NS0_8identityIlEEEE10hipError_tT2_T3_mT4_P12ihipStream_tbEUlT_E_NS1_11comp_targetILNS1_3genE9ELNS1_11target_archE1100ELNS1_3gpuE3ELNS1_3repE0EEENS1_30default_config_static_selectorELNS0_4arch9wavefront6targetE0EEEvT1_,"axG",@progbits,_ZN7rocprim17ROCPRIM_400000_NS6detail17trampoline_kernelINS0_14default_configENS1_25transform_config_selectorIlLb1EEEZNS1_14transform_implILb1ES3_S5_PlS7_NS0_8identityIlEEEE10hipError_tT2_T3_mT4_P12ihipStream_tbEUlT_E_NS1_11comp_targetILNS1_3genE9ELNS1_11target_archE1100ELNS1_3gpuE3ELNS1_3repE0EEENS1_30default_config_static_selectorELNS0_4arch9wavefront6targetE0EEEvT1_,comdat
.Lfunc_end48:
	.size	_ZN7rocprim17ROCPRIM_400000_NS6detail17trampoline_kernelINS0_14default_configENS1_25transform_config_selectorIlLb1EEEZNS1_14transform_implILb1ES3_S5_PlS7_NS0_8identityIlEEEE10hipError_tT2_T3_mT4_P12ihipStream_tbEUlT_E_NS1_11comp_targetILNS1_3genE9ELNS1_11target_archE1100ELNS1_3gpuE3ELNS1_3repE0EEENS1_30default_config_static_selectorELNS0_4arch9wavefront6targetE0EEEvT1_, .Lfunc_end48-_ZN7rocprim17ROCPRIM_400000_NS6detail17trampoline_kernelINS0_14default_configENS1_25transform_config_selectorIlLb1EEEZNS1_14transform_implILb1ES3_S5_PlS7_NS0_8identityIlEEEE10hipError_tT2_T3_mT4_P12ihipStream_tbEUlT_E_NS1_11comp_targetILNS1_3genE9ELNS1_11target_archE1100ELNS1_3gpuE3ELNS1_3repE0EEENS1_30default_config_static_selectorELNS0_4arch9wavefront6targetE0EEEvT1_
                                        ; -- End function
	.set _ZN7rocprim17ROCPRIM_400000_NS6detail17trampoline_kernelINS0_14default_configENS1_25transform_config_selectorIlLb1EEEZNS1_14transform_implILb1ES3_S5_PlS7_NS0_8identityIlEEEE10hipError_tT2_T3_mT4_P12ihipStream_tbEUlT_E_NS1_11comp_targetILNS1_3genE9ELNS1_11target_archE1100ELNS1_3gpuE3ELNS1_3repE0EEENS1_30default_config_static_selectorELNS0_4arch9wavefront6targetE0EEEvT1_.num_vgpr, 0
	.set _ZN7rocprim17ROCPRIM_400000_NS6detail17trampoline_kernelINS0_14default_configENS1_25transform_config_selectorIlLb1EEEZNS1_14transform_implILb1ES3_S5_PlS7_NS0_8identityIlEEEE10hipError_tT2_T3_mT4_P12ihipStream_tbEUlT_E_NS1_11comp_targetILNS1_3genE9ELNS1_11target_archE1100ELNS1_3gpuE3ELNS1_3repE0EEENS1_30default_config_static_selectorELNS0_4arch9wavefront6targetE0EEEvT1_.num_agpr, 0
	.set _ZN7rocprim17ROCPRIM_400000_NS6detail17trampoline_kernelINS0_14default_configENS1_25transform_config_selectorIlLb1EEEZNS1_14transform_implILb1ES3_S5_PlS7_NS0_8identityIlEEEE10hipError_tT2_T3_mT4_P12ihipStream_tbEUlT_E_NS1_11comp_targetILNS1_3genE9ELNS1_11target_archE1100ELNS1_3gpuE3ELNS1_3repE0EEENS1_30default_config_static_selectorELNS0_4arch9wavefront6targetE0EEEvT1_.numbered_sgpr, 0
	.set _ZN7rocprim17ROCPRIM_400000_NS6detail17trampoline_kernelINS0_14default_configENS1_25transform_config_selectorIlLb1EEEZNS1_14transform_implILb1ES3_S5_PlS7_NS0_8identityIlEEEE10hipError_tT2_T3_mT4_P12ihipStream_tbEUlT_E_NS1_11comp_targetILNS1_3genE9ELNS1_11target_archE1100ELNS1_3gpuE3ELNS1_3repE0EEENS1_30default_config_static_selectorELNS0_4arch9wavefront6targetE0EEEvT1_.num_named_barrier, 0
	.set _ZN7rocprim17ROCPRIM_400000_NS6detail17trampoline_kernelINS0_14default_configENS1_25transform_config_selectorIlLb1EEEZNS1_14transform_implILb1ES3_S5_PlS7_NS0_8identityIlEEEE10hipError_tT2_T3_mT4_P12ihipStream_tbEUlT_E_NS1_11comp_targetILNS1_3genE9ELNS1_11target_archE1100ELNS1_3gpuE3ELNS1_3repE0EEENS1_30default_config_static_selectorELNS0_4arch9wavefront6targetE0EEEvT1_.private_seg_size, 0
	.set _ZN7rocprim17ROCPRIM_400000_NS6detail17trampoline_kernelINS0_14default_configENS1_25transform_config_selectorIlLb1EEEZNS1_14transform_implILb1ES3_S5_PlS7_NS0_8identityIlEEEE10hipError_tT2_T3_mT4_P12ihipStream_tbEUlT_E_NS1_11comp_targetILNS1_3genE9ELNS1_11target_archE1100ELNS1_3gpuE3ELNS1_3repE0EEENS1_30default_config_static_selectorELNS0_4arch9wavefront6targetE0EEEvT1_.uses_vcc, 0
	.set _ZN7rocprim17ROCPRIM_400000_NS6detail17trampoline_kernelINS0_14default_configENS1_25transform_config_selectorIlLb1EEEZNS1_14transform_implILb1ES3_S5_PlS7_NS0_8identityIlEEEE10hipError_tT2_T3_mT4_P12ihipStream_tbEUlT_E_NS1_11comp_targetILNS1_3genE9ELNS1_11target_archE1100ELNS1_3gpuE3ELNS1_3repE0EEENS1_30default_config_static_selectorELNS0_4arch9wavefront6targetE0EEEvT1_.uses_flat_scratch, 0
	.set _ZN7rocprim17ROCPRIM_400000_NS6detail17trampoline_kernelINS0_14default_configENS1_25transform_config_selectorIlLb1EEEZNS1_14transform_implILb1ES3_S5_PlS7_NS0_8identityIlEEEE10hipError_tT2_T3_mT4_P12ihipStream_tbEUlT_E_NS1_11comp_targetILNS1_3genE9ELNS1_11target_archE1100ELNS1_3gpuE3ELNS1_3repE0EEENS1_30default_config_static_selectorELNS0_4arch9wavefront6targetE0EEEvT1_.has_dyn_sized_stack, 0
	.set _ZN7rocprim17ROCPRIM_400000_NS6detail17trampoline_kernelINS0_14default_configENS1_25transform_config_selectorIlLb1EEEZNS1_14transform_implILb1ES3_S5_PlS7_NS0_8identityIlEEEE10hipError_tT2_T3_mT4_P12ihipStream_tbEUlT_E_NS1_11comp_targetILNS1_3genE9ELNS1_11target_archE1100ELNS1_3gpuE3ELNS1_3repE0EEENS1_30default_config_static_selectorELNS0_4arch9wavefront6targetE0EEEvT1_.has_recursion, 0
	.set _ZN7rocprim17ROCPRIM_400000_NS6detail17trampoline_kernelINS0_14default_configENS1_25transform_config_selectorIlLb1EEEZNS1_14transform_implILb1ES3_S5_PlS7_NS0_8identityIlEEEE10hipError_tT2_T3_mT4_P12ihipStream_tbEUlT_E_NS1_11comp_targetILNS1_3genE9ELNS1_11target_archE1100ELNS1_3gpuE3ELNS1_3repE0EEENS1_30default_config_static_selectorELNS0_4arch9wavefront6targetE0EEEvT1_.has_indirect_call, 0
	.section	.AMDGPU.csdata,"",@progbits
; Kernel info:
; codeLenInByte = 0
; TotalNumSgprs: 0
; NumVgprs: 0
; ScratchSize: 0
; MemoryBound: 0
; FloatMode: 240
; IeeeMode: 1
; LDSByteSize: 0 bytes/workgroup (compile time only)
; SGPRBlocks: 0
; VGPRBlocks: 0
; NumSGPRsForWavesPerEU: 1
; NumVGPRsForWavesPerEU: 1
; NamedBarCnt: 0
; Occupancy: 16
; WaveLimiterHint : 0
; COMPUTE_PGM_RSRC2:SCRATCH_EN: 0
; COMPUTE_PGM_RSRC2:USER_SGPR: 2
; COMPUTE_PGM_RSRC2:TRAP_HANDLER: 0
; COMPUTE_PGM_RSRC2:TGID_X_EN: 1
; COMPUTE_PGM_RSRC2:TGID_Y_EN: 0
; COMPUTE_PGM_RSRC2:TGID_Z_EN: 0
; COMPUTE_PGM_RSRC2:TIDIG_COMP_CNT: 0
	.section	.text._ZN7rocprim17ROCPRIM_400000_NS6detail17trampoline_kernelINS0_14default_configENS1_25transform_config_selectorIlLb1EEEZNS1_14transform_implILb1ES3_S5_PlS7_NS0_8identityIlEEEE10hipError_tT2_T3_mT4_P12ihipStream_tbEUlT_E_NS1_11comp_targetILNS1_3genE8ELNS1_11target_archE1030ELNS1_3gpuE2ELNS1_3repE0EEENS1_30default_config_static_selectorELNS0_4arch9wavefront6targetE0EEEvT1_,"axG",@progbits,_ZN7rocprim17ROCPRIM_400000_NS6detail17trampoline_kernelINS0_14default_configENS1_25transform_config_selectorIlLb1EEEZNS1_14transform_implILb1ES3_S5_PlS7_NS0_8identityIlEEEE10hipError_tT2_T3_mT4_P12ihipStream_tbEUlT_E_NS1_11comp_targetILNS1_3genE8ELNS1_11target_archE1030ELNS1_3gpuE2ELNS1_3repE0EEENS1_30default_config_static_selectorELNS0_4arch9wavefront6targetE0EEEvT1_,comdat
	.protected	_ZN7rocprim17ROCPRIM_400000_NS6detail17trampoline_kernelINS0_14default_configENS1_25transform_config_selectorIlLb1EEEZNS1_14transform_implILb1ES3_S5_PlS7_NS0_8identityIlEEEE10hipError_tT2_T3_mT4_P12ihipStream_tbEUlT_E_NS1_11comp_targetILNS1_3genE8ELNS1_11target_archE1030ELNS1_3gpuE2ELNS1_3repE0EEENS1_30default_config_static_selectorELNS0_4arch9wavefront6targetE0EEEvT1_ ; -- Begin function _ZN7rocprim17ROCPRIM_400000_NS6detail17trampoline_kernelINS0_14default_configENS1_25transform_config_selectorIlLb1EEEZNS1_14transform_implILb1ES3_S5_PlS7_NS0_8identityIlEEEE10hipError_tT2_T3_mT4_P12ihipStream_tbEUlT_E_NS1_11comp_targetILNS1_3genE8ELNS1_11target_archE1030ELNS1_3gpuE2ELNS1_3repE0EEENS1_30default_config_static_selectorELNS0_4arch9wavefront6targetE0EEEvT1_
	.globl	_ZN7rocprim17ROCPRIM_400000_NS6detail17trampoline_kernelINS0_14default_configENS1_25transform_config_selectorIlLb1EEEZNS1_14transform_implILb1ES3_S5_PlS7_NS0_8identityIlEEEE10hipError_tT2_T3_mT4_P12ihipStream_tbEUlT_E_NS1_11comp_targetILNS1_3genE8ELNS1_11target_archE1030ELNS1_3gpuE2ELNS1_3repE0EEENS1_30default_config_static_selectorELNS0_4arch9wavefront6targetE0EEEvT1_
	.p2align	8
	.type	_ZN7rocprim17ROCPRIM_400000_NS6detail17trampoline_kernelINS0_14default_configENS1_25transform_config_selectorIlLb1EEEZNS1_14transform_implILb1ES3_S5_PlS7_NS0_8identityIlEEEE10hipError_tT2_T3_mT4_P12ihipStream_tbEUlT_E_NS1_11comp_targetILNS1_3genE8ELNS1_11target_archE1030ELNS1_3gpuE2ELNS1_3repE0EEENS1_30default_config_static_selectorELNS0_4arch9wavefront6targetE0EEEvT1_,@function
_ZN7rocprim17ROCPRIM_400000_NS6detail17trampoline_kernelINS0_14default_configENS1_25transform_config_selectorIlLb1EEEZNS1_14transform_implILb1ES3_S5_PlS7_NS0_8identityIlEEEE10hipError_tT2_T3_mT4_P12ihipStream_tbEUlT_E_NS1_11comp_targetILNS1_3genE8ELNS1_11target_archE1030ELNS1_3gpuE2ELNS1_3repE0EEENS1_30default_config_static_selectorELNS0_4arch9wavefront6targetE0EEEvT1_: ; @_ZN7rocprim17ROCPRIM_400000_NS6detail17trampoline_kernelINS0_14default_configENS1_25transform_config_selectorIlLb1EEEZNS1_14transform_implILb1ES3_S5_PlS7_NS0_8identityIlEEEE10hipError_tT2_T3_mT4_P12ihipStream_tbEUlT_E_NS1_11comp_targetILNS1_3genE8ELNS1_11target_archE1030ELNS1_3gpuE2ELNS1_3repE0EEENS1_30default_config_static_selectorELNS0_4arch9wavefront6targetE0EEEvT1_
; %bb.0:
	.section	.rodata,"a",@progbits
	.p2align	6, 0x0
	.amdhsa_kernel _ZN7rocprim17ROCPRIM_400000_NS6detail17trampoline_kernelINS0_14default_configENS1_25transform_config_selectorIlLb1EEEZNS1_14transform_implILb1ES3_S5_PlS7_NS0_8identityIlEEEE10hipError_tT2_T3_mT4_P12ihipStream_tbEUlT_E_NS1_11comp_targetILNS1_3genE8ELNS1_11target_archE1030ELNS1_3gpuE2ELNS1_3repE0EEENS1_30default_config_static_selectorELNS0_4arch9wavefront6targetE0EEEvT1_
		.amdhsa_group_segment_fixed_size 0
		.amdhsa_private_segment_fixed_size 0
		.amdhsa_kernarg_size 40
		.amdhsa_user_sgpr_count 2
		.amdhsa_user_sgpr_dispatch_ptr 0
		.amdhsa_user_sgpr_queue_ptr 0
		.amdhsa_user_sgpr_kernarg_segment_ptr 1
		.amdhsa_user_sgpr_dispatch_id 0
		.amdhsa_user_sgpr_kernarg_preload_length 0
		.amdhsa_user_sgpr_kernarg_preload_offset 0
		.amdhsa_user_sgpr_private_segment_size 0
		.amdhsa_wavefront_size32 1
		.amdhsa_uses_dynamic_stack 0
		.amdhsa_enable_private_segment 0
		.amdhsa_system_sgpr_workgroup_id_x 1
		.amdhsa_system_sgpr_workgroup_id_y 0
		.amdhsa_system_sgpr_workgroup_id_z 0
		.amdhsa_system_sgpr_workgroup_info 0
		.amdhsa_system_vgpr_workitem_id 0
		.amdhsa_next_free_vgpr 1
		.amdhsa_next_free_sgpr 1
		.amdhsa_named_barrier_count 0
		.amdhsa_reserve_vcc 0
		.amdhsa_float_round_mode_32 0
		.amdhsa_float_round_mode_16_64 0
		.amdhsa_float_denorm_mode_32 3
		.amdhsa_float_denorm_mode_16_64 3
		.amdhsa_fp16_overflow 0
		.amdhsa_memory_ordered 1
		.amdhsa_forward_progress 1
		.amdhsa_inst_pref_size 0
		.amdhsa_round_robin_scheduling 0
		.amdhsa_exception_fp_ieee_invalid_op 0
		.amdhsa_exception_fp_denorm_src 0
		.amdhsa_exception_fp_ieee_div_zero 0
		.amdhsa_exception_fp_ieee_overflow 0
		.amdhsa_exception_fp_ieee_underflow 0
		.amdhsa_exception_fp_ieee_inexact 0
		.amdhsa_exception_int_div_zero 0
	.end_amdhsa_kernel
	.section	.text._ZN7rocprim17ROCPRIM_400000_NS6detail17trampoline_kernelINS0_14default_configENS1_25transform_config_selectorIlLb1EEEZNS1_14transform_implILb1ES3_S5_PlS7_NS0_8identityIlEEEE10hipError_tT2_T3_mT4_P12ihipStream_tbEUlT_E_NS1_11comp_targetILNS1_3genE8ELNS1_11target_archE1030ELNS1_3gpuE2ELNS1_3repE0EEENS1_30default_config_static_selectorELNS0_4arch9wavefront6targetE0EEEvT1_,"axG",@progbits,_ZN7rocprim17ROCPRIM_400000_NS6detail17trampoline_kernelINS0_14default_configENS1_25transform_config_selectorIlLb1EEEZNS1_14transform_implILb1ES3_S5_PlS7_NS0_8identityIlEEEE10hipError_tT2_T3_mT4_P12ihipStream_tbEUlT_E_NS1_11comp_targetILNS1_3genE8ELNS1_11target_archE1030ELNS1_3gpuE2ELNS1_3repE0EEENS1_30default_config_static_selectorELNS0_4arch9wavefront6targetE0EEEvT1_,comdat
.Lfunc_end49:
	.size	_ZN7rocprim17ROCPRIM_400000_NS6detail17trampoline_kernelINS0_14default_configENS1_25transform_config_selectorIlLb1EEEZNS1_14transform_implILb1ES3_S5_PlS7_NS0_8identityIlEEEE10hipError_tT2_T3_mT4_P12ihipStream_tbEUlT_E_NS1_11comp_targetILNS1_3genE8ELNS1_11target_archE1030ELNS1_3gpuE2ELNS1_3repE0EEENS1_30default_config_static_selectorELNS0_4arch9wavefront6targetE0EEEvT1_, .Lfunc_end49-_ZN7rocprim17ROCPRIM_400000_NS6detail17trampoline_kernelINS0_14default_configENS1_25transform_config_selectorIlLb1EEEZNS1_14transform_implILb1ES3_S5_PlS7_NS0_8identityIlEEEE10hipError_tT2_T3_mT4_P12ihipStream_tbEUlT_E_NS1_11comp_targetILNS1_3genE8ELNS1_11target_archE1030ELNS1_3gpuE2ELNS1_3repE0EEENS1_30default_config_static_selectorELNS0_4arch9wavefront6targetE0EEEvT1_
                                        ; -- End function
	.set _ZN7rocprim17ROCPRIM_400000_NS6detail17trampoline_kernelINS0_14default_configENS1_25transform_config_selectorIlLb1EEEZNS1_14transform_implILb1ES3_S5_PlS7_NS0_8identityIlEEEE10hipError_tT2_T3_mT4_P12ihipStream_tbEUlT_E_NS1_11comp_targetILNS1_3genE8ELNS1_11target_archE1030ELNS1_3gpuE2ELNS1_3repE0EEENS1_30default_config_static_selectorELNS0_4arch9wavefront6targetE0EEEvT1_.num_vgpr, 0
	.set _ZN7rocprim17ROCPRIM_400000_NS6detail17trampoline_kernelINS0_14default_configENS1_25transform_config_selectorIlLb1EEEZNS1_14transform_implILb1ES3_S5_PlS7_NS0_8identityIlEEEE10hipError_tT2_T3_mT4_P12ihipStream_tbEUlT_E_NS1_11comp_targetILNS1_3genE8ELNS1_11target_archE1030ELNS1_3gpuE2ELNS1_3repE0EEENS1_30default_config_static_selectorELNS0_4arch9wavefront6targetE0EEEvT1_.num_agpr, 0
	.set _ZN7rocprim17ROCPRIM_400000_NS6detail17trampoline_kernelINS0_14default_configENS1_25transform_config_selectorIlLb1EEEZNS1_14transform_implILb1ES3_S5_PlS7_NS0_8identityIlEEEE10hipError_tT2_T3_mT4_P12ihipStream_tbEUlT_E_NS1_11comp_targetILNS1_3genE8ELNS1_11target_archE1030ELNS1_3gpuE2ELNS1_3repE0EEENS1_30default_config_static_selectorELNS0_4arch9wavefront6targetE0EEEvT1_.numbered_sgpr, 0
	.set _ZN7rocprim17ROCPRIM_400000_NS6detail17trampoline_kernelINS0_14default_configENS1_25transform_config_selectorIlLb1EEEZNS1_14transform_implILb1ES3_S5_PlS7_NS0_8identityIlEEEE10hipError_tT2_T3_mT4_P12ihipStream_tbEUlT_E_NS1_11comp_targetILNS1_3genE8ELNS1_11target_archE1030ELNS1_3gpuE2ELNS1_3repE0EEENS1_30default_config_static_selectorELNS0_4arch9wavefront6targetE0EEEvT1_.num_named_barrier, 0
	.set _ZN7rocprim17ROCPRIM_400000_NS6detail17trampoline_kernelINS0_14default_configENS1_25transform_config_selectorIlLb1EEEZNS1_14transform_implILb1ES3_S5_PlS7_NS0_8identityIlEEEE10hipError_tT2_T3_mT4_P12ihipStream_tbEUlT_E_NS1_11comp_targetILNS1_3genE8ELNS1_11target_archE1030ELNS1_3gpuE2ELNS1_3repE0EEENS1_30default_config_static_selectorELNS0_4arch9wavefront6targetE0EEEvT1_.private_seg_size, 0
	.set _ZN7rocprim17ROCPRIM_400000_NS6detail17trampoline_kernelINS0_14default_configENS1_25transform_config_selectorIlLb1EEEZNS1_14transform_implILb1ES3_S5_PlS7_NS0_8identityIlEEEE10hipError_tT2_T3_mT4_P12ihipStream_tbEUlT_E_NS1_11comp_targetILNS1_3genE8ELNS1_11target_archE1030ELNS1_3gpuE2ELNS1_3repE0EEENS1_30default_config_static_selectorELNS0_4arch9wavefront6targetE0EEEvT1_.uses_vcc, 0
	.set _ZN7rocprim17ROCPRIM_400000_NS6detail17trampoline_kernelINS0_14default_configENS1_25transform_config_selectorIlLb1EEEZNS1_14transform_implILb1ES3_S5_PlS7_NS0_8identityIlEEEE10hipError_tT2_T3_mT4_P12ihipStream_tbEUlT_E_NS1_11comp_targetILNS1_3genE8ELNS1_11target_archE1030ELNS1_3gpuE2ELNS1_3repE0EEENS1_30default_config_static_selectorELNS0_4arch9wavefront6targetE0EEEvT1_.uses_flat_scratch, 0
	.set _ZN7rocprim17ROCPRIM_400000_NS6detail17trampoline_kernelINS0_14default_configENS1_25transform_config_selectorIlLb1EEEZNS1_14transform_implILb1ES3_S5_PlS7_NS0_8identityIlEEEE10hipError_tT2_T3_mT4_P12ihipStream_tbEUlT_E_NS1_11comp_targetILNS1_3genE8ELNS1_11target_archE1030ELNS1_3gpuE2ELNS1_3repE0EEENS1_30default_config_static_selectorELNS0_4arch9wavefront6targetE0EEEvT1_.has_dyn_sized_stack, 0
	.set _ZN7rocprim17ROCPRIM_400000_NS6detail17trampoline_kernelINS0_14default_configENS1_25transform_config_selectorIlLb1EEEZNS1_14transform_implILb1ES3_S5_PlS7_NS0_8identityIlEEEE10hipError_tT2_T3_mT4_P12ihipStream_tbEUlT_E_NS1_11comp_targetILNS1_3genE8ELNS1_11target_archE1030ELNS1_3gpuE2ELNS1_3repE0EEENS1_30default_config_static_selectorELNS0_4arch9wavefront6targetE0EEEvT1_.has_recursion, 0
	.set _ZN7rocprim17ROCPRIM_400000_NS6detail17trampoline_kernelINS0_14default_configENS1_25transform_config_selectorIlLb1EEEZNS1_14transform_implILb1ES3_S5_PlS7_NS0_8identityIlEEEE10hipError_tT2_T3_mT4_P12ihipStream_tbEUlT_E_NS1_11comp_targetILNS1_3genE8ELNS1_11target_archE1030ELNS1_3gpuE2ELNS1_3repE0EEENS1_30default_config_static_selectorELNS0_4arch9wavefront6targetE0EEEvT1_.has_indirect_call, 0
	.section	.AMDGPU.csdata,"",@progbits
; Kernel info:
; codeLenInByte = 0
; TotalNumSgprs: 0
; NumVgprs: 0
; ScratchSize: 0
; MemoryBound: 0
; FloatMode: 240
; IeeeMode: 1
; LDSByteSize: 0 bytes/workgroup (compile time only)
; SGPRBlocks: 0
; VGPRBlocks: 0
; NumSGPRsForWavesPerEU: 1
; NumVGPRsForWavesPerEU: 1
; NamedBarCnt: 0
; Occupancy: 16
; WaveLimiterHint : 0
; COMPUTE_PGM_RSRC2:SCRATCH_EN: 0
; COMPUTE_PGM_RSRC2:USER_SGPR: 2
; COMPUTE_PGM_RSRC2:TRAP_HANDLER: 0
; COMPUTE_PGM_RSRC2:TGID_X_EN: 1
; COMPUTE_PGM_RSRC2:TGID_Y_EN: 0
; COMPUTE_PGM_RSRC2:TGID_Z_EN: 0
; COMPUTE_PGM_RSRC2:TIDIG_COMP_CNT: 0
	.section	.text._ZN7rocprim17ROCPRIM_400000_NS6detail17trampoline_kernelINS0_14default_configENS1_25transform_config_selectorINS0_10empty_typeELb1EEEZNS1_14transform_implILb1ES3_S6_PS5_S8_NS0_8identityIS5_EEEE10hipError_tT2_T3_mT4_P12ihipStream_tbEUlT_E_NS1_11comp_targetILNS1_3genE0ELNS1_11target_archE4294967295ELNS1_3gpuE0ELNS1_3repE0EEENS1_30default_config_static_selectorELNS0_4arch9wavefront6targetE0EEEvT1_,"axG",@progbits,_ZN7rocprim17ROCPRIM_400000_NS6detail17trampoline_kernelINS0_14default_configENS1_25transform_config_selectorINS0_10empty_typeELb1EEEZNS1_14transform_implILb1ES3_S6_PS5_S8_NS0_8identityIS5_EEEE10hipError_tT2_T3_mT4_P12ihipStream_tbEUlT_E_NS1_11comp_targetILNS1_3genE0ELNS1_11target_archE4294967295ELNS1_3gpuE0ELNS1_3repE0EEENS1_30default_config_static_selectorELNS0_4arch9wavefront6targetE0EEEvT1_,comdat
	.protected	_ZN7rocprim17ROCPRIM_400000_NS6detail17trampoline_kernelINS0_14default_configENS1_25transform_config_selectorINS0_10empty_typeELb1EEEZNS1_14transform_implILb1ES3_S6_PS5_S8_NS0_8identityIS5_EEEE10hipError_tT2_T3_mT4_P12ihipStream_tbEUlT_E_NS1_11comp_targetILNS1_3genE0ELNS1_11target_archE4294967295ELNS1_3gpuE0ELNS1_3repE0EEENS1_30default_config_static_selectorELNS0_4arch9wavefront6targetE0EEEvT1_ ; -- Begin function _ZN7rocprim17ROCPRIM_400000_NS6detail17trampoline_kernelINS0_14default_configENS1_25transform_config_selectorINS0_10empty_typeELb1EEEZNS1_14transform_implILb1ES3_S6_PS5_S8_NS0_8identityIS5_EEEE10hipError_tT2_T3_mT4_P12ihipStream_tbEUlT_E_NS1_11comp_targetILNS1_3genE0ELNS1_11target_archE4294967295ELNS1_3gpuE0ELNS1_3repE0EEENS1_30default_config_static_selectorELNS0_4arch9wavefront6targetE0EEEvT1_
	.globl	_ZN7rocprim17ROCPRIM_400000_NS6detail17trampoline_kernelINS0_14default_configENS1_25transform_config_selectorINS0_10empty_typeELb1EEEZNS1_14transform_implILb1ES3_S6_PS5_S8_NS0_8identityIS5_EEEE10hipError_tT2_T3_mT4_P12ihipStream_tbEUlT_E_NS1_11comp_targetILNS1_3genE0ELNS1_11target_archE4294967295ELNS1_3gpuE0ELNS1_3repE0EEENS1_30default_config_static_selectorELNS0_4arch9wavefront6targetE0EEEvT1_
	.p2align	8
	.type	_ZN7rocprim17ROCPRIM_400000_NS6detail17trampoline_kernelINS0_14default_configENS1_25transform_config_selectorINS0_10empty_typeELb1EEEZNS1_14transform_implILb1ES3_S6_PS5_S8_NS0_8identityIS5_EEEE10hipError_tT2_T3_mT4_P12ihipStream_tbEUlT_E_NS1_11comp_targetILNS1_3genE0ELNS1_11target_archE4294967295ELNS1_3gpuE0ELNS1_3repE0EEENS1_30default_config_static_selectorELNS0_4arch9wavefront6targetE0EEEvT1_,@function
_ZN7rocprim17ROCPRIM_400000_NS6detail17trampoline_kernelINS0_14default_configENS1_25transform_config_selectorINS0_10empty_typeELb1EEEZNS1_14transform_implILb1ES3_S6_PS5_S8_NS0_8identityIS5_EEEE10hipError_tT2_T3_mT4_P12ihipStream_tbEUlT_E_NS1_11comp_targetILNS1_3genE0ELNS1_11target_archE4294967295ELNS1_3gpuE0ELNS1_3repE0EEENS1_30default_config_static_selectorELNS0_4arch9wavefront6targetE0EEEvT1_: ; @_ZN7rocprim17ROCPRIM_400000_NS6detail17trampoline_kernelINS0_14default_configENS1_25transform_config_selectorINS0_10empty_typeELb1EEEZNS1_14transform_implILb1ES3_S6_PS5_S8_NS0_8identityIS5_EEEE10hipError_tT2_T3_mT4_P12ihipStream_tbEUlT_E_NS1_11comp_targetILNS1_3genE0ELNS1_11target_archE4294967295ELNS1_3gpuE0ELNS1_3repE0EEENS1_30default_config_static_selectorELNS0_4arch9wavefront6targetE0EEEvT1_
; %bb.0:
	s_endpgm
	.section	.rodata,"a",@progbits
	.p2align	6, 0x0
	.amdhsa_kernel _ZN7rocprim17ROCPRIM_400000_NS6detail17trampoline_kernelINS0_14default_configENS1_25transform_config_selectorINS0_10empty_typeELb1EEEZNS1_14transform_implILb1ES3_S6_PS5_S8_NS0_8identityIS5_EEEE10hipError_tT2_T3_mT4_P12ihipStream_tbEUlT_E_NS1_11comp_targetILNS1_3genE0ELNS1_11target_archE4294967295ELNS1_3gpuE0ELNS1_3repE0EEENS1_30default_config_static_selectorELNS0_4arch9wavefront6targetE0EEEvT1_
		.amdhsa_group_segment_fixed_size 0
		.amdhsa_private_segment_fixed_size 0
		.amdhsa_kernarg_size 40
		.amdhsa_user_sgpr_count 2
		.amdhsa_user_sgpr_dispatch_ptr 0
		.amdhsa_user_sgpr_queue_ptr 0
		.amdhsa_user_sgpr_kernarg_segment_ptr 1
		.amdhsa_user_sgpr_dispatch_id 0
		.amdhsa_user_sgpr_kernarg_preload_length 0
		.amdhsa_user_sgpr_kernarg_preload_offset 0
		.amdhsa_user_sgpr_private_segment_size 0
		.amdhsa_wavefront_size32 1
		.amdhsa_uses_dynamic_stack 0
		.amdhsa_enable_private_segment 0
		.amdhsa_system_sgpr_workgroup_id_x 1
		.amdhsa_system_sgpr_workgroup_id_y 0
		.amdhsa_system_sgpr_workgroup_id_z 0
		.amdhsa_system_sgpr_workgroup_info 0
		.amdhsa_system_vgpr_workitem_id 0
		.amdhsa_next_free_vgpr 1
		.amdhsa_next_free_sgpr 1
		.amdhsa_named_barrier_count 0
		.amdhsa_reserve_vcc 0
		.amdhsa_float_round_mode_32 0
		.amdhsa_float_round_mode_16_64 0
		.amdhsa_float_denorm_mode_32 3
		.amdhsa_float_denorm_mode_16_64 3
		.amdhsa_fp16_overflow 0
		.amdhsa_memory_ordered 1
		.amdhsa_forward_progress 1
		.amdhsa_inst_pref_size 1
		.amdhsa_round_robin_scheduling 0
		.amdhsa_exception_fp_ieee_invalid_op 0
		.amdhsa_exception_fp_denorm_src 0
		.amdhsa_exception_fp_ieee_div_zero 0
		.amdhsa_exception_fp_ieee_overflow 0
		.amdhsa_exception_fp_ieee_underflow 0
		.amdhsa_exception_fp_ieee_inexact 0
		.amdhsa_exception_int_div_zero 0
	.end_amdhsa_kernel
	.section	.text._ZN7rocprim17ROCPRIM_400000_NS6detail17trampoline_kernelINS0_14default_configENS1_25transform_config_selectorINS0_10empty_typeELb1EEEZNS1_14transform_implILb1ES3_S6_PS5_S8_NS0_8identityIS5_EEEE10hipError_tT2_T3_mT4_P12ihipStream_tbEUlT_E_NS1_11comp_targetILNS1_3genE0ELNS1_11target_archE4294967295ELNS1_3gpuE0ELNS1_3repE0EEENS1_30default_config_static_selectorELNS0_4arch9wavefront6targetE0EEEvT1_,"axG",@progbits,_ZN7rocprim17ROCPRIM_400000_NS6detail17trampoline_kernelINS0_14default_configENS1_25transform_config_selectorINS0_10empty_typeELb1EEEZNS1_14transform_implILb1ES3_S6_PS5_S8_NS0_8identityIS5_EEEE10hipError_tT2_T3_mT4_P12ihipStream_tbEUlT_E_NS1_11comp_targetILNS1_3genE0ELNS1_11target_archE4294967295ELNS1_3gpuE0ELNS1_3repE0EEENS1_30default_config_static_selectorELNS0_4arch9wavefront6targetE0EEEvT1_,comdat
.Lfunc_end50:
	.size	_ZN7rocprim17ROCPRIM_400000_NS6detail17trampoline_kernelINS0_14default_configENS1_25transform_config_selectorINS0_10empty_typeELb1EEEZNS1_14transform_implILb1ES3_S6_PS5_S8_NS0_8identityIS5_EEEE10hipError_tT2_T3_mT4_P12ihipStream_tbEUlT_E_NS1_11comp_targetILNS1_3genE0ELNS1_11target_archE4294967295ELNS1_3gpuE0ELNS1_3repE0EEENS1_30default_config_static_selectorELNS0_4arch9wavefront6targetE0EEEvT1_, .Lfunc_end50-_ZN7rocprim17ROCPRIM_400000_NS6detail17trampoline_kernelINS0_14default_configENS1_25transform_config_selectorINS0_10empty_typeELb1EEEZNS1_14transform_implILb1ES3_S6_PS5_S8_NS0_8identityIS5_EEEE10hipError_tT2_T3_mT4_P12ihipStream_tbEUlT_E_NS1_11comp_targetILNS1_3genE0ELNS1_11target_archE4294967295ELNS1_3gpuE0ELNS1_3repE0EEENS1_30default_config_static_selectorELNS0_4arch9wavefront6targetE0EEEvT1_
                                        ; -- End function
	.set _ZN7rocprim17ROCPRIM_400000_NS6detail17trampoline_kernelINS0_14default_configENS1_25transform_config_selectorINS0_10empty_typeELb1EEEZNS1_14transform_implILb1ES3_S6_PS5_S8_NS0_8identityIS5_EEEE10hipError_tT2_T3_mT4_P12ihipStream_tbEUlT_E_NS1_11comp_targetILNS1_3genE0ELNS1_11target_archE4294967295ELNS1_3gpuE0ELNS1_3repE0EEENS1_30default_config_static_selectorELNS0_4arch9wavefront6targetE0EEEvT1_.num_vgpr, 0
	.set _ZN7rocprim17ROCPRIM_400000_NS6detail17trampoline_kernelINS0_14default_configENS1_25transform_config_selectorINS0_10empty_typeELb1EEEZNS1_14transform_implILb1ES3_S6_PS5_S8_NS0_8identityIS5_EEEE10hipError_tT2_T3_mT4_P12ihipStream_tbEUlT_E_NS1_11comp_targetILNS1_3genE0ELNS1_11target_archE4294967295ELNS1_3gpuE0ELNS1_3repE0EEENS1_30default_config_static_selectorELNS0_4arch9wavefront6targetE0EEEvT1_.num_agpr, 0
	.set _ZN7rocprim17ROCPRIM_400000_NS6detail17trampoline_kernelINS0_14default_configENS1_25transform_config_selectorINS0_10empty_typeELb1EEEZNS1_14transform_implILb1ES3_S6_PS5_S8_NS0_8identityIS5_EEEE10hipError_tT2_T3_mT4_P12ihipStream_tbEUlT_E_NS1_11comp_targetILNS1_3genE0ELNS1_11target_archE4294967295ELNS1_3gpuE0ELNS1_3repE0EEENS1_30default_config_static_selectorELNS0_4arch9wavefront6targetE0EEEvT1_.numbered_sgpr, 0
	.set _ZN7rocprim17ROCPRIM_400000_NS6detail17trampoline_kernelINS0_14default_configENS1_25transform_config_selectorINS0_10empty_typeELb1EEEZNS1_14transform_implILb1ES3_S6_PS5_S8_NS0_8identityIS5_EEEE10hipError_tT2_T3_mT4_P12ihipStream_tbEUlT_E_NS1_11comp_targetILNS1_3genE0ELNS1_11target_archE4294967295ELNS1_3gpuE0ELNS1_3repE0EEENS1_30default_config_static_selectorELNS0_4arch9wavefront6targetE0EEEvT1_.num_named_barrier, 0
	.set _ZN7rocprim17ROCPRIM_400000_NS6detail17trampoline_kernelINS0_14default_configENS1_25transform_config_selectorINS0_10empty_typeELb1EEEZNS1_14transform_implILb1ES3_S6_PS5_S8_NS0_8identityIS5_EEEE10hipError_tT2_T3_mT4_P12ihipStream_tbEUlT_E_NS1_11comp_targetILNS1_3genE0ELNS1_11target_archE4294967295ELNS1_3gpuE0ELNS1_3repE0EEENS1_30default_config_static_selectorELNS0_4arch9wavefront6targetE0EEEvT1_.private_seg_size, 0
	.set _ZN7rocprim17ROCPRIM_400000_NS6detail17trampoline_kernelINS0_14default_configENS1_25transform_config_selectorINS0_10empty_typeELb1EEEZNS1_14transform_implILb1ES3_S6_PS5_S8_NS0_8identityIS5_EEEE10hipError_tT2_T3_mT4_P12ihipStream_tbEUlT_E_NS1_11comp_targetILNS1_3genE0ELNS1_11target_archE4294967295ELNS1_3gpuE0ELNS1_3repE0EEENS1_30default_config_static_selectorELNS0_4arch9wavefront6targetE0EEEvT1_.uses_vcc, 0
	.set _ZN7rocprim17ROCPRIM_400000_NS6detail17trampoline_kernelINS0_14default_configENS1_25transform_config_selectorINS0_10empty_typeELb1EEEZNS1_14transform_implILb1ES3_S6_PS5_S8_NS0_8identityIS5_EEEE10hipError_tT2_T3_mT4_P12ihipStream_tbEUlT_E_NS1_11comp_targetILNS1_3genE0ELNS1_11target_archE4294967295ELNS1_3gpuE0ELNS1_3repE0EEENS1_30default_config_static_selectorELNS0_4arch9wavefront6targetE0EEEvT1_.uses_flat_scratch, 0
	.set _ZN7rocprim17ROCPRIM_400000_NS6detail17trampoline_kernelINS0_14default_configENS1_25transform_config_selectorINS0_10empty_typeELb1EEEZNS1_14transform_implILb1ES3_S6_PS5_S8_NS0_8identityIS5_EEEE10hipError_tT2_T3_mT4_P12ihipStream_tbEUlT_E_NS1_11comp_targetILNS1_3genE0ELNS1_11target_archE4294967295ELNS1_3gpuE0ELNS1_3repE0EEENS1_30default_config_static_selectorELNS0_4arch9wavefront6targetE0EEEvT1_.has_dyn_sized_stack, 0
	.set _ZN7rocprim17ROCPRIM_400000_NS6detail17trampoline_kernelINS0_14default_configENS1_25transform_config_selectorINS0_10empty_typeELb1EEEZNS1_14transform_implILb1ES3_S6_PS5_S8_NS0_8identityIS5_EEEE10hipError_tT2_T3_mT4_P12ihipStream_tbEUlT_E_NS1_11comp_targetILNS1_3genE0ELNS1_11target_archE4294967295ELNS1_3gpuE0ELNS1_3repE0EEENS1_30default_config_static_selectorELNS0_4arch9wavefront6targetE0EEEvT1_.has_recursion, 0
	.set _ZN7rocprim17ROCPRIM_400000_NS6detail17trampoline_kernelINS0_14default_configENS1_25transform_config_selectorINS0_10empty_typeELb1EEEZNS1_14transform_implILb1ES3_S6_PS5_S8_NS0_8identityIS5_EEEE10hipError_tT2_T3_mT4_P12ihipStream_tbEUlT_E_NS1_11comp_targetILNS1_3genE0ELNS1_11target_archE4294967295ELNS1_3gpuE0ELNS1_3repE0EEENS1_30default_config_static_selectorELNS0_4arch9wavefront6targetE0EEEvT1_.has_indirect_call, 0
	.section	.AMDGPU.csdata,"",@progbits
; Kernel info:
; codeLenInByte = 4
; TotalNumSgprs: 0
; NumVgprs: 0
; ScratchSize: 0
; MemoryBound: 0
; FloatMode: 240
; IeeeMode: 1
; LDSByteSize: 0 bytes/workgroup (compile time only)
; SGPRBlocks: 0
; VGPRBlocks: 0
; NumSGPRsForWavesPerEU: 1
; NumVGPRsForWavesPerEU: 1
; NamedBarCnt: 0
; Occupancy: 16
; WaveLimiterHint : 0
; COMPUTE_PGM_RSRC2:SCRATCH_EN: 0
; COMPUTE_PGM_RSRC2:USER_SGPR: 2
; COMPUTE_PGM_RSRC2:TRAP_HANDLER: 0
; COMPUTE_PGM_RSRC2:TGID_X_EN: 1
; COMPUTE_PGM_RSRC2:TGID_Y_EN: 0
; COMPUTE_PGM_RSRC2:TGID_Z_EN: 0
; COMPUTE_PGM_RSRC2:TIDIG_COMP_CNT: 0
	.section	.text._ZN7rocprim17ROCPRIM_400000_NS6detail17trampoline_kernelINS0_14default_configENS1_25transform_config_selectorINS0_10empty_typeELb1EEEZNS1_14transform_implILb1ES3_S6_PS5_S8_NS0_8identityIS5_EEEE10hipError_tT2_T3_mT4_P12ihipStream_tbEUlT_E_NS1_11comp_targetILNS1_3genE10ELNS1_11target_archE1201ELNS1_3gpuE5ELNS1_3repE0EEENS1_30default_config_static_selectorELNS0_4arch9wavefront6targetE0EEEvT1_,"axG",@progbits,_ZN7rocprim17ROCPRIM_400000_NS6detail17trampoline_kernelINS0_14default_configENS1_25transform_config_selectorINS0_10empty_typeELb1EEEZNS1_14transform_implILb1ES3_S6_PS5_S8_NS0_8identityIS5_EEEE10hipError_tT2_T3_mT4_P12ihipStream_tbEUlT_E_NS1_11comp_targetILNS1_3genE10ELNS1_11target_archE1201ELNS1_3gpuE5ELNS1_3repE0EEENS1_30default_config_static_selectorELNS0_4arch9wavefront6targetE0EEEvT1_,comdat
	.protected	_ZN7rocprim17ROCPRIM_400000_NS6detail17trampoline_kernelINS0_14default_configENS1_25transform_config_selectorINS0_10empty_typeELb1EEEZNS1_14transform_implILb1ES3_S6_PS5_S8_NS0_8identityIS5_EEEE10hipError_tT2_T3_mT4_P12ihipStream_tbEUlT_E_NS1_11comp_targetILNS1_3genE10ELNS1_11target_archE1201ELNS1_3gpuE5ELNS1_3repE0EEENS1_30default_config_static_selectorELNS0_4arch9wavefront6targetE0EEEvT1_ ; -- Begin function _ZN7rocprim17ROCPRIM_400000_NS6detail17trampoline_kernelINS0_14default_configENS1_25transform_config_selectorINS0_10empty_typeELb1EEEZNS1_14transform_implILb1ES3_S6_PS5_S8_NS0_8identityIS5_EEEE10hipError_tT2_T3_mT4_P12ihipStream_tbEUlT_E_NS1_11comp_targetILNS1_3genE10ELNS1_11target_archE1201ELNS1_3gpuE5ELNS1_3repE0EEENS1_30default_config_static_selectorELNS0_4arch9wavefront6targetE0EEEvT1_
	.globl	_ZN7rocprim17ROCPRIM_400000_NS6detail17trampoline_kernelINS0_14default_configENS1_25transform_config_selectorINS0_10empty_typeELb1EEEZNS1_14transform_implILb1ES3_S6_PS5_S8_NS0_8identityIS5_EEEE10hipError_tT2_T3_mT4_P12ihipStream_tbEUlT_E_NS1_11comp_targetILNS1_3genE10ELNS1_11target_archE1201ELNS1_3gpuE5ELNS1_3repE0EEENS1_30default_config_static_selectorELNS0_4arch9wavefront6targetE0EEEvT1_
	.p2align	8
	.type	_ZN7rocprim17ROCPRIM_400000_NS6detail17trampoline_kernelINS0_14default_configENS1_25transform_config_selectorINS0_10empty_typeELb1EEEZNS1_14transform_implILb1ES3_S6_PS5_S8_NS0_8identityIS5_EEEE10hipError_tT2_T3_mT4_P12ihipStream_tbEUlT_E_NS1_11comp_targetILNS1_3genE10ELNS1_11target_archE1201ELNS1_3gpuE5ELNS1_3repE0EEENS1_30default_config_static_selectorELNS0_4arch9wavefront6targetE0EEEvT1_,@function
_ZN7rocprim17ROCPRIM_400000_NS6detail17trampoline_kernelINS0_14default_configENS1_25transform_config_selectorINS0_10empty_typeELb1EEEZNS1_14transform_implILb1ES3_S6_PS5_S8_NS0_8identityIS5_EEEE10hipError_tT2_T3_mT4_P12ihipStream_tbEUlT_E_NS1_11comp_targetILNS1_3genE10ELNS1_11target_archE1201ELNS1_3gpuE5ELNS1_3repE0EEENS1_30default_config_static_selectorELNS0_4arch9wavefront6targetE0EEEvT1_: ; @_ZN7rocprim17ROCPRIM_400000_NS6detail17trampoline_kernelINS0_14default_configENS1_25transform_config_selectorINS0_10empty_typeELb1EEEZNS1_14transform_implILb1ES3_S6_PS5_S8_NS0_8identityIS5_EEEE10hipError_tT2_T3_mT4_P12ihipStream_tbEUlT_E_NS1_11comp_targetILNS1_3genE10ELNS1_11target_archE1201ELNS1_3gpuE5ELNS1_3repE0EEENS1_30default_config_static_selectorELNS0_4arch9wavefront6targetE0EEEvT1_
; %bb.0:
	.section	.rodata,"a",@progbits
	.p2align	6, 0x0
	.amdhsa_kernel _ZN7rocprim17ROCPRIM_400000_NS6detail17trampoline_kernelINS0_14default_configENS1_25transform_config_selectorINS0_10empty_typeELb1EEEZNS1_14transform_implILb1ES3_S6_PS5_S8_NS0_8identityIS5_EEEE10hipError_tT2_T3_mT4_P12ihipStream_tbEUlT_E_NS1_11comp_targetILNS1_3genE10ELNS1_11target_archE1201ELNS1_3gpuE5ELNS1_3repE0EEENS1_30default_config_static_selectorELNS0_4arch9wavefront6targetE0EEEvT1_
		.amdhsa_group_segment_fixed_size 0
		.amdhsa_private_segment_fixed_size 0
		.amdhsa_kernarg_size 40
		.amdhsa_user_sgpr_count 2
		.amdhsa_user_sgpr_dispatch_ptr 0
		.amdhsa_user_sgpr_queue_ptr 0
		.amdhsa_user_sgpr_kernarg_segment_ptr 1
		.amdhsa_user_sgpr_dispatch_id 0
		.amdhsa_user_sgpr_kernarg_preload_length 0
		.amdhsa_user_sgpr_kernarg_preload_offset 0
		.amdhsa_user_sgpr_private_segment_size 0
		.amdhsa_wavefront_size32 1
		.amdhsa_uses_dynamic_stack 0
		.amdhsa_enable_private_segment 0
		.amdhsa_system_sgpr_workgroup_id_x 1
		.amdhsa_system_sgpr_workgroup_id_y 0
		.amdhsa_system_sgpr_workgroup_id_z 0
		.amdhsa_system_sgpr_workgroup_info 0
		.amdhsa_system_vgpr_workitem_id 0
		.amdhsa_next_free_vgpr 1
		.amdhsa_next_free_sgpr 1
		.amdhsa_named_barrier_count 0
		.amdhsa_reserve_vcc 0
		.amdhsa_float_round_mode_32 0
		.amdhsa_float_round_mode_16_64 0
		.amdhsa_float_denorm_mode_32 3
		.amdhsa_float_denorm_mode_16_64 3
		.amdhsa_fp16_overflow 0
		.amdhsa_memory_ordered 1
		.amdhsa_forward_progress 1
		.amdhsa_inst_pref_size 0
		.amdhsa_round_robin_scheduling 0
		.amdhsa_exception_fp_ieee_invalid_op 0
		.amdhsa_exception_fp_denorm_src 0
		.amdhsa_exception_fp_ieee_div_zero 0
		.amdhsa_exception_fp_ieee_overflow 0
		.amdhsa_exception_fp_ieee_underflow 0
		.amdhsa_exception_fp_ieee_inexact 0
		.amdhsa_exception_int_div_zero 0
	.end_amdhsa_kernel
	.section	.text._ZN7rocprim17ROCPRIM_400000_NS6detail17trampoline_kernelINS0_14default_configENS1_25transform_config_selectorINS0_10empty_typeELb1EEEZNS1_14transform_implILb1ES3_S6_PS5_S8_NS0_8identityIS5_EEEE10hipError_tT2_T3_mT4_P12ihipStream_tbEUlT_E_NS1_11comp_targetILNS1_3genE10ELNS1_11target_archE1201ELNS1_3gpuE5ELNS1_3repE0EEENS1_30default_config_static_selectorELNS0_4arch9wavefront6targetE0EEEvT1_,"axG",@progbits,_ZN7rocprim17ROCPRIM_400000_NS6detail17trampoline_kernelINS0_14default_configENS1_25transform_config_selectorINS0_10empty_typeELb1EEEZNS1_14transform_implILb1ES3_S6_PS5_S8_NS0_8identityIS5_EEEE10hipError_tT2_T3_mT4_P12ihipStream_tbEUlT_E_NS1_11comp_targetILNS1_3genE10ELNS1_11target_archE1201ELNS1_3gpuE5ELNS1_3repE0EEENS1_30default_config_static_selectorELNS0_4arch9wavefront6targetE0EEEvT1_,comdat
.Lfunc_end51:
	.size	_ZN7rocprim17ROCPRIM_400000_NS6detail17trampoline_kernelINS0_14default_configENS1_25transform_config_selectorINS0_10empty_typeELb1EEEZNS1_14transform_implILb1ES3_S6_PS5_S8_NS0_8identityIS5_EEEE10hipError_tT2_T3_mT4_P12ihipStream_tbEUlT_E_NS1_11comp_targetILNS1_3genE10ELNS1_11target_archE1201ELNS1_3gpuE5ELNS1_3repE0EEENS1_30default_config_static_selectorELNS0_4arch9wavefront6targetE0EEEvT1_, .Lfunc_end51-_ZN7rocprim17ROCPRIM_400000_NS6detail17trampoline_kernelINS0_14default_configENS1_25transform_config_selectorINS0_10empty_typeELb1EEEZNS1_14transform_implILb1ES3_S6_PS5_S8_NS0_8identityIS5_EEEE10hipError_tT2_T3_mT4_P12ihipStream_tbEUlT_E_NS1_11comp_targetILNS1_3genE10ELNS1_11target_archE1201ELNS1_3gpuE5ELNS1_3repE0EEENS1_30default_config_static_selectorELNS0_4arch9wavefront6targetE0EEEvT1_
                                        ; -- End function
	.set _ZN7rocprim17ROCPRIM_400000_NS6detail17trampoline_kernelINS0_14default_configENS1_25transform_config_selectorINS0_10empty_typeELb1EEEZNS1_14transform_implILb1ES3_S6_PS5_S8_NS0_8identityIS5_EEEE10hipError_tT2_T3_mT4_P12ihipStream_tbEUlT_E_NS1_11comp_targetILNS1_3genE10ELNS1_11target_archE1201ELNS1_3gpuE5ELNS1_3repE0EEENS1_30default_config_static_selectorELNS0_4arch9wavefront6targetE0EEEvT1_.num_vgpr, 0
	.set _ZN7rocprim17ROCPRIM_400000_NS6detail17trampoline_kernelINS0_14default_configENS1_25transform_config_selectorINS0_10empty_typeELb1EEEZNS1_14transform_implILb1ES3_S6_PS5_S8_NS0_8identityIS5_EEEE10hipError_tT2_T3_mT4_P12ihipStream_tbEUlT_E_NS1_11comp_targetILNS1_3genE10ELNS1_11target_archE1201ELNS1_3gpuE5ELNS1_3repE0EEENS1_30default_config_static_selectorELNS0_4arch9wavefront6targetE0EEEvT1_.num_agpr, 0
	.set _ZN7rocprim17ROCPRIM_400000_NS6detail17trampoline_kernelINS0_14default_configENS1_25transform_config_selectorINS0_10empty_typeELb1EEEZNS1_14transform_implILb1ES3_S6_PS5_S8_NS0_8identityIS5_EEEE10hipError_tT2_T3_mT4_P12ihipStream_tbEUlT_E_NS1_11comp_targetILNS1_3genE10ELNS1_11target_archE1201ELNS1_3gpuE5ELNS1_3repE0EEENS1_30default_config_static_selectorELNS0_4arch9wavefront6targetE0EEEvT1_.numbered_sgpr, 0
	.set _ZN7rocprim17ROCPRIM_400000_NS6detail17trampoline_kernelINS0_14default_configENS1_25transform_config_selectorINS0_10empty_typeELb1EEEZNS1_14transform_implILb1ES3_S6_PS5_S8_NS0_8identityIS5_EEEE10hipError_tT2_T3_mT4_P12ihipStream_tbEUlT_E_NS1_11comp_targetILNS1_3genE10ELNS1_11target_archE1201ELNS1_3gpuE5ELNS1_3repE0EEENS1_30default_config_static_selectorELNS0_4arch9wavefront6targetE0EEEvT1_.num_named_barrier, 0
	.set _ZN7rocprim17ROCPRIM_400000_NS6detail17trampoline_kernelINS0_14default_configENS1_25transform_config_selectorINS0_10empty_typeELb1EEEZNS1_14transform_implILb1ES3_S6_PS5_S8_NS0_8identityIS5_EEEE10hipError_tT2_T3_mT4_P12ihipStream_tbEUlT_E_NS1_11comp_targetILNS1_3genE10ELNS1_11target_archE1201ELNS1_3gpuE5ELNS1_3repE0EEENS1_30default_config_static_selectorELNS0_4arch9wavefront6targetE0EEEvT1_.private_seg_size, 0
	.set _ZN7rocprim17ROCPRIM_400000_NS6detail17trampoline_kernelINS0_14default_configENS1_25transform_config_selectorINS0_10empty_typeELb1EEEZNS1_14transform_implILb1ES3_S6_PS5_S8_NS0_8identityIS5_EEEE10hipError_tT2_T3_mT4_P12ihipStream_tbEUlT_E_NS1_11comp_targetILNS1_3genE10ELNS1_11target_archE1201ELNS1_3gpuE5ELNS1_3repE0EEENS1_30default_config_static_selectorELNS0_4arch9wavefront6targetE0EEEvT1_.uses_vcc, 0
	.set _ZN7rocprim17ROCPRIM_400000_NS6detail17trampoline_kernelINS0_14default_configENS1_25transform_config_selectorINS0_10empty_typeELb1EEEZNS1_14transform_implILb1ES3_S6_PS5_S8_NS0_8identityIS5_EEEE10hipError_tT2_T3_mT4_P12ihipStream_tbEUlT_E_NS1_11comp_targetILNS1_3genE10ELNS1_11target_archE1201ELNS1_3gpuE5ELNS1_3repE0EEENS1_30default_config_static_selectorELNS0_4arch9wavefront6targetE0EEEvT1_.uses_flat_scratch, 0
	.set _ZN7rocprim17ROCPRIM_400000_NS6detail17trampoline_kernelINS0_14default_configENS1_25transform_config_selectorINS0_10empty_typeELb1EEEZNS1_14transform_implILb1ES3_S6_PS5_S8_NS0_8identityIS5_EEEE10hipError_tT2_T3_mT4_P12ihipStream_tbEUlT_E_NS1_11comp_targetILNS1_3genE10ELNS1_11target_archE1201ELNS1_3gpuE5ELNS1_3repE0EEENS1_30default_config_static_selectorELNS0_4arch9wavefront6targetE0EEEvT1_.has_dyn_sized_stack, 0
	.set _ZN7rocprim17ROCPRIM_400000_NS6detail17trampoline_kernelINS0_14default_configENS1_25transform_config_selectorINS0_10empty_typeELb1EEEZNS1_14transform_implILb1ES3_S6_PS5_S8_NS0_8identityIS5_EEEE10hipError_tT2_T3_mT4_P12ihipStream_tbEUlT_E_NS1_11comp_targetILNS1_3genE10ELNS1_11target_archE1201ELNS1_3gpuE5ELNS1_3repE0EEENS1_30default_config_static_selectorELNS0_4arch9wavefront6targetE0EEEvT1_.has_recursion, 0
	.set _ZN7rocprim17ROCPRIM_400000_NS6detail17trampoline_kernelINS0_14default_configENS1_25transform_config_selectorINS0_10empty_typeELb1EEEZNS1_14transform_implILb1ES3_S6_PS5_S8_NS0_8identityIS5_EEEE10hipError_tT2_T3_mT4_P12ihipStream_tbEUlT_E_NS1_11comp_targetILNS1_3genE10ELNS1_11target_archE1201ELNS1_3gpuE5ELNS1_3repE0EEENS1_30default_config_static_selectorELNS0_4arch9wavefront6targetE0EEEvT1_.has_indirect_call, 0
	.section	.AMDGPU.csdata,"",@progbits
; Kernel info:
; codeLenInByte = 0
; TotalNumSgprs: 0
; NumVgprs: 0
; ScratchSize: 0
; MemoryBound: 0
; FloatMode: 240
; IeeeMode: 1
; LDSByteSize: 0 bytes/workgroup (compile time only)
; SGPRBlocks: 0
; VGPRBlocks: 0
; NumSGPRsForWavesPerEU: 1
; NumVGPRsForWavesPerEU: 1
; NamedBarCnt: 0
; Occupancy: 16
; WaveLimiterHint : 0
; COMPUTE_PGM_RSRC2:SCRATCH_EN: 0
; COMPUTE_PGM_RSRC2:USER_SGPR: 2
; COMPUTE_PGM_RSRC2:TRAP_HANDLER: 0
; COMPUTE_PGM_RSRC2:TGID_X_EN: 1
; COMPUTE_PGM_RSRC2:TGID_Y_EN: 0
; COMPUTE_PGM_RSRC2:TGID_Z_EN: 0
; COMPUTE_PGM_RSRC2:TIDIG_COMP_CNT: 0
	.section	.text._ZN7rocprim17ROCPRIM_400000_NS6detail17trampoline_kernelINS0_14default_configENS1_25transform_config_selectorINS0_10empty_typeELb1EEEZNS1_14transform_implILb1ES3_S6_PS5_S8_NS0_8identityIS5_EEEE10hipError_tT2_T3_mT4_P12ihipStream_tbEUlT_E_NS1_11comp_targetILNS1_3genE5ELNS1_11target_archE942ELNS1_3gpuE9ELNS1_3repE0EEENS1_30default_config_static_selectorELNS0_4arch9wavefront6targetE0EEEvT1_,"axG",@progbits,_ZN7rocprim17ROCPRIM_400000_NS6detail17trampoline_kernelINS0_14default_configENS1_25transform_config_selectorINS0_10empty_typeELb1EEEZNS1_14transform_implILb1ES3_S6_PS5_S8_NS0_8identityIS5_EEEE10hipError_tT2_T3_mT4_P12ihipStream_tbEUlT_E_NS1_11comp_targetILNS1_3genE5ELNS1_11target_archE942ELNS1_3gpuE9ELNS1_3repE0EEENS1_30default_config_static_selectorELNS0_4arch9wavefront6targetE0EEEvT1_,comdat
	.protected	_ZN7rocprim17ROCPRIM_400000_NS6detail17trampoline_kernelINS0_14default_configENS1_25transform_config_selectorINS0_10empty_typeELb1EEEZNS1_14transform_implILb1ES3_S6_PS5_S8_NS0_8identityIS5_EEEE10hipError_tT2_T3_mT4_P12ihipStream_tbEUlT_E_NS1_11comp_targetILNS1_3genE5ELNS1_11target_archE942ELNS1_3gpuE9ELNS1_3repE0EEENS1_30default_config_static_selectorELNS0_4arch9wavefront6targetE0EEEvT1_ ; -- Begin function _ZN7rocprim17ROCPRIM_400000_NS6detail17trampoline_kernelINS0_14default_configENS1_25transform_config_selectorINS0_10empty_typeELb1EEEZNS1_14transform_implILb1ES3_S6_PS5_S8_NS0_8identityIS5_EEEE10hipError_tT2_T3_mT4_P12ihipStream_tbEUlT_E_NS1_11comp_targetILNS1_3genE5ELNS1_11target_archE942ELNS1_3gpuE9ELNS1_3repE0EEENS1_30default_config_static_selectorELNS0_4arch9wavefront6targetE0EEEvT1_
	.globl	_ZN7rocprim17ROCPRIM_400000_NS6detail17trampoline_kernelINS0_14default_configENS1_25transform_config_selectorINS0_10empty_typeELb1EEEZNS1_14transform_implILb1ES3_S6_PS5_S8_NS0_8identityIS5_EEEE10hipError_tT2_T3_mT4_P12ihipStream_tbEUlT_E_NS1_11comp_targetILNS1_3genE5ELNS1_11target_archE942ELNS1_3gpuE9ELNS1_3repE0EEENS1_30default_config_static_selectorELNS0_4arch9wavefront6targetE0EEEvT1_
	.p2align	8
	.type	_ZN7rocprim17ROCPRIM_400000_NS6detail17trampoline_kernelINS0_14default_configENS1_25transform_config_selectorINS0_10empty_typeELb1EEEZNS1_14transform_implILb1ES3_S6_PS5_S8_NS0_8identityIS5_EEEE10hipError_tT2_T3_mT4_P12ihipStream_tbEUlT_E_NS1_11comp_targetILNS1_3genE5ELNS1_11target_archE942ELNS1_3gpuE9ELNS1_3repE0EEENS1_30default_config_static_selectorELNS0_4arch9wavefront6targetE0EEEvT1_,@function
_ZN7rocprim17ROCPRIM_400000_NS6detail17trampoline_kernelINS0_14default_configENS1_25transform_config_selectorINS0_10empty_typeELb1EEEZNS1_14transform_implILb1ES3_S6_PS5_S8_NS0_8identityIS5_EEEE10hipError_tT2_T3_mT4_P12ihipStream_tbEUlT_E_NS1_11comp_targetILNS1_3genE5ELNS1_11target_archE942ELNS1_3gpuE9ELNS1_3repE0EEENS1_30default_config_static_selectorELNS0_4arch9wavefront6targetE0EEEvT1_: ; @_ZN7rocprim17ROCPRIM_400000_NS6detail17trampoline_kernelINS0_14default_configENS1_25transform_config_selectorINS0_10empty_typeELb1EEEZNS1_14transform_implILb1ES3_S6_PS5_S8_NS0_8identityIS5_EEEE10hipError_tT2_T3_mT4_P12ihipStream_tbEUlT_E_NS1_11comp_targetILNS1_3genE5ELNS1_11target_archE942ELNS1_3gpuE9ELNS1_3repE0EEENS1_30default_config_static_selectorELNS0_4arch9wavefront6targetE0EEEvT1_
; %bb.0:
	.section	.rodata,"a",@progbits
	.p2align	6, 0x0
	.amdhsa_kernel _ZN7rocprim17ROCPRIM_400000_NS6detail17trampoline_kernelINS0_14default_configENS1_25transform_config_selectorINS0_10empty_typeELb1EEEZNS1_14transform_implILb1ES3_S6_PS5_S8_NS0_8identityIS5_EEEE10hipError_tT2_T3_mT4_P12ihipStream_tbEUlT_E_NS1_11comp_targetILNS1_3genE5ELNS1_11target_archE942ELNS1_3gpuE9ELNS1_3repE0EEENS1_30default_config_static_selectorELNS0_4arch9wavefront6targetE0EEEvT1_
		.amdhsa_group_segment_fixed_size 0
		.amdhsa_private_segment_fixed_size 0
		.amdhsa_kernarg_size 40
		.amdhsa_user_sgpr_count 2
		.amdhsa_user_sgpr_dispatch_ptr 0
		.amdhsa_user_sgpr_queue_ptr 0
		.amdhsa_user_sgpr_kernarg_segment_ptr 1
		.amdhsa_user_sgpr_dispatch_id 0
		.amdhsa_user_sgpr_kernarg_preload_length 0
		.amdhsa_user_sgpr_kernarg_preload_offset 0
		.amdhsa_user_sgpr_private_segment_size 0
		.amdhsa_wavefront_size32 1
		.amdhsa_uses_dynamic_stack 0
		.amdhsa_enable_private_segment 0
		.amdhsa_system_sgpr_workgroup_id_x 1
		.amdhsa_system_sgpr_workgroup_id_y 0
		.amdhsa_system_sgpr_workgroup_id_z 0
		.amdhsa_system_sgpr_workgroup_info 0
		.amdhsa_system_vgpr_workitem_id 0
		.amdhsa_next_free_vgpr 1
		.amdhsa_next_free_sgpr 1
		.amdhsa_named_barrier_count 0
		.amdhsa_reserve_vcc 0
		.amdhsa_float_round_mode_32 0
		.amdhsa_float_round_mode_16_64 0
		.amdhsa_float_denorm_mode_32 3
		.amdhsa_float_denorm_mode_16_64 3
		.amdhsa_fp16_overflow 0
		.amdhsa_memory_ordered 1
		.amdhsa_forward_progress 1
		.amdhsa_inst_pref_size 0
		.amdhsa_round_robin_scheduling 0
		.amdhsa_exception_fp_ieee_invalid_op 0
		.amdhsa_exception_fp_denorm_src 0
		.amdhsa_exception_fp_ieee_div_zero 0
		.amdhsa_exception_fp_ieee_overflow 0
		.amdhsa_exception_fp_ieee_underflow 0
		.amdhsa_exception_fp_ieee_inexact 0
		.amdhsa_exception_int_div_zero 0
	.end_amdhsa_kernel
	.section	.text._ZN7rocprim17ROCPRIM_400000_NS6detail17trampoline_kernelINS0_14default_configENS1_25transform_config_selectorINS0_10empty_typeELb1EEEZNS1_14transform_implILb1ES3_S6_PS5_S8_NS0_8identityIS5_EEEE10hipError_tT2_T3_mT4_P12ihipStream_tbEUlT_E_NS1_11comp_targetILNS1_3genE5ELNS1_11target_archE942ELNS1_3gpuE9ELNS1_3repE0EEENS1_30default_config_static_selectorELNS0_4arch9wavefront6targetE0EEEvT1_,"axG",@progbits,_ZN7rocprim17ROCPRIM_400000_NS6detail17trampoline_kernelINS0_14default_configENS1_25transform_config_selectorINS0_10empty_typeELb1EEEZNS1_14transform_implILb1ES3_S6_PS5_S8_NS0_8identityIS5_EEEE10hipError_tT2_T3_mT4_P12ihipStream_tbEUlT_E_NS1_11comp_targetILNS1_3genE5ELNS1_11target_archE942ELNS1_3gpuE9ELNS1_3repE0EEENS1_30default_config_static_selectorELNS0_4arch9wavefront6targetE0EEEvT1_,comdat
.Lfunc_end52:
	.size	_ZN7rocprim17ROCPRIM_400000_NS6detail17trampoline_kernelINS0_14default_configENS1_25transform_config_selectorINS0_10empty_typeELb1EEEZNS1_14transform_implILb1ES3_S6_PS5_S8_NS0_8identityIS5_EEEE10hipError_tT2_T3_mT4_P12ihipStream_tbEUlT_E_NS1_11comp_targetILNS1_3genE5ELNS1_11target_archE942ELNS1_3gpuE9ELNS1_3repE0EEENS1_30default_config_static_selectorELNS0_4arch9wavefront6targetE0EEEvT1_, .Lfunc_end52-_ZN7rocprim17ROCPRIM_400000_NS6detail17trampoline_kernelINS0_14default_configENS1_25transform_config_selectorINS0_10empty_typeELb1EEEZNS1_14transform_implILb1ES3_S6_PS5_S8_NS0_8identityIS5_EEEE10hipError_tT2_T3_mT4_P12ihipStream_tbEUlT_E_NS1_11comp_targetILNS1_3genE5ELNS1_11target_archE942ELNS1_3gpuE9ELNS1_3repE0EEENS1_30default_config_static_selectorELNS0_4arch9wavefront6targetE0EEEvT1_
                                        ; -- End function
	.set _ZN7rocprim17ROCPRIM_400000_NS6detail17trampoline_kernelINS0_14default_configENS1_25transform_config_selectorINS0_10empty_typeELb1EEEZNS1_14transform_implILb1ES3_S6_PS5_S8_NS0_8identityIS5_EEEE10hipError_tT2_T3_mT4_P12ihipStream_tbEUlT_E_NS1_11comp_targetILNS1_3genE5ELNS1_11target_archE942ELNS1_3gpuE9ELNS1_3repE0EEENS1_30default_config_static_selectorELNS0_4arch9wavefront6targetE0EEEvT1_.num_vgpr, 0
	.set _ZN7rocprim17ROCPRIM_400000_NS6detail17trampoline_kernelINS0_14default_configENS1_25transform_config_selectorINS0_10empty_typeELb1EEEZNS1_14transform_implILb1ES3_S6_PS5_S8_NS0_8identityIS5_EEEE10hipError_tT2_T3_mT4_P12ihipStream_tbEUlT_E_NS1_11comp_targetILNS1_3genE5ELNS1_11target_archE942ELNS1_3gpuE9ELNS1_3repE0EEENS1_30default_config_static_selectorELNS0_4arch9wavefront6targetE0EEEvT1_.num_agpr, 0
	.set _ZN7rocprim17ROCPRIM_400000_NS6detail17trampoline_kernelINS0_14default_configENS1_25transform_config_selectorINS0_10empty_typeELb1EEEZNS1_14transform_implILb1ES3_S6_PS5_S8_NS0_8identityIS5_EEEE10hipError_tT2_T3_mT4_P12ihipStream_tbEUlT_E_NS1_11comp_targetILNS1_3genE5ELNS1_11target_archE942ELNS1_3gpuE9ELNS1_3repE0EEENS1_30default_config_static_selectorELNS0_4arch9wavefront6targetE0EEEvT1_.numbered_sgpr, 0
	.set _ZN7rocprim17ROCPRIM_400000_NS6detail17trampoline_kernelINS0_14default_configENS1_25transform_config_selectorINS0_10empty_typeELb1EEEZNS1_14transform_implILb1ES3_S6_PS5_S8_NS0_8identityIS5_EEEE10hipError_tT2_T3_mT4_P12ihipStream_tbEUlT_E_NS1_11comp_targetILNS1_3genE5ELNS1_11target_archE942ELNS1_3gpuE9ELNS1_3repE0EEENS1_30default_config_static_selectorELNS0_4arch9wavefront6targetE0EEEvT1_.num_named_barrier, 0
	.set _ZN7rocprim17ROCPRIM_400000_NS6detail17trampoline_kernelINS0_14default_configENS1_25transform_config_selectorINS0_10empty_typeELb1EEEZNS1_14transform_implILb1ES3_S6_PS5_S8_NS0_8identityIS5_EEEE10hipError_tT2_T3_mT4_P12ihipStream_tbEUlT_E_NS1_11comp_targetILNS1_3genE5ELNS1_11target_archE942ELNS1_3gpuE9ELNS1_3repE0EEENS1_30default_config_static_selectorELNS0_4arch9wavefront6targetE0EEEvT1_.private_seg_size, 0
	.set _ZN7rocprim17ROCPRIM_400000_NS6detail17trampoline_kernelINS0_14default_configENS1_25transform_config_selectorINS0_10empty_typeELb1EEEZNS1_14transform_implILb1ES3_S6_PS5_S8_NS0_8identityIS5_EEEE10hipError_tT2_T3_mT4_P12ihipStream_tbEUlT_E_NS1_11comp_targetILNS1_3genE5ELNS1_11target_archE942ELNS1_3gpuE9ELNS1_3repE0EEENS1_30default_config_static_selectorELNS0_4arch9wavefront6targetE0EEEvT1_.uses_vcc, 0
	.set _ZN7rocprim17ROCPRIM_400000_NS6detail17trampoline_kernelINS0_14default_configENS1_25transform_config_selectorINS0_10empty_typeELb1EEEZNS1_14transform_implILb1ES3_S6_PS5_S8_NS0_8identityIS5_EEEE10hipError_tT2_T3_mT4_P12ihipStream_tbEUlT_E_NS1_11comp_targetILNS1_3genE5ELNS1_11target_archE942ELNS1_3gpuE9ELNS1_3repE0EEENS1_30default_config_static_selectorELNS0_4arch9wavefront6targetE0EEEvT1_.uses_flat_scratch, 0
	.set _ZN7rocprim17ROCPRIM_400000_NS6detail17trampoline_kernelINS0_14default_configENS1_25transform_config_selectorINS0_10empty_typeELb1EEEZNS1_14transform_implILb1ES3_S6_PS5_S8_NS0_8identityIS5_EEEE10hipError_tT2_T3_mT4_P12ihipStream_tbEUlT_E_NS1_11comp_targetILNS1_3genE5ELNS1_11target_archE942ELNS1_3gpuE9ELNS1_3repE0EEENS1_30default_config_static_selectorELNS0_4arch9wavefront6targetE0EEEvT1_.has_dyn_sized_stack, 0
	.set _ZN7rocprim17ROCPRIM_400000_NS6detail17trampoline_kernelINS0_14default_configENS1_25transform_config_selectorINS0_10empty_typeELb1EEEZNS1_14transform_implILb1ES3_S6_PS5_S8_NS0_8identityIS5_EEEE10hipError_tT2_T3_mT4_P12ihipStream_tbEUlT_E_NS1_11comp_targetILNS1_3genE5ELNS1_11target_archE942ELNS1_3gpuE9ELNS1_3repE0EEENS1_30default_config_static_selectorELNS0_4arch9wavefront6targetE0EEEvT1_.has_recursion, 0
	.set _ZN7rocprim17ROCPRIM_400000_NS6detail17trampoline_kernelINS0_14default_configENS1_25transform_config_selectorINS0_10empty_typeELb1EEEZNS1_14transform_implILb1ES3_S6_PS5_S8_NS0_8identityIS5_EEEE10hipError_tT2_T3_mT4_P12ihipStream_tbEUlT_E_NS1_11comp_targetILNS1_3genE5ELNS1_11target_archE942ELNS1_3gpuE9ELNS1_3repE0EEENS1_30default_config_static_selectorELNS0_4arch9wavefront6targetE0EEEvT1_.has_indirect_call, 0
	.section	.AMDGPU.csdata,"",@progbits
; Kernel info:
; codeLenInByte = 0
; TotalNumSgprs: 0
; NumVgprs: 0
; ScratchSize: 0
; MemoryBound: 0
; FloatMode: 240
; IeeeMode: 1
; LDSByteSize: 0 bytes/workgroup (compile time only)
; SGPRBlocks: 0
; VGPRBlocks: 0
; NumSGPRsForWavesPerEU: 1
; NumVGPRsForWavesPerEU: 1
; NamedBarCnt: 0
; Occupancy: 16
; WaveLimiterHint : 0
; COMPUTE_PGM_RSRC2:SCRATCH_EN: 0
; COMPUTE_PGM_RSRC2:USER_SGPR: 2
; COMPUTE_PGM_RSRC2:TRAP_HANDLER: 0
; COMPUTE_PGM_RSRC2:TGID_X_EN: 1
; COMPUTE_PGM_RSRC2:TGID_Y_EN: 0
; COMPUTE_PGM_RSRC2:TGID_Z_EN: 0
; COMPUTE_PGM_RSRC2:TIDIG_COMP_CNT: 0
	.section	.text._ZN7rocprim17ROCPRIM_400000_NS6detail17trampoline_kernelINS0_14default_configENS1_25transform_config_selectorINS0_10empty_typeELb1EEEZNS1_14transform_implILb1ES3_S6_PS5_S8_NS0_8identityIS5_EEEE10hipError_tT2_T3_mT4_P12ihipStream_tbEUlT_E_NS1_11comp_targetILNS1_3genE4ELNS1_11target_archE910ELNS1_3gpuE8ELNS1_3repE0EEENS1_30default_config_static_selectorELNS0_4arch9wavefront6targetE0EEEvT1_,"axG",@progbits,_ZN7rocprim17ROCPRIM_400000_NS6detail17trampoline_kernelINS0_14default_configENS1_25transform_config_selectorINS0_10empty_typeELb1EEEZNS1_14transform_implILb1ES3_S6_PS5_S8_NS0_8identityIS5_EEEE10hipError_tT2_T3_mT4_P12ihipStream_tbEUlT_E_NS1_11comp_targetILNS1_3genE4ELNS1_11target_archE910ELNS1_3gpuE8ELNS1_3repE0EEENS1_30default_config_static_selectorELNS0_4arch9wavefront6targetE0EEEvT1_,comdat
	.protected	_ZN7rocprim17ROCPRIM_400000_NS6detail17trampoline_kernelINS0_14default_configENS1_25transform_config_selectorINS0_10empty_typeELb1EEEZNS1_14transform_implILb1ES3_S6_PS5_S8_NS0_8identityIS5_EEEE10hipError_tT2_T3_mT4_P12ihipStream_tbEUlT_E_NS1_11comp_targetILNS1_3genE4ELNS1_11target_archE910ELNS1_3gpuE8ELNS1_3repE0EEENS1_30default_config_static_selectorELNS0_4arch9wavefront6targetE0EEEvT1_ ; -- Begin function _ZN7rocprim17ROCPRIM_400000_NS6detail17trampoline_kernelINS0_14default_configENS1_25transform_config_selectorINS0_10empty_typeELb1EEEZNS1_14transform_implILb1ES3_S6_PS5_S8_NS0_8identityIS5_EEEE10hipError_tT2_T3_mT4_P12ihipStream_tbEUlT_E_NS1_11comp_targetILNS1_3genE4ELNS1_11target_archE910ELNS1_3gpuE8ELNS1_3repE0EEENS1_30default_config_static_selectorELNS0_4arch9wavefront6targetE0EEEvT1_
	.globl	_ZN7rocprim17ROCPRIM_400000_NS6detail17trampoline_kernelINS0_14default_configENS1_25transform_config_selectorINS0_10empty_typeELb1EEEZNS1_14transform_implILb1ES3_S6_PS5_S8_NS0_8identityIS5_EEEE10hipError_tT2_T3_mT4_P12ihipStream_tbEUlT_E_NS1_11comp_targetILNS1_3genE4ELNS1_11target_archE910ELNS1_3gpuE8ELNS1_3repE0EEENS1_30default_config_static_selectorELNS0_4arch9wavefront6targetE0EEEvT1_
	.p2align	8
	.type	_ZN7rocprim17ROCPRIM_400000_NS6detail17trampoline_kernelINS0_14default_configENS1_25transform_config_selectorINS0_10empty_typeELb1EEEZNS1_14transform_implILb1ES3_S6_PS5_S8_NS0_8identityIS5_EEEE10hipError_tT2_T3_mT4_P12ihipStream_tbEUlT_E_NS1_11comp_targetILNS1_3genE4ELNS1_11target_archE910ELNS1_3gpuE8ELNS1_3repE0EEENS1_30default_config_static_selectorELNS0_4arch9wavefront6targetE0EEEvT1_,@function
_ZN7rocprim17ROCPRIM_400000_NS6detail17trampoline_kernelINS0_14default_configENS1_25transform_config_selectorINS0_10empty_typeELb1EEEZNS1_14transform_implILb1ES3_S6_PS5_S8_NS0_8identityIS5_EEEE10hipError_tT2_T3_mT4_P12ihipStream_tbEUlT_E_NS1_11comp_targetILNS1_3genE4ELNS1_11target_archE910ELNS1_3gpuE8ELNS1_3repE0EEENS1_30default_config_static_selectorELNS0_4arch9wavefront6targetE0EEEvT1_: ; @_ZN7rocprim17ROCPRIM_400000_NS6detail17trampoline_kernelINS0_14default_configENS1_25transform_config_selectorINS0_10empty_typeELb1EEEZNS1_14transform_implILb1ES3_S6_PS5_S8_NS0_8identityIS5_EEEE10hipError_tT2_T3_mT4_P12ihipStream_tbEUlT_E_NS1_11comp_targetILNS1_3genE4ELNS1_11target_archE910ELNS1_3gpuE8ELNS1_3repE0EEENS1_30default_config_static_selectorELNS0_4arch9wavefront6targetE0EEEvT1_
; %bb.0:
	.section	.rodata,"a",@progbits
	.p2align	6, 0x0
	.amdhsa_kernel _ZN7rocprim17ROCPRIM_400000_NS6detail17trampoline_kernelINS0_14default_configENS1_25transform_config_selectorINS0_10empty_typeELb1EEEZNS1_14transform_implILb1ES3_S6_PS5_S8_NS0_8identityIS5_EEEE10hipError_tT2_T3_mT4_P12ihipStream_tbEUlT_E_NS1_11comp_targetILNS1_3genE4ELNS1_11target_archE910ELNS1_3gpuE8ELNS1_3repE0EEENS1_30default_config_static_selectorELNS0_4arch9wavefront6targetE0EEEvT1_
		.amdhsa_group_segment_fixed_size 0
		.amdhsa_private_segment_fixed_size 0
		.amdhsa_kernarg_size 40
		.amdhsa_user_sgpr_count 2
		.amdhsa_user_sgpr_dispatch_ptr 0
		.amdhsa_user_sgpr_queue_ptr 0
		.amdhsa_user_sgpr_kernarg_segment_ptr 1
		.amdhsa_user_sgpr_dispatch_id 0
		.amdhsa_user_sgpr_kernarg_preload_length 0
		.amdhsa_user_sgpr_kernarg_preload_offset 0
		.amdhsa_user_sgpr_private_segment_size 0
		.amdhsa_wavefront_size32 1
		.amdhsa_uses_dynamic_stack 0
		.amdhsa_enable_private_segment 0
		.amdhsa_system_sgpr_workgroup_id_x 1
		.amdhsa_system_sgpr_workgroup_id_y 0
		.amdhsa_system_sgpr_workgroup_id_z 0
		.amdhsa_system_sgpr_workgroup_info 0
		.amdhsa_system_vgpr_workitem_id 0
		.amdhsa_next_free_vgpr 1
		.amdhsa_next_free_sgpr 1
		.amdhsa_named_barrier_count 0
		.amdhsa_reserve_vcc 0
		.amdhsa_float_round_mode_32 0
		.amdhsa_float_round_mode_16_64 0
		.amdhsa_float_denorm_mode_32 3
		.amdhsa_float_denorm_mode_16_64 3
		.amdhsa_fp16_overflow 0
		.amdhsa_memory_ordered 1
		.amdhsa_forward_progress 1
		.amdhsa_inst_pref_size 0
		.amdhsa_round_robin_scheduling 0
		.amdhsa_exception_fp_ieee_invalid_op 0
		.amdhsa_exception_fp_denorm_src 0
		.amdhsa_exception_fp_ieee_div_zero 0
		.amdhsa_exception_fp_ieee_overflow 0
		.amdhsa_exception_fp_ieee_underflow 0
		.amdhsa_exception_fp_ieee_inexact 0
		.amdhsa_exception_int_div_zero 0
	.end_amdhsa_kernel
	.section	.text._ZN7rocprim17ROCPRIM_400000_NS6detail17trampoline_kernelINS0_14default_configENS1_25transform_config_selectorINS0_10empty_typeELb1EEEZNS1_14transform_implILb1ES3_S6_PS5_S8_NS0_8identityIS5_EEEE10hipError_tT2_T3_mT4_P12ihipStream_tbEUlT_E_NS1_11comp_targetILNS1_3genE4ELNS1_11target_archE910ELNS1_3gpuE8ELNS1_3repE0EEENS1_30default_config_static_selectorELNS0_4arch9wavefront6targetE0EEEvT1_,"axG",@progbits,_ZN7rocprim17ROCPRIM_400000_NS6detail17trampoline_kernelINS0_14default_configENS1_25transform_config_selectorINS0_10empty_typeELb1EEEZNS1_14transform_implILb1ES3_S6_PS5_S8_NS0_8identityIS5_EEEE10hipError_tT2_T3_mT4_P12ihipStream_tbEUlT_E_NS1_11comp_targetILNS1_3genE4ELNS1_11target_archE910ELNS1_3gpuE8ELNS1_3repE0EEENS1_30default_config_static_selectorELNS0_4arch9wavefront6targetE0EEEvT1_,comdat
.Lfunc_end53:
	.size	_ZN7rocprim17ROCPRIM_400000_NS6detail17trampoline_kernelINS0_14default_configENS1_25transform_config_selectorINS0_10empty_typeELb1EEEZNS1_14transform_implILb1ES3_S6_PS5_S8_NS0_8identityIS5_EEEE10hipError_tT2_T3_mT4_P12ihipStream_tbEUlT_E_NS1_11comp_targetILNS1_3genE4ELNS1_11target_archE910ELNS1_3gpuE8ELNS1_3repE0EEENS1_30default_config_static_selectorELNS0_4arch9wavefront6targetE0EEEvT1_, .Lfunc_end53-_ZN7rocprim17ROCPRIM_400000_NS6detail17trampoline_kernelINS0_14default_configENS1_25transform_config_selectorINS0_10empty_typeELb1EEEZNS1_14transform_implILb1ES3_S6_PS5_S8_NS0_8identityIS5_EEEE10hipError_tT2_T3_mT4_P12ihipStream_tbEUlT_E_NS1_11comp_targetILNS1_3genE4ELNS1_11target_archE910ELNS1_3gpuE8ELNS1_3repE0EEENS1_30default_config_static_selectorELNS0_4arch9wavefront6targetE0EEEvT1_
                                        ; -- End function
	.set _ZN7rocprim17ROCPRIM_400000_NS6detail17trampoline_kernelINS0_14default_configENS1_25transform_config_selectorINS0_10empty_typeELb1EEEZNS1_14transform_implILb1ES3_S6_PS5_S8_NS0_8identityIS5_EEEE10hipError_tT2_T3_mT4_P12ihipStream_tbEUlT_E_NS1_11comp_targetILNS1_3genE4ELNS1_11target_archE910ELNS1_3gpuE8ELNS1_3repE0EEENS1_30default_config_static_selectorELNS0_4arch9wavefront6targetE0EEEvT1_.num_vgpr, 0
	.set _ZN7rocprim17ROCPRIM_400000_NS6detail17trampoline_kernelINS0_14default_configENS1_25transform_config_selectorINS0_10empty_typeELb1EEEZNS1_14transform_implILb1ES3_S6_PS5_S8_NS0_8identityIS5_EEEE10hipError_tT2_T3_mT4_P12ihipStream_tbEUlT_E_NS1_11comp_targetILNS1_3genE4ELNS1_11target_archE910ELNS1_3gpuE8ELNS1_3repE0EEENS1_30default_config_static_selectorELNS0_4arch9wavefront6targetE0EEEvT1_.num_agpr, 0
	.set _ZN7rocprim17ROCPRIM_400000_NS6detail17trampoline_kernelINS0_14default_configENS1_25transform_config_selectorINS0_10empty_typeELb1EEEZNS1_14transform_implILb1ES3_S6_PS5_S8_NS0_8identityIS5_EEEE10hipError_tT2_T3_mT4_P12ihipStream_tbEUlT_E_NS1_11comp_targetILNS1_3genE4ELNS1_11target_archE910ELNS1_3gpuE8ELNS1_3repE0EEENS1_30default_config_static_selectorELNS0_4arch9wavefront6targetE0EEEvT1_.numbered_sgpr, 0
	.set _ZN7rocprim17ROCPRIM_400000_NS6detail17trampoline_kernelINS0_14default_configENS1_25transform_config_selectorINS0_10empty_typeELb1EEEZNS1_14transform_implILb1ES3_S6_PS5_S8_NS0_8identityIS5_EEEE10hipError_tT2_T3_mT4_P12ihipStream_tbEUlT_E_NS1_11comp_targetILNS1_3genE4ELNS1_11target_archE910ELNS1_3gpuE8ELNS1_3repE0EEENS1_30default_config_static_selectorELNS0_4arch9wavefront6targetE0EEEvT1_.num_named_barrier, 0
	.set _ZN7rocprim17ROCPRIM_400000_NS6detail17trampoline_kernelINS0_14default_configENS1_25transform_config_selectorINS0_10empty_typeELb1EEEZNS1_14transform_implILb1ES3_S6_PS5_S8_NS0_8identityIS5_EEEE10hipError_tT2_T3_mT4_P12ihipStream_tbEUlT_E_NS1_11comp_targetILNS1_3genE4ELNS1_11target_archE910ELNS1_3gpuE8ELNS1_3repE0EEENS1_30default_config_static_selectorELNS0_4arch9wavefront6targetE0EEEvT1_.private_seg_size, 0
	.set _ZN7rocprim17ROCPRIM_400000_NS6detail17trampoline_kernelINS0_14default_configENS1_25transform_config_selectorINS0_10empty_typeELb1EEEZNS1_14transform_implILb1ES3_S6_PS5_S8_NS0_8identityIS5_EEEE10hipError_tT2_T3_mT4_P12ihipStream_tbEUlT_E_NS1_11comp_targetILNS1_3genE4ELNS1_11target_archE910ELNS1_3gpuE8ELNS1_3repE0EEENS1_30default_config_static_selectorELNS0_4arch9wavefront6targetE0EEEvT1_.uses_vcc, 0
	.set _ZN7rocprim17ROCPRIM_400000_NS6detail17trampoline_kernelINS0_14default_configENS1_25transform_config_selectorINS0_10empty_typeELb1EEEZNS1_14transform_implILb1ES3_S6_PS5_S8_NS0_8identityIS5_EEEE10hipError_tT2_T3_mT4_P12ihipStream_tbEUlT_E_NS1_11comp_targetILNS1_3genE4ELNS1_11target_archE910ELNS1_3gpuE8ELNS1_3repE0EEENS1_30default_config_static_selectorELNS0_4arch9wavefront6targetE0EEEvT1_.uses_flat_scratch, 0
	.set _ZN7rocprim17ROCPRIM_400000_NS6detail17trampoline_kernelINS0_14default_configENS1_25transform_config_selectorINS0_10empty_typeELb1EEEZNS1_14transform_implILb1ES3_S6_PS5_S8_NS0_8identityIS5_EEEE10hipError_tT2_T3_mT4_P12ihipStream_tbEUlT_E_NS1_11comp_targetILNS1_3genE4ELNS1_11target_archE910ELNS1_3gpuE8ELNS1_3repE0EEENS1_30default_config_static_selectorELNS0_4arch9wavefront6targetE0EEEvT1_.has_dyn_sized_stack, 0
	.set _ZN7rocprim17ROCPRIM_400000_NS6detail17trampoline_kernelINS0_14default_configENS1_25transform_config_selectorINS0_10empty_typeELb1EEEZNS1_14transform_implILb1ES3_S6_PS5_S8_NS0_8identityIS5_EEEE10hipError_tT2_T3_mT4_P12ihipStream_tbEUlT_E_NS1_11comp_targetILNS1_3genE4ELNS1_11target_archE910ELNS1_3gpuE8ELNS1_3repE0EEENS1_30default_config_static_selectorELNS0_4arch9wavefront6targetE0EEEvT1_.has_recursion, 0
	.set _ZN7rocprim17ROCPRIM_400000_NS6detail17trampoline_kernelINS0_14default_configENS1_25transform_config_selectorINS0_10empty_typeELb1EEEZNS1_14transform_implILb1ES3_S6_PS5_S8_NS0_8identityIS5_EEEE10hipError_tT2_T3_mT4_P12ihipStream_tbEUlT_E_NS1_11comp_targetILNS1_3genE4ELNS1_11target_archE910ELNS1_3gpuE8ELNS1_3repE0EEENS1_30default_config_static_selectorELNS0_4arch9wavefront6targetE0EEEvT1_.has_indirect_call, 0
	.section	.AMDGPU.csdata,"",@progbits
; Kernel info:
; codeLenInByte = 0
; TotalNumSgprs: 0
; NumVgprs: 0
; ScratchSize: 0
; MemoryBound: 0
; FloatMode: 240
; IeeeMode: 1
; LDSByteSize: 0 bytes/workgroup (compile time only)
; SGPRBlocks: 0
; VGPRBlocks: 0
; NumSGPRsForWavesPerEU: 1
; NumVGPRsForWavesPerEU: 1
; NamedBarCnt: 0
; Occupancy: 16
; WaveLimiterHint : 0
; COMPUTE_PGM_RSRC2:SCRATCH_EN: 0
; COMPUTE_PGM_RSRC2:USER_SGPR: 2
; COMPUTE_PGM_RSRC2:TRAP_HANDLER: 0
; COMPUTE_PGM_RSRC2:TGID_X_EN: 1
; COMPUTE_PGM_RSRC2:TGID_Y_EN: 0
; COMPUTE_PGM_RSRC2:TGID_Z_EN: 0
; COMPUTE_PGM_RSRC2:TIDIG_COMP_CNT: 0
	.section	.text._ZN7rocprim17ROCPRIM_400000_NS6detail17trampoline_kernelINS0_14default_configENS1_25transform_config_selectorINS0_10empty_typeELb1EEEZNS1_14transform_implILb1ES3_S6_PS5_S8_NS0_8identityIS5_EEEE10hipError_tT2_T3_mT4_P12ihipStream_tbEUlT_E_NS1_11comp_targetILNS1_3genE3ELNS1_11target_archE908ELNS1_3gpuE7ELNS1_3repE0EEENS1_30default_config_static_selectorELNS0_4arch9wavefront6targetE0EEEvT1_,"axG",@progbits,_ZN7rocprim17ROCPRIM_400000_NS6detail17trampoline_kernelINS0_14default_configENS1_25transform_config_selectorINS0_10empty_typeELb1EEEZNS1_14transform_implILb1ES3_S6_PS5_S8_NS0_8identityIS5_EEEE10hipError_tT2_T3_mT4_P12ihipStream_tbEUlT_E_NS1_11comp_targetILNS1_3genE3ELNS1_11target_archE908ELNS1_3gpuE7ELNS1_3repE0EEENS1_30default_config_static_selectorELNS0_4arch9wavefront6targetE0EEEvT1_,comdat
	.protected	_ZN7rocprim17ROCPRIM_400000_NS6detail17trampoline_kernelINS0_14default_configENS1_25transform_config_selectorINS0_10empty_typeELb1EEEZNS1_14transform_implILb1ES3_S6_PS5_S8_NS0_8identityIS5_EEEE10hipError_tT2_T3_mT4_P12ihipStream_tbEUlT_E_NS1_11comp_targetILNS1_3genE3ELNS1_11target_archE908ELNS1_3gpuE7ELNS1_3repE0EEENS1_30default_config_static_selectorELNS0_4arch9wavefront6targetE0EEEvT1_ ; -- Begin function _ZN7rocprim17ROCPRIM_400000_NS6detail17trampoline_kernelINS0_14default_configENS1_25transform_config_selectorINS0_10empty_typeELb1EEEZNS1_14transform_implILb1ES3_S6_PS5_S8_NS0_8identityIS5_EEEE10hipError_tT2_T3_mT4_P12ihipStream_tbEUlT_E_NS1_11comp_targetILNS1_3genE3ELNS1_11target_archE908ELNS1_3gpuE7ELNS1_3repE0EEENS1_30default_config_static_selectorELNS0_4arch9wavefront6targetE0EEEvT1_
	.globl	_ZN7rocprim17ROCPRIM_400000_NS6detail17trampoline_kernelINS0_14default_configENS1_25transform_config_selectorINS0_10empty_typeELb1EEEZNS1_14transform_implILb1ES3_S6_PS5_S8_NS0_8identityIS5_EEEE10hipError_tT2_T3_mT4_P12ihipStream_tbEUlT_E_NS1_11comp_targetILNS1_3genE3ELNS1_11target_archE908ELNS1_3gpuE7ELNS1_3repE0EEENS1_30default_config_static_selectorELNS0_4arch9wavefront6targetE0EEEvT1_
	.p2align	8
	.type	_ZN7rocprim17ROCPRIM_400000_NS6detail17trampoline_kernelINS0_14default_configENS1_25transform_config_selectorINS0_10empty_typeELb1EEEZNS1_14transform_implILb1ES3_S6_PS5_S8_NS0_8identityIS5_EEEE10hipError_tT2_T3_mT4_P12ihipStream_tbEUlT_E_NS1_11comp_targetILNS1_3genE3ELNS1_11target_archE908ELNS1_3gpuE7ELNS1_3repE0EEENS1_30default_config_static_selectorELNS0_4arch9wavefront6targetE0EEEvT1_,@function
_ZN7rocprim17ROCPRIM_400000_NS6detail17trampoline_kernelINS0_14default_configENS1_25transform_config_selectorINS0_10empty_typeELb1EEEZNS1_14transform_implILb1ES3_S6_PS5_S8_NS0_8identityIS5_EEEE10hipError_tT2_T3_mT4_P12ihipStream_tbEUlT_E_NS1_11comp_targetILNS1_3genE3ELNS1_11target_archE908ELNS1_3gpuE7ELNS1_3repE0EEENS1_30default_config_static_selectorELNS0_4arch9wavefront6targetE0EEEvT1_: ; @_ZN7rocprim17ROCPRIM_400000_NS6detail17trampoline_kernelINS0_14default_configENS1_25transform_config_selectorINS0_10empty_typeELb1EEEZNS1_14transform_implILb1ES3_S6_PS5_S8_NS0_8identityIS5_EEEE10hipError_tT2_T3_mT4_P12ihipStream_tbEUlT_E_NS1_11comp_targetILNS1_3genE3ELNS1_11target_archE908ELNS1_3gpuE7ELNS1_3repE0EEENS1_30default_config_static_selectorELNS0_4arch9wavefront6targetE0EEEvT1_
; %bb.0:
	.section	.rodata,"a",@progbits
	.p2align	6, 0x0
	.amdhsa_kernel _ZN7rocprim17ROCPRIM_400000_NS6detail17trampoline_kernelINS0_14default_configENS1_25transform_config_selectorINS0_10empty_typeELb1EEEZNS1_14transform_implILb1ES3_S6_PS5_S8_NS0_8identityIS5_EEEE10hipError_tT2_T3_mT4_P12ihipStream_tbEUlT_E_NS1_11comp_targetILNS1_3genE3ELNS1_11target_archE908ELNS1_3gpuE7ELNS1_3repE0EEENS1_30default_config_static_selectorELNS0_4arch9wavefront6targetE0EEEvT1_
		.amdhsa_group_segment_fixed_size 0
		.amdhsa_private_segment_fixed_size 0
		.amdhsa_kernarg_size 40
		.amdhsa_user_sgpr_count 2
		.amdhsa_user_sgpr_dispatch_ptr 0
		.amdhsa_user_sgpr_queue_ptr 0
		.amdhsa_user_sgpr_kernarg_segment_ptr 1
		.amdhsa_user_sgpr_dispatch_id 0
		.amdhsa_user_sgpr_kernarg_preload_length 0
		.amdhsa_user_sgpr_kernarg_preload_offset 0
		.amdhsa_user_sgpr_private_segment_size 0
		.amdhsa_wavefront_size32 1
		.amdhsa_uses_dynamic_stack 0
		.amdhsa_enable_private_segment 0
		.amdhsa_system_sgpr_workgroup_id_x 1
		.amdhsa_system_sgpr_workgroup_id_y 0
		.amdhsa_system_sgpr_workgroup_id_z 0
		.amdhsa_system_sgpr_workgroup_info 0
		.amdhsa_system_vgpr_workitem_id 0
		.amdhsa_next_free_vgpr 1
		.amdhsa_next_free_sgpr 1
		.amdhsa_named_barrier_count 0
		.amdhsa_reserve_vcc 0
		.amdhsa_float_round_mode_32 0
		.amdhsa_float_round_mode_16_64 0
		.amdhsa_float_denorm_mode_32 3
		.amdhsa_float_denorm_mode_16_64 3
		.amdhsa_fp16_overflow 0
		.amdhsa_memory_ordered 1
		.amdhsa_forward_progress 1
		.amdhsa_inst_pref_size 0
		.amdhsa_round_robin_scheduling 0
		.amdhsa_exception_fp_ieee_invalid_op 0
		.amdhsa_exception_fp_denorm_src 0
		.amdhsa_exception_fp_ieee_div_zero 0
		.amdhsa_exception_fp_ieee_overflow 0
		.amdhsa_exception_fp_ieee_underflow 0
		.amdhsa_exception_fp_ieee_inexact 0
		.amdhsa_exception_int_div_zero 0
	.end_amdhsa_kernel
	.section	.text._ZN7rocprim17ROCPRIM_400000_NS6detail17trampoline_kernelINS0_14default_configENS1_25transform_config_selectorINS0_10empty_typeELb1EEEZNS1_14transform_implILb1ES3_S6_PS5_S8_NS0_8identityIS5_EEEE10hipError_tT2_T3_mT4_P12ihipStream_tbEUlT_E_NS1_11comp_targetILNS1_3genE3ELNS1_11target_archE908ELNS1_3gpuE7ELNS1_3repE0EEENS1_30default_config_static_selectorELNS0_4arch9wavefront6targetE0EEEvT1_,"axG",@progbits,_ZN7rocprim17ROCPRIM_400000_NS6detail17trampoline_kernelINS0_14default_configENS1_25transform_config_selectorINS0_10empty_typeELb1EEEZNS1_14transform_implILb1ES3_S6_PS5_S8_NS0_8identityIS5_EEEE10hipError_tT2_T3_mT4_P12ihipStream_tbEUlT_E_NS1_11comp_targetILNS1_3genE3ELNS1_11target_archE908ELNS1_3gpuE7ELNS1_3repE0EEENS1_30default_config_static_selectorELNS0_4arch9wavefront6targetE0EEEvT1_,comdat
.Lfunc_end54:
	.size	_ZN7rocprim17ROCPRIM_400000_NS6detail17trampoline_kernelINS0_14default_configENS1_25transform_config_selectorINS0_10empty_typeELb1EEEZNS1_14transform_implILb1ES3_S6_PS5_S8_NS0_8identityIS5_EEEE10hipError_tT2_T3_mT4_P12ihipStream_tbEUlT_E_NS1_11comp_targetILNS1_3genE3ELNS1_11target_archE908ELNS1_3gpuE7ELNS1_3repE0EEENS1_30default_config_static_selectorELNS0_4arch9wavefront6targetE0EEEvT1_, .Lfunc_end54-_ZN7rocprim17ROCPRIM_400000_NS6detail17trampoline_kernelINS0_14default_configENS1_25transform_config_selectorINS0_10empty_typeELb1EEEZNS1_14transform_implILb1ES3_S6_PS5_S8_NS0_8identityIS5_EEEE10hipError_tT2_T3_mT4_P12ihipStream_tbEUlT_E_NS1_11comp_targetILNS1_3genE3ELNS1_11target_archE908ELNS1_3gpuE7ELNS1_3repE0EEENS1_30default_config_static_selectorELNS0_4arch9wavefront6targetE0EEEvT1_
                                        ; -- End function
	.set _ZN7rocprim17ROCPRIM_400000_NS6detail17trampoline_kernelINS0_14default_configENS1_25transform_config_selectorINS0_10empty_typeELb1EEEZNS1_14transform_implILb1ES3_S6_PS5_S8_NS0_8identityIS5_EEEE10hipError_tT2_T3_mT4_P12ihipStream_tbEUlT_E_NS1_11comp_targetILNS1_3genE3ELNS1_11target_archE908ELNS1_3gpuE7ELNS1_3repE0EEENS1_30default_config_static_selectorELNS0_4arch9wavefront6targetE0EEEvT1_.num_vgpr, 0
	.set _ZN7rocprim17ROCPRIM_400000_NS6detail17trampoline_kernelINS0_14default_configENS1_25transform_config_selectorINS0_10empty_typeELb1EEEZNS1_14transform_implILb1ES3_S6_PS5_S8_NS0_8identityIS5_EEEE10hipError_tT2_T3_mT4_P12ihipStream_tbEUlT_E_NS1_11comp_targetILNS1_3genE3ELNS1_11target_archE908ELNS1_3gpuE7ELNS1_3repE0EEENS1_30default_config_static_selectorELNS0_4arch9wavefront6targetE0EEEvT1_.num_agpr, 0
	.set _ZN7rocprim17ROCPRIM_400000_NS6detail17trampoline_kernelINS0_14default_configENS1_25transform_config_selectorINS0_10empty_typeELb1EEEZNS1_14transform_implILb1ES3_S6_PS5_S8_NS0_8identityIS5_EEEE10hipError_tT2_T3_mT4_P12ihipStream_tbEUlT_E_NS1_11comp_targetILNS1_3genE3ELNS1_11target_archE908ELNS1_3gpuE7ELNS1_3repE0EEENS1_30default_config_static_selectorELNS0_4arch9wavefront6targetE0EEEvT1_.numbered_sgpr, 0
	.set _ZN7rocprim17ROCPRIM_400000_NS6detail17trampoline_kernelINS0_14default_configENS1_25transform_config_selectorINS0_10empty_typeELb1EEEZNS1_14transform_implILb1ES3_S6_PS5_S8_NS0_8identityIS5_EEEE10hipError_tT2_T3_mT4_P12ihipStream_tbEUlT_E_NS1_11comp_targetILNS1_3genE3ELNS1_11target_archE908ELNS1_3gpuE7ELNS1_3repE0EEENS1_30default_config_static_selectorELNS0_4arch9wavefront6targetE0EEEvT1_.num_named_barrier, 0
	.set _ZN7rocprim17ROCPRIM_400000_NS6detail17trampoline_kernelINS0_14default_configENS1_25transform_config_selectorINS0_10empty_typeELb1EEEZNS1_14transform_implILb1ES3_S6_PS5_S8_NS0_8identityIS5_EEEE10hipError_tT2_T3_mT4_P12ihipStream_tbEUlT_E_NS1_11comp_targetILNS1_3genE3ELNS1_11target_archE908ELNS1_3gpuE7ELNS1_3repE0EEENS1_30default_config_static_selectorELNS0_4arch9wavefront6targetE0EEEvT1_.private_seg_size, 0
	.set _ZN7rocprim17ROCPRIM_400000_NS6detail17trampoline_kernelINS0_14default_configENS1_25transform_config_selectorINS0_10empty_typeELb1EEEZNS1_14transform_implILb1ES3_S6_PS5_S8_NS0_8identityIS5_EEEE10hipError_tT2_T3_mT4_P12ihipStream_tbEUlT_E_NS1_11comp_targetILNS1_3genE3ELNS1_11target_archE908ELNS1_3gpuE7ELNS1_3repE0EEENS1_30default_config_static_selectorELNS0_4arch9wavefront6targetE0EEEvT1_.uses_vcc, 0
	.set _ZN7rocprim17ROCPRIM_400000_NS6detail17trampoline_kernelINS0_14default_configENS1_25transform_config_selectorINS0_10empty_typeELb1EEEZNS1_14transform_implILb1ES3_S6_PS5_S8_NS0_8identityIS5_EEEE10hipError_tT2_T3_mT4_P12ihipStream_tbEUlT_E_NS1_11comp_targetILNS1_3genE3ELNS1_11target_archE908ELNS1_3gpuE7ELNS1_3repE0EEENS1_30default_config_static_selectorELNS0_4arch9wavefront6targetE0EEEvT1_.uses_flat_scratch, 0
	.set _ZN7rocprim17ROCPRIM_400000_NS6detail17trampoline_kernelINS0_14default_configENS1_25transform_config_selectorINS0_10empty_typeELb1EEEZNS1_14transform_implILb1ES3_S6_PS5_S8_NS0_8identityIS5_EEEE10hipError_tT2_T3_mT4_P12ihipStream_tbEUlT_E_NS1_11comp_targetILNS1_3genE3ELNS1_11target_archE908ELNS1_3gpuE7ELNS1_3repE0EEENS1_30default_config_static_selectorELNS0_4arch9wavefront6targetE0EEEvT1_.has_dyn_sized_stack, 0
	.set _ZN7rocprim17ROCPRIM_400000_NS6detail17trampoline_kernelINS0_14default_configENS1_25transform_config_selectorINS0_10empty_typeELb1EEEZNS1_14transform_implILb1ES3_S6_PS5_S8_NS0_8identityIS5_EEEE10hipError_tT2_T3_mT4_P12ihipStream_tbEUlT_E_NS1_11comp_targetILNS1_3genE3ELNS1_11target_archE908ELNS1_3gpuE7ELNS1_3repE0EEENS1_30default_config_static_selectorELNS0_4arch9wavefront6targetE0EEEvT1_.has_recursion, 0
	.set _ZN7rocprim17ROCPRIM_400000_NS6detail17trampoline_kernelINS0_14default_configENS1_25transform_config_selectorINS0_10empty_typeELb1EEEZNS1_14transform_implILb1ES3_S6_PS5_S8_NS0_8identityIS5_EEEE10hipError_tT2_T3_mT4_P12ihipStream_tbEUlT_E_NS1_11comp_targetILNS1_3genE3ELNS1_11target_archE908ELNS1_3gpuE7ELNS1_3repE0EEENS1_30default_config_static_selectorELNS0_4arch9wavefront6targetE0EEEvT1_.has_indirect_call, 0
	.section	.AMDGPU.csdata,"",@progbits
; Kernel info:
; codeLenInByte = 0
; TotalNumSgprs: 0
; NumVgprs: 0
; ScratchSize: 0
; MemoryBound: 0
; FloatMode: 240
; IeeeMode: 1
; LDSByteSize: 0 bytes/workgroup (compile time only)
; SGPRBlocks: 0
; VGPRBlocks: 0
; NumSGPRsForWavesPerEU: 1
; NumVGPRsForWavesPerEU: 1
; NamedBarCnt: 0
; Occupancy: 16
; WaveLimiterHint : 0
; COMPUTE_PGM_RSRC2:SCRATCH_EN: 0
; COMPUTE_PGM_RSRC2:USER_SGPR: 2
; COMPUTE_PGM_RSRC2:TRAP_HANDLER: 0
; COMPUTE_PGM_RSRC2:TGID_X_EN: 1
; COMPUTE_PGM_RSRC2:TGID_Y_EN: 0
; COMPUTE_PGM_RSRC2:TGID_Z_EN: 0
; COMPUTE_PGM_RSRC2:TIDIG_COMP_CNT: 0
	.section	.text._ZN7rocprim17ROCPRIM_400000_NS6detail17trampoline_kernelINS0_14default_configENS1_25transform_config_selectorINS0_10empty_typeELb1EEEZNS1_14transform_implILb1ES3_S6_PS5_S8_NS0_8identityIS5_EEEE10hipError_tT2_T3_mT4_P12ihipStream_tbEUlT_E_NS1_11comp_targetILNS1_3genE2ELNS1_11target_archE906ELNS1_3gpuE6ELNS1_3repE0EEENS1_30default_config_static_selectorELNS0_4arch9wavefront6targetE0EEEvT1_,"axG",@progbits,_ZN7rocprim17ROCPRIM_400000_NS6detail17trampoline_kernelINS0_14default_configENS1_25transform_config_selectorINS0_10empty_typeELb1EEEZNS1_14transform_implILb1ES3_S6_PS5_S8_NS0_8identityIS5_EEEE10hipError_tT2_T3_mT4_P12ihipStream_tbEUlT_E_NS1_11comp_targetILNS1_3genE2ELNS1_11target_archE906ELNS1_3gpuE6ELNS1_3repE0EEENS1_30default_config_static_selectorELNS0_4arch9wavefront6targetE0EEEvT1_,comdat
	.protected	_ZN7rocprim17ROCPRIM_400000_NS6detail17trampoline_kernelINS0_14default_configENS1_25transform_config_selectorINS0_10empty_typeELb1EEEZNS1_14transform_implILb1ES3_S6_PS5_S8_NS0_8identityIS5_EEEE10hipError_tT2_T3_mT4_P12ihipStream_tbEUlT_E_NS1_11comp_targetILNS1_3genE2ELNS1_11target_archE906ELNS1_3gpuE6ELNS1_3repE0EEENS1_30default_config_static_selectorELNS0_4arch9wavefront6targetE0EEEvT1_ ; -- Begin function _ZN7rocprim17ROCPRIM_400000_NS6detail17trampoline_kernelINS0_14default_configENS1_25transform_config_selectorINS0_10empty_typeELb1EEEZNS1_14transform_implILb1ES3_S6_PS5_S8_NS0_8identityIS5_EEEE10hipError_tT2_T3_mT4_P12ihipStream_tbEUlT_E_NS1_11comp_targetILNS1_3genE2ELNS1_11target_archE906ELNS1_3gpuE6ELNS1_3repE0EEENS1_30default_config_static_selectorELNS0_4arch9wavefront6targetE0EEEvT1_
	.globl	_ZN7rocprim17ROCPRIM_400000_NS6detail17trampoline_kernelINS0_14default_configENS1_25transform_config_selectorINS0_10empty_typeELb1EEEZNS1_14transform_implILb1ES3_S6_PS5_S8_NS0_8identityIS5_EEEE10hipError_tT2_T3_mT4_P12ihipStream_tbEUlT_E_NS1_11comp_targetILNS1_3genE2ELNS1_11target_archE906ELNS1_3gpuE6ELNS1_3repE0EEENS1_30default_config_static_selectorELNS0_4arch9wavefront6targetE0EEEvT1_
	.p2align	8
	.type	_ZN7rocprim17ROCPRIM_400000_NS6detail17trampoline_kernelINS0_14default_configENS1_25transform_config_selectorINS0_10empty_typeELb1EEEZNS1_14transform_implILb1ES3_S6_PS5_S8_NS0_8identityIS5_EEEE10hipError_tT2_T3_mT4_P12ihipStream_tbEUlT_E_NS1_11comp_targetILNS1_3genE2ELNS1_11target_archE906ELNS1_3gpuE6ELNS1_3repE0EEENS1_30default_config_static_selectorELNS0_4arch9wavefront6targetE0EEEvT1_,@function
_ZN7rocprim17ROCPRIM_400000_NS6detail17trampoline_kernelINS0_14default_configENS1_25transform_config_selectorINS0_10empty_typeELb1EEEZNS1_14transform_implILb1ES3_S6_PS5_S8_NS0_8identityIS5_EEEE10hipError_tT2_T3_mT4_P12ihipStream_tbEUlT_E_NS1_11comp_targetILNS1_3genE2ELNS1_11target_archE906ELNS1_3gpuE6ELNS1_3repE0EEENS1_30default_config_static_selectorELNS0_4arch9wavefront6targetE0EEEvT1_: ; @_ZN7rocprim17ROCPRIM_400000_NS6detail17trampoline_kernelINS0_14default_configENS1_25transform_config_selectorINS0_10empty_typeELb1EEEZNS1_14transform_implILb1ES3_S6_PS5_S8_NS0_8identityIS5_EEEE10hipError_tT2_T3_mT4_P12ihipStream_tbEUlT_E_NS1_11comp_targetILNS1_3genE2ELNS1_11target_archE906ELNS1_3gpuE6ELNS1_3repE0EEENS1_30default_config_static_selectorELNS0_4arch9wavefront6targetE0EEEvT1_
; %bb.0:
	.section	.rodata,"a",@progbits
	.p2align	6, 0x0
	.amdhsa_kernel _ZN7rocprim17ROCPRIM_400000_NS6detail17trampoline_kernelINS0_14default_configENS1_25transform_config_selectorINS0_10empty_typeELb1EEEZNS1_14transform_implILb1ES3_S6_PS5_S8_NS0_8identityIS5_EEEE10hipError_tT2_T3_mT4_P12ihipStream_tbEUlT_E_NS1_11comp_targetILNS1_3genE2ELNS1_11target_archE906ELNS1_3gpuE6ELNS1_3repE0EEENS1_30default_config_static_selectorELNS0_4arch9wavefront6targetE0EEEvT1_
		.amdhsa_group_segment_fixed_size 0
		.amdhsa_private_segment_fixed_size 0
		.amdhsa_kernarg_size 40
		.amdhsa_user_sgpr_count 2
		.amdhsa_user_sgpr_dispatch_ptr 0
		.amdhsa_user_sgpr_queue_ptr 0
		.amdhsa_user_sgpr_kernarg_segment_ptr 1
		.amdhsa_user_sgpr_dispatch_id 0
		.amdhsa_user_sgpr_kernarg_preload_length 0
		.amdhsa_user_sgpr_kernarg_preload_offset 0
		.amdhsa_user_sgpr_private_segment_size 0
		.amdhsa_wavefront_size32 1
		.amdhsa_uses_dynamic_stack 0
		.amdhsa_enable_private_segment 0
		.amdhsa_system_sgpr_workgroup_id_x 1
		.amdhsa_system_sgpr_workgroup_id_y 0
		.amdhsa_system_sgpr_workgroup_id_z 0
		.amdhsa_system_sgpr_workgroup_info 0
		.amdhsa_system_vgpr_workitem_id 0
		.amdhsa_next_free_vgpr 1
		.amdhsa_next_free_sgpr 1
		.amdhsa_named_barrier_count 0
		.amdhsa_reserve_vcc 0
		.amdhsa_float_round_mode_32 0
		.amdhsa_float_round_mode_16_64 0
		.amdhsa_float_denorm_mode_32 3
		.amdhsa_float_denorm_mode_16_64 3
		.amdhsa_fp16_overflow 0
		.amdhsa_memory_ordered 1
		.amdhsa_forward_progress 1
		.amdhsa_inst_pref_size 0
		.amdhsa_round_robin_scheduling 0
		.amdhsa_exception_fp_ieee_invalid_op 0
		.amdhsa_exception_fp_denorm_src 0
		.amdhsa_exception_fp_ieee_div_zero 0
		.amdhsa_exception_fp_ieee_overflow 0
		.amdhsa_exception_fp_ieee_underflow 0
		.amdhsa_exception_fp_ieee_inexact 0
		.amdhsa_exception_int_div_zero 0
	.end_amdhsa_kernel
	.section	.text._ZN7rocprim17ROCPRIM_400000_NS6detail17trampoline_kernelINS0_14default_configENS1_25transform_config_selectorINS0_10empty_typeELb1EEEZNS1_14transform_implILb1ES3_S6_PS5_S8_NS0_8identityIS5_EEEE10hipError_tT2_T3_mT4_P12ihipStream_tbEUlT_E_NS1_11comp_targetILNS1_3genE2ELNS1_11target_archE906ELNS1_3gpuE6ELNS1_3repE0EEENS1_30default_config_static_selectorELNS0_4arch9wavefront6targetE0EEEvT1_,"axG",@progbits,_ZN7rocprim17ROCPRIM_400000_NS6detail17trampoline_kernelINS0_14default_configENS1_25transform_config_selectorINS0_10empty_typeELb1EEEZNS1_14transform_implILb1ES3_S6_PS5_S8_NS0_8identityIS5_EEEE10hipError_tT2_T3_mT4_P12ihipStream_tbEUlT_E_NS1_11comp_targetILNS1_3genE2ELNS1_11target_archE906ELNS1_3gpuE6ELNS1_3repE0EEENS1_30default_config_static_selectorELNS0_4arch9wavefront6targetE0EEEvT1_,comdat
.Lfunc_end55:
	.size	_ZN7rocprim17ROCPRIM_400000_NS6detail17trampoline_kernelINS0_14default_configENS1_25transform_config_selectorINS0_10empty_typeELb1EEEZNS1_14transform_implILb1ES3_S6_PS5_S8_NS0_8identityIS5_EEEE10hipError_tT2_T3_mT4_P12ihipStream_tbEUlT_E_NS1_11comp_targetILNS1_3genE2ELNS1_11target_archE906ELNS1_3gpuE6ELNS1_3repE0EEENS1_30default_config_static_selectorELNS0_4arch9wavefront6targetE0EEEvT1_, .Lfunc_end55-_ZN7rocprim17ROCPRIM_400000_NS6detail17trampoline_kernelINS0_14default_configENS1_25transform_config_selectorINS0_10empty_typeELb1EEEZNS1_14transform_implILb1ES3_S6_PS5_S8_NS0_8identityIS5_EEEE10hipError_tT2_T3_mT4_P12ihipStream_tbEUlT_E_NS1_11comp_targetILNS1_3genE2ELNS1_11target_archE906ELNS1_3gpuE6ELNS1_3repE0EEENS1_30default_config_static_selectorELNS0_4arch9wavefront6targetE0EEEvT1_
                                        ; -- End function
	.set _ZN7rocprim17ROCPRIM_400000_NS6detail17trampoline_kernelINS0_14default_configENS1_25transform_config_selectorINS0_10empty_typeELb1EEEZNS1_14transform_implILb1ES3_S6_PS5_S8_NS0_8identityIS5_EEEE10hipError_tT2_T3_mT4_P12ihipStream_tbEUlT_E_NS1_11comp_targetILNS1_3genE2ELNS1_11target_archE906ELNS1_3gpuE6ELNS1_3repE0EEENS1_30default_config_static_selectorELNS0_4arch9wavefront6targetE0EEEvT1_.num_vgpr, 0
	.set _ZN7rocprim17ROCPRIM_400000_NS6detail17trampoline_kernelINS0_14default_configENS1_25transform_config_selectorINS0_10empty_typeELb1EEEZNS1_14transform_implILb1ES3_S6_PS5_S8_NS0_8identityIS5_EEEE10hipError_tT2_T3_mT4_P12ihipStream_tbEUlT_E_NS1_11comp_targetILNS1_3genE2ELNS1_11target_archE906ELNS1_3gpuE6ELNS1_3repE0EEENS1_30default_config_static_selectorELNS0_4arch9wavefront6targetE0EEEvT1_.num_agpr, 0
	.set _ZN7rocprim17ROCPRIM_400000_NS6detail17trampoline_kernelINS0_14default_configENS1_25transform_config_selectorINS0_10empty_typeELb1EEEZNS1_14transform_implILb1ES3_S6_PS5_S8_NS0_8identityIS5_EEEE10hipError_tT2_T3_mT4_P12ihipStream_tbEUlT_E_NS1_11comp_targetILNS1_3genE2ELNS1_11target_archE906ELNS1_3gpuE6ELNS1_3repE0EEENS1_30default_config_static_selectorELNS0_4arch9wavefront6targetE0EEEvT1_.numbered_sgpr, 0
	.set _ZN7rocprim17ROCPRIM_400000_NS6detail17trampoline_kernelINS0_14default_configENS1_25transform_config_selectorINS0_10empty_typeELb1EEEZNS1_14transform_implILb1ES3_S6_PS5_S8_NS0_8identityIS5_EEEE10hipError_tT2_T3_mT4_P12ihipStream_tbEUlT_E_NS1_11comp_targetILNS1_3genE2ELNS1_11target_archE906ELNS1_3gpuE6ELNS1_3repE0EEENS1_30default_config_static_selectorELNS0_4arch9wavefront6targetE0EEEvT1_.num_named_barrier, 0
	.set _ZN7rocprim17ROCPRIM_400000_NS6detail17trampoline_kernelINS0_14default_configENS1_25transform_config_selectorINS0_10empty_typeELb1EEEZNS1_14transform_implILb1ES3_S6_PS5_S8_NS0_8identityIS5_EEEE10hipError_tT2_T3_mT4_P12ihipStream_tbEUlT_E_NS1_11comp_targetILNS1_3genE2ELNS1_11target_archE906ELNS1_3gpuE6ELNS1_3repE0EEENS1_30default_config_static_selectorELNS0_4arch9wavefront6targetE0EEEvT1_.private_seg_size, 0
	.set _ZN7rocprim17ROCPRIM_400000_NS6detail17trampoline_kernelINS0_14default_configENS1_25transform_config_selectorINS0_10empty_typeELb1EEEZNS1_14transform_implILb1ES3_S6_PS5_S8_NS0_8identityIS5_EEEE10hipError_tT2_T3_mT4_P12ihipStream_tbEUlT_E_NS1_11comp_targetILNS1_3genE2ELNS1_11target_archE906ELNS1_3gpuE6ELNS1_3repE0EEENS1_30default_config_static_selectorELNS0_4arch9wavefront6targetE0EEEvT1_.uses_vcc, 0
	.set _ZN7rocprim17ROCPRIM_400000_NS6detail17trampoline_kernelINS0_14default_configENS1_25transform_config_selectorINS0_10empty_typeELb1EEEZNS1_14transform_implILb1ES3_S6_PS5_S8_NS0_8identityIS5_EEEE10hipError_tT2_T3_mT4_P12ihipStream_tbEUlT_E_NS1_11comp_targetILNS1_3genE2ELNS1_11target_archE906ELNS1_3gpuE6ELNS1_3repE0EEENS1_30default_config_static_selectorELNS0_4arch9wavefront6targetE0EEEvT1_.uses_flat_scratch, 0
	.set _ZN7rocprim17ROCPRIM_400000_NS6detail17trampoline_kernelINS0_14default_configENS1_25transform_config_selectorINS0_10empty_typeELb1EEEZNS1_14transform_implILb1ES3_S6_PS5_S8_NS0_8identityIS5_EEEE10hipError_tT2_T3_mT4_P12ihipStream_tbEUlT_E_NS1_11comp_targetILNS1_3genE2ELNS1_11target_archE906ELNS1_3gpuE6ELNS1_3repE0EEENS1_30default_config_static_selectorELNS0_4arch9wavefront6targetE0EEEvT1_.has_dyn_sized_stack, 0
	.set _ZN7rocprim17ROCPRIM_400000_NS6detail17trampoline_kernelINS0_14default_configENS1_25transform_config_selectorINS0_10empty_typeELb1EEEZNS1_14transform_implILb1ES3_S6_PS5_S8_NS0_8identityIS5_EEEE10hipError_tT2_T3_mT4_P12ihipStream_tbEUlT_E_NS1_11comp_targetILNS1_3genE2ELNS1_11target_archE906ELNS1_3gpuE6ELNS1_3repE0EEENS1_30default_config_static_selectorELNS0_4arch9wavefront6targetE0EEEvT1_.has_recursion, 0
	.set _ZN7rocprim17ROCPRIM_400000_NS6detail17trampoline_kernelINS0_14default_configENS1_25transform_config_selectorINS0_10empty_typeELb1EEEZNS1_14transform_implILb1ES3_S6_PS5_S8_NS0_8identityIS5_EEEE10hipError_tT2_T3_mT4_P12ihipStream_tbEUlT_E_NS1_11comp_targetILNS1_3genE2ELNS1_11target_archE906ELNS1_3gpuE6ELNS1_3repE0EEENS1_30default_config_static_selectorELNS0_4arch9wavefront6targetE0EEEvT1_.has_indirect_call, 0
	.section	.AMDGPU.csdata,"",@progbits
; Kernel info:
; codeLenInByte = 0
; TotalNumSgprs: 0
; NumVgprs: 0
; ScratchSize: 0
; MemoryBound: 0
; FloatMode: 240
; IeeeMode: 1
; LDSByteSize: 0 bytes/workgroup (compile time only)
; SGPRBlocks: 0
; VGPRBlocks: 0
; NumSGPRsForWavesPerEU: 1
; NumVGPRsForWavesPerEU: 1
; NamedBarCnt: 0
; Occupancy: 16
; WaveLimiterHint : 0
; COMPUTE_PGM_RSRC2:SCRATCH_EN: 0
; COMPUTE_PGM_RSRC2:USER_SGPR: 2
; COMPUTE_PGM_RSRC2:TRAP_HANDLER: 0
; COMPUTE_PGM_RSRC2:TGID_X_EN: 1
; COMPUTE_PGM_RSRC2:TGID_Y_EN: 0
; COMPUTE_PGM_RSRC2:TGID_Z_EN: 0
; COMPUTE_PGM_RSRC2:TIDIG_COMP_CNT: 0
	.section	.text._ZN7rocprim17ROCPRIM_400000_NS6detail17trampoline_kernelINS0_14default_configENS1_25transform_config_selectorINS0_10empty_typeELb1EEEZNS1_14transform_implILb1ES3_S6_PS5_S8_NS0_8identityIS5_EEEE10hipError_tT2_T3_mT4_P12ihipStream_tbEUlT_E_NS1_11comp_targetILNS1_3genE9ELNS1_11target_archE1100ELNS1_3gpuE3ELNS1_3repE0EEENS1_30default_config_static_selectorELNS0_4arch9wavefront6targetE0EEEvT1_,"axG",@progbits,_ZN7rocprim17ROCPRIM_400000_NS6detail17trampoline_kernelINS0_14default_configENS1_25transform_config_selectorINS0_10empty_typeELb1EEEZNS1_14transform_implILb1ES3_S6_PS5_S8_NS0_8identityIS5_EEEE10hipError_tT2_T3_mT4_P12ihipStream_tbEUlT_E_NS1_11comp_targetILNS1_3genE9ELNS1_11target_archE1100ELNS1_3gpuE3ELNS1_3repE0EEENS1_30default_config_static_selectorELNS0_4arch9wavefront6targetE0EEEvT1_,comdat
	.protected	_ZN7rocprim17ROCPRIM_400000_NS6detail17trampoline_kernelINS0_14default_configENS1_25transform_config_selectorINS0_10empty_typeELb1EEEZNS1_14transform_implILb1ES3_S6_PS5_S8_NS0_8identityIS5_EEEE10hipError_tT2_T3_mT4_P12ihipStream_tbEUlT_E_NS1_11comp_targetILNS1_3genE9ELNS1_11target_archE1100ELNS1_3gpuE3ELNS1_3repE0EEENS1_30default_config_static_selectorELNS0_4arch9wavefront6targetE0EEEvT1_ ; -- Begin function _ZN7rocprim17ROCPRIM_400000_NS6detail17trampoline_kernelINS0_14default_configENS1_25transform_config_selectorINS0_10empty_typeELb1EEEZNS1_14transform_implILb1ES3_S6_PS5_S8_NS0_8identityIS5_EEEE10hipError_tT2_T3_mT4_P12ihipStream_tbEUlT_E_NS1_11comp_targetILNS1_3genE9ELNS1_11target_archE1100ELNS1_3gpuE3ELNS1_3repE0EEENS1_30default_config_static_selectorELNS0_4arch9wavefront6targetE0EEEvT1_
	.globl	_ZN7rocprim17ROCPRIM_400000_NS6detail17trampoline_kernelINS0_14default_configENS1_25transform_config_selectorINS0_10empty_typeELb1EEEZNS1_14transform_implILb1ES3_S6_PS5_S8_NS0_8identityIS5_EEEE10hipError_tT2_T3_mT4_P12ihipStream_tbEUlT_E_NS1_11comp_targetILNS1_3genE9ELNS1_11target_archE1100ELNS1_3gpuE3ELNS1_3repE0EEENS1_30default_config_static_selectorELNS0_4arch9wavefront6targetE0EEEvT1_
	.p2align	8
	.type	_ZN7rocprim17ROCPRIM_400000_NS6detail17trampoline_kernelINS0_14default_configENS1_25transform_config_selectorINS0_10empty_typeELb1EEEZNS1_14transform_implILb1ES3_S6_PS5_S8_NS0_8identityIS5_EEEE10hipError_tT2_T3_mT4_P12ihipStream_tbEUlT_E_NS1_11comp_targetILNS1_3genE9ELNS1_11target_archE1100ELNS1_3gpuE3ELNS1_3repE0EEENS1_30default_config_static_selectorELNS0_4arch9wavefront6targetE0EEEvT1_,@function
_ZN7rocprim17ROCPRIM_400000_NS6detail17trampoline_kernelINS0_14default_configENS1_25transform_config_selectorINS0_10empty_typeELb1EEEZNS1_14transform_implILb1ES3_S6_PS5_S8_NS0_8identityIS5_EEEE10hipError_tT2_T3_mT4_P12ihipStream_tbEUlT_E_NS1_11comp_targetILNS1_3genE9ELNS1_11target_archE1100ELNS1_3gpuE3ELNS1_3repE0EEENS1_30default_config_static_selectorELNS0_4arch9wavefront6targetE0EEEvT1_: ; @_ZN7rocprim17ROCPRIM_400000_NS6detail17trampoline_kernelINS0_14default_configENS1_25transform_config_selectorINS0_10empty_typeELb1EEEZNS1_14transform_implILb1ES3_S6_PS5_S8_NS0_8identityIS5_EEEE10hipError_tT2_T3_mT4_P12ihipStream_tbEUlT_E_NS1_11comp_targetILNS1_3genE9ELNS1_11target_archE1100ELNS1_3gpuE3ELNS1_3repE0EEENS1_30default_config_static_selectorELNS0_4arch9wavefront6targetE0EEEvT1_
; %bb.0:
	.section	.rodata,"a",@progbits
	.p2align	6, 0x0
	.amdhsa_kernel _ZN7rocprim17ROCPRIM_400000_NS6detail17trampoline_kernelINS0_14default_configENS1_25transform_config_selectorINS0_10empty_typeELb1EEEZNS1_14transform_implILb1ES3_S6_PS5_S8_NS0_8identityIS5_EEEE10hipError_tT2_T3_mT4_P12ihipStream_tbEUlT_E_NS1_11comp_targetILNS1_3genE9ELNS1_11target_archE1100ELNS1_3gpuE3ELNS1_3repE0EEENS1_30default_config_static_selectorELNS0_4arch9wavefront6targetE0EEEvT1_
		.amdhsa_group_segment_fixed_size 0
		.amdhsa_private_segment_fixed_size 0
		.amdhsa_kernarg_size 40
		.amdhsa_user_sgpr_count 2
		.amdhsa_user_sgpr_dispatch_ptr 0
		.amdhsa_user_sgpr_queue_ptr 0
		.amdhsa_user_sgpr_kernarg_segment_ptr 1
		.amdhsa_user_sgpr_dispatch_id 0
		.amdhsa_user_sgpr_kernarg_preload_length 0
		.amdhsa_user_sgpr_kernarg_preload_offset 0
		.amdhsa_user_sgpr_private_segment_size 0
		.amdhsa_wavefront_size32 1
		.amdhsa_uses_dynamic_stack 0
		.amdhsa_enable_private_segment 0
		.amdhsa_system_sgpr_workgroup_id_x 1
		.amdhsa_system_sgpr_workgroup_id_y 0
		.amdhsa_system_sgpr_workgroup_id_z 0
		.amdhsa_system_sgpr_workgroup_info 0
		.amdhsa_system_vgpr_workitem_id 0
		.amdhsa_next_free_vgpr 1
		.amdhsa_next_free_sgpr 1
		.amdhsa_named_barrier_count 0
		.amdhsa_reserve_vcc 0
		.amdhsa_float_round_mode_32 0
		.amdhsa_float_round_mode_16_64 0
		.amdhsa_float_denorm_mode_32 3
		.amdhsa_float_denorm_mode_16_64 3
		.amdhsa_fp16_overflow 0
		.amdhsa_memory_ordered 1
		.amdhsa_forward_progress 1
		.amdhsa_inst_pref_size 0
		.amdhsa_round_robin_scheduling 0
		.amdhsa_exception_fp_ieee_invalid_op 0
		.amdhsa_exception_fp_denorm_src 0
		.amdhsa_exception_fp_ieee_div_zero 0
		.amdhsa_exception_fp_ieee_overflow 0
		.amdhsa_exception_fp_ieee_underflow 0
		.amdhsa_exception_fp_ieee_inexact 0
		.amdhsa_exception_int_div_zero 0
	.end_amdhsa_kernel
	.section	.text._ZN7rocprim17ROCPRIM_400000_NS6detail17trampoline_kernelINS0_14default_configENS1_25transform_config_selectorINS0_10empty_typeELb1EEEZNS1_14transform_implILb1ES3_S6_PS5_S8_NS0_8identityIS5_EEEE10hipError_tT2_T3_mT4_P12ihipStream_tbEUlT_E_NS1_11comp_targetILNS1_3genE9ELNS1_11target_archE1100ELNS1_3gpuE3ELNS1_3repE0EEENS1_30default_config_static_selectorELNS0_4arch9wavefront6targetE0EEEvT1_,"axG",@progbits,_ZN7rocprim17ROCPRIM_400000_NS6detail17trampoline_kernelINS0_14default_configENS1_25transform_config_selectorINS0_10empty_typeELb1EEEZNS1_14transform_implILb1ES3_S6_PS5_S8_NS0_8identityIS5_EEEE10hipError_tT2_T3_mT4_P12ihipStream_tbEUlT_E_NS1_11comp_targetILNS1_3genE9ELNS1_11target_archE1100ELNS1_3gpuE3ELNS1_3repE0EEENS1_30default_config_static_selectorELNS0_4arch9wavefront6targetE0EEEvT1_,comdat
.Lfunc_end56:
	.size	_ZN7rocprim17ROCPRIM_400000_NS6detail17trampoline_kernelINS0_14default_configENS1_25transform_config_selectorINS0_10empty_typeELb1EEEZNS1_14transform_implILb1ES3_S6_PS5_S8_NS0_8identityIS5_EEEE10hipError_tT2_T3_mT4_P12ihipStream_tbEUlT_E_NS1_11comp_targetILNS1_3genE9ELNS1_11target_archE1100ELNS1_3gpuE3ELNS1_3repE0EEENS1_30default_config_static_selectorELNS0_4arch9wavefront6targetE0EEEvT1_, .Lfunc_end56-_ZN7rocprim17ROCPRIM_400000_NS6detail17trampoline_kernelINS0_14default_configENS1_25transform_config_selectorINS0_10empty_typeELb1EEEZNS1_14transform_implILb1ES3_S6_PS5_S8_NS0_8identityIS5_EEEE10hipError_tT2_T3_mT4_P12ihipStream_tbEUlT_E_NS1_11comp_targetILNS1_3genE9ELNS1_11target_archE1100ELNS1_3gpuE3ELNS1_3repE0EEENS1_30default_config_static_selectorELNS0_4arch9wavefront6targetE0EEEvT1_
                                        ; -- End function
	.set _ZN7rocprim17ROCPRIM_400000_NS6detail17trampoline_kernelINS0_14default_configENS1_25transform_config_selectorINS0_10empty_typeELb1EEEZNS1_14transform_implILb1ES3_S6_PS5_S8_NS0_8identityIS5_EEEE10hipError_tT2_T3_mT4_P12ihipStream_tbEUlT_E_NS1_11comp_targetILNS1_3genE9ELNS1_11target_archE1100ELNS1_3gpuE3ELNS1_3repE0EEENS1_30default_config_static_selectorELNS0_4arch9wavefront6targetE0EEEvT1_.num_vgpr, 0
	.set _ZN7rocprim17ROCPRIM_400000_NS6detail17trampoline_kernelINS0_14default_configENS1_25transform_config_selectorINS0_10empty_typeELb1EEEZNS1_14transform_implILb1ES3_S6_PS5_S8_NS0_8identityIS5_EEEE10hipError_tT2_T3_mT4_P12ihipStream_tbEUlT_E_NS1_11comp_targetILNS1_3genE9ELNS1_11target_archE1100ELNS1_3gpuE3ELNS1_3repE0EEENS1_30default_config_static_selectorELNS0_4arch9wavefront6targetE0EEEvT1_.num_agpr, 0
	.set _ZN7rocprim17ROCPRIM_400000_NS6detail17trampoline_kernelINS0_14default_configENS1_25transform_config_selectorINS0_10empty_typeELb1EEEZNS1_14transform_implILb1ES3_S6_PS5_S8_NS0_8identityIS5_EEEE10hipError_tT2_T3_mT4_P12ihipStream_tbEUlT_E_NS1_11comp_targetILNS1_3genE9ELNS1_11target_archE1100ELNS1_3gpuE3ELNS1_3repE0EEENS1_30default_config_static_selectorELNS0_4arch9wavefront6targetE0EEEvT1_.numbered_sgpr, 0
	.set _ZN7rocprim17ROCPRIM_400000_NS6detail17trampoline_kernelINS0_14default_configENS1_25transform_config_selectorINS0_10empty_typeELb1EEEZNS1_14transform_implILb1ES3_S6_PS5_S8_NS0_8identityIS5_EEEE10hipError_tT2_T3_mT4_P12ihipStream_tbEUlT_E_NS1_11comp_targetILNS1_3genE9ELNS1_11target_archE1100ELNS1_3gpuE3ELNS1_3repE0EEENS1_30default_config_static_selectorELNS0_4arch9wavefront6targetE0EEEvT1_.num_named_barrier, 0
	.set _ZN7rocprim17ROCPRIM_400000_NS6detail17trampoline_kernelINS0_14default_configENS1_25transform_config_selectorINS0_10empty_typeELb1EEEZNS1_14transform_implILb1ES3_S6_PS5_S8_NS0_8identityIS5_EEEE10hipError_tT2_T3_mT4_P12ihipStream_tbEUlT_E_NS1_11comp_targetILNS1_3genE9ELNS1_11target_archE1100ELNS1_3gpuE3ELNS1_3repE0EEENS1_30default_config_static_selectorELNS0_4arch9wavefront6targetE0EEEvT1_.private_seg_size, 0
	.set _ZN7rocprim17ROCPRIM_400000_NS6detail17trampoline_kernelINS0_14default_configENS1_25transform_config_selectorINS0_10empty_typeELb1EEEZNS1_14transform_implILb1ES3_S6_PS5_S8_NS0_8identityIS5_EEEE10hipError_tT2_T3_mT4_P12ihipStream_tbEUlT_E_NS1_11comp_targetILNS1_3genE9ELNS1_11target_archE1100ELNS1_3gpuE3ELNS1_3repE0EEENS1_30default_config_static_selectorELNS0_4arch9wavefront6targetE0EEEvT1_.uses_vcc, 0
	.set _ZN7rocprim17ROCPRIM_400000_NS6detail17trampoline_kernelINS0_14default_configENS1_25transform_config_selectorINS0_10empty_typeELb1EEEZNS1_14transform_implILb1ES3_S6_PS5_S8_NS0_8identityIS5_EEEE10hipError_tT2_T3_mT4_P12ihipStream_tbEUlT_E_NS1_11comp_targetILNS1_3genE9ELNS1_11target_archE1100ELNS1_3gpuE3ELNS1_3repE0EEENS1_30default_config_static_selectorELNS0_4arch9wavefront6targetE0EEEvT1_.uses_flat_scratch, 0
	.set _ZN7rocprim17ROCPRIM_400000_NS6detail17trampoline_kernelINS0_14default_configENS1_25transform_config_selectorINS0_10empty_typeELb1EEEZNS1_14transform_implILb1ES3_S6_PS5_S8_NS0_8identityIS5_EEEE10hipError_tT2_T3_mT4_P12ihipStream_tbEUlT_E_NS1_11comp_targetILNS1_3genE9ELNS1_11target_archE1100ELNS1_3gpuE3ELNS1_3repE0EEENS1_30default_config_static_selectorELNS0_4arch9wavefront6targetE0EEEvT1_.has_dyn_sized_stack, 0
	.set _ZN7rocprim17ROCPRIM_400000_NS6detail17trampoline_kernelINS0_14default_configENS1_25transform_config_selectorINS0_10empty_typeELb1EEEZNS1_14transform_implILb1ES3_S6_PS5_S8_NS0_8identityIS5_EEEE10hipError_tT2_T3_mT4_P12ihipStream_tbEUlT_E_NS1_11comp_targetILNS1_3genE9ELNS1_11target_archE1100ELNS1_3gpuE3ELNS1_3repE0EEENS1_30default_config_static_selectorELNS0_4arch9wavefront6targetE0EEEvT1_.has_recursion, 0
	.set _ZN7rocprim17ROCPRIM_400000_NS6detail17trampoline_kernelINS0_14default_configENS1_25transform_config_selectorINS0_10empty_typeELb1EEEZNS1_14transform_implILb1ES3_S6_PS5_S8_NS0_8identityIS5_EEEE10hipError_tT2_T3_mT4_P12ihipStream_tbEUlT_E_NS1_11comp_targetILNS1_3genE9ELNS1_11target_archE1100ELNS1_3gpuE3ELNS1_3repE0EEENS1_30default_config_static_selectorELNS0_4arch9wavefront6targetE0EEEvT1_.has_indirect_call, 0
	.section	.AMDGPU.csdata,"",@progbits
; Kernel info:
; codeLenInByte = 0
; TotalNumSgprs: 0
; NumVgprs: 0
; ScratchSize: 0
; MemoryBound: 0
; FloatMode: 240
; IeeeMode: 1
; LDSByteSize: 0 bytes/workgroup (compile time only)
; SGPRBlocks: 0
; VGPRBlocks: 0
; NumSGPRsForWavesPerEU: 1
; NumVGPRsForWavesPerEU: 1
; NamedBarCnt: 0
; Occupancy: 16
; WaveLimiterHint : 0
; COMPUTE_PGM_RSRC2:SCRATCH_EN: 0
; COMPUTE_PGM_RSRC2:USER_SGPR: 2
; COMPUTE_PGM_RSRC2:TRAP_HANDLER: 0
; COMPUTE_PGM_RSRC2:TGID_X_EN: 1
; COMPUTE_PGM_RSRC2:TGID_Y_EN: 0
; COMPUTE_PGM_RSRC2:TGID_Z_EN: 0
; COMPUTE_PGM_RSRC2:TIDIG_COMP_CNT: 0
	.section	.text._ZN7rocprim17ROCPRIM_400000_NS6detail17trampoline_kernelINS0_14default_configENS1_25transform_config_selectorINS0_10empty_typeELb1EEEZNS1_14transform_implILb1ES3_S6_PS5_S8_NS0_8identityIS5_EEEE10hipError_tT2_T3_mT4_P12ihipStream_tbEUlT_E_NS1_11comp_targetILNS1_3genE8ELNS1_11target_archE1030ELNS1_3gpuE2ELNS1_3repE0EEENS1_30default_config_static_selectorELNS0_4arch9wavefront6targetE0EEEvT1_,"axG",@progbits,_ZN7rocprim17ROCPRIM_400000_NS6detail17trampoline_kernelINS0_14default_configENS1_25transform_config_selectorINS0_10empty_typeELb1EEEZNS1_14transform_implILb1ES3_S6_PS5_S8_NS0_8identityIS5_EEEE10hipError_tT2_T3_mT4_P12ihipStream_tbEUlT_E_NS1_11comp_targetILNS1_3genE8ELNS1_11target_archE1030ELNS1_3gpuE2ELNS1_3repE0EEENS1_30default_config_static_selectorELNS0_4arch9wavefront6targetE0EEEvT1_,comdat
	.protected	_ZN7rocprim17ROCPRIM_400000_NS6detail17trampoline_kernelINS0_14default_configENS1_25transform_config_selectorINS0_10empty_typeELb1EEEZNS1_14transform_implILb1ES3_S6_PS5_S8_NS0_8identityIS5_EEEE10hipError_tT2_T3_mT4_P12ihipStream_tbEUlT_E_NS1_11comp_targetILNS1_3genE8ELNS1_11target_archE1030ELNS1_3gpuE2ELNS1_3repE0EEENS1_30default_config_static_selectorELNS0_4arch9wavefront6targetE0EEEvT1_ ; -- Begin function _ZN7rocprim17ROCPRIM_400000_NS6detail17trampoline_kernelINS0_14default_configENS1_25transform_config_selectorINS0_10empty_typeELb1EEEZNS1_14transform_implILb1ES3_S6_PS5_S8_NS0_8identityIS5_EEEE10hipError_tT2_T3_mT4_P12ihipStream_tbEUlT_E_NS1_11comp_targetILNS1_3genE8ELNS1_11target_archE1030ELNS1_3gpuE2ELNS1_3repE0EEENS1_30default_config_static_selectorELNS0_4arch9wavefront6targetE0EEEvT1_
	.globl	_ZN7rocprim17ROCPRIM_400000_NS6detail17trampoline_kernelINS0_14default_configENS1_25transform_config_selectorINS0_10empty_typeELb1EEEZNS1_14transform_implILb1ES3_S6_PS5_S8_NS0_8identityIS5_EEEE10hipError_tT2_T3_mT4_P12ihipStream_tbEUlT_E_NS1_11comp_targetILNS1_3genE8ELNS1_11target_archE1030ELNS1_3gpuE2ELNS1_3repE0EEENS1_30default_config_static_selectorELNS0_4arch9wavefront6targetE0EEEvT1_
	.p2align	8
	.type	_ZN7rocprim17ROCPRIM_400000_NS6detail17trampoline_kernelINS0_14default_configENS1_25transform_config_selectorINS0_10empty_typeELb1EEEZNS1_14transform_implILb1ES3_S6_PS5_S8_NS0_8identityIS5_EEEE10hipError_tT2_T3_mT4_P12ihipStream_tbEUlT_E_NS1_11comp_targetILNS1_3genE8ELNS1_11target_archE1030ELNS1_3gpuE2ELNS1_3repE0EEENS1_30default_config_static_selectorELNS0_4arch9wavefront6targetE0EEEvT1_,@function
_ZN7rocprim17ROCPRIM_400000_NS6detail17trampoline_kernelINS0_14default_configENS1_25transform_config_selectorINS0_10empty_typeELb1EEEZNS1_14transform_implILb1ES3_S6_PS5_S8_NS0_8identityIS5_EEEE10hipError_tT2_T3_mT4_P12ihipStream_tbEUlT_E_NS1_11comp_targetILNS1_3genE8ELNS1_11target_archE1030ELNS1_3gpuE2ELNS1_3repE0EEENS1_30default_config_static_selectorELNS0_4arch9wavefront6targetE0EEEvT1_: ; @_ZN7rocprim17ROCPRIM_400000_NS6detail17trampoline_kernelINS0_14default_configENS1_25transform_config_selectorINS0_10empty_typeELb1EEEZNS1_14transform_implILb1ES3_S6_PS5_S8_NS0_8identityIS5_EEEE10hipError_tT2_T3_mT4_P12ihipStream_tbEUlT_E_NS1_11comp_targetILNS1_3genE8ELNS1_11target_archE1030ELNS1_3gpuE2ELNS1_3repE0EEENS1_30default_config_static_selectorELNS0_4arch9wavefront6targetE0EEEvT1_
; %bb.0:
	.section	.rodata,"a",@progbits
	.p2align	6, 0x0
	.amdhsa_kernel _ZN7rocprim17ROCPRIM_400000_NS6detail17trampoline_kernelINS0_14default_configENS1_25transform_config_selectorINS0_10empty_typeELb1EEEZNS1_14transform_implILb1ES3_S6_PS5_S8_NS0_8identityIS5_EEEE10hipError_tT2_T3_mT4_P12ihipStream_tbEUlT_E_NS1_11comp_targetILNS1_3genE8ELNS1_11target_archE1030ELNS1_3gpuE2ELNS1_3repE0EEENS1_30default_config_static_selectorELNS0_4arch9wavefront6targetE0EEEvT1_
		.amdhsa_group_segment_fixed_size 0
		.amdhsa_private_segment_fixed_size 0
		.amdhsa_kernarg_size 40
		.amdhsa_user_sgpr_count 2
		.amdhsa_user_sgpr_dispatch_ptr 0
		.amdhsa_user_sgpr_queue_ptr 0
		.amdhsa_user_sgpr_kernarg_segment_ptr 1
		.amdhsa_user_sgpr_dispatch_id 0
		.amdhsa_user_sgpr_kernarg_preload_length 0
		.amdhsa_user_sgpr_kernarg_preload_offset 0
		.amdhsa_user_sgpr_private_segment_size 0
		.amdhsa_wavefront_size32 1
		.amdhsa_uses_dynamic_stack 0
		.amdhsa_enable_private_segment 0
		.amdhsa_system_sgpr_workgroup_id_x 1
		.amdhsa_system_sgpr_workgroup_id_y 0
		.amdhsa_system_sgpr_workgroup_id_z 0
		.amdhsa_system_sgpr_workgroup_info 0
		.amdhsa_system_vgpr_workitem_id 0
		.amdhsa_next_free_vgpr 1
		.amdhsa_next_free_sgpr 1
		.amdhsa_named_barrier_count 0
		.amdhsa_reserve_vcc 0
		.amdhsa_float_round_mode_32 0
		.amdhsa_float_round_mode_16_64 0
		.amdhsa_float_denorm_mode_32 3
		.amdhsa_float_denorm_mode_16_64 3
		.amdhsa_fp16_overflow 0
		.amdhsa_memory_ordered 1
		.amdhsa_forward_progress 1
		.amdhsa_inst_pref_size 0
		.amdhsa_round_robin_scheduling 0
		.amdhsa_exception_fp_ieee_invalid_op 0
		.amdhsa_exception_fp_denorm_src 0
		.amdhsa_exception_fp_ieee_div_zero 0
		.amdhsa_exception_fp_ieee_overflow 0
		.amdhsa_exception_fp_ieee_underflow 0
		.amdhsa_exception_fp_ieee_inexact 0
		.amdhsa_exception_int_div_zero 0
	.end_amdhsa_kernel
	.section	.text._ZN7rocprim17ROCPRIM_400000_NS6detail17trampoline_kernelINS0_14default_configENS1_25transform_config_selectorINS0_10empty_typeELb1EEEZNS1_14transform_implILb1ES3_S6_PS5_S8_NS0_8identityIS5_EEEE10hipError_tT2_T3_mT4_P12ihipStream_tbEUlT_E_NS1_11comp_targetILNS1_3genE8ELNS1_11target_archE1030ELNS1_3gpuE2ELNS1_3repE0EEENS1_30default_config_static_selectorELNS0_4arch9wavefront6targetE0EEEvT1_,"axG",@progbits,_ZN7rocprim17ROCPRIM_400000_NS6detail17trampoline_kernelINS0_14default_configENS1_25transform_config_selectorINS0_10empty_typeELb1EEEZNS1_14transform_implILb1ES3_S6_PS5_S8_NS0_8identityIS5_EEEE10hipError_tT2_T3_mT4_P12ihipStream_tbEUlT_E_NS1_11comp_targetILNS1_3genE8ELNS1_11target_archE1030ELNS1_3gpuE2ELNS1_3repE0EEENS1_30default_config_static_selectorELNS0_4arch9wavefront6targetE0EEEvT1_,comdat
.Lfunc_end57:
	.size	_ZN7rocprim17ROCPRIM_400000_NS6detail17trampoline_kernelINS0_14default_configENS1_25transform_config_selectorINS0_10empty_typeELb1EEEZNS1_14transform_implILb1ES3_S6_PS5_S8_NS0_8identityIS5_EEEE10hipError_tT2_T3_mT4_P12ihipStream_tbEUlT_E_NS1_11comp_targetILNS1_3genE8ELNS1_11target_archE1030ELNS1_3gpuE2ELNS1_3repE0EEENS1_30default_config_static_selectorELNS0_4arch9wavefront6targetE0EEEvT1_, .Lfunc_end57-_ZN7rocprim17ROCPRIM_400000_NS6detail17trampoline_kernelINS0_14default_configENS1_25transform_config_selectorINS0_10empty_typeELb1EEEZNS1_14transform_implILb1ES3_S6_PS5_S8_NS0_8identityIS5_EEEE10hipError_tT2_T3_mT4_P12ihipStream_tbEUlT_E_NS1_11comp_targetILNS1_3genE8ELNS1_11target_archE1030ELNS1_3gpuE2ELNS1_3repE0EEENS1_30default_config_static_selectorELNS0_4arch9wavefront6targetE0EEEvT1_
                                        ; -- End function
	.set _ZN7rocprim17ROCPRIM_400000_NS6detail17trampoline_kernelINS0_14default_configENS1_25transform_config_selectorINS0_10empty_typeELb1EEEZNS1_14transform_implILb1ES3_S6_PS5_S8_NS0_8identityIS5_EEEE10hipError_tT2_T3_mT4_P12ihipStream_tbEUlT_E_NS1_11comp_targetILNS1_3genE8ELNS1_11target_archE1030ELNS1_3gpuE2ELNS1_3repE0EEENS1_30default_config_static_selectorELNS0_4arch9wavefront6targetE0EEEvT1_.num_vgpr, 0
	.set _ZN7rocprim17ROCPRIM_400000_NS6detail17trampoline_kernelINS0_14default_configENS1_25transform_config_selectorINS0_10empty_typeELb1EEEZNS1_14transform_implILb1ES3_S6_PS5_S8_NS0_8identityIS5_EEEE10hipError_tT2_T3_mT4_P12ihipStream_tbEUlT_E_NS1_11comp_targetILNS1_3genE8ELNS1_11target_archE1030ELNS1_3gpuE2ELNS1_3repE0EEENS1_30default_config_static_selectorELNS0_4arch9wavefront6targetE0EEEvT1_.num_agpr, 0
	.set _ZN7rocprim17ROCPRIM_400000_NS6detail17trampoline_kernelINS0_14default_configENS1_25transform_config_selectorINS0_10empty_typeELb1EEEZNS1_14transform_implILb1ES3_S6_PS5_S8_NS0_8identityIS5_EEEE10hipError_tT2_T3_mT4_P12ihipStream_tbEUlT_E_NS1_11comp_targetILNS1_3genE8ELNS1_11target_archE1030ELNS1_3gpuE2ELNS1_3repE0EEENS1_30default_config_static_selectorELNS0_4arch9wavefront6targetE0EEEvT1_.numbered_sgpr, 0
	.set _ZN7rocprim17ROCPRIM_400000_NS6detail17trampoline_kernelINS0_14default_configENS1_25transform_config_selectorINS0_10empty_typeELb1EEEZNS1_14transform_implILb1ES3_S6_PS5_S8_NS0_8identityIS5_EEEE10hipError_tT2_T3_mT4_P12ihipStream_tbEUlT_E_NS1_11comp_targetILNS1_3genE8ELNS1_11target_archE1030ELNS1_3gpuE2ELNS1_3repE0EEENS1_30default_config_static_selectorELNS0_4arch9wavefront6targetE0EEEvT1_.num_named_barrier, 0
	.set _ZN7rocprim17ROCPRIM_400000_NS6detail17trampoline_kernelINS0_14default_configENS1_25transform_config_selectorINS0_10empty_typeELb1EEEZNS1_14transform_implILb1ES3_S6_PS5_S8_NS0_8identityIS5_EEEE10hipError_tT2_T3_mT4_P12ihipStream_tbEUlT_E_NS1_11comp_targetILNS1_3genE8ELNS1_11target_archE1030ELNS1_3gpuE2ELNS1_3repE0EEENS1_30default_config_static_selectorELNS0_4arch9wavefront6targetE0EEEvT1_.private_seg_size, 0
	.set _ZN7rocprim17ROCPRIM_400000_NS6detail17trampoline_kernelINS0_14default_configENS1_25transform_config_selectorINS0_10empty_typeELb1EEEZNS1_14transform_implILb1ES3_S6_PS5_S8_NS0_8identityIS5_EEEE10hipError_tT2_T3_mT4_P12ihipStream_tbEUlT_E_NS1_11comp_targetILNS1_3genE8ELNS1_11target_archE1030ELNS1_3gpuE2ELNS1_3repE0EEENS1_30default_config_static_selectorELNS0_4arch9wavefront6targetE0EEEvT1_.uses_vcc, 0
	.set _ZN7rocprim17ROCPRIM_400000_NS6detail17trampoline_kernelINS0_14default_configENS1_25transform_config_selectorINS0_10empty_typeELb1EEEZNS1_14transform_implILb1ES3_S6_PS5_S8_NS0_8identityIS5_EEEE10hipError_tT2_T3_mT4_P12ihipStream_tbEUlT_E_NS1_11comp_targetILNS1_3genE8ELNS1_11target_archE1030ELNS1_3gpuE2ELNS1_3repE0EEENS1_30default_config_static_selectorELNS0_4arch9wavefront6targetE0EEEvT1_.uses_flat_scratch, 0
	.set _ZN7rocprim17ROCPRIM_400000_NS6detail17trampoline_kernelINS0_14default_configENS1_25transform_config_selectorINS0_10empty_typeELb1EEEZNS1_14transform_implILb1ES3_S6_PS5_S8_NS0_8identityIS5_EEEE10hipError_tT2_T3_mT4_P12ihipStream_tbEUlT_E_NS1_11comp_targetILNS1_3genE8ELNS1_11target_archE1030ELNS1_3gpuE2ELNS1_3repE0EEENS1_30default_config_static_selectorELNS0_4arch9wavefront6targetE0EEEvT1_.has_dyn_sized_stack, 0
	.set _ZN7rocprim17ROCPRIM_400000_NS6detail17trampoline_kernelINS0_14default_configENS1_25transform_config_selectorINS0_10empty_typeELb1EEEZNS1_14transform_implILb1ES3_S6_PS5_S8_NS0_8identityIS5_EEEE10hipError_tT2_T3_mT4_P12ihipStream_tbEUlT_E_NS1_11comp_targetILNS1_3genE8ELNS1_11target_archE1030ELNS1_3gpuE2ELNS1_3repE0EEENS1_30default_config_static_selectorELNS0_4arch9wavefront6targetE0EEEvT1_.has_recursion, 0
	.set _ZN7rocprim17ROCPRIM_400000_NS6detail17trampoline_kernelINS0_14default_configENS1_25transform_config_selectorINS0_10empty_typeELb1EEEZNS1_14transform_implILb1ES3_S6_PS5_S8_NS0_8identityIS5_EEEE10hipError_tT2_T3_mT4_P12ihipStream_tbEUlT_E_NS1_11comp_targetILNS1_3genE8ELNS1_11target_archE1030ELNS1_3gpuE2ELNS1_3repE0EEENS1_30default_config_static_selectorELNS0_4arch9wavefront6targetE0EEEvT1_.has_indirect_call, 0
	.section	.AMDGPU.csdata,"",@progbits
; Kernel info:
; codeLenInByte = 0
; TotalNumSgprs: 0
; NumVgprs: 0
; ScratchSize: 0
; MemoryBound: 0
; FloatMode: 240
; IeeeMode: 1
; LDSByteSize: 0 bytes/workgroup (compile time only)
; SGPRBlocks: 0
; VGPRBlocks: 0
; NumSGPRsForWavesPerEU: 1
; NumVGPRsForWavesPerEU: 1
; NamedBarCnt: 0
; Occupancy: 16
; WaveLimiterHint : 0
; COMPUTE_PGM_RSRC2:SCRATCH_EN: 0
; COMPUTE_PGM_RSRC2:USER_SGPR: 2
; COMPUTE_PGM_RSRC2:TRAP_HANDLER: 0
; COMPUTE_PGM_RSRC2:TGID_X_EN: 1
; COMPUTE_PGM_RSRC2:TGID_Y_EN: 0
; COMPUTE_PGM_RSRC2:TGID_Z_EN: 0
; COMPUTE_PGM_RSRC2:TIDIG_COMP_CNT: 0
	.section	.text._ZN7rocprim17ROCPRIM_400000_NS6detail17trampoline_kernelINS0_14default_configENS1_35adjacent_difference_config_selectorILb0ElEEZNS1_24adjacent_difference_implIS3_Lb0ELb0EPlS7_ZN2at6native12_GLOBAL__N_124unique_dim_cuda_templateIhEESt5tupleIJNS8_6TensorESD_SD_EERKSD_lbbbEUlllE1_EE10hipError_tPvRmT2_T3_mT4_P12ihipStream_tbEUlT_E_NS1_11comp_targetILNS1_3genE0ELNS1_11target_archE4294967295ELNS1_3gpuE0ELNS1_3repE0EEENS1_30default_config_static_selectorELNS0_4arch9wavefront6targetE0EEEvT1_,"axG",@progbits,_ZN7rocprim17ROCPRIM_400000_NS6detail17trampoline_kernelINS0_14default_configENS1_35adjacent_difference_config_selectorILb0ElEEZNS1_24adjacent_difference_implIS3_Lb0ELb0EPlS7_ZN2at6native12_GLOBAL__N_124unique_dim_cuda_templateIhEESt5tupleIJNS8_6TensorESD_SD_EERKSD_lbbbEUlllE1_EE10hipError_tPvRmT2_T3_mT4_P12ihipStream_tbEUlT_E_NS1_11comp_targetILNS1_3genE0ELNS1_11target_archE4294967295ELNS1_3gpuE0ELNS1_3repE0EEENS1_30default_config_static_selectorELNS0_4arch9wavefront6targetE0EEEvT1_,comdat
	.globl	_ZN7rocprim17ROCPRIM_400000_NS6detail17trampoline_kernelINS0_14default_configENS1_35adjacent_difference_config_selectorILb0ElEEZNS1_24adjacent_difference_implIS3_Lb0ELb0EPlS7_ZN2at6native12_GLOBAL__N_124unique_dim_cuda_templateIhEESt5tupleIJNS8_6TensorESD_SD_EERKSD_lbbbEUlllE1_EE10hipError_tPvRmT2_T3_mT4_P12ihipStream_tbEUlT_E_NS1_11comp_targetILNS1_3genE0ELNS1_11target_archE4294967295ELNS1_3gpuE0ELNS1_3repE0EEENS1_30default_config_static_selectorELNS0_4arch9wavefront6targetE0EEEvT1_ ; -- Begin function _ZN7rocprim17ROCPRIM_400000_NS6detail17trampoline_kernelINS0_14default_configENS1_35adjacent_difference_config_selectorILb0ElEEZNS1_24adjacent_difference_implIS3_Lb0ELb0EPlS7_ZN2at6native12_GLOBAL__N_124unique_dim_cuda_templateIhEESt5tupleIJNS8_6TensorESD_SD_EERKSD_lbbbEUlllE1_EE10hipError_tPvRmT2_T3_mT4_P12ihipStream_tbEUlT_E_NS1_11comp_targetILNS1_3genE0ELNS1_11target_archE4294967295ELNS1_3gpuE0ELNS1_3repE0EEENS1_30default_config_static_selectorELNS0_4arch9wavefront6targetE0EEEvT1_
	.p2align	8
	.type	_ZN7rocprim17ROCPRIM_400000_NS6detail17trampoline_kernelINS0_14default_configENS1_35adjacent_difference_config_selectorILb0ElEEZNS1_24adjacent_difference_implIS3_Lb0ELb0EPlS7_ZN2at6native12_GLOBAL__N_124unique_dim_cuda_templateIhEESt5tupleIJNS8_6TensorESD_SD_EERKSD_lbbbEUlllE1_EE10hipError_tPvRmT2_T3_mT4_P12ihipStream_tbEUlT_E_NS1_11comp_targetILNS1_3genE0ELNS1_11target_archE4294967295ELNS1_3gpuE0ELNS1_3repE0EEENS1_30default_config_static_selectorELNS0_4arch9wavefront6targetE0EEEvT1_,@function
_ZN7rocprim17ROCPRIM_400000_NS6detail17trampoline_kernelINS0_14default_configENS1_35adjacent_difference_config_selectorILb0ElEEZNS1_24adjacent_difference_implIS3_Lb0ELb0EPlS7_ZN2at6native12_GLOBAL__N_124unique_dim_cuda_templateIhEESt5tupleIJNS8_6TensorESD_SD_EERKSD_lbbbEUlllE1_EE10hipError_tPvRmT2_T3_mT4_P12ihipStream_tbEUlT_E_NS1_11comp_targetILNS1_3genE0ELNS1_11target_archE4294967295ELNS1_3gpuE0ELNS1_3repE0EEENS1_30default_config_static_selectorELNS0_4arch9wavefront6targetE0EEEvT1_: ; @_ZN7rocprim17ROCPRIM_400000_NS6detail17trampoline_kernelINS0_14default_configENS1_35adjacent_difference_config_selectorILb0ElEEZNS1_24adjacent_difference_implIS3_Lb0ELb0EPlS7_ZN2at6native12_GLOBAL__N_124unique_dim_cuda_templateIhEESt5tupleIJNS8_6TensorESD_SD_EERKSD_lbbbEUlllE1_EE10hipError_tPvRmT2_T3_mT4_P12ihipStream_tbEUlT_E_NS1_11comp_targetILNS1_3genE0ELNS1_11target_archE4294967295ELNS1_3gpuE0ELNS1_3repE0EEENS1_30default_config_static_selectorELNS0_4arch9wavefront6targetE0EEEvT1_
; %bb.0:
	s_load_b256 s[4:11], s[0:1], 0x0
	s_bfe_u32 s2, ttmp6, 0x4000c
	s_and_b32 s3, ttmp6, 15
	s_add_co_i32 s2, s2, 1
	s_getreg_b32 s12, hwreg(HW_REG_IB_STS2, 6, 4)
	s_mul_i32 s2, ttmp9, s2
	s_load_b64 s[16:17], s[0:1], 0x38
	s_add_co_i32 s3, s3, s2
	s_mov_b32 s23, 0
	s_delay_alu instid0(SALU_CYCLE_1)
	s_mov_b32 s19, s23
	s_wait_kmcnt 0x0
	s_lshl_b64 s[6:7], s[6:7], 3
	s_cmp_eq_u32 s12, 0
	s_add_nc_u64 s[4:5], s[4:5], s[6:7]
	s_cselect_b32 s18, ttmp9, s3
	s_and_b64 s[12:13], s[10:11], 0x7f
	s_lshr_b64 s[20:21], s[10:11], 7
	s_lshl_b32 s2, s18, 7
	s_cmp_lg_u64 s[12:13], 0
	s_load_b128 s[12:15], s[0:1], 0x20
	s_cselect_b32 s3, -1, 0
	s_add_nc_u64 s[18:19], s[16:17], s[18:19]
	v_cndmask_b32_e64 v1, 0, 1, s3
	s_delay_alu instid0(VALU_DEP_1) | instskip(SKIP_2) | instid1(SALU_CYCLE_1)
	v_readfirstlane_b32 s22, v1
	s_wait_xcnt 0x0
	s_add_nc_u64 s[0:1], s[20:21], s[22:23]
	s_add_nc_u64 s[16:17], s[0:1], -1
	s_delay_alu instid0(SALU_CYCLE_1)
	v_cmp_ge_u64_e64 s11, s[18:19], s[16:17]
	s_and_b32 vcc_lo, exec_lo, s11
	s_cbranch_vccz .LBB58_4
; %bb.1:
	s_lshl_b32 s3, s16, 7
	s_mov_b32 s20, exec_lo
	s_sub_co_i32 s3, s10, s3
                                        ; implicit-def: $vgpr2_vgpr3
	s_delay_alu instid0(SALU_CYCLE_1)
	v_cmpx_gt_u32_e64 s3, v0
	s_cbranch_execz .LBB58_3
; %bb.2:
	s_mov_b32 s3, 0
	s_delay_alu instid0(SALU_CYCLE_1) | instskip(NEXT) | instid1(SALU_CYCLE_1)
	s_lshl_b64 s[22:23], s[2:3], 3
	s_add_nc_u64 s[22:23], s[4:5], s[22:23]
	global_load_b64 v[2:3], v0, s[22:23] scale_offset
.LBB58_3:
	s_wait_xcnt 0x0
	s_or_b32 exec_lo, exec_lo, s20
	v_lshlrev_b32_e32 v1, 3, v0
	s_wait_loadcnt 0x0
	ds_store_b64 v1, v[2:3]
	s_wait_dscnt 0x0
	s_barrier_signal -1
	s_barrier_wait -1
	s_branch .LBB58_6
.LBB58_4:
                                        ; implicit-def: $vgpr1
	s_cbranch_execz .LBB58_6
; %bb.5:
	s_mov_b32 s3, 0
	v_lshlrev_b32_e32 v1, 3, v0
	s_lshl_b64 s[20:21], s[2:3], 3
	s_delay_alu instid0(SALU_CYCLE_1)
	s_add_nc_u64 s[20:21], s[4:5], s[20:21]
	global_load_b64 v[2:3], v0, s[20:21] scale_offset
	s_wait_loadcnt 0x0
	ds_store_b64 v1, v[2:3]
	s_wait_dscnt 0x0
	s_barrier_signal -1
	s_barrier_wait -1
.LBB58_6:
	ds_load_b64 v[2:3], v1
	s_cmp_eq_u64 s[18:19], 0
	s_wait_dscnt 0x0
	s_barrier_signal -1
	s_barrier_wait -1
	s_cbranch_scc1 .LBB58_15
; %bb.7:
	s_mov_b32 s3, 0
	s_delay_alu instid0(SALU_CYCLE_1) | instskip(SKIP_2) | instid1(SALU_CYCLE_1)
	s_lshl_b64 s[20:21], s[2:3], 3
	s_cmp_eq_u64 s[18:19], s[16:17]
	s_add_nc_u64 s[4:5], s[4:5], s[20:21]
	s_add_nc_u64 s[4:5], s[4:5], -8
	s_load_b64 s[4:5], s[4:5], 0x0
	s_cbranch_scc1 .LBB58_16
; %bb.8:
	s_wait_kmcnt 0x0
	v_mov_b64_e32 v[4:5], s[4:5]
	v_lshlrev_b32_e32 v1, 3, v0
	s_mov_b32 s3, exec_lo
	ds_store_b64 v1, v[2:3]
	s_wait_dscnt 0x0
	s_barrier_signal -1
	s_barrier_wait -1
	v_cmpx_ne_u32_e32 0, v0
; %bb.9:
	v_add_nc_u32_e32 v1, -8, v1
	ds_load_b64 v[4:5], v1
; %bb.10:
	s_or_b32 exec_lo, exec_lo, s3
	v_cmp_lt_i64_e64 s3, s[12:13], 1
	s_and_b32 vcc_lo, exec_lo, s3
	s_cbranch_vccnz .LBB58_18
; %bb.11:
	v_mad_nc_u64_u32 v[6:7], v2, s12, s[14:15]
	s_wait_dscnt 0x0
	v_mad_nc_u64_u32 v[8:9], v4, s12, s[14:15]
	s_mov_b32 s3, 0
	s_mov_b64 s[20:21], s[12:13]
                                        ; implicit-def: $sgpr17
	s_delay_alu instid0(VALU_DEP_2) | instskip(NEXT) | instid1(VALU_DEP_2)
	v_mad_u32 v1, v3, s12, v7
	v_mad_u32 v5, v5, s12, v9
	s_delay_alu instid0(VALU_DEP_2) | instskip(NEXT) | instid1(VALU_DEP_2)
	v_mad_u32 v7, v2, s13, v1
	v_mad_u32 v9, v4, s13, v5
	s_branch .LBB58_13
.LBB58_12:                              ;   in Loop: Header=BB58_13 Depth=1
	s_or_b32 exec_lo, exec_lo, s19
	s_delay_alu instid0(SALU_CYCLE_1) | instskip(NEXT) | instid1(SALU_CYCLE_1)
	s_and_b32 s19, exec_lo, s17
	s_or_b32 s3, s19, s3
	s_delay_alu instid0(SALU_CYCLE_1)
	s_and_not1_b32 exec_lo, exec_lo, s3
	s_cbranch_execz .LBB58_17
.LBB58_13:                              ; =>This Inner Loop Header: Depth=1
	global_load_u8 v1, v[6:7], off
	global_load_u8 v10, v[8:9], off
	v_mov_b64_e32 v[4:5], 1
	s_or_b32 s17, s17, exec_lo
	s_mov_b32 s19, exec_lo
	s_wait_loadcnt 0x0
	v_cmpx_eq_u16_e64 v1, v10
	s_cbranch_execz .LBB58_12
; %bb.14:                               ;   in Loop: Header=BB58_13 Depth=1
	s_add_nc_u64 s[20:21], s[20:21], -1
	v_add_nc_u64_e32 v[6:7], 1, v[6:7]
	s_cmp_eq_u64 s[20:21], 0
	v_add_nc_u64_e32 v[8:9], 1, v[8:9]
	v_mov_b64_e32 v[4:5], 0
	s_cselect_b32 s22, -1, 0
	s_and_not1_b32 s17, s17, exec_lo
	s_and_b32 s22, s22, exec_lo
	s_delay_alu instid0(SALU_CYCLE_1)
	s_or_b32 s17, s17, s22
	s_branch .LBB58_12
.LBB58_15:
                                        ; implicit-def: $vgpr4_vgpr5
	s_branch .LBB58_31
.LBB58_16:
                                        ; implicit-def: $vgpr4_vgpr5
	s_cbranch_execnz .LBB58_19
	s_branch .LBB58_30
.LBB58_17:
	s_or_b32 exec_lo, exec_lo, s3
	s_branch .LBB58_30
.LBB58_18:
	s_wait_dscnt 0x0
	v_mov_b64_e32 v[4:5], 0
	s_branch .LBB58_30
.LBB58_19:
	s_wait_kmcnt 0x0
	v_mov_b64_e32 v[10:11], s[4:5]
	v_lshlrev_b32_e32 v1, 3, v0
	s_mov_b32 s3, exec_lo
	ds_store_b64 v1, v[2:3]
	s_wait_dscnt 0x0
	s_barrier_signal -1
	s_barrier_wait -1
	v_cmpx_ne_u32_e32 0, v0
; %bb.20:
	v_add_nc_u32_e32 v1, -8, v1
	ds_load_b64 v[10:11], v1
; %bb.21:
	s_or_b32 exec_lo, exec_lo, s3
	s_lshl_b32 s3, s18, 7
	v_mov_b64_e32 v[4:5], v[2:3]
	s_sub_co_i32 s3, s10, s3
	s_delay_alu instid0(SALU_CYCLE_1)
	v_cmp_gt_u32_e32 vcc_lo, s3, v0
	s_and_saveexec_b32 s3, vcc_lo
	s_cbranch_execz .LBB58_29
; %bb.22:
	v_cmp_lt_i64_e64 s4, s[12:13], 1
	s_and_b32 vcc_lo, exec_lo, s4
	s_cbranch_vccnz .LBB58_28
; %bb.23:
	v_mad_nc_u64_u32 v[6:7], v2, s12, s[14:15]
	s_wait_dscnt 0x0
	v_mad_nc_u64_u32 v[8:9], v10, s12, s[14:15]
	s_mov_b32 s17, 0
	s_mov_b64 s[4:5], s[12:13]
                                        ; implicit-def: $sgpr18
	s_delay_alu instid0(VALU_DEP_2) | instskip(NEXT) | instid1(VALU_DEP_2)
	v_mad_u32 v1, v3, s12, v7
	v_mad_u32 v4, v11, s12, v9
	s_delay_alu instid0(VALU_DEP_2) | instskip(NEXT) | instid1(VALU_DEP_2)
	v_mad_u32 v7, v2, s13, v1
	v_mad_u32 v9, v10, s13, v4
	s_branch .LBB58_25
.LBB58_24:                              ;   in Loop: Header=BB58_25 Depth=1
	s_or_b32 exec_lo, exec_lo, s19
	s_delay_alu instid0(SALU_CYCLE_1) | instskip(NEXT) | instid1(SALU_CYCLE_1)
	s_and_b32 s19, exec_lo, s18
	s_or_b32 s17, s19, s17
	s_delay_alu instid0(SALU_CYCLE_1)
	s_and_not1_b32 exec_lo, exec_lo, s17
	s_cbranch_execz .LBB58_27
.LBB58_25:                              ; =>This Inner Loop Header: Depth=1
	global_load_u8 v1, v[6:7], off
	global_load_u8 v10, v[8:9], off
	v_mov_b64_e32 v[4:5], 1
	s_or_b32 s18, s18, exec_lo
	s_mov_b32 s19, exec_lo
	s_wait_loadcnt 0x0
	v_cmpx_eq_u16_e64 v1, v10
	s_cbranch_execz .LBB58_24
; %bb.26:                               ;   in Loop: Header=BB58_25 Depth=1
	s_add_nc_u64 s[4:5], s[4:5], -1
	v_add_nc_u64_e32 v[6:7], 1, v[6:7]
	s_cmp_eq_u64 s[4:5], 0
	v_add_nc_u64_e32 v[8:9], 1, v[8:9]
	v_mov_b64_e32 v[4:5], 0
	s_cselect_b32 s20, -1, 0
	s_and_not1_b32 s18, s18, exec_lo
	s_and_b32 s20, s20, exec_lo
	s_delay_alu instid0(SALU_CYCLE_1)
	s_or_b32 s18, s18, s20
	s_branch .LBB58_24
.LBB58_27:
	s_or_b32 exec_lo, exec_lo, s17
	s_branch .LBB58_29
.LBB58_28:
	v_mov_b64_e32 v[4:5], 0
.LBB58_29:
	s_or_b32 exec_lo, exec_lo, s3
.LBB58_30:
	s_cbranch_execnz .LBB58_51
.LBB58_31:
	s_cmp_eq_u64 s[0:1], 1
	v_cmp_ne_u32_e32 vcc_lo, 0, v0
	s_cbranch_scc1 .LBB58_38
; %bb.32:
	v_mov_b64_e32 v[4:5], v[2:3]
	v_lshlrev_b32_e32 v1, 3, v0
	s_mov_b32 s3, 0
	ds_store_b64 v1, v[2:3]
	s_wait_dscnt 0x0
	s_barrier_signal -1
	s_barrier_wait -1
	s_wait_kmcnt 0x0
	s_and_saveexec_b32 s4, vcc_lo
	s_cbranch_execz .LBB58_40
; %bb.33:
	v_cmp_lt_i64_e64 s0, s[12:13], 1
	s_and_b32 vcc_lo, exec_lo, s0
	s_cbranch_vccnz .LBB58_48
; %bb.34:
	v_add_nc_u32_e32 v1, -8, v1
	v_mad_nc_u64_u32 v[6:7], v2, s12, s[14:15]
	s_mov_b32 s5, 0
	s_mov_b64 s[0:1], s[12:13]
                                        ; implicit-def: $sgpr17
	ds_load_b64 v[4:5], v1
	v_mad_u32 v1, v3, s12, v7
	s_delay_alu instid0(VALU_DEP_1) | instskip(SKIP_2) | instid1(VALU_DEP_1)
	v_mad_u32 v7, v2, s13, v1
	s_wait_dscnt 0x0
	v_mad_nc_u64_u32 v[8:9], v4, s12, s[14:15]
	v_mad_u32 v5, v5, s12, v9
	s_delay_alu instid0(VALU_DEP_1)
	v_mad_u32 v9, v4, s13, v5
	s_branch .LBB58_36
.LBB58_35:                              ;   in Loop: Header=BB58_36 Depth=1
	s_or_b32 exec_lo, exec_lo, s18
	s_delay_alu instid0(SALU_CYCLE_1) | instskip(NEXT) | instid1(SALU_CYCLE_1)
	s_and_b32 s18, exec_lo, s17
	s_or_b32 s5, s18, s5
	s_delay_alu instid0(SALU_CYCLE_1)
	s_and_not1_b32 exec_lo, exec_lo, s5
	s_cbranch_execz .LBB58_39
.LBB58_36:                              ; =>This Inner Loop Header: Depth=1
	global_load_u8 v1, v[6:7], off
	global_load_u8 v10, v[8:9], off
	v_mov_b64_e32 v[4:5], 1
	s_or_b32 s17, s17, exec_lo
	s_mov_b32 s18, exec_lo
	s_wait_loadcnt 0x0
	v_cmpx_eq_u16_e64 v1, v10
	s_cbranch_execz .LBB58_35
; %bb.37:                               ;   in Loop: Header=BB58_36 Depth=1
	s_add_nc_u64 s[0:1], s[0:1], -1
	v_add_nc_u64_e32 v[6:7], 1, v[6:7]
	s_cmp_eq_u64 s[0:1], 0
	v_add_nc_u64_e32 v[8:9], 1, v[8:9]
	v_mov_b64_e32 v[4:5], 0
	s_cselect_b32 s19, -1, 0
	s_and_not1_b32 s17, s17, exec_lo
	s_and_b32 s19, s19, exec_lo
	s_delay_alu instid0(SALU_CYCLE_1)
	s_or_b32 s17, s17, s19
	s_branch .LBB58_35
.LBB58_38:
                                        ; implicit-def: $vgpr4_vgpr5
	s_branch .LBB58_41
.LBB58_39:
	s_or_b32 exec_lo, exec_lo, s5
.LBB58_40:
	s_delay_alu instid0(SALU_CYCLE_1) | instskip(NEXT) | instid1(SALU_CYCLE_1)
	s_or_b32 exec_lo, exec_lo, s4
	s_and_not1_b32 vcc_lo, exec_lo, s3
	s_cbranch_vccnz .LBB58_51
.LBB58_41:
	v_cmp_ne_u32_e32 vcc_lo, 0, v0
	v_cmp_gt_u32_e64 s0, s10, v0
	v_lshlrev_b32_e32 v1, 3, v0
	s_and_b32 s1, vcc_lo, s0
	ds_store_b64 v1, v[2:3]
	s_wait_dscnt 0x0
	s_barrier_signal -1
	s_barrier_wait -1
	s_and_saveexec_b32 s0, s1
	s_cbranch_execz .LBB58_50
; %bb.42:
	s_wait_kmcnt 0x0
	v_cmp_lt_i64_e64 s1, s[12:13], 1
	s_and_b32 vcc_lo, exec_lo, s1
	s_cbranch_vccnz .LBB58_49
; %bb.43:
	v_add_nc_u32_e32 v1, -8, v1
	v_mad_nc_u64_u32 v[4:5], v2, s12, s[14:15]
	s_mov_b32 s1, 0
                                        ; implicit-def: $sgpr3
	ds_load_b64 v[8:9], v1
	v_mad_u32 v1, v3, s12, v5
	s_delay_alu instid0(VALU_DEP_1) | instskip(SKIP_2) | instid1(VALU_DEP_1)
	v_mad_u32 v5, v2, s13, v1
	s_wait_dscnt 0x0
	v_mad_nc_u64_u32 v[6:7], v8, s12, s[14:15]
	v_mad_u32 v3, v9, s12, v7
	s_delay_alu instid0(VALU_DEP_1)
	v_mad_u32 v7, v8, s13, v3
	s_branch .LBB58_45
.LBB58_44:                              ;   in Loop: Header=BB58_45 Depth=1
	s_or_b32 exec_lo, exec_lo, s4
	s_delay_alu instid0(SALU_CYCLE_1) | instskip(NEXT) | instid1(SALU_CYCLE_1)
	s_and_b32 s4, exec_lo, s3
	s_or_b32 s1, s4, s1
	s_delay_alu instid0(SALU_CYCLE_1)
	s_and_not1_b32 exec_lo, exec_lo, s1
	s_cbranch_execz .LBB58_47
.LBB58_45:                              ; =>This Inner Loop Header: Depth=1
	global_load_u8 v1, v[4:5], off
	global_load_u8 v8, v[6:7], off
	v_mov_b64_e32 v[2:3], 1
	s_or_b32 s3, s3, exec_lo
	s_mov_b32 s4, exec_lo
	s_wait_loadcnt 0x0
	v_cmpx_eq_u16_e64 v1, v8
	s_cbranch_execz .LBB58_44
; %bb.46:                               ;   in Loop: Header=BB58_45 Depth=1
	s_add_nc_u64 s[12:13], s[12:13], -1
	v_add_nc_u64_e32 v[4:5], 1, v[4:5]
	s_cmp_eq_u64 s[12:13], 0
	v_add_nc_u64_e32 v[6:7], 1, v[6:7]
	v_mov_b64_e32 v[2:3], 0
	s_cselect_b32 s5, -1, 0
	s_and_not1_b32 s3, s3, exec_lo
	s_and_b32 s5, s5, exec_lo
	s_delay_alu instid0(SALU_CYCLE_1)
	s_or_b32 s3, s3, s5
	s_branch .LBB58_44
.LBB58_47:
	s_or_b32 exec_lo, exec_lo, s1
	s_branch .LBB58_50
.LBB58_48:
	v_mov_b64_e32 v[4:5], 0
	s_or_b32 exec_lo, exec_lo, s4
	s_delay_alu instid0(SALU_CYCLE_1)
	s_and_not1_b32 vcc_lo, exec_lo, s3
	s_cbranch_vccz .LBB58_41
	s_branch .LBB58_51
.LBB58_49:
	v_mov_b64_e32 v[2:3], 0
.LBB58_50:
	s_or_b32 exec_lo, exec_lo, s0
	s_delay_alu instid0(VALU_DEP_1)
	v_mov_b64_e32 v[4:5], v[2:3]
.LBB58_51:
	s_add_nc_u64 s[0:1], s[8:9], s[6:7]
	s_and_b32 vcc_lo, exec_lo, s11
	s_mov_b32 s3, -1
	s_wait_dscnt 0x0
	s_barrier_signal -1
	s_barrier_wait -1
	s_cbranch_vccnz .LBB58_54
; %bb.52:
	s_and_not1_b32 vcc_lo, exec_lo, s3
	s_cbranch_vccz .LBB58_57
.LBB58_53:
	s_endpgm
.LBB58_54:
	v_lshlrev_b32_e32 v1, 3, v0
	s_lshl_b32 s3, s16, 7
	s_wait_kmcnt 0x0
	s_mov_b32 s4, exec_lo
	s_sub_co_i32 s3, s10, s3
	ds_store_b64 v1, v[4:5]
	s_wait_dscnt 0x0
	s_barrier_signal -1
	s_barrier_wait -1
	v_cmpx_gt_u32_e64 s3, v0
	s_cbranch_execz .LBB58_56
; %bb.55:
	ds_load_b64 v[2:3], v1
	s_mov_b32 s3, 0
	s_delay_alu instid0(SALU_CYCLE_1) | instskip(NEXT) | instid1(SALU_CYCLE_1)
	s_lshl_b64 s[6:7], s[2:3], 3
	s_add_nc_u64 s[6:7], s[0:1], s[6:7]
	s_wait_dscnt 0x0
	global_store_b64 v0, v[2:3], s[6:7] scale_offset
.LBB58_56:
	s_wait_xcnt 0x0
	s_or_b32 exec_lo, exec_lo, s4
	s_cbranch_execnz .LBB58_53
.LBB58_57:
	v_lshlrev_b32_e32 v1, 3, v0
	s_mov_b32 s3, 0
	s_delay_alu instid0(SALU_CYCLE_1) | instskip(NEXT) | instid1(SALU_CYCLE_1)
	s_lshl_b64 s[2:3], s[2:3], 3
	s_add_nc_u64 s[0:1], s[0:1], s[2:3]
	ds_store_b64 v1, v[4:5]
	s_wait_storecnt_dscnt 0x0
	s_barrier_signal -1
	s_barrier_wait -1
	ds_load_b64 v[2:3], v1
	s_wait_dscnt 0x0
	global_store_b64 v0, v[2:3], s[0:1] scale_offset
	s_endpgm
	.section	.rodata,"a",@progbits
	.p2align	6, 0x0
	.amdhsa_kernel _ZN7rocprim17ROCPRIM_400000_NS6detail17trampoline_kernelINS0_14default_configENS1_35adjacent_difference_config_selectorILb0ElEEZNS1_24adjacent_difference_implIS3_Lb0ELb0EPlS7_ZN2at6native12_GLOBAL__N_124unique_dim_cuda_templateIhEESt5tupleIJNS8_6TensorESD_SD_EERKSD_lbbbEUlllE1_EE10hipError_tPvRmT2_T3_mT4_P12ihipStream_tbEUlT_E_NS1_11comp_targetILNS1_3genE0ELNS1_11target_archE4294967295ELNS1_3gpuE0ELNS1_3repE0EEENS1_30default_config_static_selectorELNS0_4arch9wavefront6targetE0EEEvT1_
		.amdhsa_group_segment_fixed_size 2048
		.amdhsa_private_segment_fixed_size 0
		.amdhsa_kernarg_size 64
		.amdhsa_user_sgpr_count 2
		.amdhsa_user_sgpr_dispatch_ptr 0
		.amdhsa_user_sgpr_queue_ptr 0
		.amdhsa_user_sgpr_kernarg_segment_ptr 1
		.amdhsa_user_sgpr_dispatch_id 0
		.amdhsa_user_sgpr_kernarg_preload_length 0
		.amdhsa_user_sgpr_kernarg_preload_offset 0
		.amdhsa_user_sgpr_private_segment_size 0
		.amdhsa_wavefront_size32 1
		.amdhsa_uses_dynamic_stack 0
		.amdhsa_enable_private_segment 0
		.amdhsa_system_sgpr_workgroup_id_x 1
		.amdhsa_system_sgpr_workgroup_id_y 0
		.amdhsa_system_sgpr_workgroup_id_z 0
		.amdhsa_system_sgpr_workgroup_info 0
		.amdhsa_system_vgpr_workitem_id 0
		.amdhsa_next_free_vgpr 12
		.amdhsa_next_free_sgpr 24
		.amdhsa_named_barrier_count 0
		.amdhsa_reserve_vcc 1
		.amdhsa_float_round_mode_32 0
		.amdhsa_float_round_mode_16_64 0
		.amdhsa_float_denorm_mode_32 3
		.amdhsa_float_denorm_mode_16_64 3
		.amdhsa_fp16_overflow 0
		.amdhsa_memory_ordered 1
		.amdhsa_forward_progress 1
		.amdhsa_inst_pref_size 15
		.amdhsa_round_robin_scheduling 0
		.amdhsa_exception_fp_ieee_invalid_op 0
		.amdhsa_exception_fp_denorm_src 0
		.amdhsa_exception_fp_ieee_div_zero 0
		.amdhsa_exception_fp_ieee_overflow 0
		.amdhsa_exception_fp_ieee_underflow 0
		.amdhsa_exception_fp_ieee_inexact 0
		.amdhsa_exception_int_div_zero 0
	.end_amdhsa_kernel
	.section	.text._ZN7rocprim17ROCPRIM_400000_NS6detail17trampoline_kernelINS0_14default_configENS1_35adjacent_difference_config_selectorILb0ElEEZNS1_24adjacent_difference_implIS3_Lb0ELb0EPlS7_ZN2at6native12_GLOBAL__N_124unique_dim_cuda_templateIhEESt5tupleIJNS8_6TensorESD_SD_EERKSD_lbbbEUlllE1_EE10hipError_tPvRmT2_T3_mT4_P12ihipStream_tbEUlT_E_NS1_11comp_targetILNS1_3genE0ELNS1_11target_archE4294967295ELNS1_3gpuE0ELNS1_3repE0EEENS1_30default_config_static_selectorELNS0_4arch9wavefront6targetE0EEEvT1_,"axG",@progbits,_ZN7rocprim17ROCPRIM_400000_NS6detail17trampoline_kernelINS0_14default_configENS1_35adjacent_difference_config_selectorILb0ElEEZNS1_24adjacent_difference_implIS3_Lb0ELb0EPlS7_ZN2at6native12_GLOBAL__N_124unique_dim_cuda_templateIhEESt5tupleIJNS8_6TensorESD_SD_EERKSD_lbbbEUlllE1_EE10hipError_tPvRmT2_T3_mT4_P12ihipStream_tbEUlT_E_NS1_11comp_targetILNS1_3genE0ELNS1_11target_archE4294967295ELNS1_3gpuE0ELNS1_3repE0EEENS1_30default_config_static_selectorELNS0_4arch9wavefront6targetE0EEEvT1_,comdat
.Lfunc_end58:
	.size	_ZN7rocprim17ROCPRIM_400000_NS6detail17trampoline_kernelINS0_14default_configENS1_35adjacent_difference_config_selectorILb0ElEEZNS1_24adjacent_difference_implIS3_Lb0ELb0EPlS7_ZN2at6native12_GLOBAL__N_124unique_dim_cuda_templateIhEESt5tupleIJNS8_6TensorESD_SD_EERKSD_lbbbEUlllE1_EE10hipError_tPvRmT2_T3_mT4_P12ihipStream_tbEUlT_E_NS1_11comp_targetILNS1_3genE0ELNS1_11target_archE4294967295ELNS1_3gpuE0ELNS1_3repE0EEENS1_30default_config_static_selectorELNS0_4arch9wavefront6targetE0EEEvT1_, .Lfunc_end58-_ZN7rocprim17ROCPRIM_400000_NS6detail17trampoline_kernelINS0_14default_configENS1_35adjacent_difference_config_selectorILb0ElEEZNS1_24adjacent_difference_implIS3_Lb0ELb0EPlS7_ZN2at6native12_GLOBAL__N_124unique_dim_cuda_templateIhEESt5tupleIJNS8_6TensorESD_SD_EERKSD_lbbbEUlllE1_EE10hipError_tPvRmT2_T3_mT4_P12ihipStream_tbEUlT_E_NS1_11comp_targetILNS1_3genE0ELNS1_11target_archE4294967295ELNS1_3gpuE0ELNS1_3repE0EEENS1_30default_config_static_selectorELNS0_4arch9wavefront6targetE0EEEvT1_
                                        ; -- End function
	.set _ZN7rocprim17ROCPRIM_400000_NS6detail17trampoline_kernelINS0_14default_configENS1_35adjacent_difference_config_selectorILb0ElEEZNS1_24adjacent_difference_implIS3_Lb0ELb0EPlS7_ZN2at6native12_GLOBAL__N_124unique_dim_cuda_templateIhEESt5tupleIJNS8_6TensorESD_SD_EERKSD_lbbbEUlllE1_EE10hipError_tPvRmT2_T3_mT4_P12ihipStream_tbEUlT_E_NS1_11comp_targetILNS1_3genE0ELNS1_11target_archE4294967295ELNS1_3gpuE0ELNS1_3repE0EEENS1_30default_config_static_selectorELNS0_4arch9wavefront6targetE0EEEvT1_.num_vgpr, 12
	.set _ZN7rocprim17ROCPRIM_400000_NS6detail17trampoline_kernelINS0_14default_configENS1_35adjacent_difference_config_selectorILb0ElEEZNS1_24adjacent_difference_implIS3_Lb0ELb0EPlS7_ZN2at6native12_GLOBAL__N_124unique_dim_cuda_templateIhEESt5tupleIJNS8_6TensorESD_SD_EERKSD_lbbbEUlllE1_EE10hipError_tPvRmT2_T3_mT4_P12ihipStream_tbEUlT_E_NS1_11comp_targetILNS1_3genE0ELNS1_11target_archE4294967295ELNS1_3gpuE0ELNS1_3repE0EEENS1_30default_config_static_selectorELNS0_4arch9wavefront6targetE0EEEvT1_.num_agpr, 0
	.set _ZN7rocprim17ROCPRIM_400000_NS6detail17trampoline_kernelINS0_14default_configENS1_35adjacent_difference_config_selectorILb0ElEEZNS1_24adjacent_difference_implIS3_Lb0ELb0EPlS7_ZN2at6native12_GLOBAL__N_124unique_dim_cuda_templateIhEESt5tupleIJNS8_6TensorESD_SD_EERKSD_lbbbEUlllE1_EE10hipError_tPvRmT2_T3_mT4_P12ihipStream_tbEUlT_E_NS1_11comp_targetILNS1_3genE0ELNS1_11target_archE4294967295ELNS1_3gpuE0ELNS1_3repE0EEENS1_30default_config_static_selectorELNS0_4arch9wavefront6targetE0EEEvT1_.numbered_sgpr, 24
	.set _ZN7rocprim17ROCPRIM_400000_NS6detail17trampoline_kernelINS0_14default_configENS1_35adjacent_difference_config_selectorILb0ElEEZNS1_24adjacent_difference_implIS3_Lb0ELb0EPlS7_ZN2at6native12_GLOBAL__N_124unique_dim_cuda_templateIhEESt5tupleIJNS8_6TensorESD_SD_EERKSD_lbbbEUlllE1_EE10hipError_tPvRmT2_T3_mT4_P12ihipStream_tbEUlT_E_NS1_11comp_targetILNS1_3genE0ELNS1_11target_archE4294967295ELNS1_3gpuE0ELNS1_3repE0EEENS1_30default_config_static_selectorELNS0_4arch9wavefront6targetE0EEEvT1_.num_named_barrier, 0
	.set _ZN7rocprim17ROCPRIM_400000_NS6detail17trampoline_kernelINS0_14default_configENS1_35adjacent_difference_config_selectorILb0ElEEZNS1_24adjacent_difference_implIS3_Lb0ELb0EPlS7_ZN2at6native12_GLOBAL__N_124unique_dim_cuda_templateIhEESt5tupleIJNS8_6TensorESD_SD_EERKSD_lbbbEUlllE1_EE10hipError_tPvRmT2_T3_mT4_P12ihipStream_tbEUlT_E_NS1_11comp_targetILNS1_3genE0ELNS1_11target_archE4294967295ELNS1_3gpuE0ELNS1_3repE0EEENS1_30default_config_static_selectorELNS0_4arch9wavefront6targetE0EEEvT1_.private_seg_size, 0
	.set _ZN7rocprim17ROCPRIM_400000_NS6detail17trampoline_kernelINS0_14default_configENS1_35adjacent_difference_config_selectorILb0ElEEZNS1_24adjacent_difference_implIS3_Lb0ELb0EPlS7_ZN2at6native12_GLOBAL__N_124unique_dim_cuda_templateIhEESt5tupleIJNS8_6TensorESD_SD_EERKSD_lbbbEUlllE1_EE10hipError_tPvRmT2_T3_mT4_P12ihipStream_tbEUlT_E_NS1_11comp_targetILNS1_3genE0ELNS1_11target_archE4294967295ELNS1_3gpuE0ELNS1_3repE0EEENS1_30default_config_static_selectorELNS0_4arch9wavefront6targetE0EEEvT1_.uses_vcc, 1
	.set _ZN7rocprim17ROCPRIM_400000_NS6detail17trampoline_kernelINS0_14default_configENS1_35adjacent_difference_config_selectorILb0ElEEZNS1_24adjacent_difference_implIS3_Lb0ELb0EPlS7_ZN2at6native12_GLOBAL__N_124unique_dim_cuda_templateIhEESt5tupleIJNS8_6TensorESD_SD_EERKSD_lbbbEUlllE1_EE10hipError_tPvRmT2_T3_mT4_P12ihipStream_tbEUlT_E_NS1_11comp_targetILNS1_3genE0ELNS1_11target_archE4294967295ELNS1_3gpuE0ELNS1_3repE0EEENS1_30default_config_static_selectorELNS0_4arch9wavefront6targetE0EEEvT1_.uses_flat_scratch, 0
	.set _ZN7rocprim17ROCPRIM_400000_NS6detail17trampoline_kernelINS0_14default_configENS1_35adjacent_difference_config_selectorILb0ElEEZNS1_24adjacent_difference_implIS3_Lb0ELb0EPlS7_ZN2at6native12_GLOBAL__N_124unique_dim_cuda_templateIhEESt5tupleIJNS8_6TensorESD_SD_EERKSD_lbbbEUlllE1_EE10hipError_tPvRmT2_T3_mT4_P12ihipStream_tbEUlT_E_NS1_11comp_targetILNS1_3genE0ELNS1_11target_archE4294967295ELNS1_3gpuE0ELNS1_3repE0EEENS1_30default_config_static_selectorELNS0_4arch9wavefront6targetE0EEEvT1_.has_dyn_sized_stack, 0
	.set _ZN7rocprim17ROCPRIM_400000_NS6detail17trampoline_kernelINS0_14default_configENS1_35adjacent_difference_config_selectorILb0ElEEZNS1_24adjacent_difference_implIS3_Lb0ELb0EPlS7_ZN2at6native12_GLOBAL__N_124unique_dim_cuda_templateIhEESt5tupleIJNS8_6TensorESD_SD_EERKSD_lbbbEUlllE1_EE10hipError_tPvRmT2_T3_mT4_P12ihipStream_tbEUlT_E_NS1_11comp_targetILNS1_3genE0ELNS1_11target_archE4294967295ELNS1_3gpuE0ELNS1_3repE0EEENS1_30default_config_static_selectorELNS0_4arch9wavefront6targetE0EEEvT1_.has_recursion, 0
	.set _ZN7rocprim17ROCPRIM_400000_NS6detail17trampoline_kernelINS0_14default_configENS1_35adjacent_difference_config_selectorILb0ElEEZNS1_24adjacent_difference_implIS3_Lb0ELb0EPlS7_ZN2at6native12_GLOBAL__N_124unique_dim_cuda_templateIhEESt5tupleIJNS8_6TensorESD_SD_EERKSD_lbbbEUlllE1_EE10hipError_tPvRmT2_T3_mT4_P12ihipStream_tbEUlT_E_NS1_11comp_targetILNS1_3genE0ELNS1_11target_archE4294967295ELNS1_3gpuE0ELNS1_3repE0EEENS1_30default_config_static_selectorELNS0_4arch9wavefront6targetE0EEEvT1_.has_indirect_call, 0
	.section	.AMDGPU.csdata,"",@progbits
; Kernel info:
; codeLenInByte = 1832
; TotalNumSgprs: 26
; NumVgprs: 12
; ScratchSize: 0
; MemoryBound: 0
; FloatMode: 240
; IeeeMode: 1
; LDSByteSize: 2048 bytes/workgroup (compile time only)
; SGPRBlocks: 0
; VGPRBlocks: 0
; NumSGPRsForWavesPerEU: 26
; NumVGPRsForWavesPerEU: 12
; NamedBarCnt: 0
; Occupancy: 16
; WaveLimiterHint : 0
; COMPUTE_PGM_RSRC2:SCRATCH_EN: 0
; COMPUTE_PGM_RSRC2:USER_SGPR: 2
; COMPUTE_PGM_RSRC2:TRAP_HANDLER: 0
; COMPUTE_PGM_RSRC2:TGID_X_EN: 1
; COMPUTE_PGM_RSRC2:TGID_Y_EN: 0
; COMPUTE_PGM_RSRC2:TGID_Z_EN: 0
; COMPUTE_PGM_RSRC2:TIDIG_COMP_CNT: 0
	.section	.text._ZN7rocprim17ROCPRIM_400000_NS6detail17trampoline_kernelINS0_14default_configENS1_35adjacent_difference_config_selectorILb0ElEEZNS1_24adjacent_difference_implIS3_Lb0ELb0EPlS7_ZN2at6native12_GLOBAL__N_124unique_dim_cuda_templateIhEESt5tupleIJNS8_6TensorESD_SD_EERKSD_lbbbEUlllE1_EE10hipError_tPvRmT2_T3_mT4_P12ihipStream_tbEUlT_E_NS1_11comp_targetILNS1_3genE10ELNS1_11target_archE1201ELNS1_3gpuE5ELNS1_3repE0EEENS1_30default_config_static_selectorELNS0_4arch9wavefront6targetE0EEEvT1_,"axG",@progbits,_ZN7rocprim17ROCPRIM_400000_NS6detail17trampoline_kernelINS0_14default_configENS1_35adjacent_difference_config_selectorILb0ElEEZNS1_24adjacent_difference_implIS3_Lb0ELb0EPlS7_ZN2at6native12_GLOBAL__N_124unique_dim_cuda_templateIhEESt5tupleIJNS8_6TensorESD_SD_EERKSD_lbbbEUlllE1_EE10hipError_tPvRmT2_T3_mT4_P12ihipStream_tbEUlT_E_NS1_11comp_targetILNS1_3genE10ELNS1_11target_archE1201ELNS1_3gpuE5ELNS1_3repE0EEENS1_30default_config_static_selectorELNS0_4arch9wavefront6targetE0EEEvT1_,comdat
	.globl	_ZN7rocprim17ROCPRIM_400000_NS6detail17trampoline_kernelINS0_14default_configENS1_35adjacent_difference_config_selectorILb0ElEEZNS1_24adjacent_difference_implIS3_Lb0ELb0EPlS7_ZN2at6native12_GLOBAL__N_124unique_dim_cuda_templateIhEESt5tupleIJNS8_6TensorESD_SD_EERKSD_lbbbEUlllE1_EE10hipError_tPvRmT2_T3_mT4_P12ihipStream_tbEUlT_E_NS1_11comp_targetILNS1_3genE10ELNS1_11target_archE1201ELNS1_3gpuE5ELNS1_3repE0EEENS1_30default_config_static_selectorELNS0_4arch9wavefront6targetE0EEEvT1_ ; -- Begin function _ZN7rocprim17ROCPRIM_400000_NS6detail17trampoline_kernelINS0_14default_configENS1_35adjacent_difference_config_selectorILb0ElEEZNS1_24adjacent_difference_implIS3_Lb0ELb0EPlS7_ZN2at6native12_GLOBAL__N_124unique_dim_cuda_templateIhEESt5tupleIJNS8_6TensorESD_SD_EERKSD_lbbbEUlllE1_EE10hipError_tPvRmT2_T3_mT4_P12ihipStream_tbEUlT_E_NS1_11comp_targetILNS1_3genE10ELNS1_11target_archE1201ELNS1_3gpuE5ELNS1_3repE0EEENS1_30default_config_static_selectorELNS0_4arch9wavefront6targetE0EEEvT1_
	.p2align	8
	.type	_ZN7rocprim17ROCPRIM_400000_NS6detail17trampoline_kernelINS0_14default_configENS1_35adjacent_difference_config_selectorILb0ElEEZNS1_24adjacent_difference_implIS3_Lb0ELb0EPlS7_ZN2at6native12_GLOBAL__N_124unique_dim_cuda_templateIhEESt5tupleIJNS8_6TensorESD_SD_EERKSD_lbbbEUlllE1_EE10hipError_tPvRmT2_T3_mT4_P12ihipStream_tbEUlT_E_NS1_11comp_targetILNS1_3genE10ELNS1_11target_archE1201ELNS1_3gpuE5ELNS1_3repE0EEENS1_30default_config_static_selectorELNS0_4arch9wavefront6targetE0EEEvT1_,@function
_ZN7rocprim17ROCPRIM_400000_NS6detail17trampoline_kernelINS0_14default_configENS1_35adjacent_difference_config_selectorILb0ElEEZNS1_24adjacent_difference_implIS3_Lb0ELb0EPlS7_ZN2at6native12_GLOBAL__N_124unique_dim_cuda_templateIhEESt5tupleIJNS8_6TensorESD_SD_EERKSD_lbbbEUlllE1_EE10hipError_tPvRmT2_T3_mT4_P12ihipStream_tbEUlT_E_NS1_11comp_targetILNS1_3genE10ELNS1_11target_archE1201ELNS1_3gpuE5ELNS1_3repE0EEENS1_30default_config_static_selectorELNS0_4arch9wavefront6targetE0EEEvT1_: ; @_ZN7rocprim17ROCPRIM_400000_NS6detail17trampoline_kernelINS0_14default_configENS1_35adjacent_difference_config_selectorILb0ElEEZNS1_24adjacent_difference_implIS3_Lb0ELb0EPlS7_ZN2at6native12_GLOBAL__N_124unique_dim_cuda_templateIhEESt5tupleIJNS8_6TensorESD_SD_EERKSD_lbbbEUlllE1_EE10hipError_tPvRmT2_T3_mT4_P12ihipStream_tbEUlT_E_NS1_11comp_targetILNS1_3genE10ELNS1_11target_archE1201ELNS1_3gpuE5ELNS1_3repE0EEENS1_30default_config_static_selectorELNS0_4arch9wavefront6targetE0EEEvT1_
; %bb.0:
	.section	.rodata,"a",@progbits
	.p2align	6, 0x0
	.amdhsa_kernel _ZN7rocprim17ROCPRIM_400000_NS6detail17trampoline_kernelINS0_14default_configENS1_35adjacent_difference_config_selectorILb0ElEEZNS1_24adjacent_difference_implIS3_Lb0ELb0EPlS7_ZN2at6native12_GLOBAL__N_124unique_dim_cuda_templateIhEESt5tupleIJNS8_6TensorESD_SD_EERKSD_lbbbEUlllE1_EE10hipError_tPvRmT2_T3_mT4_P12ihipStream_tbEUlT_E_NS1_11comp_targetILNS1_3genE10ELNS1_11target_archE1201ELNS1_3gpuE5ELNS1_3repE0EEENS1_30default_config_static_selectorELNS0_4arch9wavefront6targetE0EEEvT1_
		.amdhsa_group_segment_fixed_size 0
		.amdhsa_private_segment_fixed_size 0
		.amdhsa_kernarg_size 64
		.amdhsa_user_sgpr_count 2
		.amdhsa_user_sgpr_dispatch_ptr 0
		.amdhsa_user_sgpr_queue_ptr 0
		.amdhsa_user_sgpr_kernarg_segment_ptr 1
		.amdhsa_user_sgpr_dispatch_id 0
		.amdhsa_user_sgpr_kernarg_preload_length 0
		.amdhsa_user_sgpr_kernarg_preload_offset 0
		.amdhsa_user_sgpr_private_segment_size 0
		.amdhsa_wavefront_size32 1
		.amdhsa_uses_dynamic_stack 0
		.amdhsa_enable_private_segment 0
		.amdhsa_system_sgpr_workgroup_id_x 1
		.amdhsa_system_sgpr_workgroup_id_y 0
		.amdhsa_system_sgpr_workgroup_id_z 0
		.amdhsa_system_sgpr_workgroup_info 0
		.amdhsa_system_vgpr_workitem_id 0
		.amdhsa_next_free_vgpr 1
		.amdhsa_next_free_sgpr 1
		.amdhsa_named_barrier_count 0
		.amdhsa_reserve_vcc 0
		.amdhsa_float_round_mode_32 0
		.amdhsa_float_round_mode_16_64 0
		.amdhsa_float_denorm_mode_32 3
		.amdhsa_float_denorm_mode_16_64 3
		.amdhsa_fp16_overflow 0
		.amdhsa_memory_ordered 1
		.amdhsa_forward_progress 1
		.amdhsa_inst_pref_size 0
		.amdhsa_round_robin_scheduling 0
		.amdhsa_exception_fp_ieee_invalid_op 0
		.amdhsa_exception_fp_denorm_src 0
		.amdhsa_exception_fp_ieee_div_zero 0
		.amdhsa_exception_fp_ieee_overflow 0
		.amdhsa_exception_fp_ieee_underflow 0
		.amdhsa_exception_fp_ieee_inexact 0
		.amdhsa_exception_int_div_zero 0
	.end_amdhsa_kernel
	.section	.text._ZN7rocprim17ROCPRIM_400000_NS6detail17trampoline_kernelINS0_14default_configENS1_35adjacent_difference_config_selectorILb0ElEEZNS1_24adjacent_difference_implIS3_Lb0ELb0EPlS7_ZN2at6native12_GLOBAL__N_124unique_dim_cuda_templateIhEESt5tupleIJNS8_6TensorESD_SD_EERKSD_lbbbEUlllE1_EE10hipError_tPvRmT2_T3_mT4_P12ihipStream_tbEUlT_E_NS1_11comp_targetILNS1_3genE10ELNS1_11target_archE1201ELNS1_3gpuE5ELNS1_3repE0EEENS1_30default_config_static_selectorELNS0_4arch9wavefront6targetE0EEEvT1_,"axG",@progbits,_ZN7rocprim17ROCPRIM_400000_NS6detail17trampoline_kernelINS0_14default_configENS1_35adjacent_difference_config_selectorILb0ElEEZNS1_24adjacent_difference_implIS3_Lb0ELb0EPlS7_ZN2at6native12_GLOBAL__N_124unique_dim_cuda_templateIhEESt5tupleIJNS8_6TensorESD_SD_EERKSD_lbbbEUlllE1_EE10hipError_tPvRmT2_T3_mT4_P12ihipStream_tbEUlT_E_NS1_11comp_targetILNS1_3genE10ELNS1_11target_archE1201ELNS1_3gpuE5ELNS1_3repE0EEENS1_30default_config_static_selectorELNS0_4arch9wavefront6targetE0EEEvT1_,comdat
.Lfunc_end59:
	.size	_ZN7rocprim17ROCPRIM_400000_NS6detail17trampoline_kernelINS0_14default_configENS1_35adjacent_difference_config_selectorILb0ElEEZNS1_24adjacent_difference_implIS3_Lb0ELb0EPlS7_ZN2at6native12_GLOBAL__N_124unique_dim_cuda_templateIhEESt5tupleIJNS8_6TensorESD_SD_EERKSD_lbbbEUlllE1_EE10hipError_tPvRmT2_T3_mT4_P12ihipStream_tbEUlT_E_NS1_11comp_targetILNS1_3genE10ELNS1_11target_archE1201ELNS1_3gpuE5ELNS1_3repE0EEENS1_30default_config_static_selectorELNS0_4arch9wavefront6targetE0EEEvT1_, .Lfunc_end59-_ZN7rocprim17ROCPRIM_400000_NS6detail17trampoline_kernelINS0_14default_configENS1_35adjacent_difference_config_selectorILb0ElEEZNS1_24adjacent_difference_implIS3_Lb0ELb0EPlS7_ZN2at6native12_GLOBAL__N_124unique_dim_cuda_templateIhEESt5tupleIJNS8_6TensorESD_SD_EERKSD_lbbbEUlllE1_EE10hipError_tPvRmT2_T3_mT4_P12ihipStream_tbEUlT_E_NS1_11comp_targetILNS1_3genE10ELNS1_11target_archE1201ELNS1_3gpuE5ELNS1_3repE0EEENS1_30default_config_static_selectorELNS0_4arch9wavefront6targetE0EEEvT1_
                                        ; -- End function
	.set _ZN7rocprim17ROCPRIM_400000_NS6detail17trampoline_kernelINS0_14default_configENS1_35adjacent_difference_config_selectorILb0ElEEZNS1_24adjacent_difference_implIS3_Lb0ELb0EPlS7_ZN2at6native12_GLOBAL__N_124unique_dim_cuda_templateIhEESt5tupleIJNS8_6TensorESD_SD_EERKSD_lbbbEUlllE1_EE10hipError_tPvRmT2_T3_mT4_P12ihipStream_tbEUlT_E_NS1_11comp_targetILNS1_3genE10ELNS1_11target_archE1201ELNS1_3gpuE5ELNS1_3repE0EEENS1_30default_config_static_selectorELNS0_4arch9wavefront6targetE0EEEvT1_.num_vgpr, 0
	.set _ZN7rocprim17ROCPRIM_400000_NS6detail17trampoline_kernelINS0_14default_configENS1_35adjacent_difference_config_selectorILb0ElEEZNS1_24adjacent_difference_implIS3_Lb0ELb0EPlS7_ZN2at6native12_GLOBAL__N_124unique_dim_cuda_templateIhEESt5tupleIJNS8_6TensorESD_SD_EERKSD_lbbbEUlllE1_EE10hipError_tPvRmT2_T3_mT4_P12ihipStream_tbEUlT_E_NS1_11comp_targetILNS1_3genE10ELNS1_11target_archE1201ELNS1_3gpuE5ELNS1_3repE0EEENS1_30default_config_static_selectorELNS0_4arch9wavefront6targetE0EEEvT1_.num_agpr, 0
	.set _ZN7rocprim17ROCPRIM_400000_NS6detail17trampoline_kernelINS0_14default_configENS1_35adjacent_difference_config_selectorILb0ElEEZNS1_24adjacent_difference_implIS3_Lb0ELb0EPlS7_ZN2at6native12_GLOBAL__N_124unique_dim_cuda_templateIhEESt5tupleIJNS8_6TensorESD_SD_EERKSD_lbbbEUlllE1_EE10hipError_tPvRmT2_T3_mT4_P12ihipStream_tbEUlT_E_NS1_11comp_targetILNS1_3genE10ELNS1_11target_archE1201ELNS1_3gpuE5ELNS1_3repE0EEENS1_30default_config_static_selectorELNS0_4arch9wavefront6targetE0EEEvT1_.numbered_sgpr, 0
	.set _ZN7rocprim17ROCPRIM_400000_NS6detail17trampoline_kernelINS0_14default_configENS1_35adjacent_difference_config_selectorILb0ElEEZNS1_24adjacent_difference_implIS3_Lb0ELb0EPlS7_ZN2at6native12_GLOBAL__N_124unique_dim_cuda_templateIhEESt5tupleIJNS8_6TensorESD_SD_EERKSD_lbbbEUlllE1_EE10hipError_tPvRmT2_T3_mT4_P12ihipStream_tbEUlT_E_NS1_11comp_targetILNS1_3genE10ELNS1_11target_archE1201ELNS1_3gpuE5ELNS1_3repE0EEENS1_30default_config_static_selectorELNS0_4arch9wavefront6targetE0EEEvT1_.num_named_barrier, 0
	.set _ZN7rocprim17ROCPRIM_400000_NS6detail17trampoline_kernelINS0_14default_configENS1_35adjacent_difference_config_selectorILb0ElEEZNS1_24adjacent_difference_implIS3_Lb0ELb0EPlS7_ZN2at6native12_GLOBAL__N_124unique_dim_cuda_templateIhEESt5tupleIJNS8_6TensorESD_SD_EERKSD_lbbbEUlllE1_EE10hipError_tPvRmT2_T3_mT4_P12ihipStream_tbEUlT_E_NS1_11comp_targetILNS1_3genE10ELNS1_11target_archE1201ELNS1_3gpuE5ELNS1_3repE0EEENS1_30default_config_static_selectorELNS0_4arch9wavefront6targetE0EEEvT1_.private_seg_size, 0
	.set _ZN7rocprim17ROCPRIM_400000_NS6detail17trampoline_kernelINS0_14default_configENS1_35adjacent_difference_config_selectorILb0ElEEZNS1_24adjacent_difference_implIS3_Lb0ELb0EPlS7_ZN2at6native12_GLOBAL__N_124unique_dim_cuda_templateIhEESt5tupleIJNS8_6TensorESD_SD_EERKSD_lbbbEUlllE1_EE10hipError_tPvRmT2_T3_mT4_P12ihipStream_tbEUlT_E_NS1_11comp_targetILNS1_3genE10ELNS1_11target_archE1201ELNS1_3gpuE5ELNS1_3repE0EEENS1_30default_config_static_selectorELNS0_4arch9wavefront6targetE0EEEvT1_.uses_vcc, 0
	.set _ZN7rocprim17ROCPRIM_400000_NS6detail17trampoline_kernelINS0_14default_configENS1_35adjacent_difference_config_selectorILb0ElEEZNS1_24adjacent_difference_implIS3_Lb0ELb0EPlS7_ZN2at6native12_GLOBAL__N_124unique_dim_cuda_templateIhEESt5tupleIJNS8_6TensorESD_SD_EERKSD_lbbbEUlllE1_EE10hipError_tPvRmT2_T3_mT4_P12ihipStream_tbEUlT_E_NS1_11comp_targetILNS1_3genE10ELNS1_11target_archE1201ELNS1_3gpuE5ELNS1_3repE0EEENS1_30default_config_static_selectorELNS0_4arch9wavefront6targetE0EEEvT1_.uses_flat_scratch, 0
	.set _ZN7rocprim17ROCPRIM_400000_NS6detail17trampoline_kernelINS0_14default_configENS1_35adjacent_difference_config_selectorILb0ElEEZNS1_24adjacent_difference_implIS3_Lb0ELb0EPlS7_ZN2at6native12_GLOBAL__N_124unique_dim_cuda_templateIhEESt5tupleIJNS8_6TensorESD_SD_EERKSD_lbbbEUlllE1_EE10hipError_tPvRmT2_T3_mT4_P12ihipStream_tbEUlT_E_NS1_11comp_targetILNS1_3genE10ELNS1_11target_archE1201ELNS1_3gpuE5ELNS1_3repE0EEENS1_30default_config_static_selectorELNS0_4arch9wavefront6targetE0EEEvT1_.has_dyn_sized_stack, 0
	.set _ZN7rocprim17ROCPRIM_400000_NS6detail17trampoline_kernelINS0_14default_configENS1_35adjacent_difference_config_selectorILb0ElEEZNS1_24adjacent_difference_implIS3_Lb0ELb0EPlS7_ZN2at6native12_GLOBAL__N_124unique_dim_cuda_templateIhEESt5tupleIJNS8_6TensorESD_SD_EERKSD_lbbbEUlllE1_EE10hipError_tPvRmT2_T3_mT4_P12ihipStream_tbEUlT_E_NS1_11comp_targetILNS1_3genE10ELNS1_11target_archE1201ELNS1_3gpuE5ELNS1_3repE0EEENS1_30default_config_static_selectorELNS0_4arch9wavefront6targetE0EEEvT1_.has_recursion, 0
	.set _ZN7rocprim17ROCPRIM_400000_NS6detail17trampoline_kernelINS0_14default_configENS1_35adjacent_difference_config_selectorILb0ElEEZNS1_24adjacent_difference_implIS3_Lb0ELb0EPlS7_ZN2at6native12_GLOBAL__N_124unique_dim_cuda_templateIhEESt5tupleIJNS8_6TensorESD_SD_EERKSD_lbbbEUlllE1_EE10hipError_tPvRmT2_T3_mT4_P12ihipStream_tbEUlT_E_NS1_11comp_targetILNS1_3genE10ELNS1_11target_archE1201ELNS1_3gpuE5ELNS1_3repE0EEENS1_30default_config_static_selectorELNS0_4arch9wavefront6targetE0EEEvT1_.has_indirect_call, 0
	.section	.AMDGPU.csdata,"",@progbits
; Kernel info:
; codeLenInByte = 0
; TotalNumSgprs: 0
; NumVgprs: 0
; ScratchSize: 0
; MemoryBound: 0
; FloatMode: 240
; IeeeMode: 1
; LDSByteSize: 0 bytes/workgroup (compile time only)
; SGPRBlocks: 0
; VGPRBlocks: 0
; NumSGPRsForWavesPerEU: 1
; NumVGPRsForWavesPerEU: 1
; NamedBarCnt: 0
; Occupancy: 16
; WaveLimiterHint : 0
; COMPUTE_PGM_RSRC2:SCRATCH_EN: 0
; COMPUTE_PGM_RSRC2:USER_SGPR: 2
; COMPUTE_PGM_RSRC2:TRAP_HANDLER: 0
; COMPUTE_PGM_RSRC2:TGID_X_EN: 1
; COMPUTE_PGM_RSRC2:TGID_Y_EN: 0
; COMPUTE_PGM_RSRC2:TGID_Z_EN: 0
; COMPUTE_PGM_RSRC2:TIDIG_COMP_CNT: 0
	.section	.text._ZN7rocprim17ROCPRIM_400000_NS6detail17trampoline_kernelINS0_14default_configENS1_35adjacent_difference_config_selectorILb0ElEEZNS1_24adjacent_difference_implIS3_Lb0ELb0EPlS7_ZN2at6native12_GLOBAL__N_124unique_dim_cuda_templateIhEESt5tupleIJNS8_6TensorESD_SD_EERKSD_lbbbEUlllE1_EE10hipError_tPvRmT2_T3_mT4_P12ihipStream_tbEUlT_E_NS1_11comp_targetILNS1_3genE5ELNS1_11target_archE942ELNS1_3gpuE9ELNS1_3repE0EEENS1_30default_config_static_selectorELNS0_4arch9wavefront6targetE0EEEvT1_,"axG",@progbits,_ZN7rocprim17ROCPRIM_400000_NS6detail17trampoline_kernelINS0_14default_configENS1_35adjacent_difference_config_selectorILb0ElEEZNS1_24adjacent_difference_implIS3_Lb0ELb0EPlS7_ZN2at6native12_GLOBAL__N_124unique_dim_cuda_templateIhEESt5tupleIJNS8_6TensorESD_SD_EERKSD_lbbbEUlllE1_EE10hipError_tPvRmT2_T3_mT4_P12ihipStream_tbEUlT_E_NS1_11comp_targetILNS1_3genE5ELNS1_11target_archE942ELNS1_3gpuE9ELNS1_3repE0EEENS1_30default_config_static_selectorELNS0_4arch9wavefront6targetE0EEEvT1_,comdat
	.globl	_ZN7rocprim17ROCPRIM_400000_NS6detail17trampoline_kernelINS0_14default_configENS1_35adjacent_difference_config_selectorILb0ElEEZNS1_24adjacent_difference_implIS3_Lb0ELb0EPlS7_ZN2at6native12_GLOBAL__N_124unique_dim_cuda_templateIhEESt5tupleIJNS8_6TensorESD_SD_EERKSD_lbbbEUlllE1_EE10hipError_tPvRmT2_T3_mT4_P12ihipStream_tbEUlT_E_NS1_11comp_targetILNS1_3genE5ELNS1_11target_archE942ELNS1_3gpuE9ELNS1_3repE0EEENS1_30default_config_static_selectorELNS0_4arch9wavefront6targetE0EEEvT1_ ; -- Begin function _ZN7rocprim17ROCPRIM_400000_NS6detail17trampoline_kernelINS0_14default_configENS1_35adjacent_difference_config_selectorILb0ElEEZNS1_24adjacent_difference_implIS3_Lb0ELb0EPlS7_ZN2at6native12_GLOBAL__N_124unique_dim_cuda_templateIhEESt5tupleIJNS8_6TensorESD_SD_EERKSD_lbbbEUlllE1_EE10hipError_tPvRmT2_T3_mT4_P12ihipStream_tbEUlT_E_NS1_11comp_targetILNS1_3genE5ELNS1_11target_archE942ELNS1_3gpuE9ELNS1_3repE0EEENS1_30default_config_static_selectorELNS0_4arch9wavefront6targetE0EEEvT1_
	.p2align	8
	.type	_ZN7rocprim17ROCPRIM_400000_NS6detail17trampoline_kernelINS0_14default_configENS1_35adjacent_difference_config_selectorILb0ElEEZNS1_24adjacent_difference_implIS3_Lb0ELb0EPlS7_ZN2at6native12_GLOBAL__N_124unique_dim_cuda_templateIhEESt5tupleIJNS8_6TensorESD_SD_EERKSD_lbbbEUlllE1_EE10hipError_tPvRmT2_T3_mT4_P12ihipStream_tbEUlT_E_NS1_11comp_targetILNS1_3genE5ELNS1_11target_archE942ELNS1_3gpuE9ELNS1_3repE0EEENS1_30default_config_static_selectorELNS0_4arch9wavefront6targetE0EEEvT1_,@function
_ZN7rocprim17ROCPRIM_400000_NS6detail17trampoline_kernelINS0_14default_configENS1_35adjacent_difference_config_selectorILb0ElEEZNS1_24adjacent_difference_implIS3_Lb0ELb0EPlS7_ZN2at6native12_GLOBAL__N_124unique_dim_cuda_templateIhEESt5tupleIJNS8_6TensorESD_SD_EERKSD_lbbbEUlllE1_EE10hipError_tPvRmT2_T3_mT4_P12ihipStream_tbEUlT_E_NS1_11comp_targetILNS1_3genE5ELNS1_11target_archE942ELNS1_3gpuE9ELNS1_3repE0EEENS1_30default_config_static_selectorELNS0_4arch9wavefront6targetE0EEEvT1_: ; @_ZN7rocprim17ROCPRIM_400000_NS6detail17trampoline_kernelINS0_14default_configENS1_35adjacent_difference_config_selectorILb0ElEEZNS1_24adjacent_difference_implIS3_Lb0ELb0EPlS7_ZN2at6native12_GLOBAL__N_124unique_dim_cuda_templateIhEESt5tupleIJNS8_6TensorESD_SD_EERKSD_lbbbEUlllE1_EE10hipError_tPvRmT2_T3_mT4_P12ihipStream_tbEUlT_E_NS1_11comp_targetILNS1_3genE5ELNS1_11target_archE942ELNS1_3gpuE9ELNS1_3repE0EEENS1_30default_config_static_selectorELNS0_4arch9wavefront6targetE0EEEvT1_
; %bb.0:
	.section	.rodata,"a",@progbits
	.p2align	6, 0x0
	.amdhsa_kernel _ZN7rocprim17ROCPRIM_400000_NS6detail17trampoline_kernelINS0_14default_configENS1_35adjacent_difference_config_selectorILb0ElEEZNS1_24adjacent_difference_implIS3_Lb0ELb0EPlS7_ZN2at6native12_GLOBAL__N_124unique_dim_cuda_templateIhEESt5tupleIJNS8_6TensorESD_SD_EERKSD_lbbbEUlllE1_EE10hipError_tPvRmT2_T3_mT4_P12ihipStream_tbEUlT_E_NS1_11comp_targetILNS1_3genE5ELNS1_11target_archE942ELNS1_3gpuE9ELNS1_3repE0EEENS1_30default_config_static_selectorELNS0_4arch9wavefront6targetE0EEEvT1_
		.amdhsa_group_segment_fixed_size 0
		.amdhsa_private_segment_fixed_size 0
		.amdhsa_kernarg_size 64
		.amdhsa_user_sgpr_count 2
		.amdhsa_user_sgpr_dispatch_ptr 0
		.amdhsa_user_sgpr_queue_ptr 0
		.amdhsa_user_sgpr_kernarg_segment_ptr 1
		.amdhsa_user_sgpr_dispatch_id 0
		.amdhsa_user_sgpr_kernarg_preload_length 0
		.amdhsa_user_sgpr_kernarg_preload_offset 0
		.amdhsa_user_sgpr_private_segment_size 0
		.amdhsa_wavefront_size32 1
		.amdhsa_uses_dynamic_stack 0
		.amdhsa_enable_private_segment 0
		.amdhsa_system_sgpr_workgroup_id_x 1
		.amdhsa_system_sgpr_workgroup_id_y 0
		.amdhsa_system_sgpr_workgroup_id_z 0
		.amdhsa_system_sgpr_workgroup_info 0
		.amdhsa_system_vgpr_workitem_id 0
		.amdhsa_next_free_vgpr 1
		.amdhsa_next_free_sgpr 1
		.amdhsa_named_barrier_count 0
		.amdhsa_reserve_vcc 0
		.amdhsa_float_round_mode_32 0
		.amdhsa_float_round_mode_16_64 0
		.amdhsa_float_denorm_mode_32 3
		.amdhsa_float_denorm_mode_16_64 3
		.amdhsa_fp16_overflow 0
		.amdhsa_memory_ordered 1
		.amdhsa_forward_progress 1
		.amdhsa_inst_pref_size 0
		.amdhsa_round_robin_scheduling 0
		.amdhsa_exception_fp_ieee_invalid_op 0
		.amdhsa_exception_fp_denorm_src 0
		.amdhsa_exception_fp_ieee_div_zero 0
		.amdhsa_exception_fp_ieee_overflow 0
		.amdhsa_exception_fp_ieee_underflow 0
		.amdhsa_exception_fp_ieee_inexact 0
		.amdhsa_exception_int_div_zero 0
	.end_amdhsa_kernel
	.section	.text._ZN7rocprim17ROCPRIM_400000_NS6detail17trampoline_kernelINS0_14default_configENS1_35adjacent_difference_config_selectorILb0ElEEZNS1_24adjacent_difference_implIS3_Lb0ELb0EPlS7_ZN2at6native12_GLOBAL__N_124unique_dim_cuda_templateIhEESt5tupleIJNS8_6TensorESD_SD_EERKSD_lbbbEUlllE1_EE10hipError_tPvRmT2_T3_mT4_P12ihipStream_tbEUlT_E_NS1_11comp_targetILNS1_3genE5ELNS1_11target_archE942ELNS1_3gpuE9ELNS1_3repE0EEENS1_30default_config_static_selectorELNS0_4arch9wavefront6targetE0EEEvT1_,"axG",@progbits,_ZN7rocprim17ROCPRIM_400000_NS6detail17trampoline_kernelINS0_14default_configENS1_35adjacent_difference_config_selectorILb0ElEEZNS1_24adjacent_difference_implIS3_Lb0ELb0EPlS7_ZN2at6native12_GLOBAL__N_124unique_dim_cuda_templateIhEESt5tupleIJNS8_6TensorESD_SD_EERKSD_lbbbEUlllE1_EE10hipError_tPvRmT2_T3_mT4_P12ihipStream_tbEUlT_E_NS1_11comp_targetILNS1_3genE5ELNS1_11target_archE942ELNS1_3gpuE9ELNS1_3repE0EEENS1_30default_config_static_selectorELNS0_4arch9wavefront6targetE0EEEvT1_,comdat
.Lfunc_end60:
	.size	_ZN7rocprim17ROCPRIM_400000_NS6detail17trampoline_kernelINS0_14default_configENS1_35adjacent_difference_config_selectorILb0ElEEZNS1_24adjacent_difference_implIS3_Lb0ELb0EPlS7_ZN2at6native12_GLOBAL__N_124unique_dim_cuda_templateIhEESt5tupleIJNS8_6TensorESD_SD_EERKSD_lbbbEUlllE1_EE10hipError_tPvRmT2_T3_mT4_P12ihipStream_tbEUlT_E_NS1_11comp_targetILNS1_3genE5ELNS1_11target_archE942ELNS1_3gpuE9ELNS1_3repE0EEENS1_30default_config_static_selectorELNS0_4arch9wavefront6targetE0EEEvT1_, .Lfunc_end60-_ZN7rocprim17ROCPRIM_400000_NS6detail17trampoline_kernelINS0_14default_configENS1_35adjacent_difference_config_selectorILb0ElEEZNS1_24adjacent_difference_implIS3_Lb0ELb0EPlS7_ZN2at6native12_GLOBAL__N_124unique_dim_cuda_templateIhEESt5tupleIJNS8_6TensorESD_SD_EERKSD_lbbbEUlllE1_EE10hipError_tPvRmT2_T3_mT4_P12ihipStream_tbEUlT_E_NS1_11comp_targetILNS1_3genE5ELNS1_11target_archE942ELNS1_3gpuE9ELNS1_3repE0EEENS1_30default_config_static_selectorELNS0_4arch9wavefront6targetE0EEEvT1_
                                        ; -- End function
	.set _ZN7rocprim17ROCPRIM_400000_NS6detail17trampoline_kernelINS0_14default_configENS1_35adjacent_difference_config_selectorILb0ElEEZNS1_24adjacent_difference_implIS3_Lb0ELb0EPlS7_ZN2at6native12_GLOBAL__N_124unique_dim_cuda_templateIhEESt5tupleIJNS8_6TensorESD_SD_EERKSD_lbbbEUlllE1_EE10hipError_tPvRmT2_T3_mT4_P12ihipStream_tbEUlT_E_NS1_11comp_targetILNS1_3genE5ELNS1_11target_archE942ELNS1_3gpuE9ELNS1_3repE0EEENS1_30default_config_static_selectorELNS0_4arch9wavefront6targetE0EEEvT1_.num_vgpr, 0
	.set _ZN7rocprim17ROCPRIM_400000_NS6detail17trampoline_kernelINS0_14default_configENS1_35adjacent_difference_config_selectorILb0ElEEZNS1_24adjacent_difference_implIS3_Lb0ELb0EPlS7_ZN2at6native12_GLOBAL__N_124unique_dim_cuda_templateIhEESt5tupleIJNS8_6TensorESD_SD_EERKSD_lbbbEUlllE1_EE10hipError_tPvRmT2_T3_mT4_P12ihipStream_tbEUlT_E_NS1_11comp_targetILNS1_3genE5ELNS1_11target_archE942ELNS1_3gpuE9ELNS1_3repE0EEENS1_30default_config_static_selectorELNS0_4arch9wavefront6targetE0EEEvT1_.num_agpr, 0
	.set _ZN7rocprim17ROCPRIM_400000_NS6detail17trampoline_kernelINS0_14default_configENS1_35adjacent_difference_config_selectorILb0ElEEZNS1_24adjacent_difference_implIS3_Lb0ELb0EPlS7_ZN2at6native12_GLOBAL__N_124unique_dim_cuda_templateIhEESt5tupleIJNS8_6TensorESD_SD_EERKSD_lbbbEUlllE1_EE10hipError_tPvRmT2_T3_mT4_P12ihipStream_tbEUlT_E_NS1_11comp_targetILNS1_3genE5ELNS1_11target_archE942ELNS1_3gpuE9ELNS1_3repE0EEENS1_30default_config_static_selectorELNS0_4arch9wavefront6targetE0EEEvT1_.numbered_sgpr, 0
	.set _ZN7rocprim17ROCPRIM_400000_NS6detail17trampoline_kernelINS0_14default_configENS1_35adjacent_difference_config_selectorILb0ElEEZNS1_24adjacent_difference_implIS3_Lb0ELb0EPlS7_ZN2at6native12_GLOBAL__N_124unique_dim_cuda_templateIhEESt5tupleIJNS8_6TensorESD_SD_EERKSD_lbbbEUlllE1_EE10hipError_tPvRmT2_T3_mT4_P12ihipStream_tbEUlT_E_NS1_11comp_targetILNS1_3genE5ELNS1_11target_archE942ELNS1_3gpuE9ELNS1_3repE0EEENS1_30default_config_static_selectorELNS0_4arch9wavefront6targetE0EEEvT1_.num_named_barrier, 0
	.set _ZN7rocprim17ROCPRIM_400000_NS6detail17trampoline_kernelINS0_14default_configENS1_35adjacent_difference_config_selectorILb0ElEEZNS1_24adjacent_difference_implIS3_Lb0ELb0EPlS7_ZN2at6native12_GLOBAL__N_124unique_dim_cuda_templateIhEESt5tupleIJNS8_6TensorESD_SD_EERKSD_lbbbEUlllE1_EE10hipError_tPvRmT2_T3_mT4_P12ihipStream_tbEUlT_E_NS1_11comp_targetILNS1_3genE5ELNS1_11target_archE942ELNS1_3gpuE9ELNS1_3repE0EEENS1_30default_config_static_selectorELNS0_4arch9wavefront6targetE0EEEvT1_.private_seg_size, 0
	.set _ZN7rocprim17ROCPRIM_400000_NS6detail17trampoline_kernelINS0_14default_configENS1_35adjacent_difference_config_selectorILb0ElEEZNS1_24adjacent_difference_implIS3_Lb0ELb0EPlS7_ZN2at6native12_GLOBAL__N_124unique_dim_cuda_templateIhEESt5tupleIJNS8_6TensorESD_SD_EERKSD_lbbbEUlllE1_EE10hipError_tPvRmT2_T3_mT4_P12ihipStream_tbEUlT_E_NS1_11comp_targetILNS1_3genE5ELNS1_11target_archE942ELNS1_3gpuE9ELNS1_3repE0EEENS1_30default_config_static_selectorELNS0_4arch9wavefront6targetE0EEEvT1_.uses_vcc, 0
	.set _ZN7rocprim17ROCPRIM_400000_NS6detail17trampoline_kernelINS0_14default_configENS1_35adjacent_difference_config_selectorILb0ElEEZNS1_24adjacent_difference_implIS3_Lb0ELb0EPlS7_ZN2at6native12_GLOBAL__N_124unique_dim_cuda_templateIhEESt5tupleIJNS8_6TensorESD_SD_EERKSD_lbbbEUlllE1_EE10hipError_tPvRmT2_T3_mT4_P12ihipStream_tbEUlT_E_NS1_11comp_targetILNS1_3genE5ELNS1_11target_archE942ELNS1_3gpuE9ELNS1_3repE0EEENS1_30default_config_static_selectorELNS0_4arch9wavefront6targetE0EEEvT1_.uses_flat_scratch, 0
	.set _ZN7rocprim17ROCPRIM_400000_NS6detail17trampoline_kernelINS0_14default_configENS1_35adjacent_difference_config_selectorILb0ElEEZNS1_24adjacent_difference_implIS3_Lb0ELb0EPlS7_ZN2at6native12_GLOBAL__N_124unique_dim_cuda_templateIhEESt5tupleIJNS8_6TensorESD_SD_EERKSD_lbbbEUlllE1_EE10hipError_tPvRmT2_T3_mT4_P12ihipStream_tbEUlT_E_NS1_11comp_targetILNS1_3genE5ELNS1_11target_archE942ELNS1_3gpuE9ELNS1_3repE0EEENS1_30default_config_static_selectorELNS0_4arch9wavefront6targetE0EEEvT1_.has_dyn_sized_stack, 0
	.set _ZN7rocprim17ROCPRIM_400000_NS6detail17trampoline_kernelINS0_14default_configENS1_35adjacent_difference_config_selectorILb0ElEEZNS1_24adjacent_difference_implIS3_Lb0ELb0EPlS7_ZN2at6native12_GLOBAL__N_124unique_dim_cuda_templateIhEESt5tupleIJNS8_6TensorESD_SD_EERKSD_lbbbEUlllE1_EE10hipError_tPvRmT2_T3_mT4_P12ihipStream_tbEUlT_E_NS1_11comp_targetILNS1_3genE5ELNS1_11target_archE942ELNS1_3gpuE9ELNS1_3repE0EEENS1_30default_config_static_selectorELNS0_4arch9wavefront6targetE0EEEvT1_.has_recursion, 0
	.set _ZN7rocprim17ROCPRIM_400000_NS6detail17trampoline_kernelINS0_14default_configENS1_35adjacent_difference_config_selectorILb0ElEEZNS1_24adjacent_difference_implIS3_Lb0ELb0EPlS7_ZN2at6native12_GLOBAL__N_124unique_dim_cuda_templateIhEESt5tupleIJNS8_6TensorESD_SD_EERKSD_lbbbEUlllE1_EE10hipError_tPvRmT2_T3_mT4_P12ihipStream_tbEUlT_E_NS1_11comp_targetILNS1_3genE5ELNS1_11target_archE942ELNS1_3gpuE9ELNS1_3repE0EEENS1_30default_config_static_selectorELNS0_4arch9wavefront6targetE0EEEvT1_.has_indirect_call, 0
	.section	.AMDGPU.csdata,"",@progbits
; Kernel info:
; codeLenInByte = 0
; TotalNumSgprs: 0
; NumVgprs: 0
; ScratchSize: 0
; MemoryBound: 0
; FloatMode: 240
; IeeeMode: 1
; LDSByteSize: 0 bytes/workgroup (compile time only)
; SGPRBlocks: 0
; VGPRBlocks: 0
; NumSGPRsForWavesPerEU: 1
; NumVGPRsForWavesPerEU: 1
; NamedBarCnt: 0
; Occupancy: 16
; WaveLimiterHint : 0
; COMPUTE_PGM_RSRC2:SCRATCH_EN: 0
; COMPUTE_PGM_RSRC2:USER_SGPR: 2
; COMPUTE_PGM_RSRC2:TRAP_HANDLER: 0
; COMPUTE_PGM_RSRC2:TGID_X_EN: 1
; COMPUTE_PGM_RSRC2:TGID_Y_EN: 0
; COMPUTE_PGM_RSRC2:TGID_Z_EN: 0
; COMPUTE_PGM_RSRC2:TIDIG_COMP_CNT: 0
	.section	.text._ZN7rocprim17ROCPRIM_400000_NS6detail17trampoline_kernelINS0_14default_configENS1_35adjacent_difference_config_selectorILb0ElEEZNS1_24adjacent_difference_implIS3_Lb0ELb0EPlS7_ZN2at6native12_GLOBAL__N_124unique_dim_cuda_templateIhEESt5tupleIJNS8_6TensorESD_SD_EERKSD_lbbbEUlllE1_EE10hipError_tPvRmT2_T3_mT4_P12ihipStream_tbEUlT_E_NS1_11comp_targetILNS1_3genE4ELNS1_11target_archE910ELNS1_3gpuE8ELNS1_3repE0EEENS1_30default_config_static_selectorELNS0_4arch9wavefront6targetE0EEEvT1_,"axG",@progbits,_ZN7rocprim17ROCPRIM_400000_NS6detail17trampoline_kernelINS0_14default_configENS1_35adjacent_difference_config_selectorILb0ElEEZNS1_24adjacent_difference_implIS3_Lb0ELb0EPlS7_ZN2at6native12_GLOBAL__N_124unique_dim_cuda_templateIhEESt5tupleIJNS8_6TensorESD_SD_EERKSD_lbbbEUlllE1_EE10hipError_tPvRmT2_T3_mT4_P12ihipStream_tbEUlT_E_NS1_11comp_targetILNS1_3genE4ELNS1_11target_archE910ELNS1_3gpuE8ELNS1_3repE0EEENS1_30default_config_static_selectorELNS0_4arch9wavefront6targetE0EEEvT1_,comdat
	.globl	_ZN7rocprim17ROCPRIM_400000_NS6detail17trampoline_kernelINS0_14default_configENS1_35adjacent_difference_config_selectorILb0ElEEZNS1_24adjacent_difference_implIS3_Lb0ELb0EPlS7_ZN2at6native12_GLOBAL__N_124unique_dim_cuda_templateIhEESt5tupleIJNS8_6TensorESD_SD_EERKSD_lbbbEUlllE1_EE10hipError_tPvRmT2_T3_mT4_P12ihipStream_tbEUlT_E_NS1_11comp_targetILNS1_3genE4ELNS1_11target_archE910ELNS1_3gpuE8ELNS1_3repE0EEENS1_30default_config_static_selectorELNS0_4arch9wavefront6targetE0EEEvT1_ ; -- Begin function _ZN7rocprim17ROCPRIM_400000_NS6detail17trampoline_kernelINS0_14default_configENS1_35adjacent_difference_config_selectorILb0ElEEZNS1_24adjacent_difference_implIS3_Lb0ELb0EPlS7_ZN2at6native12_GLOBAL__N_124unique_dim_cuda_templateIhEESt5tupleIJNS8_6TensorESD_SD_EERKSD_lbbbEUlllE1_EE10hipError_tPvRmT2_T3_mT4_P12ihipStream_tbEUlT_E_NS1_11comp_targetILNS1_3genE4ELNS1_11target_archE910ELNS1_3gpuE8ELNS1_3repE0EEENS1_30default_config_static_selectorELNS0_4arch9wavefront6targetE0EEEvT1_
	.p2align	8
	.type	_ZN7rocprim17ROCPRIM_400000_NS6detail17trampoline_kernelINS0_14default_configENS1_35adjacent_difference_config_selectorILb0ElEEZNS1_24adjacent_difference_implIS3_Lb0ELb0EPlS7_ZN2at6native12_GLOBAL__N_124unique_dim_cuda_templateIhEESt5tupleIJNS8_6TensorESD_SD_EERKSD_lbbbEUlllE1_EE10hipError_tPvRmT2_T3_mT4_P12ihipStream_tbEUlT_E_NS1_11comp_targetILNS1_3genE4ELNS1_11target_archE910ELNS1_3gpuE8ELNS1_3repE0EEENS1_30default_config_static_selectorELNS0_4arch9wavefront6targetE0EEEvT1_,@function
_ZN7rocprim17ROCPRIM_400000_NS6detail17trampoline_kernelINS0_14default_configENS1_35adjacent_difference_config_selectorILb0ElEEZNS1_24adjacent_difference_implIS3_Lb0ELb0EPlS7_ZN2at6native12_GLOBAL__N_124unique_dim_cuda_templateIhEESt5tupleIJNS8_6TensorESD_SD_EERKSD_lbbbEUlllE1_EE10hipError_tPvRmT2_T3_mT4_P12ihipStream_tbEUlT_E_NS1_11comp_targetILNS1_3genE4ELNS1_11target_archE910ELNS1_3gpuE8ELNS1_3repE0EEENS1_30default_config_static_selectorELNS0_4arch9wavefront6targetE0EEEvT1_: ; @_ZN7rocprim17ROCPRIM_400000_NS6detail17trampoline_kernelINS0_14default_configENS1_35adjacent_difference_config_selectorILb0ElEEZNS1_24adjacent_difference_implIS3_Lb0ELb0EPlS7_ZN2at6native12_GLOBAL__N_124unique_dim_cuda_templateIhEESt5tupleIJNS8_6TensorESD_SD_EERKSD_lbbbEUlllE1_EE10hipError_tPvRmT2_T3_mT4_P12ihipStream_tbEUlT_E_NS1_11comp_targetILNS1_3genE4ELNS1_11target_archE910ELNS1_3gpuE8ELNS1_3repE0EEENS1_30default_config_static_selectorELNS0_4arch9wavefront6targetE0EEEvT1_
; %bb.0:
	.section	.rodata,"a",@progbits
	.p2align	6, 0x0
	.amdhsa_kernel _ZN7rocprim17ROCPRIM_400000_NS6detail17trampoline_kernelINS0_14default_configENS1_35adjacent_difference_config_selectorILb0ElEEZNS1_24adjacent_difference_implIS3_Lb0ELb0EPlS7_ZN2at6native12_GLOBAL__N_124unique_dim_cuda_templateIhEESt5tupleIJNS8_6TensorESD_SD_EERKSD_lbbbEUlllE1_EE10hipError_tPvRmT2_T3_mT4_P12ihipStream_tbEUlT_E_NS1_11comp_targetILNS1_3genE4ELNS1_11target_archE910ELNS1_3gpuE8ELNS1_3repE0EEENS1_30default_config_static_selectorELNS0_4arch9wavefront6targetE0EEEvT1_
		.amdhsa_group_segment_fixed_size 0
		.amdhsa_private_segment_fixed_size 0
		.amdhsa_kernarg_size 64
		.amdhsa_user_sgpr_count 2
		.amdhsa_user_sgpr_dispatch_ptr 0
		.amdhsa_user_sgpr_queue_ptr 0
		.amdhsa_user_sgpr_kernarg_segment_ptr 1
		.amdhsa_user_sgpr_dispatch_id 0
		.amdhsa_user_sgpr_kernarg_preload_length 0
		.amdhsa_user_sgpr_kernarg_preload_offset 0
		.amdhsa_user_sgpr_private_segment_size 0
		.amdhsa_wavefront_size32 1
		.amdhsa_uses_dynamic_stack 0
		.amdhsa_enable_private_segment 0
		.amdhsa_system_sgpr_workgroup_id_x 1
		.amdhsa_system_sgpr_workgroup_id_y 0
		.amdhsa_system_sgpr_workgroup_id_z 0
		.amdhsa_system_sgpr_workgroup_info 0
		.amdhsa_system_vgpr_workitem_id 0
		.amdhsa_next_free_vgpr 1
		.amdhsa_next_free_sgpr 1
		.amdhsa_named_barrier_count 0
		.amdhsa_reserve_vcc 0
		.amdhsa_float_round_mode_32 0
		.amdhsa_float_round_mode_16_64 0
		.amdhsa_float_denorm_mode_32 3
		.amdhsa_float_denorm_mode_16_64 3
		.amdhsa_fp16_overflow 0
		.amdhsa_memory_ordered 1
		.amdhsa_forward_progress 1
		.amdhsa_inst_pref_size 0
		.amdhsa_round_robin_scheduling 0
		.amdhsa_exception_fp_ieee_invalid_op 0
		.amdhsa_exception_fp_denorm_src 0
		.amdhsa_exception_fp_ieee_div_zero 0
		.amdhsa_exception_fp_ieee_overflow 0
		.amdhsa_exception_fp_ieee_underflow 0
		.amdhsa_exception_fp_ieee_inexact 0
		.amdhsa_exception_int_div_zero 0
	.end_amdhsa_kernel
	.section	.text._ZN7rocprim17ROCPRIM_400000_NS6detail17trampoline_kernelINS0_14default_configENS1_35adjacent_difference_config_selectorILb0ElEEZNS1_24adjacent_difference_implIS3_Lb0ELb0EPlS7_ZN2at6native12_GLOBAL__N_124unique_dim_cuda_templateIhEESt5tupleIJNS8_6TensorESD_SD_EERKSD_lbbbEUlllE1_EE10hipError_tPvRmT2_T3_mT4_P12ihipStream_tbEUlT_E_NS1_11comp_targetILNS1_3genE4ELNS1_11target_archE910ELNS1_3gpuE8ELNS1_3repE0EEENS1_30default_config_static_selectorELNS0_4arch9wavefront6targetE0EEEvT1_,"axG",@progbits,_ZN7rocprim17ROCPRIM_400000_NS6detail17trampoline_kernelINS0_14default_configENS1_35adjacent_difference_config_selectorILb0ElEEZNS1_24adjacent_difference_implIS3_Lb0ELb0EPlS7_ZN2at6native12_GLOBAL__N_124unique_dim_cuda_templateIhEESt5tupleIJNS8_6TensorESD_SD_EERKSD_lbbbEUlllE1_EE10hipError_tPvRmT2_T3_mT4_P12ihipStream_tbEUlT_E_NS1_11comp_targetILNS1_3genE4ELNS1_11target_archE910ELNS1_3gpuE8ELNS1_3repE0EEENS1_30default_config_static_selectorELNS0_4arch9wavefront6targetE0EEEvT1_,comdat
.Lfunc_end61:
	.size	_ZN7rocprim17ROCPRIM_400000_NS6detail17trampoline_kernelINS0_14default_configENS1_35adjacent_difference_config_selectorILb0ElEEZNS1_24adjacent_difference_implIS3_Lb0ELb0EPlS7_ZN2at6native12_GLOBAL__N_124unique_dim_cuda_templateIhEESt5tupleIJNS8_6TensorESD_SD_EERKSD_lbbbEUlllE1_EE10hipError_tPvRmT2_T3_mT4_P12ihipStream_tbEUlT_E_NS1_11comp_targetILNS1_3genE4ELNS1_11target_archE910ELNS1_3gpuE8ELNS1_3repE0EEENS1_30default_config_static_selectorELNS0_4arch9wavefront6targetE0EEEvT1_, .Lfunc_end61-_ZN7rocprim17ROCPRIM_400000_NS6detail17trampoline_kernelINS0_14default_configENS1_35adjacent_difference_config_selectorILb0ElEEZNS1_24adjacent_difference_implIS3_Lb0ELb0EPlS7_ZN2at6native12_GLOBAL__N_124unique_dim_cuda_templateIhEESt5tupleIJNS8_6TensorESD_SD_EERKSD_lbbbEUlllE1_EE10hipError_tPvRmT2_T3_mT4_P12ihipStream_tbEUlT_E_NS1_11comp_targetILNS1_3genE4ELNS1_11target_archE910ELNS1_3gpuE8ELNS1_3repE0EEENS1_30default_config_static_selectorELNS0_4arch9wavefront6targetE0EEEvT1_
                                        ; -- End function
	.set _ZN7rocprim17ROCPRIM_400000_NS6detail17trampoline_kernelINS0_14default_configENS1_35adjacent_difference_config_selectorILb0ElEEZNS1_24adjacent_difference_implIS3_Lb0ELb0EPlS7_ZN2at6native12_GLOBAL__N_124unique_dim_cuda_templateIhEESt5tupleIJNS8_6TensorESD_SD_EERKSD_lbbbEUlllE1_EE10hipError_tPvRmT2_T3_mT4_P12ihipStream_tbEUlT_E_NS1_11comp_targetILNS1_3genE4ELNS1_11target_archE910ELNS1_3gpuE8ELNS1_3repE0EEENS1_30default_config_static_selectorELNS0_4arch9wavefront6targetE0EEEvT1_.num_vgpr, 0
	.set _ZN7rocprim17ROCPRIM_400000_NS6detail17trampoline_kernelINS0_14default_configENS1_35adjacent_difference_config_selectorILb0ElEEZNS1_24adjacent_difference_implIS3_Lb0ELb0EPlS7_ZN2at6native12_GLOBAL__N_124unique_dim_cuda_templateIhEESt5tupleIJNS8_6TensorESD_SD_EERKSD_lbbbEUlllE1_EE10hipError_tPvRmT2_T3_mT4_P12ihipStream_tbEUlT_E_NS1_11comp_targetILNS1_3genE4ELNS1_11target_archE910ELNS1_3gpuE8ELNS1_3repE0EEENS1_30default_config_static_selectorELNS0_4arch9wavefront6targetE0EEEvT1_.num_agpr, 0
	.set _ZN7rocprim17ROCPRIM_400000_NS6detail17trampoline_kernelINS0_14default_configENS1_35adjacent_difference_config_selectorILb0ElEEZNS1_24adjacent_difference_implIS3_Lb0ELb0EPlS7_ZN2at6native12_GLOBAL__N_124unique_dim_cuda_templateIhEESt5tupleIJNS8_6TensorESD_SD_EERKSD_lbbbEUlllE1_EE10hipError_tPvRmT2_T3_mT4_P12ihipStream_tbEUlT_E_NS1_11comp_targetILNS1_3genE4ELNS1_11target_archE910ELNS1_3gpuE8ELNS1_3repE0EEENS1_30default_config_static_selectorELNS0_4arch9wavefront6targetE0EEEvT1_.numbered_sgpr, 0
	.set _ZN7rocprim17ROCPRIM_400000_NS6detail17trampoline_kernelINS0_14default_configENS1_35adjacent_difference_config_selectorILb0ElEEZNS1_24adjacent_difference_implIS3_Lb0ELb0EPlS7_ZN2at6native12_GLOBAL__N_124unique_dim_cuda_templateIhEESt5tupleIJNS8_6TensorESD_SD_EERKSD_lbbbEUlllE1_EE10hipError_tPvRmT2_T3_mT4_P12ihipStream_tbEUlT_E_NS1_11comp_targetILNS1_3genE4ELNS1_11target_archE910ELNS1_3gpuE8ELNS1_3repE0EEENS1_30default_config_static_selectorELNS0_4arch9wavefront6targetE0EEEvT1_.num_named_barrier, 0
	.set _ZN7rocprim17ROCPRIM_400000_NS6detail17trampoline_kernelINS0_14default_configENS1_35adjacent_difference_config_selectorILb0ElEEZNS1_24adjacent_difference_implIS3_Lb0ELb0EPlS7_ZN2at6native12_GLOBAL__N_124unique_dim_cuda_templateIhEESt5tupleIJNS8_6TensorESD_SD_EERKSD_lbbbEUlllE1_EE10hipError_tPvRmT2_T3_mT4_P12ihipStream_tbEUlT_E_NS1_11comp_targetILNS1_3genE4ELNS1_11target_archE910ELNS1_3gpuE8ELNS1_3repE0EEENS1_30default_config_static_selectorELNS0_4arch9wavefront6targetE0EEEvT1_.private_seg_size, 0
	.set _ZN7rocprim17ROCPRIM_400000_NS6detail17trampoline_kernelINS0_14default_configENS1_35adjacent_difference_config_selectorILb0ElEEZNS1_24adjacent_difference_implIS3_Lb0ELb0EPlS7_ZN2at6native12_GLOBAL__N_124unique_dim_cuda_templateIhEESt5tupleIJNS8_6TensorESD_SD_EERKSD_lbbbEUlllE1_EE10hipError_tPvRmT2_T3_mT4_P12ihipStream_tbEUlT_E_NS1_11comp_targetILNS1_3genE4ELNS1_11target_archE910ELNS1_3gpuE8ELNS1_3repE0EEENS1_30default_config_static_selectorELNS0_4arch9wavefront6targetE0EEEvT1_.uses_vcc, 0
	.set _ZN7rocprim17ROCPRIM_400000_NS6detail17trampoline_kernelINS0_14default_configENS1_35adjacent_difference_config_selectorILb0ElEEZNS1_24adjacent_difference_implIS3_Lb0ELb0EPlS7_ZN2at6native12_GLOBAL__N_124unique_dim_cuda_templateIhEESt5tupleIJNS8_6TensorESD_SD_EERKSD_lbbbEUlllE1_EE10hipError_tPvRmT2_T3_mT4_P12ihipStream_tbEUlT_E_NS1_11comp_targetILNS1_3genE4ELNS1_11target_archE910ELNS1_3gpuE8ELNS1_3repE0EEENS1_30default_config_static_selectorELNS0_4arch9wavefront6targetE0EEEvT1_.uses_flat_scratch, 0
	.set _ZN7rocprim17ROCPRIM_400000_NS6detail17trampoline_kernelINS0_14default_configENS1_35adjacent_difference_config_selectorILb0ElEEZNS1_24adjacent_difference_implIS3_Lb0ELb0EPlS7_ZN2at6native12_GLOBAL__N_124unique_dim_cuda_templateIhEESt5tupleIJNS8_6TensorESD_SD_EERKSD_lbbbEUlllE1_EE10hipError_tPvRmT2_T3_mT4_P12ihipStream_tbEUlT_E_NS1_11comp_targetILNS1_3genE4ELNS1_11target_archE910ELNS1_3gpuE8ELNS1_3repE0EEENS1_30default_config_static_selectorELNS0_4arch9wavefront6targetE0EEEvT1_.has_dyn_sized_stack, 0
	.set _ZN7rocprim17ROCPRIM_400000_NS6detail17trampoline_kernelINS0_14default_configENS1_35adjacent_difference_config_selectorILb0ElEEZNS1_24adjacent_difference_implIS3_Lb0ELb0EPlS7_ZN2at6native12_GLOBAL__N_124unique_dim_cuda_templateIhEESt5tupleIJNS8_6TensorESD_SD_EERKSD_lbbbEUlllE1_EE10hipError_tPvRmT2_T3_mT4_P12ihipStream_tbEUlT_E_NS1_11comp_targetILNS1_3genE4ELNS1_11target_archE910ELNS1_3gpuE8ELNS1_3repE0EEENS1_30default_config_static_selectorELNS0_4arch9wavefront6targetE0EEEvT1_.has_recursion, 0
	.set _ZN7rocprim17ROCPRIM_400000_NS6detail17trampoline_kernelINS0_14default_configENS1_35adjacent_difference_config_selectorILb0ElEEZNS1_24adjacent_difference_implIS3_Lb0ELb0EPlS7_ZN2at6native12_GLOBAL__N_124unique_dim_cuda_templateIhEESt5tupleIJNS8_6TensorESD_SD_EERKSD_lbbbEUlllE1_EE10hipError_tPvRmT2_T3_mT4_P12ihipStream_tbEUlT_E_NS1_11comp_targetILNS1_3genE4ELNS1_11target_archE910ELNS1_3gpuE8ELNS1_3repE0EEENS1_30default_config_static_selectorELNS0_4arch9wavefront6targetE0EEEvT1_.has_indirect_call, 0
	.section	.AMDGPU.csdata,"",@progbits
; Kernel info:
; codeLenInByte = 0
; TotalNumSgprs: 0
; NumVgprs: 0
; ScratchSize: 0
; MemoryBound: 0
; FloatMode: 240
; IeeeMode: 1
; LDSByteSize: 0 bytes/workgroup (compile time only)
; SGPRBlocks: 0
; VGPRBlocks: 0
; NumSGPRsForWavesPerEU: 1
; NumVGPRsForWavesPerEU: 1
; NamedBarCnt: 0
; Occupancy: 16
; WaveLimiterHint : 0
; COMPUTE_PGM_RSRC2:SCRATCH_EN: 0
; COMPUTE_PGM_RSRC2:USER_SGPR: 2
; COMPUTE_PGM_RSRC2:TRAP_HANDLER: 0
; COMPUTE_PGM_RSRC2:TGID_X_EN: 1
; COMPUTE_PGM_RSRC2:TGID_Y_EN: 0
; COMPUTE_PGM_RSRC2:TGID_Z_EN: 0
; COMPUTE_PGM_RSRC2:TIDIG_COMP_CNT: 0
	.section	.text._ZN7rocprim17ROCPRIM_400000_NS6detail17trampoline_kernelINS0_14default_configENS1_35adjacent_difference_config_selectorILb0ElEEZNS1_24adjacent_difference_implIS3_Lb0ELb0EPlS7_ZN2at6native12_GLOBAL__N_124unique_dim_cuda_templateIhEESt5tupleIJNS8_6TensorESD_SD_EERKSD_lbbbEUlllE1_EE10hipError_tPvRmT2_T3_mT4_P12ihipStream_tbEUlT_E_NS1_11comp_targetILNS1_3genE3ELNS1_11target_archE908ELNS1_3gpuE7ELNS1_3repE0EEENS1_30default_config_static_selectorELNS0_4arch9wavefront6targetE0EEEvT1_,"axG",@progbits,_ZN7rocprim17ROCPRIM_400000_NS6detail17trampoline_kernelINS0_14default_configENS1_35adjacent_difference_config_selectorILb0ElEEZNS1_24adjacent_difference_implIS3_Lb0ELb0EPlS7_ZN2at6native12_GLOBAL__N_124unique_dim_cuda_templateIhEESt5tupleIJNS8_6TensorESD_SD_EERKSD_lbbbEUlllE1_EE10hipError_tPvRmT2_T3_mT4_P12ihipStream_tbEUlT_E_NS1_11comp_targetILNS1_3genE3ELNS1_11target_archE908ELNS1_3gpuE7ELNS1_3repE0EEENS1_30default_config_static_selectorELNS0_4arch9wavefront6targetE0EEEvT1_,comdat
	.globl	_ZN7rocprim17ROCPRIM_400000_NS6detail17trampoline_kernelINS0_14default_configENS1_35adjacent_difference_config_selectorILb0ElEEZNS1_24adjacent_difference_implIS3_Lb0ELb0EPlS7_ZN2at6native12_GLOBAL__N_124unique_dim_cuda_templateIhEESt5tupleIJNS8_6TensorESD_SD_EERKSD_lbbbEUlllE1_EE10hipError_tPvRmT2_T3_mT4_P12ihipStream_tbEUlT_E_NS1_11comp_targetILNS1_3genE3ELNS1_11target_archE908ELNS1_3gpuE7ELNS1_3repE0EEENS1_30default_config_static_selectorELNS0_4arch9wavefront6targetE0EEEvT1_ ; -- Begin function _ZN7rocprim17ROCPRIM_400000_NS6detail17trampoline_kernelINS0_14default_configENS1_35adjacent_difference_config_selectorILb0ElEEZNS1_24adjacent_difference_implIS3_Lb0ELb0EPlS7_ZN2at6native12_GLOBAL__N_124unique_dim_cuda_templateIhEESt5tupleIJNS8_6TensorESD_SD_EERKSD_lbbbEUlllE1_EE10hipError_tPvRmT2_T3_mT4_P12ihipStream_tbEUlT_E_NS1_11comp_targetILNS1_3genE3ELNS1_11target_archE908ELNS1_3gpuE7ELNS1_3repE0EEENS1_30default_config_static_selectorELNS0_4arch9wavefront6targetE0EEEvT1_
	.p2align	8
	.type	_ZN7rocprim17ROCPRIM_400000_NS6detail17trampoline_kernelINS0_14default_configENS1_35adjacent_difference_config_selectorILb0ElEEZNS1_24adjacent_difference_implIS3_Lb0ELb0EPlS7_ZN2at6native12_GLOBAL__N_124unique_dim_cuda_templateIhEESt5tupleIJNS8_6TensorESD_SD_EERKSD_lbbbEUlllE1_EE10hipError_tPvRmT2_T3_mT4_P12ihipStream_tbEUlT_E_NS1_11comp_targetILNS1_3genE3ELNS1_11target_archE908ELNS1_3gpuE7ELNS1_3repE0EEENS1_30default_config_static_selectorELNS0_4arch9wavefront6targetE0EEEvT1_,@function
_ZN7rocprim17ROCPRIM_400000_NS6detail17trampoline_kernelINS0_14default_configENS1_35adjacent_difference_config_selectorILb0ElEEZNS1_24adjacent_difference_implIS3_Lb0ELb0EPlS7_ZN2at6native12_GLOBAL__N_124unique_dim_cuda_templateIhEESt5tupleIJNS8_6TensorESD_SD_EERKSD_lbbbEUlllE1_EE10hipError_tPvRmT2_T3_mT4_P12ihipStream_tbEUlT_E_NS1_11comp_targetILNS1_3genE3ELNS1_11target_archE908ELNS1_3gpuE7ELNS1_3repE0EEENS1_30default_config_static_selectorELNS0_4arch9wavefront6targetE0EEEvT1_: ; @_ZN7rocprim17ROCPRIM_400000_NS6detail17trampoline_kernelINS0_14default_configENS1_35adjacent_difference_config_selectorILb0ElEEZNS1_24adjacent_difference_implIS3_Lb0ELb0EPlS7_ZN2at6native12_GLOBAL__N_124unique_dim_cuda_templateIhEESt5tupleIJNS8_6TensorESD_SD_EERKSD_lbbbEUlllE1_EE10hipError_tPvRmT2_T3_mT4_P12ihipStream_tbEUlT_E_NS1_11comp_targetILNS1_3genE3ELNS1_11target_archE908ELNS1_3gpuE7ELNS1_3repE0EEENS1_30default_config_static_selectorELNS0_4arch9wavefront6targetE0EEEvT1_
; %bb.0:
	.section	.rodata,"a",@progbits
	.p2align	6, 0x0
	.amdhsa_kernel _ZN7rocprim17ROCPRIM_400000_NS6detail17trampoline_kernelINS0_14default_configENS1_35adjacent_difference_config_selectorILb0ElEEZNS1_24adjacent_difference_implIS3_Lb0ELb0EPlS7_ZN2at6native12_GLOBAL__N_124unique_dim_cuda_templateIhEESt5tupleIJNS8_6TensorESD_SD_EERKSD_lbbbEUlllE1_EE10hipError_tPvRmT2_T3_mT4_P12ihipStream_tbEUlT_E_NS1_11comp_targetILNS1_3genE3ELNS1_11target_archE908ELNS1_3gpuE7ELNS1_3repE0EEENS1_30default_config_static_selectorELNS0_4arch9wavefront6targetE0EEEvT1_
		.amdhsa_group_segment_fixed_size 0
		.amdhsa_private_segment_fixed_size 0
		.amdhsa_kernarg_size 64
		.amdhsa_user_sgpr_count 2
		.amdhsa_user_sgpr_dispatch_ptr 0
		.amdhsa_user_sgpr_queue_ptr 0
		.amdhsa_user_sgpr_kernarg_segment_ptr 1
		.amdhsa_user_sgpr_dispatch_id 0
		.amdhsa_user_sgpr_kernarg_preload_length 0
		.amdhsa_user_sgpr_kernarg_preload_offset 0
		.amdhsa_user_sgpr_private_segment_size 0
		.amdhsa_wavefront_size32 1
		.amdhsa_uses_dynamic_stack 0
		.amdhsa_enable_private_segment 0
		.amdhsa_system_sgpr_workgroup_id_x 1
		.amdhsa_system_sgpr_workgroup_id_y 0
		.amdhsa_system_sgpr_workgroup_id_z 0
		.amdhsa_system_sgpr_workgroup_info 0
		.amdhsa_system_vgpr_workitem_id 0
		.amdhsa_next_free_vgpr 1
		.amdhsa_next_free_sgpr 1
		.amdhsa_named_barrier_count 0
		.amdhsa_reserve_vcc 0
		.amdhsa_float_round_mode_32 0
		.amdhsa_float_round_mode_16_64 0
		.amdhsa_float_denorm_mode_32 3
		.amdhsa_float_denorm_mode_16_64 3
		.amdhsa_fp16_overflow 0
		.amdhsa_memory_ordered 1
		.amdhsa_forward_progress 1
		.amdhsa_inst_pref_size 0
		.amdhsa_round_robin_scheduling 0
		.amdhsa_exception_fp_ieee_invalid_op 0
		.amdhsa_exception_fp_denorm_src 0
		.amdhsa_exception_fp_ieee_div_zero 0
		.amdhsa_exception_fp_ieee_overflow 0
		.amdhsa_exception_fp_ieee_underflow 0
		.amdhsa_exception_fp_ieee_inexact 0
		.amdhsa_exception_int_div_zero 0
	.end_amdhsa_kernel
	.section	.text._ZN7rocprim17ROCPRIM_400000_NS6detail17trampoline_kernelINS0_14default_configENS1_35adjacent_difference_config_selectorILb0ElEEZNS1_24adjacent_difference_implIS3_Lb0ELb0EPlS7_ZN2at6native12_GLOBAL__N_124unique_dim_cuda_templateIhEESt5tupleIJNS8_6TensorESD_SD_EERKSD_lbbbEUlllE1_EE10hipError_tPvRmT2_T3_mT4_P12ihipStream_tbEUlT_E_NS1_11comp_targetILNS1_3genE3ELNS1_11target_archE908ELNS1_3gpuE7ELNS1_3repE0EEENS1_30default_config_static_selectorELNS0_4arch9wavefront6targetE0EEEvT1_,"axG",@progbits,_ZN7rocprim17ROCPRIM_400000_NS6detail17trampoline_kernelINS0_14default_configENS1_35adjacent_difference_config_selectorILb0ElEEZNS1_24adjacent_difference_implIS3_Lb0ELb0EPlS7_ZN2at6native12_GLOBAL__N_124unique_dim_cuda_templateIhEESt5tupleIJNS8_6TensorESD_SD_EERKSD_lbbbEUlllE1_EE10hipError_tPvRmT2_T3_mT4_P12ihipStream_tbEUlT_E_NS1_11comp_targetILNS1_3genE3ELNS1_11target_archE908ELNS1_3gpuE7ELNS1_3repE0EEENS1_30default_config_static_selectorELNS0_4arch9wavefront6targetE0EEEvT1_,comdat
.Lfunc_end62:
	.size	_ZN7rocprim17ROCPRIM_400000_NS6detail17trampoline_kernelINS0_14default_configENS1_35adjacent_difference_config_selectorILb0ElEEZNS1_24adjacent_difference_implIS3_Lb0ELb0EPlS7_ZN2at6native12_GLOBAL__N_124unique_dim_cuda_templateIhEESt5tupleIJNS8_6TensorESD_SD_EERKSD_lbbbEUlllE1_EE10hipError_tPvRmT2_T3_mT4_P12ihipStream_tbEUlT_E_NS1_11comp_targetILNS1_3genE3ELNS1_11target_archE908ELNS1_3gpuE7ELNS1_3repE0EEENS1_30default_config_static_selectorELNS0_4arch9wavefront6targetE0EEEvT1_, .Lfunc_end62-_ZN7rocprim17ROCPRIM_400000_NS6detail17trampoline_kernelINS0_14default_configENS1_35adjacent_difference_config_selectorILb0ElEEZNS1_24adjacent_difference_implIS3_Lb0ELb0EPlS7_ZN2at6native12_GLOBAL__N_124unique_dim_cuda_templateIhEESt5tupleIJNS8_6TensorESD_SD_EERKSD_lbbbEUlllE1_EE10hipError_tPvRmT2_T3_mT4_P12ihipStream_tbEUlT_E_NS1_11comp_targetILNS1_3genE3ELNS1_11target_archE908ELNS1_3gpuE7ELNS1_3repE0EEENS1_30default_config_static_selectorELNS0_4arch9wavefront6targetE0EEEvT1_
                                        ; -- End function
	.set _ZN7rocprim17ROCPRIM_400000_NS6detail17trampoline_kernelINS0_14default_configENS1_35adjacent_difference_config_selectorILb0ElEEZNS1_24adjacent_difference_implIS3_Lb0ELb0EPlS7_ZN2at6native12_GLOBAL__N_124unique_dim_cuda_templateIhEESt5tupleIJNS8_6TensorESD_SD_EERKSD_lbbbEUlllE1_EE10hipError_tPvRmT2_T3_mT4_P12ihipStream_tbEUlT_E_NS1_11comp_targetILNS1_3genE3ELNS1_11target_archE908ELNS1_3gpuE7ELNS1_3repE0EEENS1_30default_config_static_selectorELNS0_4arch9wavefront6targetE0EEEvT1_.num_vgpr, 0
	.set _ZN7rocprim17ROCPRIM_400000_NS6detail17trampoline_kernelINS0_14default_configENS1_35adjacent_difference_config_selectorILb0ElEEZNS1_24adjacent_difference_implIS3_Lb0ELb0EPlS7_ZN2at6native12_GLOBAL__N_124unique_dim_cuda_templateIhEESt5tupleIJNS8_6TensorESD_SD_EERKSD_lbbbEUlllE1_EE10hipError_tPvRmT2_T3_mT4_P12ihipStream_tbEUlT_E_NS1_11comp_targetILNS1_3genE3ELNS1_11target_archE908ELNS1_3gpuE7ELNS1_3repE0EEENS1_30default_config_static_selectorELNS0_4arch9wavefront6targetE0EEEvT1_.num_agpr, 0
	.set _ZN7rocprim17ROCPRIM_400000_NS6detail17trampoline_kernelINS0_14default_configENS1_35adjacent_difference_config_selectorILb0ElEEZNS1_24adjacent_difference_implIS3_Lb0ELb0EPlS7_ZN2at6native12_GLOBAL__N_124unique_dim_cuda_templateIhEESt5tupleIJNS8_6TensorESD_SD_EERKSD_lbbbEUlllE1_EE10hipError_tPvRmT2_T3_mT4_P12ihipStream_tbEUlT_E_NS1_11comp_targetILNS1_3genE3ELNS1_11target_archE908ELNS1_3gpuE7ELNS1_3repE0EEENS1_30default_config_static_selectorELNS0_4arch9wavefront6targetE0EEEvT1_.numbered_sgpr, 0
	.set _ZN7rocprim17ROCPRIM_400000_NS6detail17trampoline_kernelINS0_14default_configENS1_35adjacent_difference_config_selectorILb0ElEEZNS1_24adjacent_difference_implIS3_Lb0ELb0EPlS7_ZN2at6native12_GLOBAL__N_124unique_dim_cuda_templateIhEESt5tupleIJNS8_6TensorESD_SD_EERKSD_lbbbEUlllE1_EE10hipError_tPvRmT2_T3_mT4_P12ihipStream_tbEUlT_E_NS1_11comp_targetILNS1_3genE3ELNS1_11target_archE908ELNS1_3gpuE7ELNS1_3repE0EEENS1_30default_config_static_selectorELNS0_4arch9wavefront6targetE0EEEvT1_.num_named_barrier, 0
	.set _ZN7rocprim17ROCPRIM_400000_NS6detail17trampoline_kernelINS0_14default_configENS1_35adjacent_difference_config_selectorILb0ElEEZNS1_24adjacent_difference_implIS3_Lb0ELb0EPlS7_ZN2at6native12_GLOBAL__N_124unique_dim_cuda_templateIhEESt5tupleIJNS8_6TensorESD_SD_EERKSD_lbbbEUlllE1_EE10hipError_tPvRmT2_T3_mT4_P12ihipStream_tbEUlT_E_NS1_11comp_targetILNS1_3genE3ELNS1_11target_archE908ELNS1_3gpuE7ELNS1_3repE0EEENS1_30default_config_static_selectorELNS0_4arch9wavefront6targetE0EEEvT1_.private_seg_size, 0
	.set _ZN7rocprim17ROCPRIM_400000_NS6detail17trampoline_kernelINS0_14default_configENS1_35adjacent_difference_config_selectorILb0ElEEZNS1_24adjacent_difference_implIS3_Lb0ELb0EPlS7_ZN2at6native12_GLOBAL__N_124unique_dim_cuda_templateIhEESt5tupleIJNS8_6TensorESD_SD_EERKSD_lbbbEUlllE1_EE10hipError_tPvRmT2_T3_mT4_P12ihipStream_tbEUlT_E_NS1_11comp_targetILNS1_3genE3ELNS1_11target_archE908ELNS1_3gpuE7ELNS1_3repE0EEENS1_30default_config_static_selectorELNS0_4arch9wavefront6targetE0EEEvT1_.uses_vcc, 0
	.set _ZN7rocprim17ROCPRIM_400000_NS6detail17trampoline_kernelINS0_14default_configENS1_35adjacent_difference_config_selectorILb0ElEEZNS1_24adjacent_difference_implIS3_Lb0ELb0EPlS7_ZN2at6native12_GLOBAL__N_124unique_dim_cuda_templateIhEESt5tupleIJNS8_6TensorESD_SD_EERKSD_lbbbEUlllE1_EE10hipError_tPvRmT2_T3_mT4_P12ihipStream_tbEUlT_E_NS1_11comp_targetILNS1_3genE3ELNS1_11target_archE908ELNS1_3gpuE7ELNS1_3repE0EEENS1_30default_config_static_selectorELNS0_4arch9wavefront6targetE0EEEvT1_.uses_flat_scratch, 0
	.set _ZN7rocprim17ROCPRIM_400000_NS6detail17trampoline_kernelINS0_14default_configENS1_35adjacent_difference_config_selectorILb0ElEEZNS1_24adjacent_difference_implIS3_Lb0ELb0EPlS7_ZN2at6native12_GLOBAL__N_124unique_dim_cuda_templateIhEESt5tupleIJNS8_6TensorESD_SD_EERKSD_lbbbEUlllE1_EE10hipError_tPvRmT2_T3_mT4_P12ihipStream_tbEUlT_E_NS1_11comp_targetILNS1_3genE3ELNS1_11target_archE908ELNS1_3gpuE7ELNS1_3repE0EEENS1_30default_config_static_selectorELNS0_4arch9wavefront6targetE0EEEvT1_.has_dyn_sized_stack, 0
	.set _ZN7rocprim17ROCPRIM_400000_NS6detail17trampoline_kernelINS0_14default_configENS1_35adjacent_difference_config_selectorILb0ElEEZNS1_24adjacent_difference_implIS3_Lb0ELb0EPlS7_ZN2at6native12_GLOBAL__N_124unique_dim_cuda_templateIhEESt5tupleIJNS8_6TensorESD_SD_EERKSD_lbbbEUlllE1_EE10hipError_tPvRmT2_T3_mT4_P12ihipStream_tbEUlT_E_NS1_11comp_targetILNS1_3genE3ELNS1_11target_archE908ELNS1_3gpuE7ELNS1_3repE0EEENS1_30default_config_static_selectorELNS0_4arch9wavefront6targetE0EEEvT1_.has_recursion, 0
	.set _ZN7rocprim17ROCPRIM_400000_NS6detail17trampoline_kernelINS0_14default_configENS1_35adjacent_difference_config_selectorILb0ElEEZNS1_24adjacent_difference_implIS3_Lb0ELb0EPlS7_ZN2at6native12_GLOBAL__N_124unique_dim_cuda_templateIhEESt5tupleIJNS8_6TensorESD_SD_EERKSD_lbbbEUlllE1_EE10hipError_tPvRmT2_T3_mT4_P12ihipStream_tbEUlT_E_NS1_11comp_targetILNS1_3genE3ELNS1_11target_archE908ELNS1_3gpuE7ELNS1_3repE0EEENS1_30default_config_static_selectorELNS0_4arch9wavefront6targetE0EEEvT1_.has_indirect_call, 0
	.section	.AMDGPU.csdata,"",@progbits
; Kernel info:
; codeLenInByte = 0
; TotalNumSgprs: 0
; NumVgprs: 0
; ScratchSize: 0
; MemoryBound: 0
; FloatMode: 240
; IeeeMode: 1
; LDSByteSize: 0 bytes/workgroup (compile time only)
; SGPRBlocks: 0
; VGPRBlocks: 0
; NumSGPRsForWavesPerEU: 1
; NumVGPRsForWavesPerEU: 1
; NamedBarCnt: 0
; Occupancy: 16
; WaveLimiterHint : 0
; COMPUTE_PGM_RSRC2:SCRATCH_EN: 0
; COMPUTE_PGM_RSRC2:USER_SGPR: 2
; COMPUTE_PGM_RSRC2:TRAP_HANDLER: 0
; COMPUTE_PGM_RSRC2:TGID_X_EN: 1
; COMPUTE_PGM_RSRC2:TGID_Y_EN: 0
; COMPUTE_PGM_RSRC2:TGID_Z_EN: 0
; COMPUTE_PGM_RSRC2:TIDIG_COMP_CNT: 0
	.section	.text._ZN7rocprim17ROCPRIM_400000_NS6detail17trampoline_kernelINS0_14default_configENS1_35adjacent_difference_config_selectorILb0ElEEZNS1_24adjacent_difference_implIS3_Lb0ELb0EPlS7_ZN2at6native12_GLOBAL__N_124unique_dim_cuda_templateIhEESt5tupleIJNS8_6TensorESD_SD_EERKSD_lbbbEUlllE1_EE10hipError_tPvRmT2_T3_mT4_P12ihipStream_tbEUlT_E_NS1_11comp_targetILNS1_3genE2ELNS1_11target_archE906ELNS1_3gpuE6ELNS1_3repE0EEENS1_30default_config_static_selectorELNS0_4arch9wavefront6targetE0EEEvT1_,"axG",@progbits,_ZN7rocprim17ROCPRIM_400000_NS6detail17trampoline_kernelINS0_14default_configENS1_35adjacent_difference_config_selectorILb0ElEEZNS1_24adjacent_difference_implIS3_Lb0ELb0EPlS7_ZN2at6native12_GLOBAL__N_124unique_dim_cuda_templateIhEESt5tupleIJNS8_6TensorESD_SD_EERKSD_lbbbEUlllE1_EE10hipError_tPvRmT2_T3_mT4_P12ihipStream_tbEUlT_E_NS1_11comp_targetILNS1_3genE2ELNS1_11target_archE906ELNS1_3gpuE6ELNS1_3repE0EEENS1_30default_config_static_selectorELNS0_4arch9wavefront6targetE0EEEvT1_,comdat
	.globl	_ZN7rocprim17ROCPRIM_400000_NS6detail17trampoline_kernelINS0_14default_configENS1_35adjacent_difference_config_selectorILb0ElEEZNS1_24adjacent_difference_implIS3_Lb0ELb0EPlS7_ZN2at6native12_GLOBAL__N_124unique_dim_cuda_templateIhEESt5tupleIJNS8_6TensorESD_SD_EERKSD_lbbbEUlllE1_EE10hipError_tPvRmT2_T3_mT4_P12ihipStream_tbEUlT_E_NS1_11comp_targetILNS1_3genE2ELNS1_11target_archE906ELNS1_3gpuE6ELNS1_3repE0EEENS1_30default_config_static_selectorELNS0_4arch9wavefront6targetE0EEEvT1_ ; -- Begin function _ZN7rocprim17ROCPRIM_400000_NS6detail17trampoline_kernelINS0_14default_configENS1_35adjacent_difference_config_selectorILb0ElEEZNS1_24adjacent_difference_implIS3_Lb0ELb0EPlS7_ZN2at6native12_GLOBAL__N_124unique_dim_cuda_templateIhEESt5tupleIJNS8_6TensorESD_SD_EERKSD_lbbbEUlllE1_EE10hipError_tPvRmT2_T3_mT4_P12ihipStream_tbEUlT_E_NS1_11comp_targetILNS1_3genE2ELNS1_11target_archE906ELNS1_3gpuE6ELNS1_3repE0EEENS1_30default_config_static_selectorELNS0_4arch9wavefront6targetE0EEEvT1_
	.p2align	8
	.type	_ZN7rocprim17ROCPRIM_400000_NS6detail17trampoline_kernelINS0_14default_configENS1_35adjacent_difference_config_selectorILb0ElEEZNS1_24adjacent_difference_implIS3_Lb0ELb0EPlS7_ZN2at6native12_GLOBAL__N_124unique_dim_cuda_templateIhEESt5tupleIJNS8_6TensorESD_SD_EERKSD_lbbbEUlllE1_EE10hipError_tPvRmT2_T3_mT4_P12ihipStream_tbEUlT_E_NS1_11comp_targetILNS1_3genE2ELNS1_11target_archE906ELNS1_3gpuE6ELNS1_3repE0EEENS1_30default_config_static_selectorELNS0_4arch9wavefront6targetE0EEEvT1_,@function
_ZN7rocprim17ROCPRIM_400000_NS6detail17trampoline_kernelINS0_14default_configENS1_35adjacent_difference_config_selectorILb0ElEEZNS1_24adjacent_difference_implIS3_Lb0ELb0EPlS7_ZN2at6native12_GLOBAL__N_124unique_dim_cuda_templateIhEESt5tupleIJNS8_6TensorESD_SD_EERKSD_lbbbEUlllE1_EE10hipError_tPvRmT2_T3_mT4_P12ihipStream_tbEUlT_E_NS1_11comp_targetILNS1_3genE2ELNS1_11target_archE906ELNS1_3gpuE6ELNS1_3repE0EEENS1_30default_config_static_selectorELNS0_4arch9wavefront6targetE0EEEvT1_: ; @_ZN7rocprim17ROCPRIM_400000_NS6detail17trampoline_kernelINS0_14default_configENS1_35adjacent_difference_config_selectorILb0ElEEZNS1_24adjacent_difference_implIS3_Lb0ELb0EPlS7_ZN2at6native12_GLOBAL__N_124unique_dim_cuda_templateIhEESt5tupleIJNS8_6TensorESD_SD_EERKSD_lbbbEUlllE1_EE10hipError_tPvRmT2_T3_mT4_P12ihipStream_tbEUlT_E_NS1_11comp_targetILNS1_3genE2ELNS1_11target_archE906ELNS1_3gpuE6ELNS1_3repE0EEENS1_30default_config_static_selectorELNS0_4arch9wavefront6targetE0EEEvT1_
; %bb.0:
	.section	.rodata,"a",@progbits
	.p2align	6, 0x0
	.amdhsa_kernel _ZN7rocprim17ROCPRIM_400000_NS6detail17trampoline_kernelINS0_14default_configENS1_35adjacent_difference_config_selectorILb0ElEEZNS1_24adjacent_difference_implIS3_Lb0ELb0EPlS7_ZN2at6native12_GLOBAL__N_124unique_dim_cuda_templateIhEESt5tupleIJNS8_6TensorESD_SD_EERKSD_lbbbEUlllE1_EE10hipError_tPvRmT2_T3_mT4_P12ihipStream_tbEUlT_E_NS1_11comp_targetILNS1_3genE2ELNS1_11target_archE906ELNS1_3gpuE6ELNS1_3repE0EEENS1_30default_config_static_selectorELNS0_4arch9wavefront6targetE0EEEvT1_
		.amdhsa_group_segment_fixed_size 0
		.amdhsa_private_segment_fixed_size 0
		.amdhsa_kernarg_size 64
		.amdhsa_user_sgpr_count 2
		.amdhsa_user_sgpr_dispatch_ptr 0
		.amdhsa_user_sgpr_queue_ptr 0
		.amdhsa_user_sgpr_kernarg_segment_ptr 1
		.amdhsa_user_sgpr_dispatch_id 0
		.amdhsa_user_sgpr_kernarg_preload_length 0
		.amdhsa_user_sgpr_kernarg_preload_offset 0
		.amdhsa_user_sgpr_private_segment_size 0
		.amdhsa_wavefront_size32 1
		.amdhsa_uses_dynamic_stack 0
		.amdhsa_enable_private_segment 0
		.amdhsa_system_sgpr_workgroup_id_x 1
		.amdhsa_system_sgpr_workgroup_id_y 0
		.amdhsa_system_sgpr_workgroup_id_z 0
		.amdhsa_system_sgpr_workgroup_info 0
		.amdhsa_system_vgpr_workitem_id 0
		.amdhsa_next_free_vgpr 1
		.amdhsa_next_free_sgpr 1
		.amdhsa_named_barrier_count 0
		.amdhsa_reserve_vcc 0
		.amdhsa_float_round_mode_32 0
		.amdhsa_float_round_mode_16_64 0
		.amdhsa_float_denorm_mode_32 3
		.amdhsa_float_denorm_mode_16_64 3
		.amdhsa_fp16_overflow 0
		.amdhsa_memory_ordered 1
		.amdhsa_forward_progress 1
		.amdhsa_inst_pref_size 0
		.amdhsa_round_robin_scheduling 0
		.amdhsa_exception_fp_ieee_invalid_op 0
		.amdhsa_exception_fp_denorm_src 0
		.amdhsa_exception_fp_ieee_div_zero 0
		.amdhsa_exception_fp_ieee_overflow 0
		.amdhsa_exception_fp_ieee_underflow 0
		.amdhsa_exception_fp_ieee_inexact 0
		.amdhsa_exception_int_div_zero 0
	.end_amdhsa_kernel
	.section	.text._ZN7rocprim17ROCPRIM_400000_NS6detail17trampoline_kernelINS0_14default_configENS1_35adjacent_difference_config_selectorILb0ElEEZNS1_24adjacent_difference_implIS3_Lb0ELb0EPlS7_ZN2at6native12_GLOBAL__N_124unique_dim_cuda_templateIhEESt5tupleIJNS8_6TensorESD_SD_EERKSD_lbbbEUlllE1_EE10hipError_tPvRmT2_T3_mT4_P12ihipStream_tbEUlT_E_NS1_11comp_targetILNS1_3genE2ELNS1_11target_archE906ELNS1_3gpuE6ELNS1_3repE0EEENS1_30default_config_static_selectorELNS0_4arch9wavefront6targetE0EEEvT1_,"axG",@progbits,_ZN7rocprim17ROCPRIM_400000_NS6detail17trampoline_kernelINS0_14default_configENS1_35adjacent_difference_config_selectorILb0ElEEZNS1_24adjacent_difference_implIS3_Lb0ELb0EPlS7_ZN2at6native12_GLOBAL__N_124unique_dim_cuda_templateIhEESt5tupleIJNS8_6TensorESD_SD_EERKSD_lbbbEUlllE1_EE10hipError_tPvRmT2_T3_mT4_P12ihipStream_tbEUlT_E_NS1_11comp_targetILNS1_3genE2ELNS1_11target_archE906ELNS1_3gpuE6ELNS1_3repE0EEENS1_30default_config_static_selectorELNS0_4arch9wavefront6targetE0EEEvT1_,comdat
.Lfunc_end63:
	.size	_ZN7rocprim17ROCPRIM_400000_NS6detail17trampoline_kernelINS0_14default_configENS1_35adjacent_difference_config_selectorILb0ElEEZNS1_24adjacent_difference_implIS3_Lb0ELb0EPlS7_ZN2at6native12_GLOBAL__N_124unique_dim_cuda_templateIhEESt5tupleIJNS8_6TensorESD_SD_EERKSD_lbbbEUlllE1_EE10hipError_tPvRmT2_T3_mT4_P12ihipStream_tbEUlT_E_NS1_11comp_targetILNS1_3genE2ELNS1_11target_archE906ELNS1_3gpuE6ELNS1_3repE0EEENS1_30default_config_static_selectorELNS0_4arch9wavefront6targetE0EEEvT1_, .Lfunc_end63-_ZN7rocprim17ROCPRIM_400000_NS6detail17trampoline_kernelINS0_14default_configENS1_35adjacent_difference_config_selectorILb0ElEEZNS1_24adjacent_difference_implIS3_Lb0ELb0EPlS7_ZN2at6native12_GLOBAL__N_124unique_dim_cuda_templateIhEESt5tupleIJNS8_6TensorESD_SD_EERKSD_lbbbEUlllE1_EE10hipError_tPvRmT2_T3_mT4_P12ihipStream_tbEUlT_E_NS1_11comp_targetILNS1_3genE2ELNS1_11target_archE906ELNS1_3gpuE6ELNS1_3repE0EEENS1_30default_config_static_selectorELNS0_4arch9wavefront6targetE0EEEvT1_
                                        ; -- End function
	.set _ZN7rocprim17ROCPRIM_400000_NS6detail17trampoline_kernelINS0_14default_configENS1_35adjacent_difference_config_selectorILb0ElEEZNS1_24adjacent_difference_implIS3_Lb0ELb0EPlS7_ZN2at6native12_GLOBAL__N_124unique_dim_cuda_templateIhEESt5tupleIJNS8_6TensorESD_SD_EERKSD_lbbbEUlllE1_EE10hipError_tPvRmT2_T3_mT4_P12ihipStream_tbEUlT_E_NS1_11comp_targetILNS1_3genE2ELNS1_11target_archE906ELNS1_3gpuE6ELNS1_3repE0EEENS1_30default_config_static_selectorELNS0_4arch9wavefront6targetE0EEEvT1_.num_vgpr, 0
	.set _ZN7rocprim17ROCPRIM_400000_NS6detail17trampoline_kernelINS0_14default_configENS1_35adjacent_difference_config_selectorILb0ElEEZNS1_24adjacent_difference_implIS3_Lb0ELb0EPlS7_ZN2at6native12_GLOBAL__N_124unique_dim_cuda_templateIhEESt5tupleIJNS8_6TensorESD_SD_EERKSD_lbbbEUlllE1_EE10hipError_tPvRmT2_T3_mT4_P12ihipStream_tbEUlT_E_NS1_11comp_targetILNS1_3genE2ELNS1_11target_archE906ELNS1_3gpuE6ELNS1_3repE0EEENS1_30default_config_static_selectorELNS0_4arch9wavefront6targetE0EEEvT1_.num_agpr, 0
	.set _ZN7rocprim17ROCPRIM_400000_NS6detail17trampoline_kernelINS0_14default_configENS1_35adjacent_difference_config_selectorILb0ElEEZNS1_24adjacent_difference_implIS3_Lb0ELb0EPlS7_ZN2at6native12_GLOBAL__N_124unique_dim_cuda_templateIhEESt5tupleIJNS8_6TensorESD_SD_EERKSD_lbbbEUlllE1_EE10hipError_tPvRmT2_T3_mT4_P12ihipStream_tbEUlT_E_NS1_11comp_targetILNS1_3genE2ELNS1_11target_archE906ELNS1_3gpuE6ELNS1_3repE0EEENS1_30default_config_static_selectorELNS0_4arch9wavefront6targetE0EEEvT1_.numbered_sgpr, 0
	.set _ZN7rocprim17ROCPRIM_400000_NS6detail17trampoline_kernelINS0_14default_configENS1_35adjacent_difference_config_selectorILb0ElEEZNS1_24adjacent_difference_implIS3_Lb0ELb0EPlS7_ZN2at6native12_GLOBAL__N_124unique_dim_cuda_templateIhEESt5tupleIJNS8_6TensorESD_SD_EERKSD_lbbbEUlllE1_EE10hipError_tPvRmT2_T3_mT4_P12ihipStream_tbEUlT_E_NS1_11comp_targetILNS1_3genE2ELNS1_11target_archE906ELNS1_3gpuE6ELNS1_3repE0EEENS1_30default_config_static_selectorELNS0_4arch9wavefront6targetE0EEEvT1_.num_named_barrier, 0
	.set _ZN7rocprim17ROCPRIM_400000_NS6detail17trampoline_kernelINS0_14default_configENS1_35adjacent_difference_config_selectorILb0ElEEZNS1_24adjacent_difference_implIS3_Lb0ELb0EPlS7_ZN2at6native12_GLOBAL__N_124unique_dim_cuda_templateIhEESt5tupleIJNS8_6TensorESD_SD_EERKSD_lbbbEUlllE1_EE10hipError_tPvRmT2_T3_mT4_P12ihipStream_tbEUlT_E_NS1_11comp_targetILNS1_3genE2ELNS1_11target_archE906ELNS1_3gpuE6ELNS1_3repE0EEENS1_30default_config_static_selectorELNS0_4arch9wavefront6targetE0EEEvT1_.private_seg_size, 0
	.set _ZN7rocprim17ROCPRIM_400000_NS6detail17trampoline_kernelINS0_14default_configENS1_35adjacent_difference_config_selectorILb0ElEEZNS1_24adjacent_difference_implIS3_Lb0ELb0EPlS7_ZN2at6native12_GLOBAL__N_124unique_dim_cuda_templateIhEESt5tupleIJNS8_6TensorESD_SD_EERKSD_lbbbEUlllE1_EE10hipError_tPvRmT2_T3_mT4_P12ihipStream_tbEUlT_E_NS1_11comp_targetILNS1_3genE2ELNS1_11target_archE906ELNS1_3gpuE6ELNS1_3repE0EEENS1_30default_config_static_selectorELNS0_4arch9wavefront6targetE0EEEvT1_.uses_vcc, 0
	.set _ZN7rocprim17ROCPRIM_400000_NS6detail17trampoline_kernelINS0_14default_configENS1_35adjacent_difference_config_selectorILb0ElEEZNS1_24adjacent_difference_implIS3_Lb0ELb0EPlS7_ZN2at6native12_GLOBAL__N_124unique_dim_cuda_templateIhEESt5tupleIJNS8_6TensorESD_SD_EERKSD_lbbbEUlllE1_EE10hipError_tPvRmT2_T3_mT4_P12ihipStream_tbEUlT_E_NS1_11comp_targetILNS1_3genE2ELNS1_11target_archE906ELNS1_3gpuE6ELNS1_3repE0EEENS1_30default_config_static_selectorELNS0_4arch9wavefront6targetE0EEEvT1_.uses_flat_scratch, 0
	.set _ZN7rocprim17ROCPRIM_400000_NS6detail17trampoline_kernelINS0_14default_configENS1_35adjacent_difference_config_selectorILb0ElEEZNS1_24adjacent_difference_implIS3_Lb0ELb0EPlS7_ZN2at6native12_GLOBAL__N_124unique_dim_cuda_templateIhEESt5tupleIJNS8_6TensorESD_SD_EERKSD_lbbbEUlllE1_EE10hipError_tPvRmT2_T3_mT4_P12ihipStream_tbEUlT_E_NS1_11comp_targetILNS1_3genE2ELNS1_11target_archE906ELNS1_3gpuE6ELNS1_3repE0EEENS1_30default_config_static_selectorELNS0_4arch9wavefront6targetE0EEEvT1_.has_dyn_sized_stack, 0
	.set _ZN7rocprim17ROCPRIM_400000_NS6detail17trampoline_kernelINS0_14default_configENS1_35adjacent_difference_config_selectorILb0ElEEZNS1_24adjacent_difference_implIS3_Lb0ELb0EPlS7_ZN2at6native12_GLOBAL__N_124unique_dim_cuda_templateIhEESt5tupleIJNS8_6TensorESD_SD_EERKSD_lbbbEUlllE1_EE10hipError_tPvRmT2_T3_mT4_P12ihipStream_tbEUlT_E_NS1_11comp_targetILNS1_3genE2ELNS1_11target_archE906ELNS1_3gpuE6ELNS1_3repE0EEENS1_30default_config_static_selectorELNS0_4arch9wavefront6targetE0EEEvT1_.has_recursion, 0
	.set _ZN7rocprim17ROCPRIM_400000_NS6detail17trampoline_kernelINS0_14default_configENS1_35adjacent_difference_config_selectorILb0ElEEZNS1_24adjacent_difference_implIS3_Lb0ELb0EPlS7_ZN2at6native12_GLOBAL__N_124unique_dim_cuda_templateIhEESt5tupleIJNS8_6TensorESD_SD_EERKSD_lbbbEUlllE1_EE10hipError_tPvRmT2_T3_mT4_P12ihipStream_tbEUlT_E_NS1_11comp_targetILNS1_3genE2ELNS1_11target_archE906ELNS1_3gpuE6ELNS1_3repE0EEENS1_30default_config_static_selectorELNS0_4arch9wavefront6targetE0EEEvT1_.has_indirect_call, 0
	.section	.AMDGPU.csdata,"",@progbits
; Kernel info:
; codeLenInByte = 0
; TotalNumSgprs: 0
; NumVgprs: 0
; ScratchSize: 0
; MemoryBound: 0
; FloatMode: 240
; IeeeMode: 1
; LDSByteSize: 0 bytes/workgroup (compile time only)
; SGPRBlocks: 0
; VGPRBlocks: 0
; NumSGPRsForWavesPerEU: 1
; NumVGPRsForWavesPerEU: 1
; NamedBarCnt: 0
; Occupancy: 16
; WaveLimiterHint : 0
; COMPUTE_PGM_RSRC2:SCRATCH_EN: 0
; COMPUTE_PGM_RSRC2:USER_SGPR: 2
; COMPUTE_PGM_RSRC2:TRAP_HANDLER: 0
; COMPUTE_PGM_RSRC2:TGID_X_EN: 1
; COMPUTE_PGM_RSRC2:TGID_Y_EN: 0
; COMPUTE_PGM_RSRC2:TGID_Z_EN: 0
; COMPUTE_PGM_RSRC2:TIDIG_COMP_CNT: 0
	.section	.text._ZN7rocprim17ROCPRIM_400000_NS6detail17trampoline_kernelINS0_14default_configENS1_35adjacent_difference_config_selectorILb0ElEEZNS1_24adjacent_difference_implIS3_Lb0ELb0EPlS7_ZN2at6native12_GLOBAL__N_124unique_dim_cuda_templateIhEESt5tupleIJNS8_6TensorESD_SD_EERKSD_lbbbEUlllE1_EE10hipError_tPvRmT2_T3_mT4_P12ihipStream_tbEUlT_E_NS1_11comp_targetILNS1_3genE9ELNS1_11target_archE1100ELNS1_3gpuE3ELNS1_3repE0EEENS1_30default_config_static_selectorELNS0_4arch9wavefront6targetE0EEEvT1_,"axG",@progbits,_ZN7rocprim17ROCPRIM_400000_NS6detail17trampoline_kernelINS0_14default_configENS1_35adjacent_difference_config_selectorILb0ElEEZNS1_24adjacent_difference_implIS3_Lb0ELb0EPlS7_ZN2at6native12_GLOBAL__N_124unique_dim_cuda_templateIhEESt5tupleIJNS8_6TensorESD_SD_EERKSD_lbbbEUlllE1_EE10hipError_tPvRmT2_T3_mT4_P12ihipStream_tbEUlT_E_NS1_11comp_targetILNS1_3genE9ELNS1_11target_archE1100ELNS1_3gpuE3ELNS1_3repE0EEENS1_30default_config_static_selectorELNS0_4arch9wavefront6targetE0EEEvT1_,comdat
	.globl	_ZN7rocprim17ROCPRIM_400000_NS6detail17trampoline_kernelINS0_14default_configENS1_35adjacent_difference_config_selectorILb0ElEEZNS1_24adjacent_difference_implIS3_Lb0ELb0EPlS7_ZN2at6native12_GLOBAL__N_124unique_dim_cuda_templateIhEESt5tupleIJNS8_6TensorESD_SD_EERKSD_lbbbEUlllE1_EE10hipError_tPvRmT2_T3_mT4_P12ihipStream_tbEUlT_E_NS1_11comp_targetILNS1_3genE9ELNS1_11target_archE1100ELNS1_3gpuE3ELNS1_3repE0EEENS1_30default_config_static_selectorELNS0_4arch9wavefront6targetE0EEEvT1_ ; -- Begin function _ZN7rocprim17ROCPRIM_400000_NS6detail17trampoline_kernelINS0_14default_configENS1_35adjacent_difference_config_selectorILb0ElEEZNS1_24adjacent_difference_implIS3_Lb0ELb0EPlS7_ZN2at6native12_GLOBAL__N_124unique_dim_cuda_templateIhEESt5tupleIJNS8_6TensorESD_SD_EERKSD_lbbbEUlllE1_EE10hipError_tPvRmT2_T3_mT4_P12ihipStream_tbEUlT_E_NS1_11comp_targetILNS1_3genE9ELNS1_11target_archE1100ELNS1_3gpuE3ELNS1_3repE0EEENS1_30default_config_static_selectorELNS0_4arch9wavefront6targetE0EEEvT1_
	.p2align	8
	.type	_ZN7rocprim17ROCPRIM_400000_NS6detail17trampoline_kernelINS0_14default_configENS1_35adjacent_difference_config_selectorILb0ElEEZNS1_24adjacent_difference_implIS3_Lb0ELb0EPlS7_ZN2at6native12_GLOBAL__N_124unique_dim_cuda_templateIhEESt5tupleIJNS8_6TensorESD_SD_EERKSD_lbbbEUlllE1_EE10hipError_tPvRmT2_T3_mT4_P12ihipStream_tbEUlT_E_NS1_11comp_targetILNS1_3genE9ELNS1_11target_archE1100ELNS1_3gpuE3ELNS1_3repE0EEENS1_30default_config_static_selectorELNS0_4arch9wavefront6targetE0EEEvT1_,@function
_ZN7rocprim17ROCPRIM_400000_NS6detail17trampoline_kernelINS0_14default_configENS1_35adjacent_difference_config_selectorILb0ElEEZNS1_24adjacent_difference_implIS3_Lb0ELb0EPlS7_ZN2at6native12_GLOBAL__N_124unique_dim_cuda_templateIhEESt5tupleIJNS8_6TensorESD_SD_EERKSD_lbbbEUlllE1_EE10hipError_tPvRmT2_T3_mT4_P12ihipStream_tbEUlT_E_NS1_11comp_targetILNS1_3genE9ELNS1_11target_archE1100ELNS1_3gpuE3ELNS1_3repE0EEENS1_30default_config_static_selectorELNS0_4arch9wavefront6targetE0EEEvT1_: ; @_ZN7rocprim17ROCPRIM_400000_NS6detail17trampoline_kernelINS0_14default_configENS1_35adjacent_difference_config_selectorILb0ElEEZNS1_24adjacent_difference_implIS3_Lb0ELb0EPlS7_ZN2at6native12_GLOBAL__N_124unique_dim_cuda_templateIhEESt5tupleIJNS8_6TensorESD_SD_EERKSD_lbbbEUlllE1_EE10hipError_tPvRmT2_T3_mT4_P12ihipStream_tbEUlT_E_NS1_11comp_targetILNS1_3genE9ELNS1_11target_archE1100ELNS1_3gpuE3ELNS1_3repE0EEENS1_30default_config_static_selectorELNS0_4arch9wavefront6targetE0EEEvT1_
; %bb.0:
	.section	.rodata,"a",@progbits
	.p2align	6, 0x0
	.amdhsa_kernel _ZN7rocprim17ROCPRIM_400000_NS6detail17trampoline_kernelINS0_14default_configENS1_35adjacent_difference_config_selectorILb0ElEEZNS1_24adjacent_difference_implIS3_Lb0ELb0EPlS7_ZN2at6native12_GLOBAL__N_124unique_dim_cuda_templateIhEESt5tupleIJNS8_6TensorESD_SD_EERKSD_lbbbEUlllE1_EE10hipError_tPvRmT2_T3_mT4_P12ihipStream_tbEUlT_E_NS1_11comp_targetILNS1_3genE9ELNS1_11target_archE1100ELNS1_3gpuE3ELNS1_3repE0EEENS1_30default_config_static_selectorELNS0_4arch9wavefront6targetE0EEEvT1_
		.amdhsa_group_segment_fixed_size 0
		.amdhsa_private_segment_fixed_size 0
		.amdhsa_kernarg_size 64
		.amdhsa_user_sgpr_count 2
		.amdhsa_user_sgpr_dispatch_ptr 0
		.amdhsa_user_sgpr_queue_ptr 0
		.amdhsa_user_sgpr_kernarg_segment_ptr 1
		.amdhsa_user_sgpr_dispatch_id 0
		.amdhsa_user_sgpr_kernarg_preload_length 0
		.amdhsa_user_sgpr_kernarg_preload_offset 0
		.amdhsa_user_sgpr_private_segment_size 0
		.amdhsa_wavefront_size32 1
		.amdhsa_uses_dynamic_stack 0
		.amdhsa_enable_private_segment 0
		.amdhsa_system_sgpr_workgroup_id_x 1
		.amdhsa_system_sgpr_workgroup_id_y 0
		.amdhsa_system_sgpr_workgroup_id_z 0
		.amdhsa_system_sgpr_workgroup_info 0
		.amdhsa_system_vgpr_workitem_id 0
		.amdhsa_next_free_vgpr 1
		.amdhsa_next_free_sgpr 1
		.amdhsa_named_barrier_count 0
		.amdhsa_reserve_vcc 0
		.amdhsa_float_round_mode_32 0
		.amdhsa_float_round_mode_16_64 0
		.amdhsa_float_denorm_mode_32 3
		.amdhsa_float_denorm_mode_16_64 3
		.amdhsa_fp16_overflow 0
		.amdhsa_memory_ordered 1
		.amdhsa_forward_progress 1
		.amdhsa_inst_pref_size 0
		.amdhsa_round_robin_scheduling 0
		.amdhsa_exception_fp_ieee_invalid_op 0
		.amdhsa_exception_fp_denorm_src 0
		.amdhsa_exception_fp_ieee_div_zero 0
		.amdhsa_exception_fp_ieee_overflow 0
		.amdhsa_exception_fp_ieee_underflow 0
		.amdhsa_exception_fp_ieee_inexact 0
		.amdhsa_exception_int_div_zero 0
	.end_amdhsa_kernel
	.section	.text._ZN7rocprim17ROCPRIM_400000_NS6detail17trampoline_kernelINS0_14default_configENS1_35adjacent_difference_config_selectorILb0ElEEZNS1_24adjacent_difference_implIS3_Lb0ELb0EPlS7_ZN2at6native12_GLOBAL__N_124unique_dim_cuda_templateIhEESt5tupleIJNS8_6TensorESD_SD_EERKSD_lbbbEUlllE1_EE10hipError_tPvRmT2_T3_mT4_P12ihipStream_tbEUlT_E_NS1_11comp_targetILNS1_3genE9ELNS1_11target_archE1100ELNS1_3gpuE3ELNS1_3repE0EEENS1_30default_config_static_selectorELNS0_4arch9wavefront6targetE0EEEvT1_,"axG",@progbits,_ZN7rocprim17ROCPRIM_400000_NS6detail17trampoline_kernelINS0_14default_configENS1_35adjacent_difference_config_selectorILb0ElEEZNS1_24adjacent_difference_implIS3_Lb0ELb0EPlS7_ZN2at6native12_GLOBAL__N_124unique_dim_cuda_templateIhEESt5tupleIJNS8_6TensorESD_SD_EERKSD_lbbbEUlllE1_EE10hipError_tPvRmT2_T3_mT4_P12ihipStream_tbEUlT_E_NS1_11comp_targetILNS1_3genE9ELNS1_11target_archE1100ELNS1_3gpuE3ELNS1_3repE0EEENS1_30default_config_static_selectorELNS0_4arch9wavefront6targetE0EEEvT1_,comdat
.Lfunc_end64:
	.size	_ZN7rocprim17ROCPRIM_400000_NS6detail17trampoline_kernelINS0_14default_configENS1_35adjacent_difference_config_selectorILb0ElEEZNS1_24adjacent_difference_implIS3_Lb0ELb0EPlS7_ZN2at6native12_GLOBAL__N_124unique_dim_cuda_templateIhEESt5tupleIJNS8_6TensorESD_SD_EERKSD_lbbbEUlllE1_EE10hipError_tPvRmT2_T3_mT4_P12ihipStream_tbEUlT_E_NS1_11comp_targetILNS1_3genE9ELNS1_11target_archE1100ELNS1_3gpuE3ELNS1_3repE0EEENS1_30default_config_static_selectorELNS0_4arch9wavefront6targetE0EEEvT1_, .Lfunc_end64-_ZN7rocprim17ROCPRIM_400000_NS6detail17trampoline_kernelINS0_14default_configENS1_35adjacent_difference_config_selectorILb0ElEEZNS1_24adjacent_difference_implIS3_Lb0ELb0EPlS7_ZN2at6native12_GLOBAL__N_124unique_dim_cuda_templateIhEESt5tupleIJNS8_6TensorESD_SD_EERKSD_lbbbEUlllE1_EE10hipError_tPvRmT2_T3_mT4_P12ihipStream_tbEUlT_E_NS1_11comp_targetILNS1_3genE9ELNS1_11target_archE1100ELNS1_3gpuE3ELNS1_3repE0EEENS1_30default_config_static_selectorELNS0_4arch9wavefront6targetE0EEEvT1_
                                        ; -- End function
	.set _ZN7rocprim17ROCPRIM_400000_NS6detail17trampoline_kernelINS0_14default_configENS1_35adjacent_difference_config_selectorILb0ElEEZNS1_24adjacent_difference_implIS3_Lb0ELb0EPlS7_ZN2at6native12_GLOBAL__N_124unique_dim_cuda_templateIhEESt5tupleIJNS8_6TensorESD_SD_EERKSD_lbbbEUlllE1_EE10hipError_tPvRmT2_T3_mT4_P12ihipStream_tbEUlT_E_NS1_11comp_targetILNS1_3genE9ELNS1_11target_archE1100ELNS1_3gpuE3ELNS1_3repE0EEENS1_30default_config_static_selectorELNS0_4arch9wavefront6targetE0EEEvT1_.num_vgpr, 0
	.set _ZN7rocprim17ROCPRIM_400000_NS6detail17trampoline_kernelINS0_14default_configENS1_35adjacent_difference_config_selectorILb0ElEEZNS1_24adjacent_difference_implIS3_Lb0ELb0EPlS7_ZN2at6native12_GLOBAL__N_124unique_dim_cuda_templateIhEESt5tupleIJNS8_6TensorESD_SD_EERKSD_lbbbEUlllE1_EE10hipError_tPvRmT2_T3_mT4_P12ihipStream_tbEUlT_E_NS1_11comp_targetILNS1_3genE9ELNS1_11target_archE1100ELNS1_3gpuE3ELNS1_3repE0EEENS1_30default_config_static_selectorELNS0_4arch9wavefront6targetE0EEEvT1_.num_agpr, 0
	.set _ZN7rocprim17ROCPRIM_400000_NS6detail17trampoline_kernelINS0_14default_configENS1_35adjacent_difference_config_selectorILb0ElEEZNS1_24adjacent_difference_implIS3_Lb0ELb0EPlS7_ZN2at6native12_GLOBAL__N_124unique_dim_cuda_templateIhEESt5tupleIJNS8_6TensorESD_SD_EERKSD_lbbbEUlllE1_EE10hipError_tPvRmT2_T3_mT4_P12ihipStream_tbEUlT_E_NS1_11comp_targetILNS1_3genE9ELNS1_11target_archE1100ELNS1_3gpuE3ELNS1_3repE0EEENS1_30default_config_static_selectorELNS0_4arch9wavefront6targetE0EEEvT1_.numbered_sgpr, 0
	.set _ZN7rocprim17ROCPRIM_400000_NS6detail17trampoline_kernelINS0_14default_configENS1_35adjacent_difference_config_selectorILb0ElEEZNS1_24adjacent_difference_implIS3_Lb0ELb0EPlS7_ZN2at6native12_GLOBAL__N_124unique_dim_cuda_templateIhEESt5tupleIJNS8_6TensorESD_SD_EERKSD_lbbbEUlllE1_EE10hipError_tPvRmT2_T3_mT4_P12ihipStream_tbEUlT_E_NS1_11comp_targetILNS1_3genE9ELNS1_11target_archE1100ELNS1_3gpuE3ELNS1_3repE0EEENS1_30default_config_static_selectorELNS0_4arch9wavefront6targetE0EEEvT1_.num_named_barrier, 0
	.set _ZN7rocprim17ROCPRIM_400000_NS6detail17trampoline_kernelINS0_14default_configENS1_35adjacent_difference_config_selectorILb0ElEEZNS1_24adjacent_difference_implIS3_Lb0ELb0EPlS7_ZN2at6native12_GLOBAL__N_124unique_dim_cuda_templateIhEESt5tupleIJNS8_6TensorESD_SD_EERKSD_lbbbEUlllE1_EE10hipError_tPvRmT2_T3_mT4_P12ihipStream_tbEUlT_E_NS1_11comp_targetILNS1_3genE9ELNS1_11target_archE1100ELNS1_3gpuE3ELNS1_3repE0EEENS1_30default_config_static_selectorELNS0_4arch9wavefront6targetE0EEEvT1_.private_seg_size, 0
	.set _ZN7rocprim17ROCPRIM_400000_NS6detail17trampoline_kernelINS0_14default_configENS1_35adjacent_difference_config_selectorILb0ElEEZNS1_24adjacent_difference_implIS3_Lb0ELb0EPlS7_ZN2at6native12_GLOBAL__N_124unique_dim_cuda_templateIhEESt5tupleIJNS8_6TensorESD_SD_EERKSD_lbbbEUlllE1_EE10hipError_tPvRmT2_T3_mT4_P12ihipStream_tbEUlT_E_NS1_11comp_targetILNS1_3genE9ELNS1_11target_archE1100ELNS1_3gpuE3ELNS1_3repE0EEENS1_30default_config_static_selectorELNS0_4arch9wavefront6targetE0EEEvT1_.uses_vcc, 0
	.set _ZN7rocprim17ROCPRIM_400000_NS6detail17trampoline_kernelINS0_14default_configENS1_35adjacent_difference_config_selectorILb0ElEEZNS1_24adjacent_difference_implIS3_Lb0ELb0EPlS7_ZN2at6native12_GLOBAL__N_124unique_dim_cuda_templateIhEESt5tupleIJNS8_6TensorESD_SD_EERKSD_lbbbEUlllE1_EE10hipError_tPvRmT2_T3_mT4_P12ihipStream_tbEUlT_E_NS1_11comp_targetILNS1_3genE9ELNS1_11target_archE1100ELNS1_3gpuE3ELNS1_3repE0EEENS1_30default_config_static_selectorELNS0_4arch9wavefront6targetE0EEEvT1_.uses_flat_scratch, 0
	.set _ZN7rocprim17ROCPRIM_400000_NS6detail17trampoline_kernelINS0_14default_configENS1_35adjacent_difference_config_selectorILb0ElEEZNS1_24adjacent_difference_implIS3_Lb0ELb0EPlS7_ZN2at6native12_GLOBAL__N_124unique_dim_cuda_templateIhEESt5tupleIJNS8_6TensorESD_SD_EERKSD_lbbbEUlllE1_EE10hipError_tPvRmT2_T3_mT4_P12ihipStream_tbEUlT_E_NS1_11comp_targetILNS1_3genE9ELNS1_11target_archE1100ELNS1_3gpuE3ELNS1_3repE0EEENS1_30default_config_static_selectorELNS0_4arch9wavefront6targetE0EEEvT1_.has_dyn_sized_stack, 0
	.set _ZN7rocprim17ROCPRIM_400000_NS6detail17trampoline_kernelINS0_14default_configENS1_35adjacent_difference_config_selectorILb0ElEEZNS1_24adjacent_difference_implIS3_Lb0ELb0EPlS7_ZN2at6native12_GLOBAL__N_124unique_dim_cuda_templateIhEESt5tupleIJNS8_6TensorESD_SD_EERKSD_lbbbEUlllE1_EE10hipError_tPvRmT2_T3_mT4_P12ihipStream_tbEUlT_E_NS1_11comp_targetILNS1_3genE9ELNS1_11target_archE1100ELNS1_3gpuE3ELNS1_3repE0EEENS1_30default_config_static_selectorELNS0_4arch9wavefront6targetE0EEEvT1_.has_recursion, 0
	.set _ZN7rocprim17ROCPRIM_400000_NS6detail17trampoline_kernelINS0_14default_configENS1_35adjacent_difference_config_selectorILb0ElEEZNS1_24adjacent_difference_implIS3_Lb0ELb0EPlS7_ZN2at6native12_GLOBAL__N_124unique_dim_cuda_templateIhEESt5tupleIJNS8_6TensorESD_SD_EERKSD_lbbbEUlllE1_EE10hipError_tPvRmT2_T3_mT4_P12ihipStream_tbEUlT_E_NS1_11comp_targetILNS1_3genE9ELNS1_11target_archE1100ELNS1_3gpuE3ELNS1_3repE0EEENS1_30default_config_static_selectorELNS0_4arch9wavefront6targetE0EEEvT1_.has_indirect_call, 0
	.section	.AMDGPU.csdata,"",@progbits
; Kernel info:
; codeLenInByte = 0
; TotalNumSgprs: 0
; NumVgprs: 0
; ScratchSize: 0
; MemoryBound: 0
; FloatMode: 240
; IeeeMode: 1
; LDSByteSize: 0 bytes/workgroup (compile time only)
; SGPRBlocks: 0
; VGPRBlocks: 0
; NumSGPRsForWavesPerEU: 1
; NumVGPRsForWavesPerEU: 1
; NamedBarCnt: 0
; Occupancy: 16
; WaveLimiterHint : 0
; COMPUTE_PGM_RSRC2:SCRATCH_EN: 0
; COMPUTE_PGM_RSRC2:USER_SGPR: 2
; COMPUTE_PGM_RSRC2:TRAP_HANDLER: 0
; COMPUTE_PGM_RSRC2:TGID_X_EN: 1
; COMPUTE_PGM_RSRC2:TGID_Y_EN: 0
; COMPUTE_PGM_RSRC2:TGID_Z_EN: 0
; COMPUTE_PGM_RSRC2:TIDIG_COMP_CNT: 0
	.section	.text._ZN7rocprim17ROCPRIM_400000_NS6detail17trampoline_kernelINS0_14default_configENS1_35adjacent_difference_config_selectorILb0ElEEZNS1_24adjacent_difference_implIS3_Lb0ELb0EPlS7_ZN2at6native12_GLOBAL__N_124unique_dim_cuda_templateIhEESt5tupleIJNS8_6TensorESD_SD_EERKSD_lbbbEUlllE1_EE10hipError_tPvRmT2_T3_mT4_P12ihipStream_tbEUlT_E_NS1_11comp_targetILNS1_3genE8ELNS1_11target_archE1030ELNS1_3gpuE2ELNS1_3repE0EEENS1_30default_config_static_selectorELNS0_4arch9wavefront6targetE0EEEvT1_,"axG",@progbits,_ZN7rocprim17ROCPRIM_400000_NS6detail17trampoline_kernelINS0_14default_configENS1_35adjacent_difference_config_selectorILb0ElEEZNS1_24adjacent_difference_implIS3_Lb0ELb0EPlS7_ZN2at6native12_GLOBAL__N_124unique_dim_cuda_templateIhEESt5tupleIJNS8_6TensorESD_SD_EERKSD_lbbbEUlllE1_EE10hipError_tPvRmT2_T3_mT4_P12ihipStream_tbEUlT_E_NS1_11comp_targetILNS1_3genE8ELNS1_11target_archE1030ELNS1_3gpuE2ELNS1_3repE0EEENS1_30default_config_static_selectorELNS0_4arch9wavefront6targetE0EEEvT1_,comdat
	.globl	_ZN7rocprim17ROCPRIM_400000_NS6detail17trampoline_kernelINS0_14default_configENS1_35adjacent_difference_config_selectorILb0ElEEZNS1_24adjacent_difference_implIS3_Lb0ELb0EPlS7_ZN2at6native12_GLOBAL__N_124unique_dim_cuda_templateIhEESt5tupleIJNS8_6TensorESD_SD_EERKSD_lbbbEUlllE1_EE10hipError_tPvRmT2_T3_mT4_P12ihipStream_tbEUlT_E_NS1_11comp_targetILNS1_3genE8ELNS1_11target_archE1030ELNS1_3gpuE2ELNS1_3repE0EEENS1_30default_config_static_selectorELNS0_4arch9wavefront6targetE0EEEvT1_ ; -- Begin function _ZN7rocprim17ROCPRIM_400000_NS6detail17trampoline_kernelINS0_14default_configENS1_35adjacent_difference_config_selectorILb0ElEEZNS1_24adjacent_difference_implIS3_Lb0ELb0EPlS7_ZN2at6native12_GLOBAL__N_124unique_dim_cuda_templateIhEESt5tupleIJNS8_6TensorESD_SD_EERKSD_lbbbEUlllE1_EE10hipError_tPvRmT2_T3_mT4_P12ihipStream_tbEUlT_E_NS1_11comp_targetILNS1_3genE8ELNS1_11target_archE1030ELNS1_3gpuE2ELNS1_3repE0EEENS1_30default_config_static_selectorELNS0_4arch9wavefront6targetE0EEEvT1_
	.p2align	8
	.type	_ZN7rocprim17ROCPRIM_400000_NS6detail17trampoline_kernelINS0_14default_configENS1_35adjacent_difference_config_selectorILb0ElEEZNS1_24adjacent_difference_implIS3_Lb0ELb0EPlS7_ZN2at6native12_GLOBAL__N_124unique_dim_cuda_templateIhEESt5tupleIJNS8_6TensorESD_SD_EERKSD_lbbbEUlllE1_EE10hipError_tPvRmT2_T3_mT4_P12ihipStream_tbEUlT_E_NS1_11comp_targetILNS1_3genE8ELNS1_11target_archE1030ELNS1_3gpuE2ELNS1_3repE0EEENS1_30default_config_static_selectorELNS0_4arch9wavefront6targetE0EEEvT1_,@function
_ZN7rocprim17ROCPRIM_400000_NS6detail17trampoline_kernelINS0_14default_configENS1_35adjacent_difference_config_selectorILb0ElEEZNS1_24adjacent_difference_implIS3_Lb0ELb0EPlS7_ZN2at6native12_GLOBAL__N_124unique_dim_cuda_templateIhEESt5tupleIJNS8_6TensorESD_SD_EERKSD_lbbbEUlllE1_EE10hipError_tPvRmT2_T3_mT4_P12ihipStream_tbEUlT_E_NS1_11comp_targetILNS1_3genE8ELNS1_11target_archE1030ELNS1_3gpuE2ELNS1_3repE0EEENS1_30default_config_static_selectorELNS0_4arch9wavefront6targetE0EEEvT1_: ; @_ZN7rocprim17ROCPRIM_400000_NS6detail17trampoline_kernelINS0_14default_configENS1_35adjacent_difference_config_selectorILb0ElEEZNS1_24adjacent_difference_implIS3_Lb0ELb0EPlS7_ZN2at6native12_GLOBAL__N_124unique_dim_cuda_templateIhEESt5tupleIJNS8_6TensorESD_SD_EERKSD_lbbbEUlllE1_EE10hipError_tPvRmT2_T3_mT4_P12ihipStream_tbEUlT_E_NS1_11comp_targetILNS1_3genE8ELNS1_11target_archE1030ELNS1_3gpuE2ELNS1_3repE0EEENS1_30default_config_static_selectorELNS0_4arch9wavefront6targetE0EEEvT1_
; %bb.0:
	.section	.rodata,"a",@progbits
	.p2align	6, 0x0
	.amdhsa_kernel _ZN7rocprim17ROCPRIM_400000_NS6detail17trampoline_kernelINS0_14default_configENS1_35adjacent_difference_config_selectorILb0ElEEZNS1_24adjacent_difference_implIS3_Lb0ELb0EPlS7_ZN2at6native12_GLOBAL__N_124unique_dim_cuda_templateIhEESt5tupleIJNS8_6TensorESD_SD_EERKSD_lbbbEUlllE1_EE10hipError_tPvRmT2_T3_mT4_P12ihipStream_tbEUlT_E_NS1_11comp_targetILNS1_3genE8ELNS1_11target_archE1030ELNS1_3gpuE2ELNS1_3repE0EEENS1_30default_config_static_selectorELNS0_4arch9wavefront6targetE0EEEvT1_
		.amdhsa_group_segment_fixed_size 0
		.amdhsa_private_segment_fixed_size 0
		.amdhsa_kernarg_size 64
		.amdhsa_user_sgpr_count 2
		.amdhsa_user_sgpr_dispatch_ptr 0
		.amdhsa_user_sgpr_queue_ptr 0
		.amdhsa_user_sgpr_kernarg_segment_ptr 1
		.amdhsa_user_sgpr_dispatch_id 0
		.amdhsa_user_sgpr_kernarg_preload_length 0
		.amdhsa_user_sgpr_kernarg_preload_offset 0
		.amdhsa_user_sgpr_private_segment_size 0
		.amdhsa_wavefront_size32 1
		.amdhsa_uses_dynamic_stack 0
		.amdhsa_enable_private_segment 0
		.amdhsa_system_sgpr_workgroup_id_x 1
		.amdhsa_system_sgpr_workgroup_id_y 0
		.amdhsa_system_sgpr_workgroup_id_z 0
		.amdhsa_system_sgpr_workgroup_info 0
		.amdhsa_system_vgpr_workitem_id 0
		.amdhsa_next_free_vgpr 1
		.amdhsa_next_free_sgpr 1
		.amdhsa_named_barrier_count 0
		.amdhsa_reserve_vcc 0
		.amdhsa_float_round_mode_32 0
		.amdhsa_float_round_mode_16_64 0
		.amdhsa_float_denorm_mode_32 3
		.amdhsa_float_denorm_mode_16_64 3
		.amdhsa_fp16_overflow 0
		.amdhsa_memory_ordered 1
		.amdhsa_forward_progress 1
		.amdhsa_inst_pref_size 0
		.amdhsa_round_robin_scheduling 0
		.amdhsa_exception_fp_ieee_invalid_op 0
		.amdhsa_exception_fp_denorm_src 0
		.amdhsa_exception_fp_ieee_div_zero 0
		.amdhsa_exception_fp_ieee_overflow 0
		.amdhsa_exception_fp_ieee_underflow 0
		.amdhsa_exception_fp_ieee_inexact 0
		.amdhsa_exception_int_div_zero 0
	.end_amdhsa_kernel
	.section	.text._ZN7rocprim17ROCPRIM_400000_NS6detail17trampoline_kernelINS0_14default_configENS1_35adjacent_difference_config_selectorILb0ElEEZNS1_24adjacent_difference_implIS3_Lb0ELb0EPlS7_ZN2at6native12_GLOBAL__N_124unique_dim_cuda_templateIhEESt5tupleIJNS8_6TensorESD_SD_EERKSD_lbbbEUlllE1_EE10hipError_tPvRmT2_T3_mT4_P12ihipStream_tbEUlT_E_NS1_11comp_targetILNS1_3genE8ELNS1_11target_archE1030ELNS1_3gpuE2ELNS1_3repE0EEENS1_30default_config_static_selectorELNS0_4arch9wavefront6targetE0EEEvT1_,"axG",@progbits,_ZN7rocprim17ROCPRIM_400000_NS6detail17trampoline_kernelINS0_14default_configENS1_35adjacent_difference_config_selectorILb0ElEEZNS1_24adjacent_difference_implIS3_Lb0ELb0EPlS7_ZN2at6native12_GLOBAL__N_124unique_dim_cuda_templateIhEESt5tupleIJNS8_6TensorESD_SD_EERKSD_lbbbEUlllE1_EE10hipError_tPvRmT2_T3_mT4_P12ihipStream_tbEUlT_E_NS1_11comp_targetILNS1_3genE8ELNS1_11target_archE1030ELNS1_3gpuE2ELNS1_3repE0EEENS1_30default_config_static_selectorELNS0_4arch9wavefront6targetE0EEEvT1_,comdat
.Lfunc_end65:
	.size	_ZN7rocprim17ROCPRIM_400000_NS6detail17trampoline_kernelINS0_14default_configENS1_35adjacent_difference_config_selectorILb0ElEEZNS1_24adjacent_difference_implIS3_Lb0ELb0EPlS7_ZN2at6native12_GLOBAL__N_124unique_dim_cuda_templateIhEESt5tupleIJNS8_6TensorESD_SD_EERKSD_lbbbEUlllE1_EE10hipError_tPvRmT2_T3_mT4_P12ihipStream_tbEUlT_E_NS1_11comp_targetILNS1_3genE8ELNS1_11target_archE1030ELNS1_3gpuE2ELNS1_3repE0EEENS1_30default_config_static_selectorELNS0_4arch9wavefront6targetE0EEEvT1_, .Lfunc_end65-_ZN7rocprim17ROCPRIM_400000_NS6detail17trampoline_kernelINS0_14default_configENS1_35adjacent_difference_config_selectorILb0ElEEZNS1_24adjacent_difference_implIS3_Lb0ELb0EPlS7_ZN2at6native12_GLOBAL__N_124unique_dim_cuda_templateIhEESt5tupleIJNS8_6TensorESD_SD_EERKSD_lbbbEUlllE1_EE10hipError_tPvRmT2_T3_mT4_P12ihipStream_tbEUlT_E_NS1_11comp_targetILNS1_3genE8ELNS1_11target_archE1030ELNS1_3gpuE2ELNS1_3repE0EEENS1_30default_config_static_selectorELNS0_4arch9wavefront6targetE0EEEvT1_
                                        ; -- End function
	.set _ZN7rocprim17ROCPRIM_400000_NS6detail17trampoline_kernelINS0_14default_configENS1_35adjacent_difference_config_selectorILb0ElEEZNS1_24adjacent_difference_implIS3_Lb0ELb0EPlS7_ZN2at6native12_GLOBAL__N_124unique_dim_cuda_templateIhEESt5tupleIJNS8_6TensorESD_SD_EERKSD_lbbbEUlllE1_EE10hipError_tPvRmT2_T3_mT4_P12ihipStream_tbEUlT_E_NS1_11comp_targetILNS1_3genE8ELNS1_11target_archE1030ELNS1_3gpuE2ELNS1_3repE0EEENS1_30default_config_static_selectorELNS0_4arch9wavefront6targetE0EEEvT1_.num_vgpr, 0
	.set _ZN7rocprim17ROCPRIM_400000_NS6detail17trampoline_kernelINS0_14default_configENS1_35adjacent_difference_config_selectorILb0ElEEZNS1_24adjacent_difference_implIS3_Lb0ELb0EPlS7_ZN2at6native12_GLOBAL__N_124unique_dim_cuda_templateIhEESt5tupleIJNS8_6TensorESD_SD_EERKSD_lbbbEUlllE1_EE10hipError_tPvRmT2_T3_mT4_P12ihipStream_tbEUlT_E_NS1_11comp_targetILNS1_3genE8ELNS1_11target_archE1030ELNS1_3gpuE2ELNS1_3repE0EEENS1_30default_config_static_selectorELNS0_4arch9wavefront6targetE0EEEvT1_.num_agpr, 0
	.set _ZN7rocprim17ROCPRIM_400000_NS6detail17trampoline_kernelINS0_14default_configENS1_35adjacent_difference_config_selectorILb0ElEEZNS1_24adjacent_difference_implIS3_Lb0ELb0EPlS7_ZN2at6native12_GLOBAL__N_124unique_dim_cuda_templateIhEESt5tupleIJNS8_6TensorESD_SD_EERKSD_lbbbEUlllE1_EE10hipError_tPvRmT2_T3_mT4_P12ihipStream_tbEUlT_E_NS1_11comp_targetILNS1_3genE8ELNS1_11target_archE1030ELNS1_3gpuE2ELNS1_3repE0EEENS1_30default_config_static_selectorELNS0_4arch9wavefront6targetE0EEEvT1_.numbered_sgpr, 0
	.set _ZN7rocprim17ROCPRIM_400000_NS6detail17trampoline_kernelINS0_14default_configENS1_35adjacent_difference_config_selectorILb0ElEEZNS1_24adjacent_difference_implIS3_Lb0ELb0EPlS7_ZN2at6native12_GLOBAL__N_124unique_dim_cuda_templateIhEESt5tupleIJNS8_6TensorESD_SD_EERKSD_lbbbEUlllE1_EE10hipError_tPvRmT2_T3_mT4_P12ihipStream_tbEUlT_E_NS1_11comp_targetILNS1_3genE8ELNS1_11target_archE1030ELNS1_3gpuE2ELNS1_3repE0EEENS1_30default_config_static_selectorELNS0_4arch9wavefront6targetE0EEEvT1_.num_named_barrier, 0
	.set _ZN7rocprim17ROCPRIM_400000_NS6detail17trampoline_kernelINS0_14default_configENS1_35adjacent_difference_config_selectorILb0ElEEZNS1_24adjacent_difference_implIS3_Lb0ELb0EPlS7_ZN2at6native12_GLOBAL__N_124unique_dim_cuda_templateIhEESt5tupleIJNS8_6TensorESD_SD_EERKSD_lbbbEUlllE1_EE10hipError_tPvRmT2_T3_mT4_P12ihipStream_tbEUlT_E_NS1_11comp_targetILNS1_3genE8ELNS1_11target_archE1030ELNS1_3gpuE2ELNS1_3repE0EEENS1_30default_config_static_selectorELNS0_4arch9wavefront6targetE0EEEvT1_.private_seg_size, 0
	.set _ZN7rocprim17ROCPRIM_400000_NS6detail17trampoline_kernelINS0_14default_configENS1_35adjacent_difference_config_selectorILb0ElEEZNS1_24adjacent_difference_implIS3_Lb0ELb0EPlS7_ZN2at6native12_GLOBAL__N_124unique_dim_cuda_templateIhEESt5tupleIJNS8_6TensorESD_SD_EERKSD_lbbbEUlllE1_EE10hipError_tPvRmT2_T3_mT4_P12ihipStream_tbEUlT_E_NS1_11comp_targetILNS1_3genE8ELNS1_11target_archE1030ELNS1_3gpuE2ELNS1_3repE0EEENS1_30default_config_static_selectorELNS0_4arch9wavefront6targetE0EEEvT1_.uses_vcc, 0
	.set _ZN7rocprim17ROCPRIM_400000_NS6detail17trampoline_kernelINS0_14default_configENS1_35adjacent_difference_config_selectorILb0ElEEZNS1_24adjacent_difference_implIS3_Lb0ELb0EPlS7_ZN2at6native12_GLOBAL__N_124unique_dim_cuda_templateIhEESt5tupleIJNS8_6TensorESD_SD_EERKSD_lbbbEUlllE1_EE10hipError_tPvRmT2_T3_mT4_P12ihipStream_tbEUlT_E_NS1_11comp_targetILNS1_3genE8ELNS1_11target_archE1030ELNS1_3gpuE2ELNS1_3repE0EEENS1_30default_config_static_selectorELNS0_4arch9wavefront6targetE0EEEvT1_.uses_flat_scratch, 0
	.set _ZN7rocprim17ROCPRIM_400000_NS6detail17trampoline_kernelINS0_14default_configENS1_35adjacent_difference_config_selectorILb0ElEEZNS1_24adjacent_difference_implIS3_Lb0ELb0EPlS7_ZN2at6native12_GLOBAL__N_124unique_dim_cuda_templateIhEESt5tupleIJNS8_6TensorESD_SD_EERKSD_lbbbEUlllE1_EE10hipError_tPvRmT2_T3_mT4_P12ihipStream_tbEUlT_E_NS1_11comp_targetILNS1_3genE8ELNS1_11target_archE1030ELNS1_3gpuE2ELNS1_3repE0EEENS1_30default_config_static_selectorELNS0_4arch9wavefront6targetE0EEEvT1_.has_dyn_sized_stack, 0
	.set _ZN7rocprim17ROCPRIM_400000_NS6detail17trampoline_kernelINS0_14default_configENS1_35adjacent_difference_config_selectorILb0ElEEZNS1_24adjacent_difference_implIS3_Lb0ELb0EPlS7_ZN2at6native12_GLOBAL__N_124unique_dim_cuda_templateIhEESt5tupleIJNS8_6TensorESD_SD_EERKSD_lbbbEUlllE1_EE10hipError_tPvRmT2_T3_mT4_P12ihipStream_tbEUlT_E_NS1_11comp_targetILNS1_3genE8ELNS1_11target_archE1030ELNS1_3gpuE2ELNS1_3repE0EEENS1_30default_config_static_selectorELNS0_4arch9wavefront6targetE0EEEvT1_.has_recursion, 0
	.set _ZN7rocprim17ROCPRIM_400000_NS6detail17trampoline_kernelINS0_14default_configENS1_35adjacent_difference_config_selectorILb0ElEEZNS1_24adjacent_difference_implIS3_Lb0ELb0EPlS7_ZN2at6native12_GLOBAL__N_124unique_dim_cuda_templateIhEESt5tupleIJNS8_6TensorESD_SD_EERKSD_lbbbEUlllE1_EE10hipError_tPvRmT2_T3_mT4_P12ihipStream_tbEUlT_E_NS1_11comp_targetILNS1_3genE8ELNS1_11target_archE1030ELNS1_3gpuE2ELNS1_3repE0EEENS1_30default_config_static_selectorELNS0_4arch9wavefront6targetE0EEEvT1_.has_indirect_call, 0
	.section	.AMDGPU.csdata,"",@progbits
; Kernel info:
; codeLenInByte = 0
; TotalNumSgprs: 0
; NumVgprs: 0
; ScratchSize: 0
; MemoryBound: 0
; FloatMode: 240
; IeeeMode: 1
; LDSByteSize: 0 bytes/workgroup (compile time only)
; SGPRBlocks: 0
; VGPRBlocks: 0
; NumSGPRsForWavesPerEU: 1
; NumVGPRsForWavesPerEU: 1
; NamedBarCnt: 0
; Occupancy: 16
; WaveLimiterHint : 0
; COMPUTE_PGM_RSRC2:SCRATCH_EN: 0
; COMPUTE_PGM_RSRC2:USER_SGPR: 2
; COMPUTE_PGM_RSRC2:TRAP_HANDLER: 0
; COMPUTE_PGM_RSRC2:TGID_X_EN: 1
; COMPUTE_PGM_RSRC2:TGID_Y_EN: 0
; COMPUTE_PGM_RSRC2:TGID_Z_EN: 0
; COMPUTE_PGM_RSRC2:TIDIG_COMP_CNT: 0
	.section	.text._ZN7rocprim17ROCPRIM_400000_NS6detail17trampoline_kernelINS0_14default_configENS1_25transform_config_selectorIlLb0EEEZNS1_14transform_implILb0ES3_S5_NS0_18transform_iteratorINS0_17counting_iteratorImlEEZNS1_24adjacent_difference_implIS3_Lb1ELb0EPlSB_ZN2at6native12_GLOBAL__N_124unique_dim_cuda_templateIhEESt5tupleIJNSC_6TensorESH_SH_EERKSH_lbbbEUlllE1_EE10hipError_tPvRmT2_T3_mT4_P12ihipStream_tbEUlmE_lEESB_NS0_8identityIvEEEESM_SP_SQ_mSR_ST_bEUlT_E_NS1_11comp_targetILNS1_3genE0ELNS1_11target_archE4294967295ELNS1_3gpuE0ELNS1_3repE0EEENS1_30default_config_static_selectorELNS0_4arch9wavefront6targetE0EEEvT1_,"axG",@progbits,_ZN7rocprim17ROCPRIM_400000_NS6detail17trampoline_kernelINS0_14default_configENS1_25transform_config_selectorIlLb0EEEZNS1_14transform_implILb0ES3_S5_NS0_18transform_iteratorINS0_17counting_iteratorImlEEZNS1_24adjacent_difference_implIS3_Lb1ELb0EPlSB_ZN2at6native12_GLOBAL__N_124unique_dim_cuda_templateIhEESt5tupleIJNSC_6TensorESH_SH_EERKSH_lbbbEUlllE1_EE10hipError_tPvRmT2_T3_mT4_P12ihipStream_tbEUlmE_lEESB_NS0_8identityIvEEEESM_SP_SQ_mSR_ST_bEUlT_E_NS1_11comp_targetILNS1_3genE0ELNS1_11target_archE4294967295ELNS1_3gpuE0ELNS1_3repE0EEENS1_30default_config_static_selectorELNS0_4arch9wavefront6targetE0EEEvT1_,comdat
	.globl	_ZN7rocprim17ROCPRIM_400000_NS6detail17trampoline_kernelINS0_14default_configENS1_25transform_config_selectorIlLb0EEEZNS1_14transform_implILb0ES3_S5_NS0_18transform_iteratorINS0_17counting_iteratorImlEEZNS1_24adjacent_difference_implIS3_Lb1ELb0EPlSB_ZN2at6native12_GLOBAL__N_124unique_dim_cuda_templateIhEESt5tupleIJNSC_6TensorESH_SH_EERKSH_lbbbEUlllE1_EE10hipError_tPvRmT2_T3_mT4_P12ihipStream_tbEUlmE_lEESB_NS0_8identityIvEEEESM_SP_SQ_mSR_ST_bEUlT_E_NS1_11comp_targetILNS1_3genE0ELNS1_11target_archE4294967295ELNS1_3gpuE0ELNS1_3repE0EEENS1_30default_config_static_selectorELNS0_4arch9wavefront6targetE0EEEvT1_ ; -- Begin function _ZN7rocprim17ROCPRIM_400000_NS6detail17trampoline_kernelINS0_14default_configENS1_25transform_config_selectorIlLb0EEEZNS1_14transform_implILb0ES3_S5_NS0_18transform_iteratorINS0_17counting_iteratorImlEEZNS1_24adjacent_difference_implIS3_Lb1ELb0EPlSB_ZN2at6native12_GLOBAL__N_124unique_dim_cuda_templateIhEESt5tupleIJNSC_6TensorESH_SH_EERKSH_lbbbEUlllE1_EE10hipError_tPvRmT2_T3_mT4_P12ihipStream_tbEUlmE_lEESB_NS0_8identityIvEEEESM_SP_SQ_mSR_ST_bEUlT_E_NS1_11comp_targetILNS1_3genE0ELNS1_11target_archE4294967295ELNS1_3gpuE0ELNS1_3repE0EEENS1_30default_config_static_selectorELNS0_4arch9wavefront6targetE0EEEvT1_
	.p2align	8
	.type	_ZN7rocprim17ROCPRIM_400000_NS6detail17trampoline_kernelINS0_14default_configENS1_25transform_config_selectorIlLb0EEEZNS1_14transform_implILb0ES3_S5_NS0_18transform_iteratorINS0_17counting_iteratorImlEEZNS1_24adjacent_difference_implIS3_Lb1ELb0EPlSB_ZN2at6native12_GLOBAL__N_124unique_dim_cuda_templateIhEESt5tupleIJNSC_6TensorESH_SH_EERKSH_lbbbEUlllE1_EE10hipError_tPvRmT2_T3_mT4_P12ihipStream_tbEUlmE_lEESB_NS0_8identityIvEEEESM_SP_SQ_mSR_ST_bEUlT_E_NS1_11comp_targetILNS1_3genE0ELNS1_11target_archE4294967295ELNS1_3gpuE0ELNS1_3repE0EEENS1_30default_config_static_selectorELNS0_4arch9wavefront6targetE0EEEvT1_,@function
_ZN7rocprim17ROCPRIM_400000_NS6detail17trampoline_kernelINS0_14default_configENS1_25transform_config_selectorIlLb0EEEZNS1_14transform_implILb0ES3_S5_NS0_18transform_iteratorINS0_17counting_iteratorImlEEZNS1_24adjacent_difference_implIS3_Lb1ELb0EPlSB_ZN2at6native12_GLOBAL__N_124unique_dim_cuda_templateIhEESt5tupleIJNSC_6TensorESH_SH_EERKSH_lbbbEUlllE1_EE10hipError_tPvRmT2_T3_mT4_P12ihipStream_tbEUlmE_lEESB_NS0_8identityIvEEEESM_SP_SQ_mSR_ST_bEUlT_E_NS1_11comp_targetILNS1_3genE0ELNS1_11target_archE4294967295ELNS1_3gpuE0ELNS1_3repE0EEENS1_30default_config_static_selectorELNS0_4arch9wavefront6targetE0EEEvT1_: ; @_ZN7rocprim17ROCPRIM_400000_NS6detail17trampoline_kernelINS0_14default_configENS1_25transform_config_selectorIlLb0EEEZNS1_14transform_implILb0ES3_S5_NS0_18transform_iteratorINS0_17counting_iteratorImlEEZNS1_24adjacent_difference_implIS3_Lb1ELb0EPlSB_ZN2at6native12_GLOBAL__N_124unique_dim_cuda_templateIhEESt5tupleIJNSC_6TensorESH_SH_EERKSH_lbbbEUlllE1_EE10hipError_tPvRmT2_T3_mT4_P12ihipStream_tbEUlmE_lEESB_NS0_8identityIvEEEESM_SP_SQ_mSR_ST_bEUlT_E_NS1_11comp_targetILNS1_3genE0ELNS1_11target_archE4294967295ELNS1_3gpuE0ELNS1_3repE0EEENS1_30default_config_static_selectorELNS0_4arch9wavefront6targetE0EEEvT1_
; %bb.0:
	s_clause 0x1
	s_load_b32 s2, s[0:1], 0x38
	s_load_b32 s3, s[0:1], 0x20
	s_bfe_u32 s4, ttmp6, 0x4000c
	s_and_b32 s5, ttmp6, 15
	s_add_co_i32 s4, s4, 1
	s_getreg_b32 s6, hwreg(HW_REG_IB_STS2, 6, 4)
	s_mul_i32 s4, ttmp9, s4
	s_delay_alu instid0(SALU_CYCLE_1)
	s_add_co_i32 s5, s5, s4
	s_cmp_eq_u32 s6, 0
	s_cselect_b32 s4, ttmp9, s5
	s_wait_kmcnt 0x0
	s_add_co_i32 s5, s2, -1
	s_lshl_b32 s2, s4, 7
	s_cmp_lg_u32 s4, s5
	s_cselect_b32 s4, -1, 0
	s_sub_co_i32 s3, s3, s2
	s_delay_alu instid0(SALU_CYCLE_1) | instskip(SKIP_2) | instid1(SALU_CYCLE_1)
	v_cmp_gt_u32_e32 vcc_lo, s3, v0
	s_mov_b32 s3, 0
	s_or_b32 s4, s4, vcc_lo
	s_and_saveexec_b32 s5, s4
	s_cbranch_execz .LBB66_2
; %bb.1:
	s_clause 0x3
	s_load_b64 s[8:9], s[0:1], 0x18
	s_load_b128 s[4:7], s[0:1], 0x0
	s_load_b32 s10, s[0:1], 0x10
	s_load_b64 s[12:13], s[0:1], 0x28
	v_mov_b32_e32 v1, 0
	s_mov_b32 s11, s3
	s_wait_kmcnt 0x0
	s_add_nc_u64 s[0:1], s[4:5], s[8:9]
	s_delay_alu instid0(SALU_CYCLE_1) | instskip(SKIP_3) | instid1(SALU_CYCLE_1)
	s_add_nc_u64 s[0:1], s[0:1], s[2:3]
	s_lshl_b64 s[2:3], s[2:3], 3
	v_add_nc_u64_e32 v[2:3], s[0:1], v[0:1]
	s_lshl_b64 s[0:1], s[8:9], 3
	s_add_nc_u64 s[0:1], s[12:13], s[0:1]
	s_delay_alu instid0(SALU_CYCLE_1) | instskip(NEXT) | instid1(VALU_DEP_1)
	s_add_nc_u64 s[0:1], s[0:1], s[2:3]
	v_mul_u64_e32 v[2:3], s[10:11], v[2:3]
	s_delay_alu instid0(VALU_DEP_1)
	v_lshl_add_u64 v[2:3], v[2:3], 3, s[6:7]
	global_load_b64 v[2:3], v[2:3], off
	s_wait_loadcnt 0x0
	global_store_b64 v0, v[2:3], s[0:1] scale_offset
.LBB66_2:
	s_endpgm
	.section	.rodata,"a",@progbits
	.p2align	6, 0x0
	.amdhsa_kernel _ZN7rocprim17ROCPRIM_400000_NS6detail17trampoline_kernelINS0_14default_configENS1_25transform_config_selectorIlLb0EEEZNS1_14transform_implILb0ES3_S5_NS0_18transform_iteratorINS0_17counting_iteratorImlEEZNS1_24adjacent_difference_implIS3_Lb1ELb0EPlSB_ZN2at6native12_GLOBAL__N_124unique_dim_cuda_templateIhEESt5tupleIJNSC_6TensorESH_SH_EERKSH_lbbbEUlllE1_EE10hipError_tPvRmT2_T3_mT4_P12ihipStream_tbEUlmE_lEESB_NS0_8identityIvEEEESM_SP_SQ_mSR_ST_bEUlT_E_NS1_11comp_targetILNS1_3genE0ELNS1_11target_archE4294967295ELNS1_3gpuE0ELNS1_3repE0EEENS1_30default_config_static_selectorELNS0_4arch9wavefront6targetE0EEEvT1_
		.amdhsa_group_segment_fixed_size 0
		.amdhsa_private_segment_fixed_size 0
		.amdhsa_kernarg_size 312
		.amdhsa_user_sgpr_count 2
		.amdhsa_user_sgpr_dispatch_ptr 0
		.amdhsa_user_sgpr_queue_ptr 0
		.amdhsa_user_sgpr_kernarg_segment_ptr 1
		.amdhsa_user_sgpr_dispatch_id 0
		.amdhsa_user_sgpr_kernarg_preload_length 0
		.amdhsa_user_sgpr_kernarg_preload_offset 0
		.amdhsa_user_sgpr_private_segment_size 0
		.amdhsa_wavefront_size32 1
		.amdhsa_uses_dynamic_stack 0
		.amdhsa_enable_private_segment 0
		.amdhsa_system_sgpr_workgroup_id_x 1
		.amdhsa_system_sgpr_workgroup_id_y 0
		.amdhsa_system_sgpr_workgroup_id_z 0
		.amdhsa_system_sgpr_workgroup_info 0
		.amdhsa_system_vgpr_workitem_id 0
		.amdhsa_next_free_vgpr 4
		.amdhsa_next_free_sgpr 14
		.amdhsa_named_barrier_count 0
		.amdhsa_reserve_vcc 1
		.amdhsa_float_round_mode_32 0
		.amdhsa_float_round_mode_16_64 0
		.amdhsa_float_denorm_mode_32 3
		.amdhsa_float_denorm_mode_16_64 3
		.amdhsa_fp16_overflow 0
		.amdhsa_memory_ordered 1
		.amdhsa_forward_progress 1
		.amdhsa_inst_pref_size 2
		.amdhsa_round_robin_scheduling 0
		.amdhsa_exception_fp_ieee_invalid_op 0
		.amdhsa_exception_fp_denorm_src 0
		.amdhsa_exception_fp_ieee_div_zero 0
		.amdhsa_exception_fp_ieee_overflow 0
		.amdhsa_exception_fp_ieee_underflow 0
		.amdhsa_exception_fp_ieee_inexact 0
		.amdhsa_exception_int_div_zero 0
	.end_amdhsa_kernel
	.section	.text._ZN7rocprim17ROCPRIM_400000_NS6detail17trampoline_kernelINS0_14default_configENS1_25transform_config_selectorIlLb0EEEZNS1_14transform_implILb0ES3_S5_NS0_18transform_iteratorINS0_17counting_iteratorImlEEZNS1_24adjacent_difference_implIS3_Lb1ELb0EPlSB_ZN2at6native12_GLOBAL__N_124unique_dim_cuda_templateIhEESt5tupleIJNSC_6TensorESH_SH_EERKSH_lbbbEUlllE1_EE10hipError_tPvRmT2_T3_mT4_P12ihipStream_tbEUlmE_lEESB_NS0_8identityIvEEEESM_SP_SQ_mSR_ST_bEUlT_E_NS1_11comp_targetILNS1_3genE0ELNS1_11target_archE4294967295ELNS1_3gpuE0ELNS1_3repE0EEENS1_30default_config_static_selectorELNS0_4arch9wavefront6targetE0EEEvT1_,"axG",@progbits,_ZN7rocprim17ROCPRIM_400000_NS6detail17trampoline_kernelINS0_14default_configENS1_25transform_config_selectorIlLb0EEEZNS1_14transform_implILb0ES3_S5_NS0_18transform_iteratorINS0_17counting_iteratorImlEEZNS1_24adjacent_difference_implIS3_Lb1ELb0EPlSB_ZN2at6native12_GLOBAL__N_124unique_dim_cuda_templateIhEESt5tupleIJNSC_6TensorESH_SH_EERKSH_lbbbEUlllE1_EE10hipError_tPvRmT2_T3_mT4_P12ihipStream_tbEUlmE_lEESB_NS0_8identityIvEEEESM_SP_SQ_mSR_ST_bEUlT_E_NS1_11comp_targetILNS1_3genE0ELNS1_11target_archE4294967295ELNS1_3gpuE0ELNS1_3repE0EEENS1_30default_config_static_selectorELNS0_4arch9wavefront6targetE0EEEvT1_,comdat
.Lfunc_end66:
	.size	_ZN7rocprim17ROCPRIM_400000_NS6detail17trampoline_kernelINS0_14default_configENS1_25transform_config_selectorIlLb0EEEZNS1_14transform_implILb0ES3_S5_NS0_18transform_iteratorINS0_17counting_iteratorImlEEZNS1_24adjacent_difference_implIS3_Lb1ELb0EPlSB_ZN2at6native12_GLOBAL__N_124unique_dim_cuda_templateIhEESt5tupleIJNSC_6TensorESH_SH_EERKSH_lbbbEUlllE1_EE10hipError_tPvRmT2_T3_mT4_P12ihipStream_tbEUlmE_lEESB_NS0_8identityIvEEEESM_SP_SQ_mSR_ST_bEUlT_E_NS1_11comp_targetILNS1_3genE0ELNS1_11target_archE4294967295ELNS1_3gpuE0ELNS1_3repE0EEENS1_30default_config_static_selectorELNS0_4arch9wavefront6targetE0EEEvT1_, .Lfunc_end66-_ZN7rocprim17ROCPRIM_400000_NS6detail17trampoline_kernelINS0_14default_configENS1_25transform_config_selectorIlLb0EEEZNS1_14transform_implILb0ES3_S5_NS0_18transform_iteratorINS0_17counting_iteratorImlEEZNS1_24adjacent_difference_implIS3_Lb1ELb0EPlSB_ZN2at6native12_GLOBAL__N_124unique_dim_cuda_templateIhEESt5tupleIJNSC_6TensorESH_SH_EERKSH_lbbbEUlllE1_EE10hipError_tPvRmT2_T3_mT4_P12ihipStream_tbEUlmE_lEESB_NS0_8identityIvEEEESM_SP_SQ_mSR_ST_bEUlT_E_NS1_11comp_targetILNS1_3genE0ELNS1_11target_archE4294967295ELNS1_3gpuE0ELNS1_3repE0EEENS1_30default_config_static_selectorELNS0_4arch9wavefront6targetE0EEEvT1_
                                        ; -- End function
	.set _ZN7rocprim17ROCPRIM_400000_NS6detail17trampoline_kernelINS0_14default_configENS1_25transform_config_selectorIlLb0EEEZNS1_14transform_implILb0ES3_S5_NS0_18transform_iteratorINS0_17counting_iteratorImlEEZNS1_24adjacent_difference_implIS3_Lb1ELb0EPlSB_ZN2at6native12_GLOBAL__N_124unique_dim_cuda_templateIhEESt5tupleIJNSC_6TensorESH_SH_EERKSH_lbbbEUlllE1_EE10hipError_tPvRmT2_T3_mT4_P12ihipStream_tbEUlmE_lEESB_NS0_8identityIvEEEESM_SP_SQ_mSR_ST_bEUlT_E_NS1_11comp_targetILNS1_3genE0ELNS1_11target_archE4294967295ELNS1_3gpuE0ELNS1_3repE0EEENS1_30default_config_static_selectorELNS0_4arch9wavefront6targetE0EEEvT1_.num_vgpr, 4
	.set _ZN7rocprim17ROCPRIM_400000_NS6detail17trampoline_kernelINS0_14default_configENS1_25transform_config_selectorIlLb0EEEZNS1_14transform_implILb0ES3_S5_NS0_18transform_iteratorINS0_17counting_iteratorImlEEZNS1_24adjacent_difference_implIS3_Lb1ELb0EPlSB_ZN2at6native12_GLOBAL__N_124unique_dim_cuda_templateIhEESt5tupleIJNSC_6TensorESH_SH_EERKSH_lbbbEUlllE1_EE10hipError_tPvRmT2_T3_mT4_P12ihipStream_tbEUlmE_lEESB_NS0_8identityIvEEEESM_SP_SQ_mSR_ST_bEUlT_E_NS1_11comp_targetILNS1_3genE0ELNS1_11target_archE4294967295ELNS1_3gpuE0ELNS1_3repE0EEENS1_30default_config_static_selectorELNS0_4arch9wavefront6targetE0EEEvT1_.num_agpr, 0
	.set _ZN7rocprim17ROCPRIM_400000_NS6detail17trampoline_kernelINS0_14default_configENS1_25transform_config_selectorIlLb0EEEZNS1_14transform_implILb0ES3_S5_NS0_18transform_iteratorINS0_17counting_iteratorImlEEZNS1_24adjacent_difference_implIS3_Lb1ELb0EPlSB_ZN2at6native12_GLOBAL__N_124unique_dim_cuda_templateIhEESt5tupleIJNSC_6TensorESH_SH_EERKSH_lbbbEUlllE1_EE10hipError_tPvRmT2_T3_mT4_P12ihipStream_tbEUlmE_lEESB_NS0_8identityIvEEEESM_SP_SQ_mSR_ST_bEUlT_E_NS1_11comp_targetILNS1_3genE0ELNS1_11target_archE4294967295ELNS1_3gpuE0ELNS1_3repE0EEENS1_30default_config_static_selectorELNS0_4arch9wavefront6targetE0EEEvT1_.numbered_sgpr, 14
	.set _ZN7rocprim17ROCPRIM_400000_NS6detail17trampoline_kernelINS0_14default_configENS1_25transform_config_selectorIlLb0EEEZNS1_14transform_implILb0ES3_S5_NS0_18transform_iteratorINS0_17counting_iteratorImlEEZNS1_24adjacent_difference_implIS3_Lb1ELb0EPlSB_ZN2at6native12_GLOBAL__N_124unique_dim_cuda_templateIhEESt5tupleIJNSC_6TensorESH_SH_EERKSH_lbbbEUlllE1_EE10hipError_tPvRmT2_T3_mT4_P12ihipStream_tbEUlmE_lEESB_NS0_8identityIvEEEESM_SP_SQ_mSR_ST_bEUlT_E_NS1_11comp_targetILNS1_3genE0ELNS1_11target_archE4294967295ELNS1_3gpuE0ELNS1_3repE0EEENS1_30default_config_static_selectorELNS0_4arch9wavefront6targetE0EEEvT1_.num_named_barrier, 0
	.set _ZN7rocprim17ROCPRIM_400000_NS6detail17trampoline_kernelINS0_14default_configENS1_25transform_config_selectorIlLb0EEEZNS1_14transform_implILb0ES3_S5_NS0_18transform_iteratorINS0_17counting_iteratorImlEEZNS1_24adjacent_difference_implIS3_Lb1ELb0EPlSB_ZN2at6native12_GLOBAL__N_124unique_dim_cuda_templateIhEESt5tupleIJNSC_6TensorESH_SH_EERKSH_lbbbEUlllE1_EE10hipError_tPvRmT2_T3_mT4_P12ihipStream_tbEUlmE_lEESB_NS0_8identityIvEEEESM_SP_SQ_mSR_ST_bEUlT_E_NS1_11comp_targetILNS1_3genE0ELNS1_11target_archE4294967295ELNS1_3gpuE0ELNS1_3repE0EEENS1_30default_config_static_selectorELNS0_4arch9wavefront6targetE0EEEvT1_.private_seg_size, 0
	.set _ZN7rocprim17ROCPRIM_400000_NS6detail17trampoline_kernelINS0_14default_configENS1_25transform_config_selectorIlLb0EEEZNS1_14transform_implILb0ES3_S5_NS0_18transform_iteratorINS0_17counting_iteratorImlEEZNS1_24adjacent_difference_implIS3_Lb1ELb0EPlSB_ZN2at6native12_GLOBAL__N_124unique_dim_cuda_templateIhEESt5tupleIJNSC_6TensorESH_SH_EERKSH_lbbbEUlllE1_EE10hipError_tPvRmT2_T3_mT4_P12ihipStream_tbEUlmE_lEESB_NS0_8identityIvEEEESM_SP_SQ_mSR_ST_bEUlT_E_NS1_11comp_targetILNS1_3genE0ELNS1_11target_archE4294967295ELNS1_3gpuE0ELNS1_3repE0EEENS1_30default_config_static_selectorELNS0_4arch9wavefront6targetE0EEEvT1_.uses_vcc, 1
	.set _ZN7rocprim17ROCPRIM_400000_NS6detail17trampoline_kernelINS0_14default_configENS1_25transform_config_selectorIlLb0EEEZNS1_14transform_implILb0ES3_S5_NS0_18transform_iteratorINS0_17counting_iteratorImlEEZNS1_24adjacent_difference_implIS3_Lb1ELb0EPlSB_ZN2at6native12_GLOBAL__N_124unique_dim_cuda_templateIhEESt5tupleIJNSC_6TensorESH_SH_EERKSH_lbbbEUlllE1_EE10hipError_tPvRmT2_T3_mT4_P12ihipStream_tbEUlmE_lEESB_NS0_8identityIvEEEESM_SP_SQ_mSR_ST_bEUlT_E_NS1_11comp_targetILNS1_3genE0ELNS1_11target_archE4294967295ELNS1_3gpuE0ELNS1_3repE0EEENS1_30default_config_static_selectorELNS0_4arch9wavefront6targetE0EEEvT1_.uses_flat_scratch, 0
	.set _ZN7rocprim17ROCPRIM_400000_NS6detail17trampoline_kernelINS0_14default_configENS1_25transform_config_selectorIlLb0EEEZNS1_14transform_implILb0ES3_S5_NS0_18transform_iteratorINS0_17counting_iteratorImlEEZNS1_24adjacent_difference_implIS3_Lb1ELb0EPlSB_ZN2at6native12_GLOBAL__N_124unique_dim_cuda_templateIhEESt5tupleIJNSC_6TensorESH_SH_EERKSH_lbbbEUlllE1_EE10hipError_tPvRmT2_T3_mT4_P12ihipStream_tbEUlmE_lEESB_NS0_8identityIvEEEESM_SP_SQ_mSR_ST_bEUlT_E_NS1_11comp_targetILNS1_3genE0ELNS1_11target_archE4294967295ELNS1_3gpuE0ELNS1_3repE0EEENS1_30default_config_static_selectorELNS0_4arch9wavefront6targetE0EEEvT1_.has_dyn_sized_stack, 0
	.set _ZN7rocprim17ROCPRIM_400000_NS6detail17trampoline_kernelINS0_14default_configENS1_25transform_config_selectorIlLb0EEEZNS1_14transform_implILb0ES3_S5_NS0_18transform_iteratorINS0_17counting_iteratorImlEEZNS1_24adjacent_difference_implIS3_Lb1ELb0EPlSB_ZN2at6native12_GLOBAL__N_124unique_dim_cuda_templateIhEESt5tupleIJNSC_6TensorESH_SH_EERKSH_lbbbEUlllE1_EE10hipError_tPvRmT2_T3_mT4_P12ihipStream_tbEUlmE_lEESB_NS0_8identityIvEEEESM_SP_SQ_mSR_ST_bEUlT_E_NS1_11comp_targetILNS1_3genE0ELNS1_11target_archE4294967295ELNS1_3gpuE0ELNS1_3repE0EEENS1_30default_config_static_selectorELNS0_4arch9wavefront6targetE0EEEvT1_.has_recursion, 0
	.set _ZN7rocprim17ROCPRIM_400000_NS6detail17trampoline_kernelINS0_14default_configENS1_25transform_config_selectorIlLb0EEEZNS1_14transform_implILb0ES3_S5_NS0_18transform_iteratorINS0_17counting_iteratorImlEEZNS1_24adjacent_difference_implIS3_Lb1ELb0EPlSB_ZN2at6native12_GLOBAL__N_124unique_dim_cuda_templateIhEESt5tupleIJNSC_6TensorESH_SH_EERKSH_lbbbEUlllE1_EE10hipError_tPvRmT2_T3_mT4_P12ihipStream_tbEUlmE_lEESB_NS0_8identityIvEEEESM_SP_SQ_mSR_ST_bEUlT_E_NS1_11comp_targetILNS1_3genE0ELNS1_11target_archE4294967295ELNS1_3gpuE0ELNS1_3repE0EEENS1_30default_config_static_selectorELNS0_4arch9wavefront6targetE0EEEvT1_.has_indirect_call, 0
	.section	.AMDGPU.csdata,"",@progbits
; Kernel info:
; codeLenInByte = 240
; TotalNumSgprs: 16
; NumVgprs: 4
; ScratchSize: 0
; MemoryBound: 0
; FloatMode: 240
; IeeeMode: 1
; LDSByteSize: 0 bytes/workgroup (compile time only)
; SGPRBlocks: 0
; VGPRBlocks: 0
; NumSGPRsForWavesPerEU: 16
; NumVGPRsForWavesPerEU: 4
; NamedBarCnt: 0
; Occupancy: 16
; WaveLimiterHint : 0
; COMPUTE_PGM_RSRC2:SCRATCH_EN: 0
; COMPUTE_PGM_RSRC2:USER_SGPR: 2
; COMPUTE_PGM_RSRC2:TRAP_HANDLER: 0
; COMPUTE_PGM_RSRC2:TGID_X_EN: 1
; COMPUTE_PGM_RSRC2:TGID_Y_EN: 0
; COMPUTE_PGM_RSRC2:TGID_Z_EN: 0
; COMPUTE_PGM_RSRC2:TIDIG_COMP_CNT: 0
	.section	.text._ZN7rocprim17ROCPRIM_400000_NS6detail17trampoline_kernelINS0_14default_configENS1_25transform_config_selectorIlLb0EEEZNS1_14transform_implILb0ES3_S5_NS0_18transform_iteratorINS0_17counting_iteratorImlEEZNS1_24adjacent_difference_implIS3_Lb1ELb0EPlSB_ZN2at6native12_GLOBAL__N_124unique_dim_cuda_templateIhEESt5tupleIJNSC_6TensorESH_SH_EERKSH_lbbbEUlllE1_EE10hipError_tPvRmT2_T3_mT4_P12ihipStream_tbEUlmE_lEESB_NS0_8identityIvEEEESM_SP_SQ_mSR_ST_bEUlT_E_NS1_11comp_targetILNS1_3genE5ELNS1_11target_archE942ELNS1_3gpuE9ELNS1_3repE0EEENS1_30default_config_static_selectorELNS0_4arch9wavefront6targetE0EEEvT1_,"axG",@progbits,_ZN7rocprim17ROCPRIM_400000_NS6detail17trampoline_kernelINS0_14default_configENS1_25transform_config_selectorIlLb0EEEZNS1_14transform_implILb0ES3_S5_NS0_18transform_iteratorINS0_17counting_iteratorImlEEZNS1_24adjacent_difference_implIS3_Lb1ELb0EPlSB_ZN2at6native12_GLOBAL__N_124unique_dim_cuda_templateIhEESt5tupleIJNSC_6TensorESH_SH_EERKSH_lbbbEUlllE1_EE10hipError_tPvRmT2_T3_mT4_P12ihipStream_tbEUlmE_lEESB_NS0_8identityIvEEEESM_SP_SQ_mSR_ST_bEUlT_E_NS1_11comp_targetILNS1_3genE5ELNS1_11target_archE942ELNS1_3gpuE9ELNS1_3repE0EEENS1_30default_config_static_selectorELNS0_4arch9wavefront6targetE0EEEvT1_,comdat
	.globl	_ZN7rocprim17ROCPRIM_400000_NS6detail17trampoline_kernelINS0_14default_configENS1_25transform_config_selectorIlLb0EEEZNS1_14transform_implILb0ES3_S5_NS0_18transform_iteratorINS0_17counting_iteratorImlEEZNS1_24adjacent_difference_implIS3_Lb1ELb0EPlSB_ZN2at6native12_GLOBAL__N_124unique_dim_cuda_templateIhEESt5tupleIJNSC_6TensorESH_SH_EERKSH_lbbbEUlllE1_EE10hipError_tPvRmT2_T3_mT4_P12ihipStream_tbEUlmE_lEESB_NS0_8identityIvEEEESM_SP_SQ_mSR_ST_bEUlT_E_NS1_11comp_targetILNS1_3genE5ELNS1_11target_archE942ELNS1_3gpuE9ELNS1_3repE0EEENS1_30default_config_static_selectorELNS0_4arch9wavefront6targetE0EEEvT1_ ; -- Begin function _ZN7rocprim17ROCPRIM_400000_NS6detail17trampoline_kernelINS0_14default_configENS1_25transform_config_selectorIlLb0EEEZNS1_14transform_implILb0ES3_S5_NS0_18transform_iteratorINS0_17counting_iteratorImlEEZNS1_24adjacent_difference_implIS3_Lb1ELb0EPlSB_ZN2at6native12_GLOBAL__N_124unique_dim_cuda_templateIhEESt5tupleIJNSC_6TensorESH_SH_EERKSH_lbbbEUlllE1_EE10hipError_tPvRmT2_T3_mT4_P12ihipStream_tbEUlmE_lEESB_NS0_8identityIvEEEESM_SP_SQ_mSR_ST_bEUlT_E_NS1_11comp_targetILNS1_3genE5ELNS1_11target_archE942ELNS1_3gpuE9ELNS1_3repE0EEENS1_30default_config_static_selectorELNS0_4arch9wavefront6targetE0EEEvT1_
	.p2align	8
	.type	_ZN7rocprim17ROCPRIM_400000_NS6detail17trampoline_kernelINS0_14default_configENS1_25transform_config_selectorIlLb0EEEZNS1_14transform_implILb0ES3_S5_NS0_18transform_iteratorINS0_17counting_iteratorImlEEZNS1_24adjacent_difference_implIS3_Lb1ELb0EPlSB_ZN2at6native12_GLOBAL__N_124unique_dim_cuda_templateIhEESt5tupleIJNSC_6TensorESH_SH_EERKSH_lbbbEUlllE1_EE10hipError_tPvRmT2_T3_mT4_P12ihipStream_tbEUlmE_lEESB_NS0_8identityIvEEEESM_SP_SQ_mSR_ST_bEUlT_E_NS1_11comp_targetILNS1_3genE5ELNS1_11target_archE942ELNS1_3gpuE9ELNS1_3repE0EEENS1_30default_config_static_selectorELNS0_4arch9wavefront6targetE0EEEvT1_,@function
_ZN7rocprim17ROCPRIM_400000_NS6detail17trampoline_kernelINS0_14default_configENS1_25transform_config_selectorIlLb0EEEZNS1_14transform_implILb0ES3_S5_NS0_18transform_iteratorINS0_17counting_iteratorImlEEZNS1_24adjacent_difference_implIS3_Lb1ELb0EPlSB_ZN2at6native12_GLOBAL__N_124unique_dim_cuda_templateIhEESt5tupleIJNSC_6TensorESH_SH_EERKSH_lbbbEUlllE1_EE10hipError_tPvRmT2_T3_mT4_P12ihipStream_tbEUlmE_lEESB_NS0_8identityIvEEEESM_SP_SQ_mSR_ST_bEUlT_E_NS1_11comp_targetILNS1_3genE5ELNS1_11target_archE942ELNS1_3gpuE9ELNS1_3repE0EEENS1_30default_config_static_selectorELNS0_4arch9wavefront6targetE0EEEvT1_: ; @_ZN7rocprim17ROCPRIM_400000_NS6detail17trampoline_kernelINS0_14default_configENS1_25transform_config_selectorIlLb0EEEZNS1_14transform_implILb0ES3_S5_NS0_18transform_iteratorINS0_17counting_iteratorImlEEZNS1_24adjacent_difference_implIS3_Lb1ELb0EPlSB_ZN2at6native12_GLOBAL__N_124unique_dim_cuda_templateIhEESt5tupleIJNSC_6TensorESH_SH_EERKSH_lbbbEUlllE1_EE10hipError_tPvRmT2_T3_mT4_P12ihipStream_tbEUlmE_lEESB_NS0_8identityIvEEEESM_SP_SQ_mSR_ST_bEUlT_E_NS1_11comp_targetILNS1_3genE5ELNS1_11target_archE942ELNS1_3gpuE9ELNS1_3repE0EEENS1_30default_config_static_selectorELNS0_4arch9wavefront6targetE0EEEvT1_
; %bb.0:
	.section	.rodata,"a",@progbits
	.p2align	6, 0x0
	.amdhsa_kernel _ZN7rocprim17ROCPRIM_400000_NS6detail17trampoline_kernelINS0_14default_configENS1_25transform_config_selectorIlLb0EEEZNS1_14transform_implILb0ES3_S5_NS0_18transform_iteratorINS0_17counting_iteratorImlEEZNS1_24adjacent_difference_implIS3_Lb1ELb0EPlSB_ZN2at6native12_GLOBAL__N_124unique_dim_cuda_templateIhEESt5tupleIJNSC_6TensorESH_SH_EERKSH_lbbbEUlllE1_EE10hipError_tPvRmT2_T3_mT4_P12ihipStream_tbEUlmE_lEESB_NS0_8identityIvEEEESM_SP_SQ_mSR_ST_bEUlT_E_NS1_11comp_targetILNS1_3genE5ELNS1_11target_archE942ELNS1_3gpuE9ELNS1_3repE0EEENS1_30default_config_static_selectorELNS0_4arch9wavefront6targetE0EEEvT1_
		.amdhsa_group_segment_fixed_size 0
		.amdhsa_private_segment_fixed_size 0
		.amdhsa_kernarg_size 56
		.amdhsa_user_sgpr_count 2
		.amdhsa_user_sgpr_dispatch_ptr 0
		.amdhsa_user_sgpr_queue_ptr 0
		.amdhsa_user_sgpr_kernarg_segment_ptr 1
		.amdhsa_user_sgpr_dispatch_id 0
		.amdhsa_user_sgpr_kernarg_preload_length 0
		.amdhsa_user_sgpr_kernarg_preload_offset 0
		.amdhsa_user_sgpr_private_segment_size 0
		.amdhsa_wavefront_size32 1
		.amdhsa_uses_dynamic_stack 0
		.amdhsa_enable_private_segment 0
		.amdhsa_system_sgpr_workgroup_id_x 1
		.amdhsa_system_sgpr_workgroup_id_y 0
		.amdhsa_system_sgpr_workgroup_id_z 0
		.amdhsa_system_sgpr_workgroup_info 0
		.amdhsa_system_vgpr_workitem_id 0
		.amdhsa_next_free_vgpr 1
		.amdhsa_next_free_sgpr 1
		.amdhsa_named_barrier_count 0
		.amdhsa_reserve_vcc 0
		.amdhsa_float_round_mode_32 0
		.amdhsa_float_round_mode_16_64 0
		.amdhsa_float_denorm_mode_32 3
		.amdhsa_float_denorm_mode_16_64 3
		.amdhsa_fp16_overflow 0
		.amdhsa_memory_ordered 1
		.amdhsa_forward_progress 1
		.amdhsa_inst_pref_size 0
		.amdhsa_round_robin_scheduling 0
		.amdhsa_exception_fp_ieee_invalid_op 0
		.amdhsa_exception_fp_denorm_src 0
		.amdhsa_exception_fp_ieee_div_zero 0
		.amdhsa_exception_fp_ieee_overflow 0
		.amdhsa_exception_fp_ieee_underflow 0
		.amdhsa_exception_fp_ieee_inexact 0
		.amdhsa_exception_int_div_zero 0
	.end_amdhsa_kernel
	.section	.text._ZN7rocprim17ROCPRIM_400000_NS6detail17trampoline_kernelINS0_14default_configENS1_25transform_config_selectorIlLb0EEEZNS1_14transform_implILb0ES3_S5_NS0_18transform_iteratorINS0_17counting_iteratorImlEEZNS1_24adjacent_difference_implIS3_Lb1ELb0EPlSB_ZN2at6native12_GLOBAL__N_124unique_dim_cuda_templateIhEESt5tupleIJNSC_6TensorESH_SH_EERKSH_lbbbEUlllE1_EE10hipError_tPvRmT2_T3_mT4_P12ihipStream_tbEUlmE_lEESB_NS0_8identityIvEEEESM_SP_SQ_mSR_ST_bEUlT_E_NS1_11comp_targetILNS1_3genE5ELNS1_11target_archE942ELNS1_3gpuE9ELNS1_3repE0EEENS1_30default_config_static_selectorELNS0_4arch9wavefront6targetE0EEEvT1_,"axG",@progbits,_ZN7rocprim17ROCPRIM_400000_NS6detail17trampoline_kernelINS0_14default_configENS1_25transform_config_selectorIlLb0EEEZNS1_14transform_implILb0ES3_S5_NS0_18transform_iteratorINS0_17counting_iteratorImlEEZNS1_24adjacent_difference_implIS3_Lb1ELb0EPlSB_ZN2at6native12_GLOBAL__N_124unique_dim_cuda_templateIhEESt5tupleIJNSC_6TensorESH_SH_EERKSH_lbbbEUlllE1_EE10hipError_tPvRmT2_T3_mT4_P12ihipStream_tbEUlmE_lEESB_NS0_8identityIvEEEESM_SP_SQ_mSR_ST_bEUlT_E_NS1_11comp_targetILNS1_3genE5ELNS1_11target_archE942ELNS1_3gpuE9ELNS1_3repE0EEENS1_30default_config_static_selectorELNS0_4arch9wavefront6targetE0EEEvT1_,comdat
.Lfunc_end67:
	.size	_ZN7rocprim17ROCPRIM_400000_NS6detail17trampoline_kernelINS0_14default_configENS1_25transform_config_selectorIlLb0EEEZNS1_14transform_implILb0ES3_S5_NS0_18transform_iteratorINS0_17counting_iteratorImlEEZNS1_24adjacent_difference_implIS3_Lb1ELb0EPlSB_ZN2at6native12_GLOBAL__N_124unique_dim_cuda_templateIhEESt5tupleIJNSC_6TensorESH_SH_EERKSH_lbbbEUlllE1_EE10hipError_tPvRmT2_T3_mT4_P12ihipStream_tbEUlmE_lEESB_NS0_8identityIvEEEESM_SP_SQ_mSR_ST_bEUlT_E_NS1_11comp_targetILNS1_3genE5ELNS1_11target_archE942ELNS1_3gpuE9ELNS1_3repE0EEENS1_30default_config_static_selectorELNS0_4arch9wavefront6targetE0EEEvT1_, .Lfunc_end67-_ZN7rocprim17ROCPRIM_400000_NS6detail17trampoline_kernelINS0_14default_configENS1_25transform_config_selectorIlLb0EEEZNS1_14transform_implILb0ES3_S5_NS0_18transform_iteratorINS0_17counting_iteratorImlEEZNS1_24adjacent_difference_implIS3_Lb1ELb0EPlSB_ZN2at6native12_GLOBAL__N_124unique_dim_cuda_templateIhEESt5tupleIJNSC_6TensorESH_SH_EERKSH_lbbbEUlllE1_EE10hipError_tPvRmT2_T3_mT4_P12ihipStream_tbEUlmE_lEESB_NS0_8identityIvEEEESM_SP_SQ_mSR_ST_bEUlT_E_NS1_11comp_targetILNS1_3genE5ELNS1_11target_archE942ELNS1_3gpuE9ELNS1_3repE0EEENS1_30default_config_static_selectorELNS0_4arch9wavefront6targetE0EEEvT1_
                                        ; -- End function
	.set _ZN7rocprim17ROCPRIM_400000_NS6detail17trampoline_kernelINS0_14default_configENS1_25transform_config_selectorIlLb0EEEZNS1_14transform_implILb0ES3_S5_NS0_18transform_iteratorINS0_17counting_iteratorImlEEZNS1_24adjacent_difference_implIS3_Lb1ELb0EPlSB_ZN2at6native12_GLOBAL__N_124unique_dim_cuda_templateIhEESt5tupleIJNSC_6TensorESH_SH_EERKSH_lbbbEUlllE1_EE10hipError_tPvRmT2_T3_mT4_P12ihipStream_tbEUlmE_lEESB_NS0_8identityIvEEEESM_SP_SQ_mSR_ST_bEUlT_E_NS1_11comp_targetILNS1_3genE5ELNS1_11target_archE942ELNS1_3gpuE9ELNS1_3repE0EEENS1_30default_config_static_selectorELNS0_4arch9wavefront6targetE0EEEvT1_.num_vgpr, 0
	.set _ZN7rocprim17ROCPRIM_400000_NS6detail17trampoline_kernelINS0_14default_configENS1_25transform_config_selectorIlLb0EEEZNS1_14transform_implILb0ES3_S5_NS0_18transform_iteratorINS0_17counting_iteratorImlEEZNS1_24adjacent_difference_implIS3_Lb1ELb0EPlSB_ZN2at6native12_GLOBAL__N_124unique_dim_cuda_templateIhEESt5tupleIJNSC_6TensorESH_SH_EERKSH_lbbbEUlllE1_EE10hipError_tPvRmT2_T3_mT4_P12ihipStream_tbEUlmE_lEESB_NS0_8identityIvEEEESM_SP_SQ_mSR_ST_bEUlT_E_NS1_11comp_targetILNS1_3genE5ELNS1_11target_archE942ELNS1_3gpuE9ELNS1_3repE0EEENS1_30default_config_static_selectorELNS0_4arch9wavefront6targetE0EEEvT1_.num_agpr, 0
	.set _ZN7rocprim17ROCPRIM_400000_NS6detail17trampoline_kernelINS0_14default_configENS1_25transform_config_selectorIlLb0EEEZNS1_14transform_implILb0ES3_S5_NS0_18transform_iteratorINS0_17counting_iteratorImlEEZNS1_24adjacent_difference_implIS3_Lb1ELb0EPlSB_ZN2at6native12_GLOBAL__N_124unique_dim_cuda_templateIhEESt5tupleIJNSC_6TensorESH_SH_EERKSH_lbbbEUlllE1_EE10hipError_tPvRmT2_T3_mT4_P12ihipStream_tbEUlmE_lEESB_NS0_8identityIvEEEESM_SP_SQ_mSR_ST_bEUlT_E_NS1_11comp_targetILNS1_3genE5ELNS1_11target_archE942ELNS1_3gpuE9ELNS1_3repE0EEENS1_30default_config_static_selectorELNS0_4arch9wavefront6targetE0EEEvT1_.numbered_sgpr, 0
	.set _ZN7rocprim17ROCPRIM_400000_NS6detail17trampoline_kernelINS0_14default_configENS1_25transform_config_selectorIlLb0EEEZNS1_14transform_implILb0ES3_S5_NS0_18transform_iteratorINS0_17counting_iteratorImlEEZNS1_24adjacent_difference_implIS3_Lb1ELb0EPlSB_ZN2at6native12_GLOBAL__N_124unique_dim_cuda_templateIhEESt5tupleIJNSC_6TensorESH_SH_EERKSH_lbbbEUlllE1_EE10hipError_tPvRmT2_T3_mT4_P12ihipStream_tbEUlmE_lEESB_NS0_8identityIvEEEESM_SP_SQ_mSR_ST_bEUlT_E_NS1_11comp_targetILNS1_3genE5ELNS1_11target_archE942ELNS1_3gpuE9ELNS1_3repE0EEENS1_30default_config_static_selectorELNS0_4arch9wavefront6targetE0EEEvT1_.num_named_barrier, 0
	.set _ZN7rocprim17ROCPRIM_400000_NS6detail17trampoline_kernelINS0_14default_configENS1_25transform_config_selectorIlLb0EEEZNS1_14transform_implILb0ES3_S5_NS0_18transform_iteratorINS0_17counting_iteratorImlEEZNS1_24adjacent_difference_implIS3_Lb1ELb0EPlSB_ZN2at6native12_GLOBAL__N_124unique_dim_cuda_templateIhEESt5tupleIJNSC_6TensorESH_SH_EERKSH_lbbbEUlllE1_EE10hipError_tPvRmT2_T3_mT4_P12ihipStream_tbEUlmE_lEESB_NS0_8identityIvEEEESM_SP_SQ_mSR_ST_bEUlT_E_NS1_11comp_targetILNS1_3genE5ELNS1_11target_archE942ELNS1_3gpuE9ELNS1_3repE0EEENS1_30default_config_static_selectorELNS0_4arch9wavefront6targetE0EEEvT1_.private_seg_size, 0
	.set _ZN7rocprim17ROCPRIM_400000_NS6detail17trampoline_kernelINS0_14default_configENS1_25transform_config_selectorIlLb0EEEZNS1_14transform_implILb0ES3_S5_NS0_18transform_iteratorINS0_17counting_iteratorImlEEZNS1_24adjacent_difference_implIS3_Lb1ELb0EPlSB_ZN2at6native12_GLOBAL__N_124unique_dim_cuda_templateIhEESt5tupleIJNSC_6TensorESH_SH_EERKSH_lbbbEUlllE1_EE10hipError_tPvRmT2_T3_mT4_P12ihipStream_tbEUlmE_lEESB_NS0_8identityIvEEEESM_SP_SQ_mSR_ST_bEUlT_E_NS1_11comp_targetILNS1_3genE5ELNS1_11target_archE942ELNS1_3gpuE9ELNS1_3repE0EEENS1_30default_config_static_selectorELNS0_4arch9wavefront6targetE0EEEvT1_.uses_vcc, 0
	.set _ZN7rocprim17ROCPRIM_400000_NS6detail17trampoline_kernelINS0_14default_configENS1_25transform_config_selectorIlLb0EEEZNS1_14transform_implILb0ES3_S5_NS0_18transform_iteratorINS0_17counting_iteratorImlEEZNS1_24adjacent_difference_implIS3_Lb1ELb0EPlSB_ZN2at6native12_GLOBAL__N_124unique_dim_cuda_templateIhEESt5tupleIJNSC_6TensorESH_SH_EERKSH_lbbbEUlllE1_EE10hipError_tPvRmT2_T3_mT4_P12ihipStream_tbEUlmE_lEESB_NS0_8identityIvEEEESM_SP_SQ_mSR_ST_bEUlT_E_NS1_11comp_targetILNS1_3genE5ELNS1_11target_archE942ELNS1_3gpuE9ELNS1_3repE0EEENS1_30default_config_static_selectorELNS0_4arch9wavefront6targetE0EEEvT1_.uses_flat_scratch, 0
	.set _ZN7rocprim17ROCPRIM_400000_NS6detail17trampoline_kernelINS0_14default_configENS1_25transform_config_selectorIlLb0EEEZNS1_14transform_implILb0ES3_S5_NS0_18transform_iteratorINS0_17counting_iteratorImlEEZNS1_24adjacent_difference_implIS3_Lb1ELb0EPlSB_ZN2at6native12_GLOBAL__N_124unique_dim_cuda_templateIhEESt5tupleIJNSC_6TensorESH_SH_EERKSH_lbbbEUlllE1_EE10hipError_tPvRmT2_T3_mT4_P12ihipStream_tbEUlmE_lEESB_NS0_8identityIvEEEESM_SP_SQ_mSR_ST_bEUlT_E_NS1_11comp_targetILNS1_3genE5ELNS1_11target_archE942ELNS1_3gpuE9ELNS1_3repE0EEENS1_30default_config_static_selectorELNS0_4arch9wavefront6targetE0EEEvT1_.has_dyn_sized_stack, 0
	.set _ZN7rocprim17ROCPRIM_400000_NS6detail17trampoline_kernelINS0_14default_configENS1_25transform_config_selectorIlLb0EEEZNS1_14transform_implILb0ES3_S5_NS0_18transform_iteratorINS0_17counting_iteratorImlEEZNS1_24adjacent_difference_implIS3_Lb1ELb0EPlSB_ZN2at6native12_GLOBAL__N_124unique_dim_cuda_templateIhEESt5tupleIJNSC_6TensorESH_SH_EERKSH_lbbbEUlllE1_EE10hipError_tPvRmT2_T3_mT4_P12ihipStream_tbEUlmE_lEESB_NS0_8identityIvEEEESM_SP_SQ_mSR_ST_bEUlT_E_NS1_11comp_targetILNS1_3genE5ELNS1_11target_archE942ELNS1_3gpuE9ELNS1_3repE0EEENS1_30default_config_static_selectorELNS0_4arch9wavefront6targetE0EEEvT1_.has_recursion, 0
	.set _ZN7rocprim17ROCPRIM_400000_NS6detail17trampoline_kernelINS0_14default_configENS1_25transform_config_selectorIlLb0EEEZNS1_14transform_implILb0ES3_S5_NS0_18transform_iteratorINS0_17counting_iteratorImlEEZNS1_24adjacent_difference_implIS3_Lb1ELb0EPlSB_ZN2at6native12_GLOBAL__N_124unique_dim_cuda_templateIhEESt5tupleIJNSC_6TensorESH_SH_EERKSH_lbbbEUlllE1_EE10hipError_tPvRmT2_T3_mT4_P12ihipStream_tbEUlmE_lEESB_NS0_8identityIvEEEESM_SP_SQ_mSR_ST_bEUlT_E_NS1_11comp_targetILNS1_3genE5ELNS1_11target_archE942ELNS1_3gpuE9ELNS1_3repE0EEENS1_30default_config_static_selectorELNS0_4arch9wavefront6targetE0EEEvT1_.has_indirect_call, 0
	.section	.AMDGPU.csdata,"",@progbits
; Kernel info:
; codeLenInByte = 0
; TotalNumSgprs: 0
; NumVgprs: 0
; ScratchSize: 0
; MemoryBound: 0
; FloatMode: 240
; IeeeMode: 1
; LDSByteSize: 0 bytes/workgroup (compile time only)
; SGPRBlocks: 0
; VGPRBlocks: 0
; NumSGPRsForWavesPerEU: 1
; NumVGPRsForWavesPerEU: 1
; NamedBarCnt: 0
; Occupancy: 16
; WaveLimiterHint : 0
; COMPUTE_PGM_RSRC2:SCRATCH_EN: 0
; COMPUTE_PGM_RSRC2:USER_SGPR: 2
; COMPUTE_PGM_RSRC2:TRAP_HANDLER: 0
; COMPUTE_PGM_RSRC2:TGID_X_EN: 1
; COMPUTE_PGM_RSRC2:TGID_Y_EN: 0
; COMPUTE_PGM_RSRC2:TGID_Z_EN: 0
; COMPUTE_PGM_RSRC2:TIDIG_COMP_CNT: 0
	.section	.text._ZN7rocprim17ROCPRIM_400000_NS6detail17trampoline_kernelINS0_14default_configENS1_25transform_config_selectorIlLb0EEEZNS1_14transform_implILb0ES3_S5_NS0_18transform_iteratorINS0_17counting_iteratorImlEEZNS1_24adjacent_difference_implIS3_Lb1ELb0EPlSB_ZN2at6native12_GLOBAL__N_124unique_dim_cuda_templateIhEESt5tupleIJNSC_6TensorESH_SH_EERKSH_lbbbEUlllE1_EE10hipError_tPvRmT2_T3_mT4_P12ihipStream_tbEUlmE_lEESB_NS0_8identityIvEEEESM_SP_SQ_mSR_ST_bEUlT_E_NS1_11comp_targetILNS1_3genE4ELNS1_11target_archE910ELNS1_3gpuE8ELNS1_3repE0EEENS1_30default_config_static_selectorELNS0_4arch9wavefront6targetE0EEEvT1_,"axG",@progbits,_ZN7rocprim17ROCPRIM_400000_NS6detail17trampoline_kernelINS0_14default_configENS1_25transform_config_selectorIlLb0EEEZNS1_14transform_implILb0ES3_S5_NS0_18transform_iteratorINS0_17counting_iteratorImlEEZNS1_24adjacent_difference_implIS3_Lb1ELb0EPlSB_ZN2at6native12_GLOBAL__N_124unique_dim_cuda_templateIhEESt5tupleIJNSC_6TensorESH_SH_EERKSH_lbbbEUlllE1_EE10hipError_tPvRmT2_T3_mT4_P12ihipStream_tbEUlmE_lEESB_NS0_8identityIvEEEESM_SP_SQ_mSR_ST_bEUlT_E_NS1_11comp_targetILNS1_3genE4ELNS1_11target_archE910ELNS1_3gpuE8ELNS1_3repE0EEENS1_30default_config_static_selectorELNS0_4arch9wavefront6targetE0EEEvT1_,comdat
	.globl	_ZN7rocprim17ROCPRIM_400000_NS6detail17trampoline_kernelINS0_14default_configENS1_25transform_config_selectorIlLb0EEEZNS1_14transform_implILb0ES3_S5_NS0_18transform_iteratorINS0_17counting_iteratorImlEEZNS1_24adjacent_difference_implIS3_Lb1ELb0EPlSB_ZN2at6native12_GLOBAL__N_124unique_dim_cuda_templateIhEESt5tupleIJNSC_6TensorESH_SH_EERKSH_lbbbEUlllE1_EE10hipError_tPvRmT2_T3_mT4_P12ihipStream_tbEUlmE_lEESB_NS0_8identityIvEEEESM_SP_SQ_mSR_ST_bEUlT_E_NS1_11comp_targetILNS1_3genE4ELNS1_11target_archE910ELNS1_3gpuE8ELNS1_3repE0EEENS1_30default_config_static_selectorELNS0_4arch9wavefront6targetE0EEEvT1_ ; -- Begin function _ZN7rocprim17ROCPRIM_400000_NS6detail17trampoline_kernelINS0_14default_configENS1_25transform_config_selectorIlLb0EEEZNS1_14transform_implILb0ES3_S5_NS0_18transform_iteratorINS0_17counting_iteratorImlEEZNS1_24adjacent_difference_implIS3_Lb1ELb0EPlSB_ZN2at6native12_GLOBAL__N_124unique_dim_cuda_templateIhEESt5tupleIJNSC_6TensorESH_SH_EERKSH_lbbbEUlllE1_EE10hipError_tPvRmT2_T3_mT4_P12ihipStream_tbEUlmE_lEESB_NS0_8identityIvEEEESM_SP_SQ_mSR_ST_bEUlT_E_NS1_11comp_targetILNS1_3genE4ELNS1_11target_archE910ELNS1_3gpuE8ELNS1_3repE0EEENS1_30default_config_static_selectorELNS0_4arch9wavefront6targetE0EEEvT1_
	.p2align	8
	.type	_ZN7rocprim17ROCPRIM_400000_NS6detail17trampoline_kernelINS0_14default_configENS1_25transform_config_selectorIlLb0EEEZNS1_14transform_implILb0ES3_S5_NS0_18transform_iteratorINS0_17counting_iteratorImlEEZNS1_24adjacent_difference_implIS3_Lb1ELb0EPlSB_ZN2at6native12_GLOBAL__N_124unique_dim_cuda_templateIhEESt5tupleIJNSC_6TensorESH_SH_EERKSH_lbbbEUlllE1_EE10hipError_tPvRmT2_T3_mT4_P12ihipStream_tbEUlmE_lEESB_NS0_8identityIvEEEESM_SP_SQ_mSR_ST_bEUlT_E_NS1_11comp_targetILNS1_3genE4ELNS1_11target_archE910ELNS1_3gpuE8ELNS1_3repE0EEENS1_30default_config_static_selectorELNS0_4arch9wavefront6targetE0EEEvT1_,@function
_ZN7rocprim17ROCPRIM_400000_NS6detail17trampoline_kernelINS0_14default_configENS1_25transform_config_selectorIlLb0EEEZNS1_14transform_implILb0ES3_S5_NS0_18transform_iteratorINS0_17counting_iteratorImlEEZNS1_24adjacent_difference_implIS3_Lb1ELb0EPlSB_ZN2at6native12_GLOBAL__N_124unique_dim_cuda_templateIhEESt5tupleIJNSC_6TensorESH_SH_EERKSH_lbbbEUlllE1_EE10hipError_tPvRmT2_T3_mT4_P12ihipStream_tbEUlmE_lEESB_NS0_8identityIvEEEESM_SP_SQ_mSR_ST_bEUlT_E_NS1_11comp_targetILNS1_3genE4ELNS1_11target_archE910ELNS1_3gpuE8ELNS1_3repE0EEENS1_30default_config_static_selectorELNS0_4arch9wavefront6targetE0EEEvT1_: ; @_ZN7rocprim17ROCPRIM_400000_NS6detail17trampoline_kernelINS0_14default_configENS1_25transform_config_selectorIlLb0EEEZNS1_14transform_implILb0ES3_S5_NS0_18transform_iteratorINS0_17counting_iteratorImlEEZNS1_24adjacent_difference_implIS3_Lb1ELb0EPlSB_ZN2at6native12_GLOBAL__N_124unique_dim_cuda_templateIhEESt5tupleIJNSC_6TensorESH_SH_EERKSH_lbbbEUlllE1_EE10hipError_tPvRmT2_T3_mT4_P12ihipStream_tbEUlmE_lEESB_NS0_8identityIvEEEESM_SP_SQ_mSR_ST_bEUlT_E_NS1_11comp_targetILNS1_3genE4ELNS1_11target_archE910ELNS1_3gpuE8ELNS1_3repE0EEENS1_30default_config_static_selectorELNS0_4arch9wavefront6targetE0EEEvT1_
; %bb.0:
	.section	.rodata,"a",@progbits
	.p2align	6, 0x0
	.amdhsa_kernel _ZN7rocprim17ROCPRIM_400000_NS6detail17trampoline_kernelINS0_14default_configENS1_25transform_config_selectorIlLb0EEEZNS1_14transform_implILb0ES3_S5_NS0_18transform_iteratorINS0_17counting_iteratorImlEEZNS1_24adjacent_difference_implIS3_Lb1ELb0EPlSB_ZN2at6native12_GLOBAL__N_124unique_dim_cuda_templateIhEESt5tupleIJNSC_6TensorESH_SH_EERKSH_lbbbEUlllE1_EE10hipError_tPvRmT2_T3_mT4_P12ihipStream_tbEUlmE_lEESB_NS0_8identityIvEEEESM_SP_SQ_mSR_ST_bEUlT_E_NS1_11comp_targetILNS1_3genE4ELNS1_11target_archE910ELNS1_3gpuE8ELNS1_3repE0EEENS1_30default_config_static_selectorELNS0_4arch9wavefront6targetE0EEEvT1_
		.amdhsa_group_segment_fixed_size 0
		.amdhsa_private_segment_fixed_size 0
		.amdhsa_kernarg_size 56
		.amdhsa_user_sgpr_count 2
		.amdhsa_user_sgpr_dispatch_ptr 0
		.amdhsa_user_sgpr_queue_ptr 0
		.amdhsa_user_sgpr_kernarg_segment_ptr 1
		.amdhsa_user_sgpr_dispatch_id 0
		.amdhsa_user_sgpr_kernarg_preload_length 0
		.amdhsa_user_sgpr_kernarg_preload_offset 0
		.amdhsa_user_sgpr_private_segment_size 0
		.amdhsa_wavefront_size32 1
		.amdhsa_uses_dynamic_stack 0
		.amdhsa_enable_private_segment 0
		.amdhsa_system_sgpr_workgroup_id_x 1
		.amdhsa_system_sgpr_workgroup_id_y 0
		.amdhsa_system_sgpr_workgroup_id_z 0
		.amdhsa_system_sgpr_workgroup_info 0
		.amdhsa_system_vgpr_workitem_id 0
		.amdhsa_next_free_vgpr 1
		.amdhsa_next_free_sgpr 1
		.amdhsa_named_barrier_count 0
		.amdhsa_reserve_vcc 0
		.amdhsa_float_round_mode_32 0
		.amdhsa_float_round_mode_16_64 0
		.amdhsa_float_denorm_mode_32 3
		.amdhsa_float_denorm_mode_16_64 3
		.amdhsa_fp16_overflow 0
		.amdhsa_memory_ordered 1
		.amdhsa_forward_progress 1
		.amdhsa_inst_pref_size 0
		.amdhsa_round_robin_scheduling 0
		.amdhsa_exception_fp_ieee_invalid_op 0
		.amdhsa_exception_fp_denorm_src 0
		.amdhsa_exception_fp_ieee_div_zero 0
		.amdhsa_exception_fp_ieee_overflow 0
		.amdhsa_exception_fp_ieee_underflow 0
		.amdhsa_exception_fp_ieee_inexact 0
		.amdhsa_exception_int_div_zero 0
	.end_amdhsa_kernel
	.section	.text._ZN7rocprim17ROCPRIM_400000_NS6detail17trampoline_kernelINS0_14default_configENS1_25transform_config_selectorIlLb0EEEZNS1_14transform_implILb0ES3_S5_NS0_18transform_iteratorINS0_17counting_iteratorImlEEZNS1_24adjacent_difference_implIS3_Lb1ELb0EPlSB_ZN2at6native12_GLOBAL__N_124unique_dim_cuda_templateIhEESt5tupleIJNSC_6TensorESH_SH_EERKSH_lbbbEUlllE1_EE10hipError_tPvRmT2_T3_mT4_P12ihipStream_tbEUlmE_lEESB_NS0_8identityIvEEEESM_SP_SQ_mSR_ST_bEUlT_E_NS1_11comp_targetILNS1_3genE4ELNS1_11target_archE910ELNS1_3gpuE8ELNS1_3repE0EEENS1_30default_config_static_selectorELNS0_4arch9wavefront6targetE0EEEvT1_,"axG",@progbits,_ZN7rocprim17ROCPRIM_400000_NS6detail17trampoline_kernelINS0_14default_configENS1_25transform_config_selectorIlLb0EEEZNS1_14transform_implILb0ES3_S5_NS0_18transform_iteratorINS0_17counting_iteratorImlEEZNS1_24adjacent_difference_implIS3_Lb1ELb0EPlSB_ZN2at6native12_GLOBAL__N_124unique_dim_cuda_templateIhEESt5tupleIJNSC_6TensorESH_SH_EERKSH_lbbbEUlllE1_EE10hipError_tPvRmT2_T3_mT4_P12ihipStream_tbEUlmE_lEESB_NS0_8identityIvEEEESM_SP_SQ_mSR_ST_bEUlT_E_NS1_11comp_targetILNS1_3genE4ELNS1_11target_archE910ELNS1_3gpuE8ELNS1_3repE0EEENS1_30default_config_static_selectorELNS0_4arch9wavefront6targetE0EEEvT1_,comdat
.Lfunc_end68:
	.size	_ZN7rocprim17ROCPRIM_400000_NS6detail17trampoline_kernelINS0_14default_configENS1_25transform_config_selectorIlLb0EEEZNS1_14transform_implILb0ES3_S5_NS0_18transform_iteratorINS0_17counting_iteratorImlEEZNS1_24adjacent_difference_implIS3_Lb1ELb0EPlSB_ZN2at6native12_GLOBAL__N_124unique_dim_cuda_templateIhEESt5tupleIJNSC_6TensorESH_SH_EERKSH_lbbbEUlllE1_EE10hipError_tPvRmT2_T3_mT4_P12ihipStream_tbEUlmE_lEESB_NS0_8identityIvEEEESM_SP_SQ_mSR_ST_bEUlT_E_NS1_11comp_targetILNS1_3genE4ELNS1_11target_archE910ELNS1_3gpuE8ELNS1_3repE0EEENS1_30default_config_static_selectorELNS0_4arch9wavefront6targetE0EEEvT1_, .Lfunc_end68-_ZN7rocprim17ROCPRIM_400000_NS6detail17trampoline_kernelINS0_14default_configENS1_25transform_config_selectorIlLb0EEEZNS1_14transform_implILb0ES3_S5_NS0_18transform_iteratorINS0_17counting_iteratorImlEEZNS1_24adjacent_difference_implIS3_Lb1ELb0EPlSB_ZN2at6native12_GLOBAL__N_124unique_dim_cuda_templateIhEESt5tupleIJNSC_6TensorESH_SH_EERKSH_lbbbEUlllE1_EE10hipError_tPvRmT2_T3_mT4_P12ihipStream_tbEUlmE_lEESB_NS0_8identityIvEEEESM_SP_SQ_mSR_ST_bEUlT_E_NS1_11comp_targetILNS1_3genE4ELNS1_11target_archE910ELNS1_3gpuE8ELNS1_3repE0EEENS1_30default_config_static_selectorELNS0_4arch9wavefront6targetE0EEEvT1_
                                        ; -- End function
	.set _ZN7rocprim17ROCPRIM_400000_NS6detail17trampoline_kernelINS0_14default_configENS1_25transform_config_selectorIlLb0EEEZNS1_14transform_implILb0ES3_S5_NS0_18transform_iteratorINS0_17counting_iteratorImlEEZNS1_24adjacent_difference_implIS3_Lb1ELb0EPlSB_ZN2at6native12_GLOBAL__N_124unique_dim_cuda_templateIhEESt5tupleIJNSC_6TensorESH_SH_EERKSH_lbbbEUlllE1_EE10hipError_tPvRmT2_T3_mT4_P12ihipStream_tbEUlmE_lEESB_NS0_8identityIvEEEESM_SP_SQ_mSR_ST_bEUlT_E_NS1_11comp_targetILNS1_3genE4ELNS1_11target_archE910ELNS1_3gpuE8ELNS1_3repE0EEENS1_30default_config_static_selectorELNS0_4arch9wavefront6targetE0EEEvT1_.num_vgpr, 0
	.set _ZN7rocprim17ROCPRIM_400000_NS6detail17trampoline_kernelINS0_14default_configENS1_25transform_config_selectorIlLb0EEEZNS1_14transform_implILb0ES3_S5_NS0_18transform_iteratorINS0_17counting_iteratorImlEEZNS1_24adjacent_difference_implIS3_Lb1ELb0EPlSB_ZN2at6native12_GLOBAL__N_124unique_dim_cuda_templateIhEESt5tupleIJNSC_6TensorESH_SH_EERKSH_lbbbEUlllE1_EE10hipError_tPvRmT2_T3_mT4_P12ihipStream_tbEUlmE_lEESB_NS0_8identityIvEEEESM_SP_SQ_mSR_ST_bEUlT_E_NS1_11comp_targetILNS1_3genE4ELNS1_11target_archE910ELNS1_3gpuE8ELNS1_3repE0EEENS1_30default_config_static_selectorELNS0_4arch9wavefront6targetE0EEEvT1_.num_agpr, 0
	.set _ZN7rocprim17ROCPRIM_400000_NS6detail17trampoline_kernelINS0_14default_configENS1_25transform_config_selectorIlLb0EEEZNS1_14transform_implILb0ES3_S5_NS0_18transform_iteratorINS0_17counting_iteratorImlEEZNS1_24adjacent_difference_implIS3_Lb1ELb0EPlSB_ZN2at6native12_GLOBAL__N_124unique_dim_cuda_templateIhEESt5tupleIJNSC_6TensorESH_SH_EERKSH_lbbbEUlllE1_EE10hipError_tPvRmT2_T3_mT4_P12ihipStream_tbEUlmE_lEESB_NS0_8identityIvEEEESM_SP_SQ_mSR_ST_bEUlT_E_NS1_11comp_targetILNS1_3genE4ELNS1_11target_archE910ELNS1_3gpuE8ELNS1_3repE0EEENS1_30default_config_static_selectorELNS0_4arch9wavefront6targetE0EEEvT1_.numbered_sgpr, 0
	.set _ZN7rocprim17ROCPRIM_400000_NS6detail17trampoline_kernelINS0_14default_configENS1_25transform_config_selectorIlLb0EEEZNS1_14transform_implILb0ES3_S5_NS0_18transform_iteratorINS0_17counting_iteratorImlEEZNS1_24adjacent_difference_implIS3_Lb1ELb0EPlSB_ZN2at6native12_GLOBAL__N_124unique_dim_cuda_templateIhEESt5tupleIJNSC_6TensorESH_SH_EERKSH_lbbbEUlllE1_EE10hipError_tPvRmT2_T3_mT4_P12ihipStream_tbEUlmE_lEESB_NS0_8identityIvEEEESM_SP_SQ_mSR_ST_bEUlT_E_NS1_11comp_targetILNS1_3genE4ELNS1_11target_archE910ELNS1_3gpuE8ELNS1_3repE0EEENS1_30default_config_static_selectorELNS0_4arch9wavefront6targetE0EEEvT1_.num_named_barrier, 0
	.set _ZN7rocprim17ROCPRIM_400000_NS6detail17trampoline_kernelINS0_14default_configENS1_25transform_config_selectorIlLb0EEEZNS1_14transform_implILb0ES3_S5_NS0_18transform_iteratorINS0_17counting_iteratorImlEEZNS1_24adjacent_difference_implIS3_Lb1ELb0EPlSB_ZN2at6native12_GLOBAL__N_124unique_dim_cuda_templateIhEESt5tupleIJNSC_6TensorESH_SH_EERKSH_lbbbEUlllE1_EE10hipError_tPvRmT2_T3_mT4_P12ihipStream_tbEUlmE_lEESB_NS0_8identityIvEEEESM_SP_SQ_mSR_ST_bEUlT_E_NS1_11comp_targetILNS1_3genE4ELNS1_11target_archE910ELNS1_3gpuE8ELNS1_3repE0EEENS1_30default_config_static_selectorELNS0_4arch9wavefront6targetE0EEEvT1_.private_seg_size, 0
	.set _ZN7rocprim17ROCPRIM_400000_NS6detail17trampoline_kernelINS0_14default_configENS1_25transform_config_selectorIlLb0EEEZNS1_14transform_implILb0ES3_S5_NS0_18transform_iteratorINS0_17counting_iteratorImlEEZNS1_24adjacent_difference_implIS3_Lb1ELb0EPlSB_ZN2at6native12_GLOBAL__N_124unique_dim_cuda_templateIhEESt5tupleIJNSC_6TensorESH_SH_EERKSH_lbbbEUlllE1_EE10hipError_tPvRmT2_T3_mT4_P12ihipStream_tbEUlmE_lEESB_NS0_8identityIvEEEESM_SP_SQ_mSR_ST_bEUlT_E_NS1_11comp_targetILNS1_3genE4ELNS1_11target_archE910ELNS1_3gpuE8ELNS1_3repE0EEENS1_30default_config_static_selectorELNS0_4arch9wavefront6targetE0EEEvT1_.uses_vcc, 0
	.set _ZN7rocprim17ROCPRIM_400000_NS6detail17trampoline_kernelINS0_14default_configENS1_25transform_config_selectorIlLb0EEEZNS1_14transform_implILb0ES3_S5_NS0_18transform_iteratorINS0_17counting_iteratorImlEEZNS1_24adjacent_difference_implIS3_Lb1ELb0EPlSB_ZN2at6native12_GLOBAL__N_124unique_dim_cuda_templateIhEESt5tupleIJNSC_6TensorESH_SH_EERKSH_lbbbEUlllE1_EE10hipError_tPvRmT2_T3_mT4_P12ihipStream_tbEUlmE_lEESB_NS0_8identityIvEEEESM_SP_SQ_mSR_ST_bEUlT_E_NS1_11comp_targetILNS1_3genE4ELNS1_11target_archE910ELNS1_3gpuE8ELNS1_3repE0EEENS1_30default_config_static_selectorELNS0_4arch9wavefront6targetE0EEEvT1_.uses_flat_scratch, 0
	.set _ZN7rocprim17ROCPRIM_400000_NS6detail17trampoline_kernelINS0_14default_configENS1_25transform_config_selectorIlLb0EEEZNS1_14transform_implILb0ES3_S5_NS0_18transform_iteratorINS0_17counting_iteratorImlEEZNS1_24adjacent_difference_implIS3_Lb1ELb0EPlSB_ZN2at6native12_GLOBAL__N_124unique_dim_cuda_templateIhEESt5tupleIJNSC_6TensorESH_SH_EERKSH_lbbbEUlllE1_EE10hipError_tPvRmT2_T3_mT4_P12ihipStream_tbEUlmE_lEESB_NS0_8identityIvEEEESM_SP_SQ_mSR_ST_bEUlT_E_NS1_11comp_targetILNS1_3genE4ELNS1_11target_archE910ELNS1_3gpuE8ELNS1_3repE0EEENS1_30default_config_static_selectorELNS0_4arch9wavefront6targetE0EEEvT1_.has_dyn_sized_stack, 0
	.set _ZN7rocprim17ROCPRIM_400000_NS6detail17trampoline_kernelINS0_14default_configENS1_25transform_config_selectorIlLb0EEEZNS1_14transform_implILb0ES3_S5_NS0_18transform_iteratorINS0_17counting_iteratorImlEEZNS1_24adjacent_difference_implIS3_Lb1ELb0EPlSB_ZN2at6native12_GLOBAL__N_124unique_dim_cuda_templateIhEESt5tupleIJNSC_6TensorESH_SH_EERKSH_lbbbEUlllE1_EE10hipError_tPvRmT2_T3_mT4_P12ihipStream_tbEUlmE_lEESB_NS0_8identityIvEEEESM_SP_SQ_mSR_ST_bEUlT_E_NS1_11comp_targetILNS1_3genE4ELNS1_11target_archE910ELNS1_3gpuE8ELNS1_3repE0EEENS1_30default_config_static_selectorELNS0_4arch9wavefront6targetE0EEEvT1_.has_recursion, 0
	.set _ZN7rocprim17ROCPRIM_400000_NS6detail17trampoline_kernelINS0_14default_configENS1_25transform_config_selectorIlLb0EEEZNS1_14transform_implILb0ES3_S5_NS0_18transform_iteratorINS0_17counting_iteratorImlEEZNS1_24adjacent_difference_implIS3_Lb1ELb0EPlSB_ZN2at6native12_GLOBAL__N_124unique_dim_cuda_templateIhEESt5tupleIJNSC_6TensorESH_SH_EERKSH_lbbbEUlllE1_EE10hipError_tPvRmT2_T3_mT4_P12ihipStream_tbEUlmE_lEESB_NS0_8identityIvEEEESM_SP_SQ_mSR_ST_bEUlT_E_NS1_11comp_targetILNS1_3genE4ELNS1_11target_archE910ELNS1_3gpuE8ELNS1_3repE0EEENS1_30default_config_static_selectorELNS0_4arch9wavefront6targetE0EEEvT1_.has_indirect_call, 0
	.section	.AMDGPU.csdata,"",@progbits
; Kernel info:
; codeLenInByte = 0
; TotalNumSgprs: 0
; NumVgprs: 0
; ScratchSize: 0
; MemoryBound: 0
; FloatMode: 240
; IeeeMode: 1
; LDSByteSize: 0 bytes/workgroup (compile time only)
; SGPRBlocks: 0
; VGPRBlocks: 0
; NumSGPRsForWavesPerEU: 1
; NumVGPRsForWavesPerEU: 1
; NamedBarCnt: 0
; Occupancy: 16
; WaveLimiterHint : 0
; COMPUTE_PGM_RSRC2:SCRATCH_EN: 0
; COMPUTE_PGM_RSRC2:USER_SGPR: 2
; COMPUTE_PGM_RSRC2:TRAP_HANDLER: 0
; COMPUTE_PGM_RSRC2:TGID_X_EN: 1
; COMPUTE_PGM_RSRC2:TGID_Y_EN: 0
; COMPUTE_PGM_RSRC2:TGID_Z_EN: 0
; COMPUTE_PGM_RSRC2:TIDIG_COMP_CNT: 0
	.section	.text._ZN7rocprim17ROCPRIM_400000_NS6detail17trampoline_kernelINS0_14default_configENS1_25transform_config_selectorIlLb0EEEZNS1_14transform_implILb0ES3_S5_NS0_18transform_iteratorINS0_17counting_iteratorImlEEZNS1_24adjacent_difference_implIS3_Lb1ELb0EPlSB_ZN2at6native12_GLOBAL__N_124unique_dim_cuda_templateIhEESt5tupleIJNSC_6TensorESH_SH_EERKSH_lbbbEUlllE1_EE10hipError_tPvRmT2_T3_mT4_P12ihipStream_tbEUlmE_lEESB_NS0_8identityIvEEEESM_SP_SQ_mSR_ST_bEUlT_E_NS1_11comp_targetILNS1_3genE3ELNS1_11target_archE908ELNS1_3gpuE7ELNS1_3repE0EEENS1_30default_config_static_selectorELNS0_4arch9wavefront6targetE0EEEvT1_,"axG",@progbits,_ZN7rocprim17ROCPRIM_400000_NS6detail17trampoline_kernelINS0_14default_configENS1_25transform_config_selectorIlLb0EEEZNS1_14transform_implILb0ES3_S5_NS0_18transform_iteratorINS0_17counting_iteratorImlEEZNS1_24adjacent_difference_implIS3_Lb1ELb0EPlSB_ZN2at6native12_GLOBAL__N_124unique_dim_cuda_templateIhEESt5tupleIJNSC_6TensorESH_SH_EERKSH_lbbbEUlllE1_EE10hipError_tPvRmT2_T3_mT4_P12ihipStream_tbEUlmE_lEESB_NS0_8identityIvEEEESM_SP_SQ_mSR_ST_bEUlT_E_NS1_11comp_targetILNS1_3genE3ELNS1_11target_archE908ELNS1_3gpuE7ELNS1_3repE0EEENS1_30default_config_static_selectorELNS0_4arch9wavefront6targetE0EEEvT1_,comdat
	.globl	_ZN7rocprim17ROCPRIM_400000_NS6detail17trampoline_kernelINS0_14default_configENS1_25transform_config_selectorIlLb0EEEZNS1_14transform_implILb0ES3_S5_NS0_18transform_iteratorINS0_17counting_iteratorImlEEZNS1_24adjacent_difference_implIS3_Lb1ELb0EPlSB_ZN2at6native12_GLOBAL__N_124unique_dim_cuda_templateIhEESt5tupleIJNSC_6TensorESH_SH_EERKSH_lbbbEUlllE1_EE10hipError_tPvRmT2_T3_mT4_P12ihipStream_tbEUlmE_lEESB_NS0_8identityIvEEEESM_SP_SQ_mSR_ST_bEUlT_E_NS1_11comp_targetILNS1_3genE3ELNS1_11target_archE908ELNS1_3gpuE7ELNS1_3repE0EEENS1_30default_config_static_selectorELNS0_4arch9wavefront6targetE0EEEvT1_ ; -- Begin function _ZN7rocprim17ROCPRIM_400000_NS6detail17trampoline_kernelINS0_14default_configENS1_25transform_config_selectorIlLb0EEEZNS1_14transform_implILb0ES3_S5_NS0_18transform_iteratorINS0_17counting_iteratorImlEEZNS1_24adjacent_difference_implIS3_Lb1ELb0EPlSB_ZN2at6native12_GLOBAL__N_124unique_dim_cuda_templateIhEESt5tupleIJNSC_6TensorESH_SH_EERKSH_lbbbEUlllE1_EE10hipError_tPvRmT2_T3_mT4_P12ihipStream_tbEUlmE_lEESB_NS0_8identityIvEEEESM_SP_SQ_mSR_ST_bEUlT_E_NS1_11comp_targetILNS1_3genE3ELNS1_11target_archE908ELNS1_3gpuE7ELNS1_3repE0EEENS1_30default_config_static_selectorELNS0_4arch9wavefront6targetE0EEEvT1_
	.p2align	8
	.type	_ZN7rocprim17ROCPRIM_400000_NS6detail17trampoline_kernelINS0_14default_configENS1_25transform_config_selectorIlLb0EEEZNS1_14transform_implILb0ES3_S5_NS0_18transform_iteratorINS0_17counting_iteratorImlEEZNS1_24adjacent_difference_implIS3_Lb1ELb0EPlSB_ZN2at6native12_GLOBAL__N_124unique_dim_cuda_templateIhEESt5tupleIJNSC_6TensorESH_SH_EERKSH_lbbbEUlllE1_EE10hipError_tPvRmT2_T3_mT4_P12ihipStream_tbEUlmE_lEESB_NS0_8identityIvEEEESM_SP_SQ_mSR_ST_bEUlT_E_NS1_11comp_targetILNS1_3genE3ELNS1_11target_archE908ELNS1_3gpuE7ELNS1_3repE0EEENS1_30default_config_static_selectorELNS0_4arch9wavefront6targetE0EEEvT1_,@function
_ZN7rocprim17ROCPRIM_400000_NS6detail17trampoline_kernelINS0_14default_configENS1_25transform_config_selectorIlLb0EEEZNS1_14transform_implILb0ES3_S5_NS0_18transform_iteratorINS0_17counting_iteratorImlEEZNS1_24adjacent_difference_implIS3_Lb1ELb0EPlSB_ZN2at6native12_GLOBAL__N_124unique_dim_cuda_templateIhEESt5tupleIJNSC_6TensorESH_SH_EERKSH_lbbbEUlllE1_EE10hipError_tPvRmT2_T3_mT4_P12ihipStream_tbEUlmE_lEESB_NS0_8identityIvEEEESM_SP_SQ_mSR_ST_bEUlT_E_NS1_11comp_targetILNS1_3genE3ELNS1_11target_archE908ELNS1_3gpuE7ELNS1_3repE0EEENS1_30default_config_static_selectorELNS0_4arch9wavefront6targetE0EEEvT1_: ; @_ZN7rocprim17ROCPRIM_400000_NS6detail17trampoline_kernelINS0_14default_configENS1_25transform_config_selectorIlLb0EEEZNS1_14transform_implILb0ES3_S5_NS0_18transform_iteratorINS0_17counting_iteratorImlEEZNS1_24adjacent_difference_implIS3_Lb1ELb0EPlSB_ZN2at6native12_GLOBAL__N_124unique_dim_cuda_templateIhEESt5tupleIJNSC_6TensorESH_SH_EERKSH_lbbbEUlllE1_EE10hipError_tPvRmT2_T3_mT4_P12ihipStream_tbEUlmE_lEESB_NS0_8identityIvEEEESM_SP_SQ_mSR_ST_bEUlT_E_NS1_11comp_targetILNS1_3genE3ELNS1_11target_archE908ELNS1_3gpuE7ELNS1_3repE0EEENS1_30default_config_static_selectorELNS0_4arch9wavefront6targetE0EEEvT1_
; %bb.0:
	.section	.rodata,"a",@progbits
	.p2align	6, 0x0
	.amdhsa_kernel _ZN7rocprim17ROCPRIM_400000_NS6detail17trampoline_kernelINS0_14default_configENS1_25transform_config_selectorIlLb0EEEZNS1_14transform_implILb0ES3_S5_NS0_18transform_iteratorINS0_17counting_iteratorImlEEZNS1_24adjacent_difference_implIS3_Lb1ELb0EPlSB_ZN2at6native12_GLOBAL__N_124unique_dim_cuda_templateIhEESt5tupleIJNSC_6TensorESH_SH_EERKSH_lbbbEUlllE1_EE10hipError_tPvRmT2_T3_mT4_P12ihipStream_tbEUlmE_lEESB_NS0_8identityIvEEEESM_SP_SQ_mSR_ST_bEUlT_E_NS1_11comp_targetILNS1_3genE3ELNS1_11target_archE908ELNS1_3gpuE7ELNS1_3repE0EEENS1_30default_config_static_selectorELNS0_4arch9wavefront6targetE0EEEvT1_
		.amdhsa_group_segment_fixed_size 0
		.amdhsa_private_segment_fixed_size 0
		.amdhsa_kernarg_size 56
		.amdhsa_user_sgpr_count 2
		.amdhsa_user_sgpr_dispatch_ptr 0
		.amdhsa_user_sgpr_queue_ptr 0
		.amdhsa_user_sgpr_kernarg_segment_ptr 1
		.amdhsa_user_sgpr_dispatch_id 0
		.amdhsa_user_sgpr_kernarg_preload_length 0
		.amdhsa_user_sgpr_kernarg_preload_offset 0
		.amdhsa_user_sgpr_private_segment_size 0
		.amdhsa_wavefront_size32 1
		.amdhsa_uses_dynamic_stack 0
		.amdhsa_enable_private_segment 0
		.amdhsa_system_sgpr_workgroup_id_x 1
		.amdhsa_system_sgpr_workgroup_id_y 0
		.amdhsa_system_sgpr_workgroup_id_z 0
		.amdhsa_system_sgpr_workgroup_info 0
		.amdhsa_system_vgpr_workitem_id 0
		.amdhsa_next_free_vgpr 1
		.amdhsa_next_free_sgpr 1
		.amdhsa_named_barrier_count 0
		.amdhsa_reserve_vcc 0
		.amdhsa_float_round_mode_32 0
		.amdhsa_float_round_mode_16_64 0
		.amdhsa_float_denorm_mode_32 3
		.amdhsa_float_denorm_mode_16_64 3
		.amdhsa_fp16_overflow 0
		.amdhsa_memory_ordered 1
		.amdhsa_forward_progress 1
		.amdhsa_inst_pref_size 0
		.amdhsa_round_robin_scheduling 0
		.amdhsa_exception_fp_ieee_invalid_op 0
		.amdhsa_exception_fp_denorm_src 0
		.amdhsa_exception_fp_ieee_div_zero 0
		.amdhsa_exception_fp_ieee_overflow 0
		.amdhsa_exception_fp_ieee_underflow 0
		.amdhsa_exception_fp_ieee_inexact 0
		.amdhsa_exception_int_div_zero 0
	.end_amdhsa_kernel
	.section	.text._ZN7rocprim17ROCPRIM_400000_NS6detail17trampoline_kernelINS0_14default_configENS1_25transform_config_selectorIlLb0EEEZNS1_14transform_implILb0ES3_S5_NS0_18transform_iteratorINS0_17counting_iteratorImlEEZNS1_24adjacent_difference_implIS3_Lb1ELb0EPlSB_ZN2at6native12_GLOBAL__N_124unique_dim_cuda_templateIhEESt5tupleIJNSC_6TensorESH_SH_EERKSH_lbbbEUlllE1_EE10hipError_tPvRmT2_T3_mT4_P12ihipStream_tbEUlmE_lEESB_NS0_8identityIvEEEESM_SP_SQ_mSR_ST_bEUlT_E_NS1_11comp_targetILNS1_3genE3ELNS1_11target_archE908ELNS1_3gpuE7ELNS1_3repE0EEENS1_30default_config_static_selectorELNS0_4arch9wavefront6targetE0EEEvT1_,"axG",@progbits,_ZN7rocprim17ROCPRIM_400000_NS6detail17trampoline_kernelINS0_14default_configENS1_25transform_config_selectorIlLb0EEEZNS1_14transform_implILb0ES3_S5_NS0_18transform_iteratorINS0_17counting_iteratorImlEEZNS1_24adjacent_difference_implIS3_Lb1ELb0EPlSB_ZN2at6native12_GLOBAL__N_124unique_dim_cuda_templateIhEESt5tupleIJNSC_6TensorESH_SH_EERKSH_lbbbEUlllE1_EE10hipError_tPvRmT2_T3_mT4_P12ihipStream_tbEUlmE_lEESB_NS0_8identityIvEEEESM_SP_SQ_mSR_ST_bEUlT_E_NS1_11comp_targetILNS1_3genE3ELNS1_11target_archE908ELNS1_3gpuE7ELNS1_3repE0EEENS1_30default_config_static_selectorELNS0_4arch9wavefront6targetE0EEEvT1_,comdat
.Lfunc_end69:
	.size	_ZN7rocprim17ROCPRIM_400000_NS6detail17trampoline_kernelINS0_14default_configENS1_25transform_config_selectorIlLb0EEEZNS1_14transform_implILb0ES3_S5_NS0_18transform_iteratorINS0_17counting_iteratorImlEEZNS1_24adjacent_difference_implIS3_Lb1ELb0EPlSB_ZN2at6native12_GLOBAL__N_124unique_dim_cuda_templateIhEESt5tupleIJNSC_6TensorESH_SH_EERKSH_lbbbEUlllE1_EE10hipError_tPvRmT2_T3_mT4_P12ihipStream_tbEUlmE_lEESB_NS0_8identityIvEEEESM_SP_SQ_mSR_ST_bEUlT_E_NS1_11comp_targetILNS1_3genE3ELNS1_11target_archE908ELNS1_3gpuE7ELNS1_3repE0EEENS1_30default_config_static_selectorELNS0_4arch9wavefront6targetE0EEEvT1_, .Lfunc_end69-_ZN7rocprim17ROCPRIM_400000_NS6detail17trampoline_kernelINS0_14default_configENS1_25transform_config_selectorIlLb0EEEZNS1_14transform_implILb0ES3_S5_NS0_18transform_iteratorINS0_17counting_iteratorImlEEZNS1_24adjacent_difference_implIS3_Lb1ELb0EPlSB_ZN2at6native12_GLOBAL__N_124unique_dim_cuda_templateIhEESt5tupleIJNSC_6TensorESH_SH_EERKSH_lbbbEUlllE1_EE10hipError_tPvRmT2_T3_mT4_P12ihipStream_tbEUlmE_lEESB_NS0_8identityIvEEEESM_SP_SQ_mSR_ST_bEUlT_E_NS1_11comp_targetILNS1_3genE3ELNS1_11target_archE908ELNS1_3gpuE7ELNS1_3repE0EEENS1_30default_config_static_selectorELNS0_4arch9wavefront6targetE0EEEvT1_
                                        ; -- End function
	.set _ZN7rocprim17ROCPRIM_400000_NS6detail17trampoline_kernelINS0_14default_configENS1_25transform_config_selectorIlLb0EEEZNS1_14transform_implILb0ES3_S5_NS0_18transform_iteratorINS0_17counting_iteratorImlEEZNS1_24adjacent_difference_implIS3_Lb1ELb0EPlSB_ZN2at6native12_GLOBAL__N_124unique_dim_cuda_templateIhEESt5tupleIJNSC_6TensorESH_SH_EERKSH_lbbbEUlllE1_EE10hipError_tPvRmT2_T3_mT4_P12ihipStream_tbEUlmE_lEESB_NS0_8identityIvEEEESM_SP_SQ_mSR_ST_bEUlT_E_NS1_11comp_targetILNS1_3genE3ELNS1_11target_archE908ELNS1_3gpuE7ELNS1_3repE0EEENS1_30default_config_static_selectorELNS0_4arch9wavefront6targetE0EEEvT1_.num_vgpr, 0
	.set _ZN7rocprim17ROCPRIM_400000_NS6detail17trampoline_kernelINS0_14default_configENS1_25transform_config_selectorIlLb0EEEZNS1_14transform_implILb0ES3_S5_NS0_18transform_iteratorINS0_17counting_iteratorImlEEZNS1_24adjacent_difference_implIS3_Lb1ELb0EPlSB_ZN2at6native12_GLOBAL__N_124unique_dim_cuda_templateIhEESt5tupleIJNSC_6TensorESH_SH_EERKSH_lbbbEUlllE1_EE10hipError_tPvRmT2_T3_mT4_P12ihipStream_tbEUlmE_lEESB_NS0_8identityIvEEEESM_SP_SQ_mSR_ST_bEUlT_E_NS1_11comp_targetILNS1_3genE3ELNS1_11target_archE908ELNS1_3gpuE7ELNS1_3repE0EEENS1_30default_config_static_selectorELNS0_4arch9wavefront6targetE0EEEvT1_.num_agpr, 0
	.set _ZN7rocprim17ROCPRIM_400000_NS6detail17trampoline_kernelINS0_14default_configENS1_25transform_config_selectorIlLb0EEEZNS1_14transform_implILb0ES3_S5_NS0_18transform_iteratorINS0_17counting_iteratorImlEEZNS1_24adjacent_difference_implIS3_Lb1ELb0EPlSB_ZN2at6native12_GLOBAL__N_124unique_dim_cuda_templateIhEESt5tupleIJNSC_6TensorESH_SH_EERKSH_lbbbEUlllE1_EE10hipError_tPvRmT2_T3_mT4_P12ihipStream_tbEUlmE_lEESB_NS0_8identityIvEEEESM_SP_SQ_mSR_ST_bEUlT_E_NS1_11comp_targetILNS1_3genE3ELNS1_11target_archE908ELNS1_3gpuE7ELNS1_3repE0EEENS1_30default_config_static_selectorELNS0_4arch9wavefront6targetE0EEEvT1_.numbered_sgpr, 0
	.set _ZN7rocprim17ROCPRIM_400000_NS6detail17trampoline_kernelINS0_14default_configENS1_25transform_config_selectorIlLb0EEEZNS1_14transform_implILb0ES3_S5_NS0_18transform_iteratorINS0_17counting_iteratorImlEEZNS1_24adjacent_difference_implIS3_Lb1ELb0EPlSB_ZN2at6native12_GLOBAL__N_124unique_dim_cuda_templateIhEESt5tupleIJNSC_6TensorESH_SH_EERKSH_lbbbEUlllE1_EE10hipError_tPvRmT2_T3_mT4_P12ihipStream_tbEUlmE_lEESB_NS0_8identityIvEEEESM_SP_SQ_mSR_ST_bEUlT_E_NS1_11comp_targetILNS1_3genE3ELNS1_11target_archE908ELNS1_3gpuE7ELNS1_3repE0EEENS1_30default_config_static_selectorELNS0_4arch9wavefront6targetE0EEEvT1_.num_named_barrier, 0
	.set _ZN7rocprim17ROCPRIM_400000_NS6detail17trampoline_kernelINS0_14default_configENS1_25transform_config_selectorIlLb0EEEZNS1_14transform_implILb0ES3_S5_NS0_18transform_iteratorINS0_17counting_iteratorImlEEZNS1_24adjacent_difference_implIS3_Lb1ELb0EPlSB_ZN2at6native12_GLOBAL__N_124unique_dim_cuda_templateIhEESt5tupleIJNSC_6TensorESH_SH_EERKSH_lbbbEUlllE1_EE10hipError_tPvRmT2_T3_mT4_P12ihipStream_tbEUlmE_lEESB_NS0_8identityIvEEEESM_SP_SQ_mSR_ST_bEUlT_E_NS1_11comp_targetILNS1_3genE3ELNS1_11target_archE908ELNS1_3gpuE7ELNS1_3repE0EEENS1_30default_config_static_selectorELNS0_4arch9wavefront6targetE0EEEvT1_.private_seg_size, 0
	.set _ZN7rocprim17ROCPRIM_400000_NS6detail17trampoline_kernelINS0_14default_configENS1_25transform_config_selectorIlLb0EEEZNS1_14transform_implILb0ES3_S5_NS0_18transform_iteratorINS0_17counting_iteratorImlEEZNS1_24adjacent_difference_implIS3_Lb1ELb0EPlSB_ZN2at6native12_GLOBAL__N_124unique_dim_cuda_templateIhEESt5tupleIJNSC_6TensorESH_SH_EERKSH_lbbbEUlllE1_EE10hipError_tPvRmT2_T3_mT4_P12ihipStream_tbEUlmE_lEESB_NS0_8identityIvEEEESM_SP_SQ_mSR_ST_bEUlT_E_NS1_11comp_targetILNS1_3genE3ELNS1_11target_archE908ELNS1_3gpuE7ELNS1_3repE0EEENS1_30default_config_static_selectorELNS0_4arch9wavefront6targetE0EEEvT1_.uses_vcc, 0
	.set _ZN7rocprim17ROCPRIM_400000_NS6detail17trampoline_kernelINS0_14default_configENS1_25transform_config_selectorIlLb0EEEZNS1_14transform_implILb0ES3_S5_NS0_18transform_iteratorINS0_17counting_iteratorImlEEZNS1_24adjacent_difference_implIS3_Lb1ELb0EPlSB_ZN2at6native12_GLOBAL__N_124unique_dim_cuda_templateIhEESt5tupleIJNSC_6TensorESH_SH_EERKSH_lbbbEUlllE1_EE10hipError_tPvRmT2_T3_mT4_P12ihipStream_tbEUlmE_lEESB_NS0_8identityIvEEEESM_SP_SQ_mSR_ST_bEUlT_E_NS1_11comp_targetILNS1_3genE3ELNS1_11target_archE908ELNS1_3gpuE7ELNS1_3repE0EEENS1_30default_config_static_selectorELNS0_4arch9wavefront6targetE0EEEvT1_.uses_flat_scratch, 0
	.set _ZN7rocprim17ROCPRIM_400000_NS6detail17trampoline_kernelINS0_14default_configENS1_25transform_config_selectorIlLb0EEEZNS1_14transform_implILb0ES3_S5_NS0_18transform_iteratorINS0_17counting_iteratorImlEEZNS1_24adjacent_difference_implIS3_Lb1ELb0EPlSB_ZN2at6native12_GLOBAL__N_124unique_dim_cuda_templateIhEESt5tupleIJNSC_6TensorESH_SH_EERKSH_lbbbEUlllE1_EE10hipError_tPvRmT2_T3_mT4_P12ihipStream_tbEUlmE_lEESB_NS0_8identityIvEEEESM_SP_SQ_mSR_ST_bEUlT_E_NS1_11comp_targetILNS1_3genE3ELNS1_11target_archE908ELNS1_3gpuE7ELNS1_3repE0EEENS1_30default_config_static_selectorELNS0_4arch9wavefront6targetE0EEEvT1_.has_dyn_sized_stack, 0
	.set _ZN7rocprim17ROCPRIM_400000_NS6detail17trampoline_kernelINS0_14default_configENS1_25transform_config_selectorIlLb0EEEZNS1_14transform_implILb0ES3_S5_NS0_18transform_iteratorINS0_17counting_iteratorImlEEZNS1_24adjacent_difference_implIS3_Lb1ELb0EPlSB_ZN2at6native12_GLOBAL__N_124unique_dim_cuda_templateIhEESt5tupleIJNSC_6TensorESH_SH_EERKSH_lbbbEUlllE1_EE10hipError_tPvRmT2_T3_mT4_P12ihipStream_tbEUlmE_lEESB_NS0_8identityIvEEEESM_SP_SQ_mSR_ST_bEUlT_E_NS1_11comp_targetILNS1_3genE3ELNS1_11target_archE908ELNS1_3gpuE7ELNS1_3repE0EEENS1_30default_config_static_selectorELNS0_4arch9wavefront6targetE0EEEvT1_.has_recursion, 0
	.set _ZN7rocprim17ROCPRIM_400000_NS6detail17trampoline_kernelINS0_14default_configENS1_25transform_config_selectorIlLb0EEEZNS1_14transform_implILb0ES3_S5_NS0_18transform_iteratorINS0_17counting_iteratorImlEEZNS1_24adjacent_difference_implIS3_Lb1ELb0EPlSB_ZN2at6native12_GLOBAL__N_124unique_dim_cuda_templateIhEESt5tupleIJNSC_6TensorESH_SH_EERKSH_lbbbEUlllE1_EE10hipError_tPvRmT2_T3_mT4_P12ihipStream_tbEUlmE_lEESB_NS0_8identityIvEEEESM_SP_SQ_mSR_ST_bEUlT_E_NS1_11comp_targetILNS1_3genE3ELNS1_11target_archE908ELNS1_3gpuE7ELNS1_3repE0EEENS1_30default_config_static_selectorELNS0_4arch9wavefront6targetE0EEEvT1_.has_indirect_call, 0
	.section	.AMDGPU.csdata,"",@progbits
; Kernel info:
; codeLenInByte = 0
; TotalNumSgprs: 0
; NumVgprs: 0
; ScratchSize: 0
; MemoryBound: 0
; FloatMode: 240
; IeeeMode: 1
; LDSByteSize: 0 bytes/workgroup (compile time only)
; SGPRBlocks: 0
; VGPRBlocks: 0
; NumSGPRsForWavesPerEU: 1
; NumVGPRsForWavesPerEU: 1
; NamedBarCnt: 0
; Occupancy: 16
; WaveLimiterHint : 0
; COMPUTE_PGM_RSRC2:SCRATCH_EN: 0
; COMPUTE_PGM_RSRC2:USER_SGPR: 2
; COMPUTE_PGM_RSRC2:TRAP_HANDLER: 0
; COMPUTE_PGM_RSRC2:TGID_X_EN: 1
; COMPUTE_PGM_RSRC2:TGID_Y_EN: 0
; COMPUTE_PGM_RSRC2:TGID_Z_EN: 0
; COMPUTE_PGM_RSRC2:TIDIG_COMP_CNT: 0
	.section	.text._ZN7rocprim17ROCPRIM_400000_NS6detail17trampoline_kernelINS0_14default_configENS1_25transform_config_selectorIlLb0EEEZNS1_14transform_implILb0ES3_S5_NS0_18transform_iteratorINS0_17counting_iteratorImlEEZNS1_24adjacent_difference_implIS3_Lb1ELb0EPlSB_ZN2at6native12_GLOBAL__N_124unique_dim_cuda_templateIhEESt5tupleIJNSC_6TensorESH_SH_EERKSH_lbbbEUlllE1_EE10hipError_tPvRmT2_T3_mT4_P12ihipStream_tbEUlmE_lEESB_NS0_8identityIvEEEESM_SP_SQ_mSR_ST_bEUlT_E_NS1_11comp_targetILNS1_3genE2ELNS1_11target_archE906ELNS1_3gpuE6ELNS1_3repE0EEENS1_30default_config_static_selectorELNS0_4arch9wavefront6targetE0EEEvT1_,"axG",@progbits,_ZN7rocprim17ROCPRIM_400000_NS6detail17trampoline_kernelINS0_14default_configENS1_25transform_config_selectorIlLb0EEEZNS1_14transform_implILb0ES3_S5_NS0_18transform_iteratorINS0_17counting_iteratorImlEEZNS1_24adjacent_difference_implIS3_Lb1ELb0EPlSB_ZN2at6native12_GLOBAL__N_124unique_dim_cuda_templateIhEESt5tupleIJNSC_6TensorESH_SH_EERKSH_lbbbEUlllE1_EE10hipError_tPvRmT2_T3_mT4_P12ihipStream_tbEUlmE_lEESB_NS0_8identityIvEEEESM_SP_SQ_mSR_ST_bEUlT_E_NS1_11comp_targetILNS1_3genE2ELNS1_11target_archE906ELNS1_3gpuE6ELNS1_3repE0EEENS1_30default_config_static_selectorELNS0_4arch9wavefront6targetE0EEEvT1_,comdat
	.globl	_ZN7rocprim17ROCPRIM_400000_NS6detail17trampoline_kernelINS0_14default_configENS1_25transform_config_selectorIlLb0EEEZNS1_14transform_implILb0ES3_S5_NS0_18transform_iteratorINS0_17counting_iteratorImlEEZNS1_24adjacent_difference_implIS3_Lb1ELb0EPlSB_ZN2at6native12_GLOBAL__N_124unique_dim_cuda_templateIhEESt5tupleIJNSC_6TensorESH_SH_EERKSH_lbbbEUlllE1_EE10hipError_tPvRmT2_T3_mT4_P12ihipStream_tbEUlmE_lEESB_NS0_8identityIvEEEESM_SP_SQ_mSR_ST_bEUlT_E_NS1_11comp_targetILNS1_3genE2ELNS1_11target_archE906ELNS1_3gpuE6ELNS1_3repE0EEENS1_30default_config_static_selectorELNS0_4arch9wavefront6targetE0EEEvT1_ ; -- Begin function _ZN7rocprim17ROCPRIM_400000_NS6detail17trampoline_kernelINS0_14default_configENS1_25transform_config_selectorIlLb0EEEZNS1_14transform_implILb0ES3_S5_NS0_18transform_iteratorINS0_17counting_iteratorImlEEZNS1_24adjacent_difference_implIS3_Lb1ELb0EPlSB_ZN2at6native12_GLOBAL__N_124unique_dim_cuda_templateIhEESt5tupleIJNSC_6TensorESH_SH_EERKSH_lbbbEUlllE1_EE10hipError_tPvRmT2_T3_mT4_P12ihipStream_tbEUlmE_lEESB_NS0_8identityIvEEEESM_SP_SQ_mSR_ST_bEUlT_E_NS1_11comp_targetILNS1_3genE2ELNS1_11target_archE906ELNS1_3gpuE6ELNS1_3repE0EEENS1_30default_config_static_selectorELNS0_4arch9wavefront6targetE0EEEvT1_
	.p2align	8
	.type	_ZN7rocprim17ROCPRIM_400000_NS6detail17trampoline_kernelINS0_14default_configENS1_25transform_config_selectorIlLb0EEEZNS1_14transform_implILb0ES3_S5_NS0_18transform_iteratorINS0_17counting_iteratorImlEEZNS1_24adjacent_difference_implIS3_Lb1ELb0EPlSB_ZN2at6native12_GLOBAL__N_124unique_dim_cuda_templateIhEESt5tupleIJNSC_6TensorESH_SH_EERKSH_lbbbEUlllE1_EE10hipError_tPvRmT2_T3_mT4_P12ihipStream_tbEUlmE_lEESB_NS0_8identityIvEEEESM_SP_SQ_mSR_ST_bEUlT_E_NS1_11comp_targetILNS1_3genE2ELNS1_11target_archE906ELNS1_3gpuE6ELNS1_3repE0EEENS1_30default_config_static_selectorELNS0_4arch9wavefront6targetE0EEEvT1_,@function
_ZN7rocprim17ROCPRIM_400000_NS6detail17trampoline_kernelINS0_14default_configENS1_25transform_config_selectorIlLb0EEEZNS1_14transform_implILb0ES3_S5_NS0_18transform_iteratorINS0_17counting_iteratorImlEEZNS1_24adjacent_difference_implIS3_Lb1ELb0EPlSB_ZN2at6native12_GLOBAL__N_124unique_dim_cuda_templateIhEESt5tupleIJNSC_6TensorESH_SH_EERKSH_lbbbEUlllE1_EE10hipError_tPvRmT2_T3_mT4_P12ihipStream_tbEUlmE_lEESB_NS0_8identityIvEEEESM_SP_SQ_mSR_ST_bEUlT_E_NS1_11comp_targetILNS1_3genE2ELNS1_11target_archE906ELNS1_3gpuE6ELNS1_3repE0EEENS1_30default_config_static_selectorELNS0_4arch9wavefront6targetE0EEEvT1_: ; @_ZN7rocprim17ROCPRIM_400000_NS6detail17trampoline_kernelINS0_14default_configENS1_25transform_config_selectorIlLb0EEEZNS1_14transform_implILb0ES3_S5_NS0_18transform_iteratorINS0_17counting_iteratorImlEEZNS1_24adjacent_difference_implIS3_Lb1ELb0EPlSB_ZN2at6native12_GLOBAL__N_124unique_dim_cuda_templateIhEESt5tupleIJNSC_6TensorESH_SH_EERKSH_lbbbEUlllE1_EE10hipError_tPvRmT2_T3_mT4_P12ihipStream_tbEUlmE_lEESB_NS0_8identityIvEEEESM_SP_SQ_mSR_ST_bEUlT_E_NS1_11comp_targetILNS1_3genE2ELNS1_11target_archE906ELNS1_3gpuE6ELNS1_3repE0EEENS1_30default_config_static_selectorELNS0_4arch9wavefront6targetE0EEEvT1_
; %bb.0:
	.section	.rodata,"a",@progbits
	.p2align	6, 0x0
	.amdhsa_kernel _ZN7rocprim17ROCPRIM_400000_NS6detail17trampoline_kernelINS0_14default_configENS1_25transform_config_selectorIlLb0EEEZNS1_14transform_implILb0ES3_S5_NS0_18transform_iteratorINS0_17counting_iteratorImlEEZNS1_24adjacent_difference_implIS3_Lb1ELb0EPlSB_ZN2at6native12_GLOBAL__N_124unique_dim_cuda_templateIhEESt5tupleIJNSC_6TensorESH_SH_EERKSH_lbbbEUlllE1_EE10hipError_tPvRmT2_T3_mT4_P12ihipStream_tbEUlmE_lEESB_NS0_8identityIvEEEESM_SP_SQ_mSR_ST_bEUlT_E_NS1_11comp_targetILNS1_3genE2ELNS1_11target_archE906ELNS1_3gpuE6ELNS1_3repE0EEENS1_30default_config_static_selectorELNS0_4arch9wavefront6targetE0EEEvT1_
		.amdhsa_group_segment_fixed_size 0
		.amdhsa_private_segment_fixed_size 0
		.amdhsa_kernarg_size 56
		.amdhsa_user_sgpr_count 2
		.amdhsa_user_sgpr_dispatch_ptr 0
		.amdhsa_user_sgpr_queue_ptr 0
		.amdhsa_user_sgpr_kernarg_segment_ptr 1
		.amdhsa_user_sgpr_dispatch_id 0
		.amdhsa_user_sgpr_kernarg_preload_length 0
		.amdhsa_user_sgpr_kernarg_preload_offset 0
		.amdhsa_user_sgpr_private_segment_size 0
		.amdhsa_wavefront_size32 1
		.amdhsa_uses_dynamic_stack 0
		.amdhsa_enable_private_segment 0
		.amdhsa_system_sgpr_workgroup_id_x 1
		.amdhsa_system_sgpr_workgroup_id_y 0
		.amdhsa_system_sgpr_workgroup_id_z 0
		.amdhsa_system_sgpr_workgroup_info 0
		.amdhsa_system_vgpr_workitem_id 0
		.amdhsa_next_free_vgpr 1
		.amdhsa_next_free_sgpr 1
		.amdhsa_named_barrier_count 0
		.amdhsa_reserve_vcc 0
		.amdhsa_float_round_mode_32 0
		.amdhsa_float_round_mode_16_64 0
		.amdhsa_float_denorm_mode_32 3
		.amdhsa_float_denorm_mode_16_64 3
		.amdhsa_fp16_overflow 0
		.amdhsa_memory_ordered 1
		.amdhsa_forward_progress 1
		.amdhsa_inst_pref_size 0
		.amdhsa_round_robin_scheduling 0
		.amdhsa_exception_fp_ieee_invalid_op 0
		.amdhsa_exception_fp_denorm_src 0
		.amdhsa_exception_fp_ieee_div_zero 0
		.amdhsa_exception_fp_ieee_overflow 0
		.amdhsa_exception_fp_ieee_underflow 0
		.amdhsa_exception_fp_ieee_inexact 0
		.amdhsa_exception_int_div_zero 0
	.end_amdhsa_kernel
	.section	.text._ZN7rocprim17ROCPRIM_400000_NS6detail17trampoline_kernelINS0_14default_configENS1_25transform_config_selectorIlLb0EEEZNS1_14transform_implILb0ES3_S5_NS0_18transform_iteratorINS0_17counting_iteratorImlEEZNS1_24adjacent_difference_implIS3_Lb1ELb0EPlSB_ZN2at6native12_GLOBAL__N_124unique_dim_cuda_templateIhEESt5tupleIJNSC_6TensorESH_SH_EERKSH_lbbbEUlllE1_EE10hipError_tPvRmT2_T3_mT4_P12ihipStream_tbEUlmE_lEESB_NS0_8identityIvEEEESM_SP_SQ_mSR_ST_bEUlT_E_NS1_11comp_targetILNS1_3genE2ELNS1_11target_archE906ELNS1_3gpuE6ELNS1_3repE0EEENS1_30default_config_static_selectorELNS0_4arch9wavefront6targetE0EEEvT1_,"axG",@progbits,_ZN7rocprim17ROCPRIM_400000_NS6detail17trampoline_kernelINS0_14default_configENS1_25transform_config_selectorIlLb0EEEZNS1_14transform_implILb0ES3_S5_NS0_18transform_iteratorINS0_17counting_iteratorImlEEZNS1_24adjacent_difference_implIS3_Lb1ELb0EPlSB_ZN2at6native12_GLOBAL__N_124unique_dim_cuda_templateIhEESt5tupleIJNSC_6TensorESH_SH_EERKSH_lbbbEUlllE1_EE10hipError_tPvRmT2_T3_mT4_P12ihipStream_tbEUlmE_lEESB_NS0_8identityIvEEEESM_SP_SQ_mSR_ST_bEUlT_E_NS1_11comp_targetILNS1_3genE2ELNS1_11target_archE906ELNS1_3gpuE6ELNS1_3repE0EEENS1_30default_config_static_selectorELNS0_4arch9wavefront6targetE0EEEvT1_,comdat
.Lfunc_end70:
	.size	_ZN7rocprim17ROCPRIM_400000_NS6detail17trampoline_kernelINS0_14default_configENS1_25transform_config_selectorIlLb0EEEZNS1_14transform_implILb0ES3_S5_NS0_18transform_iteratorINS0_17counting_iteratorImlEEZNS1_24adjacent_difference_implIS3_Lb1ELb0EPlSB_ZN2at6native12_GLOBAL__N_124unique_dim_cuda_templateIhEESt5tupleIJNSC_6TensorESH_SH_EERKSH_lbbbEUlllE1_EE10hipError_tPvRmT2_T3_mT4_P12ihipStream_tbEUlmE_lEESB_NS0_8identityIvEEEESM_SP_SQ_mSR_ST_bEUlT_E_NS1_11comp_targetILNS1_3genE2ELNS1_11target_archE906ELNS1_3gpuE6ELNS1_3repE0EEENS1_30default_config_static_selectorELNS0_4arch9wavefront6targetE0EEEvT1_, .Lfunc_end70-_ZN7rocprim17ROCPRIM_400000_NS6detail17trampoline_kernelINS0_14default_configENS1_25transform_config_selectorIlLb0EEEZNS1_14transform_implILb0ES3_S5_NS0_18transform_iteratorINS0_17counting_iteratorImlEEZNS1_24adjacent_difference_implIS3_Lb1ELb0EPlSB_ZN2at6native12_GLOBAL__N_124unique_dim_cuda_templateIhEESt5tupleIJNSC_6TensorESH_SH_EERKSH_lbbbEUlllE1_EE10hipError_tPvRmT2_T3_mT4_P12ihipStream_tbEUlmE_lEESB_NS0_8identityIvEEEESM_SP_SQ_mSR_ST_bEUlT_E_NS1_11comp_targetILNS1_3genE2ELNS1_11target_archE906ELNS1_3gpuE6ELNS1_3repE0EEENS1_30default_config_static_selectorELNS0_4arch9wavefront6targetE0EEEvT1_
                                        ; -- End function
	.set _ZN7rocprim17ROCPRIM_400000_NS6detail17trampoline_kernelINS0_14default_configENS1_25transform_config_selectorIlLb0EEEZNS1_14transform_implILb0ES3_S5_NS0_18transform_iteratorINS0_17counting_iteratorImlEEZNS1_24adjacent_difference_implIS3_Lb1ELb0EPlSB_ZN2at6native12_GLOBAL__N_124unique_dim_cuda_templateIhEESt5tupleIJNSC_6TensorESH_SH_EERKSH_lbbbEUlllE1_EE10hipError_tPvRmT2_T3_mT4_P12ihipStream_tbEUlmE_lEESB_NS0_8identityIvEEEESM_SP_SQ_mSR_ST_bEUlT_E_NS1_11comp_targetILNS1_3genE2ELNS1_11target_archE906ELNS1_3gpuE6ELNS1_3repE0EEENS1_30default_config_static_selectorELNS0_4arch9wavefront6targetE0EEEvT1_.num_vgpr, 0
	.set _ZN7rocprim17ROCPRIM_400000_NS6detail17trampoline_kernelINS0_14default_configENS1_25transform_config_selectorIlLb0EEEZNS1_14transform_implILb0ES3_S5_NS0_18transform_iteratorINS0_17counting_iteratorImlEEZNS1_24adjacent_difference_implIS3_Lb1ELb0EPlSB_ZN2at6native12_GLOBAL__N_124unique_dim_cuda_templateIhEESt5tupleIJNSC_6TensorESH_SH_EERKSH_lbbbEUlllE1_EE10hipError_tPvRmT2_T3_mT4_P12ihipStream_tbEUlmE_lEESB_NS0_8identityIvEEEESM_SP_SQ_mSR_ST_bEUlT_E_NS1_11comp_targetILNS1_3genE2ELNS1_11target_archE906ELNS1_3gpuE6ELNS1_3repE0EEENS1_30default_config_static_selectorELNS0_4arch9wavefront6targetE0EEEvT1_.num_agpr, 0
	.set _ZN7rocprim17ROCPRIM_400000_NS6detail17trampoline_kernelINS0_14default_configENS1_25transform_config_selectorIlLb0EEEZNS1_14transform_implILb0ES3_S5_NS0_18transform_iteratorINS0_17counting_iteratorImlEEZNS1_24adjacent_difference_implIS3_Lb1ELb0EPlSB_ZN2at6native12_GLOBAL__N_124unique_dim_cuda_templateIhEESt5tupleIJNSC_6TensorESH_SH_EERKSH_lbbbEUlllE1_EE10hipError_tPvRmT2_T3_mT4_P12ihipStream_tbEUlmE_lEESB_NS0_8identityIvEEEESM_SP_SQ_mSR_ST_bEUlT_E_NS1_11comp_targetILNS1_3genE2ELNS1_11target_archE906ELNS1_3gpuE6ELNS1_3repE0EEENS1_30default_config_static_selectorELNS0_4arch9wavefront6targetE0EEEvT1_.numbered_sgpr, 0
	.set _ZN7rocprim17ROCPRIM_400000_NS6detail17trampoline_kernelINS0_14default_configENS1_25transform_config_selectorIlLb0EEEZNS1_14transform_implILb0ES3_S5_NS0_18transform_iteratorINS0_17counting_iteratorImlEEZNS1_24adjacent_difference_implIS3_Lb1ELb0EPlSB_ZN2at6native12_GLOBAL__N_124unique_dim_cuda_templateIhEESt5tupleIJNSC_6TensorESH_SH_EERKSH_lbbbEUlllE1_EE10hipError_tPvRmT2_T3_mT4_P12ihipStream_tbEUlmE_lEESB_NS0_8identityIvEEEESM_SP_SQ_mSR_ST_bEUlT_E_NS1_11comp_targetILNS1_3genE2ELNS1_11target_archE906ELNS1_3gpuE6ELNS1_3repE0EEENS1_30default_config_static_selectorELNS0_4arch9wavefront6targetE0EEEvT1_.num_named_barrier, 0
	.set _ZN7rocprim17ROCPRIM_400000_NS6detail17trampoline_kernelINS0_14default_configENS1_25transform_config_selectorIlLb0EEEZNS1_14transform_implILb0ES3_S5_NS0_18transform_iteratorINS0_17counting_iteratorImlEEZNS1_24adjacent_difference_implIS3_Lb1ELb0EPlSB_ZN2at6native12_GLOBAL__N_124unique_dim_cuda_templateIhEESt5tupleIJNSC_6TensorESH_SH_EERKSH_lbbbEUlllE1_EE10hipError_tPvRmT2_T3_mT4_P12ihipStream_tbEUlmE_lEESB_NS0_8identityIvEEEESM_SP_SQ_mSR_ST_bEUlT_E_NS1_11comp_targetILNS1_3genE2ELNS1_11target_archE906ELNS1_3gpuE6ELNS1_3repE0EEENS1_30default_config_static_selectorELNS0_4arch9wavefront6targetE0EEEvT1_.private_seg_size, 0
	.set _ZN7rocprim17ROCPRIM_400000_NS6detail17trampoline_kernelINS0_14default_configENS1_25transform_config_selectorIlLb0EEEZNS1_14transform_implILb0ES3_S5_NS0_18transform_iteratorINS0_17counting_iteratorImlEEZNS1_24adjacent_difference_implIS3_Lb1ELb0EPlSB_ZN2at6native12_GLOBAL__N_124unique_dim_cuda_templateIhEESt5tupleIJNSC_6TensorESH_SH_EERKSH_lbbbEUlllE1_EE10hipError_tPvRmT2_T3_mT4_P12ihipStream_tbEUlmE_lEESB_NS0_8identityIvEEEESM_SP_SQ_mSR_ST_bEUlT_E_NS1_11comp_targetILNS1_3genE2ELNS1_11target_archE906ELNS1_3gpuE6ELNS1_3repE0EEENS1_30default_config_static_selectorELNS0_4arch9wavefront6targetE0EEEvT1_.uses_vcc, 0
	.set _ZN7rocprim17ROCPRIM_400000_NS6detail17trampoline_kernelINS0_14default_configENS1_25transform_config_selectorIlLb0EEEZNS1_14transform_implILb0ES3_S5_NS0_18transform_iteratorINS0_17counting_iteratorImlEEZNS1_24adjacent_difference_implIS3_Lb1ELb0EPlSB_ZN2at6native12_GLOBAL__N_124unique_dim_cuda_templateIhEESt5tupleIJNSC_6TensorESH_SH_EERKSH_lbbbEUlllE1_EE10hipError_tPvRmT2_T3_mT4_P12ihipStream_tbEUlmE_lEESB_NS0_8identityIvEEEESM_SP_SQ_mSR_ST_bEUlT_E_NS1_11comp_targetILNS1_3genE2ELNS1_11target_archE906ELNS1_3gpuE6ELNS1_3repE0EEENS1_30default_config_static_selectorELNS0_4arch9wavefront6targetE0EEEvT1_.uses_flat_scratch, 0
	.set _ZN7rocprim17ROCPRIM_400000_NS6detail17trampoline_kernelINS0_14default_configENS1_25transform_config_selectorIlLb0EEEZNS1_14transform_implILb0ES3_S5_NS0_18transform_iteratorINS0_17counting_iteratorImlEEZNS1_24adjacent_difference_implIS3_Lb1ELb0EPlSB_ZN2at6native12_GLOBAL__N_124unique_dim_cuda_templateIhEESt5tupleIJNSC_6TensorESH_SH_EERKSH_lbbbEUlllE1_EE10hipError_tPvRmT2_T3_mT4_P12ihipStream_tbEUlmE_lEESB_NS0_8identityIvEEEESM_SP_SQ_mSR_ST_bEUlT_E_NS1_11comp_targetILNS1_3genE2ELNS1_11target_archE906ELNS1_3gpuE6ELNS1_3repE0EEENS1_30default_config_static_selectorELNS0_4arch9wavefront6targetE0EEEvT1_.has_dyn_sized_stack, 0
	.set _ZN7rocprim17ROCPRIM_400000_NS6detail17trampoline_kernelINS0_14default_configENS1_25transform_config_selectorIlLb0EEEZNS1_14transform_implILb0ES3_S5_NS0_18transform_iteratorINS0_17counting_iteratorImlEEZNS1_24adjacent_difference_implIS3_Lb1ELb0EPlSB_ZN2at6native12_GLOBAL__N_124unique_dim_cuda_templateIhEESt5tupleIJNSC_6TensorESH_SH_EERKSH_lbbbEUlllE1_EE10hipError_tPvRmT2_T3_mT4_P12ihipStream_tbEUlmE_lEESB_NS0_8identityIvEEEESM_SP_SQ_mSR_ST_bEUlT_E_NS1_11comp_targetILNS1_3genE2ELNS1_11target_archE906ELNS1_3gpuE6ELNS1_3repE0EEENS1_30default_config_static_selectorELNS0_4arch9wavefront6targetE0EEEvT1_.has_recursion, 0
	.set _ZN7rocprim17ROCPRIM_400000_NS6detail17trampoline_kernelINS0_14default_configENS1_25transform_config_selectorIlLb0EEEZNS1_14transform_implILb0ES3_S5_NS0_18transform_iteratorINS0_17counting_iteratorImlEEZNS1_24adjacent_difference_implIS3_Lb1ELb0EPlSB_ZN2at6native12_GLOBAL__N_124unique_dim_cuda_templateIhEESt5tupleIJNSC_6TensorESH_SH_EERKSH_lbbbEUlllE1_EE10hipError_tPvRmT2_T3_mT4_P12ihipStream_tbEUlmE_lEESB_NS0_8identityIvEEEESM_SP_SQ_mSR_ST_bEUlT_E_NS1_11comp_targetILNS1_3genE2ELNS1_11target_archE906ELNS1_3gpuE6ELNS1_3repE0EEENS1_30default_config_static_selectorELNS0_4arch9wavefront6targetE0EEEvT1_.has_indirect_call, 0
	.section	.AMDGPU.csdata,"",@progbits
; Kernel info:
; codeLenInByte = 0
; TotalNumSgprs: 0
; NumVgprs: 0
; ScratchSize: 0
; MemoryBound: 0
; FloatMode: 240
; IeeeMode: 1
; LDSByteSize: 0 bytes/workgroup (compile time only)
; SGPRBlocks: 0
; VGPRBlocks: 0
; NumSGPRsForWavesPerEU: 1
; NumVGPRsForWavesPerEU: 1
; NamedBarCnt: 0
; Occupancy: 16
; WaveLimiterHint : 0
; COMPUTE_PGM_RSRC2:SCRATCH_EN: 0
; COMPUTE_PGM_RSRC2:USER_SGPR: 2
; COMPUTE_PGM_RSRC2:TRAP_HANDLER: 0
; COMPUTE_PGM_RSRC2:TGID_X_EN: 1
; COMPUTE_PGM_RSRC2:TGID_Y_EN: 0
; COMPUTE_PGM_RSRC2:TGID_Z_EN: 0
; COMPUTE_PGM_RSRC2:TIDIG_COMP_CNT: 0
	.section	.text._ZN7rocprim17ROCPRIM_400000_NS6detail17trampoline_kernelINS0_14default_configENS1_25transform_config_selectorIlLb0EEEZNS1_14transform_implILb0ES3_S5_NS0_18transform_iteratorINS0_17counting_iteratorImlEEZNS1_24adjacent_difference_implIS3_Lb1ELb0EPlSB_ZN2at6native12_GLOBAL__N_124unique_dim_cuda_templateIhEESt5tupleIJNSC_6TensorESH_SH_EERKSH_lbbbEUlllE1_EE10hipError_tPvRmT2_T3_mT4_P12ihipStream_tbEUlmE_lEESB_NS0_8identityIvEEEESM_SP_SQ_mSR_ST_bEUlT_E_NS1_11comp_targetILNS1_3genE10ELNS1_11target_archE1201ELNS1_3gpuE5ELNS1_3repE0EEENS1_30default_config_static_selectorELNS0_4arch9wavefront6targetE0EEEvT1_,"axG",@progbits,_ZN7rocprim17ROCPRIM_400000_NS6detail17trampoline_kernelINS0_14default_configENS1_25transform_config_selectorIlLb0EEEZNS1_14transform_implILb0ES3_S5_NS0_18transform_iteratorINS0_17counting_iteratorImlEEZNS1_24adjacent_difference_implIS3_Lb1ELb0EPlSB_ZN2at6native12_GLOBAL__N_124unique_dim_cuda_templateIhEESt5tupleIJNSC_6TensorESH_SH_EERKSH_lbbbEUlllE1_EE10hipError_tPvRmT2_T3_mT4_P12ihipStream_tbEUlmE_lEESB_NS0_8identityIvEEEESM_SP_SQ_mSR_ST_bEUlT_E_NS1_11comp_targetILNS1_3genE10ELNS1_11target_archE1201ELNS1_3gpuE5ELNS1_3repE0EEENS1_30default_config_static_selectorELNS0_4arch9wavefront6targetE0EEEvT1_,comdat
	.globl	_ZN7rocprim17ROCPRIM_400000_NS6detail17trampoline_kernelINS0_14default_configENS1_25transform_config_selectorIlLb0EEEZNS1_14transform_implILb0ES3_S5_NS0_18transform_iteratorINS0_17counting_iteratorImlEEZNS1_24adjacent_difference_implIS3_Lb1ELb0EPlSB_ZN2at6native12_GLOBAL__N_124unique_dim_cuda_templateIhEESt5tupleIJNSC_6TensorESH_SH_EERKSH_lbbbEUlllE1_EE10hipError_tPvRmT2_T3_mT4_P12ihipStream_tbEUlmE_lEESB_NS0_8identityIvEEEESM_SP_SQ_mSR_ST_bEUlT_E_NS1_11comp_targetILNS1_3genE10ELNS1_11target_archE1201ELNS1_3gpuE5ELNS1_3repE0EEENS1_30default_config_static_selectorELNS0_4arch9wavefront6targetE0EEEvT1_ ; -- Begin function _ZN7rocprim17ROCPRIM_400000_NS6detail17trampoline_kernelINS0_14default_configENS1_25transform_config_selectorIlLb0EEEZNS1_14transform_implILb0ES3_S5_NS0_18transform_iteratorINS0_17counting_iteratorImlEEZNS1_24adjacent_difference_implIS3_Lb1ELb0EPlSB_ZN2at6native12_GLOBAL__N_124unique_dim_cuda_templateIhEESt5tupleIJNSC_6TensorESH_SH_EERKSH_lbbbEUlllE1_EE10hipError_tPvRmT2_T3_mT4_P12ihipStream_tbEUlmE_lEESB_NS0_8identityIvEEEESM_SP_SQ_mSR_ST_bEUlT_E_NS1_11comp_targetILNS1_3genE10ELNS1_11target_archE1201ELNS1_3gpuE5ELNS1_3repE0EEENS1_30default_config_static_selectorELNS0_4arch9wavefront6targetE0EEEvT1_
	.p2align	8
	.type	_ZN7rocprim17ROCPRIM_400000_NS6detail17trampoline_kernelINS0_14default_configENS1_25transform_config_selectorIlLb0EEEZNS1_14transform_implILb0ES3_S5_NS0_18transform_iteratorINS0_17counting_iteratorImlEEZNS1_24adjacent_difference_implIS3_Lb1ELb0EPlSB_ZN2at6native12_GLOBAL__N_124unique_dim_cuda_templateIhEESt5tupleIJNSC_6TensorESH_SH_EERKSH_lbbbEUlllE1_EE10hipError_tPvRmT2_T3_mT4_P12ihipStream_tbEUlmE_lEESB_NS0_8identityIvEEEESM_SP_SQ_mSR_ST_bEUlT_E_NS1_11comp_targetILNS1_3genE10ELNS1_11target_archE1201ELNS1_3gpuE5ELNS1_3repE0EEENS1_30default_config_static_selectorELNS0_4arch9wavefront6targetE0EEEvT1_,@function
_ZN7rocprim17ROCPRIM_400000_NS6detail17trampoline_kernelINS0_14default_configENS1_25transform_config_selectorIlLb0EEEZNS1_14transform_implILb0ES3_S5_NS0_18transform_iteratorINS0_17counting_iteratorImlEEZNS1_24adjacent_difference_implIS3_Lb1ELb0EPlSB_ZN2at6native12_GLOBAL__N_124unique_dim_cuda_templateIhEESt5tupleIJNSC_6TensorESH_SH_EERKSH_lbbbEUlllE1_EE10hipError_tPvRmT2_T3_mT4_P12ihipStream_tbEUlmE_lEESB_NS0_8identityIvEEEESM_SP_SQ_mSR_ST_bEUlT_E_NS1_11comp_targetILNS1_3genE10ELNS1_11target_archE1201ELNS1_3gpuE5ELNS1_3repE0EEENS1_30default_config_static_selectorELNS0_4arch9wavefront6targetE0EEEvT1_: ; @_ZN7rocprim17ROCPRIM_400000_NS6detail17trampoline_kernelINS0_14default_configENS1_25transform_config_selectorIlLb0EEEZNS1_14transform_implILb0ES3_S5_NS0_18transform_iteratorINS0_17counting_iteratorImlEEZNS1_24adjacent_difference_implIS3_Lb1ELb0EPlSB_ZN2at6native12_GLOBAL__N_124unique_dim_cuda_templateIhEESt5tupleIJNSC_6TensorESH_SH_EERKSH_lbbbEUlllE1_EE10hipError_tPvRmT2_T3_mT4_P12ihipStream_tbEUlmE_lEESB_NS0_8identityIvEEEESM_SP_SQ_mSR_ST_bEUlT_E_NS1_11comp_targetILNS1_3genE10ELNS1_11target_archE1201ELNS1_3gpuE5ELNS1_3repE0EEENS1_30default_config_static_selectorELNS0_4arch9wavefront6targetE0EEEvT1_
; %bb.0:
	.section	.rodata,"a",@progbits
	.p2align	6, 0x0
	.amdhsa_kernel _ZN7rocprim17ROCPRIM_400000_NS6detail17trampoline_kernelINS0_14default_configENS1_25transform_config_selectorIlLb0EEEZNS1_14transform_implILb0ES3_S5_NS0_18transform_iteratorINS0_17counting_iteratorImlEEZNS1_24adjacent_difference_implIS3_Lb1ELb0EPlSB_ZN2at6native12_GLOBAL__N_124unique_dim_cuda_templateIhEESt5tupleIJNSC_6TensorESH_SH_EERKSH_lbbbEUlllE1_EE10hipError_tPvRmT2_T3_mT4_P12ihipStream_tbEUlmE_lEESB_NS0_8identityIvEEEESM_SP_SQ_mSR_ST_bEUlT_E_NS1_11comp_targetILNS1_3genE10ELNS1_11target_archE1201ELNS1_3gpuE5ELNS1_3repE0EEENS1_30default_config_static_selectorELNS0_4arch9wavefront6targetE0EEEvT1_
		.amdhsa_group_segment_fixed_size 0
		.amdhsa_private_segment_fixed_size 0
		.amdhsa_kernarg_size 56
		.amdhsa_user_sgpr_count 2
		.amdhsa_user_sgpr_dispatch_ptr 0
		.amdhsa_user_sgpr_queue_ptr 0
		.amdhsa_user_sgpr_kernarg_segment_ptr 1
		.amdhsa_user_sgpr_dispatch_id 0
		.amdhsa_user_sgpr_kernarg_preload_length 0
		.amdhsa_user_sgpr_kernarg_preload_offset 0
		.amdhsa_user_sgpr_private_segment_size 0
		.amdhsa_wavefront_size32 1
		.amdhsa_uses_dynamic_stack 0
		.amdhsa_enable_private_segment 0
		.amdhsa_system_sgpr_workgroup_id_x 1
		.amdhsa_system_sgpr_workgroup_id_y 0
		.amdhsa_system_sgpr_workgroup_id_z 0
		.amdhsa_system_sgpr_workgroup_info 0
		.amdhsa_system_vgpr_workitem_id 0
		.amdhsa_next_free_vgpr 1
		.amdhsa_next_free_sgpr 1
		.amdhsa_named_barrier_count 0
		.amdhsa_reserve_vcc 0
		.amdhsa_float_round_mode_32 0
		.amdhsa_float_round_mode_16_64 0
		.amdhsa_float_denorm_mode_32 3
		.amdhsa_float_denorm_mode_16_64 3
		.amdhsa_fp16_overflow 0
		.amdhsa_memory_ordered 1
		.amdhsa_forward_progress 1
		.amdhsa_inst_pref_size 0
		.amdhsa_round_robin_scheduling 0
		.amdhsa_exception_fp_ieee_invalid_op 0
		.amdhsa_exception_fp_denorm_src 0
		.amdhsa_exception_fp_ieee_div_zero 0
		.amdhsa_exception_fp_ieee_overflow 0
		.amdhsa_exception_fp_ieee_underflow 0
		.amdhsa_exception_fp_ieee_inexact 0
		.amdhsa_exception_int_div_zero 0
	.end_amdhsa_kernel
	.section	.text._ZN7rocprim17ROCPRIM_400000_NS6detail17trampoline_kernelINS0_14default_configENS1_25transform_config_selectorIlLb0EEEZNS1_14transform_implILb0ES3_S5_NS0_18transform_iteratorINS0_17counting_iteratorImlEEZNS1_24adjacent_difference_implIS3_Lb1ELb0EPlSB_ZN2at6native12_GLOBAL__N_124unique_dim_cuda_templateIhEESt5tupleIJNSC_6TensorESH_SH_EERKSH_lbbbEUlllE1_EE10hipError_tPvRmT2_T3_mT4_P12ihipStream_tbEUlmE_lEESB_NS0_8identityIvEEEESM_SP_SQ_mSR_ST_bEUlT_E_NS1_11comp_targetILNS1_3genE10ELNS1_11target_archE1201ELNS1_3gpuE5ELNS1_3repE0EEENS1_30default_config_static_selectorELNS0_4arch9wavefront6targetE0EEEvT1_,"axG",@progbits,_ZN7rocprim17ROCPRIM_400000_NS6detail17trampoline_kernelINS0_14default_configENS1_25transform_config_selectorIlLb0EEEZNS1_14transform_implILb0ES3_S5_NS0_18transform_iteratorINS0_17counting_iteratorImlEEZNS1_24adjacent_difference_implIS3_Lb1ELb0EPlSB_ZN2at6native12_GLOBAL__N_124unique_dim_cuda_templateIhEESt5tupleIJNSC_6TensorESH_SH_EERKSH_lbbbEUlllE1_EE10hipError_tPvRmT2_T3_mT4_P12ihipStream_tbEUlmE_lEESB_NS0_8identityIvEEEESM_SP_SQ_mSR_ST_bEUlT_E_NS1_11comp_targetILNS1_3genE10ELNS1_11target_archE1201ELNS1_3gpuE5ELNS1_3repE0EEENS1_30default_config_static_selectorELNS0_4arch9wavefront6targetE0EEEvT1_,comdat
.Lfunc_end71:
	.size	_ZN7rocprim17ROCPRIM_400000_NS6detail17trampoline_kernelINS0_14default_configENS1_25transform_config_selectorIlLb0EEEZNS1_14transform_implILb0ES3_S5_NS0_18transform_iteratorINS0_17counting_iteratorImlEEZNS1_24adjacent_difference_implIS3_Lb1ELb0EPlSB_ZN2at6native12_GLOBAL__N_124unique_dim_cuda_templateIhEESt5tupleIJNSC_6TensorESH_SH_EERKSH_lbbbEUlllE1_EE10hipError_tPvRmT2_T3_mT4_P12ihipStream_tbEUlmE_lEESB_NS0_8identityIvEEEESM_SP_SQ_mSR_ST_bEUlT_E_NS1_11comp_targetILNS1_3genE10ELNS1_11target_archE1201ELNS1_3gpuE5ELNS1_3repE0EEENS1_30default_config_static_selectorELNS0_4arch9wavefront6targetE0EEEvT1_, .Lfunc_end71-_ZN7rocprim17ROCPRIM_400000_NS6detail17trampoline_kernelINS0_14default_configENS1_25transform_config_selectorIlLb0EEEZNS1_14transform_implILb0ES3_S5_NS0_18transform_iteratorINS0_17counting_iteratorImlEEZNS1_24adjacent_difference_implIS3_Lb1ELb0EPlSB_ZN2at6native12_GLOBAL__N_124unique_dim_cuda_templateIhEESt5tupleIJNSC_6TensorESH_SH_EERKSH_lbbbEUlllE1_EE10hipError_tPvRmT2_T3_mT4_P12ihipStream_tbEUlmE_lEESB_NS0_8identityIvEEEESM_SP_SQ_mSR_ST_bEUlT_E_NS1_11comp_targetILNS1_3genE10ELNS1_11target_archE1201ELNS1_3gpuE5ELNS1_3repE0EEENS1_30default_config_static_selectorELNS0_4arch9wavefront6targetE0EEEvT1_
                                        ; -- End function
	.set _ZN7rocprim17ROCPRIM_400000_NS6detail17trampoline_kernelINS0_14default_configENS1_25transform_config_selectorIlLb0EEEZNS1_14transform_implILb0ES3_S5_NS0_18transform_iteratorINS0_17counting_iteratorImlEEZNS1_24adjacent_difference_implIS3_Lb1ELb0EPlSB_ZN2at6native12_GLOBAL__N_124unique_dim_cuda_templateIhEESt5tupleIJNSC_6TensorESH_SH_EERKSH_lbbbEUlllE1_EE10hipError_tPvRmT2_T3_mT4_P12ihipStream_tbEUlmE_lEESB_NS0_8identityIvEEEESM_SP_SQ_mSR_ST_bEUlT_E_NS1_11comp_targetILNS1_3genE10ELNS1_11target_archE1201ELNS1_3gpuE5ELNS1_3repE0EEENS1_30default_config_static_selectorELNS0_4arch9wavefront6targetE0EEEvT1_.num_vgpr, 0
	.set _ZN7rocprim17ROCPRIM_400000_NS6detail17trampoline_kernelINS0_14default_configENS1_25transform_config_selectorIlLb0EEEZNS1_14transform_implILb0ES3_S5_NS0_18transform_iteratorINS0_17counting_iteratorImlEEZNS1_24adjacent_difference_implIS3_Lb1ELb0EPlSB_ZN2at6native12_GLOBAL__N_124unique_dim_cuda_templateIhEESt5tupleIJNSC_6TensorESH_SH_EERKSH_lbbbEUlllE1_EE10hipError_tPvRmT2_T3_mT4_P12ihipStream_tbEUlmE_lEESB_NS0_8identityIvEEEESM_SP_SQ_mSR_ST_bEUlT_E_NS1_11comp_targetILNS1_3genE10ELNS1_11target_archE1201ELNS1_3gpuE5ELNS1_3repE0EEENS1_30default_config_static_selectorELNS0_4arch9wavefront6targetE0EEEvT1_.num_agpr, 0
	.set _ZN7rocprim17ROCPRIM_400000_NS6detail17trampoline_kernelINS0_14default_configENS1_25transform_config_selectorIlLb0EEEZNS1_14transform_implILb0ES3_S5_NS0_18transform_iteratorINS0_17counting_iteratorImlEEZNS1_24adjacent_difference_implIS3_Lb1ELb0EPlSB_ZN2at6native12_GLOBAL__N_124unique_dim_cuda_templateIhEESt5tupleIJNSC_6TensorESH_SH_EERKSH_lbbbEUlllE1_EE10hipError_tPvRmT2_T3_mT4_P12ihipStream_tbEUlmE_lEESB_NS0_8identityIvEEEESM_SP_SQ_mSR_ST_bEUlT_E_NS1_11comp_targetILNS1_3genE10ELNS1_11target_archE1201ELNS1_3gpuE5ELNS1_3repE0EEENS1_30default_config_static_selectorELNS0_4arch9wavefront6targetE0EEEvT1_.numbered_sgpr, 0
	.set _ZN7rocprim17ROCPRIM_400000_NS6detail17trampoline_kernelINS0_14default_configENS1_25transform_config_selectorIlLb0EEEZNS1_14transform_implILb0ES3_S5_NS0_18transform_iteratorINS0_17counting_iteratorImlEEZNS1_24adjacent_difference_implIS3_Lb1ELb0EPlSB_ZN2at6native12_GLOBAL__N_124unique_dim_cuda_templateIhEESt5tupleIJNSC_6TensorESH_SH_EERKSH_lbbbEUlllE1_EE10hipError_tPvRmT2_T3_mT4_P12ihipStream_tbEUlmE_lEESB_NS0_8identityIvEEEESM_SP_SQ_mSR_ST_bEUlT_E_NS1_11comp_targetILNS1_3genE10ELNS1_11target_archE1201ELNS1_3gpuE5ELNS1_3repE0EEENS1_30default_config_static_selectorELNS0_4arch9wavefront6targetE0EEEvT1_.num_named_barrier, 0
	.set _ZN7rocprim17ROCPRIM_400000_NS6detail17trampoline_kernelINS0_14default_configENS1_25transform_config_selectorIlLb0EEEZNS1_14transform_implILb0ES3_S5_NS0_18transform_iteratorINS0_17counting_iteratorImlEEZNS1_24adjacent_difference_implIS3_Lb1ELb0EPlSB_ZN2at6native12_GLOBAL__N_124unique_dim_cuda_templateIhEESt5tupleIJNSC_6TensorESH_SH_EERKSH_lbbbEUlllE1_EE10hipError_tPvRmT2_T3_mT4_P12ihipStream_tbEUlmE_lEESB_NS0_8identityIvEEEESM_SP_SQ_mSR_ST_bEUlT_E_NS1_11comp_targetILNS1_3genE10ELNS1_11target_archE1201ELNS1_3gpuE5ELNS1_3repE0EEENS1_30default_config_static_selectorELNS0_4arch9wavefront6targetE0EEEvT1_.private_seg_size, 0
	.set _ZN7rocprim17ROCPRIM_400000_NS6detail17trampoline_kernelINS0_14default_configENS1_25transform_config_selectorIlLb0EEEZNS1_14transform_implILb0ES3_S5_NS0_18transform_iteratorINS0_17counting_iteratorImlEEZNS1_24adjacent_difference_implIS3_Lb1ELb0EPlSB_ZN2at6native12_GLOBAL__N_124unique_dim_cuda_templateIhEESt5tupleIJNSC_6TensorESH_SH_EERKSH_lbbbEUlllE1_EE10hipError_tPvRmT2_T3_mT4_P12ihipStream_tbEUlmE_lEESB_NS0_8identityIvEEEESM_SP_SQ_mSR_ST_bEUlT_E_NS1_11comp_targetILNS1_3genE10ELNS1_11target_archE1201ELNS1_3gpuE5ELNS1_3repE0EEENS1_30default_config_static_selectorELNS0_4arch9wavefront6targetE0EEEvT1_.uses_vcc, 0
	.set _ZN7rocprim17ROCPRIM_400000_NS6detail17trampoline_kernelINS0_14default_configENS1_25transform_config_selectorIlLb0EEEZNS1_14transform_implILb0ES3_S5_NS0_18transform_iteratorINS0_17counting_iteratorImlEEZNS1_24adjacent_difference_implIS3_Lb1ELb0EPlSB_ZN2at6native12_GLOBAL__N_124unique_dim_cuda_templateIhEESt5tupleIJNSC_6TensorESH_SH_EERKSH_lbbbEUlllE1_EE10hipError_tPvRmT2_T3_mT4_P12ihipStream_tbEUlmE_lEESB_NS0_8identityIvEEEESM_SP_SQ_mSR_ST_bEUlT_E_NS1_11comp_targetILNS1_3genE10ELNS1_11target_archE1201ELNS1_3gpuE5ELNS1_3repE0EEENS1_30default_config_static_selectorELNS0_4arch9wavefront6targetE0EEEvT1_.uses_flat_scratch, 0
	.set _ZN7rocprim17ROCPRIM_400000_NS6detail17trampoline_kernelINS0_14default_configENS1_25transform_config_selectorIlLb0EEEZNS1_14transform_implILb0ES3_S5_NS0_18transform_iteratorINS0_17counting_iteratorImlEEZNS1_24adjacent_difference_implIS3_Lb1ELb0EPlSB_ZN2at6native12_GLOBAL__N_124unique_dim_cuda_templateIhEESt5tupleIJNSC_6TensorESH_SH_EERKSH_lbbbEUlllE1_EE10hipError_tPvRmT2_T3_mT4_P12ihipStream_tbEUlmE_lEESB_NS0_8identityIvEEEESM_SP_SQ_mSR_ST_bEUlT_E_NS1_11comp_targetILNS1_3genE10ELNS1_11target_archE1201ELNS1_3gpuE5ELNS1_3repE0EEENS1_30default_config_static_selectorELNS0_4arch9wavefront6targetE0EEEvT1_.has_dyn_sized_stack, 0
	.set _ZN7rocprim17ROCPRIM_400000_NS6detail17trampoline_kernelINS0_14default_configENS1_25transform_config_selectorIlLb0EEEZNS1_14transform_implILb0ES3_S5_NS0_18transform_iteratorINS0_17counting_iteratorImlEEZNS1_24adjacent_difference_implIS3_Lb1ELb0EPlSB_ZN2at6native12_GLOBAL__N_124unique_dim_cuda_templateIhEESt5tupleIJNSC_6TensorESH_SH_EERKSH_lbbbEUlllE1_EE10hipError_tPvRmT2_T3_mT4_P12ihipStream_tbEUlmE_lEESB_NS0_8identityIvEEEESM_SP_SQ_mSR_ST_bEUlT_E_NS1_11comp_targetILNS1_3genE10ELNS1_11target_archE1201ELNS1_3gpuE5ELNS1_3repE0EEENS1_30default_config_static_selectorELNS0_4arch9wavefront6targetE0EEEvT1_.has_recursion, 0
	.set _ZN7rocprim17ROCPRIM_400000_NS6detail17trampoline_kernelINS0_14default_configENS1_25transform_config_selectorIlLb0EEEZNS1_14transform_implILb0ES3_S5_NS0_18transform_iteratorINS0_17counting_iteratorImlEEZNS1_24adjacent_difference_implIS3_Lb1ELb0EPlSB_ZN2at6native12_GLOBAL__N_124unique_dim_cuda_templateIhEESt5tupleIJNSC_6TensorESH_SH_EERKSH_lbbbEUlllE1_EE10hipError_tPvRmT2_T3_mT4_P12ihipStream_tbEUlmE_lEESB_NS0_8identityIvEEEESM_SP_SQ_mSR_ST_bEUlT_E_NS1_11comp_targetILNS1_3genE10ELNS1_11target_archE1201ELNS1_3gpuE5ELNS1_3repE0EEENS1_30default_config_static_selectorELNS0_4arch9wavefront6targetE0EEEvT1_.has_indirect_call, 0
	.section	.AMDGPU.csdata,"",@progbits
; Kernel info:
; codeLenInByte = 0
; TotalNumSgprs: 0
; NumVgprs: 0
; ScratchSize: 0
; MemoryBound: 0
; FloatMode: 240
; IeeeMode: 1
; LDSByteSize: 0 bytes/workgroup (compile time only)
; SGPRBlocks: 0
; VGPRBlocks: 0
; NumSGPRsForWavesPerEU: 1
; NumVGPRsForWavesPerEU: 1
; NamedBarCnt: 0
; Occupancy: 16
; WaveLimiterHint : 0
; COMPUTE_PGM_RSRC2:SCRATCH_EN: 0
; COMPUTE_PGM_RSRC2:USER_SGPR: 2
; COMPUTE_PGM_RSRC2:TRAP_HANDLER: 0
; COMPUTE_PGM_RSRC2:TGID_X_EN: 1
; COMPUTE_PGM_RSRC2:TGID_Y_EN: 0
; COMPUTE_PGM_RSRC2:TGID_Z_EN: 0
; COMPUTE_PGM_RSRC2:TIDIG_COMP_CNT: 0
	.section	.text._ZN7rocprim17ROCPRIM_400000_NS6detail17trampoline_kernelINS0_14default_configENS1_25transform_config_selectorIlLb0EEEZNS1_14transform_implILb0ES3_S5_NS0_18transform_iteratorINS0_17counting_iteratorImlEEZNS1_24adjacent_difference_implIS3_Lb1ELb0EPlSB_ZN2at6native12_GLOBAL__N_124unique_dim_cuda_templateIhEESt5tupleIJNSC_6TensorESH_SH_EERKSH_lbbbEUlllE1_EE10hipError_tPvRmT2_T3_mT4_P12ihipStream_tbEUlmE_lEESB_NS0_8identityIvEEEESM_SP_SQ_mSR_ST_bEUlT_E_NS1_11comp_targetILNS1_3genE10ELNS1_11target_archE1200ELNS1_3gpuE4ELNS1_3repE0EEENS1_30default_config_static_selectorELNS0_4arch9wavefront6targetE0EEEvT1_,"axG",@progbits,_ZN7rocprim17ROCPRIM_400000_NS6detail17trampoline_kernelINS0_14default_configENS1_25transform_config_selectorIlLb0EEEZNS1_14transform_implILb0ES3_S5_NS0_18transform_iteratorINS0_17counting_iteratorImlEEZNS1_24adjacent_difference_implIS3_Lb1ELb0EPlSB_ZN2at6native12_GLOBAL__N_124unique_dim_cuda_templateIhEESt5tupleIJNSC_6TensorESH_SH_EERKSH_lbbbEUlllE1_EE10hipError_tPvRmT2_T3_mT4_P12ihipStream_tbEUlmE_lEESB_NS0_8identityIvEEEESM_SP_SQ_mSR_ST_bEUlT_E_NS1_11comp_targetILNS1_3genE10ELNS1_11target_archE1200ELNS1_3gpuE4ELNS1_3repE0EEENS1_30default_config_static_selectorELNS0_4arch9wavefront6targetE0EEEvT1_,comdat
	.globl	_ZN7rocprim17ROCPRIM_400000_NS6detail17trampoline_kernelINS0_14default_configENS1_25transform_config_selectorIlLb0EEEZNS1_14transform_implILb0ES3_S5_NS0_18transform_iteratorINS0_17counting_iteratorImlEEZNS1_24adjacent_difference_implIS3_Lb1ELb0EPlSB_ZN2at6native12_GLOBAL__N_124unique_dim_cuda_templateIhEESt5tupleIJNSC_6TensorESH_SH_EERKSH_lbbbEUlllE1_EE10hipError_tPvRmT2_T3_mT4_P12ihipStream_tbEUlmE_lEESB_NS0_8identityIvEEEESM_SP_SQ_mSR_ST_bEUlT_E_NS1_11comp_targetILNS1_3genE10ELNS1_11target_archE1200ELNS1_3gpuE4ELNS1_3repE0EEENS1_30default_config_static_selectorELNS0_4arch9wavefront6targetE0EEEvT1_ ; -- Begin function _ZN7rocprim17ROCPRIM_400000_NS6detail17trampoline_kernelINS0_14default_configENS1_25transform_config_selectorIlLb0EEEZNS1_14transform_implILb0ES3_S5_NS0_18transform_iteratorINS0_17counting_iteratorImlEEZNS1_24adjacent_difference_implIS3_Lb1ELb0EPlSB_ZN2at6native12_GLOBAL__N_124unique_dim_cuda_templateIhEESt5tupleIJNSC_6TensorESH_SH_EERKSH_lbbbEUlllE1_EE10hipError_tPvRmT2_T3_mT4_P12ihipStream_tbEUlmE_lEESB_NS0_8identityIvEEEESM_SP_SQ_mSR_ST_bEUlT_E_NS1_11comp_targetILNS1_3genE10ELNS1_11target_archE1200ELNS1_3gpuE4ELNS1_3repE0EEENS1_30default_config_static_selectorELNS0_4arch9wavefront6targetE0EEEvT1_
	.p2align	8
	.type	_ZN7rocprim17ROCPRIM_400000_NS6detail17trampoline_kernelINS0_14default_configENS1_25transform_config_selectorIlLb0EEEZNS1_14transform_implILb0ES3_S5_NS0_18transform_iteratorINS0_17counting_iteratorImlEEZNS1_24adjacent_difference_implIS3_Lb1ELb0EPlSB_ZN2at6native12_GLOBAL__N_124unique_dim_cuda_templateIhEESt5tupleIJNSC_6TensorESH_SH_EERKSH_lbbbEUlllE1_EE10hipError_tPvRmT2_T3_mT4_P12ihipStream_tbEUlmE_lEESB_NS0_8identityIvEEEESM_SP_SQ_mSR_ST_bEUlT_E_NS1_11comp_targetILNS1_3genE10ELNS1_11target_archE1200ELNS1_3gpuE4ELNS1_3repE0EEENS1_30default_config_static_selectorELNS0_4arch9wavefront6targetE0EEEvT1_,@function
_ZN7rocprim17ROCPRIM_400000_NS6detail17trampoline_kernelINS0_14default_configENS1_25transform_config_selectorIlLb0EEEZNS1_14transform_implILb0ES3_S5_NS0_18transform_iteratorINS0_17counting_iteratorImlEEZNS1_24adjacent_difference_implIS3_Lb1ELb0EPlSB_ZN2at6native12_GLOBAL__N_124unique_dim_cuda_templateIhEESt5tupleIJNSC_6TensorESH_SH_EERKSH_lbbbEUlllE1_EE10hipError_tPvRmT2_T3_mT4_P12ihipStream_tbEUlmE_lEESB_NS0_8identityIvEEEESM_SP_SQ_mSR_ST_bEUlT_E_NS1_11comp_targetILNS1_3genE10ELNS1_11target_archE1200ELNS1_3gpuE4ELNS1_3repE0EEENS1_30default_config_static_selectorELNS0_4arch9wavefront6targetE0EEEvT1_: ; @_ZN7rocprim17ROCPRIM_400000_NS6detail17trampoline_kernelINS0_14default_configENS1_25transform_config_selectorIlLb0EEEZNS1_14transform_implILb0ES3_S5_NS0_18transform_iteratorINS0_17counting_iteratorImlEEZNS1_24adjacent_difference_implIS3_Lb1ELb0EPlSB_ZN2at6native12_GLOBAL__N_124unique_dim_cuda_templateIhEESt5tupleIJNSC_6TensorESH_SH_EERKSH_lbbbEUlllE1_EE10hipError_tPvRmT2_T3_mT4_P12ihipStream_tbEUlmE_lEESB_NS0_8identityIvEEEESM_SP_SQ_mSR_ST_bEUlT_E_NS1_11comp_targetILNS1_3genE10ELNS1_11target_archE1200ELNS1_3gpuE4ELNS1_3repE0EEENS1_30default_config_static_selectorELNS0_4arch9wavefront6targetE0EEEvT1_
; %bb.0:
	.section	.rodata,"a",@progbits
	.p2align	6, 0x0
	.amdhsa_kernel _ZN7rocprim17ROCPRIM_400000_NS6detail17trampoline_kernelINS0_14default_configENS1_25transform_config_selectorIlLb0EEEZNS1_14transform_implILb0ES3_S5_NS0_18transform_iteratorINS0_17counting_iteratorImlEEZNS1_24adjacent_difference_implIS3_Lb1ELb0EPlSB_ZN2at6native12_GLOBAL__N_124unique_dim_cuda_templateIhEESt5tupleIJNSC_6TensorESH_SH_EERKSH_lbbbEUlllE1_EE10hipError_tPvRmT2_T3_mT4_P12ihipStream_tbEUlmE_lEESB_NS0_8identityIvEEEESM_SP_SQ_mSR_ST_bEUlT_E_NS1_11comp_targetILNS1_3genE10ELNS1_11target_archE1200ELNS1_3gpuE4ELNS1_3repE0EEENS1_30default_config_static_selectorELNS0_4arch9wavefront6targetE0EEEvT1_
		.amdhsa_group_segment_fixed_size 0
		.amdhsa_private_segment_fixed_size 0
		.amdhsa_kernarg_size 56
		.amdhsa_user_sgpr_count 2
		.amdhsa_user_sgpr_dispatch_ptr 0
		.amdhsa_user_sgpr_queue_ptr 0
		.amdhsa_user_sgpr_kernarg_segment_ptr 1
		.amdhsa_user_sgpr_dispatch_id 0
		.amdhsa_user_sgpr_kernarg_preload_length 0
		.amdhsa_user_sgpr_kernarg_preload_offset 0
		.amdhsa_user_sgpr_private_segment_size 0
		.amdhsa_wavefront_size32 1
		.amdhsa_uses_dynamic_stack 0
		.amdhsa_enable_private_segment 0
		.amdhsa_system_sgpr_workgroup_id_x 1
		.amdhsa_system_sgpr_workgroup_id_y 0
		.amdhsa_system_sgpr_workgroup_id_z 0
		.amdhsa_system_sgpr_workgroup_info 0
		.amdhsa_system_vgpr_workitem_id 0
		.amdhsa_next_free_vgpr 1
		.amdhsa_next_free_sgpr 1
		.amdhsa_named_barrier_count 0
		.amdhsa_reserve_vcc 0
		.amdhsa_float_round_mode_32 0
		.amdhsa_float_round_mode_16_64 0
		.amdhsa_float_denorm_mode_32 3
		.amdhsa_float_denorm_mode_16_64 3
		.amdhsa_fp16_overflow 0
		.amdhsa_memory_ordered 1
		.amdhsa_forward_progress 1
		.amdhsa_inst_pref_size 0
		.amdhsa_round_robin_scheduling 0
		.amdhsa_exception_fp_ieee_invalid_op 0
		.amdhsa_exception_fp_denorm_src 0
		.amdhsa_exception_fp_ieee_div_zero 0
		.amdhsa_exception_fp_ieee_overflow 0
		.amdhsa_exception_fp_ieee_underflow 0
		.amdhsa_exception_fp_ieee_inexact 0
		.amdhsa_exception_int_div_zero 0
	.end_amdhsa_kernel
	.section	.text._ZN7rocprim17ROCPRIM_400000_NS6detail17trampoline_kernelINS0_14default_configENS1_25transform_config_selectorIlLb0EEEZNS1_14transform_implILb0ES3_S5_NS0_18transform_iteratorINS0_17counting_iteratorImlEEZNS1_24adjacent_difference_implIS3_Lb1ELb0EPlSB_ZN2at6native12_GLOBAL__N_124unique_dim_cuda_templateIhEESt5tupleIJNSC_6TensorESH_SH_EERKSH_lbbbEUlllE1_EE10hipError_tPvRmT2_T3_mT4_P12ihipStream_tbEUlmE_lEESB_NS0_8identityIvEEEESM_SP_SQ_mSR_ST_bEUlT_E_NS1_11comp_targetILNS1_3genE10ELNS1_11target_archE1200ELNS1_3gpuE4ELNS1_3repE0EEENS1_30default_config_static_selectorELNS0_4arch9wavefront6targetE0EEEvT1_,"axG",@progbits,_ZN7rocprim17ROCPRIM_400000_NS6detail17trampoline_kernelINS0_14default_configENS1_25transform_config_selectorIlLb0EEEZNS1_14transform_implILb0ES3_S5_NS0_18transform_iteratorINS0_17counting_iteratorImlEEZNS1_24adjacent_difference_implIS3_Lb1ELb0EPlSB_ZN2at6native12_GLOBAL__N_124unique_dim_cuda_templateIhEESt5tupleIJNSC_6TensorESH_SH_EERKSH_lbbbEUlllE1_EE10hipError_tPvRmT2_T3_mT4_P12ihipStream_tbEUlmE_lEESB_NS0_8identityIvEEEESM_SP_SQ_mSR_ST_bEUlT_E_NS1_11comp_targetILNS1_3genE10ELNS1_11target_archE1200ELNS1_3gpuE4ELNS1_3repE0EEENS1_30default_config_static_selectorELNS0_4arch9wavefront6targetE0EEEvT1_,comdat
.Lfunc_end72:
	.size	_ZN7rocprim17ROCPRIM_400000_NS6detail17trampoline_kernelINS0_14default_configENS1_25transform_config_selectorIlLb0EEEZNS1_14transform_implILb0ES3_S5_NS0_18transform_iteratorINS0_17counting_iteratorImlEEZNS1_24adjacent_difference_implIS3_Lb1ELb0EPlSB_ZN2at6native12_GLOBAL__N_124unique_dim_cuda_templateIhEESt5tupleIJNSC_6TensorESH_SH_EERKSH_lbbbEUlllE1_EE10hipError_tPvRmT2_T3_mT4_P12ihipStream_tbEUlmE_lEESB_NS0_8identityIvEEEESM_SP_SQ_mSR_ST_bEUlT_E_NS1_11comp_targetILNS1_3genE10ELNS1_11target_archE1200ELNS1_3gpuE4ELNS1_3repE0EEENS1_30default_config_static_selectorELNS0_4arch9wavefront6targetE0EEEvT1_, .Lfunc_end72-_ZN7rocprim17ROCPRIM_400000_NS6detail17trampoline_kernelINS0_14default_configENS1_25transform_config_selectorIlLb0EEEZNS1_14transform_implILb0ES3_S5_NS0_18transform_iteratorINS0_17counting_iteratorImlEEZNS1_24adjacent_difference_implIS3_Lb1ELb0EPlSB_ZN2at6native12_GLOBAL__N_124unique_dim_cuda_templateIhEESt5tupleIJNSC_6TensorESH_SH_EERKSH_lbbbEUlllE1_EE10hipError_tPvRmT2_T3_mT4_P12ihipStream_tbEUlmE_lEESB_NS0_8identityIvEEEESM_SP_SQ_mSR_ST_bEUlT_E_NS1_11comp_targetILNS1_3genE10ELNS1_11target_archE1200ELNS1_3gpuE4ELNS1_3repE0EEENS1_30default_config_static_selectorELNS0_4arch9wavefront6targetE0EEEvT1_
                                        ; -- End function
	.set _ZN7rocprim17ROCPRIM_400000_NS6detail17trampoline_kernelINS0_14default_configENS1_25transform_config_selectorIlLb0EEEZNS1_14transform_implILb0ES3_S5_NS0_18transform_iteratorINS0_17counting_iteratorImlEEZNS1_24adjacent_difference_implIS3_Lb1ELb0EPlSB_ZN2at6native12_GLOBAL__N_124unique_dim_cuda_templateIhEESt5tupleIJNSC_6TensorESH_SH_EERKSH_lbbbEUlllE1_EE10hipError_tPvRmT2_T3_mT4_P12ihipStream_tbEUlmE_lEESB_NS0_8identityIvEEEESM_SP_SQ_mSR_ST_bEUlT_E_NS1_11comp_targetILNS1_3genE10ELNS1_11target_archE1200ELNS1_3gpuE4ELNS1_3repE0EEENS1_30default_config_static_selectorELNS0_4arch9wavefront6targetE0EEEvT1_.num_vgpr, 0
	.set _ZN7rocprim17ROCPRIM_400000_NS6detail17trampoline_kernelINS0_14default_configENS1_25transform_config_selectorIlLb0EEEZNS1_14transform_implILb0ES3_S5_NS0_18transform_iteratorINS0_17counting_iteratorImlEEZNS1_24adjacent_difference_implIS3_Lb1ELb0EPlSB_ZN2at6native12_GLOBAL__N_124unique_dim_cuda_templateIhEESt5tupleIJNSC_6TensorESH_SH_EERKSH_lbbbEUlllE1_EE10hipError_tPvRmT2_T3_mT4_P12ihipStream_tbEUlmE_lEESB_NS0_8identityIvEEEESM_SP_SQ_mSR_ST_bEUlT_E_NS1_11comp_targetILNS1_3genE10ELNS1_11target_archE1200ELNS1_3gpuE4ELNS1_3repE0EEENS1_30default_config_static_selectorELNS0_4arch9wavefront6targetE0EEEvT1_.num_agpr, 0
	.set _ZN7rocprim17ROCPRIM_400000_NS6detail17trampoline_kernelINS0_14default_configENS1_25transform_config_selectorIlLb0EEEZNS1_14transform_implILb0ES3_S5_NS0_18transform_iteratorINS0_17counting_iteratorImlEEZNS1_24adjacent_difference_implIS3_Lb1ELb0EPlSB_ZN2at6native12_GLOBAL__N_124unique_dim_cuda_templateIhEESt5tupleIJNSC_6TensorESH_SH_EERKSH_lbbbEUlllE1_EE10hipError_tPvRmT2_T3_mT4_P12ihipStream_tbEUlmE_lEESB_NS0_8identityIvEEEESM_SP_SQ_mSR_ST_bEUlT_E_NS1_11comp_targetILNS1_3genE10ELNS1_11target_archE1200ELNS1_3gpuE4ELNS1_3repE0EEENS1_30default_config_static_selectorELNS0_4arch9wavefront6targetE0EEEvT1_.numbered_sgpr, 0
	.set _ZN7rocprim17ROCPRIM_400000_NS6detail17trampoline_kernelINS0_14default_configENS1_25transform_config_selectorIlLb0EEEZNS1_14transform_implILb0ES3_S5_NS0_18transform_iteratorINS0_17counting_iteratorImlEEZNS1_24adjacent_difference_implIS3_Lb1ELb0EPlSB_ZN2at6native12_GLOBAL__N_124unique_dim_cuda_templateIhEESt5tupleIJNSC_6TensorESH_SH_EERKSH_lbbbEUlllE1_EE10hipError_tPvRmT2_T3_mT4_P12ihipStream_tbEUlmE_lEESB_NS0_8identityIvEEEESM_SP_SQ_mSR_ST_bEUlT_E_NS1_11comp_targetILNS1_3genE10ELNS1_11target_archE1200ELNS1_3gpuE4ELNS1_3repE0EEENS1_30default_config_static_selectorELNS0_4arch9wavefront6targetE0EEEvT1_.num_named_barrier, 0
	.set _ZN7rocprim17ROCPRIM_400000_NS6detail17trampoline_kernelINS0_14default_configENS1_25transform_config_selectorIlLb0EEEZNS1_14transform_implILb0ES3_S5_NS0_18transform_iteratorINS0_17counting_iteratorImlEEZNS1_24adjacent_difference_implIS3_Lb1ELb0EPlSB_ZN2at6native12_GLOBAL__N_124unique_dim_cuda_templateIhEESt5tupleIJNSC_6TensorESH_SH_EERKSH_lbbbEUlllE1_EE10hipError_tPvRmT2_T3_mT4_P12ihipStream_tbEUlmE_lEESB_NS0_8identityIvEEEESM_SP_SQ_mSR_ST_bEUlT_E_NS1_11comp_targetILNS1_3genE10ELNS1_11target_archE1200ELNS1_3gpuE4ELNS1_3repE0EEENS1_30default_config_static_selectorELNS0_4arch9wavefront6targetE0EEEvT1_.private_seg_size, 0
	.set _ZN7rocprim17ROCPRIM_400000_NS6detail17trampoline_kernelINS0_14default_configENS1_25transform_config_selectorIlLb0EEEZNS1_14transform_implILb0ES3_S5_NS0_18transform_iteratorINS0_17counting_iteratorImlEEZNS1_24adjacent_difference_implIS3_Lb1ELb0EPlSB_ZN2at6native12_GLOBAL__N_124unique_dim_cuda_templateIhEESt5tupleIJNSC_6TensorESH_SH_EERKSH_lbbbEUlllE1_EE10hipError_tPvRmT2_T3_mT4_P12ihipStream_tbEUlmE_lEESB_NS0_8identityIvEEEESM_SP_SQ_mSR_ST_bEUlT_E_NS1_11comp_targetILNS1_3genE10ELNS1_11target_archE1200ELNS1_3gpuE4ELNS1_3repE0EEENS1_30default_config_static_selectorELNS0_4arch9wavefront6targetE0EEEvT1_.uses_vcc, 0
	.set _ZN7rocprim17ROCPRIM_400000_NS6detail17trampoline_kernelINS0_14default_configENS1_25transform_config_selectorIlLb0EEEZNS1_14transform_implILb0ES3_S5_NS0_18transform_iteratorINS0_17counting_iteratorImlEEZNS1_24adjacent_difference_implIS3_Lb1ELb0EPlSB_ZN2at6native12_GLOBAL__N_124unique_dim_cuda_templateIhEESt5tupleIJNSC_6TensorESH_SH_EERKSH_lbbbEUlllE1_EE10hipError_tPvRmT2_T3_mT4_P12ihipStream_tbEUlmE_lEESB_NS0_8identityIvEEEESM_SP_SQ_mSR_ST_bEUlT_E_NS1_11comp_targetILNS1_3genE10ELNS1_11target_archE1200ELNS1_3gpuE4ELNS1_3repE0EEENS1_30default_config_static_selectorELNS0_4arch9wavefront6targetE0EEEvT1_.uses_flat_scratch, 0
	.set _ZN7rocprim17ROCPRIM_400000_NS6detail17trampoline_kernelINS0_14default_configENS1_25transform_config_selectorIlLb0EEEZNS1_14transform_implILb0ES3_S5_NS0_18transform_iteratorINS0_17counting_iteratorImlEEZNS1_24adjacent_difference_implIS3_Lb1ELb0EPlSB_ZN2at6native12_GLOBAL__N_124unique_dim_cuda_templateIhEESt5tupleIJNSC_6TensorESH_SH_EERKSH_lbbbEUlllE1_EE10hipError_tPvRmT2_T3_mT4_P12ihipStream_tbEUlmE_lEESB_NS0_8identityIvEEEESM_SP_SQ_mSR_ST_bEUlT_E_NS1_11comp_targetILNS1_3genE10ELNS1_11target_archE1200ELNS1_3gpuE4ELNS1_3repE0EEENS1_30default_config_static_selectorELNS0_4arch9wavefront6targetE0EEEvT1_.has_dyn_sized_stack, 0
	.set _ZN7rocprim17ROCPRIM_400000_NS6detail17trampoline_kernelINS0_14default_configENS1_25transform_config_selectorIlLb0EEEZNS1_14transform_implILb0ES3_S5_NS0_18transform_iteratorINS0_17counting_iteratorImlEEZNS1_24adjacent_difference_implIS3_Lb1ELb0EPlSB_ZN2at6native12_GLOBAL__N_124unique_dim_cuda_templateIhEESt5tupleIJNSC_6TensorESH_SH_EERKSH_lbbbEUlllE1_EE10hipError_tPvRmT2_T3_mT4_P12ihipStream_tbEUlmE_lEESB_NS0_8identityIvEEEESM_SP_SQ_mSR_ST_bEUlT_E_NS1_11comp_targetILNS1_3genE10ELNS1_11target_archE1200ELNS1_3gpuE4ELNS1_3repE0EEENS1_30default_config_static_selectorELNS0_4arch9wavefront6targetE0EEEvT1_.has_recursion, 0
	.set _ZN7rocprim17ROCPRIM_400000_NS6detail17trampoline_kernelINS0_14default_configENS1_25transform_config_selectorIlLb0EEEZNS1_14transform_implILb0ES3_S5_NS0_18transform_iteratorINS0_17counting_iteratorImlEEZNS1_24adjacent_difference_implIS3_Lb1ELb0EPlSB_ZN2at6native12_GLOBAL__N_124unique_dim_cuda_templateIhEESt5tupleIJNSC_6TensorESH_SH_EERKSH_lbbbEUlllE1_EE10hipError_tPvRmT2_T3_mT4_P12ihipStream_tbEUlmE_lEESB_NS0_8identityIvEEEESM_SP_SQ_mSR_ST_bEUlT_E_NS1_11comp_targetILNS1_3genE10ELNS1_11target_archE1200ELNS1_3gpuE4ELNS1_3repE0EEENS1_30default_config_static_selectorELNS0_4arch9wavefront6targetE0EEEvT1_.has_indirect_call, 0
	.section	.AMDGPU.csdata,"",@progbits
; Kernel info:
; codeLenInByte = 0
; TotalNumSgprs: 0
; NumVgprs: 0
; ScratchSize: 0
; MemoryBound: 0
; FloatMode: 240
; IeeeMode: 1
; LDSByteSize: 0 bytes/workgroup (compile time only)
; SGPRBlocks: 0
; VGPRBlocks: 0
; NumSGPRsForWavesPerEU: 1
; NumVGPRsForWavesPerEU: 1
; NamedBarCnt: 0
; Occupancy: 16
; WaveLimiterHint : 0
; COMPUTE_PGM_RSRC2:SCRATCH_EN: 0
; COMPUTE_PGM_RSRC2:USER_SGPR: 2
; COMPUTE_PGM_RSRC2:TRAP_HANDLER: 0
; COMPUTE_PGM_RSRC2:TGID_X_EN: 1
; COMPUTE_PGM_RSRC2:TGID_Y_EN: 0
; COMPUTE_PGM_RSRC2:TGID_Z_EN: 0
; COMPUTE_PGM_RSRC2:TIDIG_COMP_CNT: 0
	.section	.text._ZN7rocprim17ROCPRIM_400000_NS6detail17trampoline_kernelINS0_14default_configENS1_25transform_config_selectorIlLb0EEEZNS1_14transform_implILb0ES3_S5_NS0_18transform_iteratorINS0_17counting_iteratorImlEEZNS1_24adjacent_difference_implIS3_Lb1ELb0EPlSB_ZN2at6native12_GLOBAL__N_124unique_dim_cuda_templateIhEESt5tupleIJNSC_6TensorESH_SH_EERKSH_lbbbEUlllE1_EE10hipError_tPvRmT2_T3_mT4_P12ihipStream_tbEUlmE_lEESB_NS0_8identityIvEEEESM_SP_SQ_mSR_ST_bEUlT_E_NS1_11comp_targetILNS1_3genE9ELNS1_11target_archE1100ELNS1_3gpuE3ELNS1_3repE0EEENS1_30default_config_static_selectorELNS0_4arch9wavefront6targetE0EEEvT1_,"axG",@progbits,_ZN7rocprim17ROCPRIM_400000_NS6detail17trampoline_kernelINS0_14default_configENS1_25transform_config_selectorIlLb0EEEZNS1_14transform_implILb0ES3_S5_NS0_18transform_iteratorINS0_17counting_iteratorImlEEZNS1_24adjacent_difference_implIS3_Lb1ELb0EPlSB_ZN2at6native12_GLOBAL__N_124unique_dim_cuda_templateIhEESt5tupleIJNSC_6TensorESH_SH_EERKSH_lbbbEUlllE1_EE10hipError_tPvRmT2_T3_mT4_P12ihipStream_tbEUlmE_lEESB_NS0_8identityIvEEEESM_SP_SQ_mSR_ST_bEUlT_E_NS1_11comp_targetILNS1_3genE9ELNS1_11target_archE1100ELNS1_3gpuE3ELNS1_3repE0EEENS1_30default_config_static_selectorELNS0_4arch9wavefront6targetE0EEEvT1_,comdat
	.globl	_ZN7rocprim17ROCPRIM_400000_NS6detail17trampoline_kernelINS0_14default_configENS1_25transform_config_selectorIlLb0EEEZNS1_14transform_implILb0ES3_S5_NS0_18transform_iteratorINS0_17counting_iteratorImlEEZNS1_24adjacent_difference_implIS3_Lb1ELb0EPlSB_ZN2at6native12_GLOBAL__N_124unique_dim_cuda_templateIhEESt5tupleIJNSC_6TensorESH_SH_EERKSH_lbbbEUlllE1_EE10hipError_tPvRmT2_T3_mT4_P12ihipStream_tbEUlmE_lEESB_NS0_8identityIvEEEESM_SP_SQ_mSR_ST_bEUlT_E_NS1_11comp_targetILNS1_3genE9ELNS1_11target_archE1100ELNS1_3gpuE3ELNS1_3repE0EEENS1_30default_config_static_selectorELNS0_4arch9wavefront6targetE0EEEvT1_ ; -- Begin function _ZN7rocprim17ROCPRIM_400000_NS6detail17trampoline_kernelINS0_14default_configENS1_25transform_config_selectorIlLb0EEEZNS1_14transform_implILb0ES3_S5_NS0_18transform_iteratorINS0_17counting_iteratorImlEEZNS1_24adjacent_difference_implIS3_Lb1ELb0EPlSB_ZN2at6native12_GLOBAL__N_124unique_dim_cuda_templateIhEESt5tupleIJNSC_6TensorESH_SH_EERKSH_lbbbEUlllE1_EE10hipError_tPvRmT2_T3_mT4_P12ihipStream_tbEUlmE_lEESB_NS0_8identityIvEEEESM_SP_SQ_mSR_ST_bEUlT_E_NS1_11comp_targetILNS1_3genE9ELNS1_11target_archE1100ELNS1_3gpuE3ELNS1_3repE0EEENS1_30default_config_static_selectorELNS0_4arch9wavefront6targetE0EEEvT1_
	.p2align	8
	.type	_ZN7rocprim17ROCPRIM_400000_NS6detail17trampoline_kernelINS0_14default_configENS1_25transform_config_selectorIlLb0EEEZNS1_14transform_implILb0ES3_S5_NS0_18transform_iteratorINS0_17counting_iteratorImlEEZNS1_24adjacent_difference_implIS3_Lb1ELb0EPlSB_ZN2at6native12_GLOBAL__N_124unique_dim_cuda_templateIhEESt5tupleIJNSC_6TensorESH_SH_EERKSH_lbbbEUlllE1_EE10hipError_tPvRmT2_T3_mT4_P12ihipStream_tbEUlmE_lEESB_NS0_8identityIvEEEESM_SP_SQ_mSR_ST_bEUlT_E_NS1_11comp_targetILNS1_3genE9ELNS1_11target_archE1100ELNS1_3gpuE3ELNS1_3repE0EEENS1_30default_config_static_selectorELNS0_4arch9wavefront6targetE0EEEvT1_,@function
_ZN7rocprim17ROCPRIM_400000_NS6detail17trampoline_kernelINS0_14default_configENS1_25transform_config_selectorIlLb0EEEZNS1_14transform_implILb0ES3_S5_NS0_18transform_iteratorINS0_17counting_iteratorImlEEZNS1_24adjacent_difference_implIS3_Lb1ELb0EPlSB_ZN2at6native12_GLOBAL__N_124unique_dim_cuda_templateIhEESt5tupleIJNSC_6TensorESH_SH_EERKSH_lbbbEUlllE1_EE10hipError_tPvRmT2_T3_mT4_P12ihipStream_tbEUlmE_lEESB_NS0_8identityIvEEEESM_SP_SQ_mSR_ST_bEUlT_E_NS1_11comp_targetILNS1_3genE9ELNS1_11target_archE1100ELNS1_3gpuE3ELNS1_3repE0EEENS1_30default_config_static_selectorELNS0_4arch9wavefront6targetE0EEEvT1_: ; @_ZN7rocprim17ROCPRIM_400000_NS6detail17trampoline_kernelINS0_14default_configENS1_25transform_config_selectorIlLb0EEEZNS1_14transform_implILb0ES3_S5_NS0_18transform_iteratorINS0_17counting_iteratorImlEEZNS1_24adjacent_difference_implIS3_Lb1ELb0EPlSB_ZN2at6native12_GLOBAL__N_124unique_dim_cuda_templateIhEESt5tupleIJNSC_6TensorESH_SH_EERKSH_lbbbEUlllE1_EE10hipError_tPvRmT2_T3_mT4_P12ihipStream_tbEUlmE_lEESB_NS0_8identityIvEEEESM_SP_SQ_mSR_ST_bEUlT_E_NS1_11comp_targetILNS1_3genE9ELNS1_11target_archE1100ELNS1_3gpuE3ELNS1_3repE0EEENS1_30default_config_static_selectorELNS0_4arch9wavefront6targetE0EEEvT1_
; %bb.0:
	.section	.rodata,"a",@progbits
	.p2align	6, 0x0
	.amdhsa_kernel _ZN7rocprim17ROCPRIM_400000_NS6detail17trampoline_kernelINS0_14default_configENS1_25transform_config_selectorIlLb0EEEZNS1_14transform_implILb0ES3_S5_NS0_18transform_iteratorINS0_17counting_iteratorImlEEZNS1_24adjacent_difference_implIS3_Lb1ELb0EPlSB_ZN2at6native12_GLOBAL__N_124unique_dim_cuda_templateIhEESt5tupleIJNSC_6TensorESH_SH_EERKSH_lbbbEUlllE1_EE10hipError_tPvRmT2_T3_mT4_P12ihipStream_tbEUlmE_lEESB_NS0_8identityIvEEEESM_SP_SQ_mSR_ST_bEUlT_E_NS1_11comp_targetILNS1_3genE9ELNS1_11target_archE1100ELNS1_3gpuE3ELNS1_3repE0EEENS1_30default_config_static_selectorELNS0_4arch9wavefront6targetE0EEEvT1_
		.amdhsa_group_segment_fixed_size 0
		.amdhsa_private_segment_fixed_size 0
		.amdhsa_kernarg_size 56
		.amdhsa_user_sgpr_count 2
		.amdhsa_user_sgpr_dispatch_ptr 0
		.amdhsa_user_sgpr_queue_ptr 0
		.amdhsa_user_sgpr_kernarg_segment_ptr 1
		.amdhsa_user_sgpr_dispatch_id 0
		.amdhsa_user_sgpr_kernarg_preload_length 0
		.amdhsa_user_sgpr_kernarg_preload_offset 0
		.amdhsa_user_sgpr_private_segment_size 0
		.amdhsa_wavefront_size32 1
		.amdhsa_uses_dynamic_stack 0
		.amdhsa_enable_private_segment 0
		.amdhsa_system_sgpr_workgroup_id_x 1
		.amdhsa_system_sgpr_workgroup_id_y 0
		.amdhsa_system_sgpr_workgroup_id_z 0
		.amdhsa_system_sgpr_workgroup_info 0
		.amdhsa_system_vgpr_workitem_id 0
		.amdhsa_next_free_vgpr 1
		.amdhsa_next_free_sgpr 1
		.amdhsa_named_barrier_count 0
		.amdhsa_reserve_vcc 0
		.amdhsa_float_round_mode_32 0
		.amdhsa_float_round_mode_16_64 0
		.amdhsa_float_denorm_mode_32 3
		.amdhsa_float_denorm_mode_16_64 3
		.amdhsa_fp16_overflow 0
		.amdhsa_memory_ordered 1
		.amdhsa_forward_progress 1
		.amdhsa_inst_pref_size 0
		.amdhsa_round_robin_scheduling 0
		.amdhsa_exception_fp_ieee_invalid_op 0
		.amdhsa_exception_fp_denorm_src 0
		.amdhsa_exception_fp_ieee_div_zero 0
		.amdhsa_exception_fp_ieee_overflow 0
		.amdhsa_exception_fp_ieee_underflow 0
		.amdhsa_exception_fp_ieee_inexact 0
		.amdhsa_exception_int_div_zero 0
	.end_amdhsa_kernel
	.section	.text._ZN7rocprim17ROCPRIM_400000_NS6detail17trampoline_kernelINS0_14default_configENS1_25transform_config_selectorIlLb0EEEZNS1_14transform_implILb0ES3_S5_NS0_18transform_iteratorINS0_17counting_iteratorImlEEZNS1_24adjacent_difference_implIS3_Lb1ELb0EPlSB_ZN2at6native12_GLOBAL__N_124unique_dim_cuda_templateIhEESt5tupleIJNSC_6TensorESH_SH_EERKSH_lbbbEUlllE1_EE10hipError_tPvRmT2_T3_mT4_P12ihipStream_tbEUlmE_lEESB_NS0_8identityIvEEEESM_SP_SQ_mSR_ST_bEUlT_E_NS1_11comp_targetILNS1_3genE9ELNS1_11target_archE1100ELNS1_3gpuE3ELNS1_3repE0EEENS1_30default_config_static_selectorELNS0_4arch9wavefront6targetE0EEEvT1_,"axG",@progbits,_ZN7rocprim17ROCPRIM_400000_NS6detail17trampoline_kernelINS0_14default_configENS1_25transform_config_selectorIlLb0EEEZNS1_14transform_implILb0ES3_S5_NS0_18transform_iteratorINS0_17counting_iteratorImlEEZNS1_24adjacent_difference_implIS3_Lb1ELb0EPlSB_ZN2at6native12_GLOBAL__N_124unique_dim_cuda_templateIhEESt5tupleIJNSC_6TensorESH_SH_EERKSH_lbbbEUlllE1_EE10hipError_tPvRmT2_T3_mT4_P12ihipStream_tbEUlmE_lEESB_NS0_8identityIvEEEESM_SP_SQ_mSR_ST_bEUlT_E_NS1_11comp_targetILNS1_3genE9ELNS1_11target_archE1100ELNS1_3gpuE3ELNS1_3repE0EEENS1_30default_config_static_selectorELNS0_4arch9wavefront6targetE0EEEvT1_,comdat
.Lfunc_end73:
	.size	_ZN7rocprim17ROCPRIM_400000_NS6detail17trampoline_kernelINS0_14default_configENS1_25transform_config_selectorIlLb0EEEZNS1_14transform_implILb0ES3_S5_NS0_18transform_iteratorINS0_17counting_iteratorImlEEZNS1_24adjacent_difference_implIS3_Lb1ELb0EPlSB_ZN2at6native12_GLOBAL__N_124unique_dim_cuda_templateIhEESt5tupleIJNSC_6TensorESH_SH_EERKSH_lbbbEUlllE1_EE10hipError_tPvRmT2_T3_mT4_P12ihipStream_tbEUlmE_lEESB_NS0_8identityIvEEEESM_SP_SQ_mSR_ST_bEUlT_E_NS1_11comp_targetILNS1_3genE9ELNS1_11target_archE1100ELNS1_3gpuE3ELNS1_3repE0EEENS1_30default_config_static_selectorELNS0_4arch9wavefront6targetE0EEEvT1_, .Lfunc_end73-_ZN7rocprim17ROCPRIM_400000_NS6detail17trampoline_kernelINS0_14default_configENS1_25transform_config_selectorIlLb0EEEZNS1_14transform_implILb0ES3_S5_NS0_18transform_iteratorINS0_17counting_iteratorImlEEZNS1_24adjacent_difference_implIS3_Lb1ELb0EPlSB_ZN2at6native12_GLOBAL__N_124unique_dim_cuda_templateIhEESt5tupleIJNSC_6TensorESH_SH_EERKSH_lbbbEUlllE1_EE10hipError_tPvRmT2_T3_mT4_P12ihipStream_tbEUlmE_lEESB_NS0_8identityIvEEEESM_SP_SQ_mSR_ST_bEUlT_E_NS1_11comp_targetILNS1_3genE9ELNS1_11target_archE1100ELNS1_3gpuE3ELNS1_3repE0EEENS1_30default_config_static_selectorELNS0_4arch9wavefront6targetE0EEEvT1_
                                        ; -- End function
	.set _ZN7rocprim17ROCPRIM_400000_NS6detail17trampoline_kernelINS0_14default_configENS1_25transform_config_selectorIlLb0EEEZNS1_14transform_implILb0ES3_S5_NS0_18transform_iteratorINS0_17counting_iteratorImlEEZNS1_24adjacent_difference_implIS3_Lb1ELb0EPlSB_ZN2at6native12_GLOBAL__N_124unique_dim_cuda_templateIhEESt5tupleIJNSC_6TensorESH_SH_EERKSH_lbbbEUlllE1_EE10hipError_tPvRmT2_T3_mT4_P12ihipStream_tbEUlmE_lEESB_NS0_8identityIvEEEESM_SP_SQ_mSR_ST_bEUlT_E_NS1_11comp_targetILNS1_3genE9ELNS1_11target_archE1100ELNS1_3gpuE3ELNS1_3repE0EEENS1_30default_config_static_selectorELNS0_4arch9wavefront6targetE0EEEvT1_.num_vgpr, 0
	.set _ZN7rocprim17ROCPRIM_400000_NS6detail17trampoline_kernelINS0_14default_configENS1_25transform_config_selectorIlLb0EEEZNS1_14transform_implILb0ES3_S5_NS0_18transform_iteratorINS0_17counting_iteratorImlEEZNS1_24adjacent_difference_implIS3_Lb1ELb0EPlSB_ZN2at6native12_GLOBAL__N_124unique_dim_cuda_templateIhEESt5tupleIJNSC_6TensorESH_SH_EERKSH_lbbbEUlllE1_EE10hipError_tPvRmT2_T3_mT4_P12ihipStream_tbEUlmE_lEESB_NS0_8identityIvEEEESM_SP_SQ_mSR_ST_bEUlT_E_NS1_11comp_targetILNS1_3genE9ELNS1_11target_archE1100ELNS1_3gpuE3ELNS1_3repE0EEENS1_30default_config_static_selectorELNS0_4arch9wavefront6targetE0EEEvT1_.num_agpr, 0
	.set _ZN7rocprim17ROCPRIM_400000_NS6detail17trampoline_kernelINS0_14default_configENS1_25transform_config_selectorIlLb0EEEZNS1_14transform_implILb0ES3_S5_NS0_18transform_iteratorINS0_17counting_iteratorImlEEZNS1_24adjacent_difference_implIS3_Lb1ELb0EPlSB_ZN2at6native12_GLOBAL__N_124unique_dim_cuda_templateIhEESt5tupleIJNSC_6TensorESH_SH_EERKSH_lbbbEUlllE1_EE10hipError_tPvRmT2_T3_mT4_P12ihipStream_tbEUlmE_lEESB_NS0_8identityIvEEEESM_SP_SQ_mSR_ST_bEUlT_E_NS1_11comp_targetILNS1_3genE9ELNS1_11target_archE1100ELNS1_3gpuE3ELNS1_3repE0EEENS1_30default_config_static_selectorELNS0_4arch9wavefront6targetE0EEEvT1_.numbered_sgpr, 0
	.set _ZN7rocprim17ROCPRIM_400000_NS6detail17trampoline_kernelINS0_14default_configENS1_25transform_config_selectorIlLb0EEEZNS1_14transform_implILb0ES3_S5_NS0_18transform_iteratorINS0_17counting_iteratorImlEEZNS1_24adjacent_difference_implIS3_Lb1ELb0EPlSB_ZN2at6native12_GLOBAL__N_124unique_dim_cuda_templateIhEESt5tupleIJNSC_6TensorESH_SH_EERKSH_lbbbEUlllE1_EE10hipError_tPvRmT2_T3_mT4_P12ihipStream_tbEUlmE_lEESB_NS0_8identityIvEEEESM_SP_SQ_mSR_ST_bEUlT_E_NS1_11comp_targetILNS1_3genE9ELNS1_11target_archE1100ELNS1_3gpuE3ELNS1_3repE0EEENS1_30default_config_static_selectorELNS0_4arch9wavefront6targetE0EEEvT1_.num_named_barrier, 0
	.set _ZN7rocprim17ROCPRIM_400000_NS6detail17trampoline_kernelINS0_14default_configENS1_25transform_config_selectorIlLb0EEEZNS1_14transform_implILb0ES3_S5_NS0_18transform_iteratorINS0_17counting_iteratorImlEEZNS1_24adjacent_difference_implIS3_Lb1ELb0EPlSB_ZN2at6native12_GLOBAL__N_124unique_dim_cuda_templateIhEESt5tupleIJNSC_6TensorESH_SH_EERKSH_lbbbEUlllE1_EE10hipError_tPvRmT2_T3_mT4_P12ihipStream_tbEUlmE_lEESB_NS0_8identityIvEEEESM_SP_SQ_mSR_ST_bEUlT_E_NS1_11comp_targetILNS1_3genE9ELNS1_11target_archE1100ELNS1_3gpuE3ELNS1_3repE0EEENS1_30default_config_static_selectorELNS0_4arch9wavefront6targetE0EEEvT1_.private_seg_size, 0
	.set _ZN7rocprim17ROCPRIM_400000_NS6detail17trampoline_kernelINS0_14default_configENS1_25transform_config_selectorIlLb0EEEZNS1_14transform_implILb0ES3_S5_NS0_18transform_iteratorINS0_17counting_iteratorImlEEZNS1_24adjacent_difference_implIS3_Lb1ELb0EPlSB_ZN2at6native12_GLOBAL__N_124unique_dim_cuda_templateIhEESt5tupleIJNSC_6TensorESH_SH_EERKSH_lbbbEUlllE1_EE10hipError_tPvRmT2_T3_mT4_P12ihipStream_tbEUlmE_lEESB_NS0_8identityIvEEEESM_SP_SQ_mSR_ST_bEUlT_E_NS1_11comp_targetILNS1_3genE9ELNS1_11target_archE1100ELNS1_3gpuE3ELNS1_3repE0EEENS1_30default_config_static_selectorELNS0_4arch9wavefront6targetE0EEEvT1_.uses_vcc, 0
	.set _ZN7rocprim17ROCPRIM_400000_NS6detail17trampoline_kernelINS0_14default_configENS1_25transform_config_selectorIlLb0EEEZNS1_14transform_implILb0ES3_S5_NS0_18transform_iteratorINS0_17counting_iteratorImlEEZNS1_24adjacent_difference_implIS3_Lb1ELb0EPlSB_ZN2at6native12_GLOBAL__N_124unique_dim_cuda_templateIhEESt5tupleIJNSC_6TensorESH_SH_EERKSH_lbbbEUlllE1_EE10hipError_tPvRmT2_T3_mT4_P12ihipStream_tbEUlmE_lEESB_NS0_8identityIvEEEESM_SP_SQ_mSR_ST_bEUlT_E_NS1_11comp_targetILNS1_3genE9ELNS1_11target_archE1100ELNS1_3gpuE3ELNS1_3repE0EEENS1_30default_config_static_selectorELNS0_4arch9wavefront6targetE0EEEvT1_.uses_flat_scratch, 0
	.set _ZN7rocprim17ROCPRIM_400000_NS6detail17trampoline_kernelINS0_14default_configENS1_25transform_config_selectorIlLb0EEEZNS1_14transform_implILb0ES3_S5_NS0_18transform_iteratorINS0_17counting_iteratorImlEEZNS1_24adjacent_difference_implIS3_Lb1ELb0EPlSB_ZN2at6native12_GLOBAL__N_124unique_dim_cuda_templateIhEESt5tupleIJNSC_6TensorESH_SH_EERKSH_lbbbEUlllE1_EE10hipError_tPvRmT2_T3_mT4_P12ihipStream_tbEUlmE_lEESB_NS0_8identityIvEEEESM_SP_SQ_mSR_ST_bEUlT_E_NS1_11comp_targetILNS1_3genE9ELNS1_11target_archE1100ELNS1_3gpuE3ELNS1_3repE0EEENS1_30default_config_static_selectorELNS0_4arch9wavefront6targetE0EEEvT1_.has_dyn_sized_stack, 0
	.set _ZN7rocprim17ROCPRIM_400000_NS6detail17trampoline_kernelINS0_14default_configENS1_25transform_config_selectorIlLb0EEEZNS1_14transform_implILb0ES3_S5_NS0_18transform_iteratorINS0_17counting_iteratorImlEEZNS1_24adjacent_difference_implIS3_Lb1ELb0EPlSB_ZN2at6native12_GLOBAL__N_124unique_dim_cuda_templateIhEESt5tupleIJNSC_6TensorESH_SH_EERKSH_lbbbEUlllE1_EE10hipError_tPvRmT2_T3_mT4_P12ihipStream_tbEUlmE_lEESB_NS0_8identityIvEEEESM_SP_SQ_mSR_ST_bEUlT_E_NS1_11comp_targetILNS1_3genE9ELNS1_11target_archE1100ELNS1_3gpuE3ELNS1_3repE0EEENS1_30default_config_static_selectorELNS0_4arch9wavefront6targetE0EEEvT1_.has_recursion, 0
	.set _ZN7rocprim17ROCPRIM_400000_NS6detail17trampoline_kernelINS0_14default_configENS1_25transform_config_selectorIlLb0EEEZNS1_14transform_implILb0ES3_S5_NS0_18transform_iteratorINS0_17counting_iteratorImlEEZNS1_24adjacent_difference_implIS3_Lb1ELb0EPlSB_ZN2at6native12_GLOBAL__N_124unique_dim_cuda_templateIhEESt5tupleIJNSC_6TensorESH_SH_EERKSH_lbbbEUlllE1_EE10hipError_tPvRmT2_T3_mT4_P12ihipStream_tbEUlmE_lEESB_NS0_8identityIvEEEESM_SP_SQ_mSR_ST_bEUlT_E_NS1_11comp_targetILNS1_3genE9ELNS1_11target_archE1100ELNS1_3gpuE3ELNS1_3repE0EEENS1_30default_config_static_selectorELNS0_4arch9wavefront6targetE0EEEvT1_.has_indirect_call, 0
	.section	.AMDGPU.csdata,"",@progbits
; Kernel info:
; codeLenInByte = 0
; TotalNumSgprs: 0
; NumVgprs: 0
; ScratchSize: 0
; MemoryBound: 0
; FloatMode: 240
; IeeeMode: 1
; LDSByteSize: 0 bytes/workgroup (compile time only)
; SGPRBlocks: 0
; VGPRBlocks: 0
; NumSGPRsForWavesPerEU: 1
; NumVGPRsForWavesPerEU: 1
; NamedBarCnt: 0
; Occupancy: 16
; WaveLimiterHint : 0
; COMPUTE_PGM_RSRC2:SCRATCH_EN: 0
; COMPUTE_PGM_RSRC2:USER_SGPR: 2
; COMPUTE_PGM_RSRC2:TRAP_HANDLER: 0
; COMPUTE_PGM_RSRC2:TGID_X_EN: 1
; COMPUTE_PGM_RSRC2:TGID_Y_EN: 0
; COMPUTE_PGM_RSRC2:TGID_Z_EN: 0
; COMPUTE_PGM_RSRC2:TIDIG_COMP_CNT: 0
	.section	.text._ZN7rocprim17ROCPRIM_400000_NS6detail17trampoline_kernelINS0_14default_configENS1_25transform_config_selectorIlLb0EEEZNS1_14transform_implILb0ES3_S5_NS0_18transform_iteratorINS0_17counting_iteratorImlEEZNS1_24adjacent_difference_implIS3_Lb1ELb0EPlSB_ZN2at6native12_GLOBAL__N_124unique_dim_cuda_templateIhEESt5tupleIJNSC_6TensorESH_SH_EERKSH_lbbbEUlllE1_EE10hipError_tPvRmT2_T3_mT4_P12ihipStream_tbEUlmE_lEESB_NS0_8identityIvEEEESM_SP_SQ_mSR_ST_bEUlT_E_NS1_11comp_targetILNS1_3genE8ELNS1_11target_archE1030ELNS1_3gpuE2ELNS1_3repE0EEENS1_30default_config_static_selectorELNS0_4arch9wavefront6targetE0EEEvT1_,"axG",@progbits,_ZN7rocprim17ROCPRIM_400000_NS6detail17trampoline_kernelINS0_14default_configENS1_25transform_config_selectorIlLb0EEEZNS1_14transform_implILb0ES3_S5_NS0_18transform_iteratorINS0_17counting_iteratorImlEEZNS1_24adjacent_difference_implIS3_Lb1ELb0EPlSB_ZN2at6native12_GLOBAL__N_124unique_dim_cuda_templateIhEESt5tupleIJNSC_6TensorESH_SH_EERKSH_lbbbEUlllE1_EE10hipError_tPvRmT2_T3_mT4_P12ihipStream_tbEUlmE_lEESB_NS0_8identityIvEEEESM_SP_SQ_mSR_ST_bEUlT_E_NS1_11comp_targetILNS1_3genE8ELNS1_11target_archE1030ELNS1_3gpuE2ELNS1_3repE0EEENS1_30default_config_static_selectorELNS0_4arch9wavefront6targetE0EEEvT1_,comdat
	.globl	_ZN7rocprim17ROCPRIM_400000_NS6detail17trampoline_kernelINS0_14default_configENS1_25transform_config_selectorIlLb0EEEZNS1_14transform_implILb0ES3_S5_NS0_18transform_iteratorINS0_17counting_iteratorImlEEZNS1_24adjacent_difference_implIS3_Lb1ELb0EPlSB_ZN2at6native12_GLOBAL__N_124unique_dim_cuda_templateIhEESt5tupleIJNSC_6TensorESH_SH_EERKSH_lbbbEUlllE1_EE10hipError_tPvRmT2_T3_mT4_P12ihipStream_tbEUlmE_lEESB_NS0_8identityIvEEEESM_SP_SQ_mSR_ST_bEUlT_E_NS1_11comp_targetILNS1_3genE8ELNS1_11target_archE1030ELNS1_3gpuE2ELNS1_3repE0EEENS1_30default_config_static_selectorELNS0_4arch9wavefront6targetE0EEEvT1_ ; -- Begin function _ZN7rocprim17ROCPRIM_400000_NS6detail17trampoline_kernelINS0_14default_configENS1_25transform_config_selectorIlLb0EEEZNS1_14transform_implILb0ES3_S5_NS0_18transform_iteratorINS0_17counting_iteratorImlEEZNS1_24adjacent_difference_implIS3_Lb1ELb0EPlSB_ZN2at6native12_GLOBAL__N_124unique_dim_cuda_templateIhEESt5tupleIJNSC_6TensorESH_SH_EERKSH_lbbbEUlllE1_EE10hipError_tPvRmT2_T3_mT4_P12ihipStream_tbEUlmE_lEESB_NS0_8identityIvEEEESM_SP_SQ_mSR_ST_bEUlT_E_NS1_11comp_targetILNS1_3genE8ELNS1_11target_archE1030ELNS1_3gpuE2ELNS1_3repE0EEENS1_30default_config_static_selectorELNS0_4arch9wavefront6targetE0EEEvT1_
	.p2align	8
	.type	_ZN7rocprim17ROCPRIM_400000_NS6detail17trampoline_kernelINS0_14default_configENS1_25transform_config_selectorIlLb0EEEZNS1_14transform_implILb0ES3_S5_NS0_18transform_iteratorINS0_17counting_iteratorImlEEZNS1_24adjacent_difference_implIS3_Lb1ELb0EPlSB_ZN2at6native12_GLOBAL__N_124unique_dim_cuda_templateIhEESt5tupleIJNSC_6TensorESH_SH_EERKSH_lbbbEUlllE1_EE10hipError_tPvRmT2_T3_mT4_P12ihipStream_tbEUlmE_lEESB_NS0_8identityIvEEEESM_SP_SQ_mSR_ST_bEUlT_E_NS1_11comp_targetILNS1_3genE8ELNS1_11target_archE1030ELNS1_3gpuE2ELNS1_3repE0EEENS1_30default_config_static_selectorELNS0_4arch9wavefront6targetE0EEEvT1_,@function
_ZN7rocprim17ROCPRIM_400000_NS6detail17trampoline_kernelINS0_14default_configENS1_25transform_config_selectorIlLb0EEEZNS1_14transform_implILb0ES3_S5_NS0_18transform_iteratorINS0_17counting_iteratorImlEEZNS1_24adjacent_difference_implIS3_Lb1ELb0EPlSB_ZN2at6native12_GLOBAL__N_124unique_dim_cuda_templateIhEESt5tupleIJNSC_6TensorESH_SH_EERKSH_lbbbEUlllE1_EE10hipError_tPvRmT2_T3_mT4_P12ihipStream_tbEUlmE_lEESB_NS0_8identityIvEEEESM_SP_SQ_mSR_ST_bEUlT_E_NS1_11comp_targetILNS1_3genE8ELNS1_11target_archE1030ELNS1_3gpuE2ELNS1_3repE0EEENS1_30default_config_static_selectorELNS0_4arch9wavefront6targetE0EEEvT1_: ; @_ZN7rocprim17ROCPRIM_400000_NS6detail17trampoline_kernelINS0_14default_configENS1_25transform_config_selectorIlLb0EEEZNS1_14transform_implILb0ES3_S5_NS0_18transform_iteratorINS0_17counting_iteratorImlEEZNS1_24adjacent_difference_implIS3_Lb1ELb0EPlSB_ZN2at6native12_GLOBAL__N_124unique_dim_cuda_templateIhEESt5tupleIJNSC_6TensorESH_SH_EERKSH_lbbbEUlllE1_EE10hipError_tPvRmT2_T3_mT4_P12ihipStream_tbEUlmE_lEESB_NS0_8identityIvEEEESM_SP_SQ_mSR_ST_bEUlT_E_NS1_11comp_targetILNS1_3genE8ELNS1_11target_archE1030ELNS1_3gpuE2ELNS1_3repE0EEENS1_30default_config_static_selectorELNS0_4arch9wavefront6targetE0EEEvT1_
; %bb.0:
	.section	.rodata,"a",@progbits
	.p2align	6, 0x0
	.amdhsa_kernel _ZN7rocprim17ROCPRIM_400000_NS6detail17trampoline_kernelINS0_14default_configENS1_25transform_config_selectorIlLb0EEEZNS1_14transform_implILb0ES3_S5_NS0_18transform_iteratorINS0_17counting_iteratorImlEEZNS1_24adjacent_difference_implIS3_Lb1ELb0EPlSB_ZN2at6native12_GLOBAL__N_124unique_dim_cuda_templateIhEESt5tupleIJNSC_6TensorESH_SH_EERKSH_lbbbEUlllE1_EE10hipError_tPvRmT2_T3_mT4_P12ihipStream_tbEUlmE_lEESB_NS0_8identityIvEEEESM_SP_SQ_mSR_ST_bEUlT_E_NS1_11comp_targetILNS1_3genE8ELNS1_11target_archE1030ELNS1_3gpuE2ELNS1_3repE0EEENS1_30default_config_static_selectorELNS0_4arch9wavefront6targetE0EEEvT1_
		.amdhsa_group_segment_fixed_size 0
		.amdhsa_private_segment_fixed_size 0
		.amdhsa_kernarg_size 56
		.amdhsa_user_sgpr_count 2
		.amdhsa_user_sgpr_dispatch_ptr 0
		.amdhsa_user_sgpr_queue_ptr 0
		.amdhsa_user_sgpr_kernarg_segment_ptr 1
		.amdhsa_user_sgpr_dispatch_id 0
		.amdhsa_user_sgpr_kernarg_preload_length 0
		.amdhsa_user_sgpr_kernarg_preload_offset 0
		.amdhsa_user_sgpr_private_segment_size 0
		.amdhsa_wavefront_size32 1
		.amdhsa_uses_dynamic_stack 0
		.amdhsa_enable_private_segment 0
		.amdhsa_system_sgpr_workgroup_id_x 1
		.amdhsa_system_sgpr_workgroup_id_y 0
		.amdhsa_system_sgpr_workgroup_id_z 0
		.amdhsa_system_sgpr_workgroup_info 0
		.amdhsa_system_vgpr_workitem_id 0
		.amdhsa_next_free_vgpr 1
		.amdhsa_next_free_sgpr 1
		.amdhsa_named_barrier_count 0
		.amdhsa_reserve_vcc 0
		.amdhsa_float_round_mode_32 0
		.amdhsa_float_round_mode_16_64 0
		.amdhsa_float_denorm_mode_32 3
		.amdhsa_float_denorm_mode_16_64 3
		.amdhsa_fp16_overflow 0
		.amdhsa_memory_ordered 1
		.amdhsa_forward_progress 1
		.amdhsa_inst_pref_size 0
		.amdhsa_round_robin_scheduling 0
		.amdhsa_exception_fp_ieee_invalid_op 0
		.amdhsa_exception_fp_denorm_src 0
		.amdhsa_exception_fp_ieee_div_zero 0
		.amdhsa_exception_fp_ieee_overflow 0
		.amdhsa_exception_fp_ieee_underflow 0
		.amdhsa_exception_fp_ieee_inexact 0
		.amdhsa_exception_int_div_zero 0
	.end_amdhsa_kernel
	.section	.text._ZN7rocprim17ROCPRIM_400000_NS6detail17trampoline_kernelINS0_14default_configENS1_25transform_config_selectorIlLb0EEEZNS1_14transform_implILb0ES3_S5_NS0_18transform_iteratorINS0_17counting_iteratorImlEEZNS1_24adjacent_difference_implIS3_Lb1ELb0EPlSB_ZN2at6native12_GLOBAL__N_124unique_dim_cuda_templateIhEESt5tupleIJNSC_6TensorESH_SH_EERKSH_lbbbEUlllE1_EE10hipError_tPvRmT2_T3_mT4_P12ihipStream_tbEUlmE_lEESB_NS0_8identityIvEEEESM_SP_SQ_mSR_ST_bEUlT_E_NS1_11comp_targetILNS1_3genE8ELNS1_11target_archE1030ELNS1_3gpuE2ELNS1_3repE0EEENS1_30default_config_static_selectorELNS0_4arch9wavefront6targetE0EEEvT1_,"axG",@progbits,_ZN7rocprim17ROCPRIM_400000_NS6detail17trampoline_kernelINS0_14default_configENS1_25transform_config_selectorIlLb0EEEZNS1_14transform_implILb0ES3_S5_NS0_18transform_iteratorINS0_17counting_iteratorImlEEZNS1_24adjacent_difference_implIS3_Lb1ELb0EPlSB_ZN2at6native12_GLOBAL__N_124unique_dim_cuda_templateIhEESt5tupleIJNSC_6TensorESH_SH_EERKSH_lbbbEUlllE1_EE10hipError_tPvRmT2_T3_mT4_P12ihipStream_tbEUlmE_lEESB_NS0_8identityIvEEEESM_SP_SQ_mSR_ST_bEUlT_E_NS1_11comp_targetILNS1_3genE8ELNS1_11target_archE1030ELNS1_3gpuE2ELNS1_3repE0EEENS1_30default_config_static_selectorELNS0_4arch9wavefront6targetE0EEEvT1_,comdat
.Lfunc_end74:
	.size	_ZN7rocprim17ROCPRIM_400000_NS6detail17trampoline_kernelINS0_14default_configENS1_25transform_config_selectorIlLb0EEEZNS1_14transform_implILb0ES3_S5_NS0_18transform_iteratorINS0_17counting_iteratorImlEEZNS1_24adjacent_difference_implIS3_Lb1ELb0EPlSB_ZN2at6native12_GLOBAL__N_124unique_dim_cuda_templateIhEESt5tupleIJNSC_6TensorESH_SH_EERKSH_lbbbEUlllE1_EE10hipError_tPvRmT2_T3_mT4_P12ihipStream_tbEUlmE_lEESB_NS0_8identityIvEEEESM_SP_SQ_mSR_ST_bEUlT_E_NS1_11comp_targetILNS1_3genE8ELNS1_11target_archE1030ELNS1_3gpuE2ELNS1_3repE0EEENS1_30default_config_static_selectorELNS0_4arch9wavefront6targetE0EEEvT1_, .Lfunc_end74-_ZN7rocprim17ROCPRIM_400000_NS6detail17trampoline_kernelINS0_14default_configENS1_25transform_config_selectorIlLb0EEEZNS1_14transform_implILb0ES3_S5_NS0_18transform_iteratorINS0_17counting_iteratorImlEEZNS1_24adjacent_difference_implIS3_Lb1ELb0EPlSB_ZN2at6native12_GLOBAL__N_124unique_dim_cuda_templateIhEESt5tupleIJNSC_6TensorESH_SH_EERKSH_lbbbEUlllE1_EE10hipError_tPvRmT2_T3_mT4_P12ihipStream_tbEUlmE_lEESB_NS0_8identityIvEEEESM_SP_SQ_mSR_ST_bEUlT_E_NS1_11comp_targetILNS1_3genE8ELNS1_11target_archE1030ELNS1_3gpuE2ELNS1_3repE0EEENS1_30default_config_static_selectorELNS0_4arch9wavefront6targetE0EEEvT1_
                                        ; -- End function
	.set _ZN7rocprim17ROCPRIM_400000_NS6detail17trampoline_kernelINS0_14default_configENS1_25transform_config_selectorIlLb0EEEZNS1_14transform_implILb0ES3_S5_NS0_18transform_iteratorINS0_17counting_iteratorImlEEZNS1_24adjacent_difference_implIS3_Lb1ELb0EPlSB_ZN2at6native12_GLOBAL__N_124unique_dim_cuda_templateIhEESt5tupleIJNSC_6TensorESH_SH_EERKSH_lbbbEUlllE1_EE10hipError_tPvRmT2_T3_mT4_P12ihipStream_tbEUlmE_lEESB_NS0_8identityIvEEEESM_SP_SQ_mSR_ST_bEUlT_E_NS1_11comp_targetILNS1_3genE8ELNS1_11target_archE1030ELNS1_3gpuE2ELNS1_3repE0EEENS1_30default_config_static_selectorELNS0_4arch9wavefront6targetE0EEEvT1_.num_vgpr, 0
	.set _ZN7rocprim17ROCPRIM_400000_NS6detail17trampoline_kernelINS0_14default_configENS1_25transform_config_selectorIlLb0EEEZNS1_14transform_implILb0ES3_S5_NS0_18transform_iteratorINS0_17counting_iteratorImlEEZNS1_24adjacent_difference_implIS3_Lb1ELb0EPlSB_ZN2at6native12_GLOBAL__N_124unique_dim_cuda_templateIhEESt5tupleIJNSC_6TensorESH_SH_EERKSH_lbbbEUlllE1_EE10hipError_tPvRmT2_T3_mT4_P12ihipStream_tbEUlmE_lEESB_NS0_8identityIvEEEESM_SP_SQ_mSR_ST_bEUlT_E_NS1_11comp_targetILNS1_3genE8ELNS1_11target_archE1030ELNS1_3gpuE2ELNS1_3repE0EEENS1_30default_config_static_selectorELNS0_4arch9wavefront6targetE0EEEvT1_.num_agpr, 0
	.set _ZN7rocprim17ROCPRIM_400000_NS6detail17trampoline_kernelINS0_14default_configENS1_25transform_config_selectorIlLb0EEEZNS1_14transform_implILb0ES3_S5_NS0_18transform_iteratorINS0_17counting_iteratorImlEEZNS1_24adjacent_difference_implIS3_Lb1ELb0EPlSB_ZN2at6native12_GLOBAL__N_124unique_dim_cuda_templateIhEESt5tupleIJNSC_6TensorESH_SH_EERKSH_lbbbEUlllE1_EE10hipError_tPvRmT2_T3_mT4_P12ihipStream_tbEUlmE_lEESB_NS0_8identityIvEEEESM_SP_SQ_mSR_ST_bEUlT_E_NS1_11comp_targetILNS1_3genE8ELNS1_11target_archE1030ELNS1_3gpuE2ELNS1_3repE0EEENS1_30default_config_static_selectorELNS0_4arch9wavefront6targetE0EEEvT1_.numbered_sgpr, 0
	.set _ZN7rocprim17ROCPRIM_400000_NS6detail17trampoline_kernelINS0_14default_configENS1_25transform_config_selectorIlLb0EEEZNS1_14transform_implILb0ES3_S5_NS0_18transform_iteratorINS0_17counting_iteratorImlEEZNS1_24adjacent_difference_implIS3_Lb1ELb0EPlSB_ZN2at6native12_GLOBAL__N_124unique_dim_cuda_templateIhEESt5tupleIJNSC_6TensorESH_SH_EERKSH_lbbbEUlllE1_EE10hipError_tPvRmT2_T3_mT4_P12ihipStream_tbEUlmE_lEESB_NS0_8identityIvEEEESM_SP_SQ_mSR_ST_bEUlT_E_NS1_11comp_targetILNS1_3genE8ELNS1_11target_archE1030ELNS1_3gpuE2ELNS1_3repE0EEENS1_30default_config_static_selectorELNS0_4arch9wavefront6targetE0EEEvT1_.num_named_barrier, 0
	.set _ZN7rocprim17ROCPRIM_400000_NS6detail17trampoline_kernelINS0_14default_configENS1_25transform_config_selectorIlLb0EEEZNS1_14transform_implILb0ES3_S5_NS0_18transform_iteratorINS0_17counting_iteratorImlEEZNS1_24adjacent_difference_implIS3_Lb1ELb0EPlSB_ZN2at6native12_GLOBAL__N_124unique_dim_cuda_templateIhEESt5tupleIJNSC_6TensorESH_SH_EERKSH_lbbbEUlllE1_EE10hipError_tPvRmT2_T3_mT4_P12ihipStream_tbEUlmE_lEESB_NS0_8identityIvEEEESM_SP_SQ_mSR_ST_bEUlT_E_NS1_11comp_targetILNS1_3genE8ELNS1_11target_archE1030ELNS1_3gpuE2ELNS1_3repE0EEENS1_30default_config_static_selectorELNS0_4arch9wavefront6targetE0EEEvT1_.private_seg_size, 0
	.set _ZN7rocprim17ROCPRIM_400000_NS6detail17trampoline_kernelINS0_14default_configENS1_25transform_config_selectorIlLb0EEEZNS1_14transform_implILb0ES3_S5_NS0_18transform_iteratorINS0_17counting_iteratorImlEEZNS1_24adjacent_difference_implIS3_Lb1ELb0EPlSB_ZN2at6native12_GLOBAL__N_124unique_dim_cuda_templateIhEESt5tupleIJNSC_6TensorESH_SH_EERKSH_lbbbEUlllE1_EE10hipError_tPvRmT2_T3_mT4_P12ihipStream_tbEUlmE_lEESB_NS0_8identityIvEEEESM_SP_SQ_mSR_ST_bEUlT_E_NS1_11comp_targetILNS1_3genE8ELNS1_11target_archE1030ELNS1_3gpuE2ELNS1_3repE0EEENS1_30default_config_static_selectorELNS0_4arch9wavefront6targetE0EEEvT1_.uses_vcc, 0
	.set _ZN7rocprim17ROCPRIM_400000_NS6detail17trampoline_kernelINS0_14default_configENS1_25transform_config_selectorIlLb0EEEZNS1_14transform_implILb0ES3_S5_NS0_18transform_iteratorINS0_17counting_iteratorImlEEZNS1_24adjacent_difference_implIS3_Lb1ELb0EPlSB_ZN2at6native12_GLOBAL__N_124unique_dim_cuda_templateIhEESt5tupleIJNSC_6TensorESH_SH_EERKSH_lbbbEUlllE1_EE10hipError_tPvRmT2_T3_mT4_P12ihipStream_tbEUlmE_lEESB_NS0_8identityIvEEEESM_SP_SQ_mSR_ST_bEUlT_E_NS1_11comp_targetILNS1_3genE8ELNS1_11target_archE1030ELNS1_3gpuE2ELNS1_3repE0EEENS1_30default_config_static_selectorELNS0_4arch9wavefront6targetE0EEEvT1_.uses_flat_scratch, 0
	.set _ZN7rocprim17ROCPRIM_400000_NS6detail17trampoline_kernelINS0_14default_configENS1_25transform_config_selectorIlLb0EEEZNS1_14transform_implILb0ES3_S5_NS0_18transform_iteratorINS0_17counting_iteratorImlEEZNS1_24adjacent_difference_implIS3_Lb1ELb0EPlSB_ZN2at6native12_GLOBAL__N_124unique_dim_cuda_templateIhEESt5tupleIJNSC_6TensorESH_SH_EERKSH_lbbbEUlllE1_EE10hipError_tPvRmT2_T3_mT4_P12ihipStream_tbEUlmE_lEESB_NS0_8identityIvEEEESM_SP_SQ_mSR_ST_bEUlT_E_NS1_11comp_targetILNS1_3genE8ELNS1_11target_archE1030ELNS1_3gpuE2ELNS1_3repE0EEENS1_30default_config_static_selectorELNS0_4arch9wavefront6targetE0EEEvT1_.has_dyn_sized_stack, 0
	.set _ZN7rocprim17ROCPRIM_400000_NS6detail17trampoline_kernelINS0_14default_configENS1_25transform_config_selectorIlLb0EEEZNS1_14transform_implILb0ES3_S5_NS0_18transform_iteratorINS0_17counting_iteratorImlEEZNS1_24adjacent_difference_implIS3_Lb1ELb0EPlSB_ZN2at6native12_GLOBAL__N_124unique_dim_cuda_templateIhEESt5tupleIJNSC_6TensorESH_SH_EERKSH_lbbbEUlllE1_EE10hipError_tPvRmT2_T3_mT4_P12ihipStream_tbEUlmE_lEESB_NS0_8identityIvEEEESM_SP_SQ_mSR_ST_bEUlT_E_NS1_11comp_targetILNS1_3genE8ELNS1_11target_archE1030ELNS1_3gpuE2ELNS1_3repE0EEENS1_30default_config_static_selectorELNS0_4arch9wavefront6targetE0EEEvT1_.has_recursion, 0
	.set _ZN7rocprim17ROCPRIM_400000_NS6detail17trampoline_kernelINS0_14default_configENS1_25transform_config_selectorIlLb0EEEZNS1_14transform_implILb0ES3_S5_NS0_18transform_iteratorINS0_17counting_iteratorImlEEZNS1_24adjacent_difference_implIS3_Lb1ELb0EPlSB_ZN2at6native12_GLOBAL__N_124unique_dim_cuda_templateIhEESt5tupleIJNSC_6TensorESH_SH_EERKSH_lbbbEUlllE1_EE10hipError_tPvRmT2_T3_mT4_P12ihipStream_tbEUlmE_lEESB_NS0_8identityIvEEEESM_SP_SQ_mSR_ST_bEUlT_E_NS1_11comp_targetILNS1_3genE8ELNS1_11target_archE1030ELNS1_3gpuE2ELNS1_3repE0EEENS1_30default_config_static_selectorELNS0_4arch9wavefront6targetE0EEEvT1_.has_indirect_call, 0
	.section	.AMDGPU.csdata,"",@progbits
; Kernel info:
; codeLenInByte = 0
; TotalNumSgprs: 0
; NumVgprs: 0
; ScratchSize: 0
; MemoryBound: 0
; FloatMode: 240
; IeeeMode: 1
; LDSByteSize: 0 bytes/workgroup (compile time only)
; SGPRBlocks: 0
; VGPRBlocks: 0
; NumSGPRsForWavesPerEU: 1
; NumVGPRsForWavesPerEU: 1
; NamedBarCnt: 0
; Occupancy: 16
; WaveLimiterHint : 0
; COMPUTE_PGM_RSRC2:SCRATCH_EN: 0
; COMPUTE_PGM_RSRC2:USER_SGPR: 2
; COMPUTE_PGM_RSRC2:TRAP_HANDLER: 0
; COMPUTE_PGM_RSRC2:TGID_X_EN: 1
; COMPUTE_PGM_RSRC2:TGID_Y_EN: 0
; COMPUTE_PGM_RSRC2:TGID_Z_EN: 0
; COMPUTE_PGM_RSRC2:TIDIG_COMP_CNT: 0
	.section	.text._ZN7rocprim17ROCPRIM_400000_NS6detail17trampoline_kernelINS0_14default_configENS1_35adjacent_difference_config_selectorILb1ElEEZNS1_24adjacent_difference_implIS3_Lb1ELb0EPlS7_ZN2at6native12_GLOBAL__N_124unique_dim_cuda_templateIhEESt5tupleIJNS8_6TensorESD_SD_EERKSD_lbbbEUlllE1_EE10hipError_tPvRmT2_T3_mT4_P12ihipStream_tbEUlT_E_NS1_11comp_targetILNS1_3genE0ELNS1_11target_archE4294967295ELNS1_3gpuE0ELNS1_3repE0EEENS1_30default_config_static_selectorELNS0_4arch9wavefront6targetE0EEEvT1_,"axG",@progbits,_ZN7rocprim17ROCPRIM_400000_NS6detail17trampoline_kernelINS0_14default_configENS1_35adjacent_difference_config_selectorILb1ElEEZNS1_24adjacent_difference_implIS3_Lb1ELb0EPlS7_ZN2at6native12_GLOBAL__N_124unique_dim_cuda_templateIhEESt5tupleIJNS8_6TensorESD_SD_EERKSD_lbbbEUlllE1_EE10hipError_tPvRmT2_T3_mT4_P12ihipStream_tbEUlT_E_NS1_11comp_targetILNS1_3genE0ELNS1_11target_archE4294967295ELNS1_3gpuE0ELNS1_3repE0EEENS1_30default_config_static_selectorELNS0_4arch9wavefront6targetE0EEEvT1_,comdat
	.globl	_ZN7rocprim17ROCPRIM_400000_NS6detail17trampoline_kernelINS0_14default_configENS1_35adjacent_difference_config_selectorILb1ElEEZNS1_24adjacent_difference_implIS3_Lb1ELb0EPlS7_ZN2at6native12_GLOBAL__N_124unique_dim_cuda_templateIhEESt5tupleIJNS8_6TensorESD_SD_EERKSD_lbbbEUlllE1_EE10hipError_tPvRmT2_T3_mT4_P12ihipStream_tbEUlT_E_NS1_11comp_targetILNS1_3genE0ELNS1_11target_archE4294967295ELNS1_3gpuE0ELNS1_3repE0EEENS1_30default_config_static_selectorELNS0_4arch9wavefront6targetE0EEEvT1_ ; -- Begin function _ZN7rocprim17ROCPRIM_400000_NS6detail17trampoline_kernelINS0_14default_configENS1_35adjacent_difference_config_selectorILb1ElEEZNS1_24adjacent_difference_implIS3_Lb1ELb0EPlS7_ZN2at6native12_GLOBAL__N_124unique_dim_cuda_templateIhEESt5tupleIJNS8_6TensorESD_SD_EERKSD_lbbbEUlllE1_EE10hipError_tPvRmT2_T3_mT4_P12ihipStream_tbEUlT_E_NS1_11comp_targetILNS1_3genE0ELNS1_11target_archE4294967295ELNS1_3gpuE0ELNS1_3repE0EEENS1_30default_config_static_selectorELNS0_4arch9wavefront6targetE0EEEvT1_
	.p2align	8
	.type	_ZN7rocprim17ROCPRIM_400000_NS6detail17trampoline_kernelINS0_14default_configENS1_35adjacent_difference_config_selectorILb1ElEEZNS1_24adjacent_difference_implIS3_Lb1ELb0EPlS7_ZN2at6native12_GLOBAL__N_124unique_dim_cuda_templateIhEESt5tupleIJNS8_6TensorESD_SD_EERKSD_lbbbEUlllE1_EE10hipError_tPvRmT2_T3_mT4_P12ihipStream_tbEUlT_E_NS1_11comp_targetILNS1_3genE0ELNS1_11target_archE4294967295ELNS1_3gpuE0ELNS1_3repE0EEENS1_30default_config_static_selectorELNS0_4arch9wavefront6targetE0EEEvT1_,@function
_ZN7rocprim17ROCPRIM_400000_NS6detail17trampoline_kernelINS0_14default_configENS1_35adjacent_difference_config_selectorILb1ElEEZNS1_24adjacent_difference_implIS3_Lb1ELb0EPlS7_ZN2at6native12_GLOBAL__N_124unique_dim_cuda_templateIhEESt5tupleIJNS8_6TensorESD_SD_EERKSD_lbbbEUlllE1_EE10hipError_tPvRmT2_T3_mT4_P12ihipStream_tbEUlT_E_NS1_11comp_targetILNS1_3genE0ELNS1_11target_archE4294967295ELNS1_3gpuE0ELNS1_3repE0EEENS1_30default_config_static_selectorELNS0_4arch9wavefront6targetE0EEEvT1_: ; @_ZN7rocprim17ROCPRIM_400000_NS6detail17trampoline_kernelINS0_14default_configENS1_35adjacent_difference_config_selectorILb1ElEEZNS1_24adjacent_difference_implIS3_Lb1ELb0EPlS7_ZN2at6native12_GLOBAL__N_124unique_dim_cuda_templateIhEESt5tupleIJNS8_6TensorESD_SD_EERKSD_lbbbEUlllE1_EE10hipError_tPvRmT2_T3_mT4_P12ihipStream_tbEUlT_E_NS1_11comp_targetILNS1_3genE0ELNS1_11target_archE4294967295ELNS1_3gpuE0ELNS1_3repE0EEENS1_30default_config_static_selectorELNS0_4arch9wavefront6targetE0EEEvT1_
; %bb.0:
	s_load_b512 s[4:19], s[0:1], 0x0
	s_wait_xcnt 0x0
	s_bfe_u32 s0, ttmp6, 0x4000c
	s_and_b32 s1, ttmp6, 15
	s_add_co_i32 s0, s0, 1
	s_getreg_b32 s2, hwreg(HW_REG_IB_STS2, 6, 4)
	s_mul_i32 s0, ttmp9, s0
	s_mov_b32 s25, 0
	s_add_co_i32 s1, s1, s0
	s_wait_kmcnt 0x0
	s_lshl_b64 s[20:21], s[6:7], 3
	s_cmp_eq_u32 s2, 0
	s_add_nc_u64 s[4:5], s[4:5], s[20:21]
	s_cselect_b32 s3, ttmp9, s1
	s_and_b64 s[6:7], s[10:11], 0x3ff
	s_lshr_b64 s[0:1], s[10:11], 10
	s_lshl_b32 s2, s3, 10
	s_cmp_lg_u64 s[6:7], 0
	s_cselect_b32 s6, -1, 0
	s_delay_alu instid0(SALU_CYCLE_1) | instskip(NEXT) | instid1(VALU_DEP_1)
	v_cndmask_b32_e64 v1, 0, 1, s6
	v_readfirstlane_b32 s24, v1
	s_add_nc_u64 s[0:1], s[0:1], s[24:25]
	s_mov_b32 s24, s3
	s_add_nc_u64 s[6:7], s[0:1], -1
	s_add_nc_u64 s[22:23], s[18:19], s[24:25]
	s_mov_b32 s3, -1
	v_cmp_ge_u64_e64 s11, s[22:23], s[6:7]
	s_and_b32 vcc_lo, exec_lo, s11
	s_cbranch_vccz .LBB75_6
; %bb.1:
	v_mov_b32_e32 v2, 0
	s_lshl_b32 s3, s6, 10
	s_delay_alu instid0(SALU_CYCLE_1) | instskip(SKIP_1) | instid1(VALU_DEP_1)
	s_sub_co_i32 s28, s10, s3
	s_mov_b32 s3, s25
	v_dual_mov_b32 v3, v2 :: v_dual_mov_b32 v4, v2
	v_mov_b32_e32 v5, v2
	s_lshl_b64 s[26:27], s[2:3], 3
	s_mov_b32 s3, exec_lo
	s_add_nc_u64 s[26:27], s[4:5], s[26:27]
	v_cmpx_gt_u32_e64 s28, v0
	s_cbranch_execz .LBB75_3
; %bb.2:
	global_load_b64 v[4:5], v0, s[26:27] scale_offset
	v_dual_mov_b32 v6, v2 :: v_dual_mov_b32 v7, v2
	s_wait_loadcnt 0x0
	v_mov_b64_e32 v[2:3], v[4:5]
	s_delay_alu instid0(VALU_DEP_2)
	v_mov_b64_e32 v[4:5], v[6:7]
.LBB75_3:
	s_or_b32 exec_lo, exec_lo, s3
	v_or_b32_e32 v1, 0x200, v0
	s_mov_b32 s3, exec_lo
	s_delay_alu instid0(VALU_DEP_1)
	v_cmpx_gt_u32_e64 s28, v1
	s_cbranch_execz .LBB75_5
; %bb.4:
	global_load_b64 v[4:5], v0, s[26:27] offset:4096 scale_offset
.LBB75_5:
	s_wait_xcnt 0x0
	s_or_b32 exec_lo, exec_lo, s3
	v_dual_lshrrev_b32 v6, 2, v0 :: v_dual_lshrrev_b32 v1, 2, v1
	v_lshlrev_b32_e32 v7, 3, v0
	s_mov_b32 s3, 0
	s_delay_alu instid0(VALU_DEP_2) | instskip(NEXT) | instid1(VALU_DEP_3)
	v_and_b32_e32 v6, 0x78, v6
	v_and_b32_e32 v1, 0xf8, v1
	s_delay_alu instid0(VALU_DEP_1)
	v_dual_add_nc_u32 v6, v6, v7 :: v_dual_add_nc_u32 v1, v1, v7
	ds_store_b64 v6, v[2:3]
	s_wait_loadcnt 0x0
	ds_store_b64 v1, v[4:5] offset:4096
	s_wait_dscnt 0x0
	s_barrier_signal -1
	s_barrier_wait -1
.LBB75_6:
	s_and_b32 vcc_lo, exec_lo, s3
	s_cbranch_vccz .LBB75_8
; %bb.7:
	s_mov_b32 s3, 0
	v_or_b32_e32 v1, 0x200, v0
	s_lshl_b64 s[26:27], s[2:3], 3
	v_lshrrev_b32_e32 v6, 2, v0
	s_add_nc_u64 s[4:5], s[4:5], s[26:27]
	v_lshlrev_b32_e32 v7, 3, v0
	s_clause 0x1
	global_load_b64 v[2:3], v0, s[4:5] scale_offset
	global_load_b64 v[4:5], v0, s[4:5] offset:4096 scale_offset
	v_lshrrev_b32_e32 v1, 2, v1
	v_and_b32_e32 v6, 0x78, v6
	s_delay_alu instid0(VALU_DEP_2) | instskip(NEXT) | instid1(VALU_DEP_1)
	v_and_b32_e32 v1, 0xf8, v1
	v_dual_add_nc_u32 v6, v6, v7 :: v_dual_add_nc_u32 v1, v1, v7
	s_wait_loadcnt 0x1
	ds_store_b64 v6, v[2:3]
	s_wait_loadcnt 0x0
	ds_store_b64 v1, v[4:5] offset:4096
	s_wait_dscnt 0x0
	s_barrier_signal -1
	s_barrier_wait -1
.LBB75_8:
	v_lshrrev_b32_e32 v1, 1, v0
	s_cmp_eq_u64 s[22:23], 0
	s_delay_alu instid0(VALU_DEP_1) | instskip(NEXT) | instid1(VALU_DEP_1)
	v_and_b32_e32 v1, 0xf8, v1
	v_lshl_add_u32 v1, v0, 4, v1
	ds_load_2addr_b64 v[2:5], v1 offset1:1
	s_wait_dscnt 0x0
	s_barrier_signal -1
	s_barrier_wait -1
	s_cbranch_scc1 .LBB75_15
; %bb.9:
	s_lshl_b64 s[4:5], s[18:19], 3
	s_delay_alu instid0(SALU_CYCLE_1) | instskip(SKIP_3) | instid1(SALU_CYCLE_1)
	s_add_nc_u64 s[4:5], s[16:17], s[4:5]
	s_lshl_b64 s[16:17], s[24:25], 3
	s_cmp_eq_u64 s[22:23], s[6:7]
	s_add_nc_u64 s[4:5], s[4:5], s[16:17]
	s_add_nc_u64 s[4:5], s[4:5], -8
	s_load_b64 s[4:5], s[4:5], 0x0
	s_cbranch_scc1 .LBB75_16
; %bb.10:
	v_cmp_lt_i64_e64 s7, s[12:13], 1
	v_mov_b64_e32 v[8:9], 0
	v_cmp_gt_i64_e64 s3, s[12:13], 0
	v_lshlrev_b32_e32 v12, 3, v0
	s_and_b32 vcc_lo, exec_lo, s7
	ds_store_b64 v12, v[4:5]
	s_cbranch_vccnz .LBB75_18
; %bb.11:
	v_mad_nc_u64_u32 v[6:7], v4, s12, s[14:15]
	v_mad_nc_u64_u32 v[10:11], v2, s12, s[14:15]
	s_mov_b32 s7, 0
	s_mov_b64 s[16:17], s[12:13]
                                        ; implicit-def: $sgpr18
	s_delay_alu instid0(VALU_DEP_2) | instskip(NEXT) | instid1(VALU_DEP_2)
	v_mad_u32 v7, v5, s12, v7
	v_mad_u32 v8, v3, s12, v11
	s_delay_alu instid0(VALU_DEP_2) | instskip(NEXT) | instid1(VALU_DEP_2)
	v_mad_u32 v7, v4, s13, v7
	v_mad_u32 v11, v2, s13, v8
	s_branch .LBB75_13
.LBB75_12:                              ;   in Loop: Header=BB75_13 Depth=1
	s_or_b32 exec_lo, exec_lo, s19
	s_delay_alu instid0(SALU_CYCLE_1) | instskip(NEXT) | instid1(SALU_CYCLE_1)
	s_and_b32 s19, exec_lo, s18
	s_or_b32 s7, s19, s7
	s_delay_alu instid0(SALU_CYCLE_1)
	s_and_not1_b32 exec_lo, exec_lo, s7
	s_cbranch_execz .LBB75_17
.LBB75_13:                              ; =>This Inner Loop Header: Depth=1
	global_load_u8 v13, v[6:7], off
	global_load_u8 v14, v[10:11], off
	v_mov_b64_e32 v[8:9], 1
	s_or_b32 s18, s18, exec_lo
	s_mov_b32 s19, exec_lo
	s_wait_loadcnt 0x0
	v_cmpx_eq_u16_e64 v13, v14
	s_cbranch_execz .LBB75_12
; %bb.14:                               ;   in Loop: Header=BB75_13 Depth=1
	s_add_nc_u64 s[16:17], s[16:17], -1
	v_add_nc_u64_e32 v[6:7], 1, v[6:7]
	s_cmp_eq_u64 s[16:17], 0
	v_add_nc_u64_e32 v[10:11], 1, v[10:11]
	v_mov_b64_e32 v[8:9], 0
	s_cselect_b32 s23, -1, 0
	s_and_not1_b32 s18, s18, exec_lo
	s_and_b32 s23, s23, exec_lo
	s_delay_alu instid0(SALU_CYCLE_1)
	s_or_b32 s18, s18, s23
	s_branch .LBB75_12
.LBB75_15:
                                        ; implicit-def: $vgpr8_vgpr9
                                        ; implicit-def: $vgpr6_vgpr7
	s_branch .LBB75_47
.LBB75_16:
                                        ; implicit-def: $vgpr8_vgpr9
                                        ; implicit-def: $vgpr6_vgpr7
	s_cbranch_execnz .LBB75_27
	s_branch .LBB75_46
.LBB75_17:
	s_or_b32 exec_lo, exec_lo, s7
.LBB75_18:
	s_wait_kmcnt 0x0
	v_mov_b64_e32 v[6:7], s[4:5]
	s_mov_b32 s7, exec_lo
	s_wait_dscnt 0x0
	s_barrier_signal -1
	s_barrier_wait -1
	v_cmpx_ne_u32_e32 0, v0
; %bb.19:
	v_add_nc_u32_e32 v6, -8, v12
	ds_load_b64 v[6:7], v6
; %bb.20:
	s_or_b32 exec_lo, exec_lo, s7
	s_delay_alu instid0(SALU_CYCLE_1)
	s_and_not1_b32 vcc_lo, exec_lo, s3
	s_cbranch_vccnz .LBB75_26
; %bb.21:
	v_mad_nc_u64_u32 v[10:11], v2, s12, s[14:15]
	s_wait_dscnt 0x0
	v_mad_nc_u64_u32 v[12:13], v6, s12, s[14:15]
	s_mov_b32 s3, 0
	s_mov_b64 s[16:17], s[12:13]
                                        ; implicit-def: $sgpr7
	s_delay_alu instid0(VALU_DEP_2) | instskip(NEXT) | instid1(VALU_DEP_2)
	v_mad_u32 v11, v3, s12, v11
	v_mad_u32 v7, v7, s12, v13
	s_delay_alu instid0(VALU_DEP_2) | instskip(NEXT) | instid1(VALU_DEP_2)
	v_mad_u32 v11, v2, s13, v11
	v_mad_u32 v13, v6, s13, v7
	s_branch .LBB75_23
.LBB75_22:                              ;   in Loop: Header=BB75_23 Depth=1
	s_or_b32 exec_lo, exec_lo, s18
	s_delay_alu instid0(SALU_CYCLE_1) | instskip(NEXT) | instid1(SALU_CYCLE_1)
	s_and_b32 s18, exec_lo, s7
	s_or_b32 s3, s18, s3
	s_delay_alu instid0(SALU_CYCLE_1)
	s_and_not1_b32 exec_lo, exec_lo, s3
	s_cbranch_execz .LBB75_25
.LBB75_23:                              ; =>This Inner Loop Header: Depth=1
	global_load_u8 v14, v[10:11], off
	global_load_u8 v15, v[12:13], off
	v_mov_b64_e32 v[6:7], 1
	s_or_b32 s7, s7, exec_lo
	s_mov_b32 s18, exec_lo
	s_wait_loadcnt 0x0
	v_cmpx_eq_u16_e64 v14, v15
	s_cbranch_execz .LBB75_22
; %bb.24:                               ;   in Loop: Header=BB75_23 Depth=1
	s_add_nc_u64 s[16:17], s[16:17], -1
	v_add_nc_u64_e32 v[10:11], 1, v[10:11]
	s_cmp_eq_u64 s[16:17], 0
	v_add_nc_u64_e32 v[12:13], 1, v[12:13]
	v_mov_b64_e32 v[6:7], 0
	s_cselect_b32 s19, -1, 0
	s_and_not1_b32 s7, s7, exec_lo
	s_and_b32 s19, s19, exec_lo
	s_delay_alu instid0(SALU_CYCLE_1)
	s_or_b32 s7, s7, s19
	s_branch .LBB75_22
.LBB75_25:
	s_or_b32 exec_lo, exec_lo, s3
	s_branch .LBB75_46
.LBB75_26:
	s_wait_dscnt 0x0
	v_mov_b64_e32 v[6:7], 0
	s_branch .LBB75_46
.LBB75_27:
	v_dual_lshlrev_b32 v12, 1, v0 :: v_dual_lshlrev_b32 v13, 3, v0
	v_mov_b64_e32 v[8:9], v[4:5]
	s_lshl_b32 s3, s22, 10
	s_mov_b32 s7, exec_lo
	s_delay_alu instid0(VALU_DEP_2)
	v_or_b32_e32 v10, 1, v12
	s_sub_co_i32 s3, s10, s3
	v_mov_b64_e32 v[6:7], v[2:3]
	ds_store_b64 v13, v[4:5]
	v_cmpx_gt_u32_e64 s3, v10
	s_cbranch_execz .LBB75_35
; %bb.28:
	v_cmp_lt_i64_e64 s16, s[12:13], 1
	s_and_b32 vcc_lo, exec_lo, s16
	s_cbranch_vccnz .LBB75_34
; %bb.29:
	v_mad_nc_u64_u32 v[6:7], v4, s12, s[14:15]
	v_mad_nc_u64_u32 v[10:11], v2, s12, s[14:15]
	s_mov_b32 s18, 0
	s_mov_b64 s[16:17], s[12:13]
                                        ; implicit-def: $sgpr19
	s_delay_alu instid0(VALU_DEP_2) | instskip(NEXT) | instid1(VALU_DEP_2)
	v_mad_u32 v7, v5, s12, v7
	v_mad_u32 v8, v3, s12, v11
	s_delay_alu instid0(VALU_DEP_2) | instskip(NEXT) | instid1(VALU_DEP_2)
	v_mad_u32 v7, v4, s13, v7
	v_mad_u32 v11, v2, s13, v8
	s_branch .LBB75_31
.LBB75_30:                              ;   in Loop: Header=BB75_31 Depth=1
	s_or_b32 exec_lo, exec_lo, s22
	s_delay_alu instid0(SALU_CYCLE_1) | instskip(NEXT) | instid1(SALU_CYCLE_1)
	s_and_b32 s22, exec_lo, s19
	s_or_b32 s18, s22, s18
	s_delay_alu instid0(SALU_CYCLE_1)
	s_and_not1_b32 exec_lo, exec_lo, s18
	s_cbranch_execz .LBB75_33
.LBB75_31:                              ; =>This Inner Loop Header: Depth=1
	global_load_u8 v14, v[6:7], off
	global_load_u8 v15, v[10:11], off
	v_mov_b64_e32 v[8:9], 1
	s_or_b32 s19, s19, exec_lo
	s_mov_b32 s22, exec_lo
	s_wait_loadcnt 0x0
	v_cmpx_eq_u16_e64 v14, v15
	s_cbranch_execz .LBB75_30
; %bb.32:                               ;   in Loop: Header=BB75_31 Depth=1
	s_add_nc_u64 s[16:17], s[16:17], -1
	v_add_nc_u64_e32 v[6:7], 1, v[6:7]
	s_cmp_eq_u64 s[16:17], 0
	v_add_nc_u64_e32 v[10:11], 1, v[10:11]
	s_cselect_b32 s23, -1, 0
	s_and_not1_b32 s19, s19, exec_lo
	s_and_b32 s23, s23, exec_lo
	v_mov_b64_e32 v[8:9], 0
	s_or_b32 s19, s19, s23
	s_branch .LBB75_30
.LBB75_33:
	s_or_b32 exec_lo, exec_lo, s18
	s_branch .LBB75_35
.LBB75_34:
	v_mov_b64_e32 v[8:9], 0
.LBB75_35:
	s_or_b32 exec_lo, exec_lo, s7
	s_wait_kmcnt 0x0
	v_mov_b64_e32 v[14:15], s[4:5]
	s_mov_b32 s4, exec_lo
	s_wait_dscnt 0x0
	s_barrier_signal -1
	s_barrier_wait -1
	v_cmpx_ne_u32_e32 0, v0
; %bb.36:
	v_add_nc_u32_e32 v6, -8, v13
	ds_load_b64 v[14:15], v6
; %bb.37:
	s_or_b32 exec_lo, exec_lo, s4
	v_mov_b64_e32 v[6:7], v[2:3]
	v_cmp_gt_u32_e32 vcc_lo, s3, v12
	s_and_saveexec_b32 s3, vcc_lo
	s_cbranch_execz .LBB75_45
; %bb.38:
	v_cmp_lt_i64_e64 s4, s[12:13], 1
	s_and_b32 vcc_lo, exec_lo, s4
	s_cbranch_vccnz .LBB75_44
; %bb.39:
	v_mad_nc_u64_u32 v[10:11], v2, s12, s[14:15]
	s_wait_dscnt 0x0
	v_mad_nc_u64_u32 v[12:13], v14, s12, s[14:15]
	s_mov_b32 s7, 0
	s_mov_b64 s[4:5], s[12:13]
                                        ; implicit-def: $sgpr16
	s_delay_alu instid0(VALU_DEP_2) | instskip(NEXT) | instid1(VALU_DEP_2)
	v_mad_u32 v6, v3, s12, v11
	v_mad_u32 v7, v15, s12, v13
	s_delay_alu instid0(VALU_DEP_2) | instskip(NEXT) | instid1(VALU_DEP_2)
	v_mad_u32 v11, v2, s13, v6
	v_mad_u32 v13, v14, s13, v7
	s_branch .LBB75_41
.LBB75_40:                              ;   in Loop: Header=BB75_41 Depth=1
	s_or_b32 exec_lo, exec_lo, s17
	s_delay_alu instid0(SALU_CYCLE_1) | instskip(NEXT) | instid1(SALU_CYCLE_1)
	s_and_b32 s17, exec_lo, s16
	s_or_b32 s7, s17, s7
	s_delay_alu instid0(SALU_CYCLE_1)
	s_and_not1_b32 exec_lo, exec_lo, s7
	s_cbranch_execz .LBB75_43
.LBB75_41:                              ; =>This Inner Loop Header: Depth=1
	global_load_u8 v14, v[10:11], off
	global_load_u8 v15, v[12:13], off
	v_mov_b64_e32 v[6:7], 1
	s_or_b32 s16, s16, exec_lo
	s_mov_b32 s17, exec_lo
	s_wait_loadcnt 0x0
	v_cmpx_eq_u16_e64 v14, v15
	s_cbranch_execz .LBB75_40
; %bb.42:                               ;   in Loop: Header=BB75_41 Depth=1
	s_add_nc_u64 s[4:5], s[4:5], -1
	v_add_nc_u64_e32 v[10:11], 1, v[10:11]
	s_cmp_eq_u64 s[4:5], 0
	v_add_nc_u64_e32 v[12:13], 1, v[12:13]
	v_mov_b64_e32 v[6:7], 0
	s_cselect_b32 s18, -1, 0
	s_and_not1_b32 s16, s16, exec_lo
	s_and_b32 s18, s18, exec_lo
	s_delay_alu instid0(SALU_CYCLE_1)
	s_or_b32 s16, s16, s18
	s_branch .LBB75_40
.LBB75_43:
	s_or_b32 exec_lo, exec_lo, s7
	s_branch .LBB75_45
.LBB75_44:
	v_mov_b64_e32 v[6:7], 0
.LBB75_45:
	s_or_b32 exec_lo, exec_lo, s3
.LBB75_46:
	s_cbranch_execnz .LBB75_81
.LBB75_47:
	s_cmp_eq_u64 s[0:1], 1
	s_cbranch_scc1 .LBB75_53
; %bb.48:
	v_cmp_lt_i64_e64 s0, s[12:13], 1
	v_mov_b64_e32 v[8:9], 0
	s_wait_kmcnt 0x0
	v_cmp_gt_i64_e64 s4, s[12:13], 0
	v_lshlrev_b32_e32 v12, 3, v0
	s_and_b32 vcc_lo, exec_lo, s0
	ds_store_b64 v12, v[4:5]
	s_cbranch_vccnz .LBB75_55
; %bb.49:
	v_mad_nc_u64_u32 v[6:7], v4, s12, s[14:15]
	v_mad_nc_u64_u32 v[10:11], v2, s12, s[14:15]
	s_mov_b32 s3, 0
	s_mov_b64 s[0:1], s[12:13]
                                        ; implicit-def: $sgpr5
	s_delay_alu instid0(VALU_DEP_2) | instskip(NEXT) | instid1(VALU_DEP_2)
	v_mad_u32 v7, v5, s12, v7
	v_mad_u32 v8, v3, s12, v11
	s_delay_alu instid0(VALU_DEP_2) | instskip(NEXT) | instid1(VALU_DEP_2)
	v_mad_u32 v7, v4, s13, v7
	v_mad_u32 v11, v2, s13, v8
	s_branch .LBB75_51
.LBB75_50:                              ;   in Loop: Header=BB75_51 Depth=1
	s_or_b32 exec_lo, exec_lo, s7
	s_delay_alu instid0(SALU_CYCLE_1) | instskip(NEXT) | instid1(SALU_CYCLE_1)
	s_and_b32 s7, exec_lo, s5
	s_or_b32 s3, s7, s3
	s_delay_alu instid0(SALU_CYCLE_1)
	s_and_not1_b32 exec_lo, exec_lo, s3
	s_cbranch_execz .LBB75_54
.LBB75_51:                              ; =>This Inner Loop Header: Depth=1
	global_load_u8 v13, v[6:7], off
	s_wait_dscnt 0x1
	global_load_u8 v14, v[10:11], off
	v_mov_b64_e32 v[8:9], 1
	s_or_b32 s5, s5, exec_lo
	s_mov_b32 s7, exec_lo
	s_wait_loadcnt 0x0
	v_cmpx_eq_u16_e64 v13, v14
	s_cbranch_execz .LBB75_50
; %bb.52:                               ;   in Loop: Header=BB75_51 Depth=1
	s_add_nc_u64 s[0:1], s[0:1], -1
	v_add_nc_u64_e32 v[6:7], 1, v[6:7]
	s_cmp_eq_u64 s[0:1], 0
	v_add_nc_u64_e32 v[10:11], 1, v[10:11]
	v_mov_b64_e32 v[8:9], 0
	s_cselect_b32 s16, -1, 0
	s_and_not1_b32 s5, s5, exec_lo
	s_and_b32 s16, s16, exec_lo
	s_delay_alu instid0(SALU_CYCLE_1)
	s_or_b32 s5, s5, s16
	s_branch .LBB75_50
.LBB75_53:
                                        ; implicit-def: $vgpr8_vgpr9
                                        ; implicit-def: $vgpr6_vgpr7
	s_cbranch_execnz .LBB75_63
	s_branch .LBB75_81
.LBB75_54:
	s_or_b32 exec_lo, exec_lo, s3
.LBB75_55:
	v_mov_b64_e32 v[6:7], v[2:3]
	s_mov_b32 s3, 0
	s_mov_b32 s5, exec_lo
	s_wait_dscnt 0x0
	s_barrier_signal -1
	s_barrier_wait -1
	v_cmpx_ne_u32_e32 0, v0
	s_cbranch_execz .LBB75_62
; %bb.56:
	s_and_not1_b32 vcc_lo, exec_lo, s4
	s_cbranch_vccnz .LBB75_70
; %bb.57:
	v_add_nc_u32_e32 v6, -8, v12
	v_mad_nc_u64_u32 v[10:11], v2, s12, s[14:15]
	s_mov_b32 s4, 0
	s_mov_b64 s[0:1], s[12:13]
                                        ; implicit-def: $sgpr7
	ds_load_b64 v[6:7], v6
	v_mad_u32 v11, v3, s12, v11
	s_delay_alu instid0(VALU_DEP_1) | instskip(SKIP_2) | instid1(VALU_DEP_1)
	v_mad_u32 v11, v2, s13, v11
	s_wait_dscnt 0x0
	v_mad_nc_u64_u32 v[12:13], v6, s12, s[14:15]
	v_mad_u32 v7, v7, s12, v13
	s_delay_alu instid0(VALU_DEP_1)
	v_mad_u32 v13, v6, s13, v7
	s_branch .LBB75_59
.LBB75_58:                              ;   in Loop: Header=BB75_59 Depth=1
	s_or_b32 exec_lo, exec_lo, s16
	s_delay_alu instid0(SALU_CYCLE_1) | instskip(NEXT) | instid1(SALU_CYCLE_1)
	s_and_b32 s16, exec_lo, s7
	s_or_b32 s4, s16, s4
	s_delay_alu instid0(SALU_CYCLE_1)
	s_and_not1_b32 exec_lo, exec_lo, s4
	s_cbranch_execz .LBB75_61
.LBB75_59:                              ; =>This Inner Loop Header: Depth=1
	global_load_u8 v14, v[10:11], off
	global_load_u8 v15, v[12:13], off
	v_mov_b64_e32 v[6:7], 1
	s_or_b32 s7, s7, exec_lo
	s_mov_b32 s16, exec_lo
	s_wait_loadcnt 0x0
	v_cmpx_eq_u16_e64 v14, v15
	s_cbranch_execz .LBB75_58
; %bb.60:                               ;   in Loop: Header=BB75_59 Depth=1
	s_add_nc_u64 s[0:1], s[0:1], -1
	v_add_nc_u64_e32 v[10:11], 1, v[10:11]
	s_cmp_eq_u64 s[0:1], 0
	v_add_nc_u64_e32 v[12:13], 1, v[12:13]
	v_mov_b64_e32 v[6:7], 0
	s_cselect_b32 s17, -1, 0
	s_and_not1_b32 s7, s7, exec_lo
	s_and_b32 s17, s17, exec_lo
	s_delay_alu instid0(SALU_CYCLE_1)
	s_or_b32 s7, s7, s17
	s_branch .LBB75_58
.LBB75_61:
	s_or_b32 exec_lo, exec_lo, s4
.LBB75_62:
	s_delay_alu instid0(SALU_CYCLE_1) | instskip(NEXT) | instid1(SALU_CYCLE_1)
	s_or_b32 exec_lo, exec_lo, s5
	s_and_b32 vcc_lo, exec_lo, s3
	s_cbranch_vccz .LBB75_81
.LBB75_63:
	v_dual_lshlrev_b32 v13, 1, v0 :: v_dual_lshlrev_b32 v12, 3, v0
	v_mov_b64_e32 v[8:9], v[4:5]
	s_mov_b32 s3, exec_lo
	v_mov_b64_e32 v[6:7], v[2:3]
	s_delay_alu instid0(VALU_DEP_3)
	v_or_b32_e32 v10, 1, v13
	ds_store_b64 v12, v[4:5]
	v_cmpx_gt_u32_e64 s10, v10
	s_cbranch_execz .LBB75_72
; %bb.64:
	v_cmp_lt_i64_e64 s0, s[12:13], 1
	s_and_b32 vcc_lo, exec_lo, s0
	s_cbranch_vccnz .LBB75_71
; %bb.65:
	v_mad_nc_u64_u32 v[6:7], v4, s12, s[14:15]
	v_mad_nc_u64_u32 v[10:11], v2, s12, s[14:15]
	s_wait_kmcnt 0x0
	s_mov_b32 s4, 0
	s_mov_b64 s[0:1], s[12:13]
                                        ; implicit-def: $sgpr5
	s_delay_alu instid0(VALU_DEP_2) | instskip(NEXT) | instid1(VALU_DEP_2)
	v_mad_u32 v5, v5, s12, v7
	v_mad_u32 v8, v3, s12, v11
	s_delay_alu instid0(VALU_DEP_2) | instskip(NEXT) | instid1(VALU_DEP_2)
	v_mad_u32 v7, v4, s13, v5
	v_mad_u32 v11, v2, s13, v8
	s_branch .LBB75_67
.LBB75_66:                              ;   in Loop: Header=BB75_67 Depth=1
	s_or_b32 exec_lo, exec_lo, s7
	s_delay_alu instid0(SALU_CYCLE_1) | instskip(NEXT) | instid1(SALU_CYCLE_1)
	s_and_b32 s7, exec_lo, s5
	s_or_b32 s4, s7, s4
	s_delay_alu instid0(SALU_CYCLE_1)
	s_and_not1_b32 exec_lo, exec_lo, s4
	s_cbranch_execz .LBB75_69
.LBB75_67:                              ; =>This Inner Loop Header: Depth=1
	global_load_u8 v4, v[6:7], off
	global_load_u8 v5, v[10:11], off
	v_mov_b64_e32 v[8:9], 1
	s_or_b32 s5, s5, exec_lo
	s_mov_b32 s7, exec_lo
	s_wait_loadcnt 0x0
	v_cmpx_eq_u16_e64 v4, v5
	s_cbranch_execz .LBB75_66
; %bb.68:                               ;   in Loop: Header=BB75_67 Depth=1
	s_add_nc_u64 s[0:1], s[0:1], -1
	v_add_nc_u64_e32 v[6:7], 1, v[6:7]
	s_cmp_eq_u64 s[0:1], 0
	v_add_nc_u64_e32 v[10:11], 1, v[10:11]
	s_cselect_b32 s16, -1, 0
	s_and_not1_b32 s5, s5, exec_lo
	s_and_b32 s16, s16, exec_lo
	v_mov_b64_e32 v[8:9], 0
	s_or_b32 s5, s5, s16
	s_branch .LBB75_66
.LBB75_69:
	s_or_b32 exec_lo, exec_lo, s4
	s_branch .LBB75_72
.LBB75_70:
	v_mov_b64_e32 v[6:7], 0
	s_or_b32 exec_lo, exec_lo, s5
	s_delay_alu instid0(SALU_CYCLE_1)
	s_and_b32 vcc_lo, exec_lo, s3
	s_cbranch_vccnz .LBB75_63
	s_branch .LBB75_81
.LBB75_71:
	v_mov_b64_e32 v[8:9], 0
.LBB75_72:
	s_or_b32 exec_lo, exec_lo, s3
	v_cmp_ne_u32_e32 vcc_lo, 0, v0
	v_cmp_gt_u32_e64 s0, s10, v13
	s_wait_dscnt 0x0
	s_barrier_signal -1
	s_barrier_wait -1
	s_and_b32 s1, vcc_lo, s0
	s_delay_alu instid0(SALU_CYCLE_1)
	s_and_saveexec_b32 s0, s1
	s_cbranch_execz .LBB75_80
; %bb.73:
	v_cmp_lt_i64_e64 s1, s[12:13], 1
	s_and_b32 vcc_lo, exec_lo, s1
	s_cbranch_vccnz .LBB75_79
; %bb.74:
	v_add_nc_u32_e32 v4, -8, v12
	s_mov_b32 s1, 0
                                        ; implicit-def: $sgpr3
	ds_load_b64 v[10:11], v4
	v_mad_nc_u64_u32 v[4:5], v2, s12, s[14:15]
	s_delay_alu instid0(VALU_DEP_1) | instskip(SKIP_2) | instid1(VALU_DEP_2)
	v_mad_u32 v3, v3, s12, v5
	s_wait_dscnt 0x0
	v_mad_nc_u64_u32 v[6:7], v10, s12, s[14:15]
	v_mad_u32 v5, v2, s13, v3
	s_delay_alu instid0(VALU_DEP_2) | instskip(NEXT) | instid1(VALU_DEP_1)
	v_mad_u32 v7, v11, s12, v7
	v_mad_u32 v7, v10, s13, v7
	s_branch .LBB75_76
.LBB75_75:                              ;   in Loop: Header=BB75_76 Depth=1
	s_or_b32 exec_lo, exec_lo, s4
	s_delay_alu instid0(SALU_CYCLE_1) | instskip(NEXT) | instid1(SALU_CYCLE_1)
	s_and_b32 s4, exec_lo, s3
	s_or_b32 s1, s4, s1
	s_delay_alu instid0(SALU_CYCLE_1)
	s_and_not1_b32 exec_lo, exec_lo, s1
	s_cbranch_execz .LBB75_78
.LBB75_76:                              ; =>This Inner Loop Header: Depth=1
	global_load_u8 v10, v[4:5], off
	global_load_u8 v11, v[6:7], off
	v_mov_b64_e32 v[2:3], 1
	s_or_b32 s3, s3, exec_lo
	s_wait_kmcnt 0x0
	s_mov_b32 s4, exec_lo
	s_wait_loadcnt 0x0
	v_cmpx_eq_u16_e64 v10, v11
	s_cbranch_execz .LBB75_75
; %bb.77:                               ;   in Loop: Header=BB75_76 Depth=1
	s_add_nc_u64 s[12:13], s[12:13], -1
	v_add_nc_u64_e32 v[4:5], 1, v[4:5]
	s_cmp_eq_u64 s[12:13], 0
	v_add_nc_u64_e32 v[6:7], 1, v[6:7]
	v_mov_b64_e32 v[2:3], 0
	s_cselect_b32 s5, -1, 0
	s_and_not1_b32 s3, s3, exec_lo
	s_and_b32 s5, s5, exec_lo
	s_delay_alu instid0(SALU_CYCLE_1)
	s_or_b32 s3, s3, s5
	s_branch .LBB75_75
.LBB75_78:
	s_or_b32 exec_lo, exec_lo, s1
	s_branch .LBB75_80
.LBB75_79:
	v_mov_b64_e32 v[2:3], 0
.LBB75_80:
	s_or_b32 exec_lo, exec_lo, s0
	s_delay_alu instid0(VALU_DEP_1)
	v_mov_b64_e32 v[6:7], v[2:3]
.LBB75_81:
	s_add_nc_u64 s[0:1], s[8:9], s[20:21]
	s_and_b32 vcc_lo, exec_lo, s11
	s_wait_dscnt 0x0
	s_barrier_signal -1
	s_barrier_wait -1
	s_cbranch_vccz .LBB75_85
; %bb.82:
	v_or_b32_e32 v10, 0x200, v0
	ds_store_2addr_b64 v1, v[6:7], v[8:9] offset1:1
	s_wait_dscnt 0x0
	s_barrier_signal -1
	s_barrier_wait -1
	v_dual_lshrrev_b32 v2, 2, v10 :: v_dual_lshlrev_b32 v4, 3, v0
	s_mov_b32 s3, 0
	s_lshl_b32 s8, s6, 10
	s_delay_alu instid0(VALU_DEP_1)
	v_and_b32_e32 v2, 0xf8, v2
	s_wait_kmcnt 0x0
	s_lshl_b64 s[4:5], s[2:3], 3
	v_mov_b32_e32 v5, 0
	s_add_nc_u64 s[6:7], s[0:1], s[4:5]
	s_sub_co_i32 s4, s10, s8
	v_add_nc_u32_e32 v2, v2, v4
	s_mov_b32 s5, exec_lo
	v_add_nc_u64_e32 v[4:5], s[6:7], v[4:5]
	ds_load_b64 v[2:3], v2 offset:4096
	v_cmpx_gt_u32_e64 s4, v0
	s_cbranch_execz .LBB75_84
; %bb.83:
	v_lshrrev_b32_e32 v11, 2, v0
	s_delay_alu instid0(VALU_DEP_1) | instskip(NEXT) | instid1(VALU_DEP_1)
	v_and_b32_e32 v11, 0x78, v11
	v_lshl_add_u32 v11, v0, 3, v11
	ds_load_b64 v[12:13], v11
	s_wait_dscnt 0x0
	global_store_b64 v[4:5], v[12:13], off
.LBB75_84:
	s_wait_xcnt 0x0
	s_or_b32 exec_lo, exec_lo, s5
	v_cmp_gt_u32_e64 s4, s4, v10
	s_and_b32 vcc_lo, exec_lo, s3
	s_cbranch_vccnz .LBB75_86
	s_branch .LBB75_87
.LBB75_85:
	s_wait_kmcnt 0x0
	s_mov_b32 s4, 0
                                        ; implicit-def: $vgpr2_vgpr3
                                        ; implicit-def: $vgpr4_vgpr5
	s_cbranch_execz .LBB75_87
.LBB75_86:
	s_wait_dscnt 0x0
	v_or_b32_e32 v2, 0x200, v0
	v_dual_lshrrev_b32 v3, 2, v0 :: v_dual_lshlrev_b32 v4, 3, v0
	v_mov_b32_e32 v5, 0
	ds_store_2addr_b64 v1, v[6:7], v[8:9] offset1:1
	v_lshrrev_b32_e32 v2, 2, v2
	v_and_b32_e32 v3, 0x78, v3
	s_wait_storecnt_dscnt 0x0
	s_barrier_signal -1
	s_barrier_wait -1
	v_and_b32_e32 v2, 0xf8, v2
	v_add_nc_u32_e32 v1, v3, v4
	s_mov_b32 s3, 0
	s_or_b32 s4, s4, exec_lo
	s_delay_alu instid0(VALU_DEP_2) | instskip(SKIP_4) | instid1(SALU_CYCLE_1)
	v_add_nc_u32_e32 v2, v2, v4
	s_lshl_b64 s[2:3], s[2:3], 3
	ds_load_b64 v[6:7], v1
	ds_load_b64 v[2:3], v2 offset:4096
	s_add_nc_u64 s[0:1], s[0:1], s[2:3]
	v_add_nc_u64_e32 v[4:5], s[0:1], v[4:5]
	s_wait_dscnt 0x1
	global_store_b64 v0, v[6:7], s[0:1] scale_offset
.LBB75_87:
	s_wait_xcnt 0x0
	s_and_saveexec_b32 s0, s4
	s_cbranch_execnz .LBB75_89
; %bb.88:
	s_endpgm
.LBB75_89:
	s_wait_dscnt 0x0
	global_store_b64 v[4:5], v[2:3], off offset:4096
	s_endpgm
	.section	.rodata,"a",@progbits
	.p2align	6, 0x0
	.amdhsa_kernel _ZN7rocprim17ROCPRIM_400000_NS6detail17trampoline_kernelINS0_14default_configENS1_35adjacent_difference_config_selectorILb1ElEEZNS1_24adjacent_difference_implIS3_Lb1ELb0EPlS7_ZN2at6native12_GLOBAL__N_124unique_dim_cuda_templateIhEESt5tupleIJNS8_6TensorESD_SD_EERKSD_lbbbEUlllE1_EE10hipError_tPvRmT2_T3_mT4_P12ihipStream_tbEUlT_E_NS1_11comp_targetILNS1_3genE0ELNS1_11target_archE4294967295ELNS1_3gpuE0ELNS1_3repE0EEENS1_30default_config_static_selectorELNS0_4arch9wavefront6targetE0EEEvT1_
		.amdhsa_group_segment_fixed_size 8448
		.amdhsa_private_segment_fixed_size 0
		.amdhsa_kernarg_size 64
		.amdhsa_user_sgpr_count 2
		.amdhsa_user_sgpr_dispatch_ptr 0
		.amdhsa_user_sgpr_queue_ptr 0
		.amdhsa_user_sgpr_kernarg_segment_ptr 1
		.amdhsa_user_sgpr_dispatch_id 0
		.amdhsa_user_sgpr_kernarg_preload_length 0
		.amdhsa_user_sgpr_kernarg_preload_offset 0
		.amdhsa_user_sgpr_private_segment_size 0
		.amdhsa_wavefront_size32 1
		.amdhsa_uses_dynamic_stack 0
		.amdhsa_enable_private_segment 0
		.amdhsa_system_sgpr_workgroup_id_x 1
		.amdhsa_system_sgpr_workgroup_id_y 0
		.amdhsa_system_sgpr_workgroup_id_z 0
		.amdhsa_system_sgpr_workgroup_info 0
		.amdhsa_system_vgpr_workitem_id 0
		.amdhsa_next_free_vgpr 16
		.amdhsa_next_free_sgpr 29
		.amdhsa_named_barrier_count 0
		.amdhsa_reserve_vcc 1
		.amdhsa_float_round_mode_32 0
		.amdhsa_float_round_mode_16_64 0
		.amdhsa_float_denorm_mode_32 3
		.amdhsa_float_denorm_mode_16_64 3
		.amdhsa_fp16_overflow 0
		.amdhsa_memory_ordered 1
		.amdhsa_forward_progress 1
		.amdhsa_inst_pref_size 25
		.amdhsa_round_robin_scheduling 0
		.amdhsa_exception_fp_ieee_invalid_op 0
		.amdhsa_exception_fp_denorm_src 0
		.amdhsa_exception_fp_ieee_div_zero 0
		.amdhsa_exception_fp_ieee_overflow 0
		.amdhsa_exception_fp_ieee_underflow 0
		.amdhsa_exception_fp_ieee_inexact 0
		.amdhsa_exception_int_div_zero 0
	.end_amdhsa_kernel
	.section	.text._ZN7rocprim17ROCPRIM_400000_NS6detail17trampoline_kernelINS0_14default_configENS1_35adjacent_difference_config_selectorILb1ElEEZNS1_24adjacent_difference_implIS3_Lb1ELb0EPlS7_ZN2at6native12_GLOBAL__N_124unique_dim_cuda_templateIhEESt5tupleIJNS8_6TensorESD_SD_EERKSD_lbbbEUlllE1_EE10hipError_tPvRmT2_T3_mT4_P12ihipStream_tbEUlT_E_NS1_11comp_targetILNS1_3genE0ELNS1_11target_archE4294967295ELNS1_3gpuE0ELNS1_3repE0EEENS1_30default_config_static_selectorELNS0_4arch9wavefront6targetE0EEEvT1_,"axG",@progbits,_ZN7rocprim17ROCPRIM_400000_NS6detail17trampoline_kernelINS0_14default_configENS1_35adjacent_difference_config_selectorILb1ElEEZNS1_24adjacent_difference_implIS3_Lb1ELb0EPlS7_ZN2at6native12_GLOBAL__N_124unique_dim_cuda_templateIhEESt5tupleIJNS8_6TensorESD_SD_EERKSD_lbbbEUlllE1_EE10hipError_tPvRmT2_T3_mT4_P12ihipStream_tbEUlT_E_NS1_11comp_targetILNS1_3genE0ELNS1_11target_archE4294967295ELNS1_3gpuE0ELNS1_3repE0EEENS1_30default_config_static_selectorELNS0_4arch9wavefront6targetE0EEEvT1_,comdat
.Lfunc_end75:
	.size	_ZN7rocprim17ROCPRIM_400000_NS6detail17trampoline_kernelINS0_14default_configENS1_35adjacent_difference_config_selectorILb1ElEEZNS1_24adjacent_difference_implIS3_Lb1ELb0EPlS7_ZN2at6native12_GLOBAL__N_124unique_dim_cuda_templateIhEESt5tupleIJNS8_6TensorESD_SD_EERKSD_lbbbEUlllE1_EE10hipError_tPvRmT2_T3_mT4_P12ihipStream_tbEUlT_E_NS1_11comp_targetILNS1_3genE0ELNS1_11target_archE4294967295ELNS1_3gpuE0ELNS1_3repE0EEENS1_30default_config_static_selectorELNS0_4arch9wavefront6targetE0EEEvT1_, .Lfunc_end75-_ZN7rocprim17ROCPRIM_400000_NS6detail17trampoline_kernelINS0_14default_configENS1_35adjacent_difference_config_selectorILb1ElEEZNS1_24adjacent_difference_implIS3_Lb1ELb0EPlS7_ZN2at6native12_GLOBAL__N_124unique_dim_cuda_templateIhEESt5tupleIJNS8_6TensorESD_SD_EERKSD_lbbbEUlllE1_EE10hipError_tPvRmT2_T3_mT4_P12ihipStream_tbEUlT_E_NS1_11comp_targetILNS1_3genE0ELNS1_11target_archE4294967295ELNS1_3gpuE0ELNS1_3repE0EEENS1_30default_config_static_selectorELNS0_4arch9wavefront6targetE0EEEvT1_
                                        ; -- End function
	.set _ZN7rocprim17ROCPRIM_400000_NS6detail17trampoline_kernelINS0_14default_configENS1_35adjacent_difference_config_selectorILb1ElEEZNS1_24adjacent_difference_implIS3_Lb1ELb0EPlS7_ZN2at6native12_GLOBAL__N_124unique_dim_cuda_templateIhEESt5tupleIJNS8_6TensorESD_SD_EERKSD_lbbbEUlllE1_EE10hipError_tPvRmT2_T3_mT4_P12ihipStream_tbEUlT_E_NS1_11comp_targetILNS1_3genE0ELNS1_11target_archE4294967295ELNS1_3gpuE0ELNS1_3repE0EEENS1_30default_config_static_selectorELNS0_4arch9wavefront6targetE0EEEvT1_.num_vgpr, 16
	.set _ZN7rocprim17ROCPRIM_400000_NS6detail17trampoline_kernelINS0_14default_configENS1_35adjacent_difference_config_selectorILb1ElEEZNS1_24adjacent_difference_implIS3_Lb1ELb0EPlS7_ZN2at6native12_GLOBAL__N_124unique_dim_cuda_templateIhEESt5tupleIJNS8_6TensorESD_SD_EERKSD_lbbbEUlllE1_EE10hipError_tPvRmT2_T3_mT4_P12ihipStream_tbEUlT_E_NS1_11comp_targetILNS1_3genE0ELNS1_11target_archE4294967295ELNS1_3gpuE0ELNS1_3repE0EEENS1_30default_config_static_selectorELNS0_4arch9wavefront6targetE0EEEvT1_.num_agpr, 0
	.set _ZN7rocprim17ROCPRIM_400000_NS6detail17trampoline_kernelINS0_14default_configENS1_35adjacent_difference_config_selectorILb1ElEEZNS1_24adjacent_difference_implIS3_Lb1ELb0EPlS7_ZN2at6native12_GLOBAL__N_124unique_dim_cuda_templateIhEESt5tupleIJNS8_6TensorESD_SD_EERKSD_lbbbEUlllE1_EE10hipError_tPvRmT2_T3_mT4_P12ihipStream_tbEUlT_E_NS1_11comp_targetILNS1_3genE0ELNS1_11target_archE4294967295ELNS1_3gpuE0ELNS1_3repE0EEENS1_30default_config_static_selectorELNS0_4arch9wavefront6targetE0EEEvT1_.numbered_sgpr, 29
	.set _ZN7rocprim17ROCPRIM_400000_NS6detail17trampoline_kernelINS0_14default_configENS1_35adjacent_difference_config_selectorILb1ElEEZNS1_24adjacent_difference_implIS3_Lb1ELb0EPlS7_ZN2at6native12_GLOBAL__N_124unique_dim_cuda_templateIhEESt5tupleIJNS8_6TensorESD_SD_EERKSD_lbbbEUlllE1_EE10hipError_tPvRmT2_T3_mT4_P12ihipStream_tbEUlT_E_NS1_11comp_targetILNS1_3genE0ELNS1_11target_archE4294967295ELNS1_3gpuE0ELNS1_3repE0EEENS1_30default_config_static_selectorELNS0_4arch9wavefront6targetE0EEEvT1_.num_named_barrier, 0
	.set _ZN7rocprim17ROCPRIM_400000_NS6detail17trampoline_kernelINS0_14default_configENS1_35adjacent_difference_config_selectorILb1ElEEZNS1_24adjacent_difference_implIS3_Lb1ELb0EPlS7_ZN2at6native12_GLOBAL__N_124unique_dim_cuda_templateIhEESt5tupleIJNS8_6TensorESD_SD_EERKSD_lbbbEUlllE1_EE10hipError_tPvRmT2_T3_mT4_P12ihipStream_tbEUlT_E_NS1_11comp_targetILNS1_3genE0ELNS1_11target_archE4294967295ELNS1_3gpuE0ELNS1_3repE0EEENS1_30default_config_static_selectorELNS0_4arch9wavefront6targetE0EEEvT1_.private_seg_size, 0
	.set _ZN7rocprim17ROCPRIM_400000_NS6detail17trampoline_kernelINS0_14default_configENS1_35adjacent_difference_config_selectorILb1ElEEZNS1_24adjacent_difference_implIS3_Lb1ELb0EPlS7_ZN2at6native12_GLOBAL__N_124unique_dim_cuda_templateIhEESt5tupleIJNS8_6TensorESD_SD_EERKSD_lbbbEUlllE1_EE10hipError_tPvRmT2_T3_mT4_P12ihipStream_tbEUlT_E_NS1_11comp_targetILNS1_3genE0ELNS1_11target_archE4294967295ELNS1_3gpuE0ELNS1_3repE0EEENS1_30default_config_static_selectorELNS0_4arch9wavefront6targetE0EEEvT1_.uses_vcc, 1
	.set _ZN7rocprim17ROCPRIM_400000_NS6detail17trampoline_kernelINS0_14default_configENS1_35adjacent_difference_config_selectorILb1ElEEZNS1_24adjacent_difference_implIS3_Lb1ELb0EPlS7_ZN2at6native12_GLOBAL__N_124unique_dim_cuda_templateIhEESt5tupleIJNS8_6TensorESD_SD_EERKSD_lbbbEUlllE1_EE10hipError_tPvRmT2_T3_mT4_P12ihipStream_tbEUlT_E_NS1_11comp_targetILNS1_3genE0ELNS1_11target_archE4294967295ELNS1_3gpuE0ELNS1_3repE0EEENS1_30default_config_static_selectorELNS0_4arch9wavefront6targetE0EEEvT1_.uses_flat_scratch, 0
	.set _ZN7rocprim17ROCPRIM_400000_NS6detail17trampoline_kernelINS0_14default_configENS1_35adjacent_difference_config_selectorILb1ElEEZNS1_24adjacent_difference_implIS3_Lb1ELb0EPlS7_ZN2at6native12_GLOBAL__N_124unique_dim_cuda_templateIhEESt5tupleIJNS8_6TensorESD_SD_EERKSD_lbbbEUlllE1_EE10hipError_tPvRmT2_T3_mT4_P12ihipStream_tbEUlT_E_NS1_11comp_targetILNS1_3genE0ELNS1_11target_archE4294967295ELNS1_3gpuE0ELNS1_3repE0EEENS1_30default_config_static_selectorELNS0_4arch9wavefront6targetE0EEEvT1_.has_dyn_sized_stack, 0
	.set _ZN7rocprim17ROCPRIM_400000_NS6detail17trampoline_kernelINS0_14default_configENS1_35adjacent_difference_config_selectorILb1ElEEZNS1_24adjacent_difference_implIS3_Lb1ELb0EPlS7_ZN2at6native12_GLOBAL__N_124unique_dim_cuda_templateIhEESt5tupleIJNS8_6TensorESD_SD_EERKSD_lbbbEUlllE1_EE10hipError_tPvRmT2_T3_mT4_P12ihipStream_tbEUlT_E_NS1_11comp_targetILNS1_3genE0ELNS1_11target_archE4294967295ELNS1_3gpuE0ELNS1_3repE0EEENS1_30default_config_static_selectorELNS0_4arch9wavefront6targetE0EEEvT1_.has_recursion, 0
	.set _ZN7rocprim17ROCPRIM_400000_NS6detail17trampoline_kernelINS0_14default_configENS1_35adjacent_difference_config_selectorILb1ElEEZNS1_24adjacent_difference_implIS3_Lb1ELb0EPlS7_ZN2at6native12_GLOBAL__N_124unique_dim_cuda_templateIhEESt5tupleIJNS8_6TensorESD_SD_EERKSD_lbbbEUlllE1_EE10hipError_tPvRmT2_T3_mT4_P12ihipStream_tbEUlT_E_NS1_11comp_targetILNS1_3genE0ELNS1_11target_archE4294967295ELNS1_3gpuE0ELNS1_3repE0EEENS1_30default_config_static_selectorELNS0_4arch9wavefront6targetE0EEEvT1_.has_indirect_call, 0
	.section	.AMDGPU.csdata,"",@progbits
; Kernel info:
; codeLenInByte = 3200
; TotalNumSgprs: 31
; NumVgprs: 16
; ScratchSize: 0
; MemoryBound: 0
; FloatMode: 240
; IeeeMode: 1
; LDSByteSize: 8448 bytes/workgroup (compile time only)
; SGPRBlocks: 0
; VGPRBlocks: 0
; NumSGPRsForWavesPerEU: 31
; NumVGPRsForWavesPerEU: 16
; NamedBarCnt: 0
; Occupancy: 16
; WaveLimiterHint : 1
; COMPUTE_PGM_RSRC2:SCRATCH_EN: 0
; COMPUTE_PGM_RSRC2:USER_SGPR: 2
; COMPUTE_PGM_RSRC2:TRAP_HANDLER: 0
; COMPUTE_PGM_RSRC2:TGID_X_EN: 1
; COMPUTE_PGM_RSRC2:TGID_Y_EN: 0
; COMPUTE_PGM_RSRC2:TGID_Z_EN: 0
; COMPUTE_PGM_RSRC2:TIDIG_COMP_CNT: 0
	.section	.text._ZN7rocprim17ROCPRIM_400000_NS6detail17trampoline_kernelINS0_14default_configENS1_35adjacent_difference_config_selectorILb1ElEEZNS1_24adjacent_difference_implIS3_Lb1ELb0EPlS7_ZN2at6native12_GLOBAL__N_124unique_dim_cuda_templateIhEESt5tupleIJNS8_6TensorESD_SD_EERKSD_lbbbEUlllE1_EE10hipError_tPvRmT2_T3_mT4_P12ihipStream_tbEUlT_E_NS1_11comp_targetILNS1_3genE10ELNS1_11target_archE1201ELNS1_3gpuE5ELNS1_3repE0EEENS1_30default_config_static_selectorELNS0_4arch9wavefront6targetE0EEEvT1_,"axG",@progbits,_ZN7rocprim17ROCPRIM_400000_NS6detail17trampoline_kernelINS0_14default_configENS1_35adjacent_difference_config_selectorILb1ElEEZNS1_24adjacent_difference_implIS3_Lb1ELb0EPlS7_ZN2at6native12_GLOBAL__N_124unique_dim_cuda_templateIhEESt5tupleIJNS8_6TensorESD_SD_EERKSD_lbbbEUlllE1_EE10hipError_tPvRmT2_T3_mT4_P12ihipStream_tbEUlT_E_NS1_11comp_targetILNS1_3genE10ELNS1_11target_archE1201ELNS1_3gpuE5ELNS1_3repE0EEENS1_30default_config_static_selectorELNS0_4arch9wavefront6targetE0EEEvT1_,comdat
	.globl	_ZN7rocprim17ROCPRIM_400000_NS6detail17trampoline_kernelINS0_14default_configENS1_35adjacent_difference_config_selectorILb1ElEEZNS1_24adjacent_difference_implIS3_Lb1ELb0EPlS7_ZN2at6native12_GLOBAL__N_124unique_dim_cuda_templateIhEESt5tupleIJNS8_6TensorESD_SD_EERKSD_lbbbEUlllE1_EE10hipError_tPvRmT2_T3_mT4_P12ihipStream_tbEUlT_E_NS1_11comp_targetILNS1_3genE10ELNS1_11target_archE1201ELNS1_3gpuE5ELNS1_3repE0EEENS1_30default_config_static_selectorELNS0_4arch9wavefront6targetE0EEEvT1_ ; -- Begin function _ZN7rocprim17ROCPRIM_400000_NS6detail17trampoline_kernelINS0_14default_configENS1_35adjacent_difference_config_selectorILb1ElEEZNS1_24adjacent_difference_implIS3_Lb1ELb0EPlS7_ZN2at6native12_GLOBAL__N_124unique_dim_cuda_templateIhEESt5tupleIJNS8_6TensorESD_SD_EERKSD_lbbbEUlllE1_EE10hipError_tPvRmT2_T3_mT4_P12ihipStream_tbEUlT_E_NS1_11comp_targetILNS1_3genE10ELNS1_11target_archE1201ELNS1_3gpuE5ELNS1_3repE0EEENS1_30default_config_static_selectorELNS0_4arch9wavefront6targetE0EEEvT1_
	.p2align	8
	.type	_ZN7rocprim17ROCPRIM_400000_NS6detail17trampoline_kernelINS0_14default_configENS1_35adjacent_difference_config_selectorILb1ElEEZNS1_24adjacent_difference_implIS3_Lb1ELb0EPlS7_ZN2at6native12_GLOBAL__N_124unique_dim_cuda_templateIhEESt5tupleIJNS8_6TensorESD_SD_EERKSD_lbbbEUlllE1_EE10hipError_tPvRmT2_T3_mT4_P12ihipStream_tbEUlT_E_NS1_11comp_targetILNS1_3genE10ELNS1_11target_archE1201ELNS1_3gpuE5ELNS1_3repE0EEENS1_30default_config_static_selectorELNS0_4arch9wavefront6targetE0EEEvT1_,@function
_ZN7rocprim17ROCPRIM_400000_NS6detail17trampoline_kernelINS0_14default_configENS1_35adjacent_difference_config_selectorILb1ElEEZNS1_24adjacent_difference_implIS3_Lb1ELb0EPlS7_ZN2at6native12_GLOBAL__N_124unique_dim_cuda_templateIhEESt5tupleIJNS8_6TensorESD_SD_EERKSD_lbbbEUlllE1_EE10hipError_tPvRmT2_T3_mT4_P12ihipStream_tbEUlT_E_NS1_11comp_targetILNS1_3genE10ELNS1_11target_archE1201ELNS1_3gpuE5ELNS1_3repE0EEENS1_30default_config_static_selectorELNS0_4arch9wavefront6targetE0EEEvT1_: ; @_ZN7rocprim17ROCPRIM_400000_NS6detail17trampoline_kernelINS0_14default_configENS1_35adjacent_difference_config_selectorILb1ElEEZNS1_24adjacent_difference_implIS3_Lb1ELb0EPlS7_ZN2at6native12_GLOBAL__N_124unique_dim_cuda_templateIhEESt5tupleIJNS8_6TensorESD_SD_EERKSD_lbbbEUlllE1_EE10hipError_tPvRmT2_T3_mT4_P12ihipStream_tbEUlT_E_NS1_11comp_targetILNS1_3genE10ELNS1_11target_archE1201ELNS1_3gpuE5ELNS1_3repE0EEENS1_30default_config_static_selectorELNS0_4arch9wavefront6targetE0EEEvT1_
; %bb.0:
	.section	.rodata,"a",@progbits
	.p2align	6, 0x0
	.amdhsa_kernel _ZN7rocprim17ROCPRIM_400000_NS6detail17trampoline_kernelINS0_14default_configENS1_35adjacent_difference_config_selectorILb1ElEEZNS1_24adjacent_difference_implIS3_Lb1ELb0EPlS7_ZN2at6native12_GLOBAL__N_124unique_dim_cuda_templateIhEESt5tupleIJNS8_6TensorESD_SD_EERKSD_lbbbEUlllE1_EE10hipError_tPvRmT2_T3_mT4_P12ihipStream_tbEUlT_E_NS1_11comp_targetILNS1_3genE10ELNS1_11target_archE1201ELNS1_3gpuE5ELNS1_3repE0EEENS1_30default_config_static_selectorELNS0_4arch9wavefront6targetE0EEEvT1_
		.amdhsa_group_segment_fixed_size 0
		.amdhsa_private_segment_fixed_size 0
		.amdhsa_kernarg_size 64
		.amdhsa_user_sgpr_count 2
		.amdhsa_user_sgpr_dispatch_ptr 0
		.amdhsa_user_sgpr_queue_ptr 0
		.amdhsa_user_sgpr_kernarg_segment_ptr 1
		.amdhsa_user_sgpr_dispatch_id 0
		.amdhsa_user_sgpr_kernarg_preload_length 0
		.amdhsa_user_sgpr_kernarg_preload_offset 0
		.amdhsa_user_sgpr_private_segment_size 0
		.amdhsa_wavefront_size32 1
		.amdhsa_uses_dynamic_stack 0
		.amdhsa_enable_private_segment 0
		.amdhsa_system_sgpr_workgroup_id_x 1
		.amdhsa_system_sgpr_workgroup_id_y 0
		.amdhsa_system_sgpr_workgroup_id_z 0
		.amdhsa_system_sgpr_workgroup_info 0
		.amdhsa_system_vgpr_workitem_id 0
		.amdhsa_next_free_vgpr 1
		.amdhsa_next_free_sgpr 1
		.amdhsa_named_barrier_count 0
		.amdhsa_reserve_vcc 0
		.amdhsa_float_round_mode_32 0
		.amdhsa_float_round_mode_16_64 0
		.amdhsa_float_denorm_mode_32 3
		.amdhsa_float_denorm_mode_16_64 3
		.amdhsa_fp16_overflow 0
		.amdhsa_memory_ordered 1
		.amdhsa_forward_progress 1
		.amdhsa_inst_pref_size 0
		.amdhsa_round_robin_scheduling 0
		.amdhsa_exception_fp_ieee_invalid_op 0
		.amdhsa_exception_fp_denorm_src 0
		.amdhsa_exception_fp_ieee_div_zero 0
		.amdhsa_exception_fp_ieee_overflow 0
		.amdhsa_exception_fp_ieee_underflow 0
		.amdhsa_exception_fp_ieee_inexact 0
		.amdhsa_exception_int_div_zero 0
	.end_amdhsa_kernel
	.section	.text._ZN7rocprim17ROCPRIM_400000_NS6detail17trampoline_kernelINS0_14default_configENS1_35adjacent_difference_config_selectorILb1ElEEZNS1_24adjacent_difference_implIS3_Lb1ELb0EPlS7_ZN2at6native12_GLOBAL__N_124unique_dim_cuda_templateIhEESt5tupleIJNS8_6TensorESD_SD_EERKSD_lbbbEUlllE1_EE10hipError_tPvRmT2_T3_mT4_P12ihipStream_tbEUlT_E_NS1_11comp_targetILNS1_3genE10ELNS1_11target_archE1201ELNS1_3gpuE5ELNS1_3repE0EEENS1_30default_config_static_selectorELNS0_4arch9wavefront6targetE0EEEvT1_,"axG",@progbits,_ZN7rocprim17ROCPRIM_400000_NS6detail17trampoline_kernelINS0_14default_configENS1_35adjacent_difference_config_selectorILb1ElEEZNS1_24adjacent_difference_implIS3_Lb1ELb0EPlS7_ZN2at6native12_GLOBAL__N_124unique_dim_cuda_templateIhEESt5tupleIJNS8_6TensorESD_SD_EERKSD_lbbbEUlllE1_EE10hipError_tPvRmT2_T3_mT4_P12ihipStream_tbEUlT_E_NS1_11comp_targetILNS1_3genE10ELNS1_11target_archE1201ELNS1_3gpuE5ELNS1_3repE0EEENS1_30default_config_static_selectorELNS0_4arch9wavefront6targetE0EEEvT1_,comdat
.Lfunc_end76:
	.size	_ZN7rocprim17ROCPRIM_400000_NS6detail17trampoline_kernelINS0_14default_configENS1_35adjacent_difference_config_selectorILb1ElEEZNS1_24adjacent_difference_implIS3_Lb1ELb0EPlS7_ZN2at6native12_GLOBAL__N_124unique_dim_cuda_templateIhEESt5tupleIJNS8_6TensorESD_SD_EERKSD_lbbbEUlllE1_EE10hipError_tPvRmT2_T3_mT4_P12ihipStream_tbEUlT_E_NS1_11comp_targetILNS1_3genE10ELNS1_11target_archE1201ELNS1_3gpuE5ELNS1_3repE0EEENS1_30default_config_static_selectorELNS0_4arch9wavefront6targetE0EEEvT1_, .Lfunc_end76-_ZN7rocprim17ROCPRIM_400000_NS6detail17trampoline_kernelINS0_14default_configENS1_35adjacent_difference_config_selectorILb1ElEEZNS1_24adjacent_difference_implIS3_Lb1ELb0EPlS7_ZN2at6native12_GLOBAL__N_124unique_dim_cuda_templateIhEESt5tupleIJNS8_6TensorESD_SD_EERKSD_lbbbEUlllE1_EE10hipError_tPvRmT2_T3_mT4_P12ihipStream_tbEUlT_E_NS1_11comp_targetILNS1_3genE10ELNS1_11target_archE1201ELNS1_3gpuE5ELNS1_3repE0EEENS1_30default_config_static_selectorELNS0_4arch9wavefront6targetE0EEEvT1_
                                        ; -- End function
	.set _ZN7rocprim17ROCPRIM_400000_NS6detail17trampoline_kernelINS0_14default_configENS1_35adjacent_difference_config_selectorILb1ElEEZNS1_24adjacent_difference_implIS3_Lb1ELb0EPlS7_ZN2at6native12_GLOBAL__N_124unique_dim_cuda_templateIhEESt5tupleIJNS8_6TensorESD_SD_EERKSD_lbbbEUlllE1_EE10hipError_tPvRmT2_T3_mT4_P12ihipStream_tbEUlT_E_NS1_11comp_targetILNS1_3genE10ELNS1_11target_archE1201ELNS1_3gpuE5ELNS1_3repE0EEENS1_30default_config_static_selectorELNS0_4arch9wavefront6targetE0EEEvT1_.num_vgpr, 0
	.set _ZN7rocprim17ROCPRIM_400000_NS6detail17trampoline_kernelINS0_14default_configENS1_35adjacent_difference_config_selectorILb1ElEEZNS1_24adjacent_difference_implIS3_Lb1ELb0EPlS7_ZN2at6native12_GLOBAL__N_124unique_dim_cuda_templateIhEESt5tupleIJNS8_6TensorESD_SD_EERKSD_lbbbEUlllE1_EE10hipError_tPvRmT2_T3_mT4_P12ihipStream_tbEUlT_E_NS1_11comp_targetILNS1_3genE10ELNS1_11target_archE1201ELNS1_3gpuE5ELNS1_3repE0EEENS1_30default_config_static_selectorELNS0_4arch9wavefront6targetE0EEEvT1_.num_agpr, 0
	.set _ZN7rocprim17ROCPRIM_400000_NS6detail17trampoline_kernelINS0_14default_configENS1_35adjacent_difference_config_selectorILb1ElEEZNS1_24adjacent_difference_implIS3_Lb1ELb0EPlS7_ZN2at6native12_GLOBAL__N_124unique_dim_cuda_templateIhEESt5tupleIJNS8_6TensorESD_SD_EERKSD_lbbbEUlllE1_EE10hipError_tPvRmT2_T3_mT4_P12ihipStream_tbEUlT_E_NS1_11comp_targetILNS1_3genE10ELNS1_11target_archE1201ELNS1_3gpuE5ELNS1_3repE0EEENS1_30default_config_static_selectorELNS0_4arch9wavefront6targetE0EEEvT1_.numbered_sgpr, 0
	.set _ZN7rocprim17ROCPRIM_400000_NS6detail17trampoline_kernelINS0_14default_configENS1_35adjacent_difference_config_selectorILb1ElEEZNS1_24adjacent_difference_implIS3_Lb1ELb0EPlS7_ZN2at6native12_GLOBAL__N_124unique_dim_cuda_templateIhEESt5tupleIJNS8_6TensorESD_SD_EERKSD_lbbbEUlllE1_EE10hipError_tPvRmT2_T3_mT4_P12ihipStream_tbEUlT_E_NS1_11comp_targetILNS1_3genE10ELNS1_11target_archE1201ELNS1_3gpuE5ELNS1_3repE0EEENS1_30default_config_static_selectorELNS0_4arch9wavefront6targetE0EEEvT1_.num_named_barrier, 0
	.set _ZN7rocprim17ROCPRIM_400000_NS6detail17trampoline_kernelINS0_14default_configENS1_35adjacent_difference_config_selectorILb1ElEEZNS1_24adjacent_difference_implIS3_Lb1ELb0EPlS7_ZN2at6native12_GLOBAL__N_124unique_dim_cuda_templateIhEESt5tupleIJNS8_6TensorESD_SD_EERKSD_lbbbEUlllE1_EE10hipError_tPvRmT2_T3_mT4_P12ihipStream_tbEUlT_E_NS1_11comp_targetILNS1_3genE10ELNS1_11target_archE1201ELNS1_3gpuE5ELNS1_3repE0EEENS1_30default_config_static_selectorELNS0_4arch9wavefront6targetE0EEEvT1_.private_seg_size, 0
	.set _ZN7rocprim17ROCPRIM_400000_NS6detail17trampoline_kernelINS0_14default_configENS1_35adjacent_difference_config_selectorILb1ElEEZNS1_24adjacent_difference_implIS3_Lb1ELb0EPlS7_ZN2at6native12_GLOBAL__N_124unique_dim_cuda_templateIhEESt5tupleIJNS8_6TensorESD_SD_EERKSD_lbbbEUlllE1_EE10hipError_tPvRmT2_T3_mT4_P12ihipStream_tbEUlT_E_NS1_11comp_targetILNS1_3genE10ELNS1_11target_archE1201ELNS1_3gpuE5ELNS1_3repE0EEENS1_30default_config_static_selectorELNS0_4arch9wavefront6targetE0EEEvT1_.uses_vcc, 0
	.set _ZN7rocprim17ROCPRIM_400000_NS6detail17trampoline_kernelINS0_14default_configENS1_35adjacent_difference_config_selectorILb1ElEEZNS1_24adjacent_difference_implIS3_Lb1ELb0EPlS7_ZN2at6native12_GLOBAL__N_124unique_dim_cuda_templateIhEESt5tupleIJNS8_6TensorESD_SD_EERKSD_lbbbEUlllE1_EE10hipError_tPvRmT2_T3_mT4_P12ihipStream_tbEUlT_E_NS1_11comp_targetILNS1_3genE10ELNS1_11target_archE1201ELNS1_3gpuE5ELNS1_3repE0EEENS1_30default_config_static_selectorELNS0_4arch9wavefront6targetE0EEEvT1_.uses_flat_scratch, 0
	.set _ZN7rocprim17ROCPRIM_400000_NS6detail17trampoline_kernelINS0_14default_configENS1_35adjacent_difference_config_selectorILb1ElEEZNS1_24adjacent_difference_implIS3_Lb1ELb0EPlS7_ZN2at6native12_GLOBAL__N_124unique_dim_cuda_templateIhEESt5tupleIJNS8_6TensorESD_SD_EERKSD_lbbbEUlllE1_EE10hipError_tPvRmT2_T3_mT4_P12ihipStream_tbEUlT_E_NS1_11comp_targetILNS1_3genE10ELNS1_11target_archE1201ELNS1_3gpuE5ELNS1_3repE0EEENS1_30default_config_static_selectorELNS0_4arch9wavefront6targetE0EEEvT1_.has_dyn_sized_stack, 0
	.set _ZN7rocprim17ROCPRIM_400000_NS6detail17trampoline_kernelINS0_14default_configENS1_35adjacent_difference_config_selectorILb1ElEEZNS1_24adjacent_difference_implIS3_Lb1ELb0EPlS7_ZN2at6native12_GLOBAL__N_124unique_dim_cuda_templateIhEESt5tupleIJNS8_6TensorESD_SD_EERKSD_lbbbEUlllE1_EE10hipError_tPvRmT2_T3_mT4_P12ihipStream_tbEUlT_E_NS1_11comp_targetILNS1_3genE10ELNS1_11target_archE1201ELNS1_3gpuE5ELNS1_3repE0EEENS1_30default_config_static_selectorELNS0_4arch9wavefront6targetE0EEEvT1_.has_recursion, 0
	.set _ZN7rocprim17ROCPRIM_400000_NS6detail17trampoline_kernelINS0_14default_configENS1_35adjacent_difference_config_selectorILb1ElEEZNS1_24adjacent_difference_implIS3_Lb1ELb0EPlS7_ZN2at6native12_GLOBAL__N_124unique_dim_cuda_templateIhEESt5tupleIJNS8_6TensorESD_SD_EERKSD_lbbbEUlllE1_EE10hipError_tPvRmT2_T3_mT4_P12ihipStream_tbEUlT_E_NS1_11comp_targetILNS1_3genE10ELNS1_11target_archE1201ELNS1_3gpuE5ELNS1_3repE0EEENS1_30default_config_static_selectorELNS0_4arch9wavefront6targetE0EEEvT1_.has_indirect_call, 0
	.section	.AMDGPU.csdata,"",@progbits
; Kernel info:
; codeLenInByte = 0
; TotalNumSgprs: 0
; NumVgprs: 0
; ScratchSize: 0
; MemoryBound: 0
; FloatMode: 240
; IeeeMode: 1
; LDSByteSize: 0 bytes/workgroup (compile time only)
; SGPRBlocks: 0
; VGPRBlocks: 0
; NumSGPRsForWavesPerEU: 1
; NumVGPRsForWavesPerEU: 1
; NamedBarCnt: 0
; Occupancy: 16
; WaveLimiterHint : 0
; COMPUTE_PGM_RSRC2:SCRATCH_EN: 0
; COMPUTE_PGM_RSRC2:USER_SGPR: 2
; COMPUTE_PGM_RSRC2:TRAP_HANDLER: 0
; COMPUTE_PGM_RSRC2:TGID_X_EN: 1
; COMPUTE_PGM_RSRC2:TGID_Y_EN: 0
; COMPUTE_PGM_RSRC2:TGID_Z_EN: 0
; COMPUTE_PGM_RSRC2:TIDIG_COMP_CNT: 0
	.section	.text._ZN7rocprim17ROCPRIM_400000_NS6detail17trampoline_kernelINS0_14default_configENS1_35adjacent_difference_config_selectorILb1ElEEZNS1_24adjacent_difference_implIS3_Lb1ELb0EPlS7_ZN2at6native12_GLOBAL__N_124unique_dim_cuda_templateIhEESt5tupleIJNS8_6TensorESD_SD_EERKSD_lbbbEUlllE1_EE10hipError_tPvRmT2_T3_mT4_P12ihipStream_tbEUlT_E_NS1_11comp_targetILNS1_3genE5ELNS1_11target_archE942ELNS1_3gpuE9ELNS1_3repE0EEENS1_30default_config_static_selectorELNS0_4arch9wavefront6targetE0EEEvT1_,"axG",@progbits,_ZN7rocprim17ROCPRIM_400000_NS6detail17trampoline_kernelINS0_14default_configENS1_35adjacent_difference_config_selectorILb1ElEEZNS1_24adjacent_difference_implIS3_Lb1ELb0EPlS7_ZN2at6native12_GLOBAL__N_124unique_dim_cuda_templateIhEESt5tupleIJNS8_6TensorESD_SD_EERKSD_lbbbEUlllE1_EE10hipError_tPvRmT2_T3_mT4_P12ihipStream_tbEUlT_E_NS1_11comp_targetILNS1_3genE5ELNS1_11target_archE942ELNS1_3gpuE9ELNS1_3repE0EEENS1_30default_config_static_selectorELNS0_4arch9wavefront6targetE0EEEvT1_,comdat
	.globl	_ZN7rocprim17ROCPRIM_400000_NS6detail17trampoline_kernelINS0_14default_configENS1_35adjacent_difference_config_selectorILb1ElEEZNS1_24adjacent_difference_implIS3_Lb1ELb0EPlS7_ZN2at6native12_GLOBAL__N_124unique_dim_cuda_templateIhEESt5tupleIJNS8_6TensorESD_SD_EERKSD_lbbbEUlllE1_EE10hipError_tPvRmT2_T3_mT4_P12ihipStream_tbEUlT_E_NS1_11comp_targetILNS1_3genE5ELNS1_11target_archE942ELNS1_3gpuE9ELNS1_3repE0EEENS1_30default_config_static_selectorELNS0_4arch9wavefront6targetE0EEEvT1_ ; -- Begin function _ZN7rocprim17ROCPRIM_400000_NS6detail17trampoline_kernelINS0_14default_configENS1_35adjacent_difference_config_selectorILb1ElEEZNS1_24adjacent_difference_implIS3_Lb1ELb0EPlS7_ZN2at6native12_GLOBAL__N_124unique_dim_cuda_templateIhEESt5tupleIJNS8_6TensorESD_SD_EERKSD_lbbbEUlllE1_EE10hipError_tPvRmT2_T3_mT4_P12ihipStream_tbEUlT_E_NS1_11comp_targetILNS1_3genE5ELNS1_11target_archE942ELNS1_3gpuE9ELNS1_3repE0EEENS1_30default_config_static_selectorELNS0_4arch9wavefront6targetE0EEEvT1_
	.p2align	8
	.type	_ZN7rocprim17ROCPRIM_400000_NS6detail17trampoline_kernelINS0_14default_configENS1_35adjacent_difference_config_selectorILb1ElEEZNS1_24adjacent_difference_implIS3_Lb1ELb0EPlS7_ZN2at6native12_GLOBAL__N_124unique_dim_cuda_templateIhEESt5tupleIJNS8_6TensorESD_SD_EERKSD_lbbbEUlllE1_EE10hipError_tPvRmT2_T3_mT4_P12ihipStream_tbEUlT_E_NS1_11comp_targetILNS1_3genE5ELNS1_11target_archE942ELNS1_3gpuE9ELNS1_3repE0EEENS1_30default_config_static_selectorELNS0_4arch9wavefront6targetE0EEEvT1_,@function
_ZN7rocprim17ROCPRIM_400000_NS6detail17trampoline_kernelINS0_14default_configENS1_35adjacent_difference_config_selectorILb1ElEEZNS1_24adjacent_difference_implIS3_Lb1ELb0EPlS7_ZN2at6native12_GLOBAL__N_124unique_dim_cuda_templateIhEESt5tupleIJNS8_6TensorESD_SD_EERKSD_lbbbEUlllE1_EE10hipError_tPvRmT2_T3_mT4_P12ihipStream_tbEUlT_E_NS1_11comp_targetILNS1_3genE5ELNS1_11target_archE942ELNS1_3gpuE9ELNS1_3repE0EEENS1_30default_config_static_selectorELNS0_4arch9wavefront6targetE0EEEvT1_: ; @_ZN7rocprim17ROCPRIM_400000_NS6detail17trampoline_kernelINS0_14default_configENS1_35adjacent_difference_config_selectorILb1ElEEZNS1_24adjacent_difference_implIS3_Lb1ELb0EPlS7_ZN2at6native12_GLOBAL__N_124unique_dim_cuda_templateIhEESt5tupleIJNS8_6TensorESD_SD_EERKSD_lbbbEUlllE1_EE10hipError_tPvRmT2_T3_mT4_P12ihipStream_tbEUlT_E_NS1_11comp_targetILNS1_3genE5ELNS1_11target_archE942ELNS1_3gpuE9ELNS1_3repE0EEENS1_30default_config_static_selectorELNS0_4arch9wavefront6targetE0EEEvT1_
; %bb.0:
	.section	.rodata,"a",@progbits
	.p2align	6, 0x0
	.amdhsa_kernel _ZN7rocprim17ROCPRIM_400000_NS6detail17trampoline_kernelINS0_14default_configENS1_35adjacent_difference_config_selectorILb1ElEEZNS1_24adjacent_difference_implIS3_Lb1ELb0EPlS7_ZN2at6native12_GLOBAL__N_124unique_dim_cuda_templateIhEESt5tupleIJNS8_6TensorESD_SD_EERKSD_lbbbEUlllE1_EE10hipError_tPvRmT2_T3_mT4_P12ihipStream_tbEUlT_E_NS1_11comp_targetILNS1_3genE5ELNS1_11target_archE942ELNS1_3gpuE9ELNS1_3repE0EEENS1_30default_config_static_selectorELNS0_4arch9wavefront6targetE0EEEvT1_
		.amdhsa_group_segment_fixed_size 0
		.amdhsa_private_segment_fixed_size 0
		.amdhsa_kernarg_size 64
		.amdhsa_user_sgpr_count 2
		.amdhsa_user_sgpr_dispatch_ptr 0
		.amdhsa_user_sgpr_queue_ptr 0
		.amdhsa_user_sgpr_kernarg_segment_ptr 1
		.amdhsa_user_sgpr_dispatch_id 0
		.amdhsa_user_sgpr_kernarg_preload_length 0
		.amdhsa_user_sgpr_kernarg_preload_offset 0
		.amdhsa_user_sgpr_private_segment_size 0
		.amdhsa_wavefront_size32 1
		.amdhsa_uses_dynamic_stack 0
		.amdhsa_enable_private_segment 0
		.amdhsa_system_sgpr_workgroup_id_x 1
		.amdhsa_system_sgpr_workgroup_id_y 0
		.amdhsa_system_sgpr_workgroup_id_z 0
		.amdhsa_system_sgpr_workgroup_info 0
		.amdhsa_system_vgpr_workitem_id 0
		.amdhsa_next_free_vgpr 1
		.amdhsa_next_free_sgpr 1
		.amdhsa_named_barrier_count 0
		.amdhsa_reserve_vcc 0
		.amdhsa_float_round_mode_32 0
		.amdhsa_float_round_mode_16_64 0
		.amdhsa_float_denorm_mode_32 3
		.amdhsa_float_denorm_mode_16_64 3
		.amdhsa_fp16_overflow 0
		.amdhsa_memory_ordered 1
		.amdhsa_forward_progress 1
		.amdhsa_inst_pref_size 0
		.amdhsa_round_robin_scheduling 0
		.amdhsa_exception_fp_ieee_invalid_op 0
		.amdhsa_exception_fp_denorm_src 0
		.amdhsa_exception_fp_ieee_div_zero 0
		.amdhsa_exception_fp_ieee_overflow 0
		.amdhsa_exception_fp_ieee_underflow 0
		.amdhsa_exception_fp_ieee_inexact 0
		.amdhsa_exception_int_div_zero 0
	.end_amdhsa_kernel
	.section	.text._ZN7rocprim17ROCPRIM_400000_NS6detail17trampoline_kernelINS0_14default_configENS1_35adjacent_difference_config_selectorILb1ElEEZNS1_24adjacent_difference_implIS3_Lb1ELb0EPlS7_ZN2at6native12_GLOBAL__N_124unique_dim_cuda_templateIhEESt5tupleIJNS8_6TensorESD_SD_EERKSD_lbbbEUlllE1_EE10hipError_tPvRmT2_T3_mT4_P12ihipStream_tbEUlT_E_NS1_11comp_targetILNS1_3genE5ELNS1_11target_archE942ELNS1_3gpuE9ELNS1_3repE0EEENS1_30default_config_static_selectorELNS0_4arch9wavefront6targetE0EEEvT1_,"axG",@progbits,_ZN7rocprim17ROCPRIM_400000_NS6detail17trampoline_kernelINS0_14default_configENS1_35adjacent_difference_config_selectorILb1ElEEZNS1_24adjacent_difference_implIS3_Lb1ELb0EPlS7_ZN2at6native12_GLOBAL__N_124unique_dim_cuda_templateIhEESt5tupleIJNS8_6TensorESD_SD_EERKSD_lbbbEUlllE1_EE10hipError_tPvRmT2_T3_mT4_P12ihipStream_tbEUlT_E_NS1_11comp_targetILNS1_3genE5ELNS1_11target_archE942ELNS1_3gpuE9ELNS1_3repE0EEENS1_30default_config_static_selectorELNS0_4arch9wavefront6targetE0EEEvT1_,comdat
.Lfunc_end77:
	.size	_ZN7rocprim17ROCPRIM_400000_NS6detail17trampoline_kernelINS0_14default_configENS1_35adjacent_difference_config_selectorILb1ElEEZNS1_24adjacent_difference_implIS3_Lb1ELb0EPlS7_ZN2at6native12_GLOBAL__N_124unique_dim_cuda_templateIhEESt5tupleIJNS8_6TensorESD_SD_EERKSD_lbbbEUlllE1_EE10hipError_tPvRmT2_T3_mT4_P12ihipStream_tbEUlT_E_NS1_11comp_targetILNS1_3genE5ELNS1_11target_archE942ELNS1_3gpuE9ELNS1_3repE0EEENS1_30default_config_static_selectorELNS0_4arch9wavefront6targetE0EEEvT1_, .Lfunc_end77-_ZN7rocprim17ROCPRIM_400000_NS6detail17trampoline_kernelINS0_14default_configENS1_35adjacent_difference_config_selectorILb1ElEEZNS1_24adjacent_difference_implIS3_Lb1ELb0EPlS7_ZN2at6native12_GLOBAL__N_124unique_dim_cuda_templateIhEESt5tupleIJNS8_6TensorESD_SD_EERKSD_lbbbEUlllE1_EE10hipError_tPvRmT2_T3_mT4_P12ihipStream_tbEUlT_E_NS1_11comp_targetILNS1_3genE5ELNS1_11target_archE942ELNS1_3gpuE9ELNS1_3repE0EEENS1_30default_config_static_selectorELNS0_4arch9wavefront6targetE0EEEvT1_
                                        ; -- End function
	.set _ZN7rocprim17ROCPRIM_400000_NS6detail17trampoline_kernelINS0_14default_configENS1_35adjacent_difference_config_selectorILb1ElEEZNS1_24adjacent_difference_implIS3_Lb1ELb0EPlS7_ZN2at6native12_GLOBAL__N_124unique_dim_cuda_templateIhEESt5tupleIJNS8_6TensorESD_SD_EERKSD_lbbbEUlllE1_EE10hipError_tPvRmT2_T3_mT4_P12ihipStream_tbEUlT_E_NS1_11comp_targetILNS1_3genE5ELNS1_11target_archE942ELNS1_3gpuE9ELNS1_3repE0EEENS1_30default_config_static_selectorELNS0_4arch9wavefront6targetE0EEEvT1_.num_vgpr, 0
	.set _ZN7rocprim17ROCPRIM_400000_NS6detail17trampoline_kernelINS0_14default_configENS1_35adjacent_difference_config_selectorILb1ElEEZNS1_24adjacent_difference_implIS3_Lb1ELb0EPlS7_ZN2at6native12_GLOBAL__N_124unique_dim_cuda_templateIhEESt5tupleIJNS8_6TensorESD_SD_EERKSD_lbbbEUlllE1_EE10hipError_tPvRmT2_T3_mT4_P12ihipStream_tbEUlT_E_NS1_11comp_targetILNS1_3genE5ELNS1_11target_archE942ELNS1_3gpuE9ELNS1_3repE0EEENS1_30default_config_static_selectorELNS0_4arch9wavefront6targetE0EEEvT1_.num_agpr, 0
	.set _ZN7rocprim17ROCPRIM_400000_NS6detail17trampoline_kernelINS0_14default_configENS1_35adjacent_difference_config_selectorILb1ElEEZNS1_24adjacent_difference_implIS3_Lb1ELb0EPlS7_ZN2at6native12_GLOBAL__N_124unique_dim_cuda_templateIhEESt5tupleIJNS8_6TensorESD_SD_EERKSD_lbbbEUlllE1_EE10hipError_tPvRmT2_T3_mT4_P12ihipStream_tbEUlT_E_NS1_11comp_targetILNS1_3genE5ELNS1_11target_archE942ELNS1_3gpuE9ELNS1_3repE0EEENS1_30default_config_static_selectorELNS0_4arch9wavefront6targetE0EEEvT1_.numbered_sgpr, 0
	.set _ZN7rocprim17ROCPRIM_400000_NS6detail17trampoline_kernelINS0_14default_configENS1_35adjacent_difference_config_selectorILb1ElEEZNS1_24adjacent_difference_implIS3_Lb1ELb0EPlS7_ZN2at6native12_GLOBAL__N_124unique_dim_cuda_templateIhEESt5tupleIJNS8_6TensorESD_SD_EERKSD_lbbbEUlllE1_EE10hipError_tPvRmT2_T3_mT4_P12ihipStream_tbEUlT_E_NS1_11comp_targetILNS1_3genE5ELNS1_11target_archE942ELNS1_3gpuE9ELNS1_3repE0EEENS1_30default_config_static_selectorELNS0_4arch9wavefront6targetE0EEEvT1_.num_named_barrier, 0
	.set _ZN7rocprim17ROCPRIM_400000_NS6detail17trampoline_kernelINS0_14default_configENS1_35adjacent_difference_config_selectorILb1ElEEZNS1_24adjacent_difference_implIS3_Lb1ELb0EPlS7_ZN2at6native12_GLOBAL__N_124unique_dim_cuda_templateIhEESt5tupleIJNS8_6TensorESD_SD_EERKSD_lbbbEUlllE1_EE10hipError_tPvRmT2_T3_mT4_P12ihipStream_tbEUlT_E_NS1_11comp_targetILNS1_3genE5ELNS1_11target_archE942ELNS1_3gpuE9ELNS1_3repE0EEENS1_30default_config_static_selectorELNS0_4arch9wavefront6targetE0EEEvT1_.private_seg_size, 0
	.set _ZN7rocprim17ROCPRIM_400000_NS6detail17trampoline_kernelINS0_14default_configENS1_35adjacent_difference_config_selectorILb1ElEEZNS1_24adjacent_difference_implIS3_Lb1ELb0EPlS7_ZN2at6native12_GLOBAL__N_124unique_dim_cuda_templateIhEESt5tupleIJNS8_6TensorESD_SD_EERKSD_lbbbEUlllE1_EE10hipError_tPvRmT2_T3_mT4_P12ihipStream_tbEUlT_E_NS1_11comp_targetILNS1_3genE5ELNS1_11target_archE942ELNS1_3gpuE9ELNS1_3repE0EEENS1_30default_config_static_selectorELNS0_4arch9wavefront6targetE0EEEvT1_.uses_vcc, 0
	.set _ZN7rocprim17ROCPRIM_400000_NS6detail17trampoline_kernelINS0_14default_configENS1_35adjacent_difference_config_selectorILb1ElEEZNS1_24adjacent_difference_implIS3_Lb1ELb0EPlS7_ZN2at6native12_GLOBAL__N_124unique_dim_cuda_templateIhEESt5tupleIJNS8_6TensorESD_SD_EERKSD_lbbbEUlllE1_EE10hipError_tPvRmT2_T3_mT4_P12ihipStream_tbEUlT_E_NS1_11comp_targetILNS1_3genE5ELNS1_11target_archE942ELNS1_3gpuE9ELNS1_3repE0EEENS1_30default_config_static_selectorELNS0_4arch9wavefront6targetE0EEEvT1_.uses_flat_scratch, 0
	.set _ZN7rocprim17ROCPRIM_400000_NS6detail17trampoline_kernelINS0_14default_configENS1_35adjacent_difference_config_selectorILb1ElEEZNS1_24adjacent_difference_implIS3_Lb1ELb0EPlS7_ZN2at6native12_GLOBAL__N_124unique_dim_cuda_templateIhEESt5tupleIJNS8_6TensorESD_SD_EERKSD_lbbbEUlllE1_EE10hipError_tPvRmT2_T3_mT4_P12ihipStream_tbEUlT_E_NS1_11comp_targetILNS1_3genE5ELNS1_11target_archE942ELNS1_3gpuE9ELNS1_3repE0EEENS1_30default_config_static_selectorELNS0_4arch9wavefront6targetE0EEEvT1_.has_dyn_sized_stack, 0
	.set _ZN7rocprim17ROCPRIM_400000_NS6detail17trampoline_kernelINS0_14default_configENS1_35adjacent_difference_config_selectorILb1ElEEZNS1_24adjacent_difference_implIS3_Lb1ELb0EPlS7_ZN2at6native12_GLOBAL__N_124unique_dim_cuda_templateIhEESt5tupleIJNS8_6TensorESD_SD_EERKSD_lbbbEUlllE1_EE10hipError_tPvRmT2_T3_mT4_P12ihipStream_tbEUlT_E_NS1_11comp_targetILNS1_3genE5ELNS1_11target_archE942ELNS1_3gpuE9ELNS1_3repE0EEENS1_30default_config_static_selectorELNS0_4arch9wavefront6targetE0EEEvT1_.has_recursion, 0
	.set _ZN7rocprim17ROCPRIM_400000_NS6detail17trampoline_kernelINS0_14default_configENS1_35adjacent_difference_config_selectorILb1ElEEZNS1_24adjacent_difference_implIS3_Lb1ELb0EPlS7_ZN2at6native12_GLOBAL__N_124unique_dim_cuda_templateIhEESt5tupleIJNS8_6TensorESD_SD_EERKSD_lbbbEUlllE1_EE10hipError_tPvRmT2_T3_mT4_P12ihipStream_tbEUlT_E_NS1_11comp_targetILNS1_3genE5ELNS1_11target_archE942ELNS1_3gpuE9ELNS1_3repE0EEENS1_30default_config_static_selectorELNS0_4arch9wavefront6targetE0EEEvT1_.has_indirect_call, 0
	.section	.AMDGPU.csdata,"",@progbits
; Kernel info:
; codeLenInByte = 0
; TotalNumSgprs: 0
; NumVgprs: 0
; ScratchSize: 0
; MemoryBound: 0
; FloatMode: 240
; IeeeMode: 1
; LDSByteSize: 0 bytes/workgroup (compile time only)
; SGPRBlocks: 0
; VGPRBlocks: 0
; NumSGPRsForWavesPerEU: 1
; NumVGPRsForWavesPerEU: 1
; NamedBarCnt: 0
; Occupancy: 16
; WaveLimiterHint : 0
; COMPUTE_PGM_RSRC2:SCRATCH_EN: 0
; COMPUTE_PGM_RSRC2:USER_SGPR: 2
; COMPUTE_PGM_RSRC2:TRAP_HANDLER: 0
; COMPUTE_PGM_RSRC2:TGID_X_EN: 1
; COMPUTE_PGM_RSRC2:TGID_Y_EN: 0
; COMPUTE_PGM_RSRC2:TGID_Z_EN: 0
; COMPUTE_PGM_RSRC2:TIDIG_COMP_CNT: 0
	.section	.text._ZN7rocprim17ROCPRIM_400000_NS6detail17trampoline_kernelINS0_14default_configENS1_35adjacent_difference_config_selectorILb1ElEEZNS1_24adjacent_difference_implIS3_Lb1ELb0EPlS7_ZN2at6native12_GLOBAL__N_124unique_dim_cuda_templateIhEESt5tupleIJNS8_6TensorESD_SD_EERKSD_lbbbEUlllE1_EE10hipError_tPvRmT2_T3_mT4_P12ihipStream_tbEUlT_E_NS1_11comp_targetILNS1_3genE4ELNS1_11target_archE910ELNS1_3gpuE8ELNS1_3repE0EEENS1_30default_config_static_selectorELNS0_4arch9wavefront6targetE0EEEvT1_,"axG",@progbits,_ZN7rocprim17ROCPRIM_400000_NS6detail17trampoline_kernelINS0_14default_configENS1_35adjacent_difference_config_selectorILb1ElEEZNS1_24adjacent_difference_implIS3_Lb1ELb0EPlS7_ZN2at6native12_GLOBAL__N_124unique_dim_cuda_templateIhEESt5tupleIJNS8_6TensorESD_SD_EERKSD_lbbbEUlllE1_EE10hipError_tPvRmT2_T3_mT4_P12ihipStream_tbEUlT_E_NS1_11comp_targetILNS1_3genE4ELNS1_11target_archE910ELNS1_3gpuE8ELNS1_3repE0EEENS1_30default_config_static_selectorELNS0_4arch9wavefront6targetE0EEEvT1_,comdat
	.globl	_ZN7rocprim17ROCPRIM_400000_NS6detail17trampoline_kernelINS0_14default_configENS1_35adjacent_difference_config_selectorILb1ElEEZNS1_24adjacent_difference_implIS3_Lb1ELb0EPlS7_ZN2at6native12_GLOBAL__N_124unique_dim_cuda_templateIhEESt5tupleIJNS8_6TensorESD_SD_EERKSD_lbbbEUlllE1_EE10hipError_tPvRmT2_T3_mT4_P12ihipStream_tbEUlT_E_NS1_11comp_targetILNS1_3genE4ELNS1_11target_archE910ELNS1_3gpuE8ELNS1_3repE0EEENS1_30default_config_static_selectorELNS0_4arch9wavefront6targetE0EEEvT1_ ; -- Begin function _ZN7rocprim17ROCPRIM_400000_NS6detail17trampoline_kernelINS0_14default_configENS1_35adjacent_difference_config_selectorILb1ElEEZNS1_24adjacent_difference_implIS3_Lb1ELb0EPlS7_ZN2at6native12_GLOBAL__N_124unique_dim_cuda_templateIhEESt5tupleIJNS8_6TensorESD_SD_EERKSD_lbbbEUlllE1_EE10hipError_tPvRmT2_T3_mT4_P12ihipStream_tbEUlT_E_NS1_11comp_targetILNS1_3genE4ELNS1_11target_archE910ELNS1_3gpuE8ELNS1_3repE0EEENS1_30default_config_static_selectorELNS0_4arch9wavefront6targetE0EEEvT1_
	.p2align	8
	.type	_ZN7rocprim17ROCPRIM_400000_NS6detail17trampoline_kernelINS0_14default_configENS1_35adjacent_difference_config_selectorILb1ElEEZNS1_24adjacent_difference_implIS3_Lb1ELb0EPlS7_ZN2at6native12_GLOBAL__N_124unique_dim_cuda_templateIhEESt5tupleIJNS8_6TensorESD_SD_EERKSD_lbbbEUlllE1_EE10hipError_tPvRmT2_T3_mT4_P12ihipStream_tbEUlT_E_NS1_11comp_targetILNS1_3genE4ELNS1_11target_archE910ELNS1_3gpuE8ELNS1_3repE0EEENS1_30default_config_static_selectorELNS0_4arch9wavefront6targetE0EEEvT1_,@function
_ZN7rocprim17ROCPRIM_400000_NS6detail17trampoline_kernelINS0_14default_configENS1_35adjacent_difference_config_selectorILb1ElEEZNS1_24adjacent_difference_implIS3_Lb1ELb0EPlS7_ZN2at6native12_GLOBAL__N_124unique_dim_cuda_templateIhEESt5tupleIJNS8_6TensorESD_SD_EERKSD_lbbbEUlllE1_EE10hipError_tPvRmT2_T3_mT4_P12ihipStream_tbEUlT_E_NS1_11comp_targetILNS1_3genE4ELNS1_11target_archE910ELNS1_3gpuE8ELNS1_3repE0EEENS1_30default_config_static_selectorELNS0_4arch9wavefront6targetE0EEEvT1_: ; @_ZN7rocprim17ROCPRIM_400000_NS6detail17trampoline_kernelINS0_14default_configENS1_35adjacent_difference_config_selectorILb1ElEEZNS1_24adjacent_difference_implIS3_Lb1ELb0EPlS7_ZN2at6native12_GLOBAL__N_124unique_dim_cuda_templateIhEESt5tupleIJNS8_6TensorESD_SD_EERKSD_lbbbEUlllE1_EE10hipError_tPvRmT2_T3_mT4_P12ihipStream_tbEUlT_E_NS1_11comp_targetILNS1_3genE4ELNS1_11target_archE910ELNS1_3gpuE8ELNS1_3repE0EEENS1_30default_config_static_selectorELNS0_4arch9wavefront6targetE0EEEvT1_
; %bb.0:
	.section	.rodata,"a",@progbits
	.p2align	6, 0x0
	.amdhsa_kernel _ZN7rocprim17ROCPRIM_400000_NS6detail17trampoline_kernelINS0_14default_configENS1_35adjacent_difference_config_selectorILb1ElEEZNS1_24adjacent_difference_implIS3_Lb1ELb0EPlS7_ZN2at6native12_GLOBAL__N_124unique_dim_cuda_templateIhEESt5tupleIJNS8_6TensorESD_SD_EERKSD_lbbbEUlllE1_EE10hipError_tPvRmT2_T3_mT4_P12ihipStream_tbEUlT_E_NS1_11comp_targetILNS1_3genE4ELNS1_11target_archE910ELNS1_3gpuE8ELNS1_3repE0EEENS1_30default_config_static_selectorELNS0_4arch9wavefront6targetE0EEEvT1_
		.amdhsa_group_segment_fixed_size 0
		.amdhsa_private_segment_fixed_size 0
		.amdhsa_kernarg_size 64
		.amdhsa_user_sgpr_count 2
		.amdhsa_user_sgpr_dispatch_ptr 0
		.amdhsa_user_sgpr_queue_ptr 0
		.amdhsa_user_sgpr_kernarg_segment_ptr 1
		.amdhsa_user_sgpr_dispatch_id 0
		.amdhsa_user_sgpr_kernarg_preload_length 0
		.amdhsa_user_sgpr_kernarg_preload_offset 0
		.amdhsa_user_sgpr_private_segment_size 0
		.amdhsa_wavefront_size32 1
		.amdhsa_uses_dynamic_stack 0
		.amdhsa_enable_private_segment 0
		.amdhsa_system_sgpr_workgroup_id_x 1
		.amdhsa_system_sgpr_workgroup_id_y 0
		.amdhsa_system_sgpr_workgroup_id_z 0
		.amdhsa_system_sgpr_workgroup_info 0
		.amdhsa_system_vgpr_workitem_id 0
		.amdhsa_next_free_vgpr 1
		.amdhsa_next_free_sgpr 1
		.amdhsa_named_barrier_count 0
		.amdhsa_reserve_vcc 0
		.amdhsa_float_round_mode_32 0
		.amdhsa_float_round_mode_16_64 0
		.amdhsa_float_denorm_mode_32 3
		.amdhsa_float_denorm_mode_16_64 3
		.amdhsa_fp16_overflow 0
		.amdhsa_memory_ordered 1
		.amdhsa_forward_progress 1
		.amdhsa_inst_pref_size 0
		.amdhsa_round_robin_scheduling 0
		.amdhsa_exception_fp_ieee_invalid_op 0
		.amdhsa_exception_fp_denorm_src 0
		.amdhsa_exception_fp_ieee_div_zero 0
		.amdhsa_exception_fp_ieee_overflow 0
		.amdhsa_exception_fp_ieee_underflow 0
		.amdhsa_exception_fp_ieee_inexact 0
		.amdhsa_exception_int_div_zero 0
	.end_amdhsa_kernel
	.section	.text._ZN7rocprim17ROCPRIM_400000_NS6detail17trampoline_kernelINS0_14default_configENS1_35adjacent_difference_config_selectorILb1ElEEZNS1_24adjacent_difference_implIS3_Lb1ELb0EPlS7_ZN2at6native12_GLOBAL__N_124unique_dim_cuda_templateIhEESt5tupleIJNS8_6TensorESD_SD_EERKSD_lbbbEUlllE1_EE10hipError_tPvRmT2_T3_mT4_P12ihipStream_tbEUlT_E_NS1_11comp_targetILNS1_3genE4ELNS1_11target_archE910ELNS1_3gpuE8ELNS1_3repE0EEENS1_30default_config_static_selectorELNS0_4arch9wavefront6targetE0EEEvT1_,"axG",@progbits,_ZN7rocprim17ROCPRIM_400000_NS6detail17trampoline_kernelINS0_14default_configENS1_35adjacent_difference_config_selectorILb1ElEEZNS1_24adjacent_difference_implIS3_Lb1ELb0EPlS7_ZN2at6native12_GLOBAL__N_124unique_dim_cuda_templateIhEESt5tupleIJNS8_6TensorESD_SD_EERKSD_lbbbEUlllE1_EE10hipError_tPvRmT2_T3_mT4_P12ihipStream_tbEUlT_E_NS1_11comp_targetILNS1_3genE4ELNS1_11target_archE910ELNS1_3gpuE8ELNS1_3repE0EEENS1_30default_config_static_selectorELNS0_4arch9wavefront6targetE0EEEvT1_,comdat
.Lfunc_end78:
	.size	_ZN7rocprim17ROCPRIM_400000_NS6detail17trampoline_kernelINS0_14default_configENS1_35adjacent_difference_config_selectorILb1ElEEZNS1_24adjacent_difference_implIS3_Lb1ELb0EPlS7_ZN2at6native12_GLOBAL__N_124unique_dim_cuda_templateIhEESt5tupleIJNS8_6TensorESD_SD_EERKSD_lbbbEUlllE1_EE10hipError_tPvRmT2_T3_mT4_P12ihipStream_tbEUlT_E_NS1_11comp_targetILNS1_3genE4ELNS1_11target_archE910ELNS1_3gpuE8ELNS1_3repE0EEENS1_30default_config_static_selectorELNS0_4arch9wavefront6targetE0EEEvT1_, .Lfunc_end78-_ZN7rocprim17ROCPRIM_400000_NS6detail17trampoline_kernelINS0_14default_configENS1_35adjacent_difference_config_selectorILb1ElEEZNS1_24adjacent_difference_implIS3_Lb1ELb0EPlS7_ZN2at6native12_GLOBAL__N_124unique_dim_cuda_templateIhEESt5tupleIJNS8_6TensorESD_SD_EERKSD_lbbbEUlllE1_EE10hipError_tPvRmT2_T3_mT4_P12ihipStream_tbEUlT_E_NS1_11comp_targetILNS1_3genE4ELNS1_11target_archE910ELNS1_3gpuE8ELNS1_3repE0EEENS1_30default_config_static_selectorELNS0_4arch9wavefront6targetE0EEEvT1_
                                        ; -- End function
	.set _ZN7rocprim17ROCPRIM_400000_NS6detail17trampoline_kernelINS0_14default_configENS1_35adjacent_difference_config_selectorILb1ElEEZNS1_24adjacent_difference_implIS3_Lb1ELb0EPlS7_ZN2at6native12_GLOBAL__N_124unique_dim_cuda_templateIhEESt5tupleIJNS8_6TensorESD_SD_EERKSD_lbbbEUlllE1_EE10hipError_tPvRmT2_T3_mT4_P12ihipStream_tbEUlT_E_NS1_11comp_targetILNS1_3genE4ELNS1_11target_archE910ELNS1_3gpuE8ELNS1_3repE0EEENS1_30default_config_static_selectorELNS0_4arch9wavefront6targetE0EEEvT1_.num_vgpr, 0
	.set _ZN7rocprim17ROCPRIM_400000_NS6detail17trampoline_kernelINS0_14default_configENS1_35adjacent_difference_config_selectorILb1ElEEZNS1_24adjacent_difference_implIS3_Lb1ELb0EPlS7_ZN2at6native12_GLOBAL__N_124unique_dim_cuda_templateIhEESt5tupleIJNS8_6TensorESD_SD_EERKSD_lbbbEUlllE1_EE10hipError_tPvRmT2_T3_mT4_P12ihipStream_tbEUlT_E_NS1_11comp_targetILNS1_3genE4ELNS1_11target_archE910ELNS1_3gpuE8ELNS1_3repE0EEENS1_30default_config_static_selectorELNS0_4arch9wavefront6targetE0EEEvT1_.num_agpr, 0
	.set _ZN7rocprim17ROCPRIM_400000_NS6detail17trampoline_kernelINS0_14default_configENS1_35adjacent_difference_config_selectorILb1ElEEZNS1_24adjacent_difference_implIS3_Lb1ELb0EPlS7_ZN2at6native12_GLOBAL__N_124unique_dim_cuda_templateIhEESt5tupleIJNS8_6TensorESD_SD_EERKSD_lbbbEUlllE1_EE10hipError_tPvRmT2_T3_mT4_P12ihipStream_tbEUlT_E_NS1_11comp_targetILNS1_3genE4ELNS1_11target_archE910ELNS1_3gpuE8ELNS1_3repE0EEENS1_30default_config_static_selectorELNS0_4arch9wavefront6targetE0EEEvT1_.numbered_sgpr, 0
	.set _ZN7rocprim17ROCPRIM_400000_NS6detail17trampoline_kernelINS0_14default_configENS1_35adjacent_difference_config_selectorILb1ElEEZNS1_24adjacent_difference_implIS3_Lb1ELb0EPlS7_ZN2at6native12_GLOBAL__N_124unique_dim_cuda_templateIhEESt5tupleIJNS8_6TensorESD_SD_EERKSD_lbbbEUlllE1_EE10hipError_tPvRmT2_T3_mT4_P12ihipStream_tbEUlT_E_NS1_11comp_targetILNS1_3genE4ELNS1_11target_archE910ELNS1_3gpuE8ELNS1_3repE0EEENS1_30default_config_static_selectorELNS0_4arch9wavefront6targetE0EEEvT1_.num_named_barrier, 0
	.set _ZN7rocprim17ROCPRIM_400000_NS6detail17trampoline_kernelINS0_14default_configENS1_35adjacent_difference_config_selectorILb1ElEEZNS1_24adjacent_difference_implIS3_Lb1ELb0EPlS7_ZN2at6native12_GLOBAL__N_124unique_dim_cuda_templateIhEESt5tupleIJNS8_6TensorESD_SD_EERKSD_lbbbEUlllE1_EE10hipError_tPvRmT2_T3_mT4_P12ihipStream_tbEUlT_E_NS1_11comp_targetILNS1_3genE4ELNS1_11target_archE910ELNS1_3gpuE8ELNS1_3repE0EEENS1_30default_config_static_selectorELNS0_4arch9wavefront6targetE0EEEvT1_.private_seg_size, 0
	.set _ZN7rocprim17ROCPRIM_400000_NS6detail17trampoline_kernelINS0_14default_configENS1_35adjacent_difference_config_selectorILb1ElEEZNS1_24adjacent_difference_implIS3_Lb1ELb0EPlS7_ZN2at6native12_GLOBAL__N_124unique_dim_cuda_templateIhEESt5tupleIJNS8_6TensorESD_SD_EERKSD_lbbbEUlllE1_EE10hipError_tPvRmT2_T3_mT4_P12ihipStream_tbEUlT_E_NS1_11comp_targetILNS1_3genE4ELNS1_11target_archE910ELNS1_3gpuE8ELNS1_3repE0EEENS1_30default_config_static_selectorELNS0_4arch9wavefront6targetE0EEEvT1_.uses_vcc, 0
	.set _ZN7rocprim17ROCPRIM_400000_NS6detail17trampoline_kernelINS0_14default_configENS1_35adjacent_difference_config_selectorILb1ElEEZNS1_24adjacent_difference_implIS3_Lb1ELb0EPlS7_ZN2at6native12_GLOBAL__N_124unique_dim_cuda_templateIhEESt5tupleIJNS8_6TensorESD_SD_EERKSD_lbbbEUlllE1_EE10hipError_tPvRmT2_T3_mT4_P12ihipStream_tbEUlT_E_NS1_11comp_targetILNS1_3genE4ELNS1_11target_archE910ELNS1_3gpuE8ELNS1_3repE0EEENS1_30default_config_static_selectorELNS0_4arch9wavefront6targetE0EEEvT1_.uses_flat_scratch, 0
	.set _ZN7rocprim17ROCPRIM_400000_NS6detail17trampoline_kernelINS0_14default_configENS1_35adjacent_difference_config_selectorILb1ElEEZNS1_24adjacent_difference_implIS3_Lb1ELb0EPlS7_ZN2at6native12_GLOBAL__N_124unique_dim_cuda_templateIhEESt5tupleIJNS8_6TensorESD_SD_EERKSD_lbbbEUlllE1_EE10hipError_tPvRmT2_T3_mT4_P12ihipStream_tbEUlT_E_NS1_11comp_targetILNS1_3genE4ELNS1_11target_archE910ELNS1_3gpuE8ELNS1_3repE0EEENS1_30default_config_static_selectorELNS0_4arch9wavefront6targetE0EEEvT1_.has_dyn_sized_stack, 0
	.set _ZN7rocprim17ROCPRIM_400000_NS6detail17trampoline_kernelINS0_14default_configENS1_35adjacent_difference_config_selectorILb1ElEEZNS1_24adjacent_difference_implIS3_Lb1ELb0EPlS7_ZN2at6native12_GLOBAL__N_124unique_dim_cuda_templateIhEESt5tupleIJNS8_6TensorESD_SD_EERKSD_lbbbEUlllE1_EE10hipError_tPvRmT2_T3_mT4_P12ihipStream_tbEUlT_E_NS1_11comp_targetILNS1_3genE4ELNS1_11target_archE910ELNS1_3gpuE8ELNS1_3repE0EEENS1_30default_config_static_selectorELNS0_4arch9wavefront6targetE0EEEvT1_.has_recursion, 0
	.set _ZN7rocprim17ROCPRIM_400000_NS6detail17trampoline_kernelINS0_14default_configENS1_35adjacent_difference_config_selectorILb1ElEEZNS1_24adjacent_difference_implIS3_Lb1ELb0EPlS7_ZN2at6native12_GLOBAL__N_124unique_dim_cuda_templateIhEESt5tupleIJNS8_6TensorESD_SD_EERKSD_lbbbEUlllE1_EE10hipError_tPvRmT2_T3_mT4_P12ihipStream_tbEUlT_E_NS1_11comp_targetILNS1_3genE4ELNS1_11target_archE910ELNS1_3gpuE8ELNS1_3repE0EEENS1_30default_config_static_selectorELNS0_4arch9wavefront6targetE0EEEvT1_.has_indirect_call, 0
	.section	.AMDGPU.csdata,"",@progbits
; Kernel info:
; codeLenInByte = 0
; TotalNumSgprs: 0
; NumVgprs: 0
; ScratchSize: 0
; MemoryBound: 0
; FloatMode: 240
; IeeeMode: 1
; LDSByteSize: 0 bytes/workgroup (compile time only)
; SGPRBlocks: 0
; VGPRBlocks: 0
; NumSGPRsForWavesPerEU: 1
; NumVGPRsForWavesPerEU: 1
; NamedBarCnt: 0
; Occupancy: 16
; WaveLimiterHint : 0
; COMPUTE_PGM_RSRC2:SCRATCH_EN: 0
; COMPUTE_PGM_RSRC2:USER_SGPR: 2
; COMPUTE_PGM_RSRC2:TRAP_HANDLER: 0
; COMPUTE_PGM_RSRC2:TGID_X_EN: 1
; COMPUTE_PGM_RSRC2:TGID_Y_EN: 0
; COMPUTE_PGM_RSRC2:TGID_Z_EN: 0
; COMPUTE_PGM_RSRC2:TIDIG_COMP_CNT: 0
	.section	.text._ZN7rocprim17ROCPRIM_400000_NS6detail17trampoline_kernelINS0_14default_configENS1_35adjacent_difference_config_selectorILb1ElEEZNS1_24adjacent_difference_implIS3_Lb1ELb0EPlS7_ZN2at6native12_GLOBAL__N_124unique_dim_cuda_templateIhEESt5tupleIJNS8_6TensorESD_SD_EERKSD_lbbbEUlllE1_EE10hipError_tPvRmT2_T3_mT4_P12ihipStream_tbEUlT_E_NS1_11comp_targetILNS1_3genE3ELNS1_11target_archE908ELNS1_3gpuE7ELNS1_3repE0EEENS1_30default_config_static_selectorELNS0_4arch9wavefront6targetE0EEEvT1_,"axG",@progbits,_ZN7rocprim17ROCPRIM_400000_NS6detail17trampoline_kernelINS0_14default_configENS1_35adjacent_difference_config_selectorILb1ElEEZNS1_24adjacent_difference_implIS3_Lb1ELb0EPlS7_ZN2at6native12_GLOBAL__N_124unique_dim_cuda_templateIhEESt5tupleIJNS8_6TensorESD_SD_EERKSD_lbbbEUlllE1_EE10hipError_tPvRmT2_T3_mT4_P12ihipStream_tbEUlT_E_NS1_11comp_targetILNS1_3genE3ELNS1_11target_archE908ELNS1_3gpuE7ELNS1_3repE0EEENS1_30default_config_static_selectorELNS0_4arch9wavefront6targetE0EEEvT1_,comdat
	.globl	_ZN7rocprim17ROCPRIM_400000_NS6detail17trampoline_kernelINS0_14default_configENS1_35adjacent_difference_config_selectorILb1ElEEZNS1_24adjacent_difference_implIS3_Lb1ELb0EPlS7_ZN2at6native12_GLOBAL__N_124unique_dim_cuda_templateIhEESt5tupleIJNS8_6TensorESD_SD_EERKSD_lbbbEUlllE1_EE10hipError_tPvRmT2_T3_mT4_P12ihipStream_tbEUlT_E_NS1_11comp_targetILNS1_3genE3ELNS1_11target_archE908ELNS1_3gpuE7ELNS1_3repE0EEENS1_30default_config_static_selectorELNS0_4arch9wavefront6targetE0EEEvT1_ ; -- Begin function _ZN7rocprim17ROCPRIM_400000_NS6detail17trampoline_kernelINS0_14default_configENS1_35adjacent_difference_config_selectorILb1ElEEZNS1_24adjacent_difference_implIS3_Lb1ELb0EPlS7_ZN2at6native12_GLOBAL__N_124unique_dim_cuda_templateIhEESt5tupleIJNS8_6TensorESD_SD_EERKSD_lbbbEUlllE1_EE10hipError_tPvRmT2_T3_mT4_P12ihipStream_tbEUlT_E_NS1_11comp_targetILNS1_3genE3ELNS1_11target_archE908ELNS1_3gpuE7ELNS1_3repE0EEENS1_30default_config_static_selectorELNS0_4arch9wavefront6targetE0EEEvT1_
	.p2align	8
	.type	_ZN7rocprim17ROCPRIM_400000_NS6detail17trampoline_kernelINS0_14default_configENS1_35adjacent_difference_config_selectorILb1ElEEZNS1_24adjacent_difference_implIS3_Lb1ELb0EPlS7_ZN2at6native12_GLOBAL__N_124unique_dim_cuda_templateIhEESt5tupleIJNS8_6TensorESD_SD_EERKSD_lbbbEUlllE1_EE10hipError_tPvRmT2_T3_mT4_P12ihipStream_tbEUlT_E_NS1_11comp_targetILNS1_3genE3ELNS1_11target_archE908ELNS1_3gpuE7ELNS1_3repE0EEENS1_30default_config_static_selectorELNS0_4arch9wavefront6targetE0EEEvT1_,@function
_ZN7rocprim17ROCPRIM_400000_NS6detail17trampoline_kernelINS0_14default_configENS1_35adjacent_difference_config_selectorILb1ElEEZNS1_24adjacent_difference_implIS3_Lb1ELb0EPlS7_ZN2at6native12_GLOBAL__N_124unique_dim_cuda_templateIhEESt5tupleIJNS8_6TensorESD_SD_EERKSD_lbbbEUlllE1_EE10hipError_tPvRmT2_T3_mT4_P12ihipStream_tbEUlT_E_NS1_11comp_targetILNS1_3genE3ELNS1_11target_archE908ELNS1_3gpuE7ELNS1_3repE0EEENS1_30default_config_static_selectorELNS0_4arch9wavefront6targetE0EEEvT1_: ; @_ZN7rocprim17ROCPRIM_400000_NS6detail17trampoline_kernelINS0_14default_configENS1_35adjacent_difference_config_selectorILb1ElEEZNS1_24adjacent_difference_implIS3_Lb1ELb0EPlS7_ZN2at6native12_GLOBAL__N_124unique_dim_cuda_templateIhEESt5tupleIJNS8_6TensorESD_SD_EERKSD_lbbbEUlllE1_EE10hipError_tPvRmT2_T3_mT4_P12ihipStream_tbEUlT_E_NS1_11comp_targetILNS1_3genE3ELNS1_11target_archE908ELNS1_3gpuE7ELNS1_3repE0EEENS1_30default_config_static_selectorELNS0_4arch9wavefront6targetE0EEEvT1_
; %bb.0:
	.section	.rodata,"a",@progbits
	.p2align	6, 0x0
	.amdhsa_kernel _ZN7rocprim17ROCPRIM_400000_NS6detail17trampoline_kernelINS0_14default_configENS1_35adjacent_difference_config_selectorILb1ElEEZNS1_24adjacent_difference_implIS3_Lb1ELb0EPlS7_ZN2at6native12_GLOBAL__N_124unique_dim_cuda_templateIhEESt5tupleIJNS8_6TensorESD_SD_EERKSD_lbbbEUlllE1_EE10hipError_tPvRmT2_T3_mT4_P12ihipStream_tbEUlT_E_NS1_11comp_targetILNS1_3genE3ELNS1_11target_archE908ELNS1_3gpuE7ELNS1_3repE0EEENS1_30default_config_static_selectorELNS0_4arch9wavefront6targetE0EEEvT1_
		.amdhsa_group_segment_fixed_size 0
		.amdhsa_private_segment_fixed_size 0
		.amdhsa_kernarg_size 64
		.amdhsa_user_sgpr_count 2
		.amdhsa_user_sgpr_dispatch_ptr 0
		.amdhsa_user_sgpr_queue_ptr 0
		.amdhsa_user_sgpr_kernarg_segment_ptr 1
		.amdhsa_user_sgpr_dispatch_id 0
		.amdhsa_user_sgpr_kernarg_preload_length 0
		.amdhsa_user_sgpr_kernarg_preload_offset 0
		.amdhsa_user_sgpr_private_segment_size 0
		.amdhsa_wavefront_size32 1
		.amdhsa_uses_dynamic_stack 0
		.amdhsa_enable_private_segment 0
		.amdhsa_system_sgpr_workgroup_id_x 1
		.amdhsa_system_sgpr_workgroup_id_y 0
		.amdhsa_system_sgpr_workgroup_id_z 0
		.amdhsa_system_sgpr_workgroup_info 0
		.amdhsa_system_vgpr_workitem_id 0
		.amdhsa_next_free_vgpr 1
		.amdhsa_next_free_sgpr 1
		.amdhsa_named_barrier_count 0
		.amdhsa_reserve_vcc 0
		.amdhsa_float_round_mode_32 0
		.amdhsa_float_round_mode_16_64 0
		.amdhsa_float_denorm_mode_32 3
		.amdhsa_float_denorm_mode_16_64 3
		.amdhsa_fp16_overflow 0
		.amdhsa_memory_ordered 1
		.amdhsa_forward_progress 1
		.amdhsa_inst_pref_size 0
		.amdhsa_round_robin_scheduling 0
		.amdhsa_exception_fp_ieee_invalid_op 0
		.amdhsa_exception_fp_denorm_src 0
		.amdhsa_exception_fp_ieee_div_zero 0
		.amdhsa_exception_fp_ieee_overflow 0
		.amdhsa_exception_fp_ieee_underflow 0
		.amdhsa_exception_fp_ieee_inexact 0
		.amdhsa_exception_int_div_zero 0
	.end_amdhsa_kernel
	.section	.text._ZN7rocprim17ROCPRIM_400000_NS6detail17trampoline_kernelINS0_14default_configENS1_35adjacent_difference_config_selectorILb1ElEEZNS1_24adjacent_difference_implIS3_Lb1ELb0EPlS7_ZN2at6native12_GLOBAL__N_124unique_dim_cuda_templateIhEESt5tupleIJNS8_6TensorESD_SD_EERKSD_lbbbEUlllE1_EE10hipError_tPvRmT2_T3_mT4_P12ihipStream_tbEUlT_E_NS1_11comp_targetILNS1_3genE3ELNS1_11target_archE908ELNS1_3gpuE7ELNS1_3repE0EEENS1_30default_config_static_selectorELNS0_4arch9wavefront6targetE0EEEvT1_,"axG",@progbits,_ZN7rocprim17ROCPRIM_400000_NS6detail17trampoline_kernelINS0_14default_configENS1_35adjacent_difference_config_selectorILb1ElEEZNS1_24adjacent_difference_implIS3_Lb1ELb0EPlS7_ZN2at6native12_GLOBAL__N_124unique_dim_cuda_templateIhEESt5tupleIJNS8_6TensorESD_SD_EERKSD_lbbbEUlllE1_EE10hipError_tPvRmT2_T3_mT4_P12ihipStream_tbEUlT_E_NS1_11comp_targetILNS1_3genE3ELNS1_11target_archE908ELNS1_3gpuE7ELNS1_3repE0EEENS1_30default_config_static_selectorELNS0_4arch9wavefront6targetE0EEEvT1_,comdat
.Lfunc_end79:
	.size	_ZN7rocprim17ROCPRIM_400000_NS6detail17trampoline_kernelINS0_14default_configENS1_35adjacent_difference_config_selectorILb1ElEEZNS1_24adjacent_difference_implIS3_Lb1ELb0EPlS7_ZN2at6native12_GLOBAL__N_124unique_dim_cuda_templateIhEESt5tupleIJNS8_6TensorESD_SD_EERKSD_lbbbEUlllE1_EE10hipError_tPvRmT2_T3_mT4_P12ihipStream_tbEUlT_E_NS1_11comp_targetILNS1_3genE3ELNS1_11target_archE908ELNS1_3gpuE7ELNS1_3repE0EEENS1_30default_config_static_selectorELNS0_4arch9wavefront6targetE0EEEvT1_, .Lfunc_end79-_ZN7rocprim17ROCPRIM_400000_NS6detail17trampoline_kernelINS0_14default_configENS1_35adjacent_difference_config_selectorILb1ElEEZNS1_24adjacent_difference_implIS3_Lb1ELb0EPlS7_ZN2at6native12_GLOBAL__N_124unique_dim_cuda_templateIhEESt5tupleIJNS8_6TensorESD_SD_EERKSD_lbbbEUlllE1_EE10hipError_tPvRmT2_T3_mT4_P12ihipStream_tbEUlT_E_NS1_11comp_targetILNS1_3genE3ELNS1_11target_archE908ELNS1_3gpuE7ELNS1_3repE0EEENS1_30default_config_static_selectorELNS0_4arch9wavefront6targetE0EEEvT1_
                                        ; -- End function
	.set _ZN7rocprim17ROCPRIM_400000_NS6detail17trampoline_kernelINS0_14default_configENS1_35adjacent_difference_config_selectorILb1ElEEZNS1_24adjacent_difference_implIS3_Lb1ELb0EPlS7_ZN2at6native12_GLOBAL__N_124unique_dim_cuda_templateIhEESt5tupleIJNS8_6TensorESD_SD_EERKSD_lbbbEUlllE1_EE10hipError_tPvRmT2_T3_mT4_P12ihipStream_tbEUlT_E_NS1_11comp_targetILNS1_3genE3ELNS1_11target_archE908ELNS1_3gpuE7ELNS1_3repE0EEENS1_30default_config_static_selectorELNS0_4arch9wavefront6targetE0EEEvT1_.num_vgpr, 0
	.set _ZN7rocprim17ROCPRIM_400000_NS6detail17trampoline_kernelINS0_14default_configENS1_35adjacent_difference_config_selectorILb1ElEEZNS1_24adjacent_difference_implIS3_Lb1ELb0EPlS7_ZN2at6native12_GLOBAL__N_124unique_dim_cuda_templateIhEESt5tupleIJNS8_6TensorESD_SD_EERKSD_lbbbEUlllE1_EE10hipError_tPvRmT2_T3_mT4_P12ihipStream_tbEUlT_E_NS1_11comp_targetILNS1_3genE3ELNS1_11target_archE908ELNS1_3gpuE7ELNS1_3repE0EEENS1_30default_config_static_selectorELNS0_4arch9wavefront6targetE0EEEvT1_.num_agpr, 0
	.set _ZN7rocprim17ROCPRIM_400000_NS6detail17trampoline_kernelINS0_14default_configENS1_35adjacent_difference_config_selectorILb1ElEEZNS1_24adjacent_difference_implIS3_Lb1ELb0EPlS7_ZN2at6native12_GLOBAL__N_124unique_dim_cuda_templateIhEESt5tupleIJNS8_6TensorESD_SD_EERKSD_lbbbEUlllE1_EE10hipError_tPvRmT2_T3_mT4_P12ihipStream_tbEUlT_E_NS1_11comp_targetILNS1_3genE3ELNS1_11target_archE908ELNS1_3gpuE7ELNS1_3repE0EEENS1_30default_config_static_selectorELNS0_4arch9wavefront6targetE0EEEvT1_.numbered_sgpr, 0
	.set _ZN7rocprim17ROCPRIM_400000_NS6detail17trampoline_kernelINS0_14default_configENS1_35adjacent_difference_config_selectorILb1ElEEZNS1_24adjacent_difference_implIS3_Lb1ELb0EPlS7_ZN2at6native12_GLOBAL__N_124unique_dim_cuda_templateIhEESt5tupleIJNS8_6TensorESD_SD_EERKSD_lbbbEUlllE1_EE10hipError_tPvRmT2_T3_mT4_P12ihipStream_tbEUlT_E_NS1_11comp_targetILNS1_3genE3ELNS1_11target_archE908ELNS1_3gpuE7ELNS1_3repE0EEENS1_30default_config_static_selectorELNS0_4arch9wavefront6targetE0EEEvT1_.num_named_barrier, 0
	.set _ZN7rocprim17ROCPRIM_400000_NS6detail17trampoline_kernelINS0_14default_configENS1_35adjacent_difference_config_selectorILb1ElEEZNS1_24adjacent_difference_implIS3_Lb1ELb0EPlS7_ZN2at6native12_GLOBAL__N_124unique_dim_cuda_templateIhEESt5tupleIJNS8_6TensorESD_SD_EERKSD_lbbbEUlllE1_EE10hipError_tPvRmT2_T3_mT4_P12ihipStream_tbEUlT_E_NS1_11comp_targetILNS1_3genE3ELNS1_11target_archE908ELNS1_3gpuE7ELNS1_3repE0EEENS1_30default_config_static_selectorELNS0_4arch9wavefront6targetE0EEEvT1_.private_seg_size, 0
	.set _ZN7rocprim17ROCPRIM_400000_NS6detail17trampoline_kernelINS0_14default_configENS1_35adjacent_difference_config_selectorILb1ElEEZNS1_24adjacent_difference_implIS3_Lb1ELb0EPlS7_ZN2at6native12_GLOBAL__N_124unique_dim_cuda_templateIhEESt5tupleIJNS8_6TensorESD_SD_EERKSD_lbbbEUlllE1_EE10hipError_tPvRmT2_T3_mT4_P12ihipStream_tbEUlT_E_NS1_11comp_targetILNS1_3genE3ELNS1_11target_archE908ELNS1_3gpuE7ELNS1_3repE0EEENS1_30default_config_static_selectorELNS0_4arch9wavefront6targetE0EEEvT1_.uses_vcc, 0
	.set _ZN7rocprim17ROCPRIM_400000_NS6detail17trampoline_kernelINS0_14default_configENS1_35adjacent_difference_config_selectorILb1ElEEZNS1_24adjacent_difference_implIS3_Lb1ELb0EPlS7_ZN2at6native12_GLOBAL__N_124unique_dim_cuda_templateIhEESt5tupleIJNS8_6TensorESD_SD_EERKSD_lbbbEUlllE1_EE10hipError_tPvRmT2_T3_mT4_P12ihipStream_tbEUlT_E_NS1_11comp_targetILNS1_3genE3ELNS1_11target_archE908ELNS1_3gpuE7ELNS1_3repE0EEENS1_30default_config_static_selectorELNS0_4arch9wavefront6targetE0EEEvT1_.uses_flat_scratch, 0
	.set _ZN7rocprim17ROCPRIM_400000_NS6detail17trampoline_kernelINS0_14default_configENS1_35adjacent_difference_config_selectorILb1ElEEZNS1_24adjacent_difference_implIS3_Lb1ELb0EPlS7_ZN2at6native12_GLOBAL__N_124unique_dim_cuda_templateIhEESt5tupleIJNS8_6TensorESD_SD_EERKSD_lbbbEUlllE1_EE10hipError_tPvRmT2_T3_mT4_P12ihipStream_tbEUlT_E_NS1_11comp_targetILNS1_3genE3ELNS1_11target_archE908ELNS1_3gpuE7ELNS1_3repE0EEENS1_30default_config_static_selectorELNS0_4arch9wavefront6targetE0EEEvT1_.has_dyn_sized_stack, 0
	.set _ZN7rocprim17ROCPRIM_400000_NS6detail17trampoline_kernelINS0_14default_configENS1_35adjacent_difference_config_selectorILb1ElEEZNS1_24adjacent_difference_implIS3_Lb1ELb0EPlS7_ZN2at6native12_GLOBAL__N_124unique_dim_cuda_templateIhEESt5tupleIJNS8_6TensorESD_SD_EERKSD_lbbbEUlllE1_EE10hipError_tPvRmT2_T3_mT4_P12ihipStream_tbEUlT_E_NS1_11comp_targetILNS1_3genE3ELNS1_11target_archE908ELNS1_3gpuE7ELNS1_3repE0EEENS1_30default_config_static_selectorELNS0_4arch9wavefront6targetE0EEEvT1_.has_recursion, 0
	.set _ZN7rocprim17ROCPRIM_400000_NS6detail17trampoline_kernelINS0_14default_configENS1_35adjacent_difference_config_selectorILb1ElEEZNS1_24adjacent_difference_implIS3_Lb1ELb0EPlS7_ZN2at6native12_GLOBAL__N_124unique_dim_cuda_templateIhEESt5tupleIJNS8_6TensorESD_SD_EERKSD_lbbbEUlllE1_EE10hipError_tPvRmT2_T3_mT4_P12ihipStream_tbEUlT_E_NS1_11comp_targetILNS1_3genE3ELNS1_11target_archE908ELNS1_3gpuE7ELNS1_3repE0EEENS1_30default_config_static_selectorELNS0_4arch9wavefront6targetE0EEEvT1_.has_indirect_call, 0
	.section	.AMDGPU.csdata,"",@progbits
; Kernel info:
; codeLenInByte = 0
; TotalNumSgprs: 0
; NumVgprs: 0
; ScratchSize: 0
; MemoryBound: 0
; FloatMode: 240
; IeeeMode: 1
; LDSByteSize: 0 bytes/workgroup (compile time only)
; SGPRBlocks: 0
; VGPRBlocks: 0
; NumSGPRsForWavesPerEU: 1
; NumVGPRsForWavesPerEU: 1
; NamedBarCnt: 0
; Occupancy: 16
; WaveLimiterHint : 0
; COMPUTE_PGM_RSRC2:SCRATCH_EN: 0
; COMPUTE_PGM_RSRC2:USER_SGPR: 2
; COMPUTE_PGM_RSRC2:TRAP_HANDLER: 0
; COMPUTE_PGM_RSRC2:TGID_X_EN: 1
; COMPUTE_PGM_RSRC2:TGID_Y_EN: 0
; COMPUTE_PGM_RSRC2:TGID_Z_EN: 0
; COMPUTE_PGM_RSRC2:TIDIG_COMP_CNT: 0
	.section	.text._ZN7rocprim17ROCPRIM_400000_NS6detail17trampoline_kernelINS0_14default_configENS1_35adjacent_difference_config_selectorILb1ElEEZNS1_24adjacent_difference_implIS3_Lb1ELb0EPlS7_ZN2at6native12_GLOBAL__N_124unique_dim_cuda_templateIhEESt5tupleIJNS8_6TensorESD_SD_EERKSD_lbbbEUlllE1_EE10hipError_tPvRmT2_T3_mT4_P12ihipStream_tbEUlT_E_NS1_11comp_targetILNS1_3genE2ELNS1_11target_archE906ELNS1_3gpuE6ELNS1_3repE0EEENS1_30default_config_static_selectorELNS0_4arch9wavefront6targetE0EEEvT1_,"axG",@progbits,_ZN7rocprim17ROCPRIM_400000_NS6detail17trampoline_kernelINS0_14default_configENS1_35adjacent_difference_config_selectorILb1ElEEZNS1_24adjacent_difference_implIS3_Lb1ELb0EPlS7_ZN2at6native12_GLOBAL__N_124unique_dim_cuda_templateIhEESt5tupleIJNS8_6TensorESD_SD_EERKSD_lbbbEUlllE1_EE10hipError_tPvRmT2_T3_mT4_P12ihipStream_tbEUlT_E_NS1_11comp_targetILNS1_3genE2ELNS1_11target_archE906ELNS1_3gpuE6ELNS1_3repE0EEENS1_30default_config_static_selectorELNS0_4arch9wavefront6targetE0EEEvT1_,comdat
	.globl	_ZN7rocprim17ROCPRIM_400000_NS6detail17trampoline_kernelINS0_14default_configENS1_35adjacent_difference_config_selectorILb1ElEEZNS1_24adjacent_difference_implIS3_Lb1ELb0EPlS7_ZN2at6native12_GLOBAL__N_124unique_dim_cuda_templateIhEESt5tupleIJNS8_6TensorESD_SD_EERKSD_lbbbEUlllE1_EE10hipError_tPvRmT2_T3_mT4_P12ihipStream_tbEUlT_E_NS1_11comp_targetILNS1_3genE2ELNS1_11target_archE906ELNS1_3gpuE6ELNS1_3repE0EEENS1_30default_config_static_selectorELNS0_4arch9wavefront6targetE0EEEvT1_ ; -- Begin function _ZN7rocprim17ROCPRIM_400000_NS6detail17trampoline_kernelINS0_14default_configENS1_35adjacent_difference_config_selectorILb1ElEEZNS1_24adjacent_difference_implIS3_Lb1ELb0EPlS7_ZN2at6native12_GLOBAL__N_124unique_dim_cuda_templateIhEESt5tupleIJNS8_6TensorESD_SD_EERKSD_lbbbEUlllE1_EE10hipError_tPvRmT2_T3_mT4_P12ihipStream_tbEUlT_E_NS1_11comp_targetILNS1_3genE2ELNS1_11target_archE906ELNS1_3gpuE6ELNS1_3repE0EEENS1_30default_config_static_selectorELNS0_4arch9wavefront6targetE0EEEvT1_
	.p2align	8
	.type	_ZN7rocprim17ROCPRIM_400000_NS6detail17trampoline_kernelINS0_14default_configENS1_35adjacent_difference_config_selectorILb1ElEEZNS1_24adjacent_difference_implIS3_Lb1ELb0EPlS7_ZN2at6native12_GLOBAL__N_124unique_dim_cuda_templateIhEESt5tupleIJNS8_6TensorESD_SD_EERKSD_lbbbEUlllE1_EE10hipError_tPvRmT2_T3_mT4_P12ihipStream_tbEUlT_E_NS1_11comp_targetILNS1_3genE2ELNS1_11target_archE906ELNS1_3gpuE6ELNS1_3repE0EEENS1_30default_config_static_selectorELNS0_4arch9wavefront6targetE0EEEvT1_,@function
_ZN7rocprim17ROCPRIM_400000_NS6detail17trampoline_kernelINS0_14default_configENS1_35adjacent_difference_config_selectorILb1ElEEZNS1_24adjacent_difference_implIS3_Lb1ELb0EPlS7_ZN2at6native12_GLOBAL__N_124unique_dim_cuda_templateIhEESt5tupleIJNS8_6TensorESD_SD_EERKSD_lbbbEUlllE1_EE10hipError_tPvRmT2_T3_mT4_P12ihipStream_tbEUlT_E_NS1_11comp_targetILNS1_3genE2ELNS1_11target_archE906ELNS1_3gpuE6ELNS1_3repE0EEENS1_30default_config_static_selectorELNS0_4arch9wavefront6targetE0EEEvT1_: ; @_ZN7rocprim17ROCPRIM_400000_NS6detail17trampoline_kernelINS0_14default_configENS1_35adjacent_difference_config_selectorILb1ElEEZNS1_24adjacent_difference_implIS3_Lb1ELb0EPlS7_ZN2at6native12_GLOBAL__N_124unique_dim_cuda_templateIhEESt5tupleIJNS8_6TensorESD_SD_EERKSD_lbbbEUlllE1_EE10hipError_tPvRmT2_T3_mT4_P12ihipStream_tbEUlT_E_NS1_11comp_targetILNS1_3genE2ELNS1_11target_archE906ELNS1_3gpuE6ELNS1_3repE0EEENS1_30default_config_static_selectorELNS0_4arch9wavefront6targetE0EEEvT1_
; %bb.0:
	.section	.rodata,"a",@progbits
	.p2align	6, 0x0
	.amdhsa_kernel _ZN7rocprim17ROCPRIM_400000_NS6detail17trampoline_kernelINS0_14default_configENS1_35adjacent_difference_config_selectorILb1ElEEZNS1_24adjacent_difference_implIS3_Lb1ELb0EPlS7_ZN2at6native12_GLOBAL__N_124unique_dim_cuda_templateIhEESt5tupleIJNS8_6TensorESD_SD_EERKSD_lbbbEUlllE1_EE10hipError_tPvRmT2_T3_mT4_P12ihipStream_tbEUlT_E_NS1_11comp_targetILNS1_3genE2ELNS1_11target_archE906ELNS1_3gpuE6ELNS1_3repE0EEENS1_30default_config_static_selectorELNS0_4arch9wavefront6targetE0EEEvT1_
		.amdhsa_group_segment_fixed_size 0
		.amdhsa_private_segment_fixed_size 0
		.amdhsa_kernarg_size 64
		.amdhsa_user_sgpr_count 2
		.amdhsa_user_sgpr_dispatch_ptr 0
		.amdhsa_user_sgpr_queue_ptr 0
		.amdhsa_user_sgpr_kernarg_segment_ptr 1
		.amdhsa_user_sgpr_dispatch_id 0
		.amdhsa_user_sgpr_kernarg_preload_length 0
		.amdhsa_user_sgpr_kernarg_preload_offset 0
		.amdhsa_user_sgpr_private_segment_size 0
		.amdhsa_wavefront_size32 1
		.amdhsa_uses_dynamic_stack 0
		.amdhsa_enable_private_segment 0
		.amdhsa_system_sgpr_workgroup_id_x 1
		.amdhsa_system_sgpr_workgroup_id_y 0
		.amdhsa_system_sgpr_workgroup_id_z 0
		.amdhsa_system_sgpr_workgroup_info 0
		.amdhsa_system_vgpr_workitem_id 0
		.amdhsa_next_free_vgpr 1
		.amdhsa_next_free_sgpr 1
		.amdhsa_named_barrier_count 0
		.amdhsa_reserve_vcc 0
		.amdhsa_float_round_mode_32 0
		.amdhsa_float_round_mode_16_64 0
		.amdhsa_float_denorm_mode_32 3
		.amdhsa_float_denorm_mode_16_64 3
		.amdhsa_fp16_overflow 0
		.amdhsa_memory_ordered 1
		.amdhsa_forward_progress 1
		.amdhsa_inst_pref_size 0
		.amdhsa_round_robin_scheduling 0
		.amdhsa_exception_fp_ieee_invalid_op 0
		.amdhsa_exception_fp_denorm_src 0
		.amdhsa_exception_fp_ieee_div_zero 0
		.amdhsa_exception_fp_ieee_overflow 0
		.amdhsa_exception_fp_ieee_underflow 0
		.amdhsa_exception_fp_ieee_inexact 0
		.amdhsa_exception_int_div_zero 0
	.end_amdhsa_kernel
	.section	.text._ZN7rocprim17ROCPRIM_400000_NS6detail17trampoline_kernelINS0_14default_configENS1_35adjacent_difference_config_selectorILb1ElEEZNS1_24adjacent_difference_implIS3_Lb1ELb0EPlS7_ZN2at6native12_GLOBAL__N_124unique_dim_cuda_templateIhEESt5tupleIJNS8_6TensorESD_SD_EERKSD_lbbbEUlllE1_EE10hipError_tPvRmT2_T3_mT4_P12ihipStream_tbEUlT_E_NS1_11comp_targetILNS1_3genE2ELNS1_11target_archE906ELNS1_3gpuE6ELNS1_3repE0EEENS1_30default_config_static_selectorELNS0_4arch9wavefront6targetE0EEEvT1_,"axG",@progbits,_ZN7rocprim17ROCPRIM_400000_NS6detail17trampoline_kernelINS0_14default_configENS1_35adjacent_difference_config_selectorILb1ElEEZNS1_24adjacent_difference_implIS3_Lb1ELb0EPlS7_ZN2at6native12_GLOBAL__N_124unique_dim_cuda_templateIhEESt5tupleIJNS8_6TensorESD_SD_EERKSD_lbbbEUlllE1_EE10hipError_tPvRmT2_T3_mT4_P12ihipStream_tbEUlT_E_NS1_11comp_targetILNS1_3genE2ELNS1_11target_archE906ELNS1_3gpuE6ELNS1_3repE0EEENS1_30default_config_static_selectorELNS0_4arch9wavefront6targetE0EEEvT1_,comdat
.Lfunc_end80:
	.size	_ZN7rocprim17ROCPRIM_400000_NS6detail17trampoline_kernelINS0_14default_configENS1_35adjacent_difference_config_selectorILb1ElEEZNS1_24adjacent_difference_implIS3_Lb1ELb0EPlS7_ZN2at6native12_GLOBAL__N_124unique_dim_cuda_templateIhEESt5tupleIJNS8_6TensorESD_SD_EERKSD_lbbbEUlllE1_EE10hipError_tPvRmT2_T3_mT4_P12ihipStream_tbEUlT_E_NS1_11comp_targetILNS1_3genE2ELNS1_11target_archE906ELNS1_3gpuE6ELNS1_3repE0EEENS1_30default_config_static_selectorELNS0_4arch9wavefront6targetE0EEEvT1_, .Lfunc_end80-_ZN7rocprim17ROCPRIM_400000_NS6detail17trampoline_kernelINS0_14default_configENS1_35adjacent_difference_config_selectorILb1ElEEZNS1_24adjacent_difference_implIS3_Lb1ELb0EPlS7_ZN2at6native12_GLOBAL__N_124unique_dim_cuda_templateIhEESt5tupleIJNS8_6TensorESD_SD_EERKSD_lbbbEUlllE1_EE10hipError_tPvRmT2_T3_mT4_P12ihipStream_tbEUlT_E_NS1_11comp_targetILNS1_3genE2ELNS1_11target_archE906ELNS1_3gpuE6ELNS1_3repE0EEENS1_30default_config_static_selectorELNS0_4arch9wavefront6targetE0EEEvT1_
                                        ; -- End function
	.set _ZN7rocprim17ROCPRIM_400000_NS6detail17trampoline_kernelINS0_14default_configENS1_35adjacent_difference_config_selectorILb1ElEEZNS1_24adjacent_difference_implIS3_Lb1ELb0EPlS7_ZN2at6native12_GLOBAL__N_124unique_dim_cuda_templateIhEESt5tupleIJNS8_6TensorESD_SD_EERKSD_lbbbEUlllE1_EE10hipError_tPvRmT2_T3_mT4_P12ihipStream_tbEUlT_E_NS1_11comp_targetILNS1_3genE2ELNS1_11target_archE906ELNS1_3gpuE6ELNS1_3repE0EEENS1_30default_config_static_selectorELNS0_4arch9wavefront6targetE0EEEvT1_.num_vgpr, 0
	.set _ZN7rocprim17ROCPRIM_400000_NS6detail17trampoline_kernelINS0_14default_configENS1_35adjacent_difference_config_selectorILb1ElEEZNS1_24adjacent_difference_implIS3_Lb1ELb0EPlS7_ZN2at6native12_GLOBAL__N_124unique_dim_cuda_templateIhEESt5tupleIJNS8_6TensorESD_SD_EERKSD_lbbbEUlllE1_EE10hipError_tPvRmT2_T3_mT4_P12ihipStream_tbEUlT_E_NS1_11comp_targetILNS1_3genE2ELNS1_11target_archE906ELNS1_3gpuE6ELNS1_3repE0EEENS1_30default_config_static_selectorELNS0_4arch9wavefront6targetE0EEEvT1_.num_agpr, 0
	.set _ZN7rocprim17ROCPRIM_400000_NS6detail17trampoline_kernelINS0_14default_configENS1_35adjacent_difference_config_selectorILb1ElEEZNS1_24adjacent_difference_implIS3_Lb1ELb0EPlS7_ZN2at6native12_GLOBAL__N_124unique_dim_cuda_templateIhEESt5tupleIJNS8_6TensorESD_SD_EERKSD_lbbbEUlllE1_EE10hipError_tPvRmT2_T3_mT4_P12ihipStream_tbEUlT_E_NS1_11comp_targetILNS1_3genE2ELNS1_11target_archE906ELNS1_3gpuE6ELNS1_3repE0EEENS1_30default_config_static_selectorELNS0_4arch9wavefront6targetE0EEEvT1_.numbered_sgpr, 0
	.set _ZN7rocprim17ROCPRIM_400000_NS6detail17trampoline_kernelINS0_14default_configENS1_35adjacent_difference_config_selectorILb1ElEEZNS1_24adjacent_difference_implIS3_Lb1ELb0EPlS7_ZN2at6native12_GLOBAL__N_124unique_dim_cuda_templateIhEESt5tupleIJNS8_6TensorESD_SD_EERKSD_lbbbEUlllE1_EE10hipError_tPvRmT2_T3_mT4_P12ihipStream_tbEUlT_E_NS1_11comp_targetILNS1_3genE2ELNS1_11target_archE906ELNS1_3gpuE6ELNS1_3repE0EEENS1_30default_config_static_selectorELNS0_4arch9wavefront6targetE0EEEvT1_.num_named_barrier, 0
	.set _ZN7rocprim17ROCPRIM_400000_NS6detail17trampoline_kernelINS0_14default_configENS1_35adjacent_difference_config_selectorILb1ElEEZNS1_24adjacent_difference_implIS3_Lb1ELb0EPlS7_ZN2at6native12_GLOBAL__N_124unique_dim_cuda_templateIhEESt5tupleIJNS8_6TensorESD_SD_EERKSD_lbbbEUlllE1_EE10hipError_tPvRmT2_T3_mT4_P12ihipStream_tbEUlT_E_NS1_11comp_targetILNS1_3genE2ELNS1_11target_archE906ELNS1_3gpuE6ELNS1_3repE0EEENS1_30default_config_static_selectorELNS0_4arch9wavefront6targetE0EEEvT1_.private_seg_size, 0
	.set _ZN7rocprim17ROCPRIM_400000_NS6detail17trampoline_kernelINS0_14default_configENS1_35adjacent_difference_config_selectorILb1ElEEZNS1_24adjacent_difference_implIS3_Lb1ELb0EPlS7_ZN2at6native12_GLOBAL__N_124unique_dim_cuda_templateIhEESt5tupleIJNS8_6TensorESD_SD_EERKSD_lbbbEUlllE1_EE10hipError_tPvRmT2_T3_mT4_P12ihipStream_tbEUlT_E_NS1_11comp_targetILNS1_3genE2ELNS1_11target_archE906ELNS1_3gpuE6ELNS1_3repE0EEENS1_30default_config_static_selectorELNS0_4arch9wavefront6targetE0EEEvT1_.uses_vcc, 0
	.set _ZN7rocprim17ROCPRIM_400000_NS6detail17trampoline_kernelINS0_14default_configENS1_35adjacent_difference_config_selectorILb1ElEEZNS1_24adjacent_difference_implIS3_Lb1ELb0EPlS7_ZN2at6native12_GLOBAL__N_124unique_dim_cuda_templateIhEESt5tupleIJNS8_6TensorESD_SD_EERKSD_lbbbEUlllE1_EE10hipError_tPvRmT2_T3_mT4_P12ihipStream_tbEUlT_E_NS1_11comp_targetILNS1_3genE2ELNS1_11target_archE906ELNS1_3gpuE6ELNS1_3repE0EEENS1_30default_config_static_selectorELNS0_4arch9wavefront6targetE0EEEvT1_.uses_flat_scratch, 0
	.set _ZN7rocprim17ROCPRIM_400000_NS6detail17trampoline_kernelINS0_14default_configENS1_35adjacent_difference_config_selectorILb1ElEEZNS1_24adjacent_difference_implIS3_Lb1ELb0EPlS7_ZN2at6native12_GLOBAL__N_124unique_dim_cuda_templateIhEESt5tupleIJNS8_6TensorESD_SD_EERKSD_lbbbEUlllE1_EE10hipError_tPvRmT2_T3_mT4_P12ihipStream_tbEUlT_E_NS1_11comp_targetILNS1_3genE2ELNS1_11target_archE906ELNS1_3gpuE6ELNS1_3repE0EEENS1_30default_config_static_selectorELNS0_4arch9wavefront6targetE0EEEvT1_.has_dyn_sized_stack, 0
	.set _ZN7rocprim17ROCPRIM_400000_NS6detail17trampoline_kernelINS0_14default_configENS1_35adjacent_difference_config_selectorILb1ElEEZNS1_24adjacent_difference_implIS3_Lb1ELb0EPlS7_ZN2at6native12_GLOBAL__N_124unique_dim_cuda_templateIhEESt5tupleIJNS8_6TensorESD_SD_EERKSD_lbbbEUlllE1_EE10hipError_tPvRmT2_T3_mT4_P12ihipStream_tbEUlT_E_NS1_11comp_targetILNS1_3genE2ELNS1_11target_archE906ELNS1_3gpuE6ELNS1_3repE0EEENS1_30default_config_static_selectorELNS0_4arch9wavefront6targetE0EEEvT1_.has_recursion, 0
	.set _ZN7rocprim17ROCPRIM_400000_NS6detail17trampoline_kernelINS0_14default_configENS1_35adjacent_difference_config_selectorILb1ElEEZNS1_24adjacent_difference_implIS3_Lb1ELb0EPlS7_ZN2at6native12_GLOBAL__N_124unique_dim_cuda_templateIhEESt5tupleIJNS8_6TensorESD_SD_EERKSD_lbbbEUlllE1_EE10hipError_tPvRmT2_T3_mT4_P12ihipStream_tbEUlT_E_NS1_11comp_targetILNS1_3genE2ELNS1_11target_archE906ELNS1_3gpuE6ELNS1_3repE0EEENS1_30default_config_static_selectorELNS0_4arch9wavefront6targetE0EEEvT1_.has_indirect_call, 0
	.section	.AMDGPU.csdata,"",@progbits
; Kernel info:
; codeLenInByte = 0
; TotalNumSgprs: 0
; NumVgprs: 0
; ScratchSize: 0
; MemoryBound: 0
; FloatMode: 240
; IeeeMode: 1
; LDSByteSize: 0 bytes/workgroup (compile time only)
; SGPRBlocks: 0
; VGPRBlocks: 0
; NumSGPRsForWavesPerEU: 1
; NumVGPRsForWavesPerEU: 1
; NamedBarCnt: 0
; Occupancy: 16
; WaveLimiterHint : 0
; COMPUTE_PGM_RSRC2:SCRATCH_EN: 0
; COMPUTE_PGM_RSRC2:USER_SGPR: 2
; COMPUTE_PGM_RSRC2:TRAP_HANDLER: 0
; COMPUTE_PGM_RSRC2:TGID_X_EN: 1
; COMPUTE_PGM_RSRC2:TGID_Y_EN: 0
; COMPUTE_PGM_RSRC2:TGID_Z_EN: 0
; COMPUTE_PGM_RSRC2:TIDIG_COMP_CNT: 0
	.section	.text._ZN7rocprim17ROCPRIM_400000_NS6detail17trampoline_kernelINS0_14default_configENS1_35adjacent_difference_config_selectorILb1ElEEZNS1_24adjacent_difference_implIS3_Lb1ELb0EPlS7_ZN2at6native12_GLOBAL__N_124unique_dim_cuda_templateIhEESt5tupleIJNS8_6TensorESD_SD_EERKSD_lbbbEUlllE1_EE10hipError_tPvRmT2_T3_mT4_P12ihipStream_tbEUlT_E_NS1_11comp_targetILNS1_3genE9ELNS1_11target_archE1100ELNS1_3gpuE3ELNS1_3repE0EEENS1_30default_config_static_selectorELNS0_4arch9wavefront6targetE0EEEvT1_,"axG",@progbits,_ZN7rocprim17ROCPRIM_400000_NS6detail17trampoline_kernelINS0_14default_configENS1_35adjacent_difference_config_selectorILb1ElEEZNS1_24adjacent_difference_implIS3_Lb1ELb0EPlS7_ZN2at6native12_GLOBAL__N_124unique_dim_cuda_templateIhEESt5tupleIJNS8_6TensorESD_SD_EERKSD_lbbbEUlllE1_EE10hipError_tPvRmT2_T3_mT4_P12ihipStream_tbEUlT_E_NS1_11comp_targetILNS1_3genE9ELNS1_11target_archE1100ELNS1_3gpuE3ELNS1_3repE0EEENS1_30default_config_static_selectorELNS0_4arch9wavefront6targetE0EEEvT1_,comdat
	.globl	_ZN7rocprim17ROCPRIM_400000_NS6detail17trampoline_kernelINS0_14default_configENS1_35adjacent_difference_config_selectorILb1ElEEZNS1_24adjacent_difference_implIS3_Lb1ELb0EPlS7_ZN2at6native12_GLOBAL__N_124unique_dim_cuda_templateIhEESt5tupleIJNS8_6TensorESD_SD_EERKSD_lbbbEUlllE1_EE10hipError_tPvRmT2_T3_mT4_P12ihipStream_tbEUlT_E_NS1_11comp_targetILNS1_3genE9ELNS1_11target_archE1100ELNS1_3gpuE3ELNS1_3repE0EEENS1_30default_config_static_selectorELNS0_4arch9wavefront6targetE0EEEvT1_ ; -- Begin function _ZN7rocprim17ROCPRIM_400000_NS6detail17trampoline_kernelINS0_14default_configENS1_35adjacent_difference_config_selectorILb1ElEEZNS1_24adjacent_difference_implIS3_Lb1ELb0EPlS7_ZN2at6native12_GLOBAL__N_124unique_dim_cuda_templateIhEESt5tupleIJNS8_6TensorESD_SD_EERKSD_lbbbEUlllE1_EE10hipError_tPvRmT2_T3_mT4_P12ihipStream_tbEUlT_E_NS1_11comp_targetILNS1_3genE9ELNS1_11target_archE1100ELNS1_3gpuE3ELNS1_3repE0EEENS1_30default_config_static_selectorELNS0_4arch9wavefront6targetE0EEEvT1_
	.p2align	8
	.type	_ZN7rocprim17ROCPRIM_400000_NS6detail17trampoline_kernelINS0_14default_configENS1_35adjacent_difference_config_selectorILb1ElEEZNS1_24adjacent_difference_implIS3_Lb1ELb0EPlS7_ZN2at6native12_GLOBAL__N_124unique_dim_cuda_templateIhEESt5tupleIJNS8_6TensorESD_SD_EERKSD_lbbbEUlllE1_EE10hipError_tPvRmT2_T3_mT4_P12ihipStream_tbEUlT_E_NS1_11comp_targetILNS1_3genE9ELNS1_11target_archE1100ELNS1_3gpuE3ELNS1_3repE0EEENS1_30default_config_static_selectorELNS0_4arch9wavefront6targetE0EEEvT1_,@function
_ZN7rocprim17ROCPRIM_400000_NS6detail17trampoline_kernelINS0_14default_configENS1_35adjacent_difference_config_selectorILb1ElEEZNS1_24adjacent_difference_implIS3_Lb1ELb0EPlS7_ZN2at6native12_GLOBAL__N_124unique_dim_cuda_templateIhEESt5tupleIJNS8_6TensorESD_SD_EERKSD_lbbbEUlllE1_EE10hipError_tPvRmT2_T3_mT4_P12ihipStream_tbEUlT_E_NS1_11comp_targetILNS1_3genE9ELNS1_11target_archE1100ELNS1_3gpuE3ELNS1_3repE0EEENS1_30default_config_static_selectorELNS0_4arch9wavefront6targetE0EEEvT1_: ; @_ZN7rocprim17ROCPRIM_400000_NS6detail17trampoline_kernelINS0_14default_configENS1_35adjacent_difference_config_selectorILb1ElEEZNS1_24adjacent_difference_implIS3_Lb1ELb0EPlS7_ZN2at6native12_GLOBAL__N_124unique_dim_cuda_templateIhEESt5tupleIJNS8_6TensorESD_SD_EERKSD_lbbbEUlllE1_EE10hipError_tPvRmT2_T3_mT4_P12ihipStream_tbEUlT_E_NS1_11comp_targetILNS1_3genE9ELNS1_11target_archE1100ELNS1_3gpuE3ELNS1_3repE0EEENS1_30default_config_static_selectorELNS0_4arch9wavefront6targetE0EEEvT1_
; %bb.0:
	.section	.rodata,"a",@progbits
	.p2align	6, 0x0
	.amdhsa_kernel _ZN7rocprim17ROCPRIM_400000_NS6detail17trampoline_kernelINS0_14default_configENS1_35adjacent_difference_config_selectorILb1ElEEZNS1_24adjacent_difference_implIS3_Lb1ELb0EPlS7_ZN2at6native12_GLOBAL__N_124unique_dim_cuda_templateIhEESt5tupleIJNS8_6TensorESD_SD_EERKSD_lbbbEUlllE1_EE10hipError_tPvRmT2_T3_mT4_P12ihipStream_tbEUlT_E_NS1_11comp_targetILNS1_3genE9ELNS1_11target_archE1100ELNS1_3gpuE3ELNS1_3repE0EEENS1_30default_config_static_selectorELNS0_4arch9wavefront6targetE0EEEvT1_
		.amdhsa_group_segment_fixed_size 0
		.amdhsa_private_segment_fixed_size 0
		.amdhsa_kernarg_size 64
		.amdhsa_user_sgpr_count 2
		.amdhsa_user_sgpr_dispatch_ptr 0
		.amdhsa_user_sgpr_queue_ptr 0
		.amdhsa_user_sgpr_kernarg_segment_ptr 1
		.amdhsa_user_sgpr_dispatch_id 0
		.amdhsa_user_sgpr_kernarg_preload_length 0
		.amdhsa_user_sgpr_kernarg_preload_offset 0
		.amdhsa_user_sgpr_private_segment_size 0
		.amdhsa_wavefront_size32 1
		.amdhsa_uses_dynamic_stack 0
		.amdhsa_enable_private_segment 0
		.amdhsa_system_sgpr_workgroup_id_x 1
		.amdhsa_system_sgpr_workgroup_id_y 0
		.amdhsa_system_sgpr_workgroup_id_z 0
		.amdhsa_system_sgpr_workgroup_info 0
		.amdhsa_system_vgpr_workitem_id 0
		.amdhsa_next_free_vgpr 1
		.amdhsa_next_free_sgpr 1
		.amdhsa_named_barrier_count 0
		.amdhsa_reserve_vcc 0
		.amdhsa_float_round_mode_32 0
		.amdhsa_float_round_mode_16_64 0
		.amdhsa_float_denorm_mode_32 3
		.amdhsa_float_denorm_mode_16_64 3
		.amdhsa_fp16_overflow 0
		.amdhsa_memory_ordered 1
		.amdhsa_forward_progress 1
		.amdhsa_inst_pref_size 0
		.amdhsa_round_robin_scheduling 0
		.amdhsa_exception_fp_ieee_invalid_op 0
		.amdhsa_exception_fp_denorm_src 0
		.amdhsa_exception_fp_ieee_div_zero 0
		.amdhsa_exception_fp_ieee_overflow 0
		.amdhsa_exception_fp_ieee_underflow 0
		.amdhsa_exception_fp_ieee_inexact 0
		.amdhsa_exception_int_div_zero 0
	.end_amdhsa_kernel
	.section	.text._ZN7rocprim17ROCPRIM_400000_NS6detail17trampoline_kernelINS0_14default_configENS1_35adjacent_difference_config_selectorILb1ElEEZNS1_24adjacent_difference_implIS3_Lb1ELb0EPlS7_ZN2at6native12_GLOBAL__N_124unique_dim_cuda_templateIhEESt5tupleIJNS8_6TensorESD_SD_EERKSD_lbbbEUlllE1_EE10hipError_tPvRmT2_T3_mT4_P12ihipStream_tbEUlT_E_NS1_11comp_targetILNS1_3genE9ELNS1_11target_archE1100ELNS1_3gpuE3ELNS1_3repE0EEENS1_30default_config_static_selectorELNS0_4arch9wavefront6targetE0EEEvT1_,"axG",@progbits,_ZN7rocprim17ROCPRIM_400000_NS6detail17trampoline_kernelINS0_14default_configENS1_35adjacent_difference_config_selectorILb1ElEEZNS1_24adjacent_difference_implIS3_Lb1ELb0EPlS7_ZN2at6native12_GLOBAL__N_124unique_dim_cuda_templateIhEESt5tupleIJNS8_6TensorESD_SD_EERKSD_lbbbEUlllE1_EE10hipError_tPvRmT2_T3_mT4_P12ihipStream_tbEUlT_E_NS1_11comp_targetILNS1_3genE9ELNS1_11target_archE1100ELNS1_3gpuE3ELNS1_3repE0EEENS1_30default_config_static_selectorELNS0_4arch9wavefront6targetE0EEEvT1_,comdat
.Lfunc_end81:
	.size	_ZN7rocprim17ROCPRIM_400000_NS6detail17trampoline_kernelINS0_14default_configENS1_35adjacent_difference_config_selectorILb1ElEEZNS1_24adjacent_difference_implIS3_Lb1ELb0EPlS7_ZN2at6native12_GLOBAL__N_124unique_dim_cuda_templateIhEESt5tupleIJNS8_6TensorESD_SD_EERKSD_lbbbEUlllE1_EE10hipError_tPvRmT2_T3_mT4_P12ihipStream_tbEUlT_E_NS1_11comp_targetILNS1_3genE9ELNS1_11target_archE1100ELNS1_3gpuE3ELNS1_3repE0EEENS1_30default_config_static_selectorELNS0_4arch9wavefront6targetE0EEEvT1_, .Lfunc_end81-_ZN7rocprim17ROCPRIM_400000_NS6detail17trampoline_kernelINS0_14default_configENS1_35adjacent_difference_config_selectorILb1ElEEZNS1_24adjacent_difference_implIS3_Lb1ELb0EPlS7_ZN2at6native12_GLOBAL__N_124unique_dim_cuda_templateIhEESt5tupleIJNS8_6TensorESD_SD_EERKSD_lbbbEUlllE1_EE10hipError_tPvRmT2_T3_mT4_P12ihipStream_tbEUlT_E_NS1_11comp_targetILNS1_3genE9ELNS1_11target_archE1100ELNS1_3gpuE3ELNS1_3repE0EEENS1_30default_config_static_selectorELNS0_4arch9wavefront6targetE0EEEvT1_
                                        ; -- End function
	.set _ZN7rocprim17ROCPRIM_400000_NS6detail17trampoline_kernelINS0_14default_configENS1_35adjacent_difference_config_selectorILb1ElEEZNS1_24adjacent_difference_implIS3_Lb1ELb0EPlS7_ZN2at6native12_GLOBAL__N_124unique_dim_cuda_templateIhEESt5tupleIJNS8_6TensorESD_SD_EERKSD_lbbbEUlllE1_EE10hipError_tPvRmT2_T3_mT4_P12ihipStream_tbEUlT_E_NS1_11comp_targetILNS1_3genE9ELNS1_11target_archE1100ELNS1_3gpuE3ELNS1_3repE0EEENS1_30default_config_static_selectorELNS0_4arch9wavefront6targetE0EEEvT1_.num_vgpr, 0
	.set _ZN7rocprim17ROCPRIM_400000_NS6detail17trampoline_kernelINS0_14default_configENS1_35adjacent_difference_config_selectorILb1ElEEZNS1_24adjacent_difference_implIS3_Lb1ELb0EPlS7_ZN2at6native12_GLOBAL__N_124unique_dim_cuda_templateIhEESt5tupleIJNS8_6TensorESD_SD_EERKSD_lbbbEUlllE1_EE10hipError_tPvRmT2_T3_mT4_P12ihipStream_tbEUlT_E_NS1_11comp_targetILNS1_3genE9ELNS1_11target_archE1100ELNS1_3gpuE3ELNS1_3repE0EEENS1_30default_config_static_selectorELNS0_4arch9wavefront6targetE0EEEvT1_.num_agpr, 0
	.set _ZN7rocprim17ROCPRIM_400000_NS6detail17trampoline_kernelINS0_14default_configENS1_35adjacent_difference_config_selectorILb1ElEEZNS1_24adjacent_difference_implIS3_Lb1ELb0EPlS7_ZN2at6native12_GLOBAL__N_124unique_dim_cuda_templateIhEESt5tupleIJNS8_6TensorESD_SD_EERKSD_lbbbEUlllE1_EE10hipError_tPvRmT2_T3_mT4_P12ihipStream_tbEUlT_E_NS1_11comp_targetILNS1_3genE9ELNS1_11target_archE1100ELNS1_3gpuE3ELNS1_3repE0EEENS1_30default_config_static_selectorELNS0_4arch9wavefront6targetE0EEEvT1_.numbered_sgpr, 0
	.set _ZN7rocprim17ROCPRIM_400000_NS6detail17trampoline_kernelINS0_14default_configENS1_35adjacent_difference_config_selectorILb1ElEEZNS1_24adjacent_difference_implIS3_Lb1ELb0EPlS7_ZN2at6native12_GLOBAL__N_124unique_dim_cuda_templateIhEESt5tupleIJNS8_6TensorESD_SD_EERKSD_lbbbEUlllE1_EE10hipError_tPvRmT2_T3_mT4_P12ihipStream_tbEUlT_E_NS1_11comp_targetILNS1_3genE9ELNS1_11target_archE1100ELNS1_3gpuE3ELNS1_3repE0EEENS1_30default_config_static_selectorELNS0_4arch9wavefront6targetE0EEEvT1_.num_named_barrier, 0
	.set _ZN7rocprim17ROCPRIM_400000_NS6detail17trampoline_kernelINS0_14default_configENS1_35adjacent_difference_config_selectorILb1ElEEZNS1_24adjacent_difference_implIS3_Lb1ELb0EPlS7_ZN2at6native12_GLOBAL__N_124unique_dim_cuda_templateIhEESt5tupleIJNS8_6TensorESD_SD_EERKSD_lbbbEUlllE1_EE10hipError_tPvRmT2_T3_mT4_P12ihipStream_tbEUlT_E_NS1_11comp_targetILNS1_3genE9ELNS1_11target_archE1100ELNS1_3gpuE3ELNS1_3repE0EEENS1_30default_config_static_selectorELNS0_4arch9wavefront6targetE0EEEvT1_.private_seg_size, 0
	.set _ZN7rocprim17ROCPRIM_400000_NS6detail17trampoline_kernelINS0_14default_configENS1_35adjacent_difference_config_selectorILb1ElEEZNS1_24adjacent_difference_implIS3_Lb1ELb0EPlS7_ZN2at6native12_GLOBAL__N_124unique_dim_cuda_templateIhEESt5tupleIJNS8_6TensorESD_SD_EERKSD_lbbbEUlllE1_EE10hipError_tPvRmT2_T3_mT4_P12ihipStream_tbEUlT_E_NS1_11comp_targetILNS1_3genE9ELNS1_11target_archE1100ELNS1_3gpuE3ELNS1_3repE0EEENS1_30default_config_static_selectorELNS0_4arch9wavefront6targetE0EEEvT1_.uses_vcc, 0
	.set _ZN7rocprim17ROCPRIM_400000_NS6detail17trampoline_kernelINS0_14default_configENS1_35adjacent_difference_config_selectorILb1ElEEZNS1_24adjacent_difference_implIS3_Lb1ELb0EPlS7_ZN2at6native12_GLOBAL__N_124unique_dim_cuda_templateIhEESt5tupleIJNS8_6TensorESD_SD_EERKSD_lbbbEUlllE1_EE10hipError_tPvRmT2_T3_mT4_P12ihipStream_tbEUlT_E_NS1_11comp_targetILNS1_3genE9ELNS1_11target_archE1100ELNS1_3gpuE3ELNS1_3repE0EEENS1_30default_config_static_selectorELNS0_4arch9wavefront6targetE0EEEvT1_.uses_flat_scratch, 0
	.set _ZN7rocprim17ROCPRIM_400000_NS6detail17trampoline_kernelINS0_14default_configENS1_35adjacent_difference_config_selectorILb1ElEEZNS1_24adjacent_difference_implIS3_Lb1ELb0EPlS7_ZN2at6native12_GLOBAL__N_124unique_dim_cuda_templateIhEESt5tupleIJNS8_6TensorESD_SD_EERKSD_lbbbEUlllE1_EE10hipError_tPvRmT2_T3_mT4_P12ihipStream_tbEUlT_E_NS1_11comp_targetILNS1_3genE9ELNS1_11target_archE1100ELNS1_3gpuE3ELNS1_3repE0EEENS1_30default_config_static_selectorELNS0_4arch9wavefront6targetE0EEEvT1_.has_dyn_sized_stack, 0
	.set _ZN7rocprim17ROCPRIM_400000_NS6detail17trampoline_kernelINS0_14default_configENS1_35adjacent_difference_config_selectorILb1ElEEZNS1_24adjacent_difference_implIS3_Lb1ELb0EPlS7_ZN2at6native12_GLOBAL__N_124unique_dim_cuda_templateIhEESt5tupleIJNS8_6TensorESD_SD_EERKSD_lbbbEUlllE1_EE10hipError_tPvRmT2_T3_mT4_P12ihipStream_tbEUlT_E_NS1_11comp_targetILNS1_3genE9ELNS1_11target_archE1100ELNS1_3gpuE3ELNS1_3repE0EEENS1_30default_config_static_selectorELNS0_4arch9wavefront6targetE0EEEvT1_.has_recursion, 0
	.set _ZN7rocprim17ROCPRIM_400000_NS6detail17trampoline_kernelINS0_14default_configENS1_35adjacent_difference_config_selectorILb1ElEEZNS1_24adjacent_difference_implIS3_Lb1ELb0EPlS7_ZN2at6native12_GLOBAL__N_124unique_dim_cuda_templateIhEESt5tupleIJNS8_6TensorESD_SD_EERKSD_lbbbEUlllE1_EE10hipError_tPvRmT2_T3_mT4_P12ihipStream_tbEUlT_E_NS1_11comp_targetILNS1_3genE9ELNS1_11target_archE1100ELNS1_3gpuE3ELNS1_3repE0EEENS1_30default_config_static_selectorELNS0_4arch9wavefront6targetE0EEEvT1_.has_indirect_call, 0
	.section	.AMDGPU.csdata,"",@progbits
; Kernel info:
; codeLenInByte = 0
; TotalNumSgprs: 0
; NumVgprs: 0
; ScratchSize: 0
; MemoryBound: 0
; FloatMode: 240
; IeeeMode: 1
; LDSByteSize: 0 bytes/workgroup (compile time only)
; SGPRBlocks: 0
; VGPRBlocks: 0
; NumSGPRsForWavesPerEU: 1
; NumVGPRsForWavesPerEU: 1
; NamedBarCnt: 0
; Occupancy: 16
; WaveLimiterHint : 0
; COMPUTE_PGM_RSRC2:SCRATCH_EN: 0
; COMPUTE_PGM_RSRC2:USER_SGPR: 2
; COMPUTE_PGM_RSRC2:TRAP_HANDLER: 0
; COMPUTE_PGM_RSRC2:TGID_X_EN: 1
; COMPUTE_PGM_RSRC2:TGID_Y_EN: 0
; COMPUTE_PGM_RSRC2:TGID_Z_EN: 0
; COMPUTE_PGM_RSRC2:TIDIG_COMP_CNT: 0
	.section	.text._ZN7rocprim17ROCPRIM_400000_NS6detail17trampoline_kernelINS0_14default_configENS1_35adjacent_difference_config_selectorILb1ElEEZNS1_24adjacent_difference_implIS3_Lb1ELb0EPlS7_ZN2at6native12_GLOBAL__N_124unique_dim_cuda_templateIhEESt5tupleIJNS8_6TensorESD_SD_EERKSD_lbbbEUlllE1_EE10hipError_tPvRmT2_T3_mT4_P12ihipStream_tbEUlT_E_NS1_11comp_targetILNS1_3genE8ELNS1_11target_archE1030ELNS1_3gpuE2ELNS1_3repE0EEENS1_30default_config_static_selectorELNS0_4arch9wavefront6targetE0EEEvT1_,"axG",@progbits,_ZN7rocprim17ROCPRIM_400000_NS6detail17trampoline_kernelINS0_14default_configENS1_35adjacent_difference_config_selectorILb1ElEEZNS1_24adjacent_difference_implIS3_Lb1ELb0EPlS7_ZN2at6native12_GLOBAL__N_124unique_dim_cuda_templateIhEESt5tupleIJNS8_6TensorESD_SD_EERKSD_lbbbEUlllE1_EE10hipError_tPvRmT2_T3_mT4_P12ihipStream_tbEUlT_E_NS1_11comp_targetILNS1_3genE8ELNS1_11target_archE1030ELNS1_3gpuE2ELNS1_3repE0EEENS1_30default_config_static_selectorELNS0_4arch9wavefront6targetE0EEEvT1_,comdat
	.globl	_ZN7rocprim17ROCPRIM_400000_NS6detail17trampoline_kernelINS0_14default_configENS1_35adjacent_difference_config_selectorILb1ElEEZNS1_24adjacent_difference_implIS3_Lb1ELb0EPlS7_ZN2at6native12_GLOBAL__N_124unique_dim_cuda_templateIhEESt5tupleIJNS8_6TensorESD_SD_EERKSD_lbbbEUlllE1_EE10hipError_tPvRmT2_T3_mT4_P12ihipStream_tbEUlT_E_NS1_11comp_targetILNS1_3genE8ELNS1_11target_archE1030ELNS1_3gpuE2ELNS1_3repE0EEENS1_30default_config_static_selectorELNS0_4arch9wavefront6targetE0EEEvT1_ ; -- Begin function _ZN7rocprim17ROCPRIM_400000_NS6detail17trampoline_kernelINS0_14default_configENS1_35adjacent_difference_config_selectorILb1ElEEZNS1_24adjacent_difference_implIS3_Lb1ELb0EPlS7_ZN2at6native12_GLOBAL__N_124unique_dim_cuda_templateIhEESt5tupleIJNS8_6TensorESD_SD_EERKSD_lbbbEUlllE1_EE10hipError_tPvRmT2_T3_mT4_P12ihipStream_tbEUlT_E_NS1_11comp_targetILNS1_3genE8ELNS1_11target_archE1030ELNS1_3gpuE2ELNS1_3repE0EEENS1_30default_config_static_selectorELNS0_4arch9wavefront6targetE0EEEvT1_
	.p2align	8
	.type	_ZN7rocprim17ROCPRIM_400000_NS6detail17trampoline_kernelINS0_14default_configENS1_35adjacent_difference_config_selectorILb1ElEEZNS1_24adjacent_difference_implIS3_Lb1ELb0EPlS7_ZN2at6native12_GLOBAL__N_124unique_dim_cuda_templateIhEESt5tupleIJNS8_6TensorESD_SD_EERKSD_lbbbEUlllE1_EE10hipError_tPvRmT2_T3_mT4_P12ihipStream_tbEUlT_E_NS1_11comp_targetILNS1_3genE8ELNS1_11target_archE1030ELNS1_3gpuE2ELNS1_3repE0EEENS1_30default_config_static_selectorELNS0_4arch9wavefront6targetE0EEEvT1_,@function
_ZN7rocprim17ROCPRIM_400000_NS6detail17trampoline_kernelINS0_14default_configENS1_35adjacent_difference_config_selectorILb1ElEEZNS1_24adjacent_difference_implIS3_Lb1ELb0EPlS7_ZN2at6native12_GLOBAL__N_124unique_dim_cuda_templateIhEESt5tupleIJNS8_6TensorESD_SD_EERKSD_lbbbEUlllE1_EE10hipError_tPvRmT2_T3_mT4_P12ihipStream_tbEUlT_E_NS1_11comp_targetILNS1_3genE8ELNS1_11target_archE1030ELNS1_3gpuE2ELNS1_3repE0EEENS1_30default_config_static_selectorELNS0_4arch9wavefront6targetE0EEEvT1_: ; @_ZN7rocprim17ROCPRIM_400000_NS6detail17trampoline_kernelINS0_14default_configENS1_35adjacent_difference_config_selectorILb1ElEEZNS1_24adjacent_difference_implIS3_Lb1ELb0EPlS7_ZN2at6native12_GLOBAL__N_124unique_dim_cuda_templateIhEESt5tupleIJNS8_6TensorESD_SD_EERKSD_lbbbEUlllE1_EE10hipError_tPvRmT2_T3_mT4_P12ihipStream_tbEUlT_E_NS1_11comp_targetILNS1_3genE8ELNS1_11target_archE1030ELNS1_3gpuE2ELNS1_3repE0EEENS1_30default_config_static_selectorELNS0_4arch9wavefront6targetE0EEEvT1_
; %bb.0:
	.section	.rodata,"a",@progbits
	.p2align	6, 0x0
	.amdhsa_kernel _ZN7rocprim17ROCPRIM_400000_NS6detail17trampoline_kernelINS0_14default_configENS1_35adjacent_difference_config_selectorILb1ElEEZNS1_24adjacent_difference_implIS3_Lb1ELb0EPlS7_ZN2at6native12_GLOBAL__N_124unique_dim_cuda_templateIhEESt5tupleIJNS8_6TensorESD_SD_EERKSD_lbbbEUlllE1_EE10hipError_tPvRmT2_T3_mT4_P12ihipStream_tbEUlT_E_NS1_11comp_targetILNS1_3genE8ELNS1_11target_archE1030ELNS1_3gpuE2ELNS1_3repE0EEENS1_30default_config_static_selectorELNS0_4arch9wavefront6targetE0EEEvT1_
		.amdhsa_group_segment_fixed_size 0
		.amdhsa_private_segment_fixed_size 0
		.amdhsa_kernarg_size 64
		.amdhsa_user_sgpr_count 2
		.amdhsa_user_sgpr_dispatch_ptr 0
		.amdhsa_user_sgpr_queue_ptr 0
		.amdhsa_user_sgpr_kernarg_segment_ptr 1
		.amdhsa_user_sgpr_dispatch_id 0
		.amdhsa_user_sgpr_kernarg_preload_length 0
		.amdhsa_user_sgpr_kernarg_preload_offset 0
		.amdhsa_user_sgpr_private_segment_size 0
		.amdhsa_wavefront_size32 1
		.amdhsa_uses_dynamic_stack 0
		.amdhsa_enable_private_segment 0
		.amdhsa_system_sgpr_workgroup_id_x 1
		.amdhsa_system_sgpr_workgroup_id_y 0
		.amdhsa_system_sgpr_workgroup_id_z 0
		.amdhsa_system_sgpr_workgroup_info 0
		.amdhsa_system_vgpr_workitem_id 0
		.amdhsa_next_free_vgpr 1
		.amdhsa_next_free_sgpr 1
		.amdhsa_named_barrier_count 0
		.amdhsa_reserve_vcc 0
		.amdhsa_float_round_mode_32 0
		.amdhsa_float_round_mode_16_64 0
		.amdhsa_float_denorm_mode_32 3
		.amdhsa_float_denorm_mode_16_64 3
		.amdhsa_fp16_overflow 0
		.amdhsa_memory_ordered 1
		.amdhsa_forward_progress 1
		.amdhsa_inst_pref_size 0
		.amdhsa_round_robin_scheduling 0
		.amdhsa_exception_fp_ieee_invalid_op 0
		.amdhsa_exception_fp_denorm_src 0
		.amdhsa_exception_fp_ieee_div_zero 0
		.amdhsa_exception_fp_ieee_overflow 0
		.amdhsa_exception_fp_ieee_underflow 0
		.amdhsa_exception_fp_ieee_inexact 0
		.amdhsa_exception_int_div_zero 0
	.end_amdhsa_kernel
	.section	.text._ZN7rocprim17ROCPRIM_400000_NS6detail17trampoline_kernelINS0_14default_configENS1_35adjacent_difference_config_selectorILb1ElEEZNS1_24adjacent_difference_implIS3_Lb1ELb0EPlS7_ZN2at6native12_GLOBAL__N_124unique_dim_cuda_templateIhEESt5tupleIJNS8_6TensorESD_SD_EERKSD_lbbbEUlllE1_EE10hipError_tPvRmT2_T3_mT4_P12ihipStream_tbEUlT_E_NS1_11comp_targetILNS1_3genE8ELNS1_11target_archE1030ELNS1_3gpuE2ELNS1_3repE0EEENS1_30default_config_static_selectorELNS0_4arch9wavefront6targetE0EEEvT1_,"axG",@progbits,_ZN7rocprim17ROCPRIM_400000_NS6detail17trampoline_kernelINS0_14default_configENS1_35adjacent_difference_config_selectorILb1ElEEZNS1_24adjacent_difference_implIS3_Lb1ELb0EPlS7_ZN2at6native12_GLOBAL__N_124unique_dim_cuda_templateIhEESt5tupleIJNS8_6TensorESD_SD_EERKSD_lbbbEUlllE1_EE10hipError_tPvRmT2_T3_mT4_P12ihipStream_tbEUlT_E_NS1_11comp_targetILNS1_3genE8ELNS1_11target_archE1030ELNS1_3gpuE2ELNS1_3repE0EEENS1_30default_config_static_selectorELNS0_4arch9wavefront6targetE0EEEvT1_,comdat
.Lfunc_end82:
	.size	_ZN7rocprim17ROCPRIM_400000_NS6detail17trampoline_kernelINS0_14default_configENS1_35adjacent_difference_config_selectorILb1ElEEZNS1_24adjacent_difference_implIS3_Lb1ELb0EPlS7_ZN2at6native12_GLOBAL__N_124unique_dim_cuda_templateIhEESt5tupleIJNS8_6TensorESD_SD_EERKSD_lbbbEUlllE1_EE10hipError_tPvRmT2_T3_mT4_P12ihipStream_tbEUlT_E_NS1_11comp_targetILNS1_3genE8ELNS1_11target_archE1030ELNS1_3gpuE2ELNS1_3repE0EEENS1_30default_config_static_selectorELNS0_4arch9wavefront6targetE0EEEvT1_, .Lfunc_end82-_ZN7rocprim17ROCPRIM_400000_NS6detail17trampoline_kernelINS0_14default_configENS1_35adjacent_difference_config_selectorILb1ElEEZNS1_24adjacent_difference_implIS3_Lb1ELb0EPlS7_ZN2at6native12_GLOBAL__N_124unique_dim_cuda_templateIhEESt5tupleIJNS8_6TensorESD_SD_EERKSD_lbbbEUlllE1_EE10hipError_tPvRmT2_T3_mT4_P12ihipStream_tbEUlT_E_NS1_11comp_targetILNS1_3genE8ELNS1_11target_archE1030ELNS1_3gpuE2ELNS1_3repE0EEENS1_30default_config_static_selectorELNS0_4arch9wavefront6targetE0EEEvT1_
                                        ; -- End function
	.set _ZN7rocprim17ROCPRIM_400000_NS6detail17trampoline_kernelINS0_14default_configENS1_35adjacent_difference_config_selectorILb1ElEEZNS1_24adjacent_difference_implIS3_Lb1ELb0EPlS7_ZN2at6native12_GLOBAL__N_124unique_dim_cuda_templateIhEESt5tupleIJNS8_6TensorESD_SD_EERKSD_lbbbEUlllE1_EE10hipError_tPvRmT2_T3_mT4_P12ihipStream_tbEUlT_E_NS1_11comp_targetILNS1_3genE8ELNS1_11target_archE1030ELNS1_3gpuE2ELNS1_3repE0EEENS1_30default_config_static_selectorELNS0_4arch9wavefront6targetE0EEEvT1_.num_vgpr, 0
	.set _ZN7rocprim17ROCPRIM_400000_NS6detail17trampoline_kernelINS0_14default_configENS1_35adjacent_difference_config_selectorILb1ElEEZNS1_24adjacent_difference_implIS3_Lb1ELb0EPlS7_ZN2at6native12_GLOBAL__N_124unique_dim_cuda_templateIhEESt5tupleIJNS8_6TensorESD_SD_EERKSD_lbbbEUlllE1_EE10hipError_tPvRmT2_T3_mT4_P12ihipStream_tbEUlT_E_NS1_11comp_targetILNS1_3genE8ELNS1_11target_archE1030ELNS1_3gpuE2ELNS1_3repE0EEENS1_30default_config_static_selectorELNS0_4arch9wavefront6targetE0EEEvT1_.num_agpr, 0
	.set _ZN7rocprim17ROCPRIM_400000_NS6detail17trampoline_kernelINS0_14default_configENS1_35adjacent_difference_config_selectorILb1ElEEZNS1_24adjacent_difference_implIS3_Lb1ELb0EPlS7_ZN2at6native12_GLOBAL__N_124unique_dim_cuda_templateIhEESt5tupleIJNS8_6TensorESD_SD_EERKSD_lbbbEUlllE1_EE10hipError_tPvRmT2_T3_mT4_P12ihipStream_tbEUlT_E_NS1_11comp_targetILNS1_3genE8ELNS1_11target_archE1030ELNS1_3gpuE2ELNS1_3repE0EEENS1_30default_config_static_selectorELNS0_4arch9wavefront6targetE0EEEvT1_.numbered_sgpr, 0
	.set _ZN7rocprim17ROCPRIM_400000_NS6detail17trampoline_kernelINS0_14default_configENS1_35adjacent_difference_config_selectorILb1ElEEZNS1_24adjacent_difference_implIS3_Lb1ELb0EPlS7_ZN2at6native12_GLOBAL__N_124unique_dim_cuda_templateIhEESt5tupleIJNS8_6TensorESD_SD_EERKSD_lbbbEUlllE1_EE10hipError_tPvRmT2_T3_mT4_P12ihipStream_tbEUlT_E_NS1_11comp_targetILNS1_3genE8ELNS1_11target_archE1030ELNS1_3gpuE2ELNS1_3repE0EEENS1_30default_config_static_selectorELNS0_4arch9wavefront6targetE0EEEvT1_.num_named_barrier, 0
	.set _ZN7rocprim17ROCPRIM_400000_NS6detail17trampoline_kernelINS0_14default_configENS1_35adjacent_difference_config_selectorILb1ElEEZNS1_24adjacent_difference_implIS3_Lb1ELb0EPlS7_ZN2at6native12_GLOBAL__N_124unique_dim_cuda_templateIhEESt5tupleIJNS8_6TensorESD_SD_EERKSD_lbbbEUlllE1_EE10hipError_tPvRmT2_T3_mT4_P12ihipStream_tbEUlT_E_NS1_11comp_targetILNS1_3genE8ELNS1_11target_archE1030ELNS1_3gpuE2ELNS1_3repE0EEENS1_30default_config_static_selectorELNS0_4arch9wavefront6targetE0EEEvT1_.private_seg_size, 0
	.set _ZN7rocprim17ROCPRIM_400000_NS6detail17trampoline_kernelINS0_14default_configENS1_35adjacent_difference_config_selectorILb1ElEEZNS1_24adjacent_difference_implIS3_Lb1ELb0EPlS7_ZN2at6native12_GLOBAL__N_124unique_dim_cuda_templateIhEESt5tupleIJNS8_6TensorESD_SD_EERKSD_lbbbEUlllE1_EE10hipError_tPvRmT2_T3_mT4_P12ihipStream_tbEUlT_E_NS1_11comp_targetILNS1_3genE8ELNS1_11target_archE1030ELNS1_3gpuE2ELNS1_3repE0EEENS1_30default_config_static_selectorELNS0_4arch9wavefront6targetE0EEEvT1_.uses_vcc, 0
	.set _ZN7rocprim17ROCPRIM_400000_NS6detail17trampoline_kernelINS0_14default_configENS1_35adjacent_difference_config_selectorILb1ElEEZNS1_24adjacent_difference_implIS3_Lb1ELb0EPlS7_ZN2at6native12_GLOBAL__N_124unique_dim_cuda_templateIhEESt5tupleIJNS8_6TensorESD_SD_EERKSD_lbbbEUlllE1_EE10hipError_tPvRmT2_T3_mT4_P12ihipStream_tbEUlT_E_NS1_11comp_targetILNS1_3genE8ELNS1_11target_archE1030ELNS1_3gpuE2ELNS1_3repE0EEENS1_30default_config_static_selectorELNS0_4arch9wavefront6targetE0EEEvT1_.uses_flat_scratch, 0
	.set _ZN7rocprim17ROCPRIM_400000_NS6detail17trampoline_kernelINS0_14default_configENS1_35adjacent_difference_config_selectorILb1ElEEZNS1_24adjacent_difference_implIS3_Lb1ELb0EPlS7_ZN2at6native12_GLOBAL__N_124unique_dim_cuda_templateIhEESt5tupleIJNS8_6TensorESD_SD_EERKSD_lbbbEUlllE1_EE10hipError_tPvRmT2_T3_mT4_P12ihipStream_tbEUlT_E_NS1_11comp_targetILNS1_3genE8ELNS1_11target_archE1030ELNS1_3gpuE2ELNS1_3repE0EEENS1_30default_config_static_selectorELNS0_4arch9wavefront6targetE0EEEvT1_.has_dyn_sized_stack, 0
	.set _ZN7rocprim17ROCPRIM_400000_NS6detail17trampoline_kernelINS0_14default_configENS1_35adjacent_difference_config_selectorILb1ElEEZNS1_24adjacent_difference_implIS3_Lb1ELb0EPlS7_ZN2at6native12_GLOBAL__N_124unique_dim_cuda_templateIhEESt5tupleIJNS8_6TensorESD_SD_EERKSD_lbbbEUlllE1_EE10hipError_tPvRmT2_T3_mT4_P12ihipStream_tbEUlT_E_NS1_11comp_targetILNS1_3genE8ELNS1_11target_archE1030ELNS1_3gpuE2ELNS1_3repE0EEENS1_30default_config_static_selectorELNS0_4arch9wavefront6targetE0EEEvT1_.has_recursion, 0
	.set _ZN7rocprim17ROCPRIM_400000_NS6detail17trampoline_kernelINS0_14default_configENS1_35adjacent_difference_config_selectorILb1ElEEZNS1_24adjacent_difference_implIS3_Lb1ELb0EPlS7_ZN2at6native12_GLOBAL__N_124unique_dim_cuda_templateIhEESt5tupleIJNS8_6TensorESD_SD_EERKSD_lbbbEUlllE1_EE10hipError_tPvRmT2_T3_mT4_P12ihipStream_tbEUlT_E_NS1_11comp_targetILNS1_3genE8ELNS1_11target_archE1030ELNS1_3gpuE2ELNS1_3repE0EEENS1_30default_config_static_selectorELNS0_4arch9wavefront6targetE0EEEvT1_.has_indirect_call, 0
	.section	.AMDGPU.csdata,"",@progbits
; Kernel info:
; codeLenInByte = 0
; TotalNumSgprs: 0
; NumVgprs: 0
; ScratchSize: 0
; MemoryBound: 0
; FloatMode: 240
; IeeeMode: 1
; LDSByteSize: 0 bytes/workgroup (compile time only)
; SGPRBlocks: 0
; VGPRBlocks: 0
; NumSGPRsForWavesPerEU: 1
; NumVGPRsForWavesPerEU: 1
; NamedBarCnt: 0
; Occupancy: 16
; WaveLimiterHint : 0
; COMPUTE_PGM_RSRC2:SCRATCH_EN: 0
; COMPUTE_PGM_RSRC2:USER_SGPR: 2
; COMPUTE_PGM_RSRC2:TRAP_HANDLER: 0
; COMPUTE_PGM_RSRC2:TGID_X_EN: 1
; COMPUTE_PGM_RSRC2:TGID_Y_EN: 0
; COMPUTE_PGM_RSRC2:TGID_Z_EN: 0
; COMPUTE_PGM_RSRC2:TIDIG_COMP_CNT: 0
	.section	.text._ZN7rocprim17ROCPRIM_400000_NS6detail31init_lookback_scan_state_kernelINS1_19lookback_scan_stateIlLb0ELb1EEENS1_16block_id_wrapperIjLb0EEEEEvT_jT0_jPNS7_10value_typeE,"axG",@progbits,_ZN7rocprim17ROCPRIM_400000_NS6detail31init_lookback_scan_state_kernelINS1_19lookback_scan_stateIlLb0ELb1EEENS1_16block_id_wrapperIjLb0EEEEEvT_jT0_jPNS7_10value_typeE,comdat
	.protected	_ZN7rocprim17ROCPRIM_400000_NS6detail31init_lookback_scan_state_kernelINS1_19lookback_scan_stateIlLb0ELb1EEENS1_16block_id_wrapperIjLb0EEEEEvT_jT0_jPNS7_10value_typeE ; -- Begin function _ZN7rocprim17ROCPRIM_400000_NS6detail31init_lookback_scan_state_kernelINS1_19lookback_scan_stateIlLb0ELb1EEENS1_16block_id_wrapperIjLb0EEEEEvT_jT0_jPNS7_10value_typeE
	.globl	_ZN7rocprim17ROCPRIM_400000_NS6detail31init_lookback_scan_state_kernelINS1_19lookback_scan_stateIlLb0ELb1EEENS1_16block_id_wrapperIjLb0EEEEEvT_jT0_jPNS7_10value_typeE
	.p2align	8
	.type	_ZN7rocprim17ROCPRIM_400000_NS6detail31init_lookback_scan_state_kernelINS1_19lookback_scan_stateIlLb0ELb1EEENS1_16block_id_wrapperIjLb0EEEEEvT_jT0_jPNS7_10value_typeE,@function
_ZN7rocprim17ROCPRIM_400000_NS6detail31init_lookback_scan_state_kernelINS1_19lookback_scan_stateIlLb0ELb1EEENS1_16block_id_wrapperIjLb0EEEEEvT_jT0_jPNS7_10value_typeE: ; @_ZN7rocprim17ROCPRIM_400000_NS6detail31init_lookback_scan_state_kernelINS1_19lookback_scan_stateIlLb0ELb1EEENS1_16block_id_wrapperIjLb0EEEEEvT_jT0_jPNS7_10value_typeE
; %bb.0:
	s_clause 0x2
	s_load_b32 s7, s[0:1], 0x2c
	s_load_b96 s[4:6], s[0:1], 0x0
	s_load_b64 s[2:3], s[0:1], 0x18
	s_bfe_u32 s8, ttmp6, 0x4000c
	s_and_b32 s9, ttmp6, 15
	s_add_co_i32 s8, s8, 1
	s_getreg_b32 s10, hwreg(HW_REG_IB_STS2, 6, 4)
	s_mul_i32 s8, ttmp9, s8
	s_delay_alu instid0(SALU_CYCLE_1)
	s_add_co_i32 s9, s9, s8
	s_wait_kmcnt 0x0
	s_and_b32 s7, s7, 0xffff
	s_cmp_eq_u32 s10, 0
	s_cselect_b32 s8, ttmp9, s9
	s_cmp_eq_u64 s[2:3], 0
	v_mad_u32 v8, s8, s7, v0
	s_cbranch_scc1 .LBB83_8
; %bb.1:
	s_load_b32 s0, s[0:1], 0x10
	s_mov_b32 s7, exec_lo
	s_wait_kmcnt 0x0
	s_cmp_lt_u32 s0, s6
	s_cselect_b32 s1, s0, 0
	s_delay_alu instid0(VALU_DEP_1) | instid1(SALU_CYCLE_1)
	v_cmpx_eq_u32_e64 s1, v8
	s_cbranch_execz .LBB83_7
; %bb.2:
	s_add_co_i32 s0, s0, 32
	s_mov_b32 s1, 0
	v_mov_b32_e32 v5, 0
	s_lshl_b64 s[8:9], s[0:1], 4
	s_mov_b32 s0, exec_lo
	s_add_nc_u64 s[8:9], s[4:5], s[8:9]
	s_delay_alu instid0(SALU_CYCLE_1) | instskip(SKIP_2) | instid1(VALU_DEP_1)
	v_mov_b64_e32 v[0:1], s[8:9]
	;;#ASMSTART
	global_load_b128 v[0:3], v[0:1] off scope:SCOPE_DEV	
s_wait_loadcnt 0x0
	;;#ASMEND
	v_and_b32_e32 v4, 0xff, v2
	v_cmpx_eq_u64_e32 0, v[4:5]
	s_cbranch_execz .LBB83_6
; %bb.3:
	v_mov_b64_e32 v[6:7], s[8:9]
.LBB83_4:                               ; =>This Inner Loop Header: Depth=1
	;;#ASMSTART
	global_load_b128 v[0:3], v[6:7] off scope:SCOPE_DEV	
s_wait_loadcnt 0x0
	;;#ASMEND
	v_and_b32_e32 v4, 0xff, v2
	s_delay_alu instid0(VALU_DEP_1) | instskip(SKIP_1) | instid1(SALU_CYCLE_1)
	v_cmp_ne_u64_e32 vcc_lo, 0, v[4:5]
	s_or_b32 s1, vcc_lo, s1
	s_and_not1_b32 exec_lo, exec_lo, s1
	s_cbranch_execnz .LBB83_4
; %bb.5:
	s_or_b32 exec_lo, exec_lo, s1
.LBB83_6:
	s_delay_alu instid0(SALU_CYCLE_1)
	s_or_b32 exec_lo, exec_lo, s0
	v_mov_b32_e32 v2, 0
	global_store_b64 v2, v[0:1], s[2:3]
.LBB83_7:
	s_wait_xcnt 0x0
	s_or_b32 exec_lo, exec_lo, s7
.LBB83_8:
	s_delay_alu instid0(SALU_CYCLE_1) | instskip(NEXT) | instid1(VALU_DEP_1)
	s_mov_b32 s0, exec_lo
	v_cmpx_gt_u32_e64 s6, v8
	s_cbranch_execz .LBB83_10
; %bb.9:
	v_dual_mov_b32 v0, 0 :: v_dual_add_nc_u32 v4, 32, v8
	s_delay_alu instid0(VALU_DEP_1)
	v_dual_mov_b32 v1, v0 :: v_dual_mov_b32 v2, v0
	v_mov_b32_e32 v3, v0
	global_store_b128 v4, v[0:3], s[4:5] scale_offset
.LBB83_10:
	s_wait_xcnt 0x0
	s_or_b32 exec_lo, exec_lo, s0
	s_delay_alu instid0(SALU_CYCLE_1)
	s_mov_b32 s0, exec_lo
	v_cmpx_gt_u32_e32 32, v8
	s_cbranch_execz .LBB83_12
; %bb.11:
	v_mov_b32_e32 v0, 0
	s_delay_alu instid0(VALU_DEP_1)
	v_dual_mov_b32 v2, 0xff :: v_dual_mov_b32 v1, v0
	v_mov_b32_e32 v3, v0
	global_store_b128 v8, v[0:3], s[4:5] scale_offset
.LBB83_12:
	s_endpgm
	.section	.rodata,"a",@progbits
	.p2align	6, 0x0
	.amdhsa_kernel _ZN7rocprim17ROCPRIM_400000_NS6detail31init_lookback_scan_state_kernelINS1_19lookback_scan_stateIlLb0ELb1EEENS1_16block_id_wrapperIjLb0EEEEEvT_jT0_jPNS7_10value_typeE
		.amdhsa_group_segment_fixed_size 0
		.amdhsa_private_segment_fixed_size 0
		.amdhsa_kernarg_size 288
		.amdhsa_user_sgpr_count 2
		.amdhsa_user_sgpr_dispatch_ptr 0
		.amdhsa_user_sgpr_queue_ptr 0
		.amdhsa_user_sgpr_kernarg_segment_ptr 1
		.amdhsa_user_sgpr_dispatch_id 0
		.amdhsa_user_sgpr_kernarg_preload_length 0
		.amdhsa_user_sgpr_kernarg_preload_offset 0
		.amdhsa_user_sgpr_private_segment_size 0
		.amdhsa_wavefront_size32 1
		.amdhsa_uses_dynamic_stack 0
		.amdhsa_enable_private_segment 0
		.amdhsa_system_sgpr_workgroup_id_x 1
		.amdhsa_system_sgpr_workgroup_id_y 0
		.amdhsa_system_sgpr_workgroup_id_z 0
		.amdhsa_system_sgpr_workgroup_info 0
		.amdhsa_system_vgpr_workitem_id 0
		.amdhsa_next_free_vgpr 9
		.amdhsa_next_free_sgpr 11
		.amdhsa_named_barrier_count 0
		.amdhsa_reserve_vcc 1
		.amdhsa_float_round_mode_32 0
		.amdhsa_float_round_mode_16_64 0
		.amdhsa_float_denorm_mode_32 3
		.amdhsa_float_denorm_mode_16_64 3
		.amdhsa_fp16_overflow 0
		.amdhsa_memory_ordered 1
		.amdhsa_forward_progress 1
		.amdhsa_inst_pref_size 3
		.amdhsa_round_robin_scheduling 0
		.amdhsa_exception_fp_ieee_invalid_op 0
		.amdhsa_exception_fp_denorm_src 0
		.amdhsa_exception_fp_ieee_div_zero 0
		.amdhsa_exception_fp_ieee_overflow 0
		.amdhsa_exception_fp_ieee_underflow 0
		.amdhsa_exception_fp_ieee_inexact 0
		.amdhsa_exception_int_div_zero 0
	.end_amdhsa_kernel
	.section	.text._ZN7rocprim17ROCPRIM_400000_NS6detail31init_lookback_scan_state_kernelINS1_19lookback_scan_stateIlLb0ELb1EEENS1_16block_id_wrapperIjLb0EEEEEvT_jT0_jPNS7_10value_typeE,"axG",@progbits,_ZN7rocprim17ROCPRIM_400000_NS6detail31init_lookback_scan_state_kernelINS1_19lookback_scan_stateIlLb0ELb1EEENS1_16block_id_wrapperIjLb0EEEEEvT_jT0_jPNS7_10value_typeE,comdat
.Lfunc_end83:
	.size	_ZN7rocprim17ROCPRIM_400000_NS6detail31init_lookback_scan_state_kernelINS1_19lookback_scan_stateIlLb0ELb1EEENS1_16block_id_wrapperIjLb0EEEEEvT_jT0_jPNS7_10value_typeE, .Lfunc_end83-_ZN7rocprim17ROCPRIM_400000_NS6detail31init_lookback_scan_state_kernelINS1_19lookback_scan_stateIlLb0ELb1EEENS1_16block_id_wrapperIjLb0EEEEEvT_jT0_jPNS7_10value_typeE
                                        ; -- End function
	.set _ZN7rocprim17ROCPRIM_400000_NS6detail31init_lookback_scan_state_kernelINS1_19lookback_scan_stateIlLb0ELb1EEENS1_16block_id_wrapperIjLb0EEEEEvT_jT0_jPNS7_10value_typeE.num_vgpr, 9
	.set _ZN7rocprim17ROCPRIM_400000_NS6detail31init_lookback_scan_state_kernelINS1_19lookback_scan_stateIlLb0ELb1EEENS1_16block_id_wrapperIjLb0EEEEEvT_jT0_jPNS7_10value_typeE.num_agpr, 0
	.set _ZN7rocprim17ROCPRIM_400000_NS6detail31init_lookback_scan_state_kernelINS1_19lookback_scan_stateIlLb0ELb1EEENS1_16block_id_wrapperIjLb0EEEEEvT_jT0_jPNS7_10value_typeE.numbered_sgpr, 11
	.set _ZN7rocprim17ROCPRIM_400000_NS6detail31init_lookback_scan_state_kernelINS1_19lookback_scan_stateIlLb0ELb1EEENS1_16block_id_wrapperIjLb0EEEEEvT_jT0_jPNS7_10value_typeE.num_named_barrier, 0
	.set _ZN7rocprim17ROCPRIM_400000_NS6detail31init_lookback_scan_state_kernelINS1_19lookback_scan_stateIlLb0ELb1EEENS1_16block_id_wrapperIjLb0EEEEEvT_jT0_jPNS7_10value_typeE.private_seg_size, 0
	.set _ZN7rocprim17ROCPRIM_400000_NS6detail31init_lookback_scan_state_kernelINS1_19lookback_scan_stateIlLb0ELb1EEENS1_16block_id_wrapperIjLb0EEEEEvT_jT0_jPNS7_10value_typeE.uses_vcc, 1
	.set _ZN7rocprim17ROCPRIM_400000_NS6detail31init_lookback_scan_state_kernelINS1_19lookback_scan_stateIlLb0ELb1EEENS1_16block_id_wrapperIjLb0EEEEEvT_jT0_jPNS7_10value_typeE.uses_flat_scratch, 0
	.set _ZN7rocprim17ROCPRIM_400000_NS6detail31init_lookback_scan_state_kernelINS1_19lookback_scan_stateIlLb0ELb1EEENS1_16block_id_wrapperIjLb0EEEEEvT_jT0_jPNS7_10value_typeE.has_dyn_sized_stack, 0
	.set _ZN7rocprim17ROCPRIM_400000_NS6detail31init_lookback_scan_state_kernelINS1_19lookback_scan_stateIlLb0ELb1EEENS1_16block_id_wrapperIjLb0EEEEEvT_jT0_jPNS7_10value_typeE.has_recursion, 0
	.set _ZN7rocprim17ROCPRIM_400000_NS6detail31init_lookback_scan_state_kernelINS1_19lookback_scan_stateIlLb0ELb1EEENS1_16block_id_wrapperIjLb0EEEEEvT_jT0_jPNS7_10value_typeE.has_indirect_call, 0
	.section	.AMDGPU.csdata,"",@progbits
; Kernel info:
; codeLenInByte = 376
; TotalNumSgprs: 13
; NumVgprs: 9
; ScratchSize: 0
; MemoryBound: 0
; FloatMode: 240
; IeeeMode: 1
; LDSByteSize: 0 bytes/workgroup (compile time only)
; SGPRBlocks: 0
; VGPRBlocks: 0
; NumSGPRsForWavesPerEU: 13
; NumVGPRsForWavesPerEU: 9
; NamedBarCnt: 0
; Occupancy: 16
; WaveLimiterHint : 0
; COMPUTE_PGM_RSRC2:SCRATCH_EN: 0
; COMPUTE_PGM_RSRC2:USER_SGPR: 2
; COMPUTE_PGM_RSRC2:TRAP_HANDLER: 0
; COMPUTE_PGM_RSRC2:TGID_X_EN: 1
; COMPUTE_PGM_RSRC2:TGID_Y_EN: 0
; COMPUTE_PGM_RSRC2:TGID_Z_EN: 0
; COMPUTE_PGM_RSRC2:TIDIG_COMP_CNT: 0
	.section	.text._ZN7rocprim17ROCPRIM_400000_NS6detail17trampoline_kernelINS0_14default_configENS1_20scan_config_selectorIlEEZZNS1_9scan_implILNS1_25lookback_scan_determinismE0ELb0ELb0ES3_PlS8_lN6thrust23THRUST_200600_302600_NS4plusIvEElEEDaPvRmT3_T4_T5_mT6_P12ihipStream_tbENKUlT_T0_E_clISt17integral_constantIbLb0EESQ_EEDaSL_SM_EUlSL_E_NS1_11comp_targetILNS1_3genE0ELNS1_11target_archE4294967295ELNS1_3gpuE0ELNS1_3repE0EEENS1_30default_config_static_selectorELNS0_4arch9wavefront6targetE0EEEvT1_,"axG",@progbits,_ZN7rocprim17ROCPRIM_400000_NS6detail17trampoline_kernelINS0_14default_configENS1_20scan_config_selectorIlEEZZNS1_9scan_implILNS1_25lookback_scan_determinismE0ELb0ELb0ES3_PlS8_lN6thrust23THRUST_200600_302600_NS4plusIvEElEEDaPvRmT3_T4_T5_mT6_P12ihipStream_tbENKUlT_T0_E_clISt17integral_constantIbLb0EESQ_EEDaSL_SM_EUlSL_E_NS1_11comp_targetILNS1_3genE0ELNS1_11target_archE4294967295ELNS1_3gpuE0ELNS1_3repE0EEENS1_30default_config_static_selectorELNS0_4arch9wavefront6targetE0EEEvT1_,comdat
	.protected	_ZN7rocprim17ROCPRIM_400000_NS6detail17trampoline_kernelINS0_14default_configENS1_20scan_config_selectorIlEEZZNS1_9scan_implILNS1_25lookback_scan_determinismE0ELb0ELb0ES3_PlS8_lN6thrust23THRUST_200600_302600_NS4plusIvEElEEDaPvRmT3_T4_T5_mT6_P12ihipStream_tbENKUlT_T0_E_clISt17integral_constantIbLb0EESQ_EEDaSL_SM_EUlSL_E_NS1_11comp_targetILNS1_3genE0ELNS1_11target_archE4294967295ELNS1_3gpuE0ELNS1_3repE0EEENS1_30default_config_static_selectorELNS0_4arch9wavefront6targetE0EEEvT1_ ; -- Begin function _ZN7rocprim17ROCPRIM_400000_NS6detail17trampoline_kernelINS0_14default_configENS1_20scan_config_selectorIlEEZZNS1_9scan_implILNS1_25lookback_scan_determinismE0ELb0ELb0ES3_PlS8_lN6thrust23THRUST_200600_302600_NS4plusIvEElEEDaPvRmT3_T4_T5_mT6_P12ihipStream_tbENKUlT_T0_E_clISt17integral_constantIbLb0EESQ_EEDaSL_SM_EUlSL_E_NS1_11comp_targetILNS1_3genE0ELNS1_11target_archE4294967295ELNS1_3gpuE0ELNS1_3repE0EEENS1_30default_config_static_selectorELNS0_4arch9wavefront6targetE0EEEvT1_
	.globl	_ZN7rocprim17ROCPRIM_400000_NS6detail17trampoline_kernelINS0_14default_configENS1_20scan_config_selectorIlEEZZNS1_9scan_implILNS1_25lookback_scan_determinismE0ELb0ELb0ES3_PlS8_lN6thrust23THRUST_200600_302600_NS4plusIvEElEEDaPvRmT3_T4_T5_mT6_P12ihipStream_tbENKUlT_T0_E_clISt17integral_constantIbLb0EESQ_EEDaSL_SM_EUlSL_E_NS1_11comp_targetILNS1_3genE0ELNS1_11target_archE4294967295ELNS1_3gpuE0ELNS1_3repE0EEENS1_30default_config_static_selectorELNS0_4arch9wavefront6targetE0EEEvT1_
	.p2align	8
	.type	_ZN7rocprim17ROCPRIM_400000_NS6detail17trampoline_kernelINS0_14default_configENS1_20scan_config_selectorIlEEZZNS1_9scan_implILNS1_25lookback_scan_determinismE0ELb0ELb0ES3_PlS8_lN6thrust23THRUST_200600_302600_NS4plusIvEElEEDaPvRmT3_T4_T5_mT6_P12ihipStream_tbENKUlT_T0_E_clISt17integral_constantIbLb0EESQ_EEDaSL_SM_EUlSL_E_NS1_11comp_targetILNS1_3genE0ELNS1_11target_archE4294967295ELNS1_3gpuE0ELNS1_3repE0EEENS1_30default_config_static_selectorELNS0_4arch9wavefront6targetE0EEEvT1_,@function
_ZN7rocprim17ROCPRIM_400000_NS6detail17trampoline_kernelINS0_14default_configENS1_20scan_config_selectorIlEEZZNS1_9scan_implILNS1_25lookback_scan_determinismE0ELb0ELb0ES3_PlS8_lN6thrust23THRUST_200600_302600_NS4plusIvEElEEDaPvRmT3_T4_T5_mT6_P12ihipStream_tbENKUlT_T0_E_clISt17integral_constantIbLb0EESQ_EEDaSL_SM_EUlSL_E_NS1_11comp_targetILNS1_3genE0ELNS1_11target_archE4294967295ELNS1_3gpuE0ELNS1_3repE0EEENS1_30default_config_static_selectorELNS0_4arch9wavefront6targetE0EEEvT1_: ; @_ZN7rocprim17ROCPRIM_400000_NS6detail17trampoline_kernelINS0_14default_configENS1_20scan_config_selectorIlEEZZNS1_9scan_implILNS1_25lookback_scan_determinismE0ELb0ELb0ES3_PlS8_lN6thrust23THRUST_200600_302600_NS4plusIvEElEEDaPvRmT3_T4_T5_mT6_P12ihipStream_tbENKUlT_T0_E_clISt17integral_constantIbLb0EESQ_EEDaSL_SM_EUlSL_E_NS1_11comp_targetILNS1_3genE0ELNS1_11target_archE4294967295ELNS1_3gpuE0ELNS1_3repE0EEENS1_30default_config_static_selectorELNS0_4arch9wavefront6targetE0EEEvT1_
; %bb.0:
	s_clause 0x1
	s_load_b256 s[12:19], s[0:1], 0x0
	s_load_b32 s2, s[0:1], 0x38
	s_bfe_u32 s4, ttmp6, 0x4000c
	s_and_b32 s5, ttmp6, 15
	s_add_co_i32 s7, s4, 1
	s_getreg_b32 s6, hwreg(HW_REG_IB_STS2, 6, 4)
	s_mul_i32 s8, ttmp9, s7
	s_mov_b32 s3, 0
	s_add_co_i32 s5, s5, s8
	s_mov_b32 s7, s3
	v_lshlrev_b32_e32 v26, 3, v0
	s_mov_b32 s4, -1
	s_wait_kmcnt 0x0
	s_lshl_b64 s[20:21], s[14:15], 3
	s_cmp_eq_u32 s6, 0
	s_add_nc_u64 s[8:9], s[12:13], s[20:21]
	s_cselect_b32 s27, ttmp9, s5
	s_add_co_i32 s2, s2, -1
	s_mul_i32 s6, s27, 0x600
	s_cmp_lg_u32 s27, s2
	s_mulk_i32 s2, 0x600
	s_cselect_b32 s26, -1, 0
	s_lshl_b64 s[22:23], s[6:7], 3
	s_and_b32 vcc_lo, exec_lo, s26
	s_add_nc_u64 s[24:25], s[8:9], s[22:23]
	s_cbranch_vccz .LBB84_2
; %bb.1:
	s_clause 0x5
	global_load_b64 v[2:3], v0, s[24:25] scale_offset
	global_load_b64 v[4:5], v0, s[24:25] offset:2048 scale_offset
	global_load_b64 v[6:7], v0, s[24:25] offset:4096 scale_offset
	;; [unrolled: 1-line block ×5, first 2 shown]
	s_mov_b32 s4, s3
	s_wait_loadcnt 0x4
	ds_store_2addr_stride64_b64 v26, v[2:3], v[4:5] offset1:4
	s_wait_loadcnt 0x2
	ds_store_2addr_stride64_b64 v26, v[6:7], v[8:9] offset0:8 offset1:12
	s_wait_loadcnt 0x0
	ds_store_2addr_stride64_b64 v26, v[10:11], v[12:13] offset0:16 offset1:20
	s_wait_dscnt 0x0
	s_barrier_signal -1
	s_barrier_wait -1
.LBB84_2:
	s_sub_nc_u64 s[18:19], s[18:19], s[2:3]
	s_and_not1_b32 vcc_lo, exec_lo, s4
	v_cmp_gt_u32_e64 s2, s18, v0
	s_cbranch_vccnz .LBB84_16
; %bb.3:
	s_load_b64 s[4:5], s[24:25], 0x0
	s_wait_kmcnt 0x0
	s_mov_b32 s6, s4
	s_mov_b32 s7, s5
	;; [unrolled: 1-line block ×10, first 2 shown]
	v_mov_b64_e32 v[2:3], s[4:5]
	v_mov_b64_e32 v[4:5], s[6:7]
	;; [unrolled: 1-line block ×8, first 2 shown]
	s_and_saveexec_b32 s3, s2
	s_cbranch_execz .LBB84_5
; %bb.4:
	global_load_b64 v[2:3], v0, s[24:25] scale_offset
	v_dual_mov_b32 v4, s4 :: v_dual_mov_b32 v5, s5
	v_dual_mov_b32 v6, s4 :: v_dual_mov_b32 v7, s5
	;; [unrolled: 1-line block ×5, first 2 shown]
.LBB84_5:
	s_wait_xcnt 0x0
	s_or_b32 exec_lo, exec_lo, s3
	v_or_b32_e32 v1, 0x100, v0
	s_mov_b32 s2, exec_lo
	s_delay_alu instid0(VALU_DEP_1)
	v_cmpx_gt_u32_e64 s18, v1
	s_cbranch_execz .LBB84_7
; %bb.6:
	global_load_b64 v[4:5], v0, s[24:25] offset:2048 scale_offset
.LBB84_7:
	s_wait_xcnt 0x0
	s_or_b32 exec_lo, exec_lo, s2
	v_or_b32_e32 v1, 0x200, v0
	s_mov_b32 s2, exec_lo
	s_delay_alu instid0(VALU_DEP_1)
	v_cmpx_gt_u32_e64 s18, v1
	s_cbranch_execz .LBB84_9
; %bb.8:
	global_load_b64 v[6:7], v0, s[24:25] offset:4096 scale_offset
.LBB84_9:
	;; [unrolled: 10-line block ×5, first 2 shown]
	s_wait_xcnt 0x0
	s_or_b32 exec_lo, exec_lo, s2
	s_wait_loadcnt 0x0
	ds_store_2addr_stride64_b64 v26, v[2:3], v[4:5] offset1:4
	ds_store_2addr_stride64_b64 v26, v[6:7], v[8:9] offset0:8 offset1:12
	ds_store_2addr_stride64_b64 v26, v[10:11], v[12:13] offset0:16 offset1:20
	s_wait_dscnt 0x0
	s_barrier_signal -1
	s_barrier_wait -1
.LBB84_16:
	v_mul_u32_u24_e32 v1, 48, v0
	s_load_b64 s[12:13], s[0:1], 0x30
	v_mbcnt_lo_u32_b32 v27, -1, 0
	s_cmp_lg_u32 s27, 0
	ds_load_b128 v[10:13], v1
	ds_load_b128 v[6:9], v1 offset:16
	ds_load_b128 v[2:5], v1 offset:32
	s_wait_dscnt 0x0
	s_barrier_signal -1
	s_barrier_wait -1
	s_cbranch_scc0 .LBB84_73
; %bb.17:
	v_add_nc_u64_e32 v[14:15], v[12:13], v[10:11]
	s_mov_b32 s2, exec_lo
	s_delay_alu instid0(VALU_DEP_1) | instskip(NEXT) | instid1(VALU_DEP_1)
	v_add_nc_u64_e32 v[14:15], v[14:15], v[6:7]
	v_add_nc_u64_e32 v[14:15], v[14:15], v[8:9]
	s_delay_alu instid0(VALU_DEP_1) | instskip(NEXT) | instid1(VALU_DEP_1)
	v_add_nc_u64_e32 v[14:15], v[14:15], v[2:3]
	v_add_nc_u64_e32 v[14:15], v[14:15], v[4:5]
	s_delay_alu instid0(VALU_DEP_1) | instskip(SKIP_1) | instid1(VALU_DEP_3)
	v_dual_mov_b32 v16, v14 :: v_dual_bitop2_b32 v22, 15, v27 bitop3:0x40
	v_mov_b32_dpp v18, v14 row_shr:1 row_mask:0xf bank_mask:0xf
	v_mov_b32_dpp v21, v15 row_shr:1 row_mask:0xf bank_mask:0xf
	s_delay_alu instid0(VALU_DEP_3)
	v_cmpx_ne_u32_e32 0, v22
; %bb.18:
	v_mov_b32_e32 v20, 0
	s_delay_alu instid0(VALU_DEP_1) | instskip(NEXT) | instid1(VALU_DEP_1)
	v_mov_b32_e32 v19, v20
	v_add_nc_u64_e32 v[16:17], v[14:15], v[18:19]
	s_delay_alu instid0(VALU_DEP_1)
	v_add_nc_u64_e32 v[14:15], v[20:21], v[16:17]
; %bb.19:
	s_or_b32 exec_lo, exec_lo, s2
	v_mov_b32_dpp v18, v16 row_shr:2 row_mask:0xf bank_mask:0xf
	s_delay_alu instid0(VALU_DEP_2)
	v_mov_b32_dpp v21, v15 row_shr:2 row_mask:0xf bank_mask:0xf
	s_mov_b32 s2, exec_lo
	v_cmpx_lt_u32_e32 1, v22
; %bb.20:
	v_mov_b32_e32 v20, 0
	s_delay_alu instid0(VALU_DEP_1) | instskip(NEXT) | instid1(VALU_DEP_1)
	v_mov_b32_e32 v19, v20
	v_add_nc_u64_e32 v[16:17], v[14:15], v[18:19]
	s_delay_alu instid0(VALU_DEP_1)
	v_add_nc_u64_e32 v[14:15], v[20:21], v[16:17]
; %bb.21:
	s_or_b32 exec_lo, exec_lo, s2
	v_mov_b32_dpp v18, v16 row_shr:4 row_mask:0xf bank_mask:0xf
	s_delay_alu instid0(VALU_DEP_2)
	v_mov_b32_dpp v21, v15 row_shr:4 row_mask:0xf bank_mask:0xf
	s_mov_b32 s2, exec_lo
	v_cmpx_lt_u32_e32 3, v22
	;; [unrolled: 14-line block ×3, first 2 shown]
; %bb.24:
	v_mov_b32_e32 v20, 0
	s_delay_alu instid0(VALU_DEP_1) | instskip(NEXT) | instid1(VALU_DEP_1)
	v_mov_b32_e32 v19, v20
	v_add_nc_u64_e32 v[16:17], v[14:15], v[18:19]
	s_delay_alu instid0(VALU_DEP_1)
	v_add_nc_u64_e32 v[14:15], v[20:21], v[16:17]
; %bb.25:
	s_or_b32 exec_lo, exec_lo, s2
	ds_swizzle_b32 v18, v16 offset:swizzle(BROADCAST,32,15)
	ds_swizzle_b32 v21, v15 offset:swizzle(BROADCAST,32,15)
	v_and_b32_e32 v17, 16, v27
	s_mov_b32 s2, exec_lo
	s_delay_alu instid0(VALU_DEP_1)
	v_cmpx_ne_u32_e32 0, v17
	s_cbranch_execz .LBB84_27
; %bb.26:
	v_mov_b32_e32 v20, 0
	s_delay_alu instid0(VALU_DEP_1) | instskip(SKIP_1) | instid1(VALU_DEP_1)
	v_mov_b32_e32 v19, v20
	s_wait_dscnt 0x1
	v_add_nc_u64_e32 v[16:17], v[14:15], v[18:19]
	s_wait_dscnt 0x0
	s_delay_alu instid0(VALU_DEP_1)
	v_add_nc_u64_e32 v[14:15], v[20:21], v[16:17]
.LBB84_27:
	s_or_b32 exec_lo, exec_lo, s2
	s_wait_dscnt 0x1
	v_dual_lshrrev_b32 v17, 5, v0 :: v_dual_bitop2_b32 v18, 31, v0 bitop3:0x54
	s_mov_b32 s2, exec_lo
	s_delay_alu instid0(VALU_DEP_1)
	v_cmpx_eq_u32_e64 v0, v18
; %bb.28:
	s_delay_alu instid0(VALU_DEP_2)
	v_lshlrev_b32_e32 v18, 3, v17
	ds_store_b64 v18, v[14:15]
; %bb.29:
	s_or_b32 exec_lo, exec_lo, s2
	s_delay_alu instid0(SALU_CYCLE_1)
	s_mov_b32 s2, exec_lo
	s_wait_dscnt 0x0
	s_barrier_signal -1
	s_barrier_wait -1
	v_cmpx_gt_u32_e32 8, v0
	s_cbranch_execz .LBB84_37
; %bb.30:
	ds_load_b64 v[18:19], v26
	v_and_b32_e32 v14, 7, v27
	s_mov_b32 s3, exec_lo
	s_wait_dscnt 0x0
	v_mov_b32_dpp v22, v18 row_shr:1 row_mask:0xf bank_mask:0xf
	v_mov_b32_dpp v25, v19 row_shr:1 row_mask:0xf bank_mask:0xf
	v_mov_b32_e32 v20, v18
	v_cmpx_ne_u32_e32 0, v14
; %bb.31:
	v_mov_b32_e32 v24, 0
	s_delay_alu instid0(VALU_DEP_1) | instskip(NEXT) | instid1(VALU_DEP_1)
	v_mov_b32_e32 v23, v24
	v_add_nc_u64_e32 v[20:21], v[18:19], v[22:23]
	s_delay_alu instid0(VALU_DEP_1)
	v_add_nc_u64_e32 v[18:19], v[24:25], v[20:21]
; %bb.32:
	s_or_b32 exec_lo, exec_lo, s3
	v_mov_b32_dpp v22, v20 row_shr:2 row_mask:0xf bank_mask:0xf
	s_delay_alu instid0(VALU_DEP_2)
	v_mov_b32_dpp v25, v19 row_shr:2 row_mask:0xf bank_mask:0xf
	s_mov_b32 s3, exec_lo
	v_cmpx_lt_u32_e32 1, v14
; %bb.33:
	v_mov_b32_e32 v24, 0
	s_delay_alu instid0(VALU_DEP_1) | instskip(NEXT) | instid1(VALU_DEP_1)
	v_mov_b32_e32 v23, v24
	v_add_nc_u64_e32 v[20:21], v[18:19], v[22:23]
	s_delay_alu instid0(VALU_DEP_1)
	v_add_nc_u64_e32 v[18:19], v[24:25], v[20:21]
; %bb.34:
	s_or_b32 exec_lo, exec_lo, s3
	v_mov_b32_dpp v20, v20 row_shr:4 row_mask:0xf bank_mask:0xf
	s_delay_alu instid0(VALU_DEP_2)
	v_mov_b32_dpp v23, v19 row_shr:4 row_mask:0xf bank_mask:0xf
	s_mov_b32 s3, exec_lo
	v_cmpx_lt_u32_e32 3, v14
; %bb.35:
	v_mov_b32_e32 v22, 0
	s_delay_alu instid0(VALU_DEP_1) | instskip(NEXT) | instid1(VALU_DEP_1)
	v_mov_b32_e32 v21, v22
	v_add_nc_u64_e32 v[18:19], v[18:19], v[20:21]
	s_delay_alu instid0(VALU_DEP_1)
	v_add_nc_u64_e32 v[18:19], v[18:19], v[22:23]
; %bb.36:
	s_or_b32 exec_lo, exec_lo, s3
	ds_store_b64 v26, v[18:19]
.LBB84_37:
	s_or_b32 exec_lo, exec_lo, s2
	s_delay_alu instid0(SALU_CYCLE_1)
	s_mov_b32 s3, exec_lo
	v_cmp_gt_u32_e32 vcc_lo, 32, v0
	s_wait_dscnt 0x0
	s_barrier_signal -1
	s_barrier_wait -1
                                        ; implicit-def: $vgpr20_vgpr21
	v_cmpx_lt_u32_e32 31, v0
	s_cbranch_execz .LBB84_39
; %bb.38:
	v_lshl_add_u32 v14, v17, 3, -8
	v_mov_b32_e32 v17, v15
	ds_load_b64 v[20:21], v14
	s_wait_dscnt 0x0
	v_add_nc_u64_e32 v[14:15], v[16:17], v[20:21]
	s_delay_alu instid0(VALU_DEP_1)
	v_mov_b32_e32 v16, v14
.LBB84_39:
	s_or_b32 exec_lo, exec_lo, s3
	v_sub_co_u32 v14, s2, v27, 1
	s_delay_alu instid0(VALU_DEP_1) | instskip(NEXT) | instid1(VALU_DEP_1)
	v_cmp_gt_i32_e64 s3, 0, v14
	v_cndmask_b32_e64 v14, v14, v27, s3
	s_delay_alu instid0(VALU_DEP_1)
	v_lshlrev_b32_e32 v14, 2, v14
	ds_bpermute_b32 v34, v14, v16
	ds_bpermute_b32 v35, v14, v15
	s_and_saveexec_b32 s3, vcc_lo
	s_cbranch_execz .LBB84_78
; %bb.40:
	v_mov_b32_e32 v17, 0
	ds_load_b64 v[14:15], v17 offset:56
	s_and_saveexec_b32 s4, s2
	s_cbranch_execz .LBB84_42
; %bb.41:
	s_add_co_i32 s6, s27, 32
	s_mov_b32 s7, 0
	v_mov_b32_e32 v16, 1
	s_lshl_b64 s[6:7], s[6:7], 4
	s_wait_kmcnt 0x0
	s_add_nc_u64 s[6:7], s[12:13], s[6:7]
	s_delay_alu instid0(SALU_CYCLE_1)
	v_mov_b64_e32 v[18:19], s[6:7]
	s_wait_dscnt 0x0
	;;#ASMSTART
	global_store_b128 v[18:19], v[14:17] off scope:SCOPE_DEV	
s_wait_storecnt 0x0
	;;#ASMEND
.LBB84_42:
	s_or_b32 exec_lo, exec_lo, s4
	v_xad_u32 v22, v27, -1, s27
	s_mov_b32 s5, 0
	s_mov_b32 s4, exec_lo
	s_delay_alu instid0(VALU_DEP_1) | instskip(SKIP_1) | instid1(VALU_DEP_1)
	v_add_nc_u32_e32 v16, 32, v22
	s_wait_kmcnt 0x0
	v_lshl_add_u64 v[24:25], v[16:17], 4, s[12:13]
	;;#ASMSTART
	global_load_b128 v[16:19], v[24:25] off scope:SCOPE_DEV	
s_wait_loadcnt 0x0
	;;#ASMEND
	v_and_b32_e32 v19, 0xff, v18
	s_delay_alu instid0(VALU_DEP_1)
	v_cmpx_eq_u16_e32 0, v19
	s_cbranch_execz .LBB84_45
.LBB84_43:                              ; =>This Inner Loop Header: Depth=1
	;;#ASMSTART
	global_load_b128 v[16:19], v[24:25] off scope:SCOPE_DEV	
s_wait_loadcnt 0x0
	;;#ASMEND
	v_and_b32_e32 v19, 0xff, v18
	s_delay_alu instid0(VALU_DEP_1) | instskip(SKIP_1) | instid1(SALU_CYCLE_1)
	v_cmp_ne_u16_e32 vcc_lo, 0, v19
	s_or_b32 s5, vcc_lo, s5
	s_and_not1_b32 exec_lo, exec_lo, s5
	s_cbranch_execnz .LBB84_43
; %bb.44:
	s_or_b32 exec_lo, exec_lo, s5
.LBB84_45:
	s_delay_alu instid0(SALU_CYCLE_1)
	s_or_b32 exec_lo, exec_lo, s4
	v_cmp_ne_u32_e32 vcc_lo, 31, v27
	v_and_b32_e32 v23, 0xff, v18
	v_lshlrev_b32_e64 v37, v27, -1
	s_mov_b32 s4, exec_lo
	v_mov_b32_e32 v24, v16
	v_add_co_ci_u32_e64 v19, null, 0, v27, vcc_lo
	v_cmp_eq_u16_e32 vcc_lo, 2, v23
	s_delay_alu instid0(VALU_DEP_2) | instskip(SKIP_4) | instid1(VALU_DEP_1)
	v_lshlrev_b32_e32 v36, 2, v19
	v_and_or_b32 v19, vcc_lo, v37, 0x80000000
	ds_bpermute_b32 v28, v36, v16
	ds_bpermute_b32 v31, v36, v17
	v_ctz_i32_b32_e32 v19, v19
	v_cmpx_lt_u32_e64 v27, v19
	s_cbranch_execz .LBB84_47
; %bb.46:
	v_mov_b32_e32 v30, 0
	s_delay_alu instid0(VALU_DEP_1) | instskip(SKIP_1) | instid1(VALU_DEP_1)
	v_mov_b32_e32 v29, v30
	s_wait_dscnt 0x1
	v_add_nc_u64_e32 v[24:25], v[16:17], v[28:29]
	s_wait_dscnt 0x0
	s_delay_alu instid0(VALU_DEP_1)
	v_add_nc_u64_e32 v[16:17], v[30:31], v[24:25]
.LBB84_47:
	s_or_b32 exec_lo, exec_lo, s4
	v_cmp_gt_u32_e32 vcc_lo, 30, v27
	v_add_nc_u32_e32 v39, 2, v27
	s_mov_b32 s4, exec_lo
	v_cndmask_b32_e64 v23, 0, 2, vcc_lo
	s_delay_alu instid0(VALU_DEP_1)
	v_add_lshl_u32 v38, v23, v27, 2
	s_wait_dscnt 0x1
	ds_bpermute_b32 v28, v38, v24
	s_wait_dscnt 0x1
	ds_bpermute_b32 v31, v38, v17
	v_cmpx_le_u32_e64 v39, v19
	s_cbranch_execz .LBB84_49
; %bb.48:
	v_mov_b32_e32 v30, 0
	s_delay_alu instid0(VALU_DEP_1) | instskip(SKIP_1) | instid1(VALU_DEP_1)
	v_mov_b32_e32 v29, v30
	s_wait_dscnt 0x1
	v_add_nc_u64_e32 v[24:25], v[16:17], v[28:29]
	s_wait_dscnt 0x0
	s_delay_alu instid0(VALU_DEP_1)
	v_add_nc_u64_e32 v[16:17], v[30:31], v[24:25]
.LBB84_49:
	s_or_b32 exec_lo, exec_lo, s4
	v_cmp_gt_u32_e32 vcc_lo, 28, v27
	v_add_nc_u32_e32 v41, 4, v27
	s_mov_b32 s4, exec_lo
	v_cndmask_b32_e64 v23, 0, 4, vcc_lo
	s_delay_alu instid0(VALU_DEP_1)
	v_add_lshl_u32 v40, v23, v27, 2
	s_wait_dscnt 0x1
	ds_bpermute_b32 v28, v40, v24
	s_wait_dscnt 0x1
	ds_bpermute_b32 v31, v40, v17
	v_cmpx_le_u32_e64 v41, v19
	;; [unrolled: 23-line block ×3, first 2 shown]
	s_cbranch_execz .LBB84_53
; %bb.52:
	v_mov_b32_e32 v30, 0
	s_delay_alu instid0(VALU_DEP_1) | instskip(SKIP_1) | instid1(VALU_DEP_1)
	v_mov_b32_e32 v29, v30
	s_wait_dscnt 0x1
	v_add_nc_u64_e32 v[24:25], v[16:17], v[28:29]
	s_wait_dscnt 0x0
	s_delay_alu instid0(VALU_DEP_1)
	v_add_nc_u64_e32 v[16:17], v[30:31], v[24:25]
.LBB84_53:
	s_or_b32 exec_lo, exec_lo, s4
	v_lshl_or_b32 v44, v27, 2, 64
	v_add_nc_u32_e32 v45, 16, v27
	s_mov_b32 s4, exec_lo
	ds_bpermute_b32 v24, v44, v24
	ds_bpermute_b32 v29, v44, v17
	v_cmpx_le_u32_e64 v45, v19
	s_cbranch_execz .LBB84_55
; %bb.54:
	s_wait_dscnt 0x3
	v_mov_b32_e32 v28, 0
	s_delay_alu instid0(VALU_DEP_1) | instskip(SKIP_1) | instid1(VALU_DEP_1)
	v_mov_b32_e32 v25, v28
	s_wait_dscnt 0x1
	v_add_nc_u64_e32 v[16:17], v[16:17], v[24:25]
	s_wait_dscnt 0x0
	s_delay_alu instid0(VALU_DEP_1)
	v_add_nc_u64_e32 v[16:17], v[16:17], v[28:29]
.LBB84_55:
	s_or_b32 exec_lo, exec_lo, s4
	v_mov_b32_e32 v23, 0
	s_branch .LBB84_58
.LBB84_56:                              ;   in Loop: Header=BB84_58 Depth=1
	s_or_b32 exec_lo, exec_lo, s4
	s_delay_alu instid0(VALU_DEP_1)
	v_add_nc_u64_e32 v[16:17], v[16:17], v[24:25]
	v_subrev_nc_u32_e32 v22, 32, v22
	s_mov_b32 s4, 0
.LBB84_57:                              ;   in Loop: Header=BB84_58 Depth=1
	s_delay_alu instid0(SALU_CYCLE_1)
	s_and_b32 vcc_lo, exec_lo, s4
	s_cbranch_vccnz .LBB84_74
.LBB84_58:                              ; =>This Loop Header: Depth=1
                                        ;     Child Loop BB84_61 Depth 2
	v_and_b32_e32 v18, 0xff, v18
	s_wait_dscnt 0x1
	s_delay_alu instid0(VALU_DEP_3) | instskip(SKIP_1) | instid1(VALU_DEP_2)
	v_mov_b64_e32 v[24:25], v[16:17]
	s_mov_b32 s4, -1
	v_cmp_ne_u16_e32 vcc_lo, 2, v18
                                        ; implicit-def: $vgpr16_vgpr17
	s_cmp_lg_u32 vcc_lo, exec_lo
	s_cbranch_scc1 .LBB84_57
; %bb.59:                               ;   in Loop: Header=BB84_58 Depth=1
	s_wait_dscnt 0x0
	v_lshl_add_u64 v[28:29], v[22:23], 4, s[12:13]
	;;#ASMSTART
	global_load_b128 v[16:19], v[28:29] off scope:SCOPE_DEV	
s_wait_loadcnt 0x0
	;;#ASMEND
	v_and_b32_e32 v19, 0xff, v18
	s_mov_b32 s4, exec_lo
	s_delay_alu instid0(VALU_DEP_1)
	v_cmpx_eq_u16_e32 0, v19
	s_cbranch_execz .LBB84_63
; %bb.60:                               ;   in Loop: Header=BB84_58 Depth=1
	s_mov_b32 s5, 0
.LBB84_61:                              ;   Parent Loop BB84_58 Depth=1
                                        ; =>  This Inner Loop Header: Depth=2
	;;#ASMSTART
	global_load_b128 v[16:19], v[28:29] off scope:SCOPE_DEV	
s_wait_loadcnt 0x0
	;;#ASMEND
	v_and_b32_e32 v19, 0xff, v18
	s_delay_alu instid0(VALU_DEP_1) | instskip(SKIP_1) | instid1(SALU_CYCLE_1)
	v_cmp_ne_u16_e32 vcc_lo, 0, v19
	s_or_b32 s5, vcc_lo, s5
	s_and_not1_b32 exec_lo, exec_lo, s5
	s_cbranch_execnz .LBB84_61
; %bb.62:                               ;   in Loop: Header=BB84_58 Depth=1
	s_or_b32 exec_lo, exec_lo, s5
.LBB84_63:                              ;   in Loop: Header=BB84_58 Depth=1
	s_delay_alu instid0(SALU_CYCLE_1)
	s_or_b32 exec_lo, exec_lo, s4
	v_and_b32_e32 v19, 0xff, v18
	ds_bpermute_b32 v30, v36, v16
	ds_bpermute_b32 v33, v36, v17
	v_mov_b32_e32 v28, v16
	s_mov_b32 s4, exec_lo
	v_cmp_eq_u16_e32 vcc_lo, 2, v19
	v_and_or_b32 v19, vcc_lo, v37, 0x80000000
	s_delay_alu instid0(VALU_DEP_1) | instskip(NEXT) | instid1(VALU_DEP_1)
	v_ctz_i32_b32_e32 v19, v19
	v_cmpx_lt_u32_e64 v27, v19
	s_cbranch_execz .LBB84_65
; %bb.64:                               ;   in Loop: Header=BB84_58 Depth=1
	v_dual_mov_b32 v31, v23 :: v_dual_mov_b32 v32, v23
	s_wait_dscnt 0x1
	s_delay_alu instid0(VALU_DEP_1) | instskip(SKIP_1) | instid1(VALU_DEP_1)
	v_add_nc_u64_e32 v[28:29], v[16:17], v[30:31]
	s_wait_dscnt 0x0
	v_add_nc_u64_e32 v[16:17], v[32:33], v[28:29]
.LBB84_65:                              ;   in Loop: Header=BB84_58 Depth=1
	s_or_b32 exec_lo, exec_lo, s4
	ds_bpermute_b32 v32, v38, v28
	ds_bpermute_b32 v31, v38, v17
	s_mov_b32 s4, exec_lo
	v_cmpx_le_u32_e64 v39, v19
	s_cbranch_execz .LBB84_67
; %bb.66:                               ;   in Loop: Header=BB84_58 Depth=1
	s_wait_dscnt 0x2
	v_dual_mov_b32 v33, v23 :: v_dual_mov_b32 v30, v23
	s_wait_dscnt 0x1
	s_delay_alu instid0(VALU_DEP_1) | instskip(SKIP_1) | instid1(VALU_DEP_1)
	v_add_nc_u64_e32 v[28:29], v[16:17], v[32:33]
	s_wait_dscnt 0x0
	v_add_nc_u64_e32 v[16:17], v[30:31], v[28:29]
.LBB84_67:                              ;   in Loop: Header=BB84_58 Depth=1
	s_or_b32 exec_lo, exec_lo, s4
	s_wait_dscnt 0x1
	ds_bpermute_b32 v32, v40, v28
	s_wait_dscnt 0x1
	ds_bpermute_b32 v31, v40, v17
	s_mov_b32 s4, exec_lo
	v_cmpx_le_u32_e64 v41, v19
	s_cbranch_execz .LBB84_69
; %bb.68:                               ;   in Loop: Header=BB84_58 Depth=1
	v_dual_mov_b32 v33, v23 :: v_dual_mov_b32 v30, v23
	s_wait_dscnt 0x1
	s_delay_alu instid0(VALU_DEP_1) | instskip(SKIP_1) | instid1(VALU_DEP_1)
	v_add_nc_u64_e32 v[28:29], v[16:17], v[32:33]
	s_wait_dscnt 0x0
	v_add_nc_u64_e32 v[16:17], v[30:31], v[28:29]
.LBB84_69:                              ;   in Loop: Header=BB84_58 Depth=1
	s_or_b32 exec_lo, exec_lo, s4
	s_wait_dscnt 0x1
	ds_bpermute_b32 v32, v42, v28
	s_wait_dscnt 0x1
	ds_bpermute_b32 v31, v42, v17
	s_mov_b32 s4, exec_lo
	v_cmpx_le_u32_e64 v43, v19
	s_cbranch_execz .LBB84_71
; %bb.70:                               ;   in Loop: Header=BB84_58 Depth=1
	v_dual_mov_b32 v33, v23 :: v_dual_mov_b32 v30, v23
	s_wait_dscnt 0x1
	s_delay_alu instid0(VALU_DEP_1) | instskip(SKIP_1) | instid1(VALU_DEP_1)
	v_add_nc_u64_e32 v[28:29], v[16:17], v[32:33]
	s_wait_dscnt 0x0
	v_add_nc_u64_e32 v[16:17], v[30:31], v[28:29]
.LBB84_71:                              ;   in Loop: Header=BB84_58 Depth=1
	s_or_b32 exec_lo, exec_lo, s4
	ds_bpermute_b32 v30, v44, v28
	ds_bpermute_b32 v29, v44, v17
	s_mov_b32 s4, exec_lo
	v_cmpx_le_u32_e64 v45, v19
	s_cbranch_execz .LBB84_56
; %bb.72:                               ;   in Loop: Header=BB84_58 Depth=1
	s_wait_dscnt 0x2
	v_dual_mov_b32 v31, v23 :: v_dual_mov_b32 v28, v23
	s_wait_dscnt 0x1
	s_delay_alu instid0(VALU_DEP_1) | instskip(SKIP_1) | instid1(VALU_DEP_1)
	v_add_nc_u64_e32 v[16:17], v[16:17], v[30:31]
	s_wait_dscnt 0x0
	v_add_nc_u64_e32 v[16:17], v[16:17], v[28:29]
	s_branch .LBB84_56
.LBB84_73:
                                        ; implicit-def: $vgpr20_vgpr21
                                        ; implicit-def: $vgpr24_vgpr25
                                        ; implicit-def: $vgpr16_vgpr17
	s_load_b256 s[4:11], s[0:1], 0x40
	s_cbranch_execnz .LBB84_79
	s_branch .LBB84_108
.LBB84_74:
	s_and_saveexec_b32 s4, s2
	s_cbranch_execz .LBB84_76
; %bb.75:
	s_add_co_i32 s6, s27, 32
	s_mov_b32 s7, 0
	v_add_nc_u64_e32 v[14:15], v[24:25], v[14:15]
	s_lshl_b64 s[6:7], s[6:7], 4
	v_dual_mov_b32 v16, 2 :: v_dual_mov_b32 v17, 0
	s_add_nc_u64 s[6:7], s[12:13], s[6:7]
	s_delay_alu instid0(SALU_CYCLE_1)
	v_mov_b64_e32 v[18:19], s[6:7]
	;;#ASMSTART
	global_store_b128 v[18:19], v[14:17] off scope:SCOPE_DEV	
s_wait_storecnt 0x0
	;;#ASMEND
.LBB84_76:
	s_or_b32 exec_lo, exec_lo, s4
	v_cmp_eq_u32_e32 vcc_lo, 0, v0
	s_and_b32 exec_lo, exec_lo, vcc_lo
; %bb.77:
	v_mov_b32_e32 v14, 0
	ds_store_b64 v14, v[24:25] offset:56
.LBB84_78:
	s_or_b32 exec_lo, exec_lo, s3
	s_wait_dscnt 0x1
	v_dual_mov_b32 v14, 0 :: v_dual_cndmask_b32 v16, v34, v20, s2
	s_wait_dscnt 0x0
	s_barrier_signal -1
	s_barrier_wait -1
	ds_load_b64 v[14:15], v14 offset:56
	v_cmp_ne_u32_e32 vcc_lo, 0, v0
	v_cndmask_b32_e64 v17, v35, v21, s2
	s_delay_alu instid0(VALU_DEP_1) | instskip(NEXT) | instid1(VALU_DEP_1)
	v_dual_cndmask_b32 v16, 0, v16 :: v_dual_cndmask_b32 v17, 0, v17
	v_add_nc_u64_e32 v[16:17], v[16:17], v[10:11]
	s_wait_dscnt 0x0
	s_delay_alu instid0(VALU_DEP_1) | instskip(NEXT) | instid1(VALU_DEP_1)
	v_add_nc_u64_e32 v[14:15], v[16:17], v[14:15]
	v_add_nc_u64_e32 v[16:17], v[14:15], v[12:13]
	s_delay_alu instid0(VALU_DEP_1) | instskip(NEXT) | instid1(VALU_DEP_1)
	v_add_nc_u64_e32 v[22:23], v[16:17], v[6:7]
	v_add_nc_u64_e32 v[24:25], v[22:23], v[8:9]
	;; [unrolled: 3-line block ×3, first 2 shown]
	s_load_b256 s[4:11], s[0:1], 0x40
	s_branch .LBB84_108
.LBB84_79:
	s_wait_xcnt 0x0
	v_cmp_eq_u32_e64 s0, 0, v0
	v_mov_b64_e32 v[14:15], v[10:11]
	s_wait_kmcnt 0x0
	s_cmp_lg_u64 s[8:9], 0
	v_cmp_ne_u32_e32 vcc_lo, 0, v0
	s_cselect_b32 s1, -1, 0
	s_delay_alu instid0(SALU_CYCLE_1) | instskip(NEXT) | instid1(SALU_CYCLE_1)
	s_and_b32 s1, s0, s1
	s_and_saveexec_b32 s0, s1
	s_cbranch_execz .LBB84_81
; %bb.80:
	v_mov_b32_e32 v14, 0
	global_load_b64 v[14:15], v14, s[4:5]
	s_wait_loadcnt 0x0
	v_add_nc_u64_e32 v[14:15], v[14:15], v[10:11]
.LBB84_81:
	s_or_b32 exec_lo, exec_lo, s0
	s_delay_alu instid0(VALU_DEP_1) | instskip(SKIP_1) | instid1(VALU_DEP_1)
	v_add_nc_u64_e32 v[16:17], v[12:13], v[14:15]
	s_mov_b32 s1, exec_lo
	v_add_nc_u64_e32 v[22:23], v[16:17], v[6:7]
	s_delay_alu instid0(VALU_DEP_1) | instskip(NEXT) | instid1(VALU_DEP_1)
	v_add_nc_u64_e32 v[24:25], v[22:23], v[8:9]
	v_add_nc_u64_e32 v[18:19], v[24:25], v[2:3]
	s_delay_alu instid0(VALU_DEP_1) | instskip(NEXT) | instid1(VALU_DEP_1)
	v_add_nc_u64_e32 v[20:21], v[18:19], v[4:5]
	v_dual_mov_b32 v29, v21 :: v_dual_bitop2_b32 v34, 15, v27 bitop3:0x40
	s_delay_alu instid0(VALU_DEP_2)
	v_mov_b64_e32 v[30:31], v[20:21]
	v_mov_b32_dpp v28, v20 row_shr:1 row_mask:0xf bank_mask:0xf
	v_mov_b32_dpp v33, v21 row_shr:1 row_mask:0xf bank_mask:0xf
	v_mov_b32_e32 v10, v20
	v_cmpx_ne_u32_e32 0, v34
; %bb.82:
	v_mov_b32_e32 v32, 0
	s_delay_alu instid0(VALU_DEP_1) | instskip(NEXT) | instid1(VALU_DEP_1)
	v_mov_b32_e32 v29, v32
	v_add_nc_u64_e32 v[10:11], v[20:21], v[28:29]
	s_delay_alu instid0(VALU_DEP_1) | instskip(NEXT) | instid1(VALU_DEP_1)
	v_add_nc_u64_e32 v[28:29], v[10:11], v[32:33]
	v_mov_b64_e32 v[30:31], v[28:29]
; %bb.83:
	s_or_b32 exec_lo, exec_lo, s1
	v_mov_b32_dpp v28, v10 row_shr:2 row_mask:0xf bank_mask:0xf
	v_mov_b32_dpp v33, v29 row_shr:2 row_mask:0xf bank_mask:0xf
	s_mov_b32 s1, exec_lo
	v_cmpx_lt_u32_e32 1, v34
; %bb.84:
	v_mov_b32_e32 v32, 0
	s_delay_alu instid0(VALU_DEP_1) | instskip(NEXT) | instid1(VALU_DEP_1)
	v_mov_b32_e32 v29, v32
	v_add_nc_u64_e32 v[10:11], v[30:31], v[28:29]
	s_delay_alu instid0(VALU_DEP_1) | instskip(NEXT) | instid1(VALU_DEP_1)
	v_add_nc_u64_e32 v[28:29], v[32:33], v[10:11]
	v_mov_b64_e32 v[30:31], v[28:29]
; %bb.85:
	s_or_b32 exec_lo, exec_lo, s1
	v_mov_b32_dpp v28, v10 row_shr:4 row_mask:0xf bank_mask:0xf
	v_mov_b32_dpp v33, v29 row_shr:4 row_mask:0xf bank_mask:0xf
	s_mov_b32 s1, exec_lo
	v_cmpx_lt_u32_e32 3, v34
	;; [unrolled: 14-line block ×3, first 2 shown]
; %bb.88:
	v_mov_b32_e32 v32, 0
	s_delay_alu instid0(VALU_DEP_1) | instskip(NEXT) | instid1(VALU_DEP_1)
	v_mov_b32_e32 v29, v32
	v_add_nc_u64_e32 v[10:11], v[30:31], v[28:29]
	s_delay_alu instid0(VALU_DEP_1) | instskip(NEXT) | instid1(VALU_DEP_1)
	v_add_nc_u64_e32 v[30:31], v[32:33], v[10:11]
	v_mov_b32_e32 v29, v31
; %bb.89:
	s_or_b32 exec_lo, exec_lo, s1
	ds_swizzle_b32 v28, v10 offset:swizzle(BROADCAST,32,15)
	ds_swizzle_b32 v33, v29 offset:swizzle(BROADCAST,32,15)
	v_and_b32_e32 v11, 16, v27
	s_mov_b32 s1, exec_lo
	s_delay_alu instid0(VALU_DEP_1)
	v_cmpx_ne_u32_e32 0, v11
	s_cbranch_execz .LBB84_91
; %bb.90:
	v_mov_b32_e32 v32, 0
	s_delay_alu instid0(VALU_DEP_1) | instskip(SKIP_1) | instid1(VALU_DEP_1)
	v_mov_b32_e32 v29, v32
	s_wait_dscnt 0x1
	v_add_nc_u64_e32 v[10:11], v[30:31], v[28:29]
	s_wait_dscnt 0x0
	s_delay_alu instid0(VALU_DEP_1) | instskip(NEXT) | instid1(VALU_DEP_1)
	v_add_nc_u64_e32 v[28:29], v[32:33], v[10:11]
	v_mov_b64_e32 v[30:31], v[28:29]
.LBB84_91:
	s_or_b32 exec_lo, exec_lo, s1
	s_wait_dscnt 0x1
	v_dual_lshrrev_b32 v11, 5, v0 :: v_dual_bitop2_b32 v28, 31, v0 bitop3:0x54
	s_mov_b32 s1, exec_lo
	s_delay_alu instid0(VALU_DEP_1)
	v_cmpx_eq_u32_e64 v0, v28
; %bb.92:
	s_delay_alu instid0(VALU_DEP_2)
	v_lshlrev_b32_e32 v28, 3, v11
	ds_store_b64 v28, v[30:31]
; %bb.93:
	s_or_b32 exec_lo, exec_lo, s1
	s_delay_alu instid0(SALU_CYCLE_1)
	s_mov_b32 s1, exec_lo
	s_wait_dscnt 0x0
	s_barrier_signal -1
	s_barrier_wait -1
	v_cmpx_gt_u32_e32 8, v0
	s_cbranch_execz .LBB84_101
; %bb.94:
	v_mad_i32_i24 v28, 0xffffffd8, v0, v1
	s_mov_b32 s2, exec_lo
	ds_load_b64 v[30:31], v28
	s_wait_dscnt 0x0
	v_dual_mov_b32 v32, v30 :: v_dual_bitop2_b32 v28, 7, v27 bitop3:0x40
	v_mov_b32_dpp v34, v30 row_shr:1 row_mask:0xf bank_mask:0xf
	v_mov_b32_dpp v37, v31 row_shr:1 row_mask:0xf bank_mask:0xf
	s_delay_alu instid0(VALU_DEP_3)
	v_cmpx_ne_u32_e32 0, v28
; %bb.95:
	v_mov_b32_e32 v36, 0
	s_delay_alu instid0(VALU_DEP_1) | instskip(NEXT) | instid1(VALU_DEP_1)
	v_mov_b32_e32 v35, v36
	v_add_nc_u64_e32 v[32:33], v[30:31], v[34:35]
	s_delay_alu instid0(VALU_DEP_1)
	v_add_nc_u64_e32 v[30:31], v[36:37], v[32:33]
; %bb.96:
	s_or_b32 exec_lo, exec_lo, s2
	v_mov_b32_dpp v34, v32 row_shr:2 row_mask:0xf bank_mask:0xf
	s_delay_alu instid0(VALU_DEP_2)
	v_mov_b32_dpp v37, v31 row_shr:2 row_mask:0xf bank_mask:0xf
	s_mov_b32 s2, exec_lo
	v_cmpx_lt_u32_e32 1, v28
; %bb.97:
	v_mov_b32_e32 v36, 0
	s_delay_alu instid0(VALU_DEP_1) | instskip(NEXT) | instid1(VALU_DEP_1)
	v_mov_b32_e32 v35, v36
	v_add_nc_u64_e32 v[32:33], v[30:31], v[34:35]
	s_delay_alu instid0(VALU_DEP_1)
	v_add_nc_u64_e32 v[30:31], v[36:37], v[32:33]
; %bb.98:
	s_or_b32 exec_lo, exec_lo, s2
	v_mul_i32_i24_e32 v36, 0xffffffd8, v0
	v_mov_b32_dpp v32, v32 row_shr:4 row_mask:0xf bank_mask:0xf
	s_delay_alu instid0(VALU_DEP_3)
	v_mov_b32_dpp v35, v31 row_shr:4 row_mask:0xf bank_mask:0xf
	s_mov_b32 s2, exec_lo
	v_cmpx_lt_u32_e32 3, v28
; %bb.99:
	v_mov_b32_e32 v34, 0
	s_delay_alu instid0(VALU_DEP_1) | instskip(NEXT) | instid1(VALU_DEP_1)
	v_mov_b32_e32 v33, v34
	v_add_nc_u64_e32 v[30:31], v[30:31], v[32:33]
	s_delay_alu instid0(VALU_DEP_1)
	v_add_nc_u64_e32 v[30:31], v[30:31], v[34:35]
; %bb.100:
	s_or_b32 exec_lo, exec_lo, s2
	v_add_nc_u32_e32 v28, v1, v36
	ds_store_b64 v28, v[30:31]
.LBB84_101:
	s_or_b32 exec_lo, exec_lo, s1
	s_delay_alu instid0(SALU_CYCLE_1)
	s_mov_b32 s1, exec_lo
	s_wait_dscnt 0x0
	s_barrier_signal -1
	s_barrier_wait -1
                                        ; implicit-def: $vgpr30_vgpr31
	v_cmpx_lt_u32_e32 31, v0
	s_cbranch_execz .LBB84_103
; %bb.102:
	v_lshl_add_u32 v11, v11, 3, -8
	ds_load_b64 v[30:31], v11
	v_mov_b32_e32 v11, v29
	s_wait_dscnt 0x0
	s_delay_alu instid0(VALU_DEP_1) | instskip(NEXT) | instid1(VALU_DEP_1)
	v_add_nc_u64_e32 v[28:29], v[10:11], v[30:31]
	v_mov_b32_e32 v10, v28
.LBB84_103:
	s_or_b32 exec_lo, exec_lo, s1
	v_add_nc_u32_e32 v11, -1, v27
	s_delay_alu instid0(VALU_DEP_1) | instskip(NEXT) | instid1(VALU_DEP_1)
	v_cmp_gt_i32_e64 s0, 0, v11
	v_cndmask_b32_e64 v11, v11, v27, s0
	s_delay_alu instid0(VALU_DEP_1)
	v_lshlrev_b32_e32 v11, 2, v11
	ds_bpermute_b32 v10, v11, v10
	ds_bpermute_b32 v11, v11, v29
	s_and_saveexec_b32 s0, vcc_lo
	s_cbranch_execz .LBB84_105
; %bb.104:
	v_cmp_eq_u32_e32 vcc_lo, 0, v27
	;;#ASMSTART
	;;#ASMEND
	s_wait_dscnt 0x0
	v_dual_cndmask_b32 v11, v11, v31 :: v_dual_cndmask_b32 v10, v10, v30
	s_delay_alu instid0(VALU_DEP_1) | instskip(NEXT) | instid1(VALU_DEP_1)
	v_add_nc_u64_e32 v[14:15], v[10:11], v[14:15]
	v_add_nc_u64_e32 v[16:17], v[14:15], v[12:13]
	s_delay_alu instid0(VALU_DEP_1) | instskip(NEXT) | instid1(VALU_DEP_1)
	v_add_nc_u64_e32 v[22:23], v[16:17], v[6:7]
	v_add_nc_u64_e32 v[24:25], v[22:23], v[8:9]
	;; [unrolled: 3-line block ×3, first 2 shown]
.LBB84_105:
	s_or_b32 exec_lo, exec_lo, s0
	s_delay_alu instid0(SALU_CYCLE_1)
	s_mov_b32 s0, exec_lo
	v_cmpx_eq_u32_e32 0xff, v0
	s_cbranch_execz .LBB84_107
; %bb.106:
	s_add_nc_u64 s[2:3], s[12:13], 0x200
	v_dual_mov_b32 v4, 2 :: v_dual_mov_b32 v5, 0
	v_dual_mov_b32 v2, v20 :: v_dual_mov_b32 v3, v21
	v_mov_b64_e32 v[6:7], s[2:3]
	;;#ASMSTART
	global_store_b128 v[6:7], v[2:5] off scope:SCOPE_DEV	
s_wait_storecnt 0x0
	;;#ASMEND
.LBB84_107:
	s_or_b32 exec_lo, exec_lo, s0
.LBB84_108:
	s_wait_xcnt 0x0
	s_add_nc_u64 s[0:1], s[16:17], s[20:21]
	s_and_b32 vcc_lo, exec_lo, s26
	s_add_nc_u64 s[0:1], s[0:1], s[22:23]
	s_mov_b32 s2, -1
	s_wait_dscnt 0x0
	s_barrier_signal -1
	s_barrier_wait -1
	s_cbranch_vccz .LBB84_110
; %bb.109:
	ds_store_b128 v1, v[14:17]
	ds_store_b128 v1, v[22:25] offset:16
	ds_store_b128 v1, v[18:21] offset:32
	s_wait_dscnt 0x0
	s_barrier_signal -1
	s_barrier_wait -1
	ds_load_2addr_stride64_b64 v[2:5], v26 offset1:4
	ds_load_2addr_stride64_b64 v[6:9], v26 offset0:8 offset1:12
	ds_load_2addr_stride64_b64 v[10:13], v26 offset0:16 offset1:20
	s_mov_b32 s2, 0
	s_wait_dscnt 0x2
	s_clause 0x1
	global_store_b64 v0, v[2:3], s[0:1] scale_offset
	global_store_b64 v0, v[4:5], s[0:1] offset:2048 scale_offset
	s_wait_dscnt 0x1
	s_clause 0x1
	global_store_b64 v0, v[6:7], s[0:1] offset:4096 scale_offset
	global_store_b64 v0, v[8:9], s[0:1] offset:6144 scale_offset
	s_wait_dscnt 0x0
	s_clause 0x1
	global_store_b64 v0, v[10:11], s[0:1] offset:8192 scale_offset
	global_store_b64 v0, v[12:13], s[0:1] offset:10240 scale_offset
.LBB84_110:
	s_and_not1_b32 vcc_lo, exec_lo, s2
	s_cbranch_vccnz .LBB84_143
; %bb.111:
	ds_store_b128 v1, v[14:17]
	ds_store_b128 v1, v[22:25] offset:16
	ds_store_b128 v1, v[18:21] offset:32
	s_wait_storecnt_dscnt 0x0
	s_barrier_signal -1
	s_barrier_wait -1
	s_wait_xcnt 0x4
	ds_load_2addr_stride64_b64 v[2:5], v26 offset1:4
	s_wait_xcnt 0x2
	ds_load_2addr_stride64_b64 v[6:9], v26 offset0:8 offset1:12
	s_wait_xcnt 0x0
	ds_load_2addr_stride64_b64 v[10:13], v26 offset0:16 offset1:20
	v_mov_b32_e32 v27, 0
	s_delay_alu instid0(VALU_DEP_1)
	v_add_nc_u64_e32 v[14:15], s[0:1], v[26:27]
	s_mov_b32 s0, exec_lo
	v_cmpx_gt_u32_e64 s18, v0
	s_cbranch_execz .LBB84_113
; %bb.112:
	s_wait_dscnt 0x2
	global_store_b64 v[14:15], v[2:3], off
.LBB84_113:
	s_wait_xcnt 0x0
	s_or_b32 exec_lo, exec_lo, s0
	v_or_b32_e32 v1, 0x100, v0
	s_mov_b32 s0, exec_lo
	s_delay_alu instid0(VALU_DEP_1)
	v_cmpx_gt_u32_e64 s18, v1
	s_cbranch_execz .LBB84_115
; %bb.114:
	s_wait_dscnt 0x2
	global_store_b64 v[14:15], v[4:5], off offset:2048
.LBB84_115:
	s_wait_xcnt 0x0
	s_or_b32 exec_lo, exec_lo, s0
	v_or_b32_e32 v1, 0x200, v0
	s_mov_b32 s0, exec_lo
	s_delay_alu instid0(VALU_DEP_1)
	v_cmpx_gt_u32_e64 s18, v1
	s_cbranch_execz .LBB84_117
; %bb.116:
	s_wait_dscnt 0x1
	global_store_b64 v[14:15], v[6:7], off offset:4096
.LBB84_117:
	s_wait_xcnt 0x0
	s_or_b32 exec_lo, exec_lo, s0
	v_or_b32_e32 v1, 0x300, v0
	s_mov_b32 s0, exec_lo
	s_delay_alu instid0(VALU_DEP_1)
	v_cmpx_gt_u32_e64 s18, v1
	s_cbranch_execz .LBB84_119
; %bb.118:
	s_wait_dscnt 0x1
	global_store_b64 v[14:15], v[8:9], off offset:6144
.LBB84_119:
	s_wait_xcnt 0x0
	s_or_b32 exec_lo, exec_lo, s0
	v_or_b32_e32 v1, 0x400, v0
	s_mov_b32 s0, exec_lo
	s_delay_alu instid0(VALU_DEP_1)
	v_cmpx_gt_u32_e64 s18, v1
	s_cbranch_execz .LBB84_121
; %bb.120:
	s_wait_dscnt 0x0
	global_store_b64 v[14:15], v[10:11], off offset:8192
.LBB84_121:
	s_wait_xcnt 0x0
	s_or_b32 exec_lo, exec_lo, s0
	v_or_b32_e32 v1, 0x500, v0
	s_mov_b32 s0, exec_lo
	s_delay_alu instid0(VALU_DEP_1)
	v_cmpx_gt_u32_e64 s18, v1
	s_cbranch_execz .LBB84_123
; %bb.122:
	s_wait_dscnt 0x0
	global_store_b64 v[14:15], v[12:13], off offset:10240
.LBB84_123:
	s_wait_xcnt 0x0
	s_or_b32 exec_lo, exec_lo, s0
	s_wait_kmcnt 0x0
	v_cmp_lt_u64_e64 s0, s[10:11], 2
	s_and_b32 vcc_lo, exec_lo, s0
	s_cbranch_vccnz .LBB84_143
; %bb.124:
	s_add_nc_u64 s[0:1], s[18:19], -1
	s_mov_b64 s[4:5], 0xffffffff
	s_mov_b64 s[8:9], 0xaaaaaaab
	s_and_b64 s[4:5], s[0:1], s[4:5]
	s_mov_b32 s3, 0
	s_mov_b32 s2, s1
	s_mul_u64 s[10:11], s[4:5], s[8:9]
	s_mul_u64 s[8:9], s[2:3], s[8:9]
	s_mov_b32 s10, s11
	s_mov_b32 s11, s3
	s_mov_b64 s[12:13], 0xaaaaaaaa
	s_add_nc_u64 s[8:9], s[8:9], s[10:11]
	s_mul_u64 s[4:5], s[4:5], s[12:13]
	s_mov_b32 s10, s9
	s_mov_b32 s9, s3
	v_mov_b32_e32 v1, v27
	s_add_nc_u64 s[4:5], s[4:5], s[8:9]
	s_delay_alu instid0(SALU_CYCLE_1) | instskip(SKIP_3) | instid1(SALU_CYCLE_1)
	s_mov_b32 s4, s5
	s_mov_b32 s5, s3
	s_mul_u64 s[2:3], s[2:3], s[12:13]
	s_add_nc_u64 s[4:5], s[10:11], s[4:5]
	s_add_nc_u64 s[2:3], s[2:3], s[4:5]
	s_delay_alu instid0(SALU_CYCLE_1) | instskip(NEXT) | instid1(SALU_CYCLE_1)
	s_lshr_b64 s[2:3], s[2:3], 2
	v_cmp_eq_u64_e32 vcc_lo, s[2:3], v[0:1]
	s_and_saveexec_b32 s2, vcc_lo
	s_cbranch_execz .LBB84_143
; %bb.125:
	v_mul_hi_u32_u24_e32 v1, 6, v0
	v_mul_u32_u24_e32 v0, 6, v0
	s_delay_alu instid0(VALU_DEP_1) | instskip(SKIP_1) | instid1(VALU_DEP_1)
	v_sub_nc_u64_e32 v[0:1], s[0:1], v[0:1]
	s_mov_b32 s0, exec_lo
	v_cmpx_lt_i64_e32 2, v[0:1]
	s_xor_b32 s0, exec_lo, s0
	s_cbranch_execz .LBB84_135
; %bb.126:
	s_mov_b32 s1, exec_lo
	v_cmpx_lt_i64_e32 3, v[0:1]
	s_xor_b32 s1, exec_lo, s1
	s_cbranch_execz .LBB84_132
; %bb.127:
	;; [unrolled: 5-line block ×3, first 2 shown]
	v_mov_b32_e32 v0, 0
	s_wait_dscnt 0x0
	global_store_b64 v0, v[12:13], s[6:7]
                                        ; implicit-def: $vgpr10_vgpr11_vgpr12_vgpr13
.LBB84_129:
	s_wait_xcnt 0x0
	s_and_not1_saveexec_b32 s2, s2
	s_cbranch_execz .LBB84_131
; %bb.130:
	v_mov_b32_e32 v0, 0
	s_wait_dscnt 0x0
	global_store_b64 v0, v[10:11], s[6:7]
.LBB84_131:
	s_wait_xcnt 0x0
	s_or_b32 exec_lo, exec_lo, s2
                                        ; implicit-def: $vgpr6_vgpr7_vgpr8_vgpr9
.LBB84_132:
	s_and_not1_saveexec_b32 s1, s1
	s_cbranch_execz .LBB84_134
; %bb.133:
	v_mov_b32_e32 v0, 0
	s_wait_dscnt 0x1
	global_store_b64 v0, v[8:9], s[6:7]
.LBB84_134:
	s_wait_xcnt 0x0
	s_or_b32 exec_lo, exec_lo, s1
                                        ; implicit-def: $vgpr0_vgpr1
                                        ; implicit-def: $vgpr6_vgpr7_vgpr8_vgpr9
                                        ; implicit-def: $vgpr2_vgpr3_vgpr4_vgpr5
.LBB84_135:
	s_and_not1_saveexec_b32 s0, s0
	s_cbranch_execz .LBB84_143
; %bb.136:
	s_mov_b32 s0, exec_lo
	v_cmpx_lt_i64_e32 1, v[0:1]
	s_xor_b32 s0, exec_lo, s0
	s_cbranch_execz .LBB84_138
; %bb.137:
	v_mov_b32_e32 v0, 0
                                        ; implicit-def: $vgpr2_vgpr3_vgpr4_vgpr5
	s_wait_dscnt 0x1
	global_store_b64 v0, v[6:7], s[6:7]
                                        ; implicit-def: $vgpr0_vgpr1
.LBB84_138:
	s_wait_xcnt 0x0
	s_and_not1_saveexec_b32 s0, s0
	s_cbranch_execz .LBB84_143
; %bb.139:
	s_mov_b32 s0, exec_lo
	v_cmpx_ne_u64_e32 1, v[0:1]
	s_xor_b32 s0, exec_lo, s0
	s_cbranch_execz .LBB84_141
; %bb.140:
	v_mov_b32_e32 v0, 0
	s_wait_dscnt 0x2
	global_store_b64 v0, v[2:3], s[6:7]
                                        ; implicit-def: $vgpr2_vgpr3_vgpr4_vgpr5
.LBB84_141:
	s_wait_xcnt 0x0
	s_and_not1_saveexec_b32 s0, s0
	s_cbranch_execz .LBB84_143
; %bb.142:
	v_mov_b32_e32 v0, 0
	s_wait_dscnt 0x2
	global_store_b64 v0, v[4:5], s[6:7]
.LBB84_143:
	s_endpgm
	.section	.rodata,"a",@progbits
	.p2align	6, 0x0
	.amdhsa_kernel _ZN7rocprim17ROCPRIM_400000_NS6detail17trampoline_kernelINS0_14default_configENS1_20scan_config_selectorIlEEZZNS1_9scan_implILNS1_25lookback_scan_determinismE0ELb0ELb0ES3_PlS8_lN6thrust23THRUST_200600_302600_NS4plusIvEElEEDaPvRmT3_T4_T5_mT6_P12ihipStream_tbENKUlT_T0_E_clISt17integral_constantIbLb0EESQ_EEDaSL_SM_EUlSL_E_NS1_11comp_targetILNS1_3genE0ELNS1_11target_archE4294967295ELNS1_3gpuE0ELNS1_3repE0EEENS1_30default_config_static_selectorELNS0_4arch9wavefront6targetE0EEEvT1_
		.amdhsa_group_segment_fixed_size 12288
		.amdhsa_private_segment_fixed_size 0
		.amdhsa_kernarg_size 104
		.amdhsa_user_sgpr_count 2
		.amdhsa_user_sgpr_dispatch_ptr 0
		.amdhsa_user_sgpr_queue_ptr 0
		.amdhsa_user_sgpr_kernarg_segment_ptr 1
		.amdhsa_user_sgpr_dispatch_id 0
		.amdhsa_user_sgpr_kernarg_preload_length 0
		.amdhsa_user_sgpr_kernarg_preload_offset 0
		.amdhsa_user_sgpr_private_segment_size 0
		.amdhsa_wavefront_size32 1
		.amdhsa_uses_dynamic_stack 0
		.amdhsa_enable_private_segment 0
		.amdhsa_system_sgpr_workgroup_id_x 1
		.amdhsa_system_sgpr_workgroup_id_y 0
		.amdhsa_system_sgpr_workgroup_id_z 0
		.amdhsa_system_sgpr_workgroup_info 0
		.amdhsa_system_vgpr_workitem_id 0
		.amdhsa_next_free_vgpr 46
		.amdhsa_next_free_sgpr 28
		.amdhsa_named_barrier_count 0
		.amdhsa_reserve_vcc 1
		.amdhsa_float_round_mode_32 0
		.amdhsa_float_round_mode_16_64 0
		.amdhsa_float_denorm_mode_32 3
		.amdhsa_float_denorm_mode_16_64 3
		.amdhsa_fp16_overflow 0
		.amdhsa_memory_ordered 1
		.amdhsa_forward_progress 1
		.amdhsa_inst_pref_size 39
		.amdhsa_round_robin_scheduling 0
		.amdhsa_exception_fp_ieee_invalid_op 0
		.amdhsa_exception_fp_denorm_src 0
		.amdhsa_exception_fp_ieee_div_zero 0
		.amdhsa_exception_fp_ieee_overflow 0
		.amdhsa_exception_fp_ieee_underflow 0
		.amdhsa_exception_fp_ieee_inexact 0
		.amdhsa_exception_int_div_zero 0
	.end_amdhsa_kernel
	.section	.text._ZN7rocprim17ROCPRIM_400000_NS6detail17trampoline_kernelINS0_14default_configENS1_20scan_config_selectorIlEEZZNS1_9scan_implILNS1_25lookback_scan_determinismE0ELb0ELb0ES3_PlS8_lN6thrust23THRUST_200600_302600_NS4plusIvEElEEDaPvRmT3_T4_T5_mT6_P12ihipStream_tbENKUlT_T0_E_clISt17integral_constantIbLb0EESQ_EEDaSL_SM_EUlSL_E_NS1_11comp_targetILNS1_3genE0ELNS1_11target_archE4294967295ELNS1_3gpuE0ELNS1_3repE0EEENS1_30default_config_static_selectorELNS0_4arch9wavefront6targetE0EEEvT1_,"axG",@progbits,_ZN7rocprim17ROCPRIM_400000_NS6detail17trampoline_kernelINS0_14default_configENS1_20scan_config_selectorIlEEZZNS1_9scan_implILNS1_25lookback_scan_determinismE0ELb0ELb0ES3_PlS8_lN6thrust23THRUST_200600_302600_NS4plusIvEElEEDaPvRmT3_T4_T5_mT6_P12ihipStream_tbENKUlT_T0_E_clISt17integral_constantIbLb0EESQ_EEDaSL_SM_EUlSL_E_NS1_11comp_targetILNS1_3genE0ELNS1_11target_archE4294967295ELNS1_3gpuE0ELNS1_3repE0EEENS1_30default_config_static_selectorELNS0_4arch9wavefront6targetE0EEEvT1_,comdat
.Lfunc_end84:
	.size	_ZN7rocprim17ROCPRIM_400000_NS6detail17trampoline_kernelINS0_14default_configENS1_20scan_config_selectorIlEEZZNS1_9scan_implILNS1_25lookback_scan_determinismE0ELb0ELb0ES3_PlS8_lN6thrust23THRUST_200600_302600_NS4plusIvEElEEDaPvRmT3_T4_T5_mT6_P12ihipStream_tbENKUlT_T0_E_clISt17integral_constantIbLb0EESQ_EEDaSL_SM_EUlSL_E_NS1_11comp_targetILNS1_3genE0ELNS1_11target_archE4294967295ELNS1_3gpuE0ELNS1_3repE0EEENS1_30default_config_static_selectorELNS0_4arch9wavefront6targetE0EEEvT1_, .Lfunc_end84-_ZN7rocprim17ROCPRIM_400000_NS6detail17trampoline_kernelINS0_14default_configENS1_20scan_config_selectorIlEEZZNS1_9scan_implILNS1_25lookback_scan_determinismE0ELb0ELb0ES3_PlS8_lN6thrust23THRUST_200600_302600_NS4plusIvEElEEDaPvRmT3_T4_T5_mT6_P12ihipStream_tbENKUlT_T0_E_clISt17integral_constantIbLb0EESQ_EEDaSL_SM_EUlSL_E_NS1_11comp_targetILNS1_3genE0ELNS1_11target_archE4294967295ELNS1_3gpuE0ELNS1_3repE0EEENS1_30default_config_static_selectorELNS0_4arch9wavefront6targetE0EEEvT1_
                                        ; -- End function
	.set _ZN7rocprim17ROCPRIM_400000_NS6detail17trampoline_kernelINS0_14default_configENS1_20scan_config_selectorIlEEZZNS1_9scan_implILNS1_25lookback_scan_determinismE0ELb0ELb0ES3_PlS8_lN6thrust23THRUST_200600_302600_NS4plusIvEElEEDaPvRmT3_T4_T5_mT6_P12ihipStream_tbENKUlT_T0_E_clISt17integral_constantIbLb0EESQ_EEDaSL_SM_EUlSL_E_NS1_11comp_targetILNS1_3genE0ELNS1_11target_archE4294967295ELNS1_3gpuE0ELNS1_3repE0EEENS1_30default_config_static_selectorELNS0_4arch9wavefront6targetE0EEEvT1_.num_vgpr, 46
	.set _ZN7rocprim17ROCPRIM_400000_NS6detail17trampoline_kernelINS0_14default_configENS1_20scan_config_selectorIlEEZZNS1_9scan_implILNS1_25lookback_scan_determinismE0ELb0ELb0ES3_PlS8_lN6thrust23THRUST_200600_302600_NS4plusIvEElEEDaPvRmT3_T4_T5_mT6_P12ihipStream_tbENKUlT_T0_E_clISt17integral_constantIbLb0EESQ_EEDaSL_SM_EUlSL_E_NS1_11comp_targetILNS1_3genE0ELNS1_11target_archE4294967295ELNS1_3gpuE0ELNS1_3repE0EEENS1_30default_config_static_selectorELNS0_4arch9wavefront6targetE0EEEvT1_.num_agpr, 0
	.set _ZN7rocprim17ROCPRIM_400000_NS6detail17trampoline_kernelINS0_14default_configENS1_20scan_config_selectorIlEEZZNS1_9scan_implILNS1_25lookback_scan_determinismE0ELb0ELb0ES3_PlS8_lN6thrust23THRUST_200600_302600_NS4plusIvEElEEDaPvRmT3_T4_T5_mT6_P12ihipStream_tbENKUlT_T0_E_clISt17integral_constantIbLb0EESQ_EEDaSL_SM_EUlSL_E_NS1_11comp_targetILNS1_3genE0ELNS1_11target_archE4294967295ELNS1_3gpuE0ELNS1_3repE0EEENS1_30default_config_static_selectorELNS0_4arch9wavefront6targetE0EEEvT1_.numbered_sgpr, 28
	.set _ZN7rocprim17ROCPRIM_400000_NS6detail17trampoline_kernelINS0_14default_configENS1_20scan_config_selectorIlEEZZNS1_9scan_implILNS1_25lookback_scan_determinismE0ELb0ELb0ES3_PlS8_lN6thrust23THRUST_200600_302600_NS4plusIvEElEEDaPvRmT3_T4_T5_mT6_P12ihipStream_tbENKUlT_T0_E_clISt17integral_constantIbLb0EESQ_EEDaSL_SM_EUlSL_E_NS1_11comp_targetILNS1_3genE0ELNS1_11target_archE4294967295ELNS1_3gpuE0ELNS1_3repE0EEENS1_30default_config_static_selectorELNS0_4arch9wavefront6targetE0EEEvT1_.num_named_barrier, 0
	.set _ZN7rocprim17ROCPRIM_400000_NS6detail17trampoline_kernelINS0_14default_configENS1_20scan_config_selectorIlEEZZNS1_9scan_implILNS1_25lookback_scan_determinismE0ELb0ELb0ES3_PlS8_lN6thrust23THRUST_200600_302600_NS4plusIvEElEEDaPvRmT3_T4_T5_mT6_P12ihipStream_tbENKUlT_T0_E_clISt17integral_constantIbLb0EESQ_EEDaSL_SM_EUlSL_E_NS1_11comp_targetILNS1_3genE0ELNS1_11target_archE4294967295ELNS1_3gpuE0ELNS1_3repE0EEENS1_30default_config_static_selectorELNS0_4arch9wavefront6targetE0EEEvT1_.private_seg_size, 0
	.set _ZN7rocprim17ROCPRIM_400000_NS6detail17trampoline_kernelINS0_14default_configENS1_20scan_config_selectorIlEEZZNS1_9scan_implILNS1_25lookback_scan_determinismE0ELb0ELb0ES3_PlS8_lN6thrust23THRUST_200600_302600_NS4plusIvEElEEDaPvRmT3_T4_T5_mT6_P12ihipStream_tbENKUlT_T0_E_clISt17integral_constantIbLb0EESQ_EEDaSL_SM_EUlSL_E_NS1_11comp_targetILNS1_3genE0ELNS1_11target_archE4294967295ELNS1_3gpuE0ELNS1_3repE0EEENS1_30default_config_static_selectorELNS0_4arch9wavefront6targetE0EEEvT1_.uses_vcc, 1
	.set _ZN7rocprim17ROCPRIM_400000_NS6detail17trampoline_kernelINS0_14default_configENS1_20scan_config_selectorIlEEZZNS1_9scan_implILNS1_25lookback_scan_determinismE0ELb0ELb0ES3_PlS8_lN6thrust23THRUST_200600_302600_NS4plusIvEElEEDaPvRmT3_T4_T5_mT6_P12ihipStream_tbENKUlT_T0_E_clISt17integral_constantIbLb0EESQ_EEDaSL_SM_EUlSL_E_NS1_11comp_targetILNS1_3genE0ELNS1_11target_archE4294967295ELNS1_3gpuE0ELNS1_3repE0EEENS1_30default_config_static_selectorELNS0_4arch9wavefront6targetE0EEEvT1_.uses_flat_scratch, 0
	.set _ZN7rocprim17ROCPRIM_400000_NS6detail17trampoline_kernelINS0_14default_configENS1_20scan_config_selectorIlEEZZNS1_9scan_implILNS1_25lookback_scan_determinismE0ELb0ELb0ES3_PlS8_lN6thrust23THRUST_200600_302600_NS4plusIvEElEEDaPvRmT3_T4_T5_mT6_P12ihipStream_tbENKUlT_T0_E_clISt17integral_constantIbLb0EESQ_EEDaSL_SM_EUlSL_E_NS1_11comp_targetILNS1_3genE0ELNS1_11target_archE4294967295ELNS1_3gpuE0ELNS1_3repE0EEENS1_30default_config_static_selectorELNS0_4arch9wavefront6targetE0EEEvT1_.has_dyn_sized_stack, 0
	.set _ZN7rocprim17ROCPRIM_400000_NS6detail17trampoline_kernelINS0_14default_configENS1_20scan_config_selectorIlEEZZNS1_9scan_implILNS1_25lookback_scan_determinismE0ELb0ELb0ES3_PlS8_lN6thrust23THRUST_200600_302600_NS4plusIvEElEEDaPvRmT3_T4_T5_mT6_P12ihipStream_tbENKUlT_T0_E_clISt17integral_constantIbLb0EESQ_EEDaSL_SM_EUlSL_E_NS1_11comp_targetILNS1_3genE0ELNS1_11target_archE4294967295ELNS1_3gpuE0ELNS1_3repE0EEENS1_30default_config_static_selectorELNS0_4arch9wavefront6targetE0EEEvT1_.has_recursion, 0
	.set _ZN7rocprim17ROCPRIM_400000_NS6detail17trampoline_kernelINS0_14default_configENS1_20scan_config_selectorIlEEZZNS1_9scan_implILNS1_25lookback_scan_determinismE0ELb0ELb0ES3_PlS8_lN6thrust23THRUST_200600_302600_NS4plusIvEElEEDaPvRmT3_T4_T5_mT6_P12ihipStream_tbENKUlT_T0_E_clISt17integral_constantIbLb0EESQ_EEDaSL_SM_EUlSL_E_NS1_11comp_targetILNS1_3genE0ELNS1_11target_archE4294967295ELNS1_3gpuE0ELNS1_3repE0EEENS1_30default_config_static_selectorELNS0_4arch9wavefront6targetE0EEEvT1_.has_indirect_call, 0
	.section	.AMDGPU.csdata,"",@progbits
; Kernel info:
; codeLenInByte = 4928
; TotalNumSgprs: 30
; NumVgprs: 46
; ScratchSize: 0
; MemoryBound: 0
; FloatMode: 240
; IeeeMode: 1
; LDSByteSize: 12288 bytes/workgroup (compile time only)
; SGPRBlocks: 0
; VGPRBlocks: 2
; NumSGPRsForWavesPerEU: 30
; NumVGPRsForWavesPerEU: 46
; NamedBarCnt: 0
; Occupancy: 16
; WaveLimiterHint : 1
; COMPUTE_PGM_RSRC2:SCRATCH_EN: 0
; COMPUTE_PGM_RSRC2:USER_SGPR: 2
; COMPUTE_PGM_RSRC2:TRAP_HANDLER: 0
; COMPUTE_PGM_RSRC2:TGID_X_EN: 1
; COMPUTE_PGM_RSRC2:TGID_Y_EN: 0
; COMPUTE_PGM_RSRC2:TGID_Z_EN: 0
; COMPUTE_PGM_RSRC2:TIDIG_COMP_CNT: 0
	.section	.text._ZN7rocprim17ROCPRIM_400000_NS6detail17trampoline_kernelINS0_14default_configENS1_20scan_config_selectorIlEEZZNS1_9scan_implILNS1_25lookback_scan_determinismE0ELb0ELb0ES3_PlS8_lN6thrust23THRUST_200600_302600_NS4plusIvEElEEDaPvRmT3_T4_T5_mT6_P12ihipStream_tbENKUlT_T0_E_clISt17integral_constantIbLb0EESQ_EEDaSL_SM_EUlSL_E_NS1_11comp_targetILNS1_3genE5ELNS1_11target_archE942ELNS1_3gpuE9ELNS1_3repE0EEENS1_30default_config_static_selectorELNS0_4arch9wavefront6targetE0EEEvT1_,"axG",@progbits,_ZN7rocprim17ROCPRIM_400000_NS6detail17trampoline_kernelINS0_14default_configENS1_20scan_config_selectorIlEEZZNS1_9scan_implILNS1_25lookback_scan_determinismE0ELb0ELb0ES3_PlS8_lN6thrust23THRUST_200600_302600_NS4plusIvEElEEDaPvRmT3_T4_T5_mT6_P12ihipStream_tbENKUlT_T0_E_clISt17integral_constantIbLb0EESQ_EEDaSL_SM_EUlSL_E_NS1_11comp_targetILNS1_3genE5ELNS1_11target_archE942ELNS1_3gpuE9ELNS1_3repE0EEENS1_30default_config_static_selectorELNS0_4arch9wavefront6targetE0EEEvT1_,comdat
	.protected	_ZN7rocprim17ROCPRIM_400000_NS6detail17trampoline_kernelINS0_14default_configENS1_20scan_config_selectorIlEEZZNS1_9scan_implILNS1_25lookback_scan_determinismE0ELb0ELb0ES3_PlS8_lN6thrust23THRUST_200600_302600_NS4plusIvEElEEDaPvRmT3_T4_T5_mT6_P12ihipStream_tbENKUlT_T0_E_clISt17integral_constantIbLb0EESQ_EEDaSL_SM_EUlSL_E_NS1_11comp_targetILNS1_3genE5ELNS1_11target_archE942ELNS1_3gpuE9ELNS1_3repE0EEENS1_30default_config_static_selectorELNS0_4arch9wavefront6targetE0EEEvT1_ ; -- Begin function _ZN7rocprim17ROCPRIM_400000_NS6detail17trampoline_kernelINS0_14default_configENS1_20scan_config_selectorIlEEZZNS1_9scan_implILNS1_25lookback_scan_determinismE0ELb0ELb0ES3_PlS8_lN6thrust23THRUST_200600_302600_NS4plusIvEElEEDaPvRmT3_T4_T5_mT6_P12ihipStream_tbENKUlT_T0_E_clISt17integral_constantIbLb0EESQ_EEDaSL_SM_EUlSL_E_NS1_11comp_targetILNS1_3genE5ELNS1_11target_archE942ELNS1_3gpuE9ELNS1_3repE0EEENS1_30default_config_static_selectorELNS0_4arch9wavefront6targetE0EEEvT1_
	.globl	_ZN7rocprim17ROCPRIM_400000_NS6detail17trampoline_kernelINS0_14default_configENS1_20scan_config_selectorIlEEZZNS1_9scan_implILNS1_25lookback_scan_determinismE0ELb0ELb0ES3_PlS8_lN6thrust23THRUST_200600_302600_NS4plusIvEElEEDaPvRmT3_T4_T5_mT6_P12ihipStream_tbENKUlT_T0_E_clISt17integral_constantIbLb0EESQ_EEDaSL_SM_EUlSL_E_NS1_11comp_targetILNS1_3genE5ELNS1_11target_archE942ELNS1_3gpuE9ELNS1_3repE0EEENS1_30default_config_static_selectorELNS0_4arch9wavefront6targetE0EEEvT1_
	.p2align	8
	.type	_ZN7rocprim17ROCPRIM_400000_NS6detail17trampoline_kernelINS0_14default_configENS1_20scan_config_selectorIlEEZZNS1_9scan_implILNS1_25lookback_scan_determinismE0ELb0ELb0ES3_PlS8_lN6thrust23THRUST_200600_302600_NS4plusIvEElEEDaPvRmT3_T4_T5_mT6_P12ihipStream_tbENKUlT_T0_E_clISt17integral_constantIbLb0EESQ_EEDaSL_SM_EUlSL_E_NS1_11comp_targetILNS1_3genE5ELNS1_11target_archE942ELNS1_3gpuE9ELNS1_3repE0EEENS1_30default_config_static_selectorELNS0_4arch9wavefront6targetE0EEEvT1_,@function
_ZN7rocprim17ROCPRIM_400000_NS6detail17trampoline_kernelINS0_14default_configENS1_20scan_config_selectorIlEEZZNS1_9scan_implILNS1_25lookback_scan_determinismE0ELb0ELb0ES3_PlS8_lN6thrust23THRUST_200600_302600_NS4plusIvEElEEDaPvRmT3_T4_T5_mT6_P12ihipStream_tbENKUlT_T0_E_clISt17integral_constantIbLb0EESQ_EEDaSL_SM_EUlSL_E_NS1_11comp_targetILNS1_3genE5ELNS1_11target_archE942ELNS1_3gpuE9ELNS1_3repE0EEENS1_30default_config_static_selectorELNS0_4arch9wavefront6targetE0EEEvT1_: ; @_ZN7rocprim17ROCPRIM_400000_NS6detail17trampoline_kernelINS0_14default_configENS1_20scan_config_selectorIlEEZZNS1_9scan_implILNS1_25lookback_scan_determinismE0ELb0ELb0ES3_PlS8_lN6thrust23THRUST_200600_302600_NS4plusIvEElEEDaPvRmT3_T4_T5_mT6_P12ihipStream_tbENKUlT_T0_E_clISt17integral_constantIbLb0EESQ_EEDaSL_SM_EUlSL_E_NS1_11comp_targetILNS1_3genE5ELNS1_11target_archE942ELNS1_3gpuE9ELNS1_3repE0EEENS1_30default_config_static_selectorELNS0_4arch9wavefront6targetE0EEEvT1_
; %bb.0:
	.section	.rodata,"a",@progbits
	.p2align	6, 0x0
	.amdhsa_kernel _ZN7rocprim17ROCPRIM_400000_NS6detail17trampoline_kernelINS0_14default_configENS1_20scan_config_selectorIlEEZZNS1_9scan_implILNS1_25lookback_scan_determinismE0ELb0ELb0ES3_PlS8_lN6thrust23THRUST_200600_302600_NS4plusIvEElEEDaPvRmT3_T4_T5_mT6_P12ihipStream_tbENKUlT_T0_E_clISt17integral_constantIbLb0EESQ_EEDaSL_SM_EUlSL_E_NS1_11comp_targetILNS1_3genE5ELNS1_11target_archE942ELNS1_3gpuE9ELNS1_3repE0EEENS1_30default_config_static_selectorELNS0_4arch9wavefront6targetE0EEEvT1_
		.amdhsa_group_segment_fixed_size 0
		.amdhsa_private_segment_fixed_size 0
		.amdhsa_kernarg_size 104
		.amdhsa_user_sgpr_count 2
		.amdhsa_user_sgpr_dispatch_ptr 0
		.amdhsa_user_sgpr_queue_ptr 0
		.amdhsa_user_sgpr_kernarg_segment_ptr 1
		.amdhsa_user_sgpr_dispatch_id 0
		.amdhsa_user_sgpr_kernarg_preload_length 0
		.amdhsa_user_sgpr_kernarg_preload_offset 0
		.amdhsa_user_sgpr_private_segment_size 0
		.amdhsa_wavefront_size32 1
		.amdhsa_uses_dynamic_stack 0
		.amdhsa_enable_private_segment 0
		.amdhsa_system_sgpr_workgroup_id_x 1
		.amdhsa_system_sgpr_workgroup_id_y 0
		.amdhsa_system_sgpr_workgroup_id_z 0
		.amdhsa_system_sgpr_workgroup_info 0
		.amdhsa_system_vgpr_workitem_id 0
		.amdhsa_next_free_vgpr 1
		.amdhsa_next_free_sgpr 1
		.amdhsa_named_barrier_count 0
		.amdhsa_reserve_vcc 0
		.amdhsa_float_round_mode_32 0
		.amdhsa_float_round_mode_16_64 0
		.amdhsa_float_denorm_mode_32 3
		.amdhsa_float_denorm_mode_16_64 3
		.amdhsa_fp16_overflow 0
		.amdhsa_memory_ordered 1
		.amdhsa_forward_progress 1
		.amdhsa_inst_pref_size 0
		.amdhsa_round_robin_scheduling 0
		.amdhsa_exception_fp_ieee_invalid_op 0
		.amdhsa_exception_fp_denorm_src 0
		.amdhsa_exception_fp_ieee_div_zero 0
		.amdhsa_exception_fp_ieee_overflow 0
		.amdhsa_exception_fp_ieee_underflow 0
		.amdhsa_exception_fp_ieee_inexact 0
		.amdhsa_exception_int_div_zero 0
	.end_amdhsa_kernel
	.section	.text._ZN7rocprim17ROCPRIM_400000_NS6detail17trampoline_kernelINS0_14default_configENS1_20scan_config_selectorIlEEZZNS1_9scan_implILNS1_25lookback_scan_determinismE0ELb0ELb0ES3_PlS8_lN6thrust23THRUST_200600_302600_NS4plusIvEElEEDaPvRmT3_T4_T5_mT6_P12ihipStream_tbENKUlT_T0_E_clISt17integral_constantIbLb0EESQ_EEDaSL_SM_EUlSL_E_NS1_11comp_targetILNS1_3genE5ELNS1_11target_archE942ELNS1_3gpuE9ELNS1_3repE0EEENS1_30default_config_static_selectorELNS0_4arch9wavefront6targetE0EEEvT1_,"axG",@progbits,_ZN7rocprim17ROCPRIM_400000_NS6detail17trampoline_kernelINS0_14default_configENS1_20scan_config_selectorIlEEZZNS1_9scan_implILNS1_25lookback_scan_determinismE0ELb0ELb0ES3_PlS8_lN6thrust23THRUST_200600_302600_NS4plusIvEElEEDaPvRmT3_T4_T5_mT6_P12ihipStream_tbENKUlT_T0_E_clISt17integral_constantIbLb0EESQ_EEDaSL_SM_EUlSL_E_NS1_11comp_targetILNS1_3genE5ELNS1_11target_archE942ELNS1_3gpuE9ELNS1_3repE0EEENS1_30default_config_static_selectorELNS0_4arch9wavefront6targetE0EEEvT1_,comdat
.Lfunc_end85:
	.size	_ZN7rocprim17ROCPRIM_400000_NS6detail17trampoline_kernelINS0_14default_configENS1_20scan_config_selectorIlEEZZNS1_9scan_implILNS1_25lookback_scan_determinismE0ELb0ELb0ES3_PlS8_lN6thrust23THRUST_200600_302600_NS4plusIvEElEEDaPvRmT3_T4_T5_mT6_P12ihipStream_tbENKUlT_T0_E_clISt17integral_constantIbLb0EESQ_EEDaSL_SM_EUlSL_E_NS1_11comp_targetILNS1_3genE5ELNS1_11target_archE942ELNS1_3gpuE9ELNS1_3repE0EEENS1_30default_config_static_selectorELNS0_4arch9wavefront6targetE0EEEvT1_, .Lfunc_end85-_ZN7rocprim17ROCPRIM_400000_NS6detail17trampoline_kernelINS0_14default_configENS1_20scan_config_selectorIlEEZZNS1_9scan_implILNS1_25lookback_scan_determinismE0ELb0ELb0ES3_PlS8_lN6thrust23THRUST_200600_302600_NS4plusIvEElEEDaPvRmT3_T4_T5_mT6_P12ihipStream_tbENKUlT_T0_E_clISt17integral_constantIbLb0EESQ_EEDaSL_SM_EUlSL_E_NS1_11comp_targetILNS1_3genE5ELNS1_11target_archE942ELNS1_3gpuE9ELNS1_3repE0EEENS1_30default_config_static_selectorELNS0_4arch9wavefront6targetE0EEEvT1_
                                        ; -- End function
	.set _ZN7rocprim17ROCPRIM_400000_NS6detail17trampoline_kernelINS0_14default_configENS1_20scan_config_selectorIlEEZZNS1_9scan_implILNS1_25lookback_scan_determinismE0ELb0ELb0ES3_PlS8_lN6thrust23THRUST_200600_302600_NS4plusIvEElEEDaPvRmT3_T4_T5_mT6_P12ihipStream_tbENKUlT_T0_E_clISt17integral_constantIbLb0EESQ_EEDaSL_SM_EUlSL_E_NS1_11comp_targetILNS1_3genE5ELNS1_11target_archE942ELNS1_3gpuE9ELNS1_3repE0EEENS1_30default_config_static_selectorELNS0_4arch9wavefront6targetE0EEEvT1_.num_vgpr, 0
	.set _ZN7rocprim17ROCPRIM_400000_NS6detail17trampoline_kernelINS0_14default_configENS1_20scan_config_selectorIlEEZZNS1_9scan_implILNS1_25lookback_scan_determinismE0ELb0ELb0ES3_PlS8_lN6thrust23THRUST_200600_302600_NS4plusIvEElEEDaPvRmT3_T4_T5_mT6_P12ihipStream_tbENKUlT_T0_E_clISt17integral_constantIbLb0EESQ_EEDaSL_SM_EUlSL_E_NS1_11comp_targetILNS1_3genE5ELNS1_11target_archE942ELNS1_3gpuE9ELNS1_3repE0EEENS1_30default_config_static_selectorELNS0_4arch9wavefront6targetE0EEEvT1_.num_agpr, 0
	.set _ZN7rocprim17ROCPRIM_400000_NS6detail17trampoline_kernelINS0_14default_configENS1_20scan_config_selectorIlEEZZNS1_9scan_implILNS1_25lookback_scan_determinismE0ELb0ELb0ES3_PlS8_lN6thrust23THRUST_200600_302600_NS4plusIvEElEEDaPvRmT3_T4_T5_mT6_P12ihipStream_tbENKUlT_T0_E_clISt17integral_constantIbLb0EESQ_EEDaSL_SM_EUlSL_E_NS1_11comp_targetILNS1_3genE5ELNS1_11target_archE942ELNS1_3gpuE9ELNS1_3repE0EEENS1_30default_config_static_selectorELNS0_4arch9wavefront6targetE0EEEvT1_.numbered_sgpr, 0
	.set _ZN7rocprim17ROCPRIM_400000_NS6detail17trampoline_kernelINS0_14default_configENS1_20scan_config_selectorIlEEZZNS1_9scan_implILNS1_25lookback_scan_determinismE0ELb0ELb0ES3_PlS8_lN6thrust23THRUST_200600_302600_NS4plusIvEElEEDaPvRmT3_T4_T5_mT6_P12ihipStream_tbENKUlT_T0_E_clISt17integral_constantIbLb0EESQ_EEDaSL_SM_EUlSL_E_NS1_11comp_targetILNS1_3genE5ELNS1_11target_archE942ELNS1_3gpuE9ELNS1_3repE0EEENS1_30default_config_static_selectorELNS0_4arch9wavefront6targetE0EEEvT1_.num_named_barrier, 0
	.set _ZN7rocprim17ROCPRIM_400000_NS6detail17trampoline_kernelINS0_14default_configENS1_20scan_config_selectorIlEEZZNS1_9scan_implILNS1_25lookback_scan_determinismE0ELb0ELb0ES3_PlS8_lN6thrust23THRUST_200600_302600_NS4plusIvEElEEDaPvRmT3_T4_T5_mT6_P12ihipStream_tbENKUlT_T0_E_clISt17integral_constantIbLb0EESQ_EEDaSL_SM_EUlSL_E_NS1_11comp_targetILNS1_3genE5ELNS1_11target_archE942ELNS1_3gpuE9ELNS1_3repE0EEENS1_30default_config_static_selectorELNS0_4arch9wavefront6targetE0EEEvT1_.private_seg_size, 0
	.set _ZN7rocprim17ROCPRIM_400000_NS6detail17trampoline_kernelINS0_14default_configENS1_20scan_config_selectorIlEEZZNS1_9scan_implILNS1_25lookback_scan_determinismE0ELb0ELb0ES3_PlS8_lN6thrust23THRUST_200600_302600_NS4plusIvEElEEDaPvRmT3_T4_T5_mT6_P12ihipStream_tbENKUlT_T0_E_clISt17integral_constantIbLb0EESQ_EEDaSL_SM_EUlSL_E_NS1_11comp_targetILNS1_3genE5ELNS1_11target_archE942ELNS1_3gpuE9ELNS1_3repE0EEENS1_30default_config_static_selectorELNS0_4arch9wavefront6targetE0EEEvT1_.uses_vcc, 0
	.set _ZN7rocprim17ROCPRIM_400000_NS6detail17trampoline_kernelINS0_14default_configENS1_20scan_config_selectorIlEEZZNS1_9scan_implILNS1_25lookback_scan_determinismE0ELb0ELb0ES3_PlS8_lN6thrust23THRUST_200600_302600_NS4plusIvEElEEDaPvRmT3_T4_T5_mT6_P12ihipStream_tbENKUlT_T0_E_clISt17integral_constantIbLb0EESQ_EEDaSL_SM_EUlSL_E_NS1_11comp_targetILNS1_3genE5ELNS1_11target_archE942ELNS1_3gpuE9ELNS1_3repE0EEENS1_30default_config_static_selectorELNS0_4arch9wavefront6targetE0EEEvT1_.uses_flat_scratch, 0
	.set _ZN7rocprim17ROCPRIM_400000_NS6detail17trampoline_kernelINS0_14default_configENS1_20scan_config_selectorIlEEZZNS1_9scan_implILNS1_25lookback_scan_determinismE0ELb0ELb0ES3_PlS8_lN6thrust23THRUST_200600_302600_NS4plusIvEElEEDaPvRmT3_T4_T5_mT6_P12ihipStream_tbENKUlT_T0_E_clISt17integral_constantIbLb0EESQ_EEDaSL_SM_EUlSL_E_NS1_11comp_targetILNS1_3genE5ELNS1_11target_archE942ELNS1_3gpuE9ELNS1_3repE0EEENS1_30default_config_static_selectorELNS0_4arch9wavefront6targetE0EEEvT1_.has_dyn_sized_stack, 0
	.set _ZN7rocprim17ROCPRIM_400000_NS6detail17trampoline_kernelINS0_14default_configENS1_20scan_config_selectorIlEEZZNS1_9scan_implILNS1_25lookback_scan_determinismE0ELb0ELb0ES3_PlS8_lN6thrust23THRUST_200600_302600_NS4plusIvEElEEDaPvRmT3_T4_T5_mT6_P12ihipStream_tbENKUlT_T0_E_clISt17integral_constantIbLb0EESQ_EEDaSL_SM_EUlSL_E_NS1_11comp_targetILNS1_3genE5ELNS1_11target_archE942ELNS1_3gpuE9ELNS1_3repE0EEENS1_30default_config_static_selectorELNS0_4arch9wavefront6targetE0EEEvT1_.has_recursion, 0
	.set _ZN7rocprim17ROCPRIM_400000_NS6detail17trampoline_kernelINS0_14default_configENS1_20scan_config_selectorIlEEZZNS1_9scan_implILNS1_25lookback_scan_determinismE0ELb0ELb0ES3_PlS8_lN6thrust23THRUST_200600_302600_NS4plusIvEElEEDaPvRmT3_T4_T5_mT6_P12ihipStream_tbENKUlT_T0_E_clISt17integral_constantIbLb0EESQ_EEDaSL_SM_EUlSL_E_NS1_11comp_targetILNS1_3genE5ELNS1_11target_archE942ELNS1_3gpuE9ELNS1_3repE0EEENS1_30default_config_static_selectorELNS0_4arch9wavefront6targetE0EEEvT1_.has_indirect_call, 0
	.section	.AMDGPU.csdata,"",@progbits
; Kernel info:
; codeLenInByte = 0
; TotalNumSgprs: 0
; NumVgprs: 0
; ScratchSize: 0
; MemoryBound: 0
; FloatMode: 240
; IeeeMode: 1
; LDSByteSize: 0 bytes/workgroup (compile time only)
; SGPRBlocks: 0
; VGPRBlocks: 0
; NumSGPRsForWavesPerEU: 1
; NumVGPRsForWavesPerEU: 1
; NamedBarCnt: 0
; Occupancy: 16
; WaveLimiterHint : 0
; COMPUTE_PGM_RSRC2:SCRATCH_EN: 0
; COMPUTE_PGM_RSRC2:USER_SGPR: 2
; COMPUTE_PGM_RSRC2:TRAP_HANDLER: 0
; COMPUTE_PGM_RSRC2:TGID_X_EN: 1
; COMPUTE_PGM_RSRC2:TGID_Y_EN: 0
; COMPUTE_PGM_RSRC2:TGID_Z_EN: 0
; COMPUTE_PGM_RSRC2:TIDIG_COMP_CNT: 0
	.section	.text._ZN7rocprim17ROCPRIM_400000_NS6detail17trampoline_kernelINS0_14default_configENS1_20scan_config_selectorIlEEZZNS1_9scan_implILNS1_25lookback_scan_determinismE0ELb0ELb0ES3_PlS8_lN6thrust23THRUST_200600_302600_NS4plusIvEElEEDaPvRmT3_T4_T5_mT6_P12ihipStream_tbENKUlT_T0_E_clISt17integral_constantIbLb0EESQ_EEDaSL_SM_EUlSL_E_NS1_11comp_targetILNS1_3genE4ELNS1_11target_archE910ELNS1_3gpuE8ELNS1_3repE0EEENS1_30default_config_static_selectorELNS0_4arch9wavefront6targetE0EEEvT1_,"axG",@progbits,_ZN7rocprim17ROCPRIM_400000_NS6detail17trampoline_kernelINS0_14default_configENS1_20scan_config_selectorIlEEZZNS1_9scan_implILNS1_25lookback_scan_determinismE0ELb0ELb0ES3_PlS8_lN6thrust23THRUST_200600_302600_NS4plusIvEElEEDaPvRmT3_T4_T5_mT6_P12ihipStream_tbENKUlT_T0_E_clISt17integral_constantIbLb0EESQ_EEDaSL_SM_EUlSL_E_NS1_11comp_targetILNS1_3genE4ELNS1_11target_archE910ELNS1_3gpuE8ELNS1_3repE0EEENS1_30default_config_static_selectorELNS0_4arch9wavefront6targetE0EEEvT1_,comdat
	.protected	_ZN7rocprim17ROCPRIM_400000_NS6detail17trampoline_kernelINS0_14default_configENS1_20scan_config_selectorIlEEZZNS1_9scan_implILNS1_25lookback_scan_determinismE0ELb0ELb0ES3_PlS8_lN6thrust23THRUST_200600_302600_NS4plusIvEElEEDaPvRmT3_T4_T5_mT6_P12ihipStream_tbENKUlT_T0_E_clISt17integral_constantIbLb0EESQ_EEDaSL_SM_EUlSL_E_NS1_11comp_targetILNS1_3genE4ELNS1_11target_archE910ELNS1_3gpuE8ELNS1_3repE0EEENS1_30default_config_static_selectorELNS0_4arch9wavefront6targetE0EEEvT1_ ; -- Begin function _ZN7rocprim17ROCPRIM_400000_NS6detail17trampoline_kernelINS0_14default_configENS1_20scan_config_selectorIlEEZZNS1_9scan_implILNS1_25lookback_scan_determinismE0ELb0ELb0ES3_PlS8_lN6thrust23THRUST_200600_302600_NS4plusIvEElEEDaPvRmT3_T4_T5_mT6_P12ihipStream_tbENKUlT_T0_E_clISt17integral_constantIbLb0EESQ_EEDaSL_SM_EUlSL_E_NS1_11comp_targetILNS1_3genE4ELNS1_11target_archE910ELNS1_3gpuE8ELNS1_3repE0EEENS1_30default_config_static_selectorELNS0_4arch9wavefront6targetE0EEEvT1_
	.globl	_ZN7rocprim17ROCPRIM_400000_NS6detail17trampoline_kernelINS0_14default_configENS1_20scan_config_selectorIlEEZZNS1_9scan_implILNS1_25lookback_scan_determinismE0ELb0ELb0ES3_PlS8_lN6thrust23THRUST_200600_302600_NS4plusIvEElEEDaPvRmT3_T4_T5_mT6_P12ihipStream_tbENKUlT_T0_E_clISt17integral_constantIbLb0EESQ_EEDaSL_SM_EUlSL_E_NS1_11comp_targetILNS1_3genE4ELNS1_11target_archE910ELNS1_3gpuE8ELNS1_3repE0EEENS1_30default_config_static_selectorELNS0_4arch9wavefront6targetE0EEEvT1_
	.p2align	8
	.type	_ZN7rocprim17ROCPRIM_400000_NS6detail17trampoline_kernelINS0_14default_configENS1_20scan_config_selectorIlEEZZNS1_9scan_implILNS1_25lookback_scan_determinismE0ELb0ELb0ES3_PlS8_lN6thrust23THRUST_200600_302600_NS4plusIvEElEEDaPvRmT3_T4_T5_mT6_P12ihipStream_tbENKUlT_T0_E_clISt17integral_constantIbLb0EESQ_EEDaSL_SM_EUlSL_E_NS1_11comp_targetILNS1_3genE4ELNS1_11target_archE910ELNS1_3gpuE8ELNS1_3repE0EEENS1_30default_config_static_selectorELNS0_4arch9wavefront6targetE0EEEvT1_,@function
_ZN7rocprim17ROCPRIM_400000_NS6detail17trampoline_kernelINS0_14default_configENS1_20scan_config_selectorIlEEZZNS1_9scan_implILNS1_25lookback_scan_determinismE0ELb0ELb0ES3_PlS8_lN6thrust23THRUST_200600_302600_NS4plusIvEElEEDaPvRmT3_T4_T5_mT6_P12ihipStream_tbENKUlT_T0_E_clISt17integral_constantIbLb0EESQ_EEDaSL_SM_EUlSL_E_NS1_11comp_targetILNS1_3genE4ELNS1_11target_archE910ELNS1_3gpuE8ELNS1_3repE0EEENS1_30default_config_static_selectorELNS0_4arch9wavefront6targetE0EEEvT1_: ; @_ZN7rocprim17ROCPRIM_400000_NS6detail17trampoline_kernelINS0_14default_configENS1_20scan_config_selectorIlEEZZNS1_9scan_implILNS1_25lookback_scan_determinismE0ELb0ELb0ES3_PlS8_lN6thrust23THRUST_200600_302600_NS4plusIvEElEEDaPvRmT3_T4_T5_mT6_P12ihipStream_tbENKUlT_T0_E_clISt17integral_constantIbLb0EESQ_EEDaSL_SM_EUlSL_E_NS1_11comp_targetILNS1_3genE4ELNS1_11target_archE910ELNS1_3gpuE8ELNS1_3repE0EEENS1_30default_config_static_selectorELNS0_4arch9wavefront6targetE0EEEvT1_
; %bb.0:
	.section	.rodata,"a",@progbits
	.p2align	6, 0x0
	.amdhsa_kernel _ZN7rocprim17ROCPRIM_400000_NS6detail17trampoline_kernelINS0_14default_configENS1_20scan_config_selectorIlEEZZNS1_9scan_implILNS1_25lookback_scan_determinismE0ELb0ELb0ES3_PlS8_lN6thrust23THRUST_200600_302600_NS4plusIvEElEEDaPvRmT3_T4_T5_mT6_P12ihipStream_tbENKUlT_T0_E_clISt17integral_constantIbLb0EESQ_EEDaSL_SM_EUlSL_E_NS1_11comp_targetILNS1_3genE4ELNS1_11target_archE910ELNS1_3gpuE8ELNS1_3repE0EEENS1_30default_config_static_selectorELNS0_4arch9wavefront6targetE0EEEvT1_
		.amdhsa_group_segment_fixed_size 0
		.amdhsa_private_segment_fixed_size 0
		.amdhsa_kernarg_size 104
		.amdhsa_user_sgpr_count 2
		.amdhsa_user_sgpr_dispatch_ptr 0
		.amdhsa_user_sgpr_queue_ptr 0
		.amdhsa_user_sgpr_kernarg_segment_ptr 1
		.amdhsa_user_sgpr_dispatch_id 0
		.amdhsa_user_sgpr_kernarg_preload_length 0
		.amdhsa_user_sgpr_kernarg_preload_offset 0
		.amdhsa_user_sgpr_private_segment_size 0
		.amdhsa_wavefront_size32 1
		.amdhsa_uses_dynamic_stack 0
		.amdhsa_enable_private_segment 0
		.amdhsa_system_sgpr_workgroup_id_x 1
		.amdhsa_system_sgpr_workgroup_id_y 0
		.amdhsa_system_sgpr_workgroup_id_z 0
		.amdhsa_system_sgpr_workgroup_info 0
		.amdhsa_system_vgpr_workitem_id 0
		.amdhsa_next_free_vgpr 1
		.amdhsa_next_free_sgpr 1
		.amdhsa_named_barrier_count 0
		.amdhsa_reserve_vcc 0
		.amdhsa_float_round_mode_32 0
		.amdhsa_float_round_mode_16_64 0
		.amdhsa_float_denorm_mode_32 3
		.amdhsa_float_denorm_mode_16_64 3
		.amdhsa_fp16_overflow 0
		.amdhsa_memory_ordered 1
		.amdhsa_forward_progress 1
		.amdhsa_inst_pref_size 0
		.amdhsa_round_robin_scheduling 0
		.amdhsa_exception_fp_ieee_invalid_op 0
		.amdhsa_exception_fp_denorm_src 0
		.amdhsa_exception_fp_ieee_div_zero 0
		.amdhsa_exception_fp_ieee_overflow 0
		.amdhsa_exception_fp_ieee_underflow 0
		.amdhsa_exception_fp_ieee_inexact 0
		.amdhsa_exception_int_div_zero 0
	.end_amdhsa_kernel
	.section	.text._ZN7rocprim17ROCPRIM_400000_NS6detail17trampoline_kernelINS0_14default_configENS1_20scan_config_selectorIlEEZZNS1_9scan_implILNS1_25lookback_scan_determinismE0ELb0ELb0ES3_PlS8_lN6thrust23THRUST_200600_302600_NS4plusIvEElEEDaPvRmT3_T4_T5_mT6_P12ihipStream_tbENKUlT_T0_E_clISt17integral_constantIbLb0EESQ_EEDaSL_SM_EUlSL_E_NS1_11comp_targetILNS1_3genE4ELNS1_11target_archE910ELNS1_3gpuE8ELNS1_3repE0EEENS1_30default_config_static_selectorELNS0_4arch9wavefront6targetE0EEEvT1_,"axG",@progbits,_ZN7rocprim17ROCPRIM_400000_NS6detail17trampoline_kernelINS0_14default_configENS1_20scan_config_selectorIlEEZZNS1_9scan_implILNS1_25lookback_scan_determinismE0ELb0ELb0ES3_PlS8_lN6thrust23THRUST_200600_302600_NS4plusIvEElEEDaPvRmT3_T4_T5_mT6_P12ihipStream_tbENKUlT_T0_E_clISt17integral_constantIbLb0EESQ_EEDaSL_SM_EUlSL_E_NS1_11comp_targetILNS1_3genE4ELNS1_11target_archE910ELNS1_3gpuE8ELNS1_3repE0EEENS1_30default_config_static_selectorELNS0_4arch9wavefront6targetE0EEEvT1_,comdat
.Lfunc_end86:
	.size	_ZN7rocprim17ROCPRIM_400000_NS6detail17trampoline_kernelINS0_14default_configENS1_20scan_config_selectorIlEEZZNS1_9scan_implILNS1_25lookback_scan_determinismE0ELb0ELb0ES3_PlS8_lN6thrust23THRUST_200600_302600_NS4plusIvEElEEDaPvRmT3_T4_T5_mT6_P12ihipStream_tbENKUlT_T0_E_clISt17integral_constantIbLb0EESQ_EEDaSL_SM_EUlSL_E_NS1_11comp_targetILNS1_3genE4ELNS1_11target_archE910ELNS1_3gpuE8ELNS1_3repE0EEENS1_30default_config_static_selectorELNS0_4arch9wavefront6targetE0EEEvT1_, .Lfunc_end86-_ZN7rocprim17ROCPRIM_400000_NS6detail17trampoline_kernelINS0_14default_configENS1_20scan_config_selectorIlEEZZNS1_9scan_implILNS1_25lookback_scan_determinismE0ELb0ELb0ES3_PlS8_lN6thrust23THRUST_200600_302600_NS4plusIvEElEEDaPvRmT3_T4_T5_mT6_P12ihipStream_tbENKUlT_T0_E_clISt17integral_constantIbLb0EESQ_EEDaSL_SM_EUlSL_E_NS1_11comp_targetILNS1_3genE4ELNS1_11target_archE910ELNS1_3gpuE8ELNS1_3repE0EEENS1_30default_config_static_selectorELNS0_4arch9wavefront6targetE0EEEvT1_
                                        ; -- End function
	.set _ZN7rocprim17ROCPRIM_400000_NS6detail17trampoline_kernelINS0_14default_configENS1_20scan_config_selectorIlEEZZNS1_9scan_implILNS1_25lookback_scan_determinismE0ELb0ELb0ES3_PlS8_lN6thrust23THRUST_200600_302600_NS4plusIvEElEEDaPvRmT3_T4_T5_mT6_P12ihipStream_tbENKUlT_T0_E_clISt17integral_constantIbLb0EESQ_EEDaSL_SM_EUlSL_E_NS1_11comp_targetILNS1_3genE4ELNS1_11target_archE910ELNS1_3gpuE8ELNS1_3repE0EEENS1_30default_config_static_selectorELNS0_4arch9wavefront6targetE0EEEvT1_.num_vgpr, 0
	.set _ZN7rocprim17ROCPRIM_400000_NS6detail17trampoline_kernelINS0_14default_configENS1_20scan_config_selectorIlEEZZNS1_9scan_implILNS1_25lookback_scan_determinismE0ELb0ELb0ES3_PlS8_lN6thrust23THRUST_200600_302600_NS4plusIvEElEEDaPvRmT3_T4_T5_mT6_P12ihipStream_tbENKUlT_T0_E_clISt17integral_constantIbLb0EESQ_EEDaSL_SM_EUlSL_E_NS1_11comp_targetILNS1_3genE4ELNS1_11target_archE910ELNS1_3gpuE8ELNS1_3repE0EEENS1_30default_config_static_selectorELNS0_4arch9wavefront6targetE0EEEvT1_.num_agpr, 0
	.set _ZN7rocprim17ROCPRIM_400000_NS6detail17trampoline_kernelINS0_14default_configENS1_20scan_config_selectorIlEEZZNS1_9scan_implILNS1_25lookback_scan_determinismE0ELb0ELb0ES3_PlS8_lN6thrust23THRUST_200600_302600_NS4plusIvEElEEDaPvRmT3_T4_T5_mT6_P12ihipStream_tbENKUlT_T0_E_clISt17integral_constantIbLb0EESQ_EEDaSL_SM_EUlSL_E_NS1_11comp_targetILNS1_3genE4ELNS1_11target_archE910ELNS1_3gpuE8ELNS1_3repE0EEENS1_30default_config_static_selectorELNS0_4arch9wavefront6targetE0EEEvT1_.numbered_sgpr, 0
	.set _ZN7rocprim17ROCPRIM_400000_NS6detail17trampoline_kernelINS0_14default_configENS1_20scan_config_selectorIlEEZZNS1_9scan_implILNS1_25lookback_scan_determinismE0ELb0ELb0ES3_PlS8_lN6thrust23THRUST_200600_302600_NS4plusIvEElEEDaPvRmT3_T4_T5_mT6_P12ihipStream_tbENKUlT_T0_E_clISt17integral_constantIbLb0EESQ_EEDaSL_SM_EUlSL_E_NS1_11comp_targetILNS1_3genE4ELNS1_11target_archE910ELNS1_3gpuE8ELNS1_3repE0EEENS1_30default_config_static_selectorELNS0_4arch9wavefront6targetE0EEEvT1_.num_named_barrier, 0
	.set _ZN7rocprim17ROCPRIM_400000_NS6detail17trampoline_kernelINS0_14default_configENS1_20scan_config_selectorIlEEZZNS1_9scan_implILNS1_25lookback_scan_determinismE0ELb0ELb0ES3_PlS8_lN6thrust23THRUST_200600_302600_NS4plusIvEElEEDaPvRmT3_T4_T5_mT6_P12ihipStream_tbENKUlT_T0_E_clISt17integral_constantIbLb0EESQ_EEDaSL_SM_EUlSL_E_NS1_11comp_targetILNS1_3genE4ELNS1_11target_archE910ELNS1_3gpuE8ELNS1_3repE0EEENS1_30default_config_static_selectorELNS0_4arch9wavefront6targetE0EEEvT1_.private_seg_size, 0
	.set _ZN7rocprim17ROCPRIM_400000_NS6detail17trampoline_kernelINS0_14default_configENS1_20scan_config_selectorIlEEZZNS1_9scan_implILNS1_25lookback_scan_determinismE0ELb0ELb0ES3_PlS8_lN6thrust23THRUST_200600_302600_NS4plusIvEElEEDaPvRmT3_T4_T5_mT6_P12ihipStream_tbENKUlT_T0_E_clISt17integral_constantIbLb0EESQ_EEDaSL_SM_EUlSL_E_NS1_11comp_targetILNS1_3genE4ELNS1_11target_archE910ELNS1_3gpuE8ELNS1_3repE0EEENS1_30default_config_static_selectorELNS0_4arch9wavefront6targetE0EEEvT1_.uses_vcc, 0
	.set _ZN7rocprim17ROCPRIM_400000_NS6detail17trampoline_kernelINS0_14default_configENS1_20scan_config_selectorIlEEZZNS1_9scan_implILNS1_25lookback_scan_determinismE0ELb0ELb0ES3_PlS8_lN6thrust23THRUST_200600_302600_NS4plusIvEElEEDaPvRmT3_T4_T5_mT6_P12ihipStream_tbENKUlT_T0_E_clISt17integral_constantIbLb0EESQ_EEDaSL_SM_EUlSL_E_NS1_11comp_targetILNS1_3genE4ELNS1_11target_archE910ELNS1_3gpuE8ELNS1_3repE0EEENS1_30default_config_static_selectorELNS0_4arch9wavefront6targetE0EEEvT1_.uses_flat_scratch, 0
	.set _ZN7rocprim17ROCPRIM_400000_NS6detail17trampoline_kernelINS0_14default_configENS1_20scan_config_selectorIlEEZZNS1_9scan_implILNS1_25lookback_scan_determinismE0ELb0ELb0ES3_PlS8_lN6thrust23THRUST_200600_302600_NS4plusIvEElEEDaPvRmT3_T4_T5_mT6_P12ihipStream_tbENKUlT_T0_E_clISt17integral_constantIbLb0EESQ_EEDaSL_SM_EUlSL_E_NS1_11comp_targetILNS1_3genE4ELNS1_11target_archE910ELNS1_3gpuE8ELNS1_3repE0EEENS1_30default_config_static_selectorELNS0_4arch9wavefront6targetE0EEEvT1_.has_dyn_sized_stack, 0
	.set _ZN7rocprim17ROCPRIM_400000_NS6detail17trampoline_kernelINS0_14default_configENS1_20scan_config_selectorIlEEZZNS1_9scan_implILNS1_25lookback_scan_determinismE0ELb0ELb0ES3_PlS8_lN6thrust23THRUST_200600_302600_NS4plusIvEElEEDaPvRmT3_T4_T5_mT6_P12ihipStream_tbENKUlT_T0_E_clISt17integral_constantIbLb0EESQ_EEDaSL_SM_EUlSL_E_NS1_11comp_targetILNS1_3genE4ELNS1_11target_archE910ELNS1_3gpuE8ELNS1_3repE0EEENS1_30default_config_static_selectorELNS0_4arch9wavefront6targetE0EEEvT1_.has_recursion, 0
	.set _ZN7rocprim17ROCPRIM_400000_NS6detail17trampoline_kernelINS0_14default_configENS1_20scan_config_selectorIlEEZZNS1_9scan_implILNS1_25lookback_scan_determinismE0ELb0ELb0ES3_PlS8_lN6thrust23THRUST_200600_302600_NS4plusIvEElEEDaPvRmT3_T4_T5_mT6_P12ihipStream_tbENKUlT_T0_E_clISt17integral_constantIbLb0EESQ_EEDaSL_SM_EUlSL_E_NS1_11comp_targetILNS1_3genE4ELNS1_11target_archE910ELNS1_3gpuE8ELNS1_3repE0EEENS1_30default_config_static_selectorELNS0_4arch9wavefront6targetE0EEEvT1_.has_indirect_call, 0
	.section	.AMDGPU.csdata,"",@progbits
; Kernel info:
; codeLenInByte = 0
; TotalNumSgprs: 0
; NumVgprs: 0
; ScratchSize: 0
; MemoryBound: 0
; FloatMode: 240
; IeeeMode: 1
; LDSByteSize: 0 bytes/workgroup (compile time only)
; SGPRBlocks: 0
; VGPRBlocks: 0
; NumSGPRsForWavesPerEU: 1
; NumVGPRsForWavesPerEU: 1
; NamedBarCnt: 0
; Occupancy: 16
; WaveLimiterHint : 0
; COMPUTE_PGM_RSRC2:SCRATCH_EN: 0
; COMPUTE_PGM_RSRC2:USER_SGPR: 2
; COMPUTE_PGM_RSRC2:TRAP_HANDLER: 0
; COMPUTE_PGM_RSRC2:TGID_X_EN: 1
; COMPUTE_PGM_RSRC2:TGID_Y_EN: 0
; COMPUTE_PGM_RSRC2:TGID_Z_EN: 0
; COMPUTE_PGM_RSRC2:TIDIG_COMP_CNT: 0
	.section	.text._ZN7rocprim17ROCPRIM_400000_NS6detail17trampoline_kernelINS0_14default_configENS1_20scan_config_selectorIlEEZZNS1_9scan_implILNS1_25lookback_scan_determinismE0ELb0ELb0ES3_PlS8_lN6thrust23THRUST_200600_302600_NS4plusIvEElEEDaPvRmT3_T4_T5_mT6_P12ihipStream_tbENKUlT_T0_E_clISt17integral_constantIbLb0EESQ_EEDaSL_SM_EUlSL_E_NS1_11comp_targetILNS1_3genE3ELNS1_11target_archE908ELNS1_3gpuE7ELNS1_3repE0EEENS1_30default_config_static_selectorELNS0_4arch9wavefront6targetE0EEEvT1_,"axG",@progbits,_ZN7rocprim17ROCPRIM_400000_NS6detail17trampoline_kernelINS0_14default_configENS1_20scan_config_selectorIlEEZZNS1_9scan_implILNS1_25lookback_scan_determinismE0ELb0ELb0ES3_PlS8_lN6thrust23THRUST_200600_302600_NS4plusIvEElEEDaPvRmT3_T4_T5_mT6_P12ihipStream_tbENKUlT_T0_E_clISt17integral_constantIbLb0EESQ_EEDaSL_SM_EUlSL_E_NS1_11comp_targetILNS1_3genE3ELNS1_11target_archE908ELNS1_3gpuE7ELNS1_3repE0EEENS1_30default_config_static_selectorELNS0_4arch9wavefront6targetE0EEEvT1_,comdat
	.protected	_ZN7rocprim17ROCPRIM_400000_NS6detail17trampoline_kernelINS0_14default_configENS1_20scan_config_selectorIlEEZZNS1_9scan_implILNS1_25lookback_scan_determinismE0ELb0ELb0ES3_PlS8_lN6thrust23THRUST_200600_302600_NS4plusIvEElEEDaPvRmT3_T4_T5_mT6_P12ihipStream_tbENKUlT_T0_E_clISt17integral_constantIbLb0EESQ_EEDaSL_SM_EUlSL_E_NS1_11comp_targetILNS1_3genE3ELNS1_11target_archE908ELNS1_3gpuE7ELNS1_3repE0EEENS1_30default_config_static_selectorELNS0_4arch9wavefront6targetE0EEEvT1_ ; -- Begin function _ZN7rocprim17ROCPRIM_400000_NS6detail17trampoline_kernelINS0_14default_configENS1_20scan_config_selectorIlEEZZNS1_9scan_implILNS1_25lookback_scan_determinismE0ELb0ELb0ES3_PlS8_lN6thrust23THRUST_200600_302600_NS4plusIvEElEEDaPvRmT3_T4_T5_mT6_P12ihipStream_tbENKUlT_T0_E_clISt17integral_constantIbLb0EESQ_EEDaSL_SM_EUlSL_E_NS1_11comp_targetILNS1_3genE3ELNS1_11target_archE908ELNS1_3gpuE7ELNS1_3repE0EEENS1_30default_config_static_selectorELNS0_4arch9wavefront6targetE0EEEvT1_
	.globl	_ZN7rocprim17ROCPRIM_400000_NS6detail17trampoline_kernelINS0_14default_configENS1_20scan_config_selectorIlEEZZNS1_9scan_implILNS1_25lookback_scan_determinismE0ELb0ELb0ES3_PlS8_lN6thrust23THRUST_200600_302600_NS4plusIvEElEEDaPvRmT3_T4_T5_mT6_P12ihipStream_tbENKUlT_T0_E_clISt17integral_constantIbLb0EESQ_EEDaSL_SM_EUlSL_E_NS1_11comp_targetILNS1_3genE3ELNS1_11target_archE908ELNS1_3gpuE7ELNS1_3repE0EEENS1_30default_config_static_selectorELNS0_4arch9wavefront6targetE0EEEvT1_
	.p2align	8
	.type	_ZN7rocprim17ROCPRIM_400000_NS6detail17trampoline_kernelINS0_14default_configENS1_20scan_config_selectorIlEEZZNS1_9scan_implILNS1_25lookback_scan_determinismE0ELb0ELb0ES3_PlS8_lN6thrust23THRUST_200600_302600_NS4plusIvEElEEDaPvRmT3_T4_T5_mT6_P12ihipStream_tbENKUlT_T0_E_clISt17integral_constantIbLb0EESQ_EEDaSL_SM_EUlSL_E_NS1_11comp_targetILNS1_3genE3ELNS1_11target_archE908ELNS1_3gpuE7ELNS1_3repE0EEENS1_30default_config_static_selectorELNS0_4arch9wavefront6targetE0EEEvT1_,@function
_ZN7rocprim17ROCPRIM_400000_NS6detail17trampoline_kernelINS0_14default_configENS1_20scan_config_selectorIlEEZZNS1_9scan_implILNS1_25lookback_scan_determinismE0ELb0ELb0ES3_PlS8_lN6thrust23THRUST_200600_302600_NS4plusIvEElEEDaPvRmT3_T4_T5_mT6_P12ihipStream_tbENKUlT_T0_E_clISt17integral_constantIbLb0EESQ_EEDaSL_SM_EUlSL_E_NS1_11comp_targetILNS1_3genE3ELNS1_11target_archE908ELNS1_3gpuE7ELNS1_3repE0EEENS1_30default_config_static_selectorELNS0_4arch9wavefront6targetE0EEEvT1_: ; @_ZN7rocprim17ROCPRIM_400000_NS6detail17trampoline_kernelINS0_14default_configENS1_20scan_config_selectorIlEEZZNS1_9scan_implILNS1_25lookback_scan_determinismE0ELb0ELb0ES3_PlS8_lN6thrust23THRUST_200600_302600_NS4plusIvEElEEDaPvRmT3_T4_T5_mT6_P12ihipStream_tbENKUlT_T0_E_clISt17integral_constantIbLb0EESQ_EEDaSL_SM_EUlSL_E_NS1_11comp_targetILNS1_3genE3ELNS1_11target_archE908ELNS1_3gpuE7ELNS1_3repE0EEENS1_30default_config_static_selectorELNS0_4arch9wavefront6targetE0EEEvT1_
; %bb.0:
	.section	.rodata,"a",@progbits
	.p2align	6, 0x0
	.amdhsa_kernel _ZN7rocprim17ROCPRIM_400000_NS6detail17trampoline_kernelINS0_14default_configENS1_20scan_config_selectorIlEEZZNS1_9scan_implILNS1_25lookback_scan_determinismE0ELb0ELb0ES3_PlS8_lN6thrust23THRUST_200600_302600_NS4plusIvEElEEDaPvRmT3_T4_T5_mT6_P12ihipStream_tbENKUlT_T0_E_clISt17integral_constantIbLb0EESQ_EEDaSL_SM_EUlSL_E_NS1_11comp_targetILNS1_3genE3ELNS1_11target_archE908ELNS1_3gpuE7ELNS1_3repE0EEENS1_30default_config_static_selectorELNS0_4arch9wavefront6targetE0EEEvT1_
		.amdhsa_group_segment_fixed_size 0
		.amdhsa_private_segment_fixed_size 0
		.amdhsa_kernarg_size 104
		.amdhsa_user_sgpr_count 2
		.amdhsa_user_sgpr_dispatch_ptr 0
		.amdhsa_user_sgpr_queue_ptr 0
		.amdhsa_user_sgpr_kernarg_segment_ptr 1
		.amdhsa_user_sgpr_dispatch_id 0
		.amdhsa_user_sgpr_kernarg_preload_length 0
		.amdhsa_user_sgpr_kernarg_preload_offset 0
		.amdhsa_user_sgpr_private_segment_size 0
		.amdhsa_wavefront_size32 1
		.amdhsa_uses_dynamic_stack 0
		.amdhsa_enable_private_segment 0
		.amdhsa_system_sgpr_workgroup_id_x 1
		.amdhsa_system_sgpr_workgroup_id_y 0
		.amdhsa_system_sgpr_workgroup_id_z 0
		.amdhsa_system_sgpr_workgroup_info 0
		.amdhsa_system_vgpr_workitem_id 0
		.amdhsa_next_free_vgpr 1
		.amdhsa_next_free_sgpr 1
		.amdhsa_named_barrier_count 0
		.amdhsa_reserve_vcc 0
		.amdhsa_float_round_mode_32 0
		.amdhsa_float_round_mode_16_64 0
		.amdhsa_float_denorm_mode_32 3
		.amdhsa_float_denorm_mode_16_64 3
		.amdhsa_fp16_overflow 0
		.amdhsa_memory_ordered 1
		.amdhsa_forward_progress 1
		.amdhsa_inst_pref_size 0
		.amdhsa_round_robin_scheduling 0
		.amdhsa_exception_fp_ieee_invalid_op 0
		.amdhsa_exception_fp_denorm_src 0
		.amdhsa_exception_fp_ieee_div_zero 0
		.amdhsa_exception_fp_ieee_overflow 0
		.amdhsa_exception_fp_ieee_underflow 0
		.amdhsa_exception_fp_ieee_inexact 0
		.amdhsa_exception_int_div_zero 0
	.end_amdhsa_kernel
	.section	.text._ZN7rocprim17ROCPRIM_400000_NS6detail17trampoline_kernelINS0_14default_configENS1_20scan_config_selectorIlEEZZNS1_9scan_implILNS1_25lookback_scan_determinismE0ELb0ELb0ES3_PlS8_lN6thrust23THRUST_200600_302600_NS4plusIvEElEEDaPvRmT3_T4_T5_mT6_P12ihipStream_tbENKUlT_T0_E_clISt17integral_constantIbLb0EESQ_EEDaSL_SM_EUlSL_E_NS1_11comp_targetILNS1_3genE3ELNS1_11target_archE908ELNS1_3gpuE7ELNS1_3repE0EEENS1_30default_config_static_selectorELNS0_4arch9wavefront6targetE0EEEvT1_,"axG",@progbits,_ZN7rocprim17ROCPRIM_400000_NS6detail17trampoline_kernelINS0_14default_configENS1_20scan_config_selectorIlEEZZNS1_9scan_implILNS1_25lookback_scan_determinismE0ELb0ELb0ES3_PlS8_lN6thrust23THRUST_200600_302600_NS4plusIvEElEEDaPvRmT3_T4_T5_mT6_P12ihipStream_tbENKUlT_T0_E_clISt17integral_constantIbLb0EESQ_EEDaSL_SM_EUlSL_E_NS1_11comp_targetILNS1_3genE3ELNS1_11target_archE908ELNS1_3gpuE7ELNS1_3repE0EEENS1_30default_config_static_selectorELNS0_4arch9wavefront6targetE0EEEvT1_,comdat
.Lfunc_end87:
	.size	_ZN7rocprim17ROCPRIM_400000_NS6detail17trampoline_kernelINS0_14default_configENS1_20scan_config_selectorIlEEZZNS1_9scan_implILNS1_25lookback_scan_determinismE0ELb0ELb0ES3_PlS8_lN6thrust23THRUST_200600_302600_NS4plusIvEElEEDaPvRmT3_T4_T5_mT6_P12ihipStream_tbENKUlT_T0_E_clISt17integral_constantIbLb0EESQ_EEDaSL_SM_EUlSL_E_NS1_11comp_targetILNS1_3genE3ELNS1_11target_archE908ELNS1_3gpuE7ELNS1_3repE0EEENS1_30default_config_static_selectorELNS0_4arch9wavefront6targetE0EEEvT1_, .Lfunc_end87-_ZN7rocprim17ROCPRIM_400000_NS6detail17trampoline_kernelINS0_14default_configENS1_20scan_config_selectorIlEEZZNS1_9scan_implILNS1_25lookback_scan_determinismE0ELb0ELb0ES3_PlS8_lN6thrust23THRUST_200600_302600_NS4plusIvEElEEDaPvRmT3_T4_T5_mT6_P12ihipStream_tbENKUlT_T0_E_clISt17integral_constantIbLb0EESQ_EEDaSL_SM_EUlSL_E_NS1_11comp_targetILNS1_3genE3ELNS1_11target_archE908ELNS1_3gpuE7ELNS1_3repE0EEENS1_30default_config_static_selectorELNS0_4arch9wavefront6targetE0EEEvT1_
                                        ; -- End function
	.set _ZN7rocprim17ROCPRIM_400000_NS6detail17trampoline_kernelINS0_14default_configENS1_20scan_config_selectorIlEEZZNS1_9scan_implILNS1_25lookback_scan_determinismE0ELb0ELb0ES3_PlS8_lN6thrust23THRUST_200600_302600_NS4plusIvEElEEDaPvRmT3_T4_T5_mT6_P12ihipStream_tbENKUlT_T0_E_clISt17integral_constantIbLb0EESQ_EEDaSL_SM_EUlSL_E_NS1_11comp_targetILNS1_3genE3ELNS1_11target_archE908ELNS1_3gpuE7ELNS1_3repE0EEENS1_30default_config_static_selectorELNS0_4arch9wavefront6targetE0EEEvT1_.num_vgpr, 0
	.set _ZN7rocprim17ROCPRIM_400000_NS6detail17trampoline_kernelINS0_14default_configENS1_20scan_config_selectorIlEEZZNS1_9scan_implILNS1_25lookback_scan_determinismE0ELb0ELb0ES3_PlS8_lN6thrust23THRUST_200600_302600_NS4plusIvEElEEDaPvRmT3_T4_T5_mT6_P12ihipStream_tbENKUlT_T0_E_clISt17integral_constantIbLb0EESQ_EEDaSL_SM_EUlSL_E_NS1_11comp_targetILNS1_3genE3ELNS1_11target_archE908ELNS1_3gpuE7ELNS1_3repE0EEENS1_30default_config_static_selectorELNS0_4arch9wavefront6targetE0EEEvT1_.num_agpr, 0
	.set _ZN7rocprim17ROCPRIM_400000_NS6detail17trampoline_kernelINS0_14default_configENS1_20scan_config_selectorIlEEZZNS1_9scan_implILNS1_25lookback_scan_determinismE0ELb0ELb0ES3_PlS8_lN6thrust23THRUST_200600_302600_NS4plusIvEElEEDaPvRmT3_T4_T5_mT6_P12ihipStream_tbENKUlT_T0_E_clISt17integral_constantIbLb0EESQ_EEDaSL_SM_EUlSL_E_NS1_11comp_targetILNS1_3genE3ELNS1_11target_archE908ELNS1_3gpuE7ELNS1_3repE0EEENS1_30default_config_static_selectorELNS0_4arch9wavefront6targetE0EEEvT1_.numbered_sgpr, 0
	.set _ZN7rocprim17ROCPRIM_400000_NS6detail17trampoline_kernelINS0_14default_configENS1_20scan_config_selectorIlEEZZNS1_9scan_implILNS1_25lookback_scan_determinismE0ELb0ELb0ES3_PlS8_lN6thrust23THRUST_200600_302600_NS4plusIvEElEEDaPvRmT3_T4_T5_mT6_P12ihipStream_tbENKUlT_T0_E_clISt17integral_constantIbLb0EESQ_EEDaSL_SM_EUlSL_E_NS1_11comp_targetILNS1_3genE3ELNS1_11target_archE908ELNS1_3gpuE7ELNS1_3repE0EEENS1_30default_config_static_selectorELNS0_4arch9wavefront6targetE0EEEvT1_.num_named_barrier, 0
	.set _ZN7rocprim17ROCPRIM_400000_NS6detail17trampoline_kernelINS0_14default_configENS1_20scan_config_selectorIlEEZZNS1_9scan_implILNS1_25lookback_scan_determinismE0ELb0ELb0ES3_PlS8_lN6thrust23THRUST_200600_302600_NS4plusIvEElEEDaPvRmT3_T4_T5_mT6_P12ihipStream_tbENKUlT_T0_E_clISt17integral_constantIbLb0EESQ_EEDaSL_SM_EUlSL_E_NS1_11comp_targetILNS1_3genE3ELNS1_11target_archE908ELNS1_3gpuE7ELNS1_3repE0EEENS1_30default_config_static_selectorELNS0_4arch9wavefront6targetE0EEEvT1_.private_seg_size, 0
	.set _ZN7rocprim17ROCPRIM_400000_NS6detail17trampoline_kernelINS0_14default_configENS1_20scan_config_selectorIlEEZZNS1_9scan_implILNS1_25lookback_scan_determinismE0ELb0ELb0ES3_PlS8_lN6thrust23THRUST_200600_302600_NS4plusIvEElEEDaPvRmT3_T4_T5_mT6_P12ihipStream_tbENKUlT_T0_E_clISt17integral_constantIbLb0EESQ_EEDaSL_SM_EUlSL_E_NS1_11comp_targetILNS1_3genE3ELNS1_11target_archE908ELNS1_3gpuE7ELNS1_3repE0EEENS1_30default_config_static_selectorELNS0_4arch9wavefront6targetE0EEEvT1_.uses_vcc, 0
	.set _ZN7rocprim17ROCPRIM_400000_NS6detail17trampoline_kernelINS0_14default_configENS1_20scan_config_selectorIlEEZZNS1_9scan_implILNS1_25lookback_scan_determinismE0ELb0ELb0ES3_PlS8_lN6thrust23THRUST_200600_302600_NS4plusIvEElEEDaPvRmT3_T4_T5_mT6_P12ihipStream_tbENKUlT_T0_E_clISt17integral_constantIbLb0EESQ_EEDaSL_SM_EUlSL_E_NS1_11comp_targetILNS1_3genE3ELNS1_11target_archE908ELNS1_3gpuE7ELNS1_3repE0EEENS1_30default_config_static_selectorELNS0_4arch9wavefront6targetE0EEEvT1_.uses_flat_scratch, 0
	.set _ZN7rocprim17ROCPRIM_400000_NS6detail17trampoline_kernelINS0_14default_configENS1_20scan_config_selectorIlEEZZNS1_9scan_implILNS1_25lookback_scan_determinismE0ELb0ELb0ES3_PlS8_lN6thrust23THRUST_200600_302600_NS4plusIvEElEEDaPvRmT3_T4_T5_mT6_P12ihipStream_tbENKUlT_T0_E_clISt17integral_constantIbLb0EESQ_EEDaSL_SM_EUlSL_E_NS1_11comp_targetILNS1_3genE3ELNS1_11target_archE908ELNS1_3gpuE7ELNS1_3repE0EEENS1_30default_config_static_selectorELNS0_4arch9wavefront6targetE0EEEvT1_.has_dyn_sized_stack, 0
	.set _ZN7rocprim17ROCPRIM_400000_NS6detail17trampoline_kernelINS0_14default_configENS1_20scan_config_selectorIlEEZZNS1_9scan_implILNS1_25lookback_scan_determinismE0ELb0ELb0ES3_PlS8_lN6thrust23THRUST_200600_302600_NS4plusIvEElEEDaPvRmT3_T4_T5_mT6_P12ihipStream_tbENKUlT_T0_E_clISt17integral_constantIbLb0EESQ_EEDaSL_SM_EUlSL_E_NS1_11comp_targetILNS1_3genE3ELNS1_11target_archE908ELNS1_3gpuE7ELNS1_3repE0EEENS1_30default_config_static_selectorELNS0_4arch9wavefront6targetE0EEEvT1_.has_recursion, 0
	.set _ZN7rocprim17ROCPRIM_400000_NS6detail17trampoline_kernelINS0_14default_configENS1_20scan_config_selectorIlEEZZNS1_9scan_implILNS1_25lookback_scan_determinismE0ELb0ELb0ES3_PlS8_lN6thrust23THRUST_200600_302600_NS4plusIvEElEEDaPvRmT3_T4_T5_mT6_P12ihipStream_tbENKUlT_T0_E_clISt17integral_constantIbLb0EESQ_EEDaSL_SM_EUlSL_E_NS1_11comp_targetILNS1_3genE3ELNS1_11target_archE908ELNS1_3gpuE7ELNS1_3repE0EEENS1_30default_config_static_selectorELNS0_4arch9wavefront6targetE0EEEvT1_.has_indirect_call, 0
	.section	.AMDGPU.csdata,"",@progbits
; Kernel info:
; codeLenInByte = 0
; TotalNumSgprs: 0
; NumVgprs: 0
; ScratchSize: 0
; MemoryBound: 0
; FloatMode: 240
; IeeeMode: 1
; LDSByteSize: 0 bytes/workgroup (compile time only)
; SGPRBlocks: 0
; VGPRBlocks: 0
; NumSGPRsForWavesPerEU: 1
; NumVGPRsForWavesPerEU: 1
; NamedBarCnt: 0
; Occupancy: 16
; WaveLimiterHint : 0
; COMPUTE_PGM_RSRC2:SCRATCH_EN: 0
; COMPUTE_PGM_RSRC2:USER_SGPR: 2
; COMPUTE_PGM_RSRC2:TRAP_HANDLER: 0
; COMPUTE_PGM_RSRC2:TGID_X_EN: 1
; COMPUTE_PGM_RSRC2:TGID_Y_EN: 0
; COMPUTE_PGM_RSRC2:TGID_Z_EN: 0
; COMPUTE_PGM_RSRC2:TIDIG_COMP_CNT: 0
	.section	.text._ZN7rocprim17ROCPRIM_400000_NS6detail17trampoline_kernelINS0_14default_configENS1_20scan_config_selectorIlEEZZNS1_9scan_implILNS1_25lookback_scan_determinismE0ELb0ELb0ES3_PlS8_lN6thrust23THRUST_200600_302600_NS4plusIvEElEEDaPvRmT3_T4_T5_mT6_P12ihipStream_tbENKUlT_T0_E_clISt17integral_constantIbLb0EESQ_EEDaSL_SM_EUlSL_E_NS1_11comp_targetILNS1_3genE2ELNS1_11target_archE906ELNS1_3gpuE6ELNS1_3repE0EEENS1_30default_config_static_selectorELNS0_4arch9wavefront6targetE0EEEvT1_,"axG",@progbits,_ZN7rocprim17ROCPRIM_400000_NS6detail17trampoline_kernelINS0_14default_configENS1_20scan_config_selectorIlEEZZNS1_9scan_implILNS1_25lookback_scan_determinismE0ELb0ELb0ES3_PlS8_lN6thrust23THRUST_200600_302600_NS4plusIvEElEEDaPvRmT3_T4_T5_mT6_P12ihipStream_tbENKUlT_T0_E_clISt17integral_constantIbLb0EESQ_EEDaSL_SM_EUlSL_E_NS1_11comp_targetILNS1_3genE2ELNS1_11target_archE906ELNS1_3gpuE6ELNS1_3repE0EEENS1_30default_config_static_selectorELNS0_4arch9wavefront6targetE0EEEvT1_,comdat
	.protected	_ZN7rocprim17ROCPRIM_400000_NS6detail17trampoline_kernelINS0_14default_configENS1_20scan_config_selectorIlEEZZNS1_9scan_implILNS1_25lookback_scan_determinismE0ELb0ELb0ES3_PlS8_lN6thrust23THRUST_200600_302600_NS4plusIvEElEEDaPvRmT3_T4_T5_mT6_P12ihipStream_tbENKUlT_T0_E_clISt17integral_constantIbLb0EESQ_EEDaSL_SM_EUlSL_E_NS1_11comp_targetILNS1_3genE2ELNS1_11target_archE906ELNS1_3gpuE6ELNS1_3repE0EEENS1_30default_config_static_selectorELNS0_4arch9wavefront6targetE0EEEvT1_ ; -- Begin function _ZN7rocprim17ROCPRIM_400000_NS6detail17trampoline_kernelINS0_14default_configENS1_20scan_config_selectorIlEEZZNS1_9scan_implILNS1_25lookback_scan_determinismE0ELb0ELb0ES3_PlS8_lN6thrust23THRUST_200600_302600_NS4plusIvEElEEDaPvRmT3_T4_T5_mT6_P12ihipStream_tbENKUlT_T0_E_clISt17integral_constantIbLb0EESQ_EEDaSL_SM_EUlSL_E_NS1_11comp_targetILNS1_3genE2ELNS1_11target_archE906ELNS1_3gpuE6ELNS1_3repE0EEENS1_30default_config_static_selectorELNS0_4arch9wavefront6targetE0EEEvT1_
	.globl	_ZN7rocprim17ROCPRIM_400000_NS6detail17trampoline_kernelINS0_14default_configENS1_20scan_config_selectorIlEEZZNS1_9scan_implILNS1_25lookback_scan_determinismE0ELb0ELb0ES3_PlS8_lN6thrust23THRUST_200600_302600_NS4plusIvEElEEDaPvRmT3_T4_T5_mT6_P12ihipStream_tbENKUlT_T0_E_clISt17integral_constantIbLb0EESQ_EEDaSL_SM_EUlSL_E_NS1_11comp_targetILNS1_3genE2ELNS1_11target_archE906ELNS1_3gpuE6ELNS1_3repE0EEENS1_30default_config_static_selectorELNS0_4arch9wavefront6targetE0EEEvT1_
	.p2align	8
	.type	_ZN7rocprim17ROCPRIM_400000_NS6detail17trampoline_kernelINS0_14default_configENS1_20scan_config_selectorIlEEZZNS1_9scan_implILNS1_25lookback_scan_determinismE0ELb0ELb0ES3_PlS8_lN6thrust23THRUST_200600_302600_NS4plusIvEElEEDaPvRmT3_T4_T5_mT6_P12ihipStream_tbENKUlT_T0_E_clISt17integral_constantIbLb0EESQ_EEDaSL_SM_EUlSL_E_NS1_11comp_targetILNS1_3genE2ELNS1_11target_archE906ELNS1_3gpuE6ELNS1_3repE0EEENS1_30default_config_static_selectorELNS0_4arch9wavefront6targetE0EEEvT1_,@function
_ZN7rocprim17ROCPRIM_400000_NS6detail17trampoline_kernelINS0_14default_configENS1_20scan_config_selectorIlEEZZNS1_9scan_implILNS1_25lookback_scan_determinismE0ELb0ELb0ES3_PlS8_lN6thrust23THRUST_200600_302600_NS4plusIvEElEEDaPvRmT3_T4_T5_mT6_P12ihipStream_tbENKUlT_T0_E_clISt17integral_constantIbLb0EESQ_EEDaSL_SM_EUlSL_E_NS1_11comp_targetILNS1_3genE2ELNS1_11target_archE906ELNS1_3gpuE6ELNS1_3repE0EEENS1_30default_config_static_selectorELNS0_4arch9wavefront6targetE0EEEvT1_: ; @_ZN7rocprim17ROCPRIM_400000_NS6detail17trampoline_kernelINS0_14default_configENS1_20scan_config_selectorIlEEZZNS1_9scan_implILNS1_25lookback_scan_determinismE0ELb0ELb0ES3_PlS8_lN6thrust23THRUST_200600_302600_NS4plusIvEElEEDaPvRmT3_T4_T5_mT6_P12ihipStream_tbENKUlT_T0_E_clISt17integral_constantIbLb0EESQ_EEDaSL_SM_EUlSL_E_NS1_11comp_targetILNS1_3genE2ELNS1_11target_archE906ELNS1_3gpuE6ELNS1_3repE0EEENS1_30default_config_static_selectorELNS0_4arch9wavefront6targetE0EEEvT1_
; %bb.0:
	.section	.rodata,"a",@progbits
	.p2align	6, 0x0
	.amdhsa_kernel _ZN7rocprim17ROCPRIM_400000_NS6detail17trampoline_kernelINS0_14default_configENS1_20scan_config_selectorIlEEZZNS1_9scan_implILNS1_25lookback_scan_determinismE0ELb0ELb0ES3_PlS8_lN6thrust23THRUST_200600_302600_NS4plusIvEElEEDaPvRmT3_T4_T5_mT6_P12ihipStream_tbENKUlT_T0_E_clISt17integral_constantIbLb0EESQ_EEDaSL_SM_EUlSL_E_NS1_11comp_targetILNS1_3genE2ELNS1_11target_archE906ELNS1_3gpuE6ELNS1_3repE0EEENS1_30default_config_static_selectorELNS0_4arch9wavefront6targetE0EEEvT1_
		.amdhsa_group_segment_fixed_size 0
		.amdhsa_private_segment_fixed_size 0
		.amdhsa_kernarg_size 104
		.amdhsa_user_sgpr_count 2
		.amdhsa_user_sgpr_dispatch_ptr 0
		.amdhsa_user_sgpr_queue_ptr 0
		.amdhsa_user_sgpr_kernarg_segment_ptr 1
		.amdhsa_user_sgpr_dispatch_id 0
		.amdhsa_user_sgpr_kernarg_preload_length 0
		.amdhsa_user_sgpr_kernarg_preload_offset 0
		.amdhsa_user_sgpr_private_segment_size 0
		.amdhsa_wavefront_size32 1
		.amdhsa_uses_dynamic_stack 0
		.amdhsa_enable_private_segment 0
		.amdhsa_system_sgpr_workgroup_id_x 1
		.amdhsa_system_sgpr_workgroup_id_y 0
		.amdhsa_system_sgpr_workgroup_id_z 0
		.amdhsa_system_sgpr_workgroup_info 0
		.amdhsa_system_vgpr_workitem_id 0
		.amdhsa_next_free_vgpr 1
		.amdhsa_next_free_sgpr 1
		.amdhsa_named_barrier_count 0
		.amdhsa_reserve_vcc 0
		.amdhsa_float_round_mode_32 0
		.amdhsa_float_round_mode_16_64 0
		.amdhsa_float_denorm_mode_32 3
		.amdhsa_float_denorm_mode_16_64 3
		.amdhsa_fp16_overflow 0
		.amdhsa_memory_ordered 1
		.amdhsa_forward_progress 1
		.amdhsa_inst_pref_size 0
		.amdhsa_round_robin_scheduling 0
		.amdhsa_exception_fp_ieee_invalid_op 0
		.amdhsa_exception_fp_denorm_src 0
		.amdhsa_exception_fp_ieee_div_zero 0
		.amdhsa_exception_fp_ieee_overflow 0
		.amdhsa_exception_fp_ieee_underflow 0
		.amdhsa_exception_fp_ieee_inexact 0
		.amdhsa_exception_int_div_zero 0
	.end_amdhsa_kernel
	.section	.text._ZN7rocprim17ROCPRIM_400000_NS6detail17trampoline_kernelINS0_14default_configENS1_20scan_config_selectorIlEEZZNS1_9scan_implILNS1_25lookback_scan_determinismE0ELb0ELb0ES3_PlS8_lN6thrust23THRUST_200600_302600_NS4plusIvEElEEDaPvRmT3_T4_T5_mT6_P12ihipStream_tbENKUlT_T0_E_clISt17integral_constantIbLb0EESQ_EEDaSL_SM_EUlSL_E_NS1_11comp_targetILNS1_3genE2ELNS1_11target_archE906ELNS1_3gpuE6ELNS1_3repE0EEENS1_30default_config_static_selectorELNS0_4arch9wavefront6targetE0EEEvT1_,"axG",@progbits,_ZN7rocprim17ROCPRIM_400000_NS6detail17trampoline_kernelINS0_14default_configENS1_20scan_config_selectorIlEEZZNS1_9scan_implILNS1_25lookback_scan_determinismE0ELb0ELb0ES3_PlS8_lN6thrust23THRUST_200600_302600_NS4plusIvEElEEDaPvRmT3_T4_T5_mT6_P12ihipStream_tbENKUlT_T0_E_clISt17integral_constantIbLb0EESQ_EEDaSL_SM_EUlSL_E_NS1_11comp_targetILNS1_3genE2ELNS1_11target_archE906ELNS1_3gpuE6ELNS1_3repE0EEENS1_30default_config_static_selectorELNS0_4arch9wavefront6targetE0EEEvT1_,comdat
.Lfunc_end88:
	.size	_ZN7rocprim17ROCPRIM_400000_NS6detail17trampoline_kernelINS0_14default_configENS1_20scan_config_selectorIlEEZZNS1_9scan_implILNS1_25lookback_scan_determinismE0ELb0ELb0ES3_PlS8_lN6thrust23THRUST_200600_302600_NS4plusIvEElEEDaPvRmT3_T4_T5_mT6_P12ihipStream_tbENKUlT_T0_E_clISt17integral_constantIbLb0EESQ_EEDaSL_SM_EUlSL_E_NS1_11comp_targetILNS1_3genE2ELNS1_11target_archE906ELNS1_3gpuE6ELNS1_3repE0EEENS1_30default_config_static_selectorELNS0_4arch9wavefront6targetE0EEEvT1_, .Lfunc_end88-_ZN7rocprim17ROCPRIM_400000_NS6detail17trampoline_kernelINS0_14default_configENS1_20scan_config_selectorIlEEZZNS1_9scan_implILNS1_25lookback_scan_determinismE0ELb0ELb0ES3_PlS8_lN6thrust23THRUST_200600_302600_NS4plusIvEElEEDaPvRmT3_T4_T5_mT6_P12ihipStream_tbENKUlT_T0_E_clISt17integral_constantIbLb0EESQ_EEDaSL_SM_EUlSL_E_NS1_11comp_targetILNS1_3genE2ELNS1_11target_archE906ELNS1_3gpuE6ELNS1_3repE0EEENS1_30default_config_static_selectorELNS0_4arch9wavefront6targetE0EEEvT1_
                                        ; -- End function
	.set _ZN7rocprim17ROCPRIM_400000_NS6detail17trampoline_kernelINS0_14default_configENS1_20scan_config_selectorIlEEZZNS1_9scan_implILNS1_25lookback_scan_determinismE0ELb0ELb0ES3_PlS8_lN6thrust23THRUST_200600_302600_NS4plusIvEElEEDaPvRmT3_T4_T5_mT6_P12ihipStream_tbENKUlT_T0_E_clISt17integral_constantIbLb0EESQ_EEDaSL_SM_EUlSL_E_NS1_11comp_targetILNS1_3genE2ELNS1_11target_archE906ELNS1_3gpuE6ELNS1_3repE0EEENS1_30default_config_static_selectorELNS0_4arch9wavefront6targetE0EEEvT1_.num_vgpr, 0
	.set _ZN7rocprim17ROCPRIM_400000_NS6detail17trampoline_kernelINS0_14default_configENS1_20scan_config_selectorIlEEZZNS1_9scan_implILNS1_25lookback_scan_determinismE0ELb0ELb0ES3_PlS8_lN6thrust23THRUST_200600_302600_NS4plusIvEElEEDaPvRmT3_T4_T5_mT6_P12ihipStream_tbENKUlT_T0_E_clISt17integral_constantIbLb0EESQ_EEDaSL_SM_EUlSL_E_NS1_11comp_targetILNS1_3genE2ELNS1_11target_archE906ELNS1_3gpuE6ELNS1_3repE0EEENS1_30default_config_static_selectorELNS0_4arch9wavefront6targetE0EEEvT1_.num_agpr, 0
	.set _ZN7rocprim17ROCPRIM_400000_NS6detail17trampoline_kernelINS0_14default_configENS1_20scan_config_selectorIlEEZZNS1_9scan_implILNS1_25lookback_scan_determinismE0ELb0ELb0ES3_PlS8_lN6thrust23THRUST_200600_302600_NS4plusIvEElEEDaPvRmT3_T4_T5_mT6_P12ihipStream_tbENKUlT_T0_E_clISt17integral_constantIbLb0EESQ_EEDaSL_SM_EUlSL_E_NS1_11comp_targetILNS1_3genE2ELNS1_11target_archE906ELNS1_3gpuE6ELNS1_3repE0EEENS1_30default_config_static_selectorELNS0_4arch9wavefront6targetE0EEEvT1_.numbered_sgpr, 0
	.set _ZN7rocprim17ROCPRIM_400000_NS6detail17trampoline_kernelINS0_14default_configENS1_20scan_config_selectorIlEEZZNS1_9scan_implILNS1_25lookback_scan_determinismE0ELb0ELb0ES3_PlS8_lN6thrust23THRUST_200600_302600_NS4plusIvEElEEDaPvRmT3_T4_T5_mT6_P12ihipStream_tbENKUlT_T0_E_clISt17integral_constantIbLb0EESQ_EEDaSL_SM_EUlSL_E_NS1_11comp_targetILNS1_3genE2ELNS1_11target_archE906ELNS1_3gpuE6ELNS1_3repE0EEENS1_30default_config_static_selectorELNS0_4arch9wavefront6targetE0EEEvT1_.num_named_barrier, 0
	.set _ZN7rocprim17ROCPRIM_400000_NS6detail17trampoline_kernelINS0_14default_configENS1_20scan_config_selectorIlEEZZNS1_9scan_implILNS1_25lookback_scan_determinismE0ELb0ELb0ES3_PlS8_lN6thrust23THRUST_200600_302600_NS4plusIvEElEEDaPvRmT3_T4_T5_mT6_P12ihipStream_tbENKUlT_T0_E_clISt17integral_constantIbLb0EESQ_EEDaSL_SM_EUlSL_E_NS1_11comp_targetILNS1_3genE2ELNS1_11target_archE906ELNS1_3gpuE6ELNS1_3repE0EEENS1_30default_config_static_selectorELNS0_4arch9wavefront6targetE0EEEvT1_.private_seg_size, 0
	.set _ZN7rocprim17ROCPRIM_400000_NS6detail17trampoline_kernelINS0_14default_configENS1_20scan_config_selectorIlEEZZNS1_9scan_implILNS1_25lookback_scan_determinismE0ELb0ELb0ES3_PlS8_lN6thrust23THRUST_200600_302600_NS4plusIvEElEEDaPvRmT3_T4_T5_mT6_P12ihipStream_tbENKUlT_T0_E_clISt17integral_constantIbLb0EESQ_EEDaSL_SM_EUlSL_E_NS1_11comp_targetILNS1_3genE2ELNS1_11target_archE906ELNS1_3gpuE6ELNS1_3repE0EEENS1_30default_config_static_selectorELNS0_4arch9wavefront6targetE0EEEvT1_.uses_vcc, 0
	.set _ZN7rocprim17ROCPRIM_400000_NS6detail17trampoline_kernelINS0_14default_configENS1_20scan_config_selectorIlEEZZNS1_9scan_implILNS1_25lookback_scan_determinismE0ELb0ELb0ES3_PlS8_lN6thrust23THRUST_200600_302600_NS4plusIvEElEEDaPvRmT3_T4_T5_mT6_P12ihipStream_tbENKUlT_T0_E_clISt17integral_constantIbLb0EESQ_EEDaSL_SM_EUlSL_E_NS1_11comp_targetILNS1_3genE2ELNS1_11target_archE906ELNS1_3gpuE6ELNS1_3repE0EEENS1_30default_config_static_selectorELNS0_4arch9wavefront6targetE0EEEvT1_.uses_flat_scratch, 0
	.set _ZN7rocprim17ROCPRIM_400000_NS6detail17trampoline_kernelINS0_14default_configENS1_20scan_config_selectorIlEEZZNS1_9scan_implILNS1_25lookback_scan_determinismE0ELb0ELb0ES3_PlS8_lN6thrust23THRUST_200600_302600_NS4plusIvEElEEDaPvRmT3_T4_T5_mT6_P12ihipStream_tbENKUlT_T0_E_clISt17integral_constantIbLb0EESQ_EEDaSL_SM_EUlSL_E_NS1_11comp_targetILNS1_3genE2ELNS1_11target_archE906ELNS1_3gpuE6ELNS1_3repE0EEENS1_30default_config_static_selectorELNS0_4arch9wavefront6targetE0EEEvT1_.has_dyn_sized_stack, 0
	.set _ZN7rocprim17ROCPRIM_400000_NS6detail17trampoline_kernelINS0_14default_configENS1_20scan_config_selectorIlEEZZNS1_9scan_implILNS1_25lookback_scan_determinismE0ELb0ELb0ES3_PlS8_lN6thrust23THRUST_200600_302600_NS4plusIvEElEEDaPvRmT3_T4_T5_mT6_P12ihipStream_tbENKUlT_T0_E_clISt17integral_constantIbLb0EESQ_EEDaSL_SM_EUlSL_E_NS1_11comp_targetILNS1_3genE2ELNS1_11target_archE906ELNS1_3gpuE6ELNS1_3repE0EEENS1_30default_config_static_selectorELNS0_4arch9wavefront6targetE0EEEvT1_.has_recursion, 0
	.set _ZN7rocprim17ROCPRIM_400000_NS6detail17trampoline_kernelINS0_14default_configENS1_20scan_config_selectorIlEEZZNS1_9scan_implILNS1_25lookback_scan_determinismE0ELb0ELb0ES3_PlS8_lN6thrust23THRUST_200600_302600_NS4plusIvEElEEDaPvRmT3_T4_T5_mT6_P12ihipStream_tbENKUlT_T0_E_clISt17integral_constantIbLb0EESQ_EEDaSL_SM_EUlSL_E_NS1_11comp_targetILNS1_3genE2ELNS1_11target_archE906ELNS1_3gpuE6ELNS1_3repE0EEENS1_30default_config_static_selectorELNS0_4arch9wavefront6targetE0EEEvT1_.has_indirect_call, 0
	.section	.AMDGPU.csdata,"",@progbits
; Kernel info:
; codeLenInByte = 0
; TotalNumSgprs: 0
; NumVgprs: 0
; ScratchSize: 0
; MemoryBound: 0
; FloatMode: 240
; IeeeMode: 1
; LDSByteSize: 0 bytes/workgroup (compile time only)
; SGPRBlocks: 0
; VGPRBlocks: 0
; NumSGPRsForWavesPerEU: 1
; NumVGPRsForWavesPerEU: 1
; NamedBarCnt: 0
; Occupancy: 16
; WaveLimiterHint : 0
; COMPUTE_PGM_RSRC2:SCRATCH_EN: 0
; COMPUTE_PGM_RSRC2:USER_SGPR: 2
; COMPUTE_PGM_RSRC2:TRAP_HANDLER: 0
; COMPUTE_PGM_RSRC2:TGID_X_EN: 1
; COMPUTE_PGM_RSRC2:TGID_Y_EN: 0
; COMPUTE_PGM_RSRC2:TGID_Z_EN: 0
; COMPUTE_PGM_RSRC2:TIDIG_COMP_CNT: 0
	.section	.text._ZN7rocprim17ROCPRIM_400000_NS6detail17trampoline_kernelINS0_14default_configENS1_20scan_config_selectorIlEEZZNS1_9scan_implILNS1_25lookback_scan_determinismE0ELb0ELb0ES3_PlS8_lN6thrust23THRUST_200600_302600_NS4plusIvEElEEDaPvRmT3_T4_T5_mT6_P12ihipStream_tbENKUlT_T0_E_clISt17integral_constantIbLb0EESQ_EEDaSL_SM_EUlSL_E_NS1_11comp_targetILNS1_3genE10ELNS1_11target_archE1201ELNS1_3gpuE5ELNS1_3repE0EEENS1_30default_config_static_selectorELNS0_4arch9wavefront6targetE0EEEvT1_,"axG",@progbits,_ZN7rocprim17ROCPRIM_400000_NS6detail17trampoline_kernelINS0_14default_configENS1_20scan_config_selectorIlEEZZNS1_9scan_implILNS1_25lookback_scan_determinismE0ELb0ELb0ES3_PlS8_lN6thrust23THRUST_200600_302600_NS4plusIvEElEEDaPvRmT3_T4_T5_mT6_P12ihipStream_tbENKUlT_T0_E_clISt17integral_constantIbLb0EESQ_EEDaSL_SM_EUlSL_E_NS1_11comp_targetILNS1_3genE10ELNS1_11target_archE1201ELNS1_3gpuE5ELNS1_3repE0EEENS1_30default_config_static_selectorELNS0_4arch9wavefront6targetE0EEEvT1_,comdat
	.protected	_ZN7rocprim17ROCPRIM_400000_NS6detail17trampoline_kernelINS0_14default_configENS1_20scan_config_selectorIlEEZZNS1_9scan_implILNS1_25lookback_scan_determinismE0ELb0ELb0ES3_PlS8_lN6thrust23THRUST_200600_302600_NS4plusIvEElEEDaPvRmT3_T4_T5_mT6_P12ihipStream_tbENKUlT_T0_E_clISt17integral_constantIbLb0EESQ_EEDaSL_SM_EUlSL_E_NS1_11comp_targetILNS1_3genE10ELNS1_11target_archE1201ELNS1_3gpuE5ELNS1_3repE0EEENS1_30default_config_static_selectorELNS0_4arch9wavefront6targetE0EEEvT1_ ; -- Begin function _ZN7rocprim17ROCPRIM_400000_NS6detail17trampoline_kernelINS0_14default_configENS1_20scan_config_selectorIlEEZZNS1_9scan_implILNS1_25lookback_scan_determinismE0ELb0ELb0ES3_PlS8_lN6thrust23THRUST_200600_302600_NS4plusIvEElEEDaPvRmT3_T4_T5_mT6_P12ihipStream_tbENKUlT_T0_E_clISt17integral_constantIbLb0EESQ_EEDaSL_SM_EUlSL_E_NS1_11comp_targetILNS1_3genE10ELNS1_11target_archE1201ELNS1_3gpuE5ELNS1_3repE0EEENS1_30default_config_static_selectorELNS0_4arch9wavefront6targetE0EEEvT1_
	.globl	_ZN7rocprim17ROCPRIM_400000_NS6detail17trampoline_kernelINS0_14default_configENS1_20scan_config_selectorIlEEZZNS1_9scan_implILNS1_25lookback_scan_determinismE0ELb0ELb0ES3_PlS8_lN6thrust23THRUST_200600_302600_NS4plusIvEElEEDaPvRmT3_T4_T5_mT6_P12ihipStream_tbENKUlT_T0_E_clISt17integral_constantIbLb0EESQ_EEDaSL_SM_EUlSL_E_NS1_11comp_targetILNS1_3genE10ELNS1_11target_archE1201ELNS1_3gpuE5ELNS1_3repE0EEENS1_30default_config_static_selectorELNS0_4arch9wavefront6targetE0EEEvT1_
	.p2align	8
	.type	_ZN7rocprim17ROCPRIM_400000_NS6detail17trampoline_kernelINS0_14default_configENS1_20scan_config_selectorIlEEZZNS1_9scan_implILNS1_25lookback_scan_determinismE0ELb0ELb0ES3_PlS8_lN6thrust23THRUST_200600_302600_NS4plusIvEElEEDaPvRmT3_T4_T5_mT6_P12ihipStream_tbENKUlT_T0_E_clISt17integral_constantIbLb0EESQ_EEDaSL_SM_EUlSL_E_NS1_11comp_targetILNS1_3genE10ELNS1_11target_archE1201ELNS1_3gpuE5ELNS1_3repE0EEENS1_30default_config_static_selectorELNS0_4arch9wavefront6targetE0EEEvT1_,@function
_ZN7rocprim17ROCPRIM_400000_NS6detail17trampoline_kernelINS0_14default_configENS1_20scan_config_selectorIlEEZZNS1_9scan_implILNS1_25lookback_scan_determinismE0ELb0ELb0ES3_PlS8_lN6thrust23THRUST_200600_302600_NS4plusIvEElEEDaPvRmT3_T4_T5_mT6_P12ihipStream_tbENKUlT_T0_E_clISt17integral_constantIbLb0EESQ_EEDaSL_SM_EUlSL_E_NS1_11comp_targetILNS1_3genE10ELNS1_11target_archE1201ELNS1_3gpuE5ELNS1_3repE0EEENS1_30default_config_static_selectorELNS0_4arch9wavefront6targetE0EEEvT1_: ; @_ZN7rocprim17ROCPRIM_400000_NS6detail17trampoline_kernelINS0_14default_configENS1_20scan_config_selectorIlEEZZNS1_9scan_implILNS1_25lookback_scan_determinismE0ELb0ELb0ES3_PlS8_lN6thrust23THRUST_200600_302600_NS4plusIvEElEEDaPvRmT3_T4_T5_mT6_P12ihipStream_tbENKUlT_T0_E_clISt17integral_constantIbLb0EESQ_EEDaSL_SM_EUlSL_E_NS1_11comp_targetILNS1_3genE10ELNS1_11target_archE1201ELNS1_3gpuE5ELNS1_3repE0EEENS1_30default_config_static_selectorELNS0_4arch9wavefront6targetE0EEEvT1_
; %bb.0:
	.section	.rodata,"a",@progbits
	.p2align	6, 0x0
	.amdhsa_kernel _ZN7rocprim17ROCPRIM_400000_NS6detail17trampoline_kernelINS0_14default_configENS1_20scan_config_selectorIlEEZZNS1_9scan_implILNS1_25lookback_scan_determinismE0ELb0ELb0ES3_PlS8_lN6thrust23THRUST_200600_302600_NS4plusIvEElEEDaPvRmT3_T4_T5_mT6_P12ihipStream_tbENKUlT_T0_E_clISt17integral_constantIbLb0EESQ_EEDaSL_SM_EUlSL_E_NS1_11comp_targetILNS1_3genE10ELNS1_11target_archE1201ELNS1_3gpuE5ELNS1_3repE0EEENS1_30default_config_static_selectorELNS0_4arch9wavefront6targetE0EEEvT1_
		.amdhsa_group_segment_fixed_size 0
		.amdhsa_private_segment_fixed_size 0
		.amdhsa_kernarg_size 104
		.amdhsa_user_sgpr_count 2
		.amdhsa_user_sgpr_dispatch_ptr 0
		.amdhsa_user_sgpr_queue_ptr 0
		.amdhsa_user_sgpr_kernarg_segment_ptr 1
		.amdhsa_user_sgpr_dispatch_id 0
		.amdhsa_user_sgpr_kernarg_preload_length 0
		.amdhsa_user_sgpr_kernarg_preload_offset 0
		.amdhsa_user_sgpr_private_segment_size 0
		.amdhsa_wavefront_size32 1
		.amdhsa_uses_dynamic_stack 0
		.amdhsa_enable_private_segment 0
		.amdhsa_system_sgpr_workgroup_id_x 1
		.amdhsa_system_sgpr_workgroup_id_y 0
		.amdhsa_system_sgpr_workgroup_id_z 0
		.amdhsa_system_sgpr_workgroup_info 0
		.amdhsa_system_vgpr_workitem_id 0
		.amdhsa_next_free_vgpr 1
		.amdhsa_next_free_sgpr 1
		.amdhsa_named_barrier_count 0
		.amdhsa_reserve_vcc 0
		.amdhsa_float_round_mode_32 0
		.amdhsa_float_round_mode_16_64 0
		.amdhsa_float_denorm_mode_32 3
		.amdhsa_float_denorm_mode_16_64 3
		.amdhsa_fp16_overflow 0
		.amdhsa_memory_ordered 1
		.amdhsa_forward_progress 1
		.amdhsa_inst_pref_size 0
		.amdhsa_round_robin_scheduling 0
		.amdhsa_exception_fp_ieee_invalid_op 0
		.amdhsa_exception_fp_denorm_src 0
		.amdhsa_exception_fp_ieee_div_zero 0
		.amdhsa_exception_fp_ieee_overflow 0
		.amdhsa_exception_fp_ieee_underflow 0
		.amdhsa_exception_fp_ieee_inexact 0
		.amdhsa_exception_int_div_zero 0
	.end_amdhsa_kernel
	.section	.text._ZN7rocprim17ROCPRIM_400000_NS6detail17trampoline_kernelINS0_14default_configENS1_20scan_config_selectorIlEEZZNS1_9scan_implILNS1_25lookback_scan_determinismE0ELb0ELb0ES3_PlS8_lN6thrust23THRUST_200600_302600_NS4plusIvEElEEDaPvRmT3_T4_T5_mT6_P12ihipStream_tbENKUlT_T0_E_clISt17integral_constantIbLb0EESQ_EEDaSL_SM_EUlSL_E_NS1_11comp_targetILNS1_3genE10ELNS1_11target_archE1201ELNS1_3gpuE5ELNS1_3repE0EEENS1_30default_config_static_selectorELNS0_4arch9wavefront6targetE0EEEvT1_,"axG",@progbits,_ZN7rocprim17ROCPRIM_400000_NS6detail17trampoline_kernelINS0_14default_configENS1_20scan_config_selectorIlEEZZNS1_9scan_implILNS1_25lookback_scan_determinismE0ELb0ELb0ES3_PlS8_lN6thrust23THRUST_200600_302600_NS4plusIvEElEEDaPvRmT3_T4_T5_mT6_P12ihipStream_tbENKUlT_T0_E_clISt17integral_constantIbLb0EESQ_EEDaSL_SM_EUlSL_E_NS1_11comp_targetILNS1_3genE10ELNS1_11target_archE1201ELNS1_3gpuE5ELNS1_3repE0EEENS1_30default_config_static_selectorELNS0_4arch9wavefront6targetE0EEEvT1_,comdat
.Lfunc_end89:
	.size	_ZN7rocprim17ROCPRIM_400000_NS6detail17trampoline_kernelINS0_14default_configENS1_20scan_config_selectorIlEEZZNS1_9scan_implILNS1_25lookback_scan_determinismE0ELb0ELb0ES3_PlS8_lN6thrust23THRUST_200600_302600_NS4plusIvEElEEDaPvRmT3_T4_T5_mT6_P12ihipStream_tbENKUlT_T0_E_clISt17integral_constantIbLb0EESQ_EEDaSL_SM_EUlSL_E_NS1_11comp_targetILNS1_3genE10ELNS1_11target_archE1201ELNS1_3gpuE5ELNS1_3repE0EEENS1_30default_config_static_selectorELNS0_4arch9wavefront6targetE0EEEvT1_, .Lfunc_end89-_ZN7rocprim17ROCPRIM_400000_NS6detail17trampoline_kernelINS0_14default_configENS1_20scan_config_selectorIlEEZZNS1_9scan_implILNS1_25lookback_scan_determinismE0ELb0ELb0ES3_PlS8_lN6thrust23THRUST_200600_302600_NS4plusIvEElEEDaPvRmT3_T4_T5_mT6_P12ihipStream_tbENKUlT_T0_E_clISt17integral_constantIbLb0EESQ_EEDaSL_SM_EUlSL_E_NS1_11comp_targetILNS1_3genE10ELNS1_11target_archE1201ELNS1_3gpuE5ELNS1_3repE0EEENS1_30default_config_static_selectorELNS0_4arch9wavefront6targetE0EEEvT1_
                                        ; -- End function
	.set _ZN7rocprim17ROCPRIM_400000_NS6detail17trampoline_kernelINS0_14default_configENS1_20scan_config_selectorIlEEZZNS1_9scan_implILNS1_25lookback_scan_determinismE0ELb0ELb0ES3_PlS8_lN6thrust23THRUST_200600_302600_NS4plusIvEElEEDaPvRmT3_T4_T5_mT6_P12ihipStream_tbENKUlT_T0_E_clISt17integral_constantIbLb0EESQ_EEDaSL_SM_EUlSL_E_NS1_11comp_targetILNS1_3genE10ELNS1_11target_archE1201ELNS1_3gpuE5ELNS1_3repE0EEENS1_30default_config_static_selectorELNS0_4arch9wavefront6targetE0EEEvT1_.num_vgpr, 0
	.set _ZN7rocprim17ROCPRIM_400000_NS6detail17trampoline_kernelINS0_14default_configENS1_20scan_config_selectorIlEEZZNS1_9scan_implILNS1_25lookback_scan_determinismE0ELb0ELb0ES3_PlS8_lN6thrust23THRUST_200600_302600_NS4plusIvEElEEDaPvRmT3_T4_T5_mT6_P12ihipStream_tbENKUlT_T0_E_clISt17integral_constantIbLb0EESQ_EEDaSL_SM_EUlSL_E_NS1_11comp_targetILNS1_3genE10ELNS1_11target_archE1201ELNS1_3gpuE5ELNS1_3repE0EEENS1_30default_config_static_selectorELNS0_4arch9wavefront6targetE0EEEvT1_.num_agpr, 0
	.set _ZN7rocprim17ROCPRIM_400000_NS6detail17trampoline_kernelINS0_14default_configENS1_20scan_config_selectorIlEEZZNS1_9scan_implILNS1_25lookback_scan_determinismE0ELb0ELb0ES3_PlS8_lN6thrust23THRUST_200600_302600_NS4plusIvEElEEDaPvRmT3_T4_T5_mT6_P12ihipStream_tbENKUlT_T0_E_clISt17integral_constantIbLb0EESQ_EEDaSL_SM_EUlSL_E_NS1_11comp_targetILNS1_3genE10ELNS1_11target_archE1201ELNS1_3gpuE5ELNS1_3repE0EEENS1_30default_config_static_selectorELNS0_4arch9wavefront6targetE0EEEvT1_.numbered_sgpr, 0
	.set _ZN7rocprim17ROCPRIM_400000_NS6detail17trampoline_kernelINS0_14default_configENS1_20scan_config_selectorIlEEZZNS1_9scan_implILNS1_25lookback_scan_determinismE0ELb0ELb0ES3_PlS8_lN6thrust23THRUST_200600_302600_NS4plusIvEElEEDaPvRmT3_T4_T5_mT6_P12ihipStream_tbENKUlT_T0_E_clISt17integral_constantIbLb0EESQ_EEDaSL_SM_EUlSL_E_NS1_11comp_targetILNS1_3genE10ELNS1_11target_archE1201ELNS1_3gpuE5ELNS1_3repE0EEENS1_30default_config_static_selectorELNS0_4arch9wavefront6targetE0EEEvT1_.num_named_barrier, 0
	.set _ZN7rocprim17ROCPRIM_400000_NS6detail17trampoline_kernelINS0_14default_configENS1_20scan_config_selectorIlEEZZNS1_9scan_implILNS1_25lookback_scan_determinismE0ELb0ELb0ES3_PlS8_lN6thrust23THRUST_200600_302600_NS4plusIvEElEEDaPvRmT3_T4_T5_mT6_P12ihipStream_tbENKUlT_T0_E_clISt17integral_constantIbLb0EESQ_EEDaSL_SM_EUlSL_E_NS1_11comp_targetILNS1_3genE10ELNS1_11target_archE1201ELNS1_3gpuE5ELNS1_3repE0EEENS1_30default_config_static_selectorELNS0_4arch9wavefront6targetE0EEEvT1_.private_seg_size, 0
	.set _ZN7rocprim17ROCPRIM_400000_NS6detail17trampoline_kernelINS0_14default_configENS1_20scan_config_selectorIlEEZZNS1_9scan_implILNS1_25lookback_scan_determinismE0ELb0ELb0ES3_PlS8_lN6thrust23THRUST_200600_302600_NS4plusIvEElEEDaPvRmT3_T4_T5_mT6_P12ihipStream_tbENKUlT_T0_E_clISt17integral_constantIbLb0EESQ_EEDaSL_SM_EUlSL_E_NS1_11comp_targetILNS1_3genE10ELNS1_11target_archE1201ELNS1_3gpuE5ELNS1_3repE0EEENS1_30default_config_static_selectorELNS0_4arch9wavefront6targetE0EEEvT1_.uses_vcc, 0
	.set _ZN7rocprim17ROCPRIM_400000_NS6detail17trampoline_kernelINS0_14default_configENS1_20scan_config_selectorIlEEZZNS1_9scan_implILNS1_25lookback_scan_determinismE0ELb0ELb0ES3_PlS8_lN6thrust23THRUST_200600_302600_NS4plusIvEElEEDaPvRmT3_T4_T5_mT6_P12ihipStream_tbENKUlT_T0_E_clISt17integral_constantIbLb0EESQ_EEDaSL_SM_EUlSL_E_NS1_11comp_targetILNS1_3genE10ELNS1_11target_archE1201ELNS1_3gpuE5ELNS1_3repE0EEENS1_30default_config_static_selectorELNS0_4arch9wavefront6targetE0EEEvT1_.uses_flat_scratch, 0
	.set _ZN7rocprim17ROCPRIM_400000_NS6detail17trampoline_kernelINS0_14default_configENS1_20scan_config_selectorIlEEZZNS1_9scan_implILNS1_25lookback_scan_determinismE0ELb0ELb0ES3_PlS8_lN6thrust23THRUST_200600_302600_NS4plusIvEElEEDaPvRmT3_T4_T5_mT6_P12ihipStream_tbENKUlT_T0_E_clISt17integral_constantIbLb0EESQ_EEDaSL_SM_EUlSL_E_NS1_11comp_targetILNS1_3genE10ELNS1_11target_archE1201ELNS1_3gpuE5ELNS1_3repE0EEENS1_30default_config_static_selectorELNS0_4arch9wavefront6targetE0EEEvT1_.has_dyn_sized_stack, 0
	.set _ZN7rocprim17ROCPRIM_400000_NS6detail17trampoline_kernelINS0_14default_configENS1_20scan_config_selectorIlEEZZNS1_9scan_implILNS1_25lookback_scan_determinismE0ELb0ELb0ES3_PlS8_lN6thrust23THRUST_200600_302600_NS4plusIvEElEEDaPvRmT3_T4_T5_mT6_P12ihipStream_tbENKUlT_T0_E_clISt17integral_constantIbLb0EESQ_EEDaSL_SM_EUlSL_E_NS1_11comp_targetILNS1_3genE10ELNS1_11target_archE1201ELNS1_3gpuE5ELNS1_3repE0EEENS1_30default_config_static_selectorELNS0_4arch9wavefront6targetE0EEEvT1_.has_recursion, 0
	.set _ZN7rocprim17ROCPRIM_400000_NS6detail17trampoline_kernelINS0_14default_configENS1_20scan_config_selectorIlEEZZNS1_9scan_implILNS1_25lookback_scan_determinismE0ELb0ELb0ES3_PlS8_lN6thrust23THRUST_200600_302600_NS4plusIvEElEEDaPvRmT3_T4_T5_mT6_P12ihipStream_tbENKUlT_T0_E_clISt17integral_constantIbLb0EESQ_EEDaSL_SM_EUlSL_E_NS1_11comp_targetILNS1_3genE10ELNS1_11target_archE1201ELNS1_3gpuE5ELNS1_3repE0EEENS1_30default_config_static_selectorELNS0_4arch9wavefront6targetE0EEEvT1_.has_indirect_call, 0
	.section	.AMDGPU.csdata,"",@progbits
; Kernel info:
; codeLenInByte = 0
; TotalNumSgprs: 0
; NumVgprs: 0
; ScratchSize: 0
; MemoryBound: 0
; FloatMode: 240
; IeeeMode: 1
; LDSByteSize: 0 bytes/workgroup (compile time only)
; SGPRBlocks: 0
; VGPRBlocks: 0
; NumSGPRsForWavesPerEU: 1
; NumVGPRsForWavesPerEU: 1
; NamedBarCnt: 0
; Occupancy: 16
; WaveLimiterHint : 0
; COMPUTE_PGM_RSRC2:SCRATCH_EN: 0
; COMPUTE_PGM_RSRC2:USER_SGPR: 2
; COMPUTE_PGM_RSRC2:TRAP_HANDLER: 0
; COMPUTE_PGM_RSRC2:TGID_X_EN: 1
; COMPUTE_PGM_RSRC2:TGID_Y_EN: 0
; COMPUTE_PGM_RSRC2:TGID_Z_EN: 0
; COMPUTE_PGM_RSRC2:TIDIG_COMP_CNT: 0
	.section	.text._ZN7rocprim17ROCPRIM_400000_NS6detail17trampoline_kernelINS0_14default_configENS1_20scan_config_selectorIlEEZZNS1_9scan_implILNS1_25lookback_scan_determinismE0ELb0ELb0ES3_PlS8_lN6thrust23THRUST_200600_302600_NS4plusIvEElEEDaPvRmT3_T4_T5_mT6_P12ihipStream_tbENKUlT_T0_E_clISt17integral_constantIbLb0EESQ_EEDaSL_SM_EUlSL_E_NS1_11comp_targetILNS1_3genE10ELNS1_11target_archE1200ELNS1_3gpuE4ELNS1_3repE0EEENS1_30default_config_static_selectorELNS0_4arch9wavefront6targetE0EEEvT1_,"axG",@progbits,_ZN7rocprim17ROCPRIM_400000_NS6detail17trampoline_kernelINS0_14default_configENS1_20scan_config_selectorIlEEZZNS1_9scan_implILNS1_25lookback_scan_determinismE0ELb0ELb0ES3_PlS8_lN6thrust23THRUST_200600_302600_NS4plusIvEElEEDaPvRmT3_T4_T5_mT6_P12ihipStream_tbENKUlT_T0_E_clISt17integral_constantIbLb0EESQ_EEDaSL_SM_EUlSL_E_NS1_11comp_targetILNS1_3genE10ELNS1_11target_archE1200ELNS1_3gpuE4ELNS1_3repE0EEENS1_30default_config_static_selectorELNS0_4arch9wavefront6targetE0EEEvT1_,comdat
	.protected	_ZN7rocprim17ROCPRIM_400000_NS6detail17trampoline_kernelINS0_14default_configENS1_20scan_config_selectorIlEEZZNS1_9scan_implILNS1_25lookback_scan_determinismE0ELb0ELb0ES3_PlS8_lN6thrust23THRUST_200600_302600_NS4plusIvEElEEDaPvRmT3_T4_T5_mT6_P12ihipStream_tbENKUlT_T0_E_clISt17integral_constantIbLb0EESQ_EEDaSL_SM_EUlSL_E_NS1_11comp_targetILNS1_3genE10ELNS1_11target_archE1200ELNS1_3gpuE4ELNS1_3repE0EEENS1_30default_config_static_selectorELNS0_4arch9wavefront6targetE0EEEvT1_ ; -- Begin function _ZN7rocprim17ROCPRIM_400000_NS6detail17trampoline_kernelINS0_14default_configENS1_20scan_config_selectorIlEEZZNS1_9scan_implILNS1_25lookback_scan_determinismE0ELb0ELb0ES3_PlS8_lN6thrust23THRUST_200600_302600_NS4plusIvEElEEDaPvRmT3_T4_T5_mT6_P12ihipStream_tbENKUlT_T0_E_clISt17integral_constantIbLb0EESQ_EEDaSL_SM_EUlSL_E_NS1_11comp_targetILNS1_3genE10ELNS1_11target_archE1200ELNS1_3gpuE4ELNS1_3repE0EEENS1_30default_config_static_selectorELNS0_4arch9wavefront6targetE0EEEvT1_
	.globl	_ZN7rocprim17ROCPRIM_400000_NS6detail17trampoline_kernelINS0_14default_configENS1_20scan_config_selectorIlEEZZNS1_9scan_implILNS1_25lookback_scan_determinismE0ELb0ELb0ES3_PlS8_lN6thrust23THRUST_200600_302600_NS4plusIvEElEEDaPvRmT3_T4_T5_mT6_P12ihipStream_tbENKUlT_T0_E_clISt17integral_constantIbLb0EESQ_EEDaSL_SM_EUlSL_E_NS1_11comp_targetILNS1_3genE10ELNS1_11target_archE1200ELNS1_3gpuE4ELNS1_3repE0EEENS1_30default_config_static_selectorELNS0_4arch9wavefront6targetE0EEEvT1_
	.p2align	8
	.type	_ZN7rocprim17ROCPRIM_400000_NS6detail17trampoline_kernelINS0_14default_configENS1_20scan_config_selectorIlEEZZNS1_9scan_implILNS1_25lookback_scan_determinismE0ELb0ELb0ES3_PlS8_lN6thrust23THRUST_200600_302600_NS4plusIvEElEEDaPvRmT3_T4_T5_mT6_P12ihipStream_tbENKUlT_T0_E_clISt17integral_constantIbLb0EESQ_EEDaSL_SM_EUlSL_E_NS1_11comp_targetILNS1_3genE10ELNS1_11target_archE1200ELNS1_3gpuE4ELNS1_3repE0EEENS1_30default_config_static_selectorELNS0_4arch9wavefront6targetE0EEEvT1_,@function
_ZN7rocprim17ROCPRIM_400000_NS6detail17trampoline_kernelINS0_14default_configENS1_20scan_config_selectorIlEEZZNS1_9scan_implILNS1_25lookback_scan_determinismE0ELb0ELb0ES3_PlS8_lN6thrust23THRUST_200600_302600_NS4plusIvEElEEDaPvRmT3_T4_T5_mT6_P12ihipStream_tbENKUlT_T0_E_clISt17integral_constantIbLb0EESQ_EEDaSL_SM_EUlSL_E_NS1_11comp_targetILNS1_3genE10ELNS1_11target_archE1200ELNS1_3gpuE4ELNS1_3repE0EEENS1_30default_config_static_selectorELNS0_4arch9wavefront6targetE0EEEvT1_: ; @_ZN7rocprim17ROCPRIM_400000_NS6detail17trampoline_kernelINS0_14default_configENS1_20scan_config_selectorIlEEZZNS1_9scan_implILNS1_25lookback_scan_determinismE0ELb0ELb0ES3_PlS8_lN6thrust23THRUST_200600_302600_NS4plusIvEElEEDaPvRmT3_T4_T5_mT6_P12ihipStream_tbENKUlT_T0_E_clISt17integral_constantIbLb0EESQ_EEDaSL_SM_EUlSL_E_NS1_11comp_targetILNS1_3genE10ELNS1_11target_archE1200ELNS1_3gpuE4ELNS1_3repE0EEENS1_30default_config_static_selectorELNS0_4arch9wavefront6targetE0EEEvT1_
; %bb.0:
	.section	.rodata,"a",@progbits
	.p2align	6, 0x0
	.amdhsa_kernel _ZN7rocprim17ROCPRIM_400000_NS6detail17trampoline_kernelINS0_14default_configENS1_20scan_config_selectorIlEEZZNS1_9scan_implILNS1_25lookback_scan_determinismE0ELb0ELb0ES3_PlS8_lN6thrust23THRUST_200600_302600_NS4plusIvEElEEDaPvRmT3_T4_T5_mT6_P12ihipStream_tbENKUlT_T0_E_clISt17integral_constantIbLb0EESQ_EEDaSL_SM_EUlSL_E_NS1_11comp_targetILNS1_3genE10ELNS1_11target_archE1200ELNS1_3gpuE4ELNS1_3repE0EEENS1_30default_config_static_selectorELNS0_4arch9wavefront6targetE0EEEvT1_
		.amdhsa_group_segment_fixed_size 0
		.amdhsa_private_segment_fixed_size 0
		.amdhsa_kernarg_size 104
		.amdhsa_user_sgpr_count 2
		.amdhsa_user_sgpr_dispatch_ptr 0
		.amdhsa_user_sgpr_queue_ptr 0
		.amdhsa_user_sgpr_kernarg_segment_ptr 1
		.amdhsa_user_sgpr_dispatch_id 0
		.amdhsa_user_sgpr_kernarg_preload_length 0
		.amdhsa_user_sgpr_kernarg_preload_offset 0
		.amdhsa_user_sgpr_private_segment_size 0
		.amdhsa_wavefront_size32 1
		.amdhsa_uses_dynamic_stack 0
		.amdhsa_enable_private_segment 0
		.amdhsa_system_sgpr_workgroup_id_x 1
		.amdhsa_system_sgpr_workgroup_id_y 0
		.amdhsa_system_sgpr_workgroup_id_z 0
		.amdhsa_system_sgpr_workgroup_info 0
		.amdhsa_system_vgpr_workitem_id 0
		.amdhsa_next_free_vgpr 1
		.amdhsa_next_free_sgpr 1
		.amdhsa_named_barrier_count 0
		.amdhsa_reserve_vcc 0
		.amdhsa_float_round_mode_32 0
		.amdhsa_float_round_mode_16_64 0
		.amdhsa_float_denorm_mode_32 3
		.amdhsa_float_denorm_mode_16_64 3
		.amdhsa_fp16_overflow 0
		.amdhsa_memory_ordered 1
		.amdhsa_forward_progress 1
		.amdhsa_inst_pref_size 0
		.amdhsa_round_robin_scheduling 0
		.amdhsa_exception_fp_ieee_invalid_op 0
		.amdhsa_exception_fp_denorm_src 0
		.amdhsa_exception_fp_ieee_div_zero 0
		.amdhsa_exception_fp_ieee_overflow 0
		.amdhsa_exception_fp_ieee_underflow 0
		.amdhsa_exception_fp_ieee_inexact 0
		.amdhsa_exception_int_div_zero 0
	.end_amdhsa_kernel
	.section	.text._ZN7rocprim17ROCPRIM_400000_NS6detail17trampoline_kernelINS0_14default_configENS1_20scan_config_selectorIlEEZZNS1_9scan_implILNS1_25lookback_scan_determinismE0ELb0ELb0ES3_PlS8_lN6thrust23THRUST_200600_302600_NS4plusIvEElEEDaPvRmT3_T4_T5_mT6_P12ihipStream_tbENKUlT_T0_E_clISt17integral_constantIbLb0EESQ_EEDaSL_SM_EUlSL_E_NS1_11comp_targetILNS1_3genE10ELNS1_11target_archE1200ELNS1_3gpuE4ELNS1_3repE0EEENS1_30default_config_static_selectorELNS0_4arch9wavefront6targetE0EEEvT1_,"axG",@progbits,_ZN7rocprim17ROCPRIM_400000_NS6detail17trampoline_kernelINS0_14default_configENS1_20scan_config_selectorIlEEZZNS1_9scan_implILNS1_25lookback_scan_determinismE0ELb0ELb0ES3_PlS8_lN6thrust23THRUST_200600_302600_NS4plusIvEElEEDaPvRmT3_T4_T5_mT6_P12ihipStream_tbENKUlT_T0_E_clISt17integral_constantIbLb0EESQ_EEDaSL_SM_EUlSL_E_NS1_11comp_targetILNS1_3genE10ELNS1_11target_archE1200ELNS1_3gpuE4ELNS1_3repE0EEENS1_30default_config_static_selectorELNS0_4arch9wavefront6targetE0EEEvT1_,comdat
.Lfunc_end90:
	.size	_ZN7rocprim17ROCPRIM_400000_NS6detail17trampoline_kernelINS0_14default_configENS1_20scan_config_selectorIlEEZZNS1_9scan_implILNS1_25lookback_scan_determinismE0ELb0ELb0ES3_PlS8_lN6thrust23THRUST_200600_302600_NS4plusIvEElEEDaPvRmT3_T4_T5_mT6_P12ihipStream_tbENKUlT_T0_E_clISt17integral_constantIbLb0EESQ_EEDaSL_SM_EUlSL_E_NS1_11comp_targetILNS1_3genE10ELNS1_11target_archE1200ELNS1_3gpuE4ELNS1_3repE0EEENS1_30default_config_static_selectorELNS0_4arch9wavefront6targetE0EEEvT1_, .Lfunc_end90-_ZN7rocprim17ROCPRIM_400000_NS6detail17trampoline_kernelINS0_14default_configENS1_20scan_config_selectorIlEEZZNS1_9scan_implILNS1_25lookback_scan_determinismE0ELb0ELb0ES3_PlS8_lN6thrust23THRUST_200600_302600_NS4plusIvEElEEDaPvRmT3_T4_T5_mT6_P12ihipStream_tbENKUlT_T0_E_clISt17integral_constantIbLb0EESQ_EEDaSL_SM_EUlSL_E_NS1_11comp_targetILNS1_3genE10ELNS1_11target_archE1200ELNS1_3gpuE4ELNS1_3repE0EEENS1_30default_config_static_selectorELNS0_4arch9wavefront6targetE0EEEvT1_
                                        ; -- End function
	.set _ZN7rocprim17ROCPRIM_400000_NS6detail17trampoline_kernelINS0_14default_configENS1_20scan_config_selectorIlEEZZNS1_9scan_implILNS1_25lookback_scan_determinismE0ELb0ELb0ES3_PlS8_lN6thrust23THRUST_200600_302600_NS4plusIvEElEEDaPvRmT3_T4_T5_mT6_P12ihipStream_tbENKUlT_T0_E_clISt17integral_constantIbLb0EESQ_EEDaSL_SM_EUlSL_E_NS1_11comp_targetILNS1_3genE10ELNS1_11target_archE1200ELNS1_3gpuE4ELNS1_3repE0EEENS1_30default_config_static_selectorELNS0_4arch9wavefront6targetE0EEEvT1_.num_vgpr, 0
	.set _ZN7rocprim17ROCPRIM_400000_NS6detail17trampoline_kernelINS0_14default_configENS1_20scan_config_selectorIlEEZZNS1_9scan_implILNS1_25lookback_scan_determinismE0ELb0ELb0ES3_PlS8_lN6thrust23THRUST_200600_302600_NS4plusIvEElEEDaPvRmT3_T4_T5_mT6_P12ihipStream_tbENKUlT_T0_E_clISt17integral_constantIbLb0EESQ_EEDaSL_SM_EUlSL_E_NS1_11comp_targetILNS1_3genE10ELNS1_11target_archE1200ELNS1_3gpuE4ELNS1_3repE0EEENS1_30default_config_static_selectorELNS0_4arch9wavefront6targetE0EEEvT1_.num_agpr, 0
	.set _ZN7rocprim17ROCPRIM_400000_NS6detail17trampoline_kernelINS0_14default_configENS1_20scan_config_selectorIlEEZZNS1_9scan_implILNS1_25lookback_scan_determinismE0ELb0ELb0ES3_PlS8_lN6thrust23THRUST_200600_302600_NS4plusIvEElEEDaPvRmT3_T4_T5_mT6_P12ihipStream_tbENKUlT_T0_E_clISt17integral_constantIbLb0EESQ_EEDaSL_SM_EUlSL_E_NS1_11comp_targetILNS1_3genE10ELNS1_11target_archE1200ELNS1_3gpuE4ELNS1_3repE0EEENS1_30default_config_static_selectorELNS0_4arch9wavefront6targetE0EEEvT1_.numbered_sgpr, 0
	.set _ZN7rocprim17ROCPRIM_400000_NS6detail17trampoline_kernelINS0_14default_configENS1_20scan_config_selectorIlEEZZNS1_9scan_implILNS1_25lookback_scan_determinismE0ELb0ELb0ES3_PlS8_lN6thrust23THRUST_200600_302600_NS4plusIvEElEEDaPvRmT3_T4_T5_mT6_P12ihipStream_tbENKUlT_T0_E_clISt17integral_constantIbLb0EESQ_EEDaSL_SM_EUlSL_E_NS1_11comp_targetILNS1_3genE10ELNS1_11target_archE1200ELNS1_3gpuE4ELNS1_3repE0EEENS1_30default_config_static_selectorELNS0_4arch9wavefront6targetE0EEEvT1_.num_named_barrier, 0
	.set _ZN7rocprim17ROCPRIM_400000_NS6detail17trampoline_kernelINS0_14default_configENS1_20scan_config_selectorIlEEZZNS1_9scan_implILNS1_25lookback_scan_determinismE0ELb0ELb0ES3_PlS8_lN6thrust23THRUST_200600_302600_NS4plusIvEElEEDaPvRmT3_T4_T5_mT6_P12ihipStream_tbENKUlT_T0_E_clISt17integral_constantIbLb0EESQ_EEDaSL_SM_EUlSL_E_NS1_11comp_targetILNS1_3genE10ELNS1_11target_archE1200ELNS1_3gpuE4ELNS1_3repE0EEENS1_30default_config_static_selectorELNS0_4arch9wavefront6targetE0EEEvT1_.private_seg_size, 0
	.set _ZN7rocprim17ROCPRIM_400000_NS6detail17trampoline_kernelINS0_14default_configENS1_20scan_config_selectorIlEEZZNS1_9scan_implILNS1_25lookback_scan_determinismE0ELb0ELb0ES3_PlS8_lN6thrust23THRUST_200600_302600_NS4plusIvEElEEDaPvRmT3_T4_T5_mT6_P12ihipStream_tbENKUlT_T0_E_clISt17integral_constantIbLb0EESQ_EEDaSL_SM_EUlSL_E_NS1_11comp_targetILNS1_3genE10ELNS1_11target_archE1200ELNS1_3gpuE4ELNS1_3repE0EEENS1_30default_config_static_selectorELNS0_4arch9wavefront6targetE0EEEvT1_.uses_vcc, 0
	.set _ZN7rocprim17ROCPRIM_400000_NS6detail17trampoline_kernelINS0_14default_configENS1_20scan_config_selectorIlEEZZNS1_9scan_implILNS1_25lookback_scan_determinismE0ELb0ELb0ES3_PlS8_lN6thrust23THRUST_200600_302600_NS4plusIvEElEEDaPvRmT3_T4_T5_mT6_P12ihipStream_tbENKUlT_T0_E_clISt17integral_constantIbLb0EESQ_EEDaSL_SM_EUlSL_E_NS1_11comp_targetILNS1_3genE10ELNS1_11target_archE1200ELNS1_3gpuE4ELNS1_3repE0EEENS1_30default_config_static_selectorELNS0_4arch9wavefront6targetE0EEEvT1_.uses_flat_scratch, 0
	.set _ZN7rocprim17ROCPRIM_400000_NS6detail17trampoline_kernelINS0_14default_configENS1_20scan_config_selectorIlEEZZNS1_9scan_implILNS1_25lookback_scan_determinismE0ELb0ELb0ES3_PlS8_lN6thrust23THRUST_200600_302600_NS4plusIvEElEEDaPvRmT3_T4_T5_mT6_P12ihipStream_tbENKUlT_T0_E_clISt17integral_constantIbLb0EESQ_EEDaSL_SM_EUlSL_E_NS1_11comp_targetILNS1_3genE10ELNS1_11target_archE1200ELNS1_3gpuE4ELNS1_3repE0EEENS1_30default_config_static_selectorELNS0_4arch9wavefront6targetE0EEEvT1_.has_dyn_sized_stack, 0
	.set _ZN7rocprim17ROCPRIM_400000_NS6detail17trampoline_kernelINS0_14default_configENS1_20scan_config_selectorIlEEZZNS1_9scan_implILNS1_25lookback_scan_determinismE0ELb0ELb0ES3_PlS8_lN6thrust23THRUST_200600_302600_NS4plusIvEElEEDaPvRmT3_T4_T5_mT6_P12ihipStream_tbENKUlT_T0_E_clISt17integral_constantIbLb0EESQ_EEDaSL_SM_EUlSL_E_NS1_11comp_targetILNS1_3genE10ELNS1_11target_archE1200ELNS1_3gpuE4ELNS1_3repE0EEENS1_30default_config_static_selectorELNS0_4arch9wavefront6targetE0EEEvT1_.has_recursion, 0
	.set _ZN7rocprim17ROCPRIM_400000_NS6detail17trampoline_kernelINS0_14default_configENS1_20scan_config_selectorIlEEZZNS1_9scan_implILNS1_25lookback_scan_determinismE0ELb0ELb0ES3_PlS8_lN6thrust23THRUST_200600_302600_NS4plusIvEElEEDaPvRmT3_T4_T5_mT6_P12ihipStream_tbENKUlT_T0_E_clISt17integral_constantIbLb0EESQ_EEDaSL_SM_EUlSL_E_NS1_11comp_targetILNS1_3genE10ELNS1_11target_archE1200ELNS1_3gpuE4ELNS1_3repE0EEENS1_30default_config_static_selectorELNS0_4arch9wavefront6targetE0EEEvT1_.has_indirect_call, 0
	.section	.AMDGPU.csdata,"",@progbits
; Kernel info:
; codeLenInByte = 0
; TotalNumSgprs: 0
; NumVgprs: 0
; ScratchSize: 0
; MemoryBound: 0
; FloatMode: 240
; IeeeMode: 1
; LDSByteSize: 0 bytes/workgroup (compile time only)
; SGPRBlocks: 0
; VGPRBlocks: 0
; NumSGPRsForWavesPerEU: 1
; NumVGPRsForWavesPerEU: 1
; NamedBarCnt: 0
; Occupancy: 16
; WaveLimiterHint : 0
; COMPUTE_PGM_RSRC2:SCRATCH_EN: 0
; COMPUTE_PGM_RSRC2:USER_SGPR: 2
; COMPUTE_PGM_RSRC2:TRAP_HANDLER: 0
; COMPUTE_PGM_RSRC2:TGID_X_EN: 1
; COMPUTE_PGM_RSRC2:TGID_Y_EN: 0
; COMPUTE_PGM_RSRC2:TGID_Z_EN: 0
; COMPUTE_PGM_RSRC2:TIDIG_COMP_CNT: 0
	.section	.text._ZN7rocprim17ROCPRIM_400000_NS6detail17trampoline_kernelINS0_14default_configENS1_20scan_config_selectorIlEEZZNS1_9scan_implILNS1_25lookback_scan_determinismE0ELb0ELb0ES3_PlS8_lN6thrust23THRUST_200600_302600_NS4plusIvEElEEDaPvRmT3_T4_T5_mT6_P12ihipStream_tbENKUlT_T0_E_clISt17integral_constantIbLb0EESQ_EEDaSL_SM_EUlSL_E_NS1_11comp_targetILNS1_3genE9ELNS1_11target_archE1100ELNS1_3gpuE3ELNS1_3repE0EEENS1_30default_config_static_selectorELNS0_4arch9wavefront6targetE0EEEvT1_,"axG",@progbits,_ZN7rocprim17ROCPRIM_400000_NS6detail17trampoline_kernelINS0_14default_configENS1_20scan_config_selectorIlEEZZNS1_9scan_implILNS1_25lookback_scan_determinismE0ELb0ELb0ES3_PlS8_lN6thrust23THRUST_200600_302600_NS4plusIvEElEEDaPvRmT3_T4_T5_mT6_P12ihipStream_tbENKUlT_T0_E_clISt17integral_constantIbLb0EESQ_EEDaSL_SM_EUlSL_E_NS1_11comp_targetILNS1_3genE9ELNS1_11target_archE1100ELNS1_3gpuE3ELNS1_3repE0EEENS1_30default_config_static_selectorELNS0_4arch9wavefront6targetE0EEEvT1_,comdat
	.protected	_ZN7rocprim17ROCPRIM_400000_NS6detail17trampoline_kernelINS0_14default_configENS1_20scan_config_selectorIlEEZZNS1_9scan_implILNS1_25lookback_scan_determinismE0ELb0ELb0ES3_PlS8_lN6thrust23THRUST_200600_302600_NS4plusIvEElEEDaPvRmT3_T4_T5_mT6_P12ihipStream_tbENKUlT_T0_E_clISt17integral_constantIbLb0EESQ_EEDaSL_SM_EUlSL_E_NS1_11comp_targetILNS1_3genE9ELNS1_11target_archE1100ELNS1_3gpuE3ELNS1_3repE0EEENS1_30default_config_static_selectorELNS0_4arch9wavefront6targetE0EEEvT1_ ; -- Begin function _ZN7rocprim17ROCPRIM_400000_NS6detail17trampoline_kernelINS0_14default_configENS1_20scan_config_selectorIlEEZZNS1_9scan_implILNS1_25lookback_scan_determinismE0ELb0ELb0ES3_PlS8_lN6thrust23THRUST_200600_302600_NS4plusIvEElEEDaPvRmT3_T4_T5_mT6_P12ihipStream_tbENKUlT_T0_E_clISt17integral_constantIbLb0EESQ_EEDaSL_SM_EUlSL_E_NS1_11comp_targetILNS1_3genE9ELNS1_11target_archE1100ELNS1_3gpuE3ELNS1_3repE0EEENS1_30default_config_static_selectorELNS0_4arch9wavefront6targetE0EEEvT1_
	.globl	_ZN7rocprim17ROCPRIM_400000_NS6detail17trampoline_kernelINS0_14default_configENS1_20scan_config_selectorIlEEZZNS1_9scan_implILNS1_25lookback_scan_determinismE0ELb0ELb0ES3_PlS8_lN6thrust23THRUST_200600_302600_NS4plusIvEElEEDaPvRmT3_T4_T5_mT6_P12ihipStream_tbENKUlT_T0_E_clISt17integral_constantIbLb0EESQ_EEDaSL_SM_EUlSL_E_NS1_11comp_targetILNS1_3genE9ELNS1_11target_archE1100ELNS1_3gpuE3ELNS1_3repE0EEENS1_30default_config_static_selectorELNS0_4arch9wavefront6targetE0EEEvT1_
	.p2align	8
	.type	_ZN7rocprim17ROCPRIM_400000_NS6detail17trampoline_kernelINS0_14default_configENS1_20scan_config_selectorIlEEZZNS1_9scan_implILNS1_25lookback_scan_determinismE0ELb0ELb0ES3_PlS8_lN6thrust23THRUST_200600_302600_NS4plusIvEElEEDaPvRmT3_T4_T5_mT6_P12ihipStream_tbENKUlT_T0_E_clISt17integral_constantIbLb0EESQ_EEDaSL_SM_EUlSL_E_NS1_11comp_targetILNS1_3genE9ELNS1_11target_archE1100ELNS1_3gpuE3ELNS1_3repE0EEENS1_30default_config_static_selectorELNS0_4arch9wavefront6targetE0EEEvT1_,@function
_ZN7rocprim17ROCPRIM_400000_NS6detail17trampoline_kernelINS0_14default_configENS1_20scan_config_selectorIlEEZZNS1_9scan_implILNS1_25lookback_scan_determinismE0ELb0ELb0ES3_PlS8_lN6thrust23THRUST_200600_302600_NS4plusIvEElEEDaPvRmT3_T4_T5_mT6_P12ihipStream_tbENKUlT_T0_E_clISt17integral_constantIbLb0EESQ_EEDaSL_SM_EUlSL_E_NS1_11comp_targetILNS1_3genE9ELNS1_11target_archE1100ELNS1_3gpuE3ELNS1_3repE0EEENS1_30default_config_static_selectorELNS0_4arch9wavefront6targetE0EEEvT1_: ; @_ZN7rocprim17ROCPRIM_400000_NS6detail17trampoline_kernelINS0_14default_configENS1_20scan_config_selectorIlEEZZNS1_9scan_implILNS1_25lookback_scan_determinismE0ELb0ELb0ES3_PlS8_lN6thrust23THRUST_200600_302600_NS4plusIvEElEEDaPvRmT3_T4_T5_mT6_P12ihipStream_tbENKUlT_T0_E_clISt17integral_constantIbLb0EESQ_EEDaSL_SM_EUlSL_E_NS1_11comp_targetILNS1_3genE9ELNS1_11target_archE1100ELNS1_3gpuE3ELNS1_3repE0EEENS1_30default_config_static_selectorELNS0_4arch9wavefront6targetE0EEEvT1_
; %bb.0:
	.section	.rodata,"a",@progbits
	.p2align	6, 0x0
	.amdhsa_kernel _ZN7rocprim17ROCPRIM_400000_NS6detail17trampoline_kernelINS0_14default_configENS1_20scan_config_selectorIlEEZZNS1_9scan_implILNS1_25lookback_scan_determinismE0ELb0ELb0ES3_PlS8_lN6thrust23THRUST_200600_302600_NS4plusIvEElEEDaPvRmT3_T4_T5_mT6_P12ihipStream_tbENKUlT_T0_E_clISt17integral_constantIbLb0EESQ_EEDaSL_SM_EUlSL_E_NS1_11comp_targetILNS1_3genE9ELNS1_11target_archE1100ELNS1_3gpuE3ELNS1_3repE0EEENS1_30default_config_static_selectorELNS0_4arch9wavefront6targetE0EEEvT1_
		.amdhsa_group_segment_fixed_size 0
		.amdhsa_private_segment_fixed_size 0
		.amdhsa_kernarg_size 104
		.amdhsa_user_sgpr_count 2
		.amdhsa_user_sgpr_dispatch_ptr 0
		.amdhsa_user_sgpr_queue_ptr 0
		.amdhsa_user_sgpr_kernarg_segment_ptr 1
		.amdhsa_user_sgpr_dispatch_id 0
		.amdhsa_user_sgpr_kernarg_preload_length 0
		.amdhsa_user_sgpr_kernarg_preload_offset 0
		.amdhsa_user_sgpr_private_segment_size 0
		.amdhsa_wavefront_size32 1
		.amdhsa_uses_dynamic_stack 0
		.amdhsa_enable_private_segment 0
		.amdhsa_system_sgpr_workgroup_id_x 1
		.amdhsa_system_sgpr_workgroup_id_y 0
		.amdhsa_system_sgpr_workgroup_id_z 0
		.amdhsa_system_sgpr_workgroup_info 0
		.amdhsa_system_vgpr_workitem_id 0
		.amdhsa_next_free_vgpr 1
		.amdhsa_next_free_sgpr 1
		.amdhsa_named_barrier_count 0
		.amdhsa_reserve_vcc 0
		.amdhsa_float_round_mode_32 0
		.amdhsa_float_round_mode_16_64 0
		.amdhsa_float_denorm_mode_32 3
		.amdhsa_float_denorm_mode_16_64 3
		.amdhsa_fp16_overflow 0
		.amdhsa_memory_ordered 1
		.amdhsa_forward_progress 1
		.amdhsa_inst_pref_size 0
		.amdhsa_round_robin_scheduling 0
		.amdhsa_exception_fp_ieee_invalid_op 0
		.amdhsa_exception_fp_denorm_src 0
		.amdhsa_exception_fp_ieee_div_zero 0
		.amdhsa_exception_fp_ieee_overflow 0
		.amdhsa_exception_fp_ieee_underflow 0
		.amdhsa_exception_fp_ieee_inexact 0
		.amdhsa_exception_int_div_zero 0
	.end_amdhsa_kernel
	.section	.text._ZN7rocprim17ROCPRIM_400000_NS6detail17trampoline_kernelINS0_14default_configENS1_20scan_config_selectorIlEEZZNS1_9scan_implILNS1_25lookback_scan_determinismE0ELb0ELb0ES3_PlS8_lN6thrust23THRUST_200600_302600_NS4plusIvEElEEDaPvRmT3_T4_T5_mT6_P12ihipStream_tbENKUlT_T0_E_clISt17integral_constantIbLb0EESQ_EEDaSL_SM_EUlSL_E_NS1_11comp_targetILNS1_3genE9ELNS1_11target_archE1100ELNS1_3gpuE3ELNS1_3repE0EEENS1_30default_config_static_selectorELNS0_4arch9wavefront6targetE0EEEvT1_,"axG",@progbits,_ZN7rocprim17ROCPRIM_400000_NS6detail17trampoline_kernelINS0_14default_configENS1_20scan_config_selectorIlEEZZNS1_9scan_implILNS1_25lookback_scan_determinismE0ELb0ELb0ES3_PlS8_lN6thrust23THRUST_200600_302600_NS4plusIvEElEEDaPvRmT3_T4_T5_mT6_P12ihipStream_tbENKUlT_T0_E_clISt17integral_constantIbLb0EESQ_EEDaSL_SM_EUlSL_E_NS1_11comp_targetILNS1_3genE9ELNS1_11target_archE1100ELNS1_3gpuE3ELNS1_3repE0EEENS1_30default_config_static_selectorELNS0_4arch9wavefront6targetE0EEEvT1_,comdat
.Lfunc_end91:
	.size	_ZN7rocprim17ROCPRIM_400000_NS6detail17trampoline_kernelINS0_14default_configENS1_20scan_config_selectorIlEEZZNS1_9scan_implILNS1_25lookback_scan_determinismE0ELb0ELb0ES3_PlS8_lN6thrust23THRUST_200600_302600_NS4plusIvEElEEDaPvRmT3_T4_T5_mT6_P12ihipStream_tbENKUlT_T0_E_clISt17integral_constantIbLb0EESQ_EEDaSL_SM_EUlSL_E_NS1_11comp_targetILNS1_3genE9ELNS1_11target_archE1100ELNS1_3gpuE3ELNS1_3repE0EEENS1_30default_config_static_selectorELNS0_4arch9wavefront6targetE0EEEvT1_, .Lfunc_end91-_ZN7rocprim17ROCPRIM_400000_NS6detail17trampoline_kernelINS0_14default_configENS1_20scan_config_selectorIlEEZZNS1_9scan_implILNS1_25lookback_scan_determinismE0ELb0ELb0ES3_PlS8_lN6thrust23THRUST_200600_302600_NS4plusIvEElEEDaPvRmT3_T4_T5_mT6_P12ihipStream_tbENKUlT_T0_E_clISt17integral_constantIbLb0EESQ_EEDaSL_SM_EUlSL_E_NS1_11comp_targetILNS1_3genE9ELNS1_11target_archE1100ELNS1_3gpuE3ELNS1_3repE0EEENS1_30default_config_static_selectorELNS0_4arch9wavefront6targetE0EEEvT1_
                                        ; -- End function
	.set _ZN7rocprim17ROCPRIM_400000_NS6detail17trampoline_kernelINS0_14default_configENS1_20scan_config_selectorIlEEZZNS1_9scan_implILNS1_25lookback_scan_determinismE0ELb0ELb0ES3_PlS8_lN6thrust23THRUST_200600_302600_NS4plusIvEElEEDaPvRmT3_T4_T5_mT6_P12ihipStream_tbENKUlT_T0_E_clISt17integral_constantIbLb0EESQ_EEDaSL_SM_EUlSL_E_NS1_11comp_targetILNS1_3genE9ELNS1_11target_archE1100ELNS1_3gpuE3ELNS1_3repE0EEENS1_30default_config_static_selectorELNS0_4arch9wavefront6targetE0EEEvT1_.num_vgpr, 0
	.set _ZN7rocprim17ROCPRIM_400000_NS6detail17trampoline_kernelINS0_14default_configENS1_20scan_config_selectorIlEEZZNS1_9scan_implILNS1_25lookback_scan_determinismE0ELb0ELb0ES3_PlS8_lN6thrust23THRUST_200600_302600_NS4plusIvEElEEDaPvRmT3_T4_T5_mT6_P12ihipStream_tbENKUlT_T0_E_clISt17integral_constantIbLb0EESQ_EEDaSL_SM_EUlSL_E_NS1_11comp_targetILNS1_3genE9ELNS1_11target_archE1100ELNS1_3gpuE3ELNS1_3repE0EEENS1_30default_config_static_selectorELNS0_4arch9wavefront6targetE0EEEvT1_.num_agpr, 0
	.set _ZN7rocprim17ROCPRIM_400000_NS6detail17trampoline_kernelINS0_14default_configENS1_20scan_config_selectorIlEEZZNS1_9scan_implILNS1_25lookback_scan_determinismE0ELb0ELb0ES3_PlS8_lN6thrust23THRUST_200600_302600_NS4plusIvEElEEDaPvRmT3_T4_T5_mT6_P12ihipStream_tbENKUlT_T0_E_clISt17integral_constantIbLb0EESQ_EEDaSL_SM_EUlSL_E_NS1_11comp_targetILNS1_3genE9ELNS1_11target_archE1100ELNS1_3gpuE3ELNS1_3repE0EEENS1_30default_config_static_selectorELNS0_4arch9wavefront6targetE0EEEvT1_.numbered_sgpr, 0
	.set _ZN7rocprim17ROCPRIM_400000_NS6detail17trampoline_kernelINS0_14default_configENS1_20scan_config_selectorIlEEZZNS1_9scan_implILNS1_25lookback_scan_determinismE0ELb0ELb0ES3_PlS8_lN6thrust23THRUST_200600_302600_NS4plusIvEElEEDaPvRmT3_T4_T5_mT6_P12ihipStream_tbENKUlT_T0_E_clISt17integral_constantIbLb0EESQ_EEDaSL_SM_EUlSL_E_NS1_11comp_targetILNS1_3genE9ELNS1_11target_archE1100ELNS1_3gpuE3ELNS1_3repE0EEENS1_30default_config_static_selectorELNS0_4arch9wavefront6targetE0EEEvT1_.num_named_barrier, 0
	.set _ZN7rocprim17ROCPRIM_400000_NS6detail17trampoline_kernelINS0_14default_configENS1_20scan_config_selectorIlEEZZNS1_9scan_implILNS1_25lookback_scan_determinismE0ELb0ELb0ES3_PlS8_lN6thrust23THRUST_200600_302600_NS4plusIvEElEEDaPvRmT3_T4_T5_mT6_P12ihipStream_tbENKUlT_T0_E_clISt17integral_constantIbLb0EESQ_EEDaSL_SM_EUlSL_E_NS1_11comp_targetILNS1_3genE9ELNS1_11target_archE1100ELNS1_3gpuE3ELNS1_3repE0EEENS1_30default_config_static_selectorELNS0_4arch9wavefront6targetE0EEEvT1_.private_seg_size, 0
	.set _ZN7rocprim17ROCPRIM_400000_NS6detail17trampoline_kernelINS0_14default_configENS1_20scan_config_selectorIlEEZZNS1_9scan_implILNS1_25lookback_scan_determinismE0ELb0ELb0ES3_PlS8_lN6thrust23THRUST_200600_302600_NS4plusIvEElEEDaPvRmT3_T4_T5_mT6_P12ihipStream_tbENKUlT_T0_E_clISt17integral_constantIbLb0EESQ_EEDaSL_SM_EUlSL_E_NS1_11comp_targetILNS1_3genE9ELNS1_11target_archE1100ELNS1_3gpuE3ELNS1_3repE0EEENS1_30default_config_static_selectorELNS0_4arch9wavefront6targetE0EEEvT1_.uses_vcc, 0
	.set _ZN7rocprim17ROCPRIM_400000_NS6detail17trampoline_kernelINS0_14default_configENS1_20scan_config_selectorIlEEZZNS1_9scan_implILNS1_25lookback_scan_determinismE0ELb0ELb0ES3_PlS8_lN6thrust23THRUST_200600_302600_NS4plusIvEElEEDaPvRmT3_T4_T5_mT6_P12ihipStream_tbENKUlT_T0_E_clISt17integral_constantIbLb0EESQ_EEDaSL_SM_EUlSL_E_NS1_11comp_targetILNS1_3genE9ELNS1_11target_archE1100ELNS1_3gpuE3ELNS1_3repE0EEENS1_30default_config_static_selectorELNS0_4arch9wavefront6targetE0EEEvT1_.uses_flat_scratch, 0
	.set _ZN7rocprim17ROCPRIM_400000_NS6detail17trampoline_kernelINS0_14default_configENS1_20scan_config_selectorIlEEZZNS1_9scan_implILNS1_25lookback_scan_determinismE0ELb0ELb0ES3_PlS8_lN6thrust23THRUST_200600_302600_NS4plusIvEElEEDaPvRmT3_T4_T5_mT6_P12ihipStream_tbENKUlT_T0_E_clISt17integral_constantIbLb0EESQ_EEDaSL_SM_EUlSL_E_NS1_11comp_targetILNS1_3genE9ELNS1_11target_archE1100ELNS1_3gpuE3ELNS1_3repE0EEENS1_30default_config_static_selectorELNS0_4arch9wavefront6targetE0EEEvT1_.has_dyn_sized_stack, 0
	.set _ZN7rocprim17ROCPRIM_400000_NS6detail17trampoline_kernelINS0_14default_configENS1_20scan_config_selectorIlEEZZNS1_9scan_implILNS1_25lookback_scan_determinismE0ELb0ELb0ES3_PlS8_lN6thrust23THRUST_200600_302600_NS4plusIvEElEEDaPvRmT3_T4_T5_mT6_P12ihipStream_tbENKUlT_T0_E_clISt17integral_constantIbLb0EESQ_EEDaSL_SM_EUlSL_E_NS1_11comp_targetILNS1_3genE9ELNS1_11target_archE1100ELNS1_3gpuE3ELNS1_3repE0EEENS1_30default_config_static_selectorELNS0_4arch9wavefront6targetE0EEEvT1_.has_recursion, 0
	.set _ZN7rocprim17ROCPRIM_400000_NS6detail17trampoline_kernelINS0_14default_configENS1_20scan_config_selectorIlEEZZNS1_9scan_implILNS1_25lookback_scan_determinismE0ELb0ELb0ES3_PlS8_lN6thrust23THRUST_200600_302600_NS4plusIvEElEEDaPvRmT3_T4_T5_mT6_P12ihipStream_tbENKUlT_T0_E_clISt17integral_constantIbLb0EESQ_EEDaSL_SM_EUlSL_E_NS1_11comp_targetILNS1_3genE9ELNS1_11target_archE1100ELNS1_3gpuE3ELNS1_3repE0EEENS1_30default_config_static_selectorELNS0_4arch9wavefront6targetE0EEEvT1_.has_indirect_call, 0
	.section	.AMDGPU.csdata,"",@progbits
; Kernel info:
; codeLenInByte = 0
; TotalNumSgprs: 0
; NumVgprs: 0
; ScratchSize: 0
; MemoryBound: 0
; FloatMode: 240
; IeeeMode: 1
; LDSByteSize: 0 bytes/workgroup (compile time only)
; SGPRBlocks: 0
; VGPRBlocks: 0
; NumSGPRsForWavesPerEU: 1
; NumVGPRsForWavesPerEU: 1
; NamedBarCnt: 0
; Occupancy: 16
; WaveLimiterHint : 0
; COMPUTE_PGM_RSRC2:SCRATCH_EN: 0
; COMPUTE_PGM_RSRC2:USER_SGPR: 2
; COMPUTE_PGM_RSRC2:TRAP_HANDLER: 0
; COMPUTE_PGM_RSRC2:TGID_X_EN: 1
; COMPUTE_PGM_RSRC2:TGID_Y_EN: 0
; COMPUTE_PGM_RSRC2:TGID_Z_EN: 0
; COMPUTE_PGM_RSRC2:TIDIG_COMP_CNT: 0
	.section	.text._ZN7rocprim17ROCPRIM_400000_NS6detail17trampoline_kernelINS0_14default_configENS1_20scan_config_selectorIlEEZZNS1_9scan_implILNS1_25lookback_scan_determinismE0ELb0ELb0ES3_PlS8_lN6thrust23THRUST_200600_302600_NS4plusIvEElEEDaPvRmT3_T4_T5_mT6_P12ihipStream_tbENKUlT_T0_E_clISt17integral_constantIbLb0EESQ_EEDaSL_SM_EUlSL_E_NS1_11comp_targetILNS1_3genE8ELNS1_11target_archE1030ELNS1_3gpuE2ELNS1_3repE0EEENS1_30default_config_static_selectorELNS0_4arch9wavefront6targetE0EEEvT1_,"axG",@progbits,_ZN7rocprim17ROCPRIM_400000_NS6detail17trampoline_kernelINS0_14default_configENS1_20scan_config_selectorIlEEZZNS1_9scan_implILNS1_25lookback_scan_determinismE0ELb0ELb0ES3_PlS8_lN6thrust23THRUST_200600_302600_NS4plusIvEElEEDaPvRmT3_T4_T5_mT6_P12ihipStream_tbENKUlT_T0_E_clISt17integral_constantIbLb0EESQ_EEDaSL_SM_EUlSL_E_NS1_11comp_targetILNS1_3genE8ELNS1_11target_archE1030ELNS1_3gpuE2ELNS1_3repE0EEENS1_30default_config_static_selectorELNS0_4arch9wavefront6targetE0EEEvT1_,comdat
	.protected	_ZN7rocprim17ROCPRIM_400000_NS6detail17trampoline_kernelINS0_14default_configENS1_20scan_config_selectorIlEEZZNS1_9scan_implILNS1_25lookback_scan_determinismE0ELb0ELb0ES3_PlS8_lN6thrust23THRUST_200600_302600_NS4plusIvEElEEDaPvRmT3_T4_T5_mT6_P12ihipStream_tbENKUlT_T0_E_clISt17integral_constantIbLb0EESQ_EEDaSL_SM_EUlSL_E_NS1_11comp_targetILNS1_3genE8ELNS1_11target_archE1030ELNS1_3gpuE2ELNS1_3repE0EEENS1_30default_config_static_selectorELNS0_4arch9wavefront6targetE0EEEvT1_ ; -- Begin function _ZN7rocprim17ROCPRIM_400000_NS6detail17trampoline_kernelINS0_14default_configENS1_20scan_config_selectorIlEEZZNS1_9scan_implILNS1_25lookback_scan_determinismE0ELb0ELb0ES3_PlS8_lN6thrust23THRUST_200600_302600_NS4plusIvEElEEDaPvRmT3_T4_T5_mT6_P12ihipStream_tbENKUlT_T0_E_clISt17integral_constantIbLb0EESQ_EEDaSL_SM_EUlSL_E_NS1_11comp_targetILNS1_3genE8ELNS1_11target_archE1030ELNS1_3gpuE2ELNS1_3repE0EEENS1_30default_config_static_selectorELNS0_4arch9wavefront6targetE0EEEvT1_
	.globl	_ZN7rocprim17ROCPRIM_400000_NS6detail17trampoline_kernelINS0_14default_configENS1_20scan_config_selectorIlEEZZNS1_9scan_implILNS1_25lookback_scan_determinismE0ELb0ELb0ES3_PlS8_lN6thrust23THRUST_200600_302600_NS4plusIvEElEEDaPvRmT3_T4_T5_mT6_P12ihipStream_tbENKUlT_T0_E_clISt17integral_constantIbLb0EESQ_EEDaSL_SM_EUlSL_E_NS1_11comp_targetILNS1_3genE8ELNS1_11target_archE1030ELNS1_3gpuE2ELNS1_3repE0EEENS1_30default_config_static_selectorELNS0_4arch9wavefront6targetE0EEEvT1_
	.p2align	8
	.type	_ZN7rocprim17ROCPRIM_400000_NS6detail17trampoline_kernelINS0_14default_configENS1_20scan_config_selectorIlEEZZNS1_9scan_implILNS1_25lookback_scan_determinismE0ELb0ELb0ES3_PlS8_lN6thrust23THRUST_200600_302600_NS4plusIvEElEEDaPvRmT3_T4_T5_mT6_P12ihipStream_tbENKUlT_T0_E_clISt17integral_constantIbLb0EESQ_EEDaSL_SM_EUlSL_E_NS1_11comp_targetILNS1_3genE8ELNS1_11target_archE1030ELNS1_3gpuE2ELNS1_3repE0EEENS1_30default_config_static_selectorELNS0_4arch9wavefront6targetE0EEEvT1_,@function
_ZN7rocprim17ROCPRIM_400000_NS6detail17trampoline_kernelINS0_14default_configENS1_20scan_config_selectorIlEEZZNS1_9scan_implILNS1_25lookback_scan_determinismE0ELb0ELb0ES3_PlS8_lN6thrust23THRUST_200600_302600_NS4plusIvEElEEDaPvRmT3_T4_T5_mT6_P12ihipStream_tbENKUlT_T0_E_clISt17integral_constantIbLb0EESQ_EEDaSL_SM_EUlSL_E_NS1_11comp_targetILNS1_3genE8ELNS1_11target_archE1030ELNS1_3gpuE2ELNS1_3repE0EEENS1_30default_config_static_selectorELNS0_4arch9wavefront6targetE0EEEvT1_: ; @_ZN7rocprim17ROCPRIM_400000_NS6detail17trampoline_kernelINS0_14default_configENS1_20scan_config_selectorIlEEZZNS1_9scan_implILNS1_25lookback_scan_determinismE0ELb0ELb0ES3_PlS8_lN6thrust23THRUST_200600_302600_NS4plusIvEElEEDaPvRmT3_T4_T5_mT6_P12ihipStream_tbENKUlT_T0_E_clISt17integral_constantIbLb0EESQ_EEDaSL_SM_EUlSL_E_NS1_11comp_targetILNS1_3genE8ELNS1_11target_archE1030ELNS1_3gpuE2ELNS1_3repE0EEENS1_30default_config_static_selectorELNS0_4arch9wavefront6targetE0EEEvT1_
; %bb.0:
	.section	.rodata,"a",@progbits
	.p2align	6, 0x0
	.amdhsa_kernel _ZN7rocprim17ROCPRIM_400000_NS6detail17trampoline_kernelINS0_14default_configENS1_20scan_config_selectorIlEEZZNS1_9scan_implILNS1_25lookback_scan_determinismE0ELb0ELb0ES3_PlS8_lN6thrust23THRUST_200600_302600_NS4plusIvEElEEDaPvRmT3_T4_T5_mT6_P12ihipStream_tbENKUlT_T0_E_clISt17integral_constantIbLb0EESQ_EEDaSL_SM_EUlSL_E_NS1_11comp_targetILNS1_3genE8ELNS1_11target_archE1030ELNS1_3gpuE2ELNS1_3repE0EEENS1_30default_config_static_selectorELNS0_4arch9wavefront6targetE0EEEvT1_
		.amdhsa_group_segment_fixed_size 0
		.amdhsa_private_segment_fixed_size 0
		.amdhsa_kernarg_size 104
		.amdhsa_user_sgpr_count 2
		.amdhsa_user_sgpr_dispatch_ptr 0
		.amdhsa_user_sgpr_queue_ptr 0
		.amdhsa_user_sgpr_kernarg_segment_ptr 1
		.amdhsa_user_sgpr_dispatch_id 0
		.amdhsa_user_sgpr_kernarg_preload_length 0
		.amdhsa_user_sgpr_kernarg_preload_offset 0
		.amdhsa_user_sgpr_private_segment_size 0
		.amdhsa_wavefront_size32 1
		.amdhsa_uses_dynamic_stack 0
		.amdhsa_enable_private_segment 0
		.amdhsa_system_sgpr_workgroup_id_x 1
		.amdhsa_system_sgpr_workgroup_id_y 0
		.amdhsa_system_sgpr_workgroup_id_z 0
		.amdhsa_system_sgpr_workgroup_info 0
		.amdhsa_system_vgpr_workitem_id 0
		.amdhsa_next_free_vgpr 1
		.amdhsa_next_free_sgpr 1
		.amdhsa_named_barrier_count 0
		.amdhsa_reserve_vcc 0
		.amdhsa_float_round_mode_32 0
		.amdhsa_float_round_mode_16_64 0
		.amdhsa_float_denorm_mode_32 3
		.amdhsa_float_denorm_mode_16_64 3
		.amdhsa_fp16_overflow 0
		.amdhsa_memory_ordered 1
		.amdhsa_forward_progress 1
		.amdhsa_inst_pref_size 0
		.amdhsa_round_robin_scheduling 0
		.amdhsa_exception_fp_ieee_invalid_op 0
		.amdhsa_exception_fp_denorm_src 0
		.amdhsa_exception_fp_ieee_div_zero 0
		.amdhsa_exception_fp_ieee_overflow 0
		.amdhsa_exception_fp_ieee_underflow 0
		.amdhsa_exception_fp_ieee_inexact 0
		.amdhsa_exception_int_div_zero 0
	.end_amdhsa_kernel
	.section	.text._ZN7rocprim17ROCPRIM_400000_NS6detail17trampoline_kernelINS0_14default_configENS1_20scan_config_selectorIlEEZZNS1_9scan_implILNS1_25lookback_scan_determinismE0ELb0ELb0ES3_PlS8_lN6thrust23THRUST_200600_302600_NS4plusIvEElEEDaPvRmT3_T4_T5_mT6_P12ihipStream_tbENKUlT_T0_E_clISt17integral_constantIbLb0EESQ_EEDaSL_SM_EUlSL_E_NS1_11comp_targetILNS1_3genE8ELNS1_11target_archE1030ELNS1_3gpuE2ELNS1_3repE0EEENS1_30default_config_static_selectorELNS0_4arch9wavefront6targetE0EEEvT1_,"axG",@progbits,_ZN7rocprim17ROCPRIM_400000_NS6detail17trampoline_kernelINS0_14default_configENS1_20scan_config_selectorIlEEZZNS1_9scan_implILNS1_25lookback_scan_determinismE0ELb0ELb0ES3_PlS8_lN6thrust23THRUST_200600_302600_NS4plusIvEElEEDaPvRmT3_T4_T5_mT6_P12ihipStream_tbENKUlT_T0_E_clISt17integral_constantIbLb0EESQ_EEDaSL_SM_EUlSL_E_NS1_11comp_targetILNS1_3genE8ELNS1_11target_archE1030ELNS1_3gpuE2ELNS1_3repE0EEENS1_30default_config_static_selectorELNS0_4arch9wavefront6targetE0EEEvT1_,comdat
.Lfunc_end92:
	.size	_ZN7rocprim17ROCPRIM_400000_NS6detail17trampoline_kernelINS0_14default_configENS1_20scan_config_selectorIlEEZZNS1_9scan_implILNS1_25lookback_scan_determinismE0ELb0ELb0ES3_PlS8_lN6thrust23THRUST_200600_302600_NS4plusIvEElEEDaPvRmT3_T4_T5_mT6_P12ihipStream_tbENKUlT_T0_E_clISt17integral_constantIbLb0EESQ_EEDaSL_SM_EUlSL_E_NS1_11comp_targetILNS1_3genE8ELNS1_11target_archE1030ELNS1_3gpuE2ELNS1_3repE0EEENS1_30default_config_static_selectorELNS0_4arch9wavefront6targetE0EEEvT1_, .Lfunc_end92-_ZN7rocprim17ROCPRIM_400000_NS6detail17trampoline_kernelINS0_14default_configENS1_20scan_config_selectorIlEEZZNS1_9scan_implILNS1_25lookback_scan_determinismE0ELb0ELb0ES3_PlS8_lN6thrust23THRUST_200600_302600_NS4plusIvEElEEDaPvRmT3_T4_T5_mT6_P12ihipStream_tbENKUlT_T0_E_clISt17integral_constantIbLb0EESQ_EEDaSL_SM_EUlSL_E_NS1_11comp_targetILNS1_3genE8ELNS1_11target_archE1030ELNS1_3gpuE2ELNS1_3repE0EEENS1_30default_config_static_selectorELNS0_4arch9wavefront6targetE0EEEvT1_
                                        ; -- End function
	.set _ZN7rocprim17ROCPRIM_400000_NS6detail17trampoline_kernelINS0_14default_configENS1_20scan_config_selectorIlEEZZNS1_9scan_implILNS1_25lookback_scan_determinismE0ELb0ELb0ES3_PlS8_lN6thrust23THRUST_200600_302600_NS4plusIvEElEEDaPvRmT3_T4_T5_mT6_P12ihipStream_tbENKUlT_T0_E_clISt17integral_constantIbLb0EESQ_EEDaSL_SM_EUlSL_E_NS1_11comp_targetILNS1_3genE8ELNS1_11target_archE1030ELNS1_3gpuE2ELNS1_3repE0EEENS1_30default_config_static_selectorELNS0_4arch9wavefront6targetE0EEEvT1_.num_vgpr, 0
	.set _ZN7rocprim17ROCPRIM_400000_NS6detail17trampoline_kernelINS0_14default_configENS1_20scan_config_selectorIlEEZZNS1_9scan_implILNS1_25lookback_scan_determinismE0ELb0ELb0ES3_PlS8_lN6thrust23THRUST_200600_302600_NS4plusIvEElEEDaPvRmT3_T4_T5_mT6_P12ihipStream_tbENKUlT_T0_E_clISt17integral_constantIbLb0EESQ_EEDaSL_SM_EUlSL_E_NS1_11comp_targetILNS1_3genE8ELNS1_11target_archE1030ELNS1_3gpuE2ELNS1_3repE0EEENS1_30default_config_static_selectorELNS0_4arch9wavefront6targetE0EEEvT1_.num_agpr, 0
	.set _ZN7rocprim17ROCPRIM_400000_NS6detail17trampoline_kernelINS0_14default_configENS1_20scan_config_selectorIlEEZZNS1_9scan_implILNS1_25lookback_scan_determinismE0ELb0ELb0ES3_PlS8_lN6thrust23THRUST_200600_302600_NS4plusIvEElEEDaPvRmT3_T4_T5_mT6_P12ihipStream_tbENKUlT_T0_E_clISt17integral_constantIbLb0EESQ_EEDaSL_SM_EUlSL_E_NS1_11comp_targetILNS1_3genE8ELNS1_11target_archE1030ELNS1_3gpuE2ELNS1_3repE0EEENS1_30default_config_static_selectorELNS0_4arch9wavefront6targetE0EEEvT1_.numbered_sgpr, 0
	.set _ZN7rocprim17ROCPRIM_400000_NS6detail17trampoline_kernelINS0_14default_configENS1_20scan_config_selectorIlEEZZNS1_9scan_implILNS1_25lookback_scan_determinismE0ELb0ELb0ES3_PlS8_lN6thrust23THRUST_200600_302600_NS4plusIvEElEEDaPvRmT3_T4_T5_mT6_P12ihipStream_tbENKUlT_T0_E_clISt17integral_constantIbLb0EESQ_EEDaSL_SM_EUlSL_E_NS1_11comp_targetILNS1_3genE8ELNS1_11target_archE1030ELNS1_3gpuE2ELNS1_3repE0EEENS1_30default_config_static_selectorELNS0_4arch9wavefront6targetE0EEEvT1_.num_named_barrier, 0
	.set _ZN7rocprim17ROCPRIM_400000_NS6detail17trampoline_kernelINS0_14default_configENS1_20scan_config_selectorIlEEZZNS1_9scan_implILNS1_25lookback_scan_determinismE0ELb0ELb0ES3_PlS8_lN6thrust23THRUST_200600_302600_NS4plusIvEElEEDaPvRmT3_T4_T5_mT6_P12ihipStream_tbENKUlT_T0_E_clISt17integral_constantIbLb0EESQ_EEDaSL_SM_EUlSL_E_NS1_11comp_targetILNS1_3genE8ELNS1_11target_archE1030ELNS1_3gpuE2ELNS1_3repE0EEENS1_30default_config_static_selectorELNS0_4arch9wavefront6targetE0EEEvT1_.private_seg_size, 0
	.set _ZN7rocprim17ROCPRIM_400000_NS6detail17trampoline_kernelINS0_14default_configENS1_20scan_config_selectorIlEEZZNS1_9scan_implILNS1_25lookback_scan_determinismE0ELb0ELb0ES3_PlS8_lN6thrust23THRUST_200600_302600_NS4plusIvEElEEDaPvRmT3_T4_T5_mT6_P12ihipStream_tbENKUlT_T0_E_clISt17integral_constantIbLb0EESQ_EEDaSL_SM_EUlSL_E_NS1_11comp_targetILNS1_3genE8ELNS1_11target_archE1030ELNS1_3gpuE2ELNS1_3repE0EEENS1_30default_config_static_selectorELNS0_4arch9wavefront6targetE0EEEvT1_.uses_vcc, 0
	.set _ZN7rocprim17ROCPRIM_400000_NS6detail17trampoline_kernelINS0_14default_configENS1_20scan_config_selectorIlEEZZNS1_9scan_implILNS1_25lookback_scan_determinismE0ELb0ELb0ES3_PlS8_lN6thrust23THRUST_200600_302600_NS4plusIvEElEEDaPvRmT3_T4_T5_mT6_P12ihipStream_tbENKUlT_T0_E_clISt17integral_constantIbLb0EESQ_EEDaSL_SM_EUlSL_E_NS1_11comp_targetILNS1_3genE8ELNS1_11target_archE1030ELNS1_3gpuE2ELNS1_3repE0EEENS1_30default_config_static_selectorELNS0_4arch9wavefront6targetE0EEEvT1_.uses_flat_scratch, 0
	.set _ZN7rocprim17ROCPRIM_400000_NS6detail17trampoline_kernelINS0_14default_configENS1_20scan_config_selectorIlEEZZNS1_9scan_implILNS1_25lookback_scan_determinismE0ELb0ELb0ES3_PlS8_lN6thrust23THRUST_200600_302600_NS4plusIvEElEEDaPvRmT3_T4_T5_mT6_P12ihipStream_tbENKUlT_T0_E_clISt17integral_constantIbLb0EESQ_EEDaSL_SM_EUlSL_E_NS1_11comp_targetILNS1_3genE8ELNS1_11target_archE1030ELNS1_3gpuE2ELNS1_3repE0EEENS1_30default_config_static_selectorELNS0_4arch9wavefront6targetE0EEEvT1_.has_dyn_sized_stack, 0
	.set _ZN7rocprim17ROCPRIM_400000_NS6detail17trampoline_kernelINS0_14default_configENS1_20scan_config_selectorIlEEZZNS1_9scan_implILNS1_25lookback_scan_determinismE0ELb0ELb0ES3_PlS8_lN6thrust23THRUST_200600_302600_NS4plusIvEElEEDaPvRmT3_T4_T5_mT6_P12ihipStream_tbENKUlT_T0_E_clISt17integral_constantIbLb0EESQ_EEDaSL_SM_EUlSL_E_NS1_11comp_targetILNS1_3genE8ELNS1_11target_archE1030ELNS1_3gpuE2ELNS1_3repE0EEENS1_30default_config_static_selectorELNS0_4arch9wavefront6targetE0EEEvT1_.has_recursion, 0
	.set _ZN7rocprim17ROCPRIM_400000_NS6detail17trampoline_kernelINS0_14default_configENS1_20scan_config_selectorIlEEZZNS1_9scan_implILNS1_25lookback_scan_determinismE0ELb0ELb0ES3_PlS8_lN6thrust23THRUST_200600_302600_NS4plusIvEElEEDaPvRmT3_T4_T5_mT6_P12ihipStream_tbENKUlT_T0_E_clISt17integral_constantIbLb0EESQ_EEDaSL_SM_EUlSL_E_NS1_11comp_targetILNS1_3genE8ELNS1_11target_archE1030ELNS1_3gpuE2ELNS1_3repE0EEENS1_30default_config_static_selectorELNS0_4arch9wavefront6targetE0EEEvT1_.has_indirect_call, 0
	.section	.AMDGPU.csdata,"",@progbits
; Kernel info:
; codeLenInByte = 0
; TotalNumSgprs: 0
; NumVgprs: 0
; ScratchSize: 0
; MemoryBound: 0
; FloatMode: 240
; IeeeMode: 1
; LDSByteSize: 0 bytes/workgroup (compile time only)
; SGPRBlocks: 0
; VGPRBlocks: 0
; NumSGPRsForWavesPerEU: 1
; NumVGPRsForWavesPerEU: 1
; NamedBarCnt: 0
; Occupancy: 16
; WaveLimiterHint : 0
; COMPUTE_PGM_RSRC2:SCRATCH_EN: 0
; COMPUTE_PGM_RSRC2:USER_SGPR: 2
; COMPUTE_PGM_RSRC2:TRAP_HANDLER: 0
; COMPUTE_PGM_RSRC2:TGID_X_EN: 1
; COMPUTE_PGM_RSRC2:TGID_Y_EN: 0
; COMPUTE_PGM_RSRC2:TGID_Z_EN: 0
; COMPUTE_PGM_RSRC2:TIDIG_COMP_CNT: 0
	.section	.text._ZN7rocprim17ROCPRIM_400000_NS6detail17trampoline_kernelINS0_14default_configENS1_20scan_config_selectorIlEEZZNS1_9scan_implILNS1_25lookback_scan_determinismE0ELb0ELb0ES3_PlS8_lN6thrust23THRUST_200600_302600_NS4plusIvEElEEDaPvRmT3_T4_T5_mT6_P12ihipStream_tbENKUlT_T0_E_clISt17integral_constantIbLb0EESQ_EEDaSL_SM_EUlSL_E0_NS1_11comp_targetILNS1_3genE0ELNS1_11target_archE4294967295ELNS1_3gpuE0ELNS1_3repE0EEENS1_30default_config_static_selectorELNS0_4arch9wavefront6targetE0EEEvT1_,"axG",@progbits,_ZN7rocprim17ROCPRIM_400000_NS6detail17trampoline_kernelINS0_14default_configENS1_20scan_config_selectorIlEEZZNS1_9scan_implILNS1_25lookback_scan_determinismE0ELb0ELb0ES3_PlS8_lN6thrust23THRUST_200600_302600_NS4plusIvEElEEDaPvRmT3_T4_T5_mT6_P12ihipStream_tbENKUlT_T0_E_clISt17integral_constantIbLb0EESQ_EEDaSL_SM_EUlSL_E0_NS1_11comp_targetILNS1_3genE0ELNS1_11target_archE4294967295ELNS1_3gpuE0ELNS1_3repE0EEENS1_30default_config_static_selectorELNS0_4arch9wavefront6targetE0EEEvT1_,comdat
	.protected	_ZN7rocprim17ROCPRIM_400000_NS6detail17trampoline_kernelINS0_14default_configENS1_20scan_config_selectorIlEEZZNS1_9scan_implILNS1_25lookback_scan_determinismE0ELb0ELb0ES3_PlS8_lN6thrust23THRUST_200600_302600_NS4plusIvEElEEDaPvRmT3_T4_T5_mT6_P12ihipStream_tbENKUlT_T0_E_clISt17integral_constantIbLb0EESQ_EEDaSL_SM_EUlSL_E0_NS1_11comp_targetILNS1_3genE0ELNS1_11target_archE4294967295ELNS1_3gpuE0ELNS1_3repE0EEENS1_30default_config_static_selectorELNS0_4arch9wavefront6targetE0EEEvT1_ ; -- Begin function _ZN7rocprim17ROCPRIM_400000_NS6detail17trampoline_kernelINS0_14default_configENS1_20scan_config_selectorIlEEZZNS1_9scan_implILNS1_25lookback_scan_determinismE0ELb0ELb0ES3_PlS8_lN6thrust23THRUST_200600_302600_NS4plusIvEElEEDaPvRmT3_T4_T5_mT6_P12ihipStream_tbENKUlT_T0_E_clISt17integral_constantIbLb0EESQ_EEDaSL_SM_EUlSL_E0_NS1_11comp_targetILNS1_3genE0ELNS1_11target_archE4294967295ELNS1_3gpuE0ELNS1_3repE0EEENS1_30default_config_static_selectorELNS0_4arch9wavefront6targetE0EEEvT1_
	.globl	_ZN7rocprim17ROCPRIM_400000_NS6detail17trampoline_kernelINS0_14default_configENS1_20scan_config_selectorIlEEZZNS1_9scan_implILNS1_25lookback_scan_determinismE0ELb0ELb0ES3_PlS8_lN6thrust23THRUST_200600_302600_NS4plusIvEElEEDaPvRmT3_T4_T5_mT6_P12ihipStream_tbENKUlT_T0_E_clISt17integral_constantIbLb0EESQ_EEDaSL_SM_EUlSL_E0_NS1_11comp_targetILNS1_3genE0ELNS1_11target_archE4294967295ELNS1_3gpuE0ELNS1_3repE0EEENS1_30default_config_static_selectorELNS0_4arch9wavefront6targetE0EEEvT1_
	.p2align	8
	.type	_ZN7rocprim17ROCPRIM_400000_NS6detail17trampoline_kernelINS0_14default_configENS1_20scan_config_selectorIlEEZZNS1_9scan_implILNS1_25lookback_scan_determinismE0ELb0ELb0ES3_PlS8_lN6thrust23THRUST_200600_302600_NS4plusIvEElEEDaPvRmT3_T4_T5_mT6_P12ihipStream_tbENKUlT_T0_E_clISt17integral_constantIbLb0EESQ_EEDaSL_SM_EUlSL_E0_NS1_11comp_targetILNS1_3genE0ELNS1_11target_archE4294967295ELNS1_3gpuE0ELNS1_3repE0EEENS1_30default_config_static_selectorELNS0_4arch9wavefront6targetE0EEEvT1_,@function
_ZN7rocprim17ROCPRIM_400000_NS6detail17trampoline_kernelINS0_14default_configENS1_20scan_config_selectorIlEEZZNS1_9scan_implILNS1_25lookback_scan_determinismE0ELb0ELb0ES3_PlS8_lN6thrust23THRUST_200600_302600_NS4plusIvEElEEDaPvRmT3_T4_T5_mT6_P12ihipStream_tbENKUlT_T0_E_clISt17integral_constantIbLb0EESQ_EEDaSL_SM_EUlSL_E0_NS1_11comp_targetILNS1_3genE0ELNS1_11target_archE4294967295ELNS1_3gpuE0ELNS1_3repE0EEENS1_30default_config_static_selectorELNS0_4arch9wavefront6targetE0EEEvT1_: ; @_ZN7rocprim17ROCPRIM_400000_NS6detail17trampoline_kernelINS0_14default_configENS1_20scan_config_selectorIlEEZZNS1_9scan_implILNS1_25lookback_scan_determinismE0ELb0ELb0ES3_PlS8_lN6thrust23THRUST_200600_302600_NS4plusIvEElEEDaPvRmT3_T4_T5_mT6_P12ihipStream_tbENKUlT_T0_E_clISt17integral_constantIbLb0EESQ_EEDaSL_SM_EUlSL_E0_NS1_11comp_targetILNS1_3genE0ELNS1_11target_archE4294967295ELNS1_3gpuE0ELNS1_3repE0EEENS1_30default_config_static_selectorELNS0_4arch9wavefront6targetE0EEEvT1_
; %bb.0:
	s_load_b128 s[8:11], s[0:1], 0x0
	s_wait_kmcnt 0x0
	v_cmp_gt_u32_e32 vcc_lo, s10, v0
	s_load_b64 s[12:13], s[8:9], 0x0
	s_wait_kmcnt 0x0
	v_mov_b64_e32 v[2:3], s[12:13]
	s_and_saveexec_b32 s2, vcc_lo
	s_cbranch_execz .LBB93_2
; %bb.1:
	global_load_b64 v[2:3], v0, s[8:9] scale_offset
.LBB93_2:
	s_wait_xcnt 0x0
	s_or_b32 exec_lo, exec_lo, s2
	v_or_b32_e32 v1, 0x100, v0
	v_mov_b64_e32 v[4:5], s[12:13]
	s_delay_alu instid0(VALU_DEP_2)
	v_cmp_gt_u32_e64 s2, s10, v1
	s_and_saveexec_b32 s3, s2
	s_cbranch_execz .LBB93_4
; %bb.3:
	global_load_b64 v[4:5], v0, s[8:9] offset:2048 scale_offset
.LBB93_4:
	s_wait_xcnt 0x0
	s_or_b32 exec_lo, exec_lo, s3
	v_or_b32_e32 v1, 0x200, v0
	v_mov_b64_e32 v[6:7], s[12:13]
	s_delay_alu instid0(VALU_DEP_2)
	v_cmp_gt_u32_e64 s3, s10, v1
	s_and_saveexec_b32 s4, s3
	s_cbranch_execz .LBB93_6
; %bb.5:
	global_load_b64 v[6:7], v0, s[8:9] offset:4096 scale_offset
.LBB93_6:
	;; [unrolled: 11-line block ×4, first 2 shown]
	s_wait_xcnt 0x0
	s_or_b32 exec_lo, exec_lo, s6
	v_or_b32_e32 v1, 0x500, v0
	s_delay_alu instid0(VALU_DEP_1) | instskip(SKIP_2) | instid1(SALU_CYCLE_1)
	v_cmp_gt_u32_e64 s6, s10, v1
	v_cmp_le_u32_e64 s7, s10, v1
	s_and_saveexec_b32 s10, s7
	s_xor_b32 s7, exec_lo, s10
	s_delay_alu instid0(SALU_CYCLE_1)
	s_or_saveexec_b32 s7, s7
	v_mov_b64_e32 v[12:13], s[12:13]
	s_xor_b32 exec_lo, exec_lo, s7
	s_cbranch_execz .LBB93_12
; %bb.11:
	global_load_b64 v[12:13], v0, s[8:9] offset:10240 scale_offset
.LBB93_12:
	s_wait_xcnt 0x0
	s_or_b32 exec_lo, exec_lo, s7
	v_lshlrev_b32_e32 v36, 3, v0
	s_mov_b32 s8, exec_lo
	s_wait_loadcnt 0x0
	ds_store_2addr_stride64_b64 v36, v[2:3], v[4:5] offset1:4
	ds_store_2addr_stride64_b64 v36, v[6:7], v[8:9] offset0:8 offset1:12
	ds_store_2addr_stride64_b64 v36, v[10:11], v[12:13] offset0:16 offset1:20
	v_mad_u32_u24 v1, v0, 40, v36
	s_wait_dscnt 0x0
	s_barrier_signal -1
	s_barrier_wait -1
	ds_load_b128 v[2:5], v1
	ds_load_b128 v[14:17], v1 offset:16
	ds_load_b128 v[18:21], v1 offset:32
	v_mbcnt_lo_u32_b32 v1, -1, 0
	s_wait_dscnt 0x0
	s_barrier_signal -1
	s_barrier_wait -1
	s_delay_alu instid0(VALU_DEP_1) | instskip(SKIP_1) | instid1(VALU_DEP_1)
	v_and_b32_e32 v32, 15, v1
	v_add_nc_u64_e32 v[22:23], v[4:5], v[2:3]
	v_add_nc_u64_e32 v[10:11], v[22:23], v[14:15]
	s_delay_alu instid0(VALU_DEP_1) | instskip(NEXT) | instid1(VALU_DEP_1)
	v_add_nc_u64_e32 v[12:13], v[10:11], v[16:17]
	v_add_nc_u64_e32 v[6:7], v[12:13], v[18:19]
	s_delay_alu instid0(VALU_DEP_1) | instskip(NEXT) | instid1(VALU_DEP_1)
	v_add_nc_u64_e32 v[8:9], v[6:7], v[20:21]
	v_mov_b64_e32 v[28:29], v[8:9]
	v_mov_b32_dpp v26, v8 row_shr:1 row_mask:0xf bank_mask:0xf
	v_mov_b32_dpp v31, v9 row_shr:1 row_mask:0xf bank_mask:0xf
	v_dual_mov_b32 v27, v9 :: v_dual_mov_b32 v24, v8
	v_cmpx_ne_u32_e32 0, v32
; %bb.13:
	v_mov_b32_e32 v30, 0
	s_delay_alu instid0(VALU_DEP_1) | instskip(NEXT) | instid1(VALU_DEP_1)
	v_mov_b32_e32 v27, v30
	v_add_nc_u64_e32 v[24:25], v[8:9], v[26:27]
	s_delay_alu instid0(VALU_DEP_1) | instskip(NEXT) | instid1(VALU_DEP_1)
	v_add_nc_u64_e32 v[26:27], v[30:31], v[24:25]
	v_mov_b64_e32 v[28:29], v[26:27]
; %bb.14:
	s_or_b32 exec_lo, exec_lo, s8
	v_mov_b32_dpp v26, v24 row_shr:2 row_mask:0xf bank_mask:0xf
	v_mov_b32_dpp v31, v27 row_shr:2 row_mask:0xf bank_mask:0xf
	s_mov_b32 s8, exec_lo
	v_cmpx_lt_u32_e32 1, v32
; %bb.15:
	v_mov_b32_e32 v30, 0
	s_delay_alu instid0(VALU_DEP_1) | instskip(NEXT) | instid1(VALU_DEP_1)
	v_mov_b32_e32 v27, v30
	v_add_nc_u64_e32 v[24:25], v[28:29], v[26:27]
	s_delay_alu instid0(VALU_DEP_1) | instskip(NEXT) | instid1(VALU_DEP_1)
	v_add_nc_u64_e32 v[26:27], v[30:31], v[24:25]
	v_mov_b64_e32 v[28:29], v[26:27]
; %bb.16:
	s_or_b32 exec_lo, exec_lo, s8
	v_mov_b32_dpp v26, v24 row_shr:4 row_mask:0xf bank_mask:0xf
	v_mov_b32_dpp v31, v27 row_shr:4 row_mask:0xf bank_mask:0xf
	s_mov_b32 s8, exec_lo
	v_cmpx_lt_u32_e32 3, v32
	;; [unrolled: 14-line block ×3, first 2 shown]
; %bb.19:
	v_mov_b32_e32 v30, 0
	s_delay_alu instid0(VALU_DEP_1) | instskip(NEXT) | instid1(VALU_DEP_1)
	v_mov_b32_e32 v27, v30
	v_add_nc_u64_e32 v[24:25], v[28:29], v[26:27]
	s_delay_alu instid0(VALU_DEP_1) | instskip(NEXT) | instid1(VALU_DEP_1)
	v_add_nc_u64_e32 v[28:29], v[30:31], v[24:25]
	v_mov_b32_e32 v27, v29
; %bb.20:
	s_or_b32 exec_lo, exec_lo, s8
	ds_swizzle_b32 v26, v24 offset:swizzle(BROADCAST,32,15)
	ds_swizzle_b32 v31, v27 offset:swizzle(BROADCAST,32,15)
	v_and_b32_e32 v25, 16, v1
	s_mov_b32 s8, exec_lo
	s_delay_alu instid0(VALU_DEP_1)
	v_cmpx_ne_u32_e32 0, v25
	s_cbranch_execz .LBB93_22
; %bb.21:
	v_mov_b32_e32 v30, 0
	s_delay_alu instid0(VALU_DEP_1) | instskip(SKIP_1) | instid1(VALU_DEP_1)
	v_mov_b32_e32 v27, v30
	s_wait_dscnt 0x1
	v_add_nc_u64_e32 v[24:25], v[28:29], v[26:27]
	s_wait_dscnt 0x0
	s_delay_alu instid0(VALU_DEP_1) | instskip(NEXT) | instid1(VALU_DEP_1)
	v_add_nc_u64_e32 v[26:27], v[30:31], v[24:25]
	v_mov_b64_e32 v[28:29], v[26:27]
.LBB93_22:
	s_or_b32 exec_lo, exec_lo, s8
	s_wait_dscnt 0x1
	v_dual_lshrrev_b32 v25, 5, v0 :: v_dual_bitop2_b32 v26, 31, v0 bitop3:0x54
	s_mov_b32 s8, exec_lo
	s_delay_alu instid0(VALU_DEP_1)
	v_cmpx_eq_u32_e64 v0, v26
; %bb.23:
	s_delay_alu instid0(VALU_DEP_2)
	v_lshlrev_b32_e32 v26, 3, v25
	ds_store_b64 v26, v[28:29]
; %bb.24:
	s_or_b32 exec_lo, exec_lo, s8
	s_delay_alu instid0(SALU_CYCLE_1)
	s_mov_b32 s8, exec_lo
	s_wait_dscnt 0x0
	s_barrier_signal -1
	s_barrier_wait -1
	v_cmpx_gt_u32_e32 8, v0
	s_cbranch_execz .LBB93_32
; %bb.25:
	ds_load_b64 v[28:29], v36
	v_and_b32_e32 v26, 7, v1
	s_mov_b32 s9, exec_lo
	s_wait_dscnt 0x0
	v_mov_b32_dpp v32, v28 row_shr:1 row_mask:0xf bank_mask:0xf
	v_mov_b32_dpp v35, v29 row_shr:1 row_mask:0xf bank_mask:0xf
	v_mov_b32_e32 v30, v28
	v_cmpx_ne_u32_e32 0, v26
; %bb.26:
	v_mov_b32_e32 v34, 0
	s_delay_alu instid0(VALU_DEP_1) | instskip(NEXT) | instid1(VALU_DEP_1)
	v_mov_b32_e32 v33, v34
	v_add_nc_u64_e32 v[30:31], v[28:29], v[32:33]
	s_delay_alu instid0(VALU_DEP_1)
	v_add_nc_u64_e32 v[28:29], v[34:35], v[30:31]
; %bb.27:
	s_or_b32 exec_lo, exec_lo, s9
	v_mov_b32_dpp v32, v30 row_shr:2 row_mask:0xf bank_mask:0xf
	s_delay_alu instid0(VALU_DEP_2)
	v_mov_b32_dpp v35, v29 row_shr:2 row_mask:0xf bank_mask:0xf
	s_mov_b32 s9, exec_lo
	v_cmpx_lt_u32_e32 1, v26
; %bb.28:
	v_mov_b32_e32 v34, 0
	s_delay_alu instid0(VALU_DEP_1) | instskip(NEXT) | instid1(VALU_DEP_1)
	v_mov_b32_e32 v33, v34
	v_add_nc_u64_e32 v[30:31], v[28:29], v[32:33]
	s_delay_alu instid0(VALU_DEP_1)
	v_add_nc_u64_e32 v[28:29], v[34:35], v[30:31]
; %bb.29:
	s_or_b32 exec_lo, exec_lo, s9
	v_mov_b32_dpp v30, v30 row_shr:4 row_mask:0xf bank_mask:0xf
	s_delay_alu instid0(VALU_DEP_2)
	v_mov_b32_dpp v33, v29 row_shr:4 row_mask:0xf bank_mask:0xf
	s_mov_b32 s9, exec_lo
	v_cmpx_lt_u32_e32 3, v26
; %bb.30:
	v_mov_b32_e32 v32, 0
	s_delay_alu instid0(VALU_DEP_1) | instskip(NEXT) | instid1(VALU_DEP_1)
	v_mov_b32_e32 v31, v32
	v_add_nc_u64_e32 v[28:29], v[28:29], v[30:31]
	s_delay_alu instid0(VALU_DEP_1)
	v_add_nc_u64_e32 v[28:29], v[28:29], v[32:33]
; %bb.31:
	s_or_b32 exec_lo, exec_lo, s9
	ds_store_b64 v36, v[28:29]
.LBB93_32:
	s_or_b32 exec_lo, exec_lo, s8
	s_load_b64 s[8:9], s[0:1], 0x20
	v_mul_u32_u24_e32 v30, 40, v0
	s_wait_xcnt 0x0
	s_mov_b32 s1, exec_lo
	s_wait_dscnt 0x0
	s_barrier_signal -1
	s_barrier_wait -1
                                        ; implicit-def: $vgpr28_vgpr29
	v_cmpx_lt_u32_e32 31, v0
	s_cbranch_execz .LBB93_34
; %bb.33:
	v_lshl_add_u32 v25, v25, 3, -8
	ds_load_b64 v[28:29], v25
	v_mov_b32_e32 v25, v27
	s_wait_dscnt 0x0
	s_delay_alu instid0(VALU_DEP_1) | instskip(NEXT) | instid1(VALU_DEP_1)
	v_add_nc_u64_e32 v[26:27], v[24:25], v[28:29]
	v_mov_b32_e32 v24, v26
.LBB93_34:
	s_or_b32 exec_lo, exec_lo, s1
	v_add_nc_u32_e32 v25, -1, v1
	s_mov_b32 s1, exec_lo
	s_delay_alu instid0(VALU_DEP_1) | instskip(NEXT) | instid1(VALU_DEP_1)
	v_cmp_gt_i32_e64 s0, 0, v25
	v_cndmask_b32_e64 v25, v25, v1, s0
	s_delay_alu instid0(VALU_DEP_1)
	v_lshlrev_b32_e32 v25, 2, v25
	ds_bpermute_b32 v24, v25, v24
	ds_bpermute_b32 v25, v25, v27
	v_cmpx_ne_u32_e32 0, v0
	s_cbranch_execz .LBB93_36
; %bb.35:
	v_cmp_eq_u32_e64 s0, 0, v1
	;;#ASMSTART
	;;#ASMEND
	s_wait_dscnt 0x0
	s_delay_alu instid0(VALU_DEP_1) | instskip(NEXT) | instid1(VALU_DEP_1)
	v_dual_cndmask_b32 v7, v25, v29, s0 :: v_dual_cndmask_b32 v6, v24, v28, s0
	v_add_nc_u64_e32 v[2:3], v[6:7], v[2:3]
	s_delay_alu instid0(VALU_DEP_1) | instskip(NEXT) | instid1(VALU_DEP_1)
	v_add_nc_u64_e32 v[22:23], v[2:3], v[4:5]
	v_add_nc_u64_e32 v[10:11], v[22:23], v[14:15]
	s_delay_alu instid0(VALU_DEP_1) | instskip(NEXT) | instid1(VALU_DEP_1)
	v_add_nc_u64_e32 v[12:13], v[10:11], v[16:17]
	v_add_nc_u64_e32 v[6:7], v[12:13], v[18:19]
	s_delay_alu instid0(VALU_DEP_1)
	v_add_nc_u64_e32 v[8:9], v[6:7], v[20:21]
.LBB93_36:
	s_or_b32 exec_lo, exec_lo, s1
	v_dual_mov_b32 v4, v22 :: v_dual_add_nc_u32 v1, v36, v30
	v_dual_mov_b32 v5, v23 :: v_dual_lshlrev_b32 v0, 3, v0
	s_wait_dscnt 0x0
	s_barrier_signal -1
	s_barrier_wait -1
	ds_store_b128 v1, v[2:5]
	ds_store_b128 v1, v[10:13] offset:16
	ds_store_b128 v1, v[6:9] offset:32
	s_wait_dscnt 0x0
	s_barrier_signal -1
	s_barrier_wait -1
	ds_load_2addr_stride64_b64 v[6:9], v36 offset0:4 offset1:8
	ds_load_2addr_stride64_b64 v[2:5], v36 offset0:12 offset1:16
	ds_load_b64 v[10:11], v36 offset:10240
	v_mov_b32_e32 v1, 0
	s_wait_kmcnt 0x0
	s_delay_alu instid0(VALU_DEP_1)
	v_add_nc_u64_e32 v[0:1], s[8:9], v[0:1]
	s_and_saveexec_b32 s0, vcc_lo
	s_cbranch_execnz .LBB93_43
; %bb.37:
	s_or_b32 exec_lo, exec_lo, s0
	s_and_saveexec_b32 s0, s2
	s_cbranch_execnz .LBB93_44
.LBB93_38:
	s_or_b32 exec_lo, exec_lo, s0
	s_and_saveexec_b32 s0, s3
	s_cbranch_execnz .LBB93_45
.LBB93_39:
	s_or_b32 exec_lo, exec_lo, s0
	s_and_saveexec_b32 s0, s4
	s_cbranch_execnz .LBB93_46
.LBB93_40:
	s_or_b32 exec_lo, exec_lo, s0
	s_and_saveexec_b32 s0, s5
	s_cbranch_execnz .LBB93_47
.LBB93_41:
	s_or_b32 exec_lo, exec_lo, s0
	s_and_saveexec_b32 s0, s6
	s_cbranch_execnz .LBB93_48
.LBB93_42:
	s_endpgm
.LBB93_43:
	ds_load_b64 v[12:13], v36
	s_wait_dscnt 0x0
	global_store_b64 v[0:1], v[12:13], off
	s_wait_xcnt 0x0
	s_or_b32 exec_lo, exec_lo, s0
	s_and_saveexec_b32 s0, s2
	s_cbranch_execz .LBB93_38
.LBB93_44:
	s_wait_dscnt 0x2
	global_store_b64 v[0:1], v[6:7], off offset:2048
	s_wait_xcnt 0x0
	s_or_b32 exec_lo, exec_lo, s0
	s_and_saveexec_b32 s0, s3
	s_cbranch_execz .LBB93_39
.LBB93_45:
	s_wait_dscnt 0x2
	global_store_b64 v[0:1], v[8:9], off offset:4096
	s_wait_xcnt 0x0
	s_or_b32 exec_lo, exec_lo, s0
	s_and_saveexec_b32 s0, s4
	s_cbranch_execz .LBB93_40
.LBB93_46:
	s_wait_dscnt 0x1
	global_store_b64 v[0:1], v[2:3], off offset:6144
	s_wait_xcnt 0x0
	s_or_b32 exec_lo, exec_lo, s0
	s_and_saveexec_b32 s0, s5
	s_cbranch_execz .LBB93_41
.LBB93_47:
	s_wait_dscnt 0x1
	global_store_b64 v[0:1], v[4:5], off offset:8192
	s_wait_xcnt 0x0
	s_or_b32 exec_lo, exec_lo, s0
	s_and_saveexec_b32 s0, s6
	s_cbranch_execz .LBB93_42
.LBB93_48:
	s_wait_dscnt 0x0
	global_store_b64 v[0:1], v[10:11], off offset:10240
	s_endpgm
	.section	.rodata,"a",@progbits
	.p2align	6, 0x0
	.amdhsa_kernel _ZN7rocprim17ROCPRIM_400000_NS6detail17trampoline_kernelINS0_14default_configENS1_20scan_config_selectorIlEEZZNS1_9scan_implILNS1_25lookback_scan_determinismE0ELb0ELb0ES3_PlS8_lN6thrust23THRUST_200600_302600_NS4plusIvEElEEDaPvRmT3_T4_T5_mT6_P12ihipStream_tbENKUlT_T0_E_clISt17integral_constantIbLb0EESQ_EEDaSL_SM_EUlSL_E0_NS1_11comp_targetILNS1_3genE0ELNS1_11target_archE4294967295ELNS1_3gpuE0ELNS1_3repE0EEENS1_30default_config_static_selectorELNS0_4arch9wavefront6targetE0EEEvT1_
		.amdhsa_group_segment_fixed_size 12288
		.amdhsa_private_segment_fixed_size 0
		.amdhsa_kernarg_size 40
		.amdhsa_user_sgpr_count 2
		.amdhsa_user_sgpr_dispatch_ptr 0
		.amdhsa_user_sgpr_queue_ptr 0
		.amdhsa_user_sgpr_kernarg_segment_ptr 1
		.amdhsa_user_sgpr_dispatch_id 0
		.amdhsa_user_sgpr_kernarg_preload_length 0
		.amdhsa_user_sgpr_kernarg_preload_offset 0
		.amdhsa_user_sgpr_private_segment_size 0
		.amdhsa_wavefront_size32 1
		.amdhsa_uses_dynamic_stack 0
		.amdhsa_enable_private_segment 0
		.amdhsa_system_sgpr_workgroup_id_x 1
		.amdhsa_system_sgpr_workgroup_id_y 0
		.amdhsa_system_sgpr_workgroup_id_z 0
		.amdhsa_system_sgpr_workgroup_info 0
		.amdhsa_system_vgpr_workitem_id 0
		.amdhsa_next_free_vgpr 37
		.amdhsa_next_free_sgpr 14
		.amdhsa_named_barrier_count 0
		.amdhsa_reserve_vcc 1
		.amdhsa_float_round_mode_32 0
		.amdhsa_float_round_mode_16_64 0
		.amdhsa_float_denorm_mode_32 3
		.amdhsa_float_denorm_mode_16_64 3
		.amdhsa_fp16_overflow 0
		.amdhsa_memory_ordered 1
		.amdhsa_forward_progress 1
		.amdhsa_inst_pref_size 13
		.amdhsa_round_robin_scheduling 0
		.amdhsa_exception_fp_ieee_invalid_op 0
		.amdhsa_exception_fp_denorm_src 0
		.amdhsa_exception_fp_ieee_div_zero 0
		.amdhsa_exception_fp_ieee_overflow 0
		.amdhsa_exception_fp_ieee_underflow 0
		.amdhsa_exception_fp_ieee_inexact 0
		.amdhsa_exception_int_div_zero 0
	.end_amdhsa_kernel
	.section	.text._ZN7rocprim17ROCPRIM_400000_NS6detail17trampoline_kernelINS0_14default_configENS1_20scan_config_selectorIlEEZZNS1_9scan_implILNS1_25lookback_scan_determinismE0ELb0ELb0ES3_PlS8_lN6thrust23THRUST_200600_302600_NS4plusIvEElEEDaPvRmT3_T4_T5_mT6_P12ihipStream_tbENKUlT_T0_E_clISt17integral_constantIbLb0EESQ_EEDaSL_SM_EUlSL_E0_NS1_11comp_targetILNS1_3genE0ELNS1_11target_archE4294967295ELNS1_3gpuE0ELNS1_3repE0EEENS1_30default_config_static_selectorELNS0_4arch9wavefront6targetE0EEEvT1_,"axG",@progbits,_ZN7rocprim17ROCPRIM_400000_NS6detail17trampoline_kernelINS0_14default_configENS1_20scan_config_selectorIlEEZZNS1_9scan_implILNS1_25lookback_scan_determinismE0ELb0ELb0ES3_PlS8_lN6thrust23THRUST_200600_302600_NS4plusIvEElEEDaPvRmT3_T4_T5_mT6_P12ihipStream_tbENKUlT_T0_E_clISt17integral_constantIbLb0EESQ_EEDaSL_SM_EUlSL_E0_NS1_11comp_targetILNS1_3genE0ELNS1_11target_archE4294967295ELNS1_3gpuE0ELNS1_3repE0EEENS1_30default_config_static_selectorELNS0_4arch9wavefront6targetE0EEEvT1_,comdat
.Lfunc_end93:
	.size	_ZN7rocprim17ROCPRIM_400000_NS6detail17trampoline_kernelINS0_14default_configENS1_20scan_config_selectorIlEEZZNS1_9scan_implILNS1_25lookback_scan_determinismE0ELb0ELb0ES3_PlS8_lN6thrust23THRUST_200600_302600_NS4plusIvEElEEDaPvRmT3_T4_T5_mT6_P12ihipStream_tbENKUlT_T0_E_clISt17integral_constantIbLb0EESQ_EEDaSL_SM_EUlSL_E0_NS1_11comp_targetILNS1_3genE0ELNS1_11target_archE4294967295ELNS1_3gpuE0ELNS1_3repE0EEENS1_30default_config_static_selectorELNS0_4arch9wavefront6targetE0EEEvT1_, .Lfunc_end93-_ZN7rocprim17ROCPRIM_400000_NS6detail17trampoline_kernelINS0_14default_configENS1_20scan_config_selectorIlEEZZNS1_9scan_implILNS1_25lookback_scan_determinismE0ELb0ELb0ES3_PlS8_lN6thrust23THRUST_200600_302600_NS4plusIvEElEEDaPvRmT3_T4_T5_mT6_P12ihipStream_tbENKUlT_T0_E_clISt17integral_constantIbLb0EESQ_EEDaSL_SM_EUlSL_E0_NS1_11comp_targetILNS1_3genE0ELNS1_11target_archE4294967295ELNS1_3gpuE0ELNS1_3repE0EEENS1_30default_config_static_selectorELNS0_4arch9wavefront6targetE0EEEvT1_
                                        ; -- End function
	.set _ZN7rocprim17ROCPRIM_400000_NS6detail17trampoline_kernelINS0_14default_configENS1_20scan_config_selectorIlEEZZNS1_9scan_implILNS1_25lookback_scan_determinismE0ELb0ELb0ES3_PlS8_lN6thrust23THRUST_200600_302600_NS4plusIvEElEEDaPvRmT3_T4_T5_mT6_P12ihipStream_tbENKUlT_T0_E_clISt17integral_constantIbLb0EESQ_EEDaSL_SM_EUlSL_E0_NS1_11comp_targetILNS1_3genE0ELNS1_11target_archE4294967295ELNS1_3gpuE0ELNS1_3repE0EEENS1_30default_config_static_selectorELNS0_4arch9wavefront6targetE0EEEvT1_.num_vgpr, 37
	.set _ZN7rocprim17ROCPRIM_400000_NS6detail17trampoline_kernelINS0_14default_configENS1_20scan_config_selectorIlEEZZNS1_9scan_implILNS1_25lookback_scan_determinismE0ELb0ELb0ES3_PlS8_lN6thrust23THRUST_200600_302600_NS4plusIvEElEEDaPvRmT3_T4_T5_mT6_P12ihipStream_tbENKUlT_T0_E_clISt17integral_constantIbLb0EESQ_EEDaSL_SM_EUlSL_E0_NS1_11comp_targetILNS1_3genE0ELNS1_11target_archE4294967295ELNS1_3gpuE0ELNS1_3repE0EEENS1_30default_config_static_selectorELNS0_4arch9wavefront6targetE0EEEvT1_.num_agpr, 0
	.set _ZN7rocprim17ROCPRIM_400000_NS6detail17trampoline_kernelINS0_14default_configENS1_20scan_config_selectorIlEEZZNS1_9scan_implILNS1_25lookback_scan_determinismE0ELb0ELb0ES3_PlS8_lN6thrust23THRUST_200600_302600_NS4plusIvEElEEDaPvRmT3_T4_T5_mT6_P12ihipStream_tbENKUlT_T0_E_clISt17integral_constantIbLb0EESQ_EEDaSL_SM_EUlSL_E0_NS1_11comp_targetILNS1_3genE0ELNS1_11target_archE4294967295ELNS1_3gpuE0ELNS1_3repE0EEENS1_30default_config_static_selectorELNS0_4arch9wavefront6targetE0EEEvT1_.numbered_sgpr, 14
	.set _ZN7rocprim17ROCPRIM_400000_NS6detail17trampoline_kernelINS0_14default_configENS1_20scan_config_selectorIlEEZZNS1_9scan_implILNS1_25lookback_scan_determinismE0ELb0ELb0ES3_PlS8_lN6thrust23THRUST_200600_302600_NS4plusIvEElEEDaPvRmT3_T4_T5_mT6_P12ihipStream_tbENKUlT_T0_E_clISt17integral_constantIbLb0EESQ_EEDaSL_SM_EUlSL_E0_NS1_11comp_targetILNS1_3genE0ELNS1_11target_archE4294967295ELNS1_3gpuE0ELNS1_3repE0EEENS1_30default_config_static_selectorELNS0_4arch9wavefront6targetE0EEEvT1_.num_named_barrier, 0
	.set _ZN7rocprim17ROCPRIM_400000_NS6detail17trampoline_kernelINS0_14default_configENS1_20scan_config_selectorIlEEZZNS1_9scan_implILNS1_25lookback_scan_determinismE0ELb0ELb0ES3_PlS8_lN6thrust23THRUST_200600_302600_NS4plusIvEElEEDaPvRmT3_T4_T5_mT6_P12ihipStream_tbENKUlT_T0_E_clISt17integral_constantIbLb0EESQ_EEDaSL_SM_EUlSL_E0_NS1_11comp_targetILNS1_3genE0ELNS1_11target_archE4294967295ELNS1_3gpuE0ELNS1_3repE0EEENS1_30default_config_static_selectorELNS0_4arch9wavefront6targetE0EEEvT1_.private_seg_size, 0
	.set _ZN7rocprim17ROCPRIM_400000_NS6detail17trampoline_kernelINS0_14default_configENS1_20scan_config_selectorIlEEZZNS1_9scan_implILNS1_25lookback_scan_determinismE0ELb0ELb0ES3_PlS8_lN6thrust23THRUST_200600_302600_NS4plusIvEElEEDaPvRmT3_T4_T5_mT6_P12ihipStream_tbENKUlT_T0_E_clISt17integral_constantIbLb0EESQ_EEDaSL_SM_EUlSL_E0_NS1_11comp_targetILNS1_3genE0ELNS1_11target_archE4294967295ELNS1_3gpuE0ELNS1_3repE0EEENS1_30default_config_static_selectorELNS0_4arch9wavefront6targetE0EEEvT1_.uses_vcc, 1
	.set _ZN7rocprim17ROCPRIM_400000_NS6detail17trampoline_kernelINS0_14default_configENS1_20scan_config_selectorIlEEZZNS1_9scan_implILNS1_25lookback_scan_determinismE0ELb0ELb0ES3_PlS8_lN6thrust23THRUST_200600_302600_NS4plusIvEElEEDaPvRmT3_T4_T5_mT6_P12ihipStream_tbENKUlT_T0_E_clISt17integral_constantIbLb0EESQ_EEDaSL_SM_EUlSL_E0_NS1_11comp_targetILNS1_3genE0ELNS1_11target_archE4294967295ELNS1_3gpuE0ELNS1_3repE0EEENS1_30default_config_static_selectorELNS0_4arch9wavefront6targetE0EEEvT1_.uses_flat_scratch, 0
	.set _ZN7rocprim17ROCPRIM_400000_NS6detail17trampoline_kernelINS0_14default_configENS1_20scan_config_selectorIlEEZZNS1_9scan_implILNS1_25lookback_scan_determinismE0ELb0ELb0ES3_PlS8_lN6thrust23THRUST_200600_302600_NS4plusIvEElEEDaPvRmT3_T4_T5_mT6_P12ihipStream_tbENKUlT_T0_E_clISt17integral_constantIbLb0EESQ_EEDaSL_SM_EUlSL_E0_NS1_11comp_targetILNS1_3genE0ELNS1_11target_archE4294967295ELNS1_3gpuE0ELNS1_3repE0EEENS1_30default_config_static_selectorELNS0_4arch9wavefront6targetE0EEEvT1_.has_dyn_sized_stack, 0
	.set _ZN7rocprim17ROCPRIM_400000_NS6detail17trampoline_kernelINS0_14default_configENS1_20scan_config_selectorIlEEZZNS1_9scan_implILNS1_25lookback_scan_determinismE0ELb0ELb0ES3_PlS8_lN6thrust23THRUST_200600_302600_NS4plusIvEElEEDaPvRmT3_T4_T5_mT6_P12ihipStream_tbENKUlT_T0_E_clISt17integral_constantIbLb0EESQ_EEDaSL_SM_EUlSL_E0_NS1_11comp_targetILNS1_3genE0ELNS1_11target_archE4294967295ELNS1_3gpuE0ELNS1_3repE0EEENS1_30default_config_static_selectorELNS0_4arch9wavefront6targetE0EEEvT1_.has_recursion, 0
	.set _ZN7rocprim17ROCPRIM_400000_NS6detail17trampoline_kernelINS0_14default_configENS1_20scan_config_selectorIlEEZZNS1_9scan_implILNS1_25lookback_scan_determinismE0ELb0ELb0ES3_PlS8_lN6thrust23THRUST_200600_302600_NS4plusIvEElEEDaPvRmT3_T4_T5_mT6_P12ihipStream_tbENKUlT_T0_E_clISt17integral_constantIbLb0EESQ_EEDaSL_SM_EUlSL_E0_NS1_11comp_targetILNS1_3genE0ELNS1_11target_archE4294967295ELNS1_3gpuE0ELNS1_3repE0EEENS1_30default_config_static_selectorELNS0_4arch9wavefront6targetE0EEEvT1_.has_indirect_call, 0
	.section	.AMDGPU.csdata,"",@progbits
; Kernel info:
; codeLenInByte = 1636
; TotalNumSgprs: 16
; NumVgprs: 37
; ScratchSize: 0
; MemoryBound: 0
; FloatMode: 240
; IeeeMode: 1
; LDSByteSize: 12288 bytes/workgroup (compile time only)
; SGPRBlocks: 0
; VGPRBlocks: 2
; NumSGPRsForWavesPerEU: 16
; NumVGPRsForWavesPerEU: 37
; NamedBarCnt: 0
; Occupancy: 16
; WaveLimiterHint : 0
; COMPUTE_PGM_RSRC2:SCRATCH_EN: 0
; COMPUTE_PGM_RSRC2:USER_SGPR: 2
; COMPUTE_PGM_RSRC2:TRAP_HANDLER: 0
; COMPUTE_PGM_RSRC2:TGID_X_EN: 1
; COMPUTE_PGM_RSRC2:TGID_Y_EN: 0
; COMPUTE_PGM_RSRC2:TGID_Z_EN: 0
; COMPUTE_PGM_RSRC2:TIDIG_COMP_CNT: 0
	.section	.text._ZN7rocprim17ROCPRIM_400000_NS6detail17trampoline_kernelINS0_14default_configENS1_20scan_config_selectorIlEEZZNS1_9scan_implILNS1_25lookback_scan_determinismE0ELb0ELb0ES3_PlS8_lN6thrust23THRUST_200600_302600_NS4plusIvEElEEDaPvRmT3_T4_T5_mT6_P12ihipStream_tbENKUlT_T0_E_clISt17integral_constantIbLb0EESQ_EEDaSL_SM_EUlSL_E0_NS1_11comp_targetILNS1_3genE5ELNS1_11target_archE942ELNS1_3gpuE9ELNS1_3repE0EEENS1_30default_config_static_selectorELNS0_4arch9wavefront6targetE0EEEvT1_,"axG",@progbits,_ZN7rocprim17ROCPRIM_400000_NS6detail17trampoline_kernelINS0_14default_configENS1_20scan_config_selectorIlEEZZNS1_9scan_implILNS1_25lookback_scan_determinismE0ELb0ELb0ES3_PlS8_lN6thrust23THRUST_200600_302600_NS4plusIvEElEEDaPvRmT3_T4_T5_mT6_P12ihipStream_tbENKUlT_T0_E_clISt17integral_constantIbLb0EESQ_EEDaSL_SM_EUlSL_E0_NS1_11comp_targetILNS1_3genE5ELNS1_11target_archE942ELNS1_3gpuE9ELNS1_3repE0EEENS1_30default_config_static_selectorELNS0_4arch9wavefront6targetE0EEEvT1_,comdat
	.protected	_ZN7rocprim17ROCPRIM_400000_NS6detail17trampoline_kernelINS0_14default_configENS1_20scan_config_selectorIlEEZZNS1_9scan_implILNS1_25lookback_scan_determinismE0ELb0ELb0ES3_PlS8_lN6thrust23THRUST_200600_302600_NS4plusIvEElEEDaPvRmT3_T4_T5_mT6_P12ihipStream_tbENKUlT_T0_E_clISt17integral_constantIbLb0EESQ_EEDaSL_SM_EUlSL_E0_NS1_11comp_targetILNS1_3genE5ELNS1_11target_archE942ELNS1_3gpuE9ELNS1_3repE0EEENS1_30default_config_static_selectorELNS0_4arch9wavefront6targetE0EEEvT1_ ; -- Begin function _ZN7rocprim17ROCPRIM_400000_NS6detail17trampoline_kernelINS0_14default_configENS1_20scan_config_selectorIlEEZZNS1_9scan_implILNS1_25lookback_scan_determinismE0ELb0ELb0ES3_PlS8_lN6thrust23THRUST_200600_302600_NS4plusIvEElEEDaPvRmT3_T4_T5_mT6_P12ihipStream_tbENKUlT_T0_E_clISt17integral_constantIbLb0EESQ_EEDaSL_SM_EUlSL_E0_NS1_11comp_targetILNS1_3genE5ELNS1_11target_archE942ELNS1_3gpuE9ELNS1_3repE0EEENS1_30default_config_static_selectorELNS0_4arch9wavefront6targetE0EEEvT1_
	.globl	_ZN7rocprim17ROCPRIM_400000_NS6detail17trampoline_kernelINS0_14default_configENS1_20scan_config_selectorIlEEZZNS1_9scan_implILNS1_25lookback_scan_determinismE0ELb0ELb0ES3_PlS8_lN6thrust23THRUST_200600_302600_NS4plusIvEElEEDaPvRmT3_T4_T5_mT6_P12ihipStream_tbENKUlT_T0_E_clISt17integral_constantIbLb0EESQ_EEDaSL_SM_EUlSL_E0_NS1_11comp_targetILNS1_3genE5ELNS1_11target_archE942ELNS1_3gpuE9ELNS1_3repE0EEENS1_30default_config_static_selectorELNS0_4arch9wavefront6targetE0EEEvT1_
	.p2align	8
	.type	_ZN7rocprim17ROCPRIM_400000_NS6detail17trampoline_kernelINS0_14default_configENS1_20scan_config_selectorIlEEZZNS1_9scan_implILNS1_25lookback_scan_determinismE0ELb0ELb0ES3_PlS8_lN6thrust23THRUST_200600_302600_NS4plusIvEElEEDaPvRmT3_T4_T5_mT6_P12ihipStream_tbENKUlT_T0_E_clISt17integral_constantIbLb0EESQ_EEDaSL_SM_EUlSL_E0_NS1_11comp_targetILNS1_3genE5ELNS1_11target_archE942ELNS1_3gpuE9ELNS1_3repE0EEENS1_30default_config_static_selectorELNS0_4arch9wavefront6targetE0EEEvT1_,@function
_ZN7rocprim17ROCPRIM_400000_NS6detail17trampoline_kernelINS0_14default_configENS1_20scan_config_selectorIlEEZZNS1_9scan_implILNS1_25lookback_scan_determinismE0ELb0ELb0ES3_PlS8_lN6thrust23THRUST_200600_302600_NS4plusIvEElEEDaPvRmT3_T4_T5_mT6_P12ihipStream_tbENKUlT_T0_E_clISt17integral_constantIbLb0EESQ_EEDaSL_SM_EUlSL_E0_NS1_11comp_targetILNS1_3genE5ELNS1_11target_archE942ELNS1_3gpuE9ELNS1_3repE0EEENS1_30default_config_static_selectorELNS0_4arch9wavefront6targetE0EEEvT1_: ; @_ZN7rocprim17ROCPRIM_400000_NS6detail17trampoline_kernelINS0_14default_configENS1_20scan_config_selectorIlEEZZNS1_9scan_implILNS1_25lookback_scan_determinismE0ELb0ELb0ES3_PlS8_lN6thrust23THRUST_200600_302600_NS4plusIvEElEEDaPvRmT3_T4_T5_mT6_P12ihipStream_tbENKUlT_T0_E_clISt17integral_constantIbLb0EESQ_EEDaSL_SM_EUlSL_E0_NS1_11comp_targetILNS1_3genE5ELNS1_11target_archE942ELNS1_3gpuE9ELNS1_3repE0EEENS1_30default_config_static_selectorELNS0_4arch9wavefront6targetE0EEEvT1_
; %bb.0:
	.section	.rodata,"a",@progbits
	.p2align	6, 0x0
	.amdhsa_kernel _ZN7rocprim17ROCPRIM_400000_NS6detail17trampoline_kernelINS0_14default_configENS1_20scan_config_selectorIlEEZZNS1_9scan_implILNS1_25lookback_scan_determinismE0ELb0ELb0ES3_PlS8_lN6thrust23THRUST_200600_302600_NS4plusIvEElEEDaPvRmT3_T4_T5_mT6_P12ihipStream_tbENKUlT_T0_E_clISt17integral_constantIbLb0EESQ_EEDaSL_SM_EUlSL_E0_NS1_11comp_targetILNS1_3genE5ELNS1_11target_archE942ELNS1_3gpuE9ELNS1_3repE0EEENS1_30default_config_static_selectorELNS0_4arch9wavefront6targetE0EEEvT1_
		.amdhsa_group_segment_fixed_size 0
		.amdhsa_private_segment_fixed_size 0
		.amdhsa_kernarg_size 40
		.amdhsa_user_sgpr_count 2
		.amdhsa_user_sgpr_dispatch_ptr 0
		.amdhsa_user_sgpr_queue_ptr 0
		.amdhsa_user_sgpr_kernarg_segment_ptr 1
		.amdhsa_user_sgpr_dispatch_id 0
		.amdhsa_user_sgpr_kernarg_preload_length 0
		.amdhsa_user_sgpr_kernarg_preload_offset 0
		.amdhsa_user_sgpr_private_segment_size 0
		.amdhsa_wavefront_size32 1
		.amdhsa_uses_dynamic_stack 0
		.amdhsa_enable_private_segment 0
		.amdhsa_system_sgpr_workgroup_id_x 1
		.amdhsa_system_sgpr_workgroup_id_y 0
		.amdhsa_system_sgpr_workgroup_id_z 0
		.amdhsa_system_sgpr_workgroup_info 0
		.amdhsa_system_vgpr_workitem_id 0
		.amdhsa_next_free_vgpr 1
		.amdhsa_next_free_sgpr 1
		.amdhsa_named_barrier_count 0
		.amdhsa_reserve_vcc 0
		.amdhsa_float_round_mode_32 0
		.amdhsa_float_round_mode_16_64 0
		.amdhsa_float_denorm_mode_32 3
		.amdhsa_float_denorm_mode_16_64 3
		.amdhsa_fp16_overflow 0
		.amdhsa_memory_ordered 1
		.amdhsa_forward_progress 1
		.amdhsa_inst_pref_size 0
		.amdhsa_round_robin_scheduling 0
		.amdhsa_exception_fp_ieee_invalid_op 0
		.amdhsa_exception_fp_denorm_src 0
		.amdhsa_exception_fp_ieee_div_zero 0
		.amdhsa_exception_fp_ieee_overflow 0
		.amdhsa_exception_fp_ieee_underflow 0
		.amdhsa_exception_fp_ieee_inexact 0
		.amdhsa_exception_int_div_zero 0
	.end_amdhsa_kernel
	.section	.text._ZN7rocprim17ROCPRIM_400000_NS6detail17trampoline_kernelINS0_14default_configENS1_20scan_config_selectorIlEEZZNS1_9scan_implILNS1_25lookback_scan_determinismE0ELb0ELb0ES3_PlS8_lN6thrust23THRUST_200600_302600_NS4plusIvEElEEDaPvRmT3_T4_T5_mT6_P12ihipStream_tbENKUlT_T0_E_clISt17integral_constantIbLb0EESQ_EEDaSL_SM_EUlSL_E0_NS1_11comp_targetILNS1_3genE5ELNS1_11target_archE942ELNS1_3gpuE9ELNS1_3repE0EEENS1_30default_config_static_selectorELNS0_4arch9wavefront6targetE0EEEvT1_,"axG",@progbits,_ZN7rocprim17ROCPRIM_400000_NS6detail17trampoline_kernelINS0_14default_configENS1_20scan_config_selectorIlEEZZNS1_9scan_implILNS1_25lookback_scan_determinismE0ELb0ELb0ES3_PlS8_lN6thrust23THRUST_200600_302600_NS4plusIvEElEEDaPvRmT3_T4_T5_mT6_P12ihipStream_tbENKUlT_T0_E_clISt17integral_constantIbLb0EESQ_EEDaSL_SM_EUlSL_E0_NS1_11comp_targetILNS1_3genE5ELNS1_11target_archE942ELNS1_3gpuE9ELNS1_3repE0EEENS1_30default_config_static_selectorELNS0_4arch9wavefront6targetE0EEEvT1_,comdat
.Lfunc_end94:
	.size	_ZN7rocprim17ROCPRIM_400000_NS6detail17trampoline_kernelINS0_14default_configENS1_20scan_config_selectorIlEEZZNS1_9scan_implILNS1_25lookback_scan_determinismE0ELb0ELb0ES3_PlS8_lN6thrust23THRUST_200600_302600_NS4plusIvEElEEDaPvRmT3_T4_T5_mT6_P12ihipStream_tbENKUlT_T0_E_clISt17integral_constantIbLb0EESQ_EEDaSL_SM_EUlSL_E0_NS1_11comp_targetILNS1_3genE5ELNS1_11target_archE942ELNS1_3gpuE9ELNS1_3repE0EEENS1_30default_config_static_selectorELNS0_4arch9wavefront6targetE0EEEvT1_, .Lfunc_end94-_ZN7rocprim17ROCPRIM_400000_NS6detail17trampoline_kernelINS0_14default_configENS1_20scan_config_selectorIlEEZZNS1_9scan_implILNS1_25lookback_scan_determinismE0ELb0ELb0ES3_PlS8_lN6thrust23THRUST_200600_302600_NS4plusIvEElEEDaPvRmT3_T4_T5_mT6_P12ihipStream_tbENKUlT_T0_E_clISt17integral_constantIbLb0EESQ_EEDaSL_SM_EUlSL_E0_NS1_11comp_targetILNS1_3genE5ELNS1_11target_archE942ELNS1_3gpuE9ELNS1_3repE0EEENS1_30default_config_static_selectorELNS0_4arch9wavefront6targetE0EEEvT1_
                                        ; -- End function
	.set _ZN7rocprim17ROCPRIM_400000_NS6detail17trampoline_kernelINS0_14default_configENS1_20scan_config_selectorIlEEZZNS1_9scan_implILNS1_25lookback_scan_determinismE0ELb0ELb0ES3_PlS8_lN6thrust23THRUST_200600_302600_NS4plusIvEElEEDaPvRmT3_T4_T5_mT6_P12ihipStream_tbENKUlT_T0_E_clISt17integral_constantIbLb0EESQ_EEDaSL_SM_EUlSL_E0_NS1_11comp_targetILNS1_3genE5ELNS1_11target_archE942ELNS1_3gpuE9ELNS1_3repE0EEENS1_30default_config_static_selectorELNS0_4arch9wavefront6targetE0EEEvT1_.num_vgpr, 0
	.set _ZN7rocprim17ROCPRIM_400000_NS6detail17trampoline_kernelINS0_14default_configENS1_20scan_config_selectorIlEEZZNS1_9scan_implILNS1_25lookback_scan_determinismE0ELb0ELb0ES3_PlS8_lN6thrust23THRUST_200600_302600_NS4plusIvEElEEDaPvRmT3_T4_T5_mT6_P12ihipStream_tbENKUlT_T0_E_clISt17integral_constantIbLb0EESQ_EEDaSL_SM_EUlSL_E0_NS1_11comp_targetILNS1_3genE5ELNS1_11target_archE942ELNS1_3gpuE9ELNS1_3repE0EEENS1_30default_config_static_selectorELNS0_4arch9wavefront6targetE0EEEvT1_.num_agpr, 0
	.set _ZN7rocprim17ROCPRIM_400000_NS6detail17trampoline_kernelINS0_14default_configENS1_20scan_config_selectorIlEEZZNS1_9scan_implILNS1_25lookback_scan_determinismE0ELb0ELb0ES3_PlS8_lN6thrust23THRUST_200600_302600_NS4plusIvEElEEDaPvRmT3_T4_T5_mT6_P12ihipStream_tbENKUlT_T0_E_clISt17integral_constantIbLb0EESQ_EEDaSL_SM_EUlSL_E0_NS1_11comp_targetILNS1_3genE5ELNS1_11target_archE942ELNS1_3gpuE9ELNS1_3repE0EEENS1_30default_config_static_selectorELNS0_4arch9wavefront6targetE0EEEvT1_.numbered_sgpr, 0
	.set _ZN7rocprim17ROCPRIM_400000_NS6detail17trampoline_kernelINS0_14default_configENS1_20scan_config_selectorIlEEZZNS1_9scan_implILNS1_25lookback_scan_determinismE0ELb0ELb0ES3_PlS8_lN6thrust23THRUST_200600_302600_NS4plusIvEElEEDaPvRmT3_T4_T5_mT6_P12ihipStream_tbENKUlT_T0_E_clISt17integral_constantIbLb0EESQ_EEDaSL_SM_EUlSL_E0_NS1_11comp_targetILNS1_3genE5ELNS1_11target_archE942ELNS1_3gpuE9ELNS1_3repE0EEENS1_30default_config_static_selectorELNS0_4arch9wavefront6targetE0EEEvT1_.num_named_barrier, 0
	.set _ZN7rocprim17ROCPRIM_400000_NS6detail17trampoline_kernelINS0_14default_configENS1_20scan_config_selectorIlEEZZNS1_9scan_implILNS1_25lookback_scan_determinismE0ELb0ELb0ES3_PlS8_lN6thrust23THRUST_200600_302600_NS4plusIvEElEEDaPvRmT3_T4_T5_mT6_P12ihipStream_tbENKUlT_T0_E_clISt17integral_constantIbLb0EESQ_EEDaSL_SM_EUlSL_E0_NS1_11comp_targetILNS1_3genE5ELNS1_11target_archE942ELNS1_3gpuE9ELNS1_3repE0EEENS1_30default_config_static_selectorELNS0_4arch9wavefront6targetE0EEEvT1_.private_seg_size, 0
	.set _ZN7rocprim17ROCPRIM_400000_NS6detail17trampoline_kernelINS0_14default_configENS1_20scan_config_selectorIlEEZZNS1_9scan_implILNS1_25lookback_scan_determinismE0ELb0ELb0ES3_PlS8_lN6thrust23THRUST_200600_302600_NS4plusIvEElEEDaPvRmT3_T4_T5_mT6_P12ihipStream_tbENKUlT_T0_E_clISt17integral_constantIbLb0EESQ_EEDaSL_SM_EUlSL_E0_NS1_11comp_targetILNS1_3genE5ELNS1_11target_archE942ELNS1_3gpuE9ELNS1_3repE0EEENS1_30default_config_static_selectorELNS0_4arch9wavefront6targetE0EEEvT1_.uses_vcc, 0
	.set _ZN7rocprim17ROCPRIM_400000_NS6detail17trampoline_kernelINS0_14default_configENS1_20scan_config_selectorIlEEZZNS1_9scan_implILNS1_25lookback_scan_determinismE0ELb0ELb0ES3_PlS8_lN6thrust23THRUST_200600_302600_NS4plusIvEElEEDaPvRmT3_T4_T5_mT6_P12ihipStream_tbENKUlT_T0_E_clISt17integral_constantIbLb0EESQ_EEDaSL_SM_EUlSL_E0_NS1_11comp_targetILNS1_3genE5ELNS1_11target_archE942ELNS1_3gpuE9ELNS1_3repE0EEENS1_30default_config_static_selectorELNS0_4arch9wavefront6targetE0EEEvT1_.uses_flat_scratch, 0
	.set _ZN7rocprim17ROCPRIM_400000_NS6detail17trampoline_kernelINS0_14default_configENS1_20scan_config_selectorIlEEZZNS1_9scan_implILNS1_25lookback_scan_determinismE0ELb0ELb0ES3_PlS8_lN6thrust23THRUST_200600_302600_NS4plusIvEElEEDaPvRmT3_T4_T5_mT6_P12ihipStream_tbENKUlT_T0_E_clISt17integral_constantIbLb0EESQ_EEDaSL_SM_EUlSL_E0_NS1_11comp_targetILNS1_3genE5ELNS1_11target_archE942ELNS1_3gpuE9ELNS1_3repE0EEENS1_30default_config_static_selectorELNS0_4arch9wavefront6targetE0EEEvT1_.has_dyn_sized_stack, 0
	.set _ZN7rocprim17ROCPRIM_400000_NS6detail17trampoline_kernelINS0_14default_configENS1_20scan_config_selectorIlEEZZNS1_9scan_implILNS1_25lookback_scan_determinismE0ELb0ELb0ES3_PlS8_lN6thrust23THRUST_200600_302600_NS4plusIvEElEEDaPvRmT3_T4_T5_mT6_P12ihipStream_tbENKUlT_T0_E_clISt17integral_constantIbLb0EESQ_EEDaSL_SM_EUlSL_E0_NS1_11comp_targetILNS1_3genE5ELNS1_11target_archE942ELNS1_3gpuE9ELNS1_3repE0EEENS1_30default_config_static_selectorELNS0_4arch9wavefront6targetE0EEEvT1_.has_recursion, 0
	.set _ZN7rocprim17ROCPRIM_400000_NS6detail17trampoline_kernelINS0_14default_configENS1_20scan_config_selectorIlEEZZNS1_9scan_implILNS1_25lookback_scan_determinismE0ELb0ELb0ES3_PlS8_lN6thrust23THRUST_200600_302600_NS4plusIvEElEEDaPvRmT3_T4_T5_mT6_P12ihipStream_tbENKUlT_T0_E_clISt17integral_constantIbLb0EESQ_EEDaSL_SM_EUlSL_E0_NS1_11comp_targetILNS1_3genE5ELNS1_11target_archE942ELNS1_3gpuE9ELNS1_3repE0EEENS1_30default_config_static_selectorELNS0_4arch9wavefront6targetE0EEEvT1_.has_indirect_call, 0
	.section	.AMDGPU.csdata,"",@progbits
; Kernel info:
; codeLenInByte = 0
; TotalNumSgprs: 0
; NumVgprs: 0
; ScratchSize: 0
; MemoryBound: 0
; FloatMode: 240
; IeeeMode: 1
; LDSByteSize: 0 bytes/workgroup (compile time only)
; SGPRBlocks: 0
; VGPRBlocks: 0
; NumSGPRsForWavesPerEU: 1
; NumVGPRsForWavesPerEU: 1
; NamedBarCnt: 0
; Occupancy: 16
; WaveLimiterHint : 0
; COMPUTE_PGM_RSRC2:SCRATCH_EN: 0
; COMPUTE_PGM_RSRC2:USER_SGPR: 2
; COMPUTE_PGM_RSRC2:TRAP_HANDLER: 0
; COMPUTE_PGM_RSRC2:TGID_X_EN: 1
; COMPUTE_PGM_RSRC2:TGID_Y_EN: 0
; COMPUTE_PGM_RSRC2:TGID_Z_EN: 0
; COMPUTE_PGM_RSRC2:TIDIG_COMP_CNT: 0
	.section	.text._ZN7rocprim17ROCPRIM_400000_NS6detail17trampoline_kernelINS0_14default_configENS1_20scan_config_selectorIlEEZZNS1_9scan_implILNS1_25lookback_scan_determinismE0ELb0ELb0ES3_PlS8_lN6thrust23THRUST_200600_302600_NS4plusIvEElEEDaPvRmT3_T4_T5_mT6_P12ihipStream_tbENKUlT_T0_E_clISt17integral_constantIbLb0EESQ_EEDaSL_SM_EUlSL_E0_NS1_11comp_targetILNS1_3genE4ELNS1_11target_archE910ELNS1_3gpuE8ELNS1_3repE0EEENS1_30default_config_static_selectorELNS0_4arch9wavefront6targetE0EEEvT1_,"axG",@progbits,_ZN7rocprim17ROCPRIM_400000_NS6detail17trampoline_kernelINS0_14default_configENS1_20scan_config_selectorIlEEZZNS1_9scan_implILNS1_25lookback_scan_determinismE0ELb0ELb0ES3_PlS8_lN6thrust23THRUST_200600_302600_NS4plusIvEElEEDaPvRmT3_T4_T5_mT6_P12ihipStream_tbENKUlT_T0_E_clISt17integral_constantIbLb0EESQ_EEDaSL_SM_EUlSL_E0_NS1_11comp_targetILNS1_3genE4ELNS1_11target_archE910ELNS1_3gpuE8ELNS1_3repE0EEENS1_30default_config_static_selectorELNS0_4arch9wavefront6targetE0EEEvT1_,comdat
	.protected	_ZN7rocprim17ROCPRIM_400000_NS6detail17trampoline_kernelINS0_14default_configENS1_20scan_config_selectorIlEEZZNS1_9scan_implILNS1_25lookback_scan_determinismE0ELb0ELb0ES3_PlS8_lN6thrust23THRUST_200600_302600_NS4plusIvEElEEDaPvRmT3_T4_T5_mT6_P12ihipStream_tbENKUlT_T0_E_clISt17integral_constantIbLb0EESQ_EEDaSL_SM_EUlSL_E0_NS1_11comp_targetILNS1_3genE4ELNS1_11target_archE910ELNS1_3gpuE8ELNS1_3repE0EEENS1_30default_config_static_selectorELNS0_4arch9wavefront6targetE0EEEvT1_ ; -- Begin function _ZN7rocprim17ROCPRIM_400000_NS6detail17trampoline_kernelINS0_14default_configENS1_20scan_config_selectorIlEEZZNS1_9scan_implILNS1_25lookback_scan_determinismE0ELb0ELb0ES3_PlS8_lN6thrust23THRUST_200600_302600_NS4plusIvEElEEDaPvRmT3_T4_T5_mT6_P12ihipStream_tbENKUlT_T0_E_clISt17integral_constantIbLb0EESQ_EEDaSL_SM_EUlSL_E0_NS1_11comp_targetILNS1_3genE4ELNS1_11target_archE910ELNS1_3gpuE8ELNS1_3repE0EEENS1_30default_config_static_selectorELNS0_4arch9wavefront6targetE0EEEvT1_
	.globl	_ZN7rocprim17ROCPRIM_400000_NS6detail17trampoline_kernelINS0_14default_configENS1_20scan_config_selectorIlEEZZNS1_9scan_implILNS1_25lookback_scan_determinismE0ELb0ELb0ES3_PlS8_lN6thrust23THRUST_200600_302600_NS4plusIvEElEEDaPvRmT3_T4_T5_mT6_P12ihipStream_tbENKUlT_T0_E_clISt17integral_constantIbLb0EESQ_EEDaSL_SM_EUlSL_E0_NS1_11comp_targetILNS1_3genE4ELNS1_11target_archE910ELNS1_3gpuE8ELNS1_3repE0EEENS1_30default_config_static_selectorELNS0_4arch9wavefront6targetE0EEEvT1_
	.p2align	8
	.type	_ZN7rocprim17ROCPRIM_400000_NS6detail17trampoline_kernelINS0_14default_configENS1_20scan_config_selectorIlEEZZNS1_9scan_implILNS1_25lookback_scan_determinismE0ELb0ELb0ES3_PlS8_lN6thrust23THRUST_200600_302600_NS4plusIvEElEEDaPvRmT3_T4_T5_mT6_P12ihipStream_tbENKUlT_T0_E_clISt17integral_constantIbLb0EESQ_EEDaSL_SM_EUlSL_E0_NS1_11comp_targetILNS1_3genE4ELNS1_11target_archE910ELNS1_3gpuE8ELNS1_3repE0EEENS1_30default_config_static_selectorELNS0_4arch9wavefront6targetE0EEEvT1_,@function
_ZN7rocprim17ROCPRIM_400000_NS6detail17trampoline_kernelINS0_14default_configENS1_20scan_config_selectorIlEEZZNS1_9scan_implILNS1_25lookback_scan_determinismE0ELb0ELb0ES3_PlS8_lN6thrust23THRUST_200600_302600_NS4plusIvEElEEDaPvRmT3_T4_T5_mT6_P12ihipStream_tbENKUlT_T0_E_clISt17integral_constantIbLb0EESQ_EEDaSL_SM_EUlSL_E0_NS1_11comp_targetILNS1_3genE4ELNS1_11target_archE910ELNS1_3gpuE8ELNS1_3repE0EEENS1_30default_config_static_selectorELNS0_4arch9wavefront6targetE0EEEvT1_: ; @_ZN7rocprim17ROCPRIM_400000_NS6detail17trampoline_kernelINS0_14default_configENS1_20scan_config_selectorIlEEZZNS1_9scan_implILNS1_25lookback_scan_determinismE0ELb0ELb0ES3_PlS8_lN6thrust23THRUST_200600_302600_NS4plusIvEElEEDaPvRmT3_T4_T5_mT6_P12ihipStream_tbENKUlT_T0_E_clISt17integral_constantIbLb0EESQ_EEDaSL_SM_EUlSL_E0_NS1_11comp_targetILNS1_3genE4ELNS1_11target_archE910ELNS1_3gpuE8ELNS1_3repE0EEENS1_30default_config_static_selectorELNS0_4arch9wavefront6targetE0EEEvT1_
; %bb.0:
	.section	.rodata,"a",@progbits
	.p2align	6, 0x0
	.amdhsa_kernel _ZN7rocprim17ROCPRIM_400000_NS6detail17trampoline_kernelINS0_14default_configENS1_20scan_config_selectorIlEEZZNS1_9scan_implILNS1_25lookback_scan_determinismE0ELb0ELb0ES3_PlS8_lN6thrust23THRUST_200600_302600_NS4plusIvEElEEDaPvRmT3_T4_T5_mT6_P12ihipStream_tbENKUlT_T0_E_clISt17integral_constantIbLb0EESQ_EEDaSL_SM_EUlSL_E0_NS1_11comp_targetILNS1_3genE4ELNS1_11target_archE910ELNS1_3gpuE8ELNS1_3repE0EEENS1_30default_config_static_selectorELNS0_4arch9wavefront6targetE0EEEvT1_
		.amdhsa_group_segment_fixed_size 0
		.amdhsa_private_segment_fixed_size 0
		.amdhsa_kernarg_size 40
		.amdhsa_user_sgpr_count 2
		.amdhsa_user_sgpr_dispatch_ptr 0
		.amdhsa_user_sgpr_queue_ptr 0
		.amdhsa_user_sgpr_kernarg_segment_ptr 1
		.amdhsa_user_sgpr_dispatch_id 0
		.amdhsa_user_sgpr_kernarg_preload_length 0
		.amdhsa_user_sgpr_kernarg_preload_offset 0
		.amdhsa_user_sgpr_private_segment_size 0
		.amdhsa_wavefront_size32 1
		.amdhsa_uses_dynamic_stack 0
		.amdhsa_enable_private_segment 0
		.amdhsa_system_sgpr_workgroup_id_x 1
		.amdhsa_system_sgpr_workgroup_id_y 0
		.amdhsa_system_sgpr_workgroup_id_z 0
		.amdhsa_system_sgpr_workgroup_info 0
		.amdhsa_system_vgpr_workitem_id 0
		.amdhsa_next_free_vgpr 1
		.amdhsa_next_free_sgpr 1
		.amdhsa_named_barrier_count 0
		.amdhsa_reserve_vcc 0
		.amdhsa_float_round_mode_32 0
		.amdhsa_float_round_mode_16_64 0
		.amdhsa_float_denorm_mode_32 3
		.amdhsa_float_denorm_mode_16_64 3
		.amdhsa_fp16_overflow 0
		.amdhsa_memory_ordered 1
		.amdhsa_forward_progress 1
		.amdhsa_inst_pref_size 0
		.amdhsa_round_robin_scheduling 0
		.amdhsa_exception_fp_ieee_invalid_op 0
		.amdhsa_exception_fp_denorm_src 0
		.amdhsa_exception_fp_ieee_div_zero 0
		.amdhsa_exception_fp_ieee_overflow 0
		.amdhsa_exception_fp_ieee_underflow 0
		.amdhsa_exception_fp_ieee_inexact 0
		.amdhsa_exception_int_div_zero 0
	.end_amdhsa_kernel
	.section	.text._ZN7rocprim17ROCPRIM_400000_NS6detail17trampoline_kernelINS0_14default_configENS1_20scan_config_selectorIlEEZZNS1_9scan_implILNS1_25lookback_scan_determinismE0ELb0ELb0ES3_PlS8_lN6thrust23THRUST_200600_302600_NS4plusIvEElEEDaPvRmT3_T4_T5_mT6_P12ihipStream_tbENKUlT_T0_E_clISt17integral_constantIbLb0EESQ_EEDaSL_SM_EUlSL_E0_NS1_11comp_targetILNS1_3genE4ELNS1_11target_archE910ELNS1_3gpuE8ELNS1_3repE0EEENS1_30default_config_static_selectorELNS0_4arch9wavefront6targetE0EEEvT1_,"axG",@progbits,_ZN7rocprim17ROCPRIM_400000_NS6detail17trampoline_kernelINS0_14default_configENS1_20scan_config_selectorIlEEZZNS1_9scan_implILNS1_25lookback_scan_determinismE0ELb0ELb0ES3_PlS8_lN6thrust23THRUST_200600_302600_NS4plusIvEElEEDaPvRmT3_T4_T5_mT6_P12ihipStream_tbENKUlT_T0_E_clISt17integral_constantIbLb0EESQ_EEDaSL_SM_EUlSL_E0_NS1_11comp_targetILNS1_3genE4ELNS1_11target_archE910ELNS1_3gpuE8ELNS1_3repE0EEENS1_30default_config_static_selectorELNS0_4arch9wavefront6targetE0EEEvT1_,comdat
.Lfunc_end95:
	.size	_ZN7rocprim17ROCPRIM_400000_NS6detail17trampoline_kernelINS0_14default_configENS1_20scan_config_selectorIlEEZZNS1_9scan_implILNS1_25lookback_scan_determinismE0ELb0ELb0ES3_PlS8_lN6thrust23THRUST_200600_302600_NS4plusIvEElEEDaPvRmT3_T4_T5_mT6_P12ihipStream_tbENKUlT_T0_E_clISt17integral_constantIbLb0EESQ_EEDaSL_SM_EUlSL_E0_NS1_11comp_targetILNS1_3genE4ELNS1_11target_archE910ELNS1_3gpuE8ELNS1_3repE0EEENS1_30default_config_static_selectorELNS0_4arch9wavefront6targetE0EEEvT1_, .Lfunc_end95-_ZN7rocprim17ROCPRIM_400000_NS6detail17trampoline_kernelINS0_14default_configENS1_20scan_config_selectorIlEEZZNS1_9scan_implILNS1_25lookback_scan_determinismE0ELb0ELb0ES3_PlS8_lN6thrust23THRUST_200600_302600_NS4plusIvEElEEDaPvRmT3_T4_T5_mT6_P12ihipStream_tbENKUlT_T0_E_clISt17integral_constantIbLb0EESQ_EEDaSL_SM_EUlSL_E0_NS1_11comp_targetILNS1_3genE4ELNS1_11target_archE910ELNS1_3gpuE8ELNS1_3repE0EEENS1_30default_config_static_selectorELNS0_4arch9wavefront6targetE0EEEvT1_
                                        ; -- End function
	.set _ZN7rocprim17ROCPRIM_400000_NS6detail17trampoline_kernelINS0_14default_configENS1_20scan_config_selectorIlEEZZNS1_9scan_implILNS1_25lookback_scan_determinismE0ELb0ELb0ES3_PlS8_lN6thrust23THRUST_200600_302600_NS4plusIvEElEEDaPvRmT3_T4_T5_mT6_P12ihipStream_tbENKUlT_T0_E_clISt17integral_constantIbLb0EESQ_EEDaSL_SM_EUlSL_E0_NS1_11comp_targetILNS1_3genE4ELNS1_11target_archE910ELNS1_3gpuE8ELNS1_3repE0EEENS1_30default_config_static_selectorELNS0_4arch9wavefront6targetE0EEEvT1_.num_vgpr, 0
	.set _ZN7rocprim17ROCPRIM_400000_NS6detail17trampoline_kernelINS0_14default_configENS1_20scan_config_selectorIlEEZZNS1_9scan_implILNS1_25lookback_scan_determinismE0ELb0ELb0ES3_PlS8_lN6thrust23THRUST_200600_302600_NS4plusIvEElEEDaPvRmT3_T4_T5_mT6_P12ihipStream_tbENKUlT_T0_E_clISt17integral_constantIbLb0EESQ_EEDaSL_SM_EUlSL_E0_NS1_11comp_targetILNS1_3genE4ELNS1_11target_archE910ELNS1_3gpuE8ELNS1_3repE0EEENS1_30default_config_static_selectorELNS0_4arch9wavefront6targetE0EEEvT1_.num_agpr, 0
	.set _ZN7rocprim17ROCPRIM_400000_NS6detail17trampoline_kernelINS0_14default_configENS1_20scan_config_selectorIlEEZZNS1_9scan_implILNS1_25lookback_scan_determinismE0ELb0ELb0ES3_PlS8_lN6thrust23THRUST_200600_302600_NS4plusIvEElEEDaPvRmT3_T4_T5_mT6_P12ihipStream_tbENKUlT_T0_E_clISt17integral_constantIbLb0EESQ_EEDaSL_SM_EUlSL_E0_NS1_11comp_targetILNS1_3genE4ELNS1_11target_archE910ELNS1_3gpuE8ELNS1_3repE0EEENS1_30default_config_static_selectorELNS0_4arch9wavefront6targetE0EEEvT1_.numbered_sgpr, 0
	.set _ZN7rocprim17ROCPRIM_400000_NS6detail17trampoline_kernelINS0_14default_configENS1_20scan_config_selectorIlEEZZNS1_9scan_implILNS1_25lookback_scan_determinismE0ELb0ELb0ES3_PlS8_lN6thrust23THRUST_200600_302600_NS4plusIvEElEEDaPvRmT3_T4_T5_mT6_P12ihipStream_tbENKUlT_T0_E_clISt17integral_constantIbLb0EESQ_EEDaSL_SM_EUlSL_E0_NS1_11comp_targetILNS1_3genE4ELNS1_11target_archE910ELNS1_3gpuE8ELNS1_3repE0EEENS1_30default_config_static_selectorELNS0_4arch9wavefront6targetE0EEEvT1_.num_named_barrier, 0
	.set _ZN7rocprim17ROCPRIM_400000_NS6detail17trampoline_kernelINS0_14default_configENS1_20scan_config_selectorIlEEZZNS1_9scan_implILNS1_25lookback_scan_determinismE0ELb0ELb0ES3_PlS8_lN6thrust23THRUST_200600_302600_NS4plusIvEElEEDaPvRmT3_T4_T5_mT6_P12ihipStream_tbENKUlT_T0_E_clISt17integral_constantIbLb0EESQ_EEDaSL_SM_EUlSL_E0_NS1_11comp_targetILNS1_3genE4ELNS1_11target_archE910ELNS1_3gpuE8ELNS1_3repE0EEENS1_30default_config_static_selectorELNS0_4arch9wavefront6targetE0EEEvT1_.private_seg_size, 0
	.set _ZN7rocprim17ROCPRIM_400000_NS6detail17trampoline_kernelINS0_14default_configENS1_20scan_config_selectorIlEEZZNS1_9scan_implILNS1_25lookback_scan_determinismE0ELb0ELb0ES3_PlS8_lN6thrust23THRUST_200600_302600_NS4plusIvEElEEDaPvRmT3_T4_T5_mT6_P12ihipStream_tbENKUlT_T0_E_clISt17integral_constantIbLb0EESQ_EEDaSL_SM_EUlSL_E0_NS1_11comp_targetILNS1_3genE4ELNS1_11target_archE910ELNS1_3gpuE8ELNS1_3repE0EEENS1_30default_config_static_selectorELNS0_4arch9wavefront6targetE0EEEvT1_.uses_vcc, 0
	.set _ZN7rocprim17ROCPRIM_400000_NS6detail17trampoline_kernelINS0_14default_configENS1_20scan_config_selectorIlEEZZNS1_9scan_implILNS1_25lookback_scan_determinismE0ELb0ELb0ES3_PlS8_lN6thrust23THRUST_200600_302600_NS4plusIvEElEEDaPvRmT3_T4_T5_mT6_P12ihipStream_tbENKUlT_T0_E_clISt17integral_constantIbLb0EESQ_EEDaSL_SM_EUlSL_E0_NS1_11comp_targetILNS1_3genE4ELNS1_11target_archE910ELNS1_3gpuE8ELNS1_3repE0EEENS1_30default_config_static_selectorELNS0_4arch9wavefront6targetE0EEEvT1_.uses_flat_scratch, 0
	.set _ZN7rocprim17ROCPRIM_400000_NS6detail17trampoline_kernelINS0_14default_configENS1_20scan_config_selectorIlEEZZNS1_9scan_implILNS1_25lookback_scan_determinismE0ELb0ELb0ES3_PlS8_lN6thrust23THRUST_200600_302600_NS4plusIvEElEEDaPvRmT3_T4_T5_mT6_P12ihipStream_tbENKUlT_T0_E_clISt17integral_constantIbLb0EESQ_EEDaSL_SM_EUlSL_E0_NS1_11comp_targetILNS1_3genE4ELNS1_11target_archE910ELNS1_3gpuE8ELNS1_3repE0EEENS1_30default_config_static_selectorELNS0_4arch9wavefront6targetE0EEEvT1_.has_dyn_sized_stack, 0
	.set _ZN7rocprim17ROCPRIM_400000_NS6detail17trampoline_kernelINS0_14default_configENS1_20scan_config_selectorIlEEZZNS1_9scan_implILNS1_25lookback_scan_determinismE0ELb0ELb0ES3_PlS8_lN6thrust23THRUST_200600_302600_NS4plusIvEElEEDaPvRmT3_T4_T5_mT6_P12ihipStream_tbENKUlT_T0_E_clISt17integral_constantIbLb0EESQ_EEDaSL_SM_EUlSL_E0_NS1_11comp_targetILNS1_3genE4ELNS1_11target_archE910ELNS1_3gpuE8ELNS1_3repE0EEENS1_30default_config_static_selectorELNS0_4arch9wavefront6targetE0EEEvT1_.has_recursion, 0
	.set _ZN7rocprim17ROCPRIM_400000_NS6detail17trampoline_kernelINS0_14default_configENS1_20scan_config_selectorIlEEZZNS1_9scan_implILNS1_25lookback_scan_determinismE0ELb0ELb0ES3_PlS8_lN6thrust23THRUST_200600_302600_NS4plusIvEElEEDaPvRmT3_T4_T5_mT6_P12ihipStream_tbENKUlT_T0_E_clISt17integral_constantIbLb0EESQ_EEDaSL_SM_EUlSL_E0_NS1_11comp_targetILNS1_3genE4ELNS1_11target_archE910ELNS1_3gpuE8ELNS1_3repE0EEENS1_30default_config_static_selectorELNS0_4arch9wavefront6targetE0EEEvT1_.has_indirect_call, 0
	.section	.AMDGPU.csdata,"",@progbits
; Kernel info:
; codeLenInByte = 0
; TotalNumSgprs: 0
; NumVgprs: 0
; ScratchSize: 0
; MemoryBound: 0
; FloatMode: 240
; IeeeMode: 1
; LDSByteSize: 0 bytes/workgroup (compile time only)
; SGPRBlocks: 0
; VGPRBlocks: 0
; NumSGPRsForWavesPerEU: 1
; NumVGPRsForWavesPerEU: 1
; NamedBarCnt: 0
; Occupancy: 16
; WaveLimiterHint : 0
; COMPUTE_PGM_RSRC2:SCRATCH_EN: 0
; COMPUTE_PGM_RSRC2:USER_SGPR: 2
; COMPUTE_PGM_RSRC2:TRAP_HANDLER: 0
; COMPUTE_PGM_RSRC2:TGID_X_EN: 1
; COMPUTE_PGM_RSRC2:TGID_Y_EN: 0
; COMPUTE_PGM_RSRC2:TGID_Z_EN: 0
; COMPUTE_PGM_RSRC2:TIDIG_COMP_CNT: 0
	.section	.text._ZN7rocprim17ROCPRIM_400000_NS6detail17trampoline_kernelINS0_14default_configENS1_20scan_config_selectorIlEEZZNS1_9scan_implILNS1_25lookback_scan_determinismE0ELb0ELb0ES3_PlS8_lN6thrust23THRUST_200600_302600_NS4plusIvEElEEDaPvRmT3_T4_T5_mT6_P12ihipStream_tbENKUlT_T0_E_clISt17integral_constantIbLb0EESQ_EEDaSL_SM_EUlSL_E0_NS1_11comp_targetILNS1_3genE3ELNS1_11target_archE908ELNS1_3gpuE7ELNS1_3repE0EEENS1_30default_config_static_selectorELNS0_4arch9wavefront6targetE0EEEvT1_,"axG",@progbits,_ZN7rocprim17ROCPRIM_400000_NS6detail17trampoline_kernelINS0_14default_configENS1_20scan_config_selectorIlEEZZNS1_9scan_implILNS1_25lookback_scan_determinismE0ELb0ELb0ES3_PlS8_lN6thrust23THRUST_200600_302600_NS4plusIvEElEEDaPvRmT3_T4_T5_mT6_P12ihipStream_tbENKUlT_T0_E_clISt17integral_constantIbLb0EESQ_EEDaSL_SM_EUlSL_E0_NS1_11comp_targetILNS1_3genE3ELNS1_11target_archE908ELNS1_3gpuE7ELNS1_3repE0EEENS1_30default_config_static_selectorELNS0_4arch9wavefront6targetE0EEEvT1_,comdat
	.protected	_ZN7rocprim17ROCPRIM_400000_NS6detail17trampoline_kernelINS0_14default_configENS1_20scan_config_selectorIlEEZZNS1_9scan_implILNS1_25lookback_scan_determinismE0ELb0ELb0ES3_PlS8_lN6thrust23THRUST_200600_302600_NS4plusIvEElEEDaPvRmT3_T4_T5_mT6_P12ihipStream_tbENKUlT_T0_E_clISt17integral_constantIbLb0EESQ_EEDaSL_SM_EUlSL_E0_NS1_11comp_targetILNS1_3genE3ELNS1_11target_archE908ELNS1_3gpuE7ELNS1_3repE0EEENS1_30default_config_static_selectorELNS0_4arch9wavefront6targetE0EEEvT1_ ; -- Begin function _ZN7rocprim17ROCPRIM_400000_NS6detail17trampoline_kernelINS0_14default_configENS1_20scan_config_selectorIlEEZZNS1_9scan_implILNS1_25lookback_scan_determinismE0ELb0ELb0ES3_PlS8_lN6thrust23THRUST_200600_302600_NS4plusIvEElEEDaPvRmT3_T4_T5_mT6_P12ihipStream_tbENKUlT_T0_E_clISt17integral_constantIbLb0EESQ_EEDaSL_SM_EUlSL_E0_NS1_11comp_targetILNS1_3genE3ELNS1_11target_archE908ELNS1_3gpuE7ELNS1_3repE0EEENS1_30default_config_static_selectorELNS0_4arch9wavefront6targetE0EEEvT1_
	.globl	_ZN7rocprim17ROCPRIM_400000_NS6detail17trampoline_kernelINS0_14default_configENS1_20scan_config_selectorIlEEZZNS1_9scan_implILNS1_25lookback_scan_determinismE0ELb0ELb0ES3_PlS8_lN6thrust23THRUST_200600_302600_NS4plusIvEElEEDaPvRmT3_T4_T5_mT6_P12ihipStream_tbENKUlT_T0_E_clISt17integral_constantIbLb0EESQ_EEDaSL_SM_EUlSL_E0_NS1_11comp_targetILNS1_3genE3ELNS1_11target_archE908ELNS1_3gpuE7ELNS1_3repE0EEENS1_30default_config_static_selectorELNS0_4arch9wavefront6targetE0EEEvT1_
	.p2align	8
	.type	_ZN7rocprim17ROCPRIM_400000_NS6detail17trampoline_kernelINS0_14default_configENS1_20scan_config_selectorIlEEZZNS1_9scan_implILNS1_25lookback_scan_determinismE0ELb0ELb0ES3_PlS8_lN6thrust23THRUST_200600_302600_NS4plusIvEElEEDaPvRmT3_T4_T5_mT6_P12ihipStream_tbENKUlT_T0_E_clISt17integral_constantIbLb0EESQ_EEDaSL_SM_EUlSL_E0_NS1_11comp_targetILNS1_3genE3ELNS1_11target_archE908ELNS1_3gpuE7ELNS1_3repE0EEENS1_30default_config_static_selectorELNS0_4arch9wavefront6targetE0EEEvT1_,@function
_ZN7rocprim17ROCPRIM_400000_NS6detail17trampoline_kernelINS0_14default_configENS1_20scan_config_selectorIlEEZZNS1_9scan_implILNS1_25lookback_scan_determinismE0ELb0ELb0ES3_PlS8_lN6thrust23THRUST_200600_302600_NS4plusIvEElEEDaPvRmT3_T4_T5_mT6_P12ihipStream_tbENKUlT_T0_E_clISt17integral_constantIbLb0EESQ_EEDaSL_SM_EUlSL_E0_NS1_11comp_targetILNS1_3genE3ELNS1_11target_archE908ELNS1_3gpuE7ELNS1_3repE0EEENS1_30default_config_static_selectorELNS0_4arch9wavefront6targetE0EEEvT1_: ; @_ZN7rocprim17ROCPRIM_400000_NS6detail17trampoline_kernelINS0_14default_configENS1_20scan_config_selectorIlEEZZNS1_9scan_implILNS1_25lookback_scan_determinismE0ELb0ELb0ES3_PlS8_lN6thrust23THRUST_200600_302600_NS4plusIvEElEEDaPvRmT3_T4_T5_mT6_P12ihipStream_tbENKUlT_T0_E_clISt17integral_constantIbLb0EESQ_EEDaSL_SM_EUlSL_E0_NS1_11comp_targetILNS1_3genE3ELNS1_11target_archE908ELNS1_3gpuE7ELNS1_3repE0EEENS1_30default_config_static_selectorELNS0_4arch9wavefront6targetE0EEEvT1_
; %bb.0:
	.section	.rodata,"a",@progbits
	.p2align	6, 0x0
	.amdhsa_kernel _ZN7rocprim17ROCPRIM_400000_NS6detail17trampoline_kernelINS0_14default_configENS1_20scan_config_selectorIlEEZZNS1_9scan_implILNS1_25lookback_scan_determinismE0ELb0ELb0ES3_PlS8_lN6thrust23THRUST_200600_302600_NS4plusIvEElEEDaPvRmT3_T4_T5_mT6_P12ihipStream_tbENKUlT_T0_E_clISt17integral_constantIbLb0EESQ_EEDaSL_SM_EUlSL_E0_NS1_11comp_targetILNS1_3genE3ELNS1_11target_archE908ELNS1_3gpuE7ELNS1_3repE0EEENS1_30default_config_static_selectorELNS0_4arch9wavefront6targetE0EEEvT1_
		.amdhsa_group_segment_fixed_size 0
		.amdhsa_private_segment_fixed_size 0
		.amdhsa_kernarg_size 40
		.amdhsa_user_sgpr_count 2
		.amdhsa_user_sgpr_dispatch_ptr 0
		.amdhsa_user_sgpr_queue_ptr 0
		.amdhsa_user_sgpr_kernarg_segment_ptr 1
		.amdhsa_user_sgpr_dispatch_id 0
		.amdhsa_user_sgpr_kernarg_preload_length 0
		.amdhsa_user_sgpr_kernarg_preload_offset 0
		.amdhsa_user_sgpr_private_segment_size 0
		.amdhsa_wavefront_size32 1
		.amdhsa_uses_dynamic_stack 0
		.amdhsa_enable_private_segment 0
		.amdhsa_system_sgpr_workgroup_id_x 1
		.amdhsa_system_sgpr_workgroup_id_y 0
		.amdhsa_system_sgpr_workgroup_id_z 0
		.amdhsa_system_sgpr_workgroup_info 0
		.amdhsa_system_vgpr_workitem_id 0
		.amdhsa_next_free_vgpr 1
		.amdhsa_next_free_sgpr 1
		.amdhsa_named_barrier_count 0
		.amdhsa_reserve_vcc 0
		.amdhsa_float_round_mode_32 0
		.amdhsa_float_round_mode_16_64 0
		.amdhsa_float_denorm_mode_32 3
		.amdhsa_float_denorm_mode_16_64 3
		.amdhsa_fp16_overflow 0
		.amdhsa_memory_ordered 1
		.amdhsa_forward_progress 1
		.amdhsa_inst_pref_size 0
		.amdhsa_round_robin_scheduling 0
		.amdhsa_exception_fp_ieee_invalid_op 0
		.amdhsa_exception_fp_denorm_src 0
		.amdhsa_exception_fp_ieee_div_zero 0
		.amdhsa_exception_fp_ieee_overflow 0
		.amdhsa_exception_fp_ieee_underflow 0
		.amdhsa_exception_fp_ieee_inexact 0
		.amdhsa_exception_int_div_zero 0
	.end_amdhsa_kernel
	.section	.text._ZN7rocprim17ROCPRIM_400000_NS6detail17trampoline_kernelINS0_14default_configENS1_20scan_config_selectorIlEEZZNS1_9scan_implILNS1_25lookback_scan_determinismE0ELb0ELb0ES3_PlS8_lN6thrust23THRUST_200600_302600_NS4plusIvEElEEDaPvRmT3_T4_T5_mT6_P12ihipStream_tbENKUlT_T0_E_clISt17integral_constantIbLb0EESQ_EEDaSL_SM_EUlSL_E0_NS1_11comp_targetILNS1_3genE3ELNS1_11target_archE908ELNS1_3gpuE7ELNS1_3repE0EEENS1_30default_config_static_selectorELNS0_4arch9wavefront6targetE0EEEvT1_,"axG",@progbits,_ZN7rocprim17ROCPRIM_400000_NS6detail17trampoline_kernelINS0_14default_configENS1_20scan_config_selectorIlEEZZNS1_9scan_implILNS1_25lookback_scan_determinismE0ELb0ELb0ES3_PlS8_lN6thrust23THRUST_200600_302600_NS4plusIvEElEEDaPvRmT3_T4_T5_mT6_P12ihipStream_tbENKUlT_T0_E_clISt17integral_constantIbLb0EESQ_EEDaSL_SM_EUlSL_E0_NS1_11comp_targetILNS1_3genE3ELNS1_11target_archE908ELNS1_3gpuE7ELNS1_3repE0EEENS1_30default_config_static_selectorELNS0_4arch9wavefront6targetE0EEEvT1_,comdat
.Lfunc_end96:
	.size	_ZN7rocprim17ROCPRIM_400000_NS6detail17trampoline_kernelINS0_14default_configENS1_20scan_config_selectorIlEEZZNS1_9scan_implILNS1_25lookback_scan_determinismE0ELb0ELb0ES3_PlS8_lN6thrust23THRUST_200600_302600_NS4plusIvEElEEDaPvRmT3_T4_T5_mT6_P12ihipStream_tbENKUlT_T0_E_clISt17integral_constantIbLb0EESQ_EEDaSL_SM_EUlSL_E0_NS1_11comp_targetILNS1_3genE3ELNS1_11target_archE908ELNS1_3gpuE7ELNS1_3repE0EEENS1_30default_config_static_selectorELNS0_4arch9wavefront6targetE0EEEvT1_, .Lfunc_end96-_ZN7rocprim17ROCPRIM_400000_NS6detail17trampoline_kernelINS0_14default_configENS1_20scan_config_selectorIlEEZZNS1_9scan_implILNS1_25lookback_scan_determinismE0ELb0ELb0ES3_PlS8_lN6thrust23THRUST_200600_302600_NS4plusIvEElEEDaPvRmT3_T4_T5_mT6_P12ihipStream_tbENKUlT_T0_E_clISt17integral_constantIbLb0EESQ_EEDaSL_SM_EUlSL_E0_NS1_11comp_targetILNS1_3genE3ELNS1_11target_archE908ELNS1_3gpuE7ELNS1_3repE0EEENS1_30default_config_static_selectorELNS0_4arch9wavefront6targetE0EEEvT1_
                                        ; -- End function
	.set _ZN7rocprim17ROCPRIM_400000_NS6detail17trampoline_kernelINS0_14default_configENS1_20scan_config_selectorIlEEZZNS1_9scan_implILNS1_25lookback_scan_determinismE0ELb0ELb0ES3_PlS8_lN6thrust23THRUST_200600_302600_NS4plusIvEElEEDaPvRmT3_T4_T5_mT6_P12ihipStream_tbENKUlT_T0_E_clISt17integral_constantIbLb0EESQ_EEDaSL_SM_EUlSL_E0_NS1_11comp_targetILNS1_3genE3ELNS1_11target_archE908ELNS1_3gpuE7ELNS1_3repE0EEENS1_30default_config_static_selectorELNS0_4arch9wavefront6targetE0EEEvT1_.num_vgpr, 0
	.set _ZN7rocprim17ROCPRIM_400000_NS6detail17trampoline_kernelINS0_14default_configENS1_20scan_config_selectorIlEEZZNS1_9scan_implILNS1_25lookback_scan_determinismE0ELb0ELb0ES3_PlS8_lN6thrust23THRUST_200600_302600_NS4plusIvEElEEDaPvRmT3_T4_T5_mT6_P12ihipStream_tbENKUlT_T0_E_clISt17integral_constantIbLb0EESQ_EEDaSL_SM_EUlSL_E0_NS1_11comp_targetILNS1_3genE3ELNS1_11target_archE908ELNS1_3gpuE7ELNS1_3repE0EEENS1_30default_config_static_selectorELNS0_4arch9wavefront6targetE0EEEvT1_.num_agpr, 0
	.set _ZN7rocprim17ROCPRIM_400000_NS6detail17trampoline_kernelINS0_14default_configENS1_20scan_config_selectorIlEEZZNS1_9scan_implILNS1_25lookback_scan_determinismE0ELb0ELb0ES3_PlS8_lN6thrust23THRUST_200600_302600_NS4plusIvEElEEDaPvRmT3_T4_T5_mT6_P12ihipStream_tbENKUlT_T0_E_clISt17integral_constantIbLb0EESQ_EEDaSL_SM_EUlSL_E0_NS1_11comp_targetILNS1_3genE3ELNS1_11target_archE908ELNS1_3gpuE7ELNS1_3repE0EEENS1_30default_config_static_selectorELNS0_4arch9wavefront6targetE0EEEvT1_.numbered_sgpr, 0
	.set _ZN7rocprim17ROCPRIM_400000_NS6detail17trampoline_kernelINS0_14default_configENS1_20scan_config_selectorIlEEZZNS1_9scan_implILNS1_25lookback_scan_determinismE0ELb0ELb0ES3_PlS8_lN6thrust23THRUST_200600_302600_NS4plusIvEElEEDaPvRmT3_T4_T5_mT6_P12ihipStream_tbENKUlT_T0_E_clISt17integral_constantIbLb0EESQ_EEDaSL_SM_EUlSL_E0_NS1_11comp_targetILNS1_3genE3ELNS1_11target_archE908ELNS1_3gpuE7ELNS1_3repE0EEENS1_30default_config_static_selectorELNS0_4arch9wavefront6targetE0EEEvT1_.num_named_barrier, 0
	.set _ZN7rocprim17ROCPRIM_400000_NS6detail17trampoline_kernelINS0_14default_configENS1_20scan_config_selectorIlEEZZNS1_9scan_implILNS1_25lookback_scan_determinismE0ELb0ELb0ES3_PlS8_lN6thrust23THRUST_200600_302600_NS4plusIvEElEEDaPvRmT3_T4_T5_mT6_P12ihipStream_tbENKUlT_T0_E_clISt17integral_constantIbLb0EESQ_EEDaSL_SM_EUlSL_E0_NS1_11comp_targetILNS1_3genE3ELNS1_11target_archE908ELNS1_3gpuE7ELNS1_3repE0EEENS1_30default_config_static_selectorELNS0_4arch9wavefront6targetE0EEEvT1_.private_seg_size, 0
	.set _ZN7rocprim17ROCPRIM_400000_NS6detail17trampoline_kernelINS0_14default_configENS1_20scan_config_selectorIlEEZZNS1_9scan_implILNS1_25lookback_scan_determinismE0ELb0ELb0ES3_PlS8_lN6thrust23THRUST_200600_302600_NS4plusIvEElEEDaPvRmT3_T4_T5_mT6_P12ihipStream_tbENKUlT_T0_E_clISt17integral_constantIbLb0EESQ_EEDaSL_SM_EUlSL_E0_NS1_11comp_targetILNS1_3genE3ELNS1_11target_archE908ELNS1_3gpuE7ELNS1_3repE0EEENS1_30default_config_static_selectorELNS0_4arch9wavefront6targetE0EEEvT1_.uses_vcc, 0
	.set _ZN7rocprim17ROCPRIM_400000_NS6detail17trampoline_kernelINS0_14default_configENS1_20scan_config_selectorIlEEZZNS1_9scan_implILNS1_25lookback_scan_determinismE0ELb0ELb0ES3_PlS8_lN6thrust23THRUST_200600_302600_NS4plusIvEElEEDaPvRmT3_T4_T5_mT6_P12ihipStream_tbENKUlT_T0_E_clISt17integral_constantIbLb0EESQ_EEDaSL_SM_EUlSL_E0_NS1_11comp_targetILNS1_3genE3ELNS1_11target_archE908ELNS1_3gpuE7ELNS1_3repE0EEENS1_30default_config_static_selectorELNS0_4arch9wavefront6targetE0EEEvT1_.uses_flat_scratch, 0
	.set _ZN7rocprim17ROCPRIM_400000_NS6detail17trampoline_kernelINS0_14default_configENS1_20scan_config_selectorIlEEZZNS1_9scan_implILNS1_25lookback_scan_determinismE0ELb0ELb0ES3_PlS8_lN6thrust23THRUST_200600_302600_NS4plusIvEElEEDaPvRmT3_T4_T5_mT6_P12ihipStream_tbENKUlT_T0_E_clISt17integral_constantIbLb0EESQ_EEDaSL_SM_EUlSL_E0_NS1_11comp_targetILNS1_3genE3ELNS1_11target_archE908ELNS1_3gpuE7ELNS1_3repE0EEENS1_30default_config_static_selectorELNS0_4arch9wavefront6targetE0EEEvT1_.has_dyn_sized_stack, 0
	.set _ZN7rocprim17ROCPRIM_400000_NS6detail17trampoline_kernelINS0_14default_configENS1_20scan_config_selectorIlEEZZNS1_9scan_implILNS1_25lookback_scan_determinismE0ELb0ELb0ES3_PlS8_lN6thrust23THRUST_200600_302600_NS4plusIvEElEEDaPvRmT3_T4_T5_mT6_P12ihipStream_tbENKUlT_T0_E_clISt17integral_constantIbLb0EESQ_EEDaSL_SM_EUlSL_E0_NS1_11comp_targetILNS1_3genE3ELNS1_11target_archE908ELNS1_3gpuE7ELNS1_3repE0EEENS1_30default_config_static_selectorELNS0_4arch9wavefront6targetE0EEEvT1_.has_recursion, 0
	.set _ZN7rocprim17ROCPRIM_400000_NS6detail17trampoline_kernelINS0_14default_configENS1_20scan_config_selectorIlEEZZNS1_9scan_implILNS1_25lookback_scan_determinismE0ELb0ELb0ES3_PlS8_lN6thrust23THRUST_200600_302600_NS4plusIvEElEEDaPvRmT3_T4_T5_mT6_P12ihipStream_tbENKUlT_T0_E_clISt17integral_constantIbLb0EESQ_EEDaSL_SM_EUlSL_E0_NS1_11comp_targetILNS1_3genE3ELNS1_11target_archE908ELNS1_3gpuE7ELNS1_3repE0EEENS1_30default_config_static_selectorELNS0_4arch9wavefront6targetE0EEEvT1_.has_indirect_call, 0
	.section	.AMDGPU.csdata,"",@progbits
; Kernel info:
; codeLenInByte = 0
; TotalNumSgprs: 0
; NumVgprs: 0
; ScratchSize: 0
; MemoryBound: 0
; FloatMode: 240
; IeeeMode: 1
; LDSByteSize: 0 bytes/workgroup (compile time only)
; SGPRBlocks: 0
; VGPRBlocks: 0
; NumSGPRsForWavesPerEU: 1
; NumVGPRsForWavesPerEU: 1
; NamedBarCnt: 0
; Occupancy: 16
; WaveLimiterHint : 0
; COMPUTE_PGM_RSRC2:SCRATCH_EN: 0
; COMPUTE_PGM_RSRC2:USER_SGPR: 2
; COMPUTE_PGM_RSRC2:TRAP_HANDLER: 0
; COMPUTE_PGM_RSRC2:TGID_X_EN: 1
; COMPUTE_PGM_RSRC2:TGID_Y_EN: 0
; COMPUTE_PGM_RSRC2:TGID_Z_EN: 0
; COMPUTE_PGM_RSRC2:TIDIG_COMP_CNT: 0
	.section	.text._ZN7rocprim17ROCPRIM_400000_NS6detail17trampoline_kernelINS0_14default_configENS1_20scan_config_selectorIlEEZZNS1_9scan_implILNS1_25lookback_scan_determinismE0ELb0ELb0ES3_PlS8_lN6thrust23THRUST_200600_302600_NS4plusIvEElEEDaPvRmT3_T4_T5_mT6_P12ihipStream_tbENKUlT_T0_E_clISt17integral_constantIbLb0EESQ_EEDaSL_SM_EUlSL_E0_NS1_11comp_targetILNS1_3genE2ELNS1_11target_archE906ELNS1_3gpuE6ELNS1_3repE0EEENS1_30default_config_static_selectorELNS0_4arch9wavefront6targetE0EEEvT1_,"axG",@progbits,_ZN7rocprim17ROCPRIM_400000_NS6detail17trampoline_kernelINS0_14default_configENS1_20scan_config_selectorIlEEZZNS1_9scan_implILNS1_25lookback_scan_determinismE0ELb0ELb0ES3_PlS8_lN6thrust23THRUST_200600_302600_NS4plusIvEElEEDaPvRmT3_T4_T5_mT6_P12ihipStream_tbENKUlT_T0_E_clISt17integral_constantIbLb0EESQ_EEDaSL_SM_EUlSL_E0_NS1_11comp_targetILNS1_3genE2ELNS1_11target_archE906ELNS1_3gpuE6ELNS1_3repE0EEENS1_30default_config_static_selectorELNS0_4arch9wavefront6targetE0EEEvT1_,comdat
	.protected	_ZN7rocprim17ROCPRIM_400000_NS6detail17trampoline_kernelINS0_14default_configENS1_20scan_config_selectorIlEEZZNS1_9scan_implILNS1_25lookback_scan_determinismE0ELb0ELb0ES3_PlS8_lN6thrust23THRUST_200600_302600_NS4plusIvEElEEDaPvRmT3_T4_T5_mT6_P12ihipStream_tbENKUlT_T0_E_clISt17integral_constantIbLb0EESQ_EEDaSL_SM_EUlSL_E0_NS1_11comp_targetILNS1_3genE2ELNS1_11target_archE906ELNS1_3gpuE6ELNS1_3repE0EEENS1_30default_config_static_selectorELNS0_4arch9wavefront6targetE0EEEvT1_ ; -- Begin function _ZN7rocprim17ROCPRIM_400000_NS6detail17trampoline_kernelINS0_14default_configENS1_20scan_config_selectorIlEEZZNS1_9scan_implILNS1_25lookback_scan_determinismE0ELb0ELb0ES3_PlS8_lN6thrust23THRUST_200600_302600_NS4plusIvEElEEDaPvRmT3_T4_T5_mT6_P12ihipStream_tbENKUlT_T0_E_clISt17integral_constantIbLb0EESQ_EEDaSL_SM_EUlSL_E0_NS1_11comp_targetILNS1_3genE2ELNS1_11target_archE906ELNS1_3gpuE6ELNS1_3repE0EEENS1_30default_config_static_selectorELNS0_4arch9wavefront6targetE0EEEvT1_
	.globl	_ZN7rocprim17ROCPRIM_400000_NS6detail17trampoline_kernelINS0_14default_configENS1_20scan_config_selectorIlEEZZNS1_9scan_implILNS1_25lookback_scan_determinismE0ELb0ELb0ES3_PlS8_lN6thrust23THRUST_200600_302600_NS4plusIvEElEEDaPvRmT3_T4_T5_mT6_P12ihipStream_tbENKUlT_T0_E_clISt17integral_constantIbLb0EESQ_EEDaSL_SM_EUlSL_E0_NS1_11comp_targetILNS1_3genE2ELNS1_11target_archE906ELNS1_3gpuE6ELNS1_3repE0EEENS1_30default_config_static_selectorELNS0_4arch9wavefront6targetE0EEEvT1_
	.p2align	8
	.type	_ZN7rocprim17ROCPRIM_400000_NS6detail17trampoline_kernelINS0_14default_configENS1_20scan_config_selectorIlEEZZNS1_9scan_implILNS1_25lookback_scan_determinismE0ELb0ELb0ES3_PlS8_lN6thrust23THRUST_200600_302600_NS4plusIvEElEEDaPvRmT3_T4_T5_mT6_P12ihipStream_tbENKUlT_T0_E_clISt17integral_constantIbLb0EESQ_EEDaSL_SM_EUlSL_E0_NS1_11comp_targetILNS1_3genE2ELNS1_11target_archE906ELNS1_3gpuE6ELNS1_3repE0EEENS1_30default_config_static_selectorELNS0_4arch9wavefront6targetE0EEEvT1_,@function
_ZN7rocprim17ROCPRIM_400000_NS6detail17trampoline_kernelINS0_14default_configENS1_20scan_config_selectorIlEEZZNS1_9scan_implILNS1_25lookback_scan_determinismE0ELb0ELb0ES3_PlS8_lN6thrust23THRUST_200600_302600_NS4plusIvEElEEDaPvRmT3_T4_T5_mT6_P12ihipStream_tbENKUlT_T0_E_clISt17integral_constantIbLb0EESQ_EEDaSL_SM_EUlSL_E0_NS1_11comp_targetILNS1_3genE2ELNS1_11target_archE906ELNS1_3gpuE6ELNS1_3repE0EEENS1_30default_config_static_selectorELNS0_4arch9wavefront6targetE0EEEvT1_: ; @_ZN7rocprim17ROCPRIM_400000_NS6detail17trampoline_kernelINS0_14default_configENS1_20scan_config_selectorIlEEZZNS1_9scan_implILNS1_25lookback_scan_determinismE0ELb0ELb0ES3_PlS8_lN6thrust23THRUST_200600_302600_NS4plusIvEElEEDaPvRmT3_T4_T5_mT6_P12ihipStream_tbENKUlT_T0_E_clISt17integral_constantIbLb0EESQ_EEDaSL_SM_EUlSL_E0_NS1_11comp_targetILNS1_3genE2ELNS1_11target_archE906ELNS1_3gpuE6ELNS1_3repE0EEENS1_30default_config_static_selectorELNS0_4arch9wavefront6targetE0EEEvT1_
; %bb.0:
	.section	.rodata,"a",@progbits
	.p2align	6, 0x0
	.amdhsa_kernel _ZN7rocprim17ROCPRIM_400000_NS6detail17trampoline_kernelINS0_14default_configENS1_20scan_config_selectorIlEEZZNS1_9scan_implILNS1_25lookback_scan_determinismE0ELb0ELb0ES3_PlS8_lN6thrust23THRUST_200600_302600_NS4plusIvEElEEDaPvRmT3_T4_T5_mT6_P12ihipStream_tbENKUlT_T0_E_clISt17integral_constantIbLb0EESQ_EEDaSL_SM_EUlSL_E0_NS1_11comp_targetILNS1_3genE2ELNS1_11target_archE906ELNS1_3gpuE6ELNS1_3repE0EEENS1_30default_config_static_selectorELNS0_4arch9wavefront6targetE0EEEvT1_
		.amdhsa_group_segment_fixed_size 0
		.amdhsa_private_segment_fixed_size 0
		.amdhsa_kernarg_size 40
		.amdhsa_user_sgpr_count 2
		.amdhsa_user_sgpr_dispatch_ptr 0
		.amdhsa_user_sgpr_queue_ptr 0
		.amdhsa_user_sgpr_kernarg_segment_ptr 1
		.amdhsa_user_sgpr_dispatch_id 0
		.amdhsa_user_sgpr_kernarg_preload_length 0
		.amdhsa_user_sgpr_kernarg_preload_offset 0
		.amdhsa_user_sgpr_private_segment_size 0
		.amdhsa_wavefront_size32 1
		.amdhsa_uses_dynamic_stack 0
		.amdhsa_enable_private_segment 0
		.amdhsa_system_sgpr_workgroup_id_x 1
		.amdhsa_system_sgpr_workgroup_id_y 0
		.amdhsa_system_sgpr_workgroup_id_z 0
		.amdhsa_system_sgpr_workgroup_info 0
		.amdhsa_system_vgpr_workitem_id 0
		.amdhsa_next_free_vgpr 1
		.amdhsa_next_free_sgpr 1
		.amdhsa_named_barrier_count 0
		.amdhsa_reserve_vcc 0
		.amdhsa_float_round_mode_32 0
		.amdhsa_float_round_mode_16_64 0
		.amdhsa_float_denorm_mode_32 3
		.amdhsa_float_denorm_mode_16_64 3
		.amdhsa_fp16_overflow 0
		.amdhsa_memory_ordered 1
		.amdhsa_forward_progress 1
		.amdhsa_inst_pref_size 0
		.amdhsa_round_robin_scheduling 0
		.amdhsa_exception_fp_ieee_invalid_op 0
		.amdhsa_exception_fp_denorm_src 0
		.amdhsa_exception_fp_ieee_div_zero 0
		.amdhsa_exception_fp_ieee_overflow 0
		.amdhsa_exception_fp_ieee_underflow 0
		.amdhsa_exception_fp_ieee_inexact 0
		.amdhsa_exception_int_div_zero 0
	.end_amdhsa_kernel
	.section	.text._ZN7rocprim17ROCPRIM_400000_NS6detail17trampoline_kernelINS0_14default_configENS1_20scan_config_selectorIlEEZZNS1_9scan_implILNS1_25lookback_scan_determinismE0ELb0ELb0ES3_PlS8_lN6thrust23THRUST_200600_302600_NS4plusIvEElEEDaPvRmT3_T4_T5_mT6_P12ihipStream_tbENKUlT_T0_E_clISt17integral_constantIbLb0EESQ_EEDaSL_SM_EUlSL_E0_NS1_11comp_targetILNS1_3genE2ELNS1_11target_archE906ELNS1_3gpuE6ELNS1_3repE0EEENS1_30default_config_static_selectorELNS0_4arch9wavefront6targetE0EEEvT1_,"axG",@progbits,_ZN7rocprim17ROCPRIM_400000_NS6detail17trampoline_kernelINS0_14default_configENS1_20scan_config_selectorIlEEZZNS1_9scan_implILNS1_25lookback_scan_determinismE0ELb0ELb0ES3_PlS8_lN6thrust23THRUST_200600_302600_NS4plusIvEElEEDaPvRmT3_T4_T5_mT6_P12ihipStream_tbENKUlT_T0_E_clISt17integral_constantIbLb0EESQ_EEDaSL_SM_EUlSL_E0_NS1_11comp_targetILNS1_3genE2ELNS1_11target_archE906ELNS1_3gpuE6ELNS1_3repE0EEENS1_30default_config_static_selectorELNS0_4arch9wavefront6targetE0EEEvT1_,comdat
.Lfunc_end97:
	.size	_ZN7rocprim17ROCPRIM_400000_NS6detail17trampoline_kernelINS0_14default_configENS1_20scan_config_selectorIlEEZZNS1_9scan_implILNS1_25lookback_scan_determinismE0ELb0ELb0ES3_PlS8_lN6thrust23THRUST_200600_302600_NS4plusIvEElEEDaPvRmT3_T4_T5_mT6_P12ihipStream_tbENKUlT_T0_E_clISt17integral_constantIbLb0EESQ_EEDaSL_SM_EUlSL_E0_NS1_11comp_targetILNS1_3genE2ELNS1_11target_archE906ELNS1_3gpuE6ELNS1_3repE0EEENS1_30default_config_static_selectorELNS0_4arch9wavefront6targetE0EEEvT1_, .Lfunc_end97-_ZN7rocprim17ROCPRIM_400000_NS6detail17trampoline_kernelINS0_14default_configENS1_20scan_config_selectorIlEEZZNS1_9scan_implILNS1_25lookback_scan_determinismE0ELb0ELb0ES3_PlS8_lN6thrust23THRUST_200600_302600_NS4plusIvEElEEDaPvRmT3_T4_T5_mT6_P12ihipStream_tbENKUlT_T0_E_clISt17integral_constantIbLb0EESQ_EEDaSL_SM_EUlSL_E0_NS1_11comp_targetILNS1_3genE2ELNS1_11target_archE906ELNS1_3gpuE6ELNS1_3repE0EEENS1_30default_config_static_selectorELNS0_4arch9wavefront6targetE0EEEvT1_
                                        ; -- End function
	.set _ZN7rocprim17ROCPRIM_400000_NS6detail17trampoline_kernelINS0_14default_configENS1_20scan_config_selectorIlEEZZNS1_9scan_implILNS1_25lookback_scan_determinismE0ELb0ELb0ES3_PlS8_lN6thrust23THRUST_200600_302600_NS4plusIvEElEEDaPvRmT3_T4_T5_mT6_P12ihipStream_tbENKUlT_T0_E_clISt17integral_constantIbLb0EESQ_EEDaSL_SM_EUlSL_E0_NS1_11comp_targetILNS1_3genE2ELNS1_11target_archE906ELNS1_3gpuE6ELNS1_3repE0EEENS1_30default_config_static_selectorELNS0_4arch9wavefront6targetE0EEEvT1_.num_vgpr, 0
	.set _ZN7rocprim17ROCPRIM_400000_NS6detail17trampoline_kernelINS0_14default_configENS1_20scan_config_selectorIlEEZZNS1_9scan_implILNS1_25lookback_scan_determinismE0ELb0ELb0ES3_PlS8_lN6thrust23THRUST_200600_302600_NS4plusIvEElEEDaPvRmT3_T4_T5_mT6_P12ihipStream_tbENKUlT_T0_E_clISt17integral_constantIbLb0EESQ_EEDaSL_SM_EUlSL_E0_NS1_11comp_targetILNS1_3genE2ELNS1_11target_archE906ELNS1_3gpuE6ELNS1_3repE0EEENS1_30default_config_static_selectorELNS0_4arch9wavefront6targetE0EEEvT1_.num_agpr, 0
	.set _ZN7rocprim17ROCPRIM_400000_NS6detail17trampoline_kernelINS0_14default_configENS1_20scan_config_selectorIlEEZZNS1_9scan_implILNS1_25lookback_scan_determinismE0ELb0ELb0ES3_PlS8_lN6thrust23THRUST_200600_302600_NS4plusIvEElEEDaPvRmT3_T4_T5_mT6_P12ihipStream_tbENKUlT_T0_E_clISt17integral_constantIbLb0EESQ_EEDaSL_SM_EUlSL_E0_NS1_11comp_targetILNS1_3genE2ELNS1_11target_archE906ELNS1_3gpuE6ELNS1_3repE0EEENS1_30default_config_static_selectorELNS0_4arch9wavefront6targetE0EEEvT1_.numbered_sgpr, 0
	.set _ZN7rocprim17ROCPRIM_400000_NS6detail17trampoline_kernelINS0_14default_configENS1_20scan_config_selectorIlEEZZNS1_9scan_implILNS1_25lookback_scan_determinismE0ELb0ELb0ES3_PlS8_lN6thrust23THRUST_200600_302600_NS4plusIvEElEEDaPvRmT3_T4_T5_mT6_P12ihipStream_tbENKUlT_T0_E_clISt17integral_constantIbLb0EESQ_EEDaSL_SM_EUlSL_E0_NS1_11comp_targetILNS1_3genE2ELNS1_11target_archE906ELNS1_3gpuE6ELNS1_3repE0EEENS1_30default_config_static_selectorELNS0_4arch9wavefront6targetE0EEEvT1_.num_named_barrier, 0
	.set _ZN7rocprim17ROCPRIM_400000_NS6detail17trampoline_kernelINS0_14default_configENS1_20scan_config_selectorIlEEZZNS1_9scan_implILNS1_25lookback_scan_determinismE0ELb0ELb0ES3_PlS8_lN6thrust23THRUST_200600_302600_NS4plusIvEElEEDaPvRmT3_T4_T5_mT6_P12ihipStream_tbENKUlT_T0_E_clISt17integral_constantIbLb0EESQ_EEDaSL_SM_EUlSL_E0_NS1_11comp_targetILNS1_3genE2ELNS1_11target_archE906ELNS1_3gpuE6ELNS1_3repE0EEENS1_30default_config_static_selectorELNS0_4arch9wavefront6targetE0EEEvT1_.private_seg_size, 0
	.set _ZN7rocprim17ROCPRIM_400000_NS6detail17trampoline_kernelINS0_14default_configENS1_20scan_config_selectorIlEEZZNS1_9scan_implILNS1_25lookback_scan_determinismE0ELb0ELb0ES3_PlS8_lN6thrust23THRUST_200600_302600_NS4plusIvEElEEDaPvRmT3_T4_T5_mT6_P12ihipStream_tbENKUlT_T0_E_clISt17integral_constantIbLb0EESQ_EEDaSL_SM_EUlSL_E0_NS1_11comp_targetILNS1_3genE2ELNS1_11target_archE906ELNS1_3gpuE6ELNS1_3repE0EEENS1_30default_config_static_selectorELNS0_4arch9wavefront6targetE0EEEvT1_.uses_vcc, 0
	.set _ZN7rocprim17ROCPRIM_400000_NS6detail17trampoline_kernelINS0_14default_configENS1_20scan_config_selectorIlEEZZNS1_9scan_implILNS1_25lookback_scan_determinismE0ELb0ELb0ES3_PlS8_lN6thrust23THRUST_200600_302600_NS4plusIvEElEEDaPvRmT3_T4_T5_mT6_P12ihipStream_tbENKUlT_T0_E_clISt17integral_constantIbLb0EESQ_EEDaSL_SM_EUlSL_E0_NS1_11comp_targetILNS1_3genE2ELNS1_11target_archE906ELNS1_3gpuE6ELNS1_3repE0EEENS1_30default_config_static_selectorELNS0_4arch9wavefront6targetE0EEEvT1_.uses_flat_scratch, 0
	.set _ZN7rocprim17ROCPRIM_400000_NS6detail17trampoline_kernelINS0_14default_configENS1_20scan_config_selectorIlEEZZNS1_9scan_implILNS1_25lookback_scan_determinismE0ELb0ELb0ES3_PlS8_lN6thrust23THRUST_200600_302600_NS4plusIvEElEEDaPvRmT3_T4_T5_mT6_P12ihipStream_tbENKUlT_T0_E_clISt17integral_constantIbLb0EESQ_EEDaSL_SM_EUlSL_E0_NS1_11comp_targetILNS1_3genE2ELNS1_11target_archE906ELNS1_3gpuE6ELNS1_3repE0EEENS1_30default_config_static_selectorELNS0_4arch9wavefront6targetE0EEEvT1_.has_dyn_sized_stack, 0
	.set _ZN7rocprim17ROCPRIM_400000_NS6detail17trampoline_kernelINS0_14default_configENS1_20scan_config_selectorIlEEZZNS1_9scan_implILNS1_25lookback_scan_determinismE0ELb0ELb0ES3_PlS8_lN6thrust23THRUST_200600_302600_NS4plusIvEElEEDaPvRmT3_T4_T5_mT6_P12ihipStream_tbENKUlT_T0_E_clISt17integral_constantIbLb0EESQ_EEDaSL_SM_EUlSL_E0_NS1_11comp_targetILNS1_3genE2ELNS1_11target_archE906ELNS1_3gpuE6ELNS1_3repE0EEENS1_30default_config_static_selectorELNS0_4arch9wavefront6targetE0EEEvT1_.has_recursion, 0
	.set _ZN7rocprim17ROCPRIM_400000_NS6detail17trampoline_kernelINS0_14default_configENS1_20scan_config_selectorIlEEZZNS1_9scan_implILNS1_25lookback_scan_determinismE0ELb0ELb0ES3_PlS8_lN6thrust23THRUST_200600_302600_NS4plusIvEElEEDaPvRmT3_T4_T5_mT6_P12ihipStream_tbENKUlT_T0_E_clISt17integral_constantIbLb0EESQ_EEDaSL_SM_EUlSL_E0_NS1_11comp_targetILNS1_3genE2ELNS1_11target_archE906ELNS1_3gpuE6ELNS1_3repE0EEENS1_30default_config_static_selectorELNS0_4arch9wavefront6targetE0EEEvT1_.has_indirect_call, 0
	.section	.AMDGPU.csdata,"",@progbits
; Kernel info:
; codeLenInByte = 0
; TotalNumSgprs: 0
; NumVgprs: 0
; ScratchSize: 0
; MemoryBound: 0
; FloatMode: 240
; IeeeMode: 1
; LDSByteSize: 0 bytes/workgroup (compile time only)
; SGPRBlocks: 0
; VGPRBlocks: 0
; NumSGPRsForWavesPerEU: 1
; NumVGPRsForWavesPerEU: 1
; NamedBarCnt: 0
; Occupancy: 16
; WaveLimiterHint : 0
; COMPUTE_PGM_RSRC2:SCRATCH_EN: 0
; COMPUTE_PGM_RSRC2:USER_SGPR: 2
; COMPUTE_PGM_RSRC2:TRAP_HANDLER: 0
; COMPUTE_PGM_RSRC2:TGID_X_EN: 1
; COMPUTE_PGM_RSRC2:TGID_Y_EN: 0
; COMPUTE_PGM_RSRC2:TGID_Z_EN: 0
; COMPUTE_PGM_RSRC2:TIDIG_COMP_CNT: 0
	.section	.text._ZN7rocprim17ROCPRIM_400000_NS6detail17trampoline_kernelINS0_14default_configENS1_20scan_config_selectorIlEEZZNS1_9scan_implILNS1_25lookback_scan_determinismE0ELb0ELb0ES3_PlS8_lN6thrust23THRUST_200600_302600_NS4plusIvEElEEDaPvRmT3_T4_T5_mT6_P12ihipStream_tbENKUlT_T0_E_clISt17integral_constantIbLb0EESQ_EEDaSL_SM_EUlSL_E0_NS1_11comp_targetILNS1_3genE10ELNS1_11target_archE1201ELNS1_3gpuE5ELNS1_3repE0EEENS1_30default_config_static_selectorELNS0_4arch9wavefront6targetE0EEEvT1_,"axG",@progbits,_ZN7rocprim17ROCPRIM_400000_NS6detail17trampoline_kernelINS0_14default_configENS1_20scan_config_selectorIlEEZZNS1_9scan_implILNS1_25lookback_scan_determinismE0ELb0ELb0ES3_PlS8_lN6thrust23THRUST_200600_302600_NS4plusIvEElEEDaPvRmT3_T4_T5_mT6_P12ihipStream_tbENKUlT_T0_E_clISt17integral_constantIbLb0EESQ_EEDaSL_SM_EUlSL_E0_NS1_11comp_targetILNS1_3genE10ELNS1_11target_archE1201ELNS1_3gpuE5ELNS1_3repE0EEENS1_30default_config_static_selectorELNS0_4arch9wavefront6targetE0EEEvT1_,comdat
	.protected	_ZN7rocprim17ROCPRIM_400000_NS6detail17trampoline_kernelINS0_14default_configENS1_20scan_config_selectorIlEEZZNS1_9scan_implILNS1_25lookback_scan_determinismE0ELb0ELb0ES3_PlS8_lN6thrust23THRUST_200600_302600_NS4plusIvEElEEDaPvRmT3_T4_T5_mT6_P12ihipStream_tbENKUlT_T0_E_clISt17integral_constantIbLb0EESQ_EEDaSL_SM_EUlSL_E0_NS1_11comp_targetILNS1_3genE10ELNS1_11target_archE1201ELNS1_3gpuE5ELNS1_3repE0EEENS1_30default_config_static_selectorELNS0_4arch9wavefront6targetE0EEEvT1_ ; -- Begin function _ZN7rocprim17ROCPRIM_400000_NS6detail17trampoline_kernelINS0_14default_configENS1_20scan_config_selectorIlEEZZNS1_9scan_implILNS1_25lookback_scan_determinismE0ELb0ELb0ES3_PlS8_lN6thrust23THRUST_200600_302600_NS4plusIvEElEEDaPvRmT3_T4_T5_mT6_P12ihipStream_tbENKUlT_T0_E_clISt17integral_constantIbLb0EESQ_EEDaSL_SM_EUlSL_E0_NS1_11comp_targetILNS1_3genE10ELNS1_11target_archE1201ELNS1_3gpuE5ELNS1_3repE0EEENS1_30default_config_static_selectorELNS0_4arch9wavefront6targetE0EEEvT1_
	.globl	_ZN7rocprim17ROCPRIM_400000_NS6detail17trampoline_kernelINS0_14default_configENS1_20scan_config_selectorIlEEZZNS1_9scan_implILNS1_25lookback_scan_determinismE0ELb0ELb0ES3_PlS8_lN6thrust23THRUST_200600_302600_NS4plusIvEElEEDaPvRmT3_T4_T5_mT6_P12ihipStream_tbENKUlT_T0_E_clISt17integral_constantIbLb0EESQ_EEDaSL_SM_EUlSL_E0_NS1_11comp_targetILNS1_3genE10ELNS1_11target_archE1201ELNS1_3gpuE5ELNS1_3repE0EEENS1_30default_config_static_selectorELNS0_4arch9wavefront6targetE0EEEvT1_
	.p2align	8
	.type	_ZN7rocprim17ROCPRIM_400000_NS6detail17trampoline_kernelINS0_14default_configENS1_20scan_config_selectorIlEEZZNS1_9scan_implILNS1_25lookback_scan_determinismE0ELb0ELb0ES3_PlS8_lN6thrust23THRUST_200600_302600_NS4plusIvEElEEDaPvRmT3_T4_T5_mT6_P12ihipStream_tbENKUlT_T0_E_clISt17integral_constantIbLb0EESQ_EEDaSL_SM_EUlSL_E0_NS1_11comp_targetILNS1_3genE10ELNS1_11target_archE1201ELNS1_3gpuE5ELNS1_3repE0EEENS1_30default_config_static_selectorELNS0_4arch9wavefront6targetE0EEEvT1_,@function
_ZN7rocprim17ROCPRIM_400000_NS6detail17trampoline_kernelINS0_14default_configENS1_20scan_config_selectorIlEEZZNS1_9scan_implILNS1_25lookback_scan_determinismE0ELb0ELb0ES3_PlS8_lN6thrust23THRUST_200600_302600_NS4plusIvEElEEDaPvRmT3_T4_T5_mT6_P12ihipStream_tbENKUlT_T0_E_clISt17integral_constantIbLb0EESQ_EEDaSL_SM_EUlSL_E0_NS1_11comp_targetILNS1_3genE10ELNS1_11target_archE1201ELNS1_3gpuE5ELNS1_3repE0EEENS1_30default_config_static_selectorELNS0_4arch9wavefront6targetE0EEEvT1_: ; @_ZN7rocprim17ROCPRIM_400000_NS6detail17trampoline_kernelINS0_14default_configENS1_20scan_config_selectorIlEEZZNS1_9scan_implILNS1_25lookback_scan_determinismE0ELb0ELb0ES3_PlS8_lN6thrust23THRUST_200600_302600_NS4plusIvEElEEDaPvRmT3_T4_T5_mT6_P12ihipStream_tbENKUlT_T0_E_clISt17integral_constantIbLb0EESQ_EEDaSL_SM_EUlSL_E0_NS1_11comp_targetILNS1_3genE10ELNS1_11target_archE1201ELNS1_3gpuE5ELNS1_3repE0EEENS1_30default_config_static_selectorELNS0_4arch9wavefront6targetE0EEEvT1_
; %bb.0:
	.section	.rodata,"a",@progbits
	.p2align	6, 0x0
	.amdhsa_kernel _ZN7rocprim17ROCPRIM_400000_NS6detail17trampoline_kernelINS0_14default_configENS1_20scan_config_selectorIlEEZZNS1_9scan_implILNS1_25lookback_scan_determinismE0ELb0ELb0ES3_PlS8_lN6thrust23THRUST_200600_302600_NS4plusIvEElEEDaPvRmT3_T4_T5_mT6_P12ihipStream_tbENKUlT_T0_E_clISt17integral_constantIbLb0EESQ_EEDaSL_SM_EUlSL_E0_NS1_11comp_targetILNS1_3genE10ELNS1_11target_archE1201ELNS1_3gpuE5ELNS1_3repE0EEENS1_30default_config_static_selectorELNS0_4arch9wavefront6targetE0EEEvT1_
		.amdhsa_group_segment_fixed_size 0
		.amdhsa_private_segment_fixed_size 0
		.amdhsa_kernarg_size 40
		.amdhsa_user_sgpr_count 2
		.amdhsa_user_sgpr_dispatch_ptr 0
		.amdhsa_user_sgpr_queue_ptr 0
		.amdhsa_user_sgpr_kernarg_segment_ptr 1
		.amdhsa_user_sgpr_dispatch_id 0
		.amdhsa_user_sgpr_kernarg_preload_length 0
		.amdhsa_user_sgpr_kernarg_preload_offset 0
		.amdhsa_user_sgpr_private_segment_size 0
		.amdhsa_wavefront_size32 1
		.amdhsa_uses_dynamic_stack 0
		.amdhsa_enable_private_segment 0
		.amdhsa_system_sgpr_workgroup_id_x 1
		.amdhsa_system_sgpr_workgroup_id_y 0
		.amdhsa_system_sgpr_workgroup_id_z 0
		.amdhsa_system_sgpr_workgroup_info 0
		.amdhsa_system_vgpr_workitem_id 0
		.amdhsa_next_free_vgpr 1
		.amdhsa_next_free_sgpr 1
		.amdhsa_named_barrier_count 0
		.amdhsa_reserve_vcc 0
		.amdhsa_float_round_mode_32 0
		.amdhsa_float_round_mode_16_64 0
		.amdhsa_float_denorm_mode_32 3
		.amdhsa_float_denorm_mode_16_64 3
		.amdhsa_fp16_overflow 0
		.amdhsa_memory_ordered 1
		.amdhsa_forward_progress 1
		.amdhsa_inst_pref_size 0
		.amdhsa_round_robin_scheduling 0
		.amdhsa_exception_fp_ieee_invalid_op 0
		.amdhsa_exception_fp_denorm_src 0
		.amdhsa_exception_fp_ieee_div_zero 0
		.amdhsa_exception_fp_ieee_overflow 0
		.amdhsa_exception_fp_ieee_underflow 0
		.amdhsa_exception_fp_ieee_inexact 0
		.amdhsa_exception_int_div_zero 0
	.end_amdhsa_kernel
	.section	.text._ZN7rocprim17ROCPRIM_400000_NS6detail17trampoline_kernelINS0_14default_configENS1_20scan_config_selectorIlEEZZNS1_9scan_implILNS1_25lookback_scan_determinismE0ELb0ELb0ES3_PlS8_lN6thrust23THRUST_200600_302600_NS4plusIvEElEEDaPvRmT3_T4_T5_mT6_P12ihipStream_tbENKUlT_T0_E_clISt17integral_constantIbLb0EESQ_EEDaSL_SM_EUlSL_E0_NS1_11comp_targetILNS1_3genE10ELNS1_11target_archE1201ELNS1_3gpuE5ELNS1_3repE0EEENS1_30default_config_static_selectorELNS0_4arch9wavefront6targetE0EEEvT1_,"axG",@progbits,_ZN7rocprim17ROCPRIM_400000_NS6detail17trampoline_kernelINS0_14default_configENS1_20scan_config_selectorIlEEZZNS1_9scan_implILNS1_25lookback_scan_determinismE0ELb0ELb0ES3_PlS8_lN6thrust23THRUST_200600_302600_NS4plusIvEElEEDaPvRmT3_T4_T5_mT6_P12ihipStream_tbENKUlT_T0_E_clISt17integral_constantIbLb0EESQ_EEDaSL_SM_EUlSL_E0_NS1_11comp_targetILNS1_3genE10ELNS1_11target_archE1201ELNS1_3gpuE5ELNS1_3repE0EEENS1_30default_config_static_selectorELNS0_4arch9wavefront6targetE0EEEvT1_,comdat
.Lfunc_end98:
	.size	_ZN7rocprim17ROCPRIM_400000_NS6detail17trampoline_kernelINS0_14default_configENS1_20scan_config_selectorIlEEZZNS1_9scan_implILNS1_25lookback_scan_determinismE0ELb0ELb0ES3_PlS8_lN6thrust23THRUST_200600_302600_NS4plusIvEElEEDaPvRmT3_T4_T5_mT6_P12ihipStream_tbENKUlT_T0_E_clISt17integral_constantIbLb0EESQ_EEDaSL_SM_EUlSL_E0_NS1_11comp_targetILNS1_3genE10ELNS1_11target_archE1201ELNS1_3gpuE5ELNS1_3repE0EEENS1_30default_config_static_selectorELNS0_4arch9wavefront6targetE0EEEvT1_, .Lfunc_end98-_ZN7rocprim17ROCPRIM_400000_NS6detail17trampoline_kernelINS0_14default_configENS1_20scan_config_selectorIlEEZZNS1_9scan_implILNS1_25lookback_scan_determinismE0ELb0ELb0ES3_PlS8_lN6thrust23THRUST_200600_302600_NS4plusIvEElEEDaPvRmT3_T4_T5_mT6_P12ihipStream_tbENKUlT_T0_E_clISt17integral_constantIbLb0EESQ_EEDaSL_SM_EUlSL_E0_NS1_11comp_targetILNS1_3genE10ELNS1_11target_archE1201ELNS1_3gpuE5ELNS1_3repE0EEENS1_30default_config_static_selectorELNS0_4arch9wavefront6targetE0EEEvT1_
                                        ; -- End function
	.set _ZN7rocprim17ROCPRIM_400000_NS6detail17trampoline_kernelINS0_14default_configENS1_20scan_config_selectorIlEEZZNS1_9scan_implILNS1_25lookback_scan_determinismE0ELb0ELb0ES3_PlS8_lN6thrust23THRUST_200600_302600_NS4plusIvEElEEDaPvRmT3_T4_T5_mT6_P12ihipStream_tbENKUlT_T0_E_clISt17integral_constantIbLb0EESQ_EEDaSL_SM_EUlSL_E0_NS1_11comp_targetILNS1_3genE10ELNS1_11target_archE1201ELNS1_3gpuE5ELNS1_3repE0EEENS1_30default_config_static_selectorELNS0_4arch9wavefront6targetE0EEEvT1_.num_vgpr, 0
	.set _ZN7rocprim17ROCPRIM_400000_NS6detail17trampoline_kernelINS0_14default_configENS1_20scan_config_selectorIlEEZZNS1_9scan_implILNS1_25lookback_scan_determinismE0ELb0ELb0ES3_PlS8_lN6thrust23THRUST_200600_302600_NS4plusIvEElEEDaPvRmT3_T4_T5_mT6_P12ihipStream_tbENKUlT_T0_E_clISt17integral_constantIbLb0EESQ_EEDaSL_SM_EUlSL_E0_NS1_11comp_targetILNS1_3genE10ELNS1_11target_archE1201ELNS1_3gpuE5ELNS1_3repE0EEENS1_30default_config_static_selectorELNS0_4arch9wavefront6targetE0EEEvT1_.num_agpr, 0
	.set _ZN7rocprim17ROCPRIM_400000_NS6detail17trampoline_kernelINS0_14default_configENS1_20scan_config_selectorIlEEZZNS1_9scan_implILNS1_25lookback_scan_determinismE0ELb0ELb0ES3_PlS8_lN6thrust23THRUST_200600_302600_NS4plusIvEElEEDaPvRmT3_T4_T5_mT6_P12ihipStream_tbENKUlT_T0_E_clISt17integral_constantIbLb0EESQ_EEDaSL_SM_EUlSL_E0_NS1_11comp_targetILNS1_3genE10ELNS1_11target_archE1201ELNS1_3gpuE5ELNS1_3repE0EEENS1_30default_config_static_selectorELNS0_4arch9wavefront6targetE0EEEvT1_.numbered_sgpr, 0
	.set _ZN7rocprim17ROCPRIM_400000_NS6detail17trampoline_kernelINS0_14default_configENS1_20scan_config_selectorIlEEZZNS1_9scan_implILNS1_25lookback_scan_determinismE0ELb0ELb0ES3_PlS8_lN6thrust23THRUST_200600_302600_NS4plusIvEElEEDaPvRmT3_T4_T5_mT6_P12ihipStream_tbENKUlT_T0_E_clISt17integral_constantIbLb0EESQ_EEDaSL_SM_EUlSL_E0_NS1_11comp_targetILNS1_3genE10ELNS1_11target_archE1201ELNS1_3gpuE5ELNS1_3repE0EEENS1_30default_config_static_selectorELNS0_4arch9wavefront6targetE0EEEvT1_.num_named_barrier, 0
	.set _ZN7rocprim17ROCPRIM_400000_NS6detail17trampoline_kernelINS0_14default_configENS1_20scan_config_selectorIlEEZZNS1_9scan_implILNS1_25lookback_scan_determinismE0ELb0ELb0ES3_PlS8_lN6thrust23THRUST_200600_302600_NS4plusIvEElEEDaPvRmT3_T4_T5_mT6_P12ihipStream_tbENKUlT_T0_E_clISt17integral_constantIbLb0EESQ_EEDaSL_SM_EUlSL_E0_NS1_11comp_targetILNS1_3genE10ELNS1_11target_archE1201ELNS1_3gpuE5ELNS1_3repE0EEENS1_30default_config_static_selectorELNS0_4arch9wavefront6targetE0EEEvT1_.private_seg_size, 0
	.set _ZN7rocprim17ROCPRIM_400000_NS6detail17trampoline_kernelINS0_14default_configENS1_20scan_config_selectorIlEEZZNS1_9scan_implILNS1_25lookback_scan_determinismE0ELb0ELb0ES3_PlS8_lN6thrust23THRUST_200600_302600_NS4plusIvEElEEDaPvRmT3_T4_T5_mT6_P12ihipStream_tbENKUlT_T0_E_clISt17integral_constantIbLb0EESQ_EEDaSL_SM_EUlSL_E0_NS1_11comp_targetILNS1_3genE10ELNS1_11target_archE1201ELNS1_3gpuE5ELNS1_3repE0EEENS1_30default_config_static_selectorELNS0_4arch9wavefront6targetE0EEEvT1_.uses_vcc, 0
	.set _ZN7rocprim17ROCPRIM_400000_NS6detail17trampoline_kernelINS0_14default_configENS1_20scan_config_selectorIlEEZZNS1_9scan_implILNS1_25lookback_scan_determinismE0ELb0ELb0ES3_PlS8_lN6thrust23THRUST_200600_302600_NS4plusIvEElEEDaPvRmT3_T4_T5_mT6_P12ihipStream_tbENKUlT_T0_E_clISt17integral_constantIbLb0EESQ_EEDaSL_SM_EUlSL_E0_NS1_11comp_targetILNS1_3genE10ELNS1_11target_archE1201ELNS1_3gpuE5ELNS1_3repE0EEENS1_30default_config_static_selectorELNS0_4arch9wavefront6targetE0EEEvT1_.uses_flat_scratch, 0
	.set _ZN7rocprim17ROCPRIM_400000_NS6detail17trampoline_kernelINS0_14default_configENS1_20scan_config_selectorIlEEZZNS1_9scan_implILNS1_25lookback_scan_determinismE0ELb0ELb0ES3_PlS8_lN6thrust23THRUST_200600_302600_NS4plusIvEElEEDaPvRmT3_T4_T5_mT6_P12ihipStream_tbENKUlT_T0_E_clISt17integral_constantIbLb0EESQ_EEDaSL_SM_EUlSL_E0_NS1_11comp_targetILNS1_3genE10ELNS1_11target_archE1201ELNS1_3gpuE5ELNS1_3repE0EEENS1_30default_config_static_selectorELNS0_4arch9wavefront6targetE0EEEvT1_.has_dyn_sized_stack, 0
	.set _ZN7rocprim17ROCPRIM_400000_NS6detail17trampoline_kernelINS0_14default_configENS1_20scan_config_selectorIlEEZZNS1_9scan_implILNS1_25lookback_scan_determinismE0ELb0ELb0ES3_PlS8_lN6thrust23THRUST_200600_302600_NS4plusIvEElEEDaPvRmT3_T4_T5_mT6_P12ihipStream_tbENKUlT_T0_E_clISt17integral_constantIbLb0EESQ_EEDaSL_SM_EUlSL_E0_NS1_11comp_targetILNS1_3genE10ELNS1_11target_archE1201ELNS1_3gpuE5ELNS1_3repE0EEENS1_30default_config_static_selectorELNS0_4arch9wavefront6targetE0EEEvT1_.has_recursion, 0
	.set _ZN7rocprim17ROCPRIM_400000_NS6detail17trampoline_kernelINS0_14default_configENS1_20scan_config_selectorIlEEZZNS1_9scan_implILNS1_25lookback_scan_determinismE0ELb0ELb0ES3_PlS8_lN6thrust23THRUST_200600_302600_NS4plusIvEElEEDaPvRmT3_T4_T5_mT6_P12ihipStream_tbENKUlT_T0_E_clISt17integral_constantIbLb0EESQ_EEDaSL_SM_EUlSL_E0_NS1_11comp_targetILNS1_3genE10ELNS1_11target_archE1201ELNS1_3gpuE5ELNS1_3repE0EEENS1_30default_config_static_selectorELNS0_4arch9wavefront6targetE0EEEvT1_.has_indirect_call, 0
	.section	.AMDGPU.csdata,"",@progbits
; Kernel info:
; codeLenInByte = 0
; TotalNumSgprs: 0
; NumVgprs: 0
; ScratchSize: 0
; MemoryBound: 0
; FloatMode: 240
; IeeeMode: 1
; LDSByteSize: 0 bytes/workgroup (compile time only)
; SGPRBlocks: 0
; VGPRBlocks: 0
; NumSGPRsForWavesPerEU: 1
; NumVGPRsForWavesPerEU: 1
; NamedBarCnt: 0
; Occupancy: 16
; WaveLimiterHint : 0
; COMPUTE_PGM_RSRC2:SCRATCH_EN: 0
; COMPUTE_PGM_RSRC2:USER_SGPR: 2
; COMPUTE_PGM_RSRC2:TRAP_HANDLER: 0
; COMPUTE_PGM_RSRC2:TGID_X_EN: 1
; COMPUTE_PGM_RSRC2:TGID_Y_EN: 0
; COMPUTE_PGM_RSRC2:TGID_Z_EN: 0
; COMPUTE_PGM_RSRC2:TIDIG_COMP_CNT: 0
	.section	.text._ZN7rocprim17ROCPRIM_400000_NS6detail17trampoline_kernelINS0_14default_configENS1_20scan_config_selectorIlEEZZNS1_9scan_implILNS1_25lookback_scan_determinismE0ELb0ELb0ES3_PlS8_lN6thrust23THRUST_200600_302600_NS4plusIvEElEEDaPvRmT3_T4_T5_mT6_P12ihipStream_tbENKUlT_T0_E_clISt17integral_constantIbLb0EESQ_EEDaSL_SM_EUlSL_E0_NS1_11comp_targetILNS1_3genE10ELNS1_11target_archE1200ELNS1_3gpuE4ELNS1_3repE0EEENS1_30default_config_static_selectorELNS0_4arch9wavefront6targetE0EEEvT1_,"axG",@progbits,_ZN7rocprim17ROCPRIM_400000_NS6detail17trampoline_kernelINS0_14default_configENS1_20scan_config_selectorIlEEZZNS1_9scan_implILNS1_25lookback_scan_determinismE0ELb0ELb0ES3_PlS8_lN6thrust23THRUST_200600_302600_NS4plusIvEElEEDaPvRmT3_T4_T5_mT6_P12ihipStream_tbENKUlT_T0_E_clISt17integral_constantIbLb0EESQ_EEDaSL_SM_EUlSL_E0_NS1_11comp_targetILNS1_3genE10ELNS1_11target_archE1200ELNS1_3gpuE4ELNS1_3repE0EEENS1_30default_config_static_selectorELNS0_4arch9wavefront6targetE0EEEvT1_,comdat
	.protected	_ZN7rocprim17ROCPRIM_400000_NS6detail17trampoline_kernelINS0_14default_configENS1_20scan_config_selectorIlEEZZNS1_9scan_implILNS1_25lookback_scan_determinismE0ELb0ELb0ES3_PlS8_lN6thrust23THRUST_200600_302600_NS4plusIvEElEEDaPvRmT3_T4_T5_mT6_P12ihipStream_tbENKUlT_T0_E_clISt17integral_constantIbLb0EESQ_EEDaSL_SM_EUlSL_E0_NS1_11comp_targetILNS1_3genE10ELNS1_11target_archE1200ELNS1_3gpuE4ELNS1_3repE0EEENS1_30default_config_static_selectorELNS0_4arch9wavefront6targetE0EEEvT1_ ; -- Begin function _ZN7rocprim17ROCPRIM_400000_NS6detail17trampoline_kernelINS0_14default_configENS1_20scan_config_selectorIlEEZZNS1_9scan_implILNS1_25lookback_scan_determinismE0ELb0ELb0ES3_PlS8_lN6thrust23THRUST_200600_302600_NS4plusIvEElEEDaPvRmT3_T4_T5_mT6_P12ihipStream_tbENKUlT_T0_E_clISt17integral_constantIbLb0EESQ_EEDaSL_SM_EUlSL_E0_NS1_11comp_targetILNS1_3genE10ELNS1_11target_archE1200ELNS1_3gpuE4ELNS1_3repE0EEENS1_30default_config_static_selectorELNS0_4arch9wavefront6targetE0EEEvT1_
	.globl	_ZN7rocprim17ROCPRIM_400000_NS6detail17trampoline_kernelINS0_14default_configENS1_20scan_config_selectorIlEEZZNS1_9scan_implILNS1_25lookback_scan_determinismE0ELb0ELb0ES3_PlS8_lN6thrust23THRUST_200600_302600_NS4plusIvEElEEDaPvRmT3_T4_T5_mT6_P12ihipStream_tbENKUlT_T0_E_clISt17integral_constantIbLb0EESQ_EEDaSL_SM_EUlSL_E0_NS1_11comp_targetILNS1_3genE10ELNS1_11target_archE1200ELNS1_3gpuE4ELNS1_3repE0EEENS1_30default_config_static_selectorELNS0_4arch9wavefront6targetE0EEEvT1_
	.p2align	8
	.type	_ZN7rocprim17ROCPRIM_400000_NS6detail17trampoline_kernelINS0_14default_configENS1_20scan_config_selectorIlEEZZNS1_9scan_implILNS1_25lookback_scan_determinismE0ELb0ELb0ES3_PlS8_lN6thrust23THRUST_200600_302600_NS4plusIvEElEEDaPvRmT3_T4_T5_mT6_P12ihipStream_tbENKUlT_T0_E_clISt17integral_constantIbLb0EESQ_EEDaSL_SM_EUlSL_E0_NS1_11comp_targetILNS1_3genE10ELNS1_11target_archE1200ELNS1_3gpuE4ELNS1_3repE0EEENS1_30default_config_static_selectorELNS0_4arch9wavefront6targetE0EEEvT1_,@function
_ZN7rocprim17ROCPRIM_400000_NS6detail17trampoline_kernelINS0_14default_configENS1_20scan_config_selectorIlEEZZNS1_9scan_implILNS1_25lookback_scan_determinismE0ELb0ELb0ES3_PlS8_lN6thrust23THRUST_200600_302600_NS4plusIvEElEEDaPvRmT3_T4_T5_mT6_P12ihipStream_tbENKUlT_T0_E_clISt17integral_constantIbLb0EESQ_EEDaSL_SM_EUlSL_E0_NS1_11comp_targetILNS1_3genE10ELNS1_11target_archE1200ELNS1_3gpuE4ELNS1_3repE0EEENS1_30default_config_static_selectorELNS0_4arch9wavefront6targetE0EEEvT1_: ; @_ZN7rocprim17ROCPRIM_400000_NS6detail17trampoline_kernelINS0_14default_configENS1_20scan_config_selectorIlEEZZNS1_9scan_implILNS1_25lookback_scan_determinismE0ELb0ELb0ES3_PlS8_lN6thrust23THRUST_200600_302600_NS4plusIvEElEEDaPvRmT3_T4_T5_mT6_P12ihipStream_tbENKUlT_T0_E_clISt17integral_constantIbLb0EESQ_EEDaSL_SM_EUlSL_E0_NS1_11comp_targetILNS1_3genE10ELNS1_11target_archE1200ELNS1_3gpuE4ELNS1_3repE0EEENS1_30default_config_static_selectorELNS0_4arch9wavefront6targetE0EEEvT1_
; %bb.0:
	.section	.rodata,"a",@progbits
	.p2align	6, 0x0
	.amdhsa_kernel _ZN7rocprim17ROCPRIM_400000_NS6detail17trampoline_kernelINS0_14default_configENS1_20scan_config_selectorIlEEZZNS1_9scan_implILNS1_25lookback_scan_determinismE0ELb0ELb0ES3_PlS8_lN6thrust23THRUST_200600_302600_NS4plusIvEElEEDaPvRmT3_T4_T5_mT6_P12ihipStream_tbENKUlT_T0_E_clISt17integral_constantIbLb0EESQ_EEDaSL_SM_EUlSL_E0_NS1_11comp_targetILNS1_3genE10ELNS1_11target_archE1200ELNS1_3gpuE4ELNS1_3repE0EEENS1_30default_config_static_selectorELNS0_4arch9wavefront6targetE0EEEvT1_
		.amdhsa_group_segment_fixed_size 0
		.amdhsa_private_segment_fixed_size 0
		.amdhsa_kernarg_size 40
		.amdhsa_user_sgpr_count 2
		.amdhsa_user_sgpr_dispatch_ptr 0
		.amdhsa_user_sgpr_queue_ptr 0
		.amdhsa_user_sgpr_kernarg_segment_ptr 1
		.amdhsa_user_sgpr_dispatch_id 0
		.amdhsa_user_sgpr_kernarg_preload_length 0
		.amdhsa_user_sgpr_kernarg_preload_offset 0
		.amdhsa_user_sgpr_private_segment_size 0
		.amdhsa_wavefront_size32 1
		.amdhsa_uses_dynamic_stack 0
		.amdhsa_enable_private_segment 0
		.amdhsa_system_sgpr_workgroup_id_x 1
		.amdhsa_system_sgpr_workgroup_id_y 0
		.amdhsa_system_sgpr_workgroup_id_z 0
		.amdhsa_system_sgpr_workgroup_info 0
		.amdhsa_system_vgpr_workitem_id 0
		.amdhsa_next_free_vgpr 1
		.amdhsa_next_free_sgpr 1
		.amdhsa_named_barrier_count 0
		.amdhsa_reserve_vcc 0
		.amdhsa_float_round_mode_32 0
		.amdhsa_float_round_mode_16_64 0
		.amdhsa_float_denorm_mode_32 3
		.amdhsa_float_denorm_mode_16_64 3
		.amdhsa_fp16_overflow 0
		.amdhsa_memory_ordered 1
		.amdhsa_forward_progress 1
		.amdhsa_inst_pref_size 0
		.amdhsa_round_robin_scheduling 0
		.amdhsa_exception_fp_ieee_invalid_op 0
		.amdhsa_exception_fp_denorm_src 0
		.amdhsa_exception_fp_ieee_div_zero 0
		.amdhsa_exception_fp_ieee_overflow 0
		.amdhsa_exception_fp_ieee_underflow 0
		.amdhsa_exception_fp_ieee_inexact 0
		.amdhsa_exception_int_div_zero 0
	.end_amdhsa_kernel
	.section	.text._ZN7rocprim17ROCPRIM_400000_NS6detail17trampoline_kernelINS0_14default_configENS1_20scan_config_selectorIlEEZZNS1_9scan_implILNS1_25lookback_scan_determinismE0ELb0ELb0ES3_PlS8_lN6thrust23THRUST_200600_302600_NS4plusIvEElEEDaPvRmT3_T4_T5_mT6_P12ihipStream_tbENKUlT_T0_E_clISt17integral_constantIbLb0EESQ_EEDaSL_SM_EUlSL_E0_NS1_11comp_targetILNS1_3genE10ELNS1_11target_archE1200ELNS1_3gpuE4ELNS1_3repE0EEENS1_30default_config_static_selectorELNS0_4arch9wavefront6targetE0EEEvT1_,"axG",@progbits,_ZN7rocprim17ROCPRIM_400000_NS6detail17trampoline_kernelINS0_14default_configENS1_20scan_config_selectorIlEEZZNS1_9scan_implILNS1_25lookback_scan_determinismE0ELb0ELb0ES3_PlS8_lN6thrust23THRUST_200600_302600_NS4plusIvEElEEDaPvRmT3_T4_T5_mT6_P12ihipStream_tbENKUlT_T0_E_clISt17integral_constantIbLb0EESQ_EEDaSL_SM_EUlSL_E0_NS1_11comp_targetILNS1_3genE10ELNS1_11target_archE1200ELNS1_3gpuE4ELNS1_3repE0EEENS1_30default_config_static_selectorELNS0_4arch9wavefront6targetE0EEEvT1_,comdat
.Lfunc_end99:
	.size	_ZN7rocprim17ROCPRIM_400000_NS6detail17trampoline_kernelINS0_14default_configENS1_20scan_config_selectorIlEEZZNS1_9scan_implILNS1_25lookback_scan_determinismE0ELb0ELb0ES3_PlS8_lN6thrust23THRUST_200600_302600_NS4plusIvEElEEDaPvRmT3_T4_T5_mT6_P12ihipStream_tbENKUlT_T0_E_clISt17integral_constantIbLb0EESQ_EEDaSL_SM_EUlSL_E0_NS1_11comp_targetILNS1_3genE10ELNS1_11target_archE1200ELNS1_3gpuE4ELNS1_3repE0EEENS1_30default_config_static_selectorELNS0_4arch9wavefront6targetE0EEEvT1_, .Lfunc_end99-_ZN7rocprim17ROCPRIM_400000_NS6detail17trampoline_kernelINS0_14default_configENS1_20scan_config_selectorIlEEZZNS1_9scan_implILNS1_25lookback_scan_determinismE0ELb0ELb0ES3_PlS8_lN6thrust23THRUST_200600_302600_NS4plusIvEElEEDaPvRmT3_T4_T5_mT6_P12ihipStream_tbENKUlT_T0_E_clISt17integral_constantIbLb0EESQ_EEDaSL_SM_EUlSL_E0_NS1_11comp_targetILNS1_3genE10ELNS1_11target_archE1200ELNS1_3gpuE4ELNS1_3repE0EEENS1_30default_config_static_selectorELNS0_4arch9wavefront6targetE0EEEvT1_
                                        ; -- End function
	.set _ZN7rocprim17ROCPRIM_400000_NS6detail17trampoline_kernelINS0_14default_configENS1_20scan_config_selectorIlEEZZNS1_9scan_implILNS1_25lookback_scan_determinismE0ELb0ELb0ES3_PlS8_lN6thrust23THRUST_200600_302600_NS4plusIvEElEEDaPvRmT3_T4_T5_mT6_P12ihipStream_tbENKUlT_T0_E_clISt17integral_constantIbLb0EESQ_EEDaSL_SM_EUlSL_E0_NS1_11comp_targetILNS1_3genE10ELNS1_11target_archE1200ELNS1_3gpuE4ELNS1_3repE0EEENS1_30default_config_static_selectorELNS0_4arch9wavefront6targetE0EEEvT1_.num_vgpr, 0
	.set _ZN7rocprim17ROCPRIM_400000_NS6detail17trampoline_kernelINS0_14default_configENS1_20scan_config_selectorIlEEZZNS1_9scan_implILNS1_25lookback_scan_determinismE0ELb0ELb0ES3_PlS8_lN6thrust23THRUST_200600_302600_NS4plusIvEElEEDaPvRmT3_T4_T5_mT6_P12ihipStream_tbENKUlT_T0_E_clISt17integral_constantIbLb0EESQ_EEDaSL_SM_EUlSL_E0_NS1_11comp_targetILNS1_3genE10ELNS1_11target_archE1200ELNS1_3gpuE4ELNS1_3repE0EEENS1_30default_config_static_selectorELNS0_4arch9wavefront6targetE0EEEvT1_.num_agpr, 0
	.set _ZN7rocprim17ROCPRIM_400000_NS6detail17trampoline_kernelINS0_14default_configENS1_20scan_config_selectorIlEEZZNS1_9scan_implILNS1_25lookback_scan_determinismE0ELb0ELb0ES3_PlS8_lN6thrust23THRUST_200600_302600_NS4plusIvEElEEDaPvRmT3_T4_T5_mT6_P12ihipStream_tbENKUlT_T0_E_clISt17integral_constantIbLb0EESQ_EEDaSL_SM_EUlSL_E0_NS1_11comp_targetILNS1_3genE10ELNS1_11target_archE1200ELNS1_3gpuE4ELNS1_3repE0EEENS1_30default_config_static_selectorELNS0_4arch9wavefront6targetE0EEEvT1_.numbered_sgpr, 0
	.set _ZN7rocprim17ROCPRIM_400000_NS6detail17trampoline_kernelINS0_14default_configENS1_20scan_config_selectorIlEEZZNS1_9scan_implILNS1_25lookback_scan_determinismE0ELb0ELb0ES3_PlS8_lN6thrust23THRUST_200600_302600_NS4plusIvEElEEDaPvRmT3_T4_T5_mT6_P12ihipStream_tbENKUlT_T0_E_clISt17integral_constantIbLb0EESQ_EEDaSL_SM_EUlSL_E0_NS1_11comp_targetILNS1_3genE10ELNS1_11target_archE1200ELNS1_3gpuE4ELNS1_3repE0EEENS1_30default_config_static_selectorELNS0_4arch9wavefront6targetE0EEEvT1_.num_named_barrier, 0
	.set _ZN7rocprim17ROCPRIM_400000_NS6detail17trampoline_kernelINS0_14default_configENS1_20scan_config_selectorIlEEZZNS1_9scan_implILNS1_25lookback_scan_determinismE0ELb0ELb0ES3_PlS8_lN6thrust23THRUST_200600_302600_NS4plusIvEElEEDaPvRmT3_T4_T5_mT6_P12ihipStream_tbENKUlT_T0_E_clISt17integral_constantIbLb0EESQ_EEDaSL_SM_EUlSL_E0_NS1_11comp_targetILNS1_3genE10ELNS1_11target_archE1200ELNS1_3gpuE4ELNS1_3repE0EEENS1_30default_config_static_selectorELNS0_4arch9wavefront6targetE0EEEvT1_.private_seg_size, 0
	.set _ZN7rocprim17ROCPRIM_400000_NS6detail17trampoline_kernelINS0_14default_configENS1_20scan_config_selectorIlEEZZNS1_9scan_implILNS1_25lookback_scan_determinismE0ELb0ELb0ES3_PlS8_lN6thrust23THRUST_200600_302600_NS4plusIvEElEEDaPvRmT3_T4_T5_mT6_P12ihipStream_tbENKUlT_T0_E_clISt17integral_constantIbLb0EESQ_EEDaSL_SM_EUlSL_E0_NS1_11comp_targetILNS1_3genE10ELNS1_11target_archE1200ELNS1_3gpuE4ELNS1_3repE0EEENS1_30default_config_static_selectorELNS0_4arch9wavefront6targetE0EEEvT1_.uses_vcc, 0
	.set _ZN7rocprim17ROCPRIM_400000_NS6detail17trampoline_kernelINS0_14default_configENS1_20scan_config_selectorIlEEZZNS1_9scan_implILNS1_25lookback_scan_determinismE0ELb0ELb0ES3_PlS8_lN6thrust23THRUST_200600_302600_NS4plusIvEElEEDaPvRmT3_T4_T5_mT6_P12ihipStream_tbENKUlT_T0_E_clISt17integral_constantIbLb0EESQ_EEDaSL_SM_EUlSL_E0_NS1_11comp_targetILNS1_3genE10ELNS1_11target_archE1200ELNS1_3gpuE4ELNS1_3repE0EEENS1_30default_config_static_selectorELNS0_4arch9wavefront6targetE0EEEvT1_.uses_flat_scratch, 0
	.set _ZN7rocprim17ROCPRIM_400000_NS6detail17trampoline_kernelINS0_14default_configENS1_20scan_config_selectorIlEEZZNS1_9scan_implILNS1_25lookback_scan_determinismE0ELb0ELb0ES3_PlS8_lN6thrust23THRUST_200600_302600_NS4plusIvEElEEDaPvRmT3_T4_T5_mT6_P12ihipStream_tbENKUlT_T0_E_clISt17integral_constantIbLb0EESQ_EEDaSL_SM_EUlSL_E0_NS1_11comp_targetILNS1_3genE10ELNS1_11target_archE1200ELNS1_3gpuE4ELNS1_3repE0EEENS1_30default_config_static_selectorELNS0_4arch9wavefront6targetE0EEEvT1_.has_dyn_sized_stack, 0
	.set _ZN7rocprim17ROCPRIM_400000_NS6detail17trampoline_kernelINS0_14default_configENS1_20scan_config_selectorIlEEZZNS1_9scan_implILNS1_25lookback_scan_determinismE0ELb0ELb0ES3_PlS8_lN6thrust23THRUST_200600_302600_NS4plusIvEElEEDaPvRmT3_T4_T5_mT6_P12ihipStream_tbENKUlT_T0_E_clISt17integral_constantIbLb0EESQ_EEDaSL_SM_EUlSL_E0_NS1_11comp_targetILNS1_3genE10ELNS1_11target_archE1200ELNS1_3gpuE4ELNS1_3repE0EEENS1_30default_config_static_selectorELNS0_4arch9wavefront6targetE0EEEvT1_.has_recursion, 0
	.set _ZN7rocprim17ROCPRIM_400000_NS6detail17trampoline_kernelINS0_14default_configENS1_20scan_config_selectorIlEEZZNS1_9scan_implILNS1_25lookback_scan_determinismE0ELb0ELb0ES3_PlS8_lN6thrust23THRUST_200600_302600_NS4plusIvEElEEDaPvRmT3_T4_T5_mT6_P12ihipStream_tbENKUlT_T0_E_clISt17integral_constantIbLb0EESQ_EEDaSL_SM_EUlSL_E0_NS1_11comp_targetILNS1_3genE10ELNS1_11target_archE1200ELNS1_3gpuE4ELNS1_3repE0EEENS1_30default_config_static_selectorELNS0_4arch9wavefront6targetE0EEEvT1_.has_indirect_call, 0
	.section	.AMDGPU.csdata,"",@progbits
; Kernel info:
; codeLenInByte = 0
; TotalNumSgprs: 0
; NumVgprs: 0
; ScratchSize: 0
; MemoryBound: 0
; FloatMode: 240
; IeeeMode: 1
; LDSByteSize: 0 bytes/workgroup (compile time only)
; SGPRBlocks: 0
; VGPRBlocks: 0
; NumSGPRsForWavesPerEU: 1
; NumVGPRsForWavesPerEU: 1
; NamedBarCnt: 0
; Occupancy: 16
; WaveLimiterHint : 0
; COMPUTE_PGM_RSRC2:SCRATCH_EN: 0
; COMPUTE_PGM_RSRC2:USER_SGPR: 2
; COMPUTE_PGM_RSRC2:TRAP_HANDLER: 0
; COMPUTE_PGM_RSRC2:TGID_X_EN: 1
; COMPUTE_PGM_RSRC2:TGID_Y_EN: 0
; COMPUTE_PGM_RSRC2:TGID_Z_EN: 0
; COMPUTE_PGM_RSRC2:TIDIG_COMP_CNT: 0
	.section	.text._ZN7rocprim17ROCPRIM_400000_NS6detail17trampoline_kernelINS0_14default_configENS1_20scan_config_selectorIlEEZZNS1_9scan_implILNS1_25lookback_scan_determinismE0ELb0ELb0ES3_PlS8_lN6thrust23THRUST_200600_302600_NS4plusIvEElEEDaPvRmT3_T4_T5_mT6_P12ihipStream_tbENKUlT_T0_E_clISt17integral_constantIbLb0EESQ_EEDaSL_SM_EUlSL_E0_NS1_11comp_targetILNS1_3genE9ELNS1_11target_archE1100ELNS1_3gpuE3ELNS1_3repE0EEENS1_30default_config_static_selectorELNS0_4arch9wavefront6targetE0EEEvT1_,"axG",@progbits,_ZN7rocprim17ROCPRIM_400000_NS6detail17trampoline_kernelINS0_14default_configENS1_20scan_config_selectorIlEEZZNS1_9scan_implILNS1_25lookback_scan_determinismE0ELb0ELb0ES3_PlS8_lN6thrust23THRUST_200600_302600_NS4plusIvEElEEDaPvRmT3_T4_T5_mT6_P12ihipStream_tbENKUlT_T0_E_clISt17integral_constantIbLb0EESQ_EEDaSL_SM_EUlSL_E0_NS1_11comp_targetILNS1_3genE9ELNS1_11target_archE1100ELNS1_3gpuE3ELNS1_3repE0EEENS1_30default_config_static_selectorELNS0_4arch9wavefront6targetE0EEEvT1_,comdat
	.protected	_ZN7rocprim17ROCPRIM_400000_NS6detail17trampoline_kernelINS0_14default_configENS1_20scan_config_selectorIlEEZZNS1_9scan_implILNS1_25lookback_scan_determinismE0ELb0ELb0ES3_PlS8_lN6thrust23THRUST_200600_302600_NS4plusIvEElEEDaPvRmT3_T4_T5_mT6_P12ihipStream_tbENKUlT_T0_E_clISt17integral_constantIbLb0EESQ_EEDaSL_SM_EUlSL_E0_NS1_11comp_targetILNS1_3genE9ELNS1_11target_archE1100ELNS1_3gpuE3ELNS1_3repE0EEENS1_30default_config_static_selectorELNS0_4arch9wavefront6targetE0EEEvT1_ ; -- Begin function _ZN7rocprim17ROCPRIM_400000_NS6detail17trampoline_kernelINS0_14default_configENS1_20scan_config_selectorIlEEZZNS1_9scan_implILNS1_25lookback_scan_determinismE0ELb0ELb0ES3_PlS8_lN6thrust23THRUST_200600_302600_NS4plusIvEElEEDaPvRmT3_T4_T5_mT6_P12ihipStream_tbENKUlT_T0_E_clISt17integral_constantIbLb0EESQ_EEDaSL_SM_EUlSL_E0_NS1_11comp_targetILNS1_3genE9ELNS1_11target_archE1100ELNS1_3gpuE3ELNS1_3repE0EEENS1_30default_config_static_selectorELNS0_4arch9wavefront6targetE0EEEvT1_
	.globl	_ZN7rocprim17ROCPRIM_400000_NS6detail17trampoline_kernelINS0_14default_configENS1_20scan_config_selectorIlEEZZNS1_9scan_implILNS1_25lookback_scan_determinismE0ELb0ELb0ES3_PlS8_lN6thrust23THRUST_200600_302600_NS4plusIvEElEEDaPvRmT3_T4_T5_mT6_P12ihipStream_tbENKUlT_T0_E_clISt17integral_constantIbLb0EESQ_EEDaSL_SM_EUlSL_E0_NS1_11comp_targetILNS1_3genE9ELNS1_11target_archE1100ELNS1_3gpuE3ELNS1_3repE0EEENS1_30default_config_static_selectorELNS0_4arch9wavefront6targetE0EEEvT1_
	.p2align	8
	.type	_ZN7rocprim17ROCPRIM_400000_NS6detail17trampoline_kernelINS0_14default_configENS1_20scan_config_selectorIlEEZZNS1_9scan_implILNS1_25lookback_scan_determinismE0ELb0ELb0ES3_PlS8_lN6thrust23THRUST_200600_302600_NS4plusIvEElEEDaPvRmT3_T4_T5_mT6_P12ihipStream_tbENKUlT_T0_E_clISt17integral_constantIbLb0EESQ_EEDaSL_SM_EUlSL_E0_NS1_11comp_targetILNS1_3genE9ELNS1_11target_archE1100ELNS1_3gpuE3ELNS1_3repE0EEENS1_30default_config_static_selectorELNS0_4arch9wavefront6targetE0EEEvT1_,@function
_ZN7rocprim17ROCPRIM_400000_NS6detail17trampoline_kernelINS0_14default_configENS1_20scan_config_selectorIlEEZZNS1_9scan_implILNS1_25lookback_scan_determinismE0ELb0ELb0ES3_PlS8_lN6thrust23THRUST_200600_302600_NS4plusIvEElEEDaPvRmT3_T4_T5_mT6_P12ihipStream_tbENKUlT_T0_E_clISt17integral_constantIbLb0EESQ_EEDaSL_SM_EUlSL_E0_NS1_11comp_targetILNS1_3genE9ELNS1_11target_archE1100ELNS1_3gpuE3ELNS1_3repE0EEENS1_30default_config_static_selectorELNS0_4arch9wavefront6targetE0EEEvT1_: ; @_ZN7rocprim17ROCPRIM_400000_NS6detail17trampoline_kernelINS0_14default_configENS1_20scan_config_selectorIlEEZZNS1_9scan_implILNS1_25lookback_scan_determinismE0ELb0ELb0ES3_PlS8_lN6thrust23THRUST_200600_302600_NS4plusIvEElEEDaPvRmT3_T4_T5_mT6_P12ihipStream_tbENKUlT_T0_E_clISt17integral_constantIbLb0EESQ_EEDaSL_SM_EUlSL_E0_NS1_11comp_targetILNS1_3genE9ELNS1_11target_archE1100ELNS1_3gpuE3ELNS1_3repE0EEENS1_30default_config_static_selectorELNS0_4arch9wavefront6targetE0EEEvT1_
; %bb.0:
	.section	.rodata,"a",@progbits
	.p2align	6, 0x0
	.amdhsa_kernel _ZN7rocprim17ROCPRIM_400000_NS6detail17trampoline_kernelINS0_14default_configENS1_20scan_config_selectorIlEEZZNS1_9scan_implILNS1_25lookback_scan_determinismE0ELb0ELb0ES3_PlS8_lN6thrust23THRUST_200600_302600_NS4plusIvEElEEDaPvRmT3_T4_T5_mT6_P12ihipStream_tbENKUlT_T0_E_clISt17integral_constantIbLb0EESQ_EEDaSL_SM_EUlSL_E0_NS1_11comp_targetILNS1_3genE9ELNS1_11target_archE1100ELNS1_3gpuE3ELNS1_3repE0EEENS1_30default_config_static_selectorELNS0_4arch9wavefront6targetE0EEEvT1_
		.amdhsa_group_segment_fixed_size 0
		.amdhsa_private_segment_fixed_size 0
		.amdhsa_kernarg_size 40
		.amdhsa_user_sgpr_count 2
		.amdhsa_user_sgpr_dispatch_ptr 0
		.amdhsa_user_sgpr_queue_ptr 0
		.amdhsa_user_sgpr_kernarg_segment_ptr 1
		.amdhsa_user_sgpr_dispatch_id 0
		.amdhsa_user_sgpr_kernarg_preload_length 0
		.amdhsa_user_sgpr_kernarg_preload_offset 0
		.amdhsa_user_sgpr_private_segment_size 0
		.amdhsa_wavefront_size32 1
		.amdhsa_uses_dynamic_stack 0
		.amdhsa_enable_private_segment 0
		.amdhsa_system_sgpr_workgroup_id_x 1
		.amdhsa_system_sgpr_workgroup_id_y 0
		.amdhsa_system_sgpr_workgroup_id_z 0
		.amdhsa_system_sgpr_workgroup_info 0
		.amdhsa_system_vgpr_workitem_id 0
		.amdhsa_next_free_vgpr 1
		.amdhsa_next_free_sgpr 1
		.amdhsa_named_barrier_count 0
		.amdhsa_reserve_vcc 0
		.amdhsa_float_round_mode_32 0
		.amdhsa_float_round_mode_16_64 0
		.amdhsa_float_denorm_mode_32 3
		.amdhsa_float_denorm_mode_16_64 3
		.amdhsa_fp16_overflow 0
		.amdhsa_memory_ordered 1
		.amdhsa_forward_progress 1
		.amdhsa_inst_pref_size 0
		.amdhsa_round_robin_scheduling 0
		.amdhsa_exception_fp_ieee_invalid_op 0
		.amdhsa_exception_fp_denorm_src 0
		.amdhsa_exception_fp_ieee_div_zero 0
		.amdhsa_exception_fp_ieee_overflow 0
		.amdhsa_exception_fp_ieee_underflow 0
		.amdhsa_exception_fp_ieee_inexact 0
		.amdhsa_exception_int_div_zero 0
	.end_amdhsa_kernel
	.section	.text._ZN7rocprim17ROCPRIM_400000_NS6detail17trampoline_kernelINS0_14default_configENS1_20scan_config_selectorIlEEZZNS1_9scan_implILNS1_25lookback_scan_determinismE0ELb0ELb0ES3_PlS8_lN6thrust23THRUST_200600_302600_NS4plusIvEElEEDaPvRmT3_T4_T5_mT6_P12ihipStream_tbENKUlT_T0_E_clISt17integral_constantIbLb0EESQ_EEDaSL_SM_EUlSL_E0_NS1_11comp_targetILNS1_3genE9ELNS1_11target_archE1100ELNS1_3gpuE3ELNS1_3repE0EEENS1_30default_config_static_selectorELNS0_4arch9wavefront6targetE0EEEvT1_,"axG",@progbits,_ZN7rocprim17ROCPRIM_400000_NS6detail17trampoline_kernelINS0_14default_configENS1_20scan_config_selectorIlEEZZNS1_9scan_implILNS1_25lookback_scan_determinismE0ELb0ELb0ES3_PlS8_lN6thrust23THRUST_200600_302600_NS4plusIvEElEEDaPvRmT3_T4_T5_mT6_P12ihipStream_tbENKUlT_T0_E_clISt17integral_constantIbLb0EESQ_EEDaSL_SM_EUlSL_E0_NS1_11comp_targetILNS1_3genE9ELNS1_11target_archE1100ELNS1_3gpuE3ELNS1_3repE0EEENS1_30default_config_static_selectorELNS0_4arch9wavefront6targetE0EEEvT1_,comdat
.Lfunc_end100:
	.size	_ZN7rocprim17ROCPRIM_400000_NS6detail17trampoline_kernelINS0_14default_configENS1_20scan_config_selectorIlEEZZNS1_9scan_implILNS1_25lookback_scan_determinismE0ELb0ELb0ES3_PlS8_lN6thrust23THRUST_200600_302600_NS4plusIvEElEEDaPvRmT3_T4_T5_mT6_P12ihipStream_tbENKUlT_T0_E_clISt17integral_constantIbLb0EESQ_EEDaSL_SM_EUlSL_E0_NS1_11comp_targetILNS1_3genE9ELNS1_11target_archE1100ELNS1_3gpuE3ELNS1_3repE0EEENS1_30default_config_static_selectorELNS0_4arch9wavefront6targetE0EEEvT1_, .Lfunc_end100-_ZN7rocprim17ROCPRIM_400000_NS6detail17trampoline_kernelINS0_14default_configENS1_20scan_config_selectorIlEEZZNS1_9scan_implILNS1_25lookback_scan_determinismE0ELb0ELb0ES3_PlS8_lN6thrust23THRUST_200600_302600_NS4plusIvEElEEDaPvRmT3_T4_T5_mT6_P12ihipStream_tbENKUlT_T0_E_clISt17integral_constantIbLb0EESQ_EEDaSL_SM_EUlSL_E0_NS1_11comp_targetILNS1_3genE9ELNS1_11target_archE1100ELNS1_3gpuE3ELNS1_3repE0EEENS1_30default_config_static_selectorELNS0_4arch9wavefront6targetE0EEEvT1_
                                        ; -- End function
	.set _ZN7rocprim17ROCPRIM_400000_NS6detail17trampoline_kernelINS0_14default_configENS1_20scan_config_selectorIlEEZZNS1_9scan_implILNS1_25lookback_scan_determinismE0ELb0ELb0ES3_PlS8_lN6thrust23THRUST_200600_302600_NS4plusIvEElEEDaPvRmT3_T4_T5_mT6_P12ihipStream_tbENKUlT_T0_E_clISt17integral_constantIbLb0EESQ_EEDaSL_SM_EUlSL_E0_NS1_11comp_targetILNS1_3genE9ELNS1_11target_archE1100ELNS1_3gpuE3ELNS1_3repE0EEENS1_30default_config_static_selectorELNS0_4arch9wavefront6targetE0EEEvT1_.num_vgpr, 0
	.set _ZN7rocprim17ROCPRIM_400000_NS6detail17trampoline_kernelINS0_14default_configENS1_20scan_config_selectorIlEEZZNS1_9scan_implILNS1_25lookback_scan_determinismE0ELb0ELb0ES3_PlS8_lN6thrust23THRUST_200600_302600_NS4plusIvEElEEDaPvRmT3_T4_T5_mT6_P12ihipStream_tbENKUlT_T0_E_clISt17integral_constantIbLb0EESQ_EEDaSL_SM_EUlSL_E0_NS1_11comp_targetILNS1_3genE9ELNS1_11target_archE1100ELNS1_3gpuE3ELNS1_3repE0EEENS1_30default_config_static_selectorELNS0_4arch9wavefront6targetE0EEEvT1_.num_agpr, 0
	.set _ZN7rocprim17ROCPRIM_400000_NS6detail17trampoline_kernelINS0_14default_configENS1_20scan_config_selectorIlEEZZNS1_9scan_implILNS1_25lookback_scan_determinismE0ELb0ELb0ES3_PlS8_lN6thrust23THRUST_200600_302600_NS4plusIvEElEEDaPvRmT3_T4_T5_mT6_P12ihipStream_tbENKUlT_T0_E_clISt17integral_constantIbLb0EESQ_EEDaSL_SM_EUlSL_E0_NS1_11comp_targetILNS1_3genE9ELNS1_11target_archE1100ELNS1_3gpuE3ELNS1_3repE0EEENS1_30default_config_static_selectorELNS0_4arch9wavefront6targetE0EEEvT1_.numbered_sgpr, 0
	.set _ZN7rocprim17ROCPRIM_400000_NS6detail17trampoline_kernelINS0_14default_configENS1_20scan_config_selectorIlEEZZNS1_9scan_implILNS1_25lookback_scan_determinismE0ELb0ELb0ES3_PlS8_lN6thrust23THRUST_200600_302600_NS4plusIvEElEEDaPvRmT3_T4_T5_mT6_P12ihipStream_tbENKUlT_T0_E_clISt17integral_constantIbLb0EESQ_EEDaSL_SM_EUlSL_E0_NS1_11comp_targetILNS1_3genE9ELNS1_11target_archE1100ELNS1_3gpuE3ELNS1_3repE0EEENS1_30default_config_static_selectorELNS0_4arch9wavefront6targetE0EEEvT1_.num_named_barrier, 0
	.set _ZN7rocprim17ROCPRIM_400000_NS6detail17trampoline_kernelINS0_14default_configENS1_20scan_config_selectorIlEEZZNS1_9scan_implILNS1_25lookback_scan_determinismE0ELb0ELb0ES3_PlS8_lN6thrust23THRUST_200600_302600_NS4plusIvEElEEDaPvRmT3_T4_T5_mT6_P12ihipStream_tbENKUlT_T0_E_clISt17integral_constantIbLb0EESQ_EEDaSL_SM_EUlSL_E0_NS1_11comp_targetILNS1_3genE9ELNS1_11target_archE1100ELNS1_3gpuE3ELNS1_3repE0EEENS1_30default_config_static_selectorELNS0_4arch9wavefront6targetE0EEEvT1_.private_seg_size, 0
	.set _ZN7rocprim17ROCPRIM_400000_NS6detail17trampoline_kernelINS0_14default_configENS1_20scan_config_selectorIlEEZZNS1_9scan_implILNS1_25lookback_scan_determinismE0ELb0ELb0ES3_PlS8_lN6thrust23THRUST_200600_302600_NS4plusIvEElEEDaPvRmT3_T4_T5_mT6_P12ihipStream_tbENKUlT_T0_E_clISt17integral_constantIbLb0EESQ_EEDaSL_SM_EUlSL_E0_NS1_11comp_targetILNS1_3genE9ELNS1_11target_archE1100ELNS1_3gpuE3ELNS1_3repE0EEENS1_30default_config_static_selectorELNS0_4arch9wavefront6targetE0EEEvT1_.uses_vcc, 0
	.set _ZN7rocprim17ROCPRIM_400000_NS6detail17trampoline_kernelINS0_14default_configENS1_20scan_config_selectorIlEEZZNS1_9scan_implILNS1_25lookback_scan_determinismE0ELb0ELb0ES3_PlS8_lN6thrust23THRUST_200600_302600_NS4plusIvEElEEDaPvRmT3_T4_T5_mT6_P12ihipStream_tbENKUlT_T0_E_clISt17integral_constantIbLb0EESQ_EEDaSL_SM_EUlSL_E0_NS1_11comp_targetILNS1_3genE9ELNS1_11target_archE1100ELNS1_3gpuE3ELNS1_3repE0EEENS1_30default_config_static_selectorELNS0_4arch9wavefront6targetE0EEEvT1_.uses_flat_scratch, 0
	.set _ZN7rocprim17ROCPRIM_400000_NS6detail17trampoline_kernelINS0_14default_configENS1_20scan_config_selectorIlEEZZNS1_9scan_implILNS1_25lookback_scan_determinismE0ELb0ELb0ES3_PlS8_lN6thrust23THRUST_200600_302600_NS4plusIvEElEEDaPvRmT3_T4_T5_mT6_P12ihipStream_tbENKUlT_T0_E_clISt17integral_constantIbLb0EESQ_EEDaSL_SM_EUlSL_E0_NS1_11comp_targetILNS1_3genE9ELNS1_11target_archE1100ELNS1_3gpuE3ELNS1_3repE0EEENS1_30default_config_static_selectorELNS0_4arch9wavefront6targetE0EEEvT1_.has_dyn_sized_stack, 0
	.set _ZN7rocprim17ROCPRIM_400000_NS6detail17trampoline_kernelINS0_14default_configENS1_20scan_config_selectorIlEEZZNS1_9scan_implILNS1_25lookback_scan_determinismE0ELb0ELb0ES3_PlS8_lN6thrust23THRUST_200600_302600_NS4plusIvEElEEDaPvRmT3_T4_T5_mT6_P12ihipStream_tbENKUlT_T0_E_clISt17integral_constantIbLb0EESQ_EEDaSL_SM_EUlSL_E0_NS1_11comp_targetILNS1_3genE9ELNS1_11target_archE1100ELNS1_3gpuE3ELNS1_3repE0EEENS1_30default_config_static_selectorELNS0_4arch9wavefront6targetE0EEEvT1_.has_recursion, 0
	.set _ZN7rocprim17ROCPRIM_400000_NS6detail17trampoline_kernelINS0_14default_configENS1_20scan_config_selectorIlEEZZNS1_9scan_implILNS1_25lookback_scan_determinismE0ELb0ELb0ES3_PlS8_lN6thrust23THRUST_200600_302600_NS4plusIvEElEEDaPvRmT3_T4_T5_mT6_P12ihipStream_tbENKUlT_T0_E_clISt17integral_constantIbLb0EESQ_EEDaSL_SM_EUlSL_E0_NS1_11comp_targetILNS1_3genE9ELNS1_11target_archE1100ELNS1_3gpuE3ELNS1_3repE0EEENS1_30default_config_static_selectorELNS0_4arch9wavefront6targetE0EEEvT1_.has_indirect_call, 0
	.section	.AMDGPU.csdata,"",@progbits
; Kernel info:
; codeLenInByte = 0
; TotalNumSgprs: 0
; NumVgprs: 0
; ScratchSize: 0
; MemoryBound: 0
; FloatMode: 240
; IeeeMode: 1
; LDSByteSize: 0 bytes/workgroup (compile time only)
; SGPRBlocks: 0
; VGPRBlocks: 0
; NumSGPRsForWavesPerEU: 1
; NumVGPRsForWavesPerEU: 1
; NamedBarCnt: 0
; Occupancy: 16
; WaveLimiterHint : 0
; COMPUTE_PGM_RSRC2:SCRATCH_EN: 0
; COMPUTE_PGM_RSRC2:USER_SGPR: 2
; COMPUTE_PGM_RSRC2:TRAP_HANDLER: 0
; COMPUTE_PGM_RSRC2:TGID_X_EN: 1
; COMPUTE_PGM_RSRC2:TGID_Y_EN: 0
; COMPUTE_PGM_RSRC2:TGID_Z_EN: 0
; COMPUTE_PGM_RSRC2:TIDIG_COMP_CNT: 0
	.section	.text._ZN7rocprim17ROCPRIM_400000_NS6detail17trampoline_kernelINS0_14default_configENS1_20scan_config_selectorIlEEZZNS1_9scan_implILNS1_25lookback_scan_determinismE0ELb0ELb0ES3_PlS8_lN6thrust23THRUST_200600_302600_NS4plusIvEElEEDaPvRmT3_T4_T5_mT6_P12ihipStream_tbENKUlT_T0_E_clISt17integral_constantIbLb0EESQ_EEDaSL_SM_EUlSL_E0_NS1_11comp_targetILNS1_3genE8ELNS1_11target_archE1030ELNS1_3gpuE2ELNS1_3repE0EEENS1_30default_config_static_selectorELNS0_4arch9wavefront6targetE0EEEvT1_,"axG",@progbits,_ZN7rocprim17ROCPRIM_400000_NS6detail17trampoline_kernelINS0_14default_configENS1_20scan_config_selectorIlEEZZNS1_9scan_implILNS1_25lookback_scan_determinismE0ELb0ELb0ES3_PlS8_lN6thrust23THRUST_200600_302600_NS4plusIvEElEEDaPvRmT3_T4_T5_mT6_P12ihipStream_tbENKUlT_T0_E_clISt17integral_constantIbLb0EESQ_EEDaSL_SM_EUlSL_E0_NS1_11comp_targetILNS1_3genE8ELNS1_11target_archE1030ELNS1_3gpuE2ELNS1_3repE0EEENS1_30default_config_static_selectorELNS0_4arch9wavefront6targetE0EEEvT1_,comdat
	.protected	_ZN7rocprim17ROCPRIM_400000_NS6detail17trampoline_kernelINS0_14default_configENS1_20scan_config_selectorIlEEZZNS1_9scan_implILNS1_25lookback_scan_determinismE0ELb0ELb0ES3_PlS8_lN6thrust23THRUST_200600_302600_NS4plusIvEElEEDaPvRmT3_T4_T5_mT6_P12ihipStream_tbENKUlT_T0_E_clISt17integral_constantIbLb0EESQ_EEDaSL_SM_EUlSL_E0_NS1_11comp_targetILNS1_3genE8ELNS1_11target_archE1030ELNS1_3gpuE2ELNS1_3repE0EEENS1_30default_config_static_selectorELNS0_4arch9wavefront6targetE0EEEvT1_ ; -- Begin function _ZN7rocprim17ROCPRIM_400000_NS6detail17trampoline_kernelINS0_14default_configENS1_20scan_config_selectorIlEEZZNS1_9scan_implILNS1_25lookback_scan_determinismE0ELb0ELb0ES3_PlS8_lN6thrust23THRUST_200600_302600_NS4plusIvEElEEDaPvRmT3_T4_T5_mT6_P12ihipStream_tbENKUlT_T0_E_clISt17integral_constantIbLb0EESQ_EEDaSL_SM_EUlSL_E0_NS1_11comp_targetILNS1_3genE8ELNS1_11target_archE1030ELNS1_3gpuE2ELNS1_3repE0EEENS1_30default_config_static_selectorELNS0_4arch9wavefront6targetE0EEEvT1_
	.globl	_ZN7rocprim17ROCPRIM_400000_NS6detail17trampoline_kernelINS0_14default_configENS1_20scan_config_selectorIlEEZZNS1_9scan_implILNS1_25lookback_scan_determinismE0ELb0ELb0ES3_PlS8_lN6thrust23THRUST_200600_302600_NS4plusIvEElEEDaPvRmT3_T4_T5_mT6_P12ihipStream_tbENKUlT_T0_E_clISt17integral_constantIbLb0EESQ_EEDaSL_SM_EUlSL_E0_NS1_11comp_targetILNS1_3genE8ELNS1_11target_archE1030ELNS1_3gpuE2ELNS1_3repE0EEENS1_30default_config_static_selectorELNS0_4arch9wavefront6targetE0EEEvT1_
	.p2align	8
	.type	_ZN7rocprim17ROCPRIM_400000_NS6detail17trampoline_kernelINS0_14default_configENS1_20scan_config_selectorIlEEZZNS1_9scan_implILNS1_25lookback_scan_determinismE0ELb0ELb0ES3_PlS8_lN6thrust23THRUST_200600_302600_NS4plusIvEElEEDaPvRmT3_T4_T5_mT6_P12ihipStream_tbENKUlT_T0_E_clISt17integral_constantIbLb0EESQ_EEDaSL_SM_EUlSL_E0_NS1_11comp_targetILNS1_3genE8ELNS1_11target_archE1030ELNS1_3gpuE2ELNS1_3repE0EEENS1_30default_config_static_selectorELNS0_4arch9wavefront6targetE0EEEvT1_,@function
_ZN7rocprim17ROCPRIM_400000_NS6detail17trampoline_kernelINS0_14default_configENS1_20scan_config_selectorIlEEZZNS1_9scan_implILNS1_25lookback_scan_determinismE0ELb0ELb0ES3_PlS8_lN6thrust23THRUST_200600_302600_NS4plusIvEElEEDaPvRmT3_T4_T5_mT6_P12ihipStream_tbENKUlT_T0_E_clISt17integral_constantIbLb0EESQ_EEDaSL_SM_EUlSL_E0_NS1_11comp_targetILNS1_3genE8ELNS1_11target_archE1030ELNS1_3gpuE2ELNS1_3repE0EEENS1_30default_config_static_selectorELNS0_4arch9wavefront6targetE0EEEvT1_: ; @_ZN7rocprim17ROCPRIM_400000_NS6detail17trampoline_kernelINS0_14default_configENS1_20scan_config_selectorIlEEZZNS1_9scan_implILNS1_25lookback_scan_determinismE0ELb0ELb0ES3_PlS8_lN6thrust23THRUST_200600_302600_NS4plusIvEElEEDaPvRmT3_T4_T5_mT6_P12ihipStream_tbENKUlT_T0_E_clISt17integral_constantIbLb0EESQ_EEDaSL_SM_EUlSL_E0_NS1_11comp_targetILNS1_3genE8ELNS1_11target_archE1030ELNS1_3gpuE2ELNS1_3repE0EEENS1_30default_config_static_selectorELNS0_4arch9wavefront6targetE0EEEvT1_
; %bb.0:
	.section	.rodata,"a",@progbits
	.p2align	6, 0x0
	.amdhsa_kernel _ZN7rocprim17ROCPRIM_400000_NS6detail17trampoline_kernelINS0_14default_configENS1_20scan_config_selectorIlEEZZNS1_9scan_implILNS1_25lookback_scan_determinismE0ELb0ELb0ES3_PlS8_lN6thrust23THRUST_200600_302600_NS4plusIvEElEEDaPvRmT3_T4_T5_mT6_P12ihipStream_tbENKUlT_T0_E_clISt17integral_constantIbLb0EESQ_EEDaSL_SM_EUlSL_E0_NS1_11comp_targetILNS1_3genE8ELNS1_11target_archE1030ELNS1_3gpuE2ELNS1_3repE0EEENS1_30default_config_static_selectorELNS0_4arch9wavefront6targetE0EEEvT1_
		.amdhsa_group_segment_fixed_size 0
		.amdhsa_private_segment_fixed_size 0
		.amdhsa_kernarg_size 40
		.amdhsa_user_sgpr_count 2
		.amdhsa_user_sgpr_dispatch_ptr 0
		.amdhsa_user_sgpr_queue_ptr 0
		.amdhsa_user_sgpr_kernarg_segment_ptr 1
		.amdhsa_user_sgpr_dispatch_id 0
		.amdhsa_user_sgpr_kernarg_preload_length 0
		.amdhsa_user_sgpr_kernarg_preload_offset 0
		.amdhsa_user_sgpr_private_segment_size 0
		.amdhsa_wavefront_size32 1
		.amdhsa_uses_dynamic_stack 0
		.amdhsa_enable_private_segment 0
		.amdhsa_system_sgpr_workgroup_id_x 1
		.amdhsa_system_sgpr_workgroup_id_y 0
		.amdhsa_system_sgpr_workgroup_id_z 0
		.amdhsa_system_sgpr_workgroup_info 0
		.amdhsa_system_vgpr_workitem_id 0
		.amdhsa_next_free_vgpr 1
		.amdhsa_next_free_sgpr 1
		.amdhsa_named_barrier_count 0
		.amdhsa_reserve_vcc 0
		.amdhsa_float_round_mode_32 0
		.amdhsa_float_round_mode_16_64 0
		.amdhsa_float_denorm_mode_32 3
		.amdhsa_float_denorm_mode_16_64 3
		.amdhsa_fp16_overflow 0
		.amdhsa_memory_ordered 1
		.amdhsa_forward_progress 1
		.amdhsa_inst_pref_size 0
		.amdhsa_round_robin_scheduling 0
		.amdhsa_exception_fp_ieee_invalid_op 0
		.amdhsa_exception_fp_denorm_src 0
		.amdhsa_exception_fp_ieee_div_zero 0
		.amdhsa_exception_fp_ieee_overflow 0
		.amdhsa_exception_fp_ieee_underflow 0
		.amdhsa_exception_fp_ieee_inexact 0
		.amdhsa_exception_int_div_zero 0
	.end_amdhsa_kernel
	.section	.text._ZN7rocprim17ROCPRIM_400000_NS6detail17trampoline_kernelINS0_14default_configENS1_20scan_config_selectorIlEEZZNS1_9scan_implILNS1_25lookback_scan_determinismE0ELb0ELb0ES3_PlS8_lN6thrust23THRUST_200600_302600_NS4plusIvEElEEDaPvRmT3_T4_T5_mT6_P12ihipStream_tbENKUlT_T0_E_clISt17integral_constantIbLb0EESQ_EEDaSL_SM_EUlSL_E0_NS1_11comp_targetILNS1_3genE8ELNS1_11target_archE1030ELNS1_3gpuE2ELNS1_3repE0EEENS1_30default_config_static_selectorELNS0_4arch9wavefront6targetE0EEEvT1_,"axG",@progbits,_ZN7rocprim17ROCPRIM_400000_NS6detail17trampoline_kernelINS0_14default_configENS1_20scan_config_selectorIlEEZZNS1_9scan_implILNS1_25lookback_scan_determinismE0ELb0ELb0ES3_PlS8_lN6thrust23THRUST_200600_302600_NS4plusIvEElEEDaPvRmT3_T4_T5_mT6_P12ihipStream_tbENKUlT_T0_E_clISt17integral_constantIbLb0EESQ_EEDaSL_SM_EUlSL_E0_NS1_11comp_targetILNS1_3genE8ELNS1_11target_archE1030ELNS1_3gpuE2ELNS1_3repE0EEENS1_30default_config_static_selectorELNS0_4arch9wavefront6targetE0EEEvT1_,comdat
.Lfunc_end101:
	.size	_ZN7rocprim17ROCPRIM_400000_NS6detail17trampoline_kernelINS0_14default_configENS1_20scan_config_selectorIlEEZZNS1_9scan_implILNS1_25lookback_scan_determinismE0ELb0ELb0ES3_PlS8_lN6thrust23THRUST_200600_302600_NS4plusIvEElEEDaPvRmT3_T4_T5_mT6_P12ihipStream_tbENKUlT_T0_E_clISt17integral_constantIbLb0EESQ_EEDaSL_SM_EUlSL_E0_NS1_11comp_targetILNS1_3genE8ELNS1_11target_archE1030ELNS1_3gpuE2ELNS1_3repE0EEENS1_30default_config_static_selectorELNS0_4arch9wavefront6targetE0EEEvT1_, .Lfunc_end101-_ZN7rocprim17ROCPRIM_400000_NS6detail17trampoline_kernelINS0_14default_configENS1_20scan_config_selectorIlEEZZNS1_9scan_implILNS1_25lookback_scan_determinismE0ELb0ELb0ES3_PlS8_lN6thrust23THRUST_200600_302600_NS4plusIvEElEEDaPvRmT3_T4_T5_mT6_P12ihipStream_tbENKUlT_T0_E_clISt17integral_constantIbLb0EESQ_EEDaSL_SM_EUlSL_E0_NS1_11comp_targetILNS1_3genE8ELNS1_11target_archE1030ELNS1_3gpuE2ELNS1_3repE0EEENS1_30default_config_static_selectorELNS0_4arch9wavefront6targetE0EEEvT1_
                                        ; -- End function
	.set _ZN7rocprim17ROCPRIM_400000_NS6detail17trampoline_kernelINS0_14default_configENS1_20scan_config_selectorIlEEZZNS1_9scan_implILNS1_25lookback_scan_determinismE0ELb0ELb0ES3_PlS8_lN6thrust23THRUST_200600_302600_NS4plusIvEElEEDaPvRmT3_T4_T5_mT6_P12ihipStream_tbENKUlT_T0_E_clISt17integral_constantIbLb0EESQ_EEDaSL_SM_EUlSL_E0_NS1_11comp_targetILNS1_3genE8ELNS1_11target_archE1030ELNS1_3gpuE2ELNS1_3repE0EEENS1_30default_config_static_selectorELNS0_4arch9wavefront6targetE0EEEvT1_.num_vgpr, 0
	.set _ZN7rocprim17ROCPRIM_400000_NS6detail17trampoline_kernelINS0_14default_configENS1_20scan_config_selectorIlEEZZNS1_9scan_implILNS1_25lookback_scan_determinismE0ELb0ELb0ES3_PlS8_lN6thrust23THRUST_200600_302600_NS4plusIvEElEEDaPvRmT3_T4_T5_mT6_P12ihipStream_tbENKUlT_T0_E_clISt17integral_constantIbLb0EESQ_EEDaSL_SM_EUlSL_E0_NS1_11comp_targetILNS1_3genE8ELNS1_11target_archE1030ELNS1_3gpuE2ELNS1_3repE0EEENS1_30default_config_static_selectorELNS0_4arch9wavefront6targetE0EEEvT1_.num_agpr, 0
	.set _ZN7rocprim17ROCPRIM_400000_NS6detail17trampoline_kernelINS0_14default_configENS1_20scan_config_selectorIlEEZZNS1_9scan_implILNS1_25lookback_scan_determinismE0ELb0ELb0ES3_PlS8_lN6thrust23THRUST_200600_302600_NS4plusIvEElEEDaPvRmT3_T4_T5_mT6_P12ihipStream_tbENKUlT_T0_E_clISt17integral_constantIbLb0EESQ_EEDaSL_SM_EUlSL_E0_NS1_11comp_targetILNS1_3genE8ELNS1_11target_archE1030ELNS1_3gpuE2ELNS1_3repE0EEENS1_30default_config_static_selectorELNS0_4arch9wavefront6targetE0EEEvT1_.numbered_sgpr, 0
	.set _ZN7rocprim17ROCPRIM_400000_NS6detail17trampoline_kernelINS0_14default_configENS1_20scan_config_selectorIlEEZZNS1_9scan_implILNS1_25lookback_scan_determinismE0ELb0ELb0ES3_PlS8_lN6thrust23THRUST_200600_302600_NS4plusIvEElEEDaPvRmT3_T4_T5_mT6_P12ihipStream_tbENKUlT_T0_E_clISt17integral_constantIbLb0EESQ_EEDaSL_SM_EUlSL_E0_NS1_11comp_targetILNS1_3genE8ELNS1_11target_archE1030ELNS1_3gpuE2ELNS1_3repE0EEENS1_30default_config_static_selectorELNS0_4arch9wavefront6targetE0EEEvT1_.num_named_barrier, 0
	.set _ZN7rocprim17ROCPRIM_400000_NS6detail17trampoline_kernelINS0_14default_configENS1_20scan_config_selectorIlEEZZNS1_9scan_implILNS1_25lookback_scan_determinismE0ELb0ELb0ES3_PlS8_lN6thrust23THRUST_200600_302600_NS4plusIvEElEEDaPvRmT3_T4_T5_mT6_P12ihipStream_tbENKUlT_T0_E_clISt17integral_constantIbLb0EESQ_EEDaSL_SM_EUlSL_E0_NS1_11comp_targetILNS1_3genE8ELNS1_11target_archE1030ELNS1_3gpuE2ELNS1_3repE0EEENS1_30default_config_static_selectorELNS0_4arch9wavefront6targetE0EEEvT1_.private_seg_size, 0
	.set _ZN7rocprim17ROCPRIM_400000_NS6detail17trampoline_kernelINS0_14default_configENS1_20scan_config_selectorIlEEZZNS1_9scan_implILNS1_25lookback_scan_determinismE0ELb0ELb0ES3_PlS8_lN6thrust23THRUST_200600_302600_NS4plusIvEElEEDaPvRmT3_T4_T5_mT6_P12ihipStream_tbENKUlT_T0_E_clISt17integral_constantIbLb0EESQ_EEDaSL_SM_EUlSL_E0_NS1_11comp_targetILNS1_3genE8ELNS1_11target_archE1030ELNS1_3gpuE2ELNS1_3repE0EEENS1_30default_config_static_selectorELNS0_4arch9wavefront6targetE0EEEvT1_.uses_vcc, 0
	.set _ZN7rocprim17ROCPRIM_400000_NS6detail17trampoline_kernelINS0_14default_configENS1_20scan_config_selectorIlEEZZNS1_9scan_implILNS1_25lookback_scan_determinismE0ELb0ELb0ES3_PlS8_lN6thrust23THRUST_200600_302600_NS4plusIvEElEEDaPvRmT3_T4_T5_mT6_P12ihipStream_tbENKUlT_T0_E_clISt17integral_constantIbLb0EESQ_EEDaSL_SM_EUlSL_E0_NS1_11comp_targetILNS1_3genE8ELNS1_11target_archE1030ELNS1_3gpuE2ELNS1_3repE0EEENS1_30default_config_static_selectorELNS0_4arch9wavefront6targetE0EEEvT1_.uses_flat_scratch, 0
	.set _ZN7rocprim17ROCPRIM_400000_NS6detail17trampoline_kernelINS0_14default_configENS1_20scan_config_selectorIlEEZZNS1_9scan_implILNS1_25lookback_scan_determinismE0ELb0ELb0ES3_PlS8_lN6thrust23THRUST_200600_302600_NS4plusIvEElEEDaPvRmT3_T4_T5_mT6_P12ihipStream_tbENKUlT_T0_E_clISt17integral_constantIbLb0EESQ_EEDaSL_SM_EUlSL_E0_NS1_11comp_targetILNS1_3genE8ELNS1_11target_archE1030ELNS1_3gpuE2ELNS1_3repE0EEENS1_30default_config_static_selectorELNS0_4arch9wavefront6targetE0EEEvT1_.has_dyn_sized_stack, 0
	.set _ZN7rocprim17ROCPRIM_400000_NS6detail17trampoline_kernelINS0_14default_configENS1_20scan_config_selectorIlEEZZNS1_9scan_implILNS1_25lookback_scan_determinismE0ELb0ELb0ES3_PlS8_lN6thrust23THRUST_200600_302600_NS4plusIvEElEEDaPvRmT3_T4_T5_mT6_P12ihipStream_tbENKUlT_T0_E_clISt17integral_constantIbLb0EESQ_EEDaSL_SM_EUlSL_E0_NS1_11comp_targetILNS1_3genE8ELNS1_11target_archE1030ELNS1_3gpuE2ELNS1_3repE0EEENS1_30default_config_static_selectorELNS0_4arch9wavefront6targetE0EEEvT1_.has_recursion, 0
	.set _ZN7rocprim17ROCPRIM_400000_NS6detail17trampoline_kernelINS0_14default_configENS1_20scan_config_selectorIlEEZZNS1_9scan_implILNS1_25lookback_scan_determinismE0ELb0ELb0ES3_PlS8_lN6thrust23THRUST_200600_302600_NS4plusIvEElEEDaPvRmT3_T4_T5_mT6_P12ihipStream_tbENKUlT_T0_E_clISt17integral_constantIbLb0EESQ_EEDaSL_SM_EUlSL_E0_NS1_11comp_targetILNS1_3genE8ELNS1_11target_archE1030ELNS1_3gpuE2ELNS1_3repE0EEENS1_30default_config_static_selectorELNS0_4arch9wavefront6targetE0EEEvT1_.has_indirect_call, 0
	.section	.AMDGPU.csdata,"",@progbits
; Kernel info:
; codeLenInByte = 0
; TotalNumSgprs: 0
; NumVgprs: 0
; ScratchSize: 0
; MemoryBound: 0
; FloatMode: 240
; IeeeMode: 1
; LDSByteSize: 0 bytes/workgroup (compile time only)
; SGPRBlocks: 0
; VGPRBlocks: 0
; NumSGPRsForWavesPerEU: 1
; NumVGPRsForWavesPerEU: 1
; NamedBarCnt: 0
; Occupancy: 16
; WaveLimiterHint : 0
; COMPUTE_PGM_RSRC2:SCRATCH_EN: 0
; COMPUTE_PGM_RSRC2:USER_SGPR: 2
; COMPUTE_PGM_RSRC2:TRAP_HANDLER: 0
; COMPUTE_PGM_RSRC2:TGID_X_EN: 1
; COMPUTE_PGM_RSRC2:TGID_Y_EN: 0
; COMPUTE_PGM_RSRC2:TGID_Z_EN: 0
; COMPUTE_PGM_RSRC2:TIDIG_COMP_CNT: 0
	.section	.text._ZN7rocprim17ROCPRIM_400000_NS6detail31init_lookback_scan_state_kernelINS1_19lookback_scan_stateIlLb1ELb1EEENS1_16block_id_wrapperIjLb1EEEEEvT_jT0_jPNS7_10value_typeE,"axG",@progbits,_ZN7rocprim17ROCPRIM_400000_NS6detail31init_lookback_scan_state_kernelINS1_19lookback_scan_stateIlLb1ELb1EEENS1_16block_id_wrapperIjLb1EEEEEvT_jT0_jPNS7_10value_typeE,comdat
	.protected	_ZN7rocprim17ROCPRIM_400000_NS6detail31init_lookback_scan_state_kernelINS1_19lookback_scan_stateIlLb1ELb1EEENS1_16block_id_wrapperIjLb1EEEEEvT_jT0_jPNS7_10value_typeE ; -- Begin function _ZN7rocprim17ROCPRIM_400000_NS6detail31init_lookback_scan_state_kernelINS1_19lookback_scan_stateIlLb1ELb1EEENS1_16block_id_wrapperIjLb1EEEEEvT_jT0_jPNS7_10value_typeE
	.globl	_ZN7rocprim17ROCPRIM_400000_NS6detail31init_lookback_scan_state_kernelINS1_19lookback_scan_stateIlLb1ELb1EEENS1_16block_id_wrapperIjLb1EEEEEvT_jT0_jPNS7_10value_typeE
	.p2align	8
	.type	_ZN7rocprim17ROCPRIM_400000_NS6detail31init_lookback_scan_state_kernelINS1_19lookback_scan_stateIlLb1ELb1EEENS1_16block_id_wrapperIjLb1EEEEEvT_jT0_jPNS7_10value_typeE,@function
_ZN7rocprim17ROCPRIM_400000_NS6detail31init_lookback_scan_state_kernelINS1_19lookback_scan_stateIlLb1ELb1EEENS1_16block_id_wrapperIjLb1EEEEEvT_jT0_jPNS7_10value_typeE: ; @_ZN7rocprim17ROCPRIM_400000_NS6detail31init_lookback_scan_state_kernelINS1_19lookback_scan_stateIlLb1ELb1EEENS1_16block_id_wrapperIjLb1EEEEEvT_jT0_jPNS7_10value_typeE
; %bb.0:
	s_clause 0x2
	s_load_b32 s7, s[0:1], 0x34
	s_load_b96 s[4:6], s[0:1], 0x0
	s_load_b64 s[2:3], s[0:1], 0x20
	s_bfe_u32 s8, ttmp6, 0x4000c
	s_and_b32 s9, ttmp6, 15
	s_add_co_i32 s8, s8, 1
	s_getreg_b32 s10, hwreg(HW_REG_IB_STS2, 6, 4)
	s_mul_i32 s8, ttmp9, s8
	s_delay_alu instid0(SALU_CYCLE_1)
	s_add_co_i32 s9, s9, s8
	s_wait_kmcnt 0x0
	s_and_b32 s7, s7, 0xffff
	s_cmp_eq_u32 s10, 0
	s_cselect_b32 s8, ttmp9, s9
	s_cmp_eq_u64 s[2:3], 0
	v_mad_u32 v8, s8, s7, v0
	s_cbranch_scc1 .LBB102_10
; %bb.1:
	s_load_b32 s8, s[0:1], 0x18
	s_wait_kmcnt 0x0
	s_cmp_lt_u32 s8, s6
	s_cselect_b32 s7, s8, 0
	s_delay_alu instid0(VALU_DEP_1) | instid1(SALU_CYCLE_1)
	v_cmp_eq_u32_e32 vcc_lo, s7, v8
	s_and_saveexec_b32 s7, vcc_lo
	s_cbranch_execz .LBB102_9
; %bb.2:
	s_add_co_i32 s8, s8, 32
	s_mov_b32 s9, 0
	v_mov_b32_e32 v5, 0
	s_lshl_b64 s[10:11], s[8:9], 4
	s_mov_b32 s8, exec_lo
	s_add_nc_u64 s[10:11], s[4:5], s[10:11]
	s_delay_alu instid0(SALU_CYCLE_1) | instskip(SKIP_2) | instid1(VALU_DEP_1)
	v_mov_b64_e32 v[0:1], s[10:11]
	;;#ASMSTART
	global_load_b128 v[0:3], v[0:1] off scope:SCOPE_DEV	
s_wait_loadcnt 0x0
	;;#ASMEND
	v_and_b32_e32 v4, 0xff, v2
	v_cmpx_eq_u64_e32 0, v[4:5]
	s_cbranch_execz .LBB102_8
; %bb.3:
	v_mov_b64_e32 v[6:7], s[10:11]
	s_mov_b32 s10, 1
.LBB102_4:                              ; =>This Loop Header: Depth=1
                                        ;     Child Loop BB102_5 Depth 2
	s_delay_alu instid0(SALU_CYCLE_1)
	s_mov_b32 s11, s10
.LBB102_5:                              ;   Parent Loop BB102_4 Depth=1
                                        ; =>  This Inner Loop Header: Depth=2
	s_delay_alu instid0(SALU_CYCLE_1)
	s_add_co_i32 s11, s11, -1
	s_sleep 1
	s_cmp_eq_u32 s11, 0
	s_cbranch_scc0 .LBB102_5
; %bb.6:                                ;   in Loop: Header=BB102_4 Depth=1
	;;#ASMSTART
	global_load_b128 v[0:3], v[6:7] off scope:SCOPE_DEV	
s_wait_loadcnt 0x0
	;;#ASMEND
	v_and_b32_e32 v4, 0xff, v2
	s_cmp_lt_u32 s10, 32
	s_cselect_b32 s11, -1, 0
	s_delay_alu instid0(VALU_DEP_1) | instskip(SKIP_3) | instid1(SALU_CYCLE_1)
	v_cmp_ne_u64_e32 vcc_lo, 0, v[4:5]
	s_cmp_lg_u32 s11, 0
	s_add_co_ci_u32 s10, s10, 0
	s_or_b32 s9, vcc_lo, s9
	s_and_not1_b32 exec_lo, exec_lo, s9
	s_cbranch_execnz .LBB102_4
; %bb.7:
	s_or_b32 exec_lo, exec_lo, s9
.LBB102_8:
	s_delay_alu instid0(SALU_CYCLE_1)
	s_or_b32 exec_lo, exec_lo, s8
	v_mov_b32_e32 v2, 0
	global_store_b64 v2, v[0:1], s[2:3]
.LBB102_9:
	s_wait_xcnt 0x0
	s_or_b32 exec_lo, exec_lo, s7
.LBB102_10:
	s_delay_alu instid0(SALU_CYCLE_1) | instskip(NEXT) | instid1(VALU_DEP_1)
	s_mov_b32 s2, exec_lo
	v_cmpx_eq_u32_e32 0, v8
	s_cbranch_execz .LBB102_12
; %bb.11:
	s_load_b64 s[0:1], s[0:1], 0x10
	v_mov_b32_e32 v0, 0
	s_wait_kmcnt 0x0
	global_store_b32 v0, v0, s[0:1]
.LBB102_12:
	s_wait_xcnt 0x0
	s_or_b32 exec_lo, exec_lo, s2
	s_delay_alu instid0(SALU_CYCLE_1)
	s_mov_b32 s0, exec_lo
	v_cmpx_gt_u32_e64 s6, v8
	s_cbranch_execz .LBB102_14
; %bb.13:
	v_dual_mov_b32 v0, 0 :: v_dual_add_nc_u32 v4, 32, v8
	s_delay_alu instid0(VALU_DEP_1)
	v_dual_mov_b32 v1, v0 :: v_dual_mov_b32 v2, v0
	v_mov_b32_e32 v3, v0
	global_store_b128 v4, v[0:3], s[4:5] scale_offset
.LBB102_14:
	s_wait_xcnt 0x0
	s_or_b32 exec_lo, exec_lo, s0
	s_delay_alu instid0(SALU_CYCLE_1)
	s_mov_b32 s0, exec_lo
	v_cmpx_gt_u32_e32 32, v8
	s_cbranch_execz .LBB102_16
; %bb.15:
	v_mov_b32_e32 v0, 0
	s_delay_alu instid0(VALU_DEP_1)
	v_dual_mov_b32 v2, 0xff :: v_dual_mov_b32 v1, v0
	v_mov_b32_e32 v3, v0
	global_store_b128 v8, v[0:3], s[4:5] scale_offset
.LBB102_16:
	s_endpgm
	.section	.rodata,"a",@progbits
	.p2align	6, 0x0
	.amdhsa_kernel _ZN7rocprim17ROCPRIM_400000_NS6detail31init_lookback_scan_state_kernelINS1_19lookback_scan_stateIlLb1ELb1EEENS1_16block_id_wrapperIjLb1EEEEEvT_jT0_jPNS7_10value_typeE
		.amdhsa_group_segment_fixed_size 0
		.amdhsa_private_segment_fixed_size 0
		.amdhsa_kernarg_size 296
		.amdhsa_user_sgpr_count 2
		.amdhsa_user_sgpr_dispatch_ptr 0
		.amdhsa_user_sgpr_queue_ptr 0
		.amdhsa_user_sgpr_kernarg_segment_ptr 1
		.amdhsa_user_sgpr_dispatch_id 0
		.amdhsa_user_sgpr_kernarg_preload_length 0
		.amdhsa_user_sgpr_kernarg_preload_offset 0
		.amdhsa_user_sgpr_private_segment_size 0
		.amdhsa_wavefront_size32 1
		.amdhsa_uses_dynamic_stack 0
		.amdhsa_enable_private_segment 0
		.amdhsa_system_sgpr_workgroup_id_x 1
		.amdhsa_system_sgpr_workgroup_id_y 0
		.amdhsa_system_sgpr_workgroup_id_z 0
		.amdhsa_system_sgpr_workgroup_info 0
		.amdhsa_system_vgpr_workitem_id 0
		.amdhsa_next_free_vgpr 9
		.amdhsa_next_free_sgpr 12
		.amdhsa_named_barrier_count 0
		.amdhsa_reserve_vcc 1
		.amdhsa_float_round_mode_32 0
		.amdhsa_float_round_mode_16_64 0
		.amdhsa_float_denorm_mode_32 3
		.amdhsa_float_denorm_mode_16_64 3
		.amdhsa_fp16_overflow 0
		.amdhsa_memory_ordered 1
		.amdhsa_forward_progress 1
		.amdhsa_inst_pref_size 4
		.amdhsa_round_robin_scheduling 0
		.amdhsa_exception_fp_ieee_invalid_op 0
		.amdhsa_exception_fp_denorm_src 0
		.amdhsa_exception_fp_ieee_div_zero 0
		.amdhsa_exception_fp_ieee_overflow 0
		.amdhsa_exception_fp_ieee_underflow 0
		.amdhsa_exception_fp_ieee_inexact 0
		.amdhsa_exception_int_div_zero 0
	.end_amdhsa_kernel
	.section	.text._ZN7rocprim17ROCPRIM_400000_NS6detail31init_lookback_scan_state_kernelINS1_19lookback_scan_stateIlLb1ELb1EEENS1_16block_id_wrapperIjLb1EEEEEvT_jT0_jPNS7_10value_typeE,"axG",@progbits,_ZN7rocprim17ROCPRIM_400000_NS6detail31init_lookback_scan_state_kernelINS1_19lookback_scan_stateIlLb1ELb1EEENS1_16block_id_wrapperIjLb1EEEEEvT_jT0_jPNS7_10value_typeE,comdat
.Lfunc_end102:
	.size	_ZN7rocprim17ROCPRIM_400000_NS6detail31init_lookback_scan_state_kernelINS1_19lookback_scan_stateIlLb1ELb1EEENS1_16block_id_wrapperIjLb1EEEEEvT_jT0_jPNS7_10value_typeE, .Lfunc_end102-_ZN7rocprim17ROCPRIM_400000_NS6detail31init_lookback_scan_state_kernelINS1_19lookback_scan_stateIlLb1ELb1EEENS1_16block_id_wrapperIjLb1EEEEEvT_jT0_jPNS7_10value_typeE
                                        ; -- End function
	.set _ZN7rocprim17ROCPRIM_400000_NS6detail31init_lookback_scan_state_kernelINS1_19lookback_scan_stateIlLb1ELb1EEENS1_16block_id_wrapperIjLb1EEEEEvT_jT0_jPNS7_10value_typeE.num_vgpr, 9
	.set _ZN7rocprim17ROCPRIM_400000_NS6detail31init_lookback_scan_state_kernelINS1_19lookback_scan_stateIlLb1ELb1EEENS1_16block_id_wrapperIjLb1EEEEEvT_jT0_jPNS7_10value_typeE.num_agpr, 0
	.set _ZN7rocprim17ROCPRIM_400000_NS6detail31init_lookback_scan_state_kernelINS1_19lookback_scan_stateIlLb1ELb1EEENS1_16block_id_wrapperIjLb1EEEEEvT_jT0_jPNS7_10value_typeE.numbered_sgpr, 12
	.set _ZN7rocprim17ROCPRIM_400000_NS6detail31init_lookback_scan_state_kernelINS1_19lookback_scan_stateIlLb1ELb1EEENS1_16block_id_wrapperIjLb1EEEEEvT_jT0_jPNS7_10value_typeE.num_named_barrier, 0
	.set _ZN7rocprim17ROCPRIM_400000_NS6detail31init_lookback_scan_state_kernelINS1_19lookback_scan_stateIlLb1ELb1EEENS1_16block_id_wrapperIjLb1EEEEEvT_jT0_jPNS7_10value_typeE.private_seg_size, 0
	.set _ZN7rocprim17ROCPRIM_400000_NS6detail31init_lookback_scan_state_kernelINS1_19lookback_scan_stateIlLb1ELb1EEENS1_16block_id_wrapperIjLb1EEEEEvT_jT0_jPNS7_10value_typeE.uses_vcc, 1
	.set _ZN7rocprim17ROCPRIM_400000_NS6detail31init_lookback_scan_state_kernelINS1_19lookback_scan_stateIlLb1ELb1EEENS1_16block_id_wrapperIjLb1EEEEEvT_jT0_jPNS7_10value_typeE.uses_flat_scratch, 0
	.set _ZN7rocprim17ROCPRIM_400000_NS6detail31init_lookback_scan_state_kernelINS1_19lookback_scan_stateIlLb1ELb1EEENS1_16block_id_wrapperIjLb1EEEEEvT_jT0_jPNS7_10value_typeE.has_dyn_sized_stack, 0
	.set _ZN7rocprim17ROCPRIM_400000_NS6detail31init_lookback_scan_state_kernelINS1_19lookback_scan_stateIlLb1ELb1EEENS1_16block_id_wrapperIjLb1EEEEEvT_jT0_jPNS7_10value_typeE.has_recursion, 0
	.set _ZN7rocprim17ROCPRIM_400000_NS6detail31init_lookback_scan_state_kernelINS1_19lookback_scan_stateIlLb1ELb1EEENS1_16block_id_wrapperIjLb1EEEEEvT_jT0_jPNS7_10value_typeE.has_indirect_call, 0
	.section	.AMDGPU.csdata,"",@progbits
; Kernel info:
; codeLenInByte = 472
; TotalNumSgprs: 14
; NumVgprs: 9
; ScratchSize: 0
; MemoryBound: 0
; FloatMode: 240
; IeeeMode: 1
; LDSByteSize: 0 bytes/workgroup (compile time only)
; SGPRBlocks: 0
; VGPRBlocks: 0
; NumSGPRsForWavesPerEU: 14
; NumVGPRsForWavesPerEU: 9
; NamedBarCnt: 0
; Occupancy: 16
; WaveLimiterHint : 0
; COMPUTE_PGM_RSRC2:SCRATCH_EN: 0
; COMPUTE_PGM_RSRC2:USER_SGPR: 2
; COMPUTE_PGM_RSRC2:TRAP_HANDLER: 0
; COMPUTE_PGM_RSRC2:TGID_X_EN: 1
; COMPUTE_PGM_RSRC2:TGID_Y_EN: 0
; COMPUTE_PGM_RSRC2:TGID_Z_EN: 0
; COMPUTE_PGM_RSRC2:TIDIG_COMP_CNT: 0
	.section	.text._ZN7rocprim17ROCPRIM_400000_NS6detail17trampoline_kernelINS0_14default_configENS1_20scan_config_selectorIlEEZZNS1_9scan_implILNS1_25lookback_scan_determinismE0ELb0ELb0ES3_PlS8_lN6thrust23THRUST_200600_302600_NS4plusIvEElEEDaPvRmT3_T4_T5_mT6_P12ihipStream_tbENKUlT_T0_E_clISt17integral_constantIbLb1EESQ_EEDaSL_SM_EUlSL_E_NS1_11comp_targetILNS1_3genE0ELNS1_11target_archE4294967295ELNS1_3gpuE0ELNS1_3repE0EEENS1_30default_config_static_selectorELNS0_4arch9wavefront6targetE0EEEvT1_,"axG",@progbits,_ZN7rocprim17ROCPRIM_400000_NS6detail17trampoline_kernelINS0_14default_configENS1_20scan_config_selectorIlEEZZNS1_9scan_implILNS1_25lookback_scan_determinismE0ELb0ELb0ES3_PlS8_lN6thrust23THRUST_200600_302600_NS4plusIvEElEEDaPvRmT3_T4_T5_mT6_P12ihipStream_tbENKUlT_T0_E_clISt17integral_constantIbLb1EESQ_EEDaSL_SM_EUlSL_E_NS1_11comp_targetILNS1_3genE0ELNS1_11target_archE4294967295ELNS1_3gpuE0ELNS1_3repE0EEENS1_30default_config_static_selectorELNS0_4arch9wavefront6targetE0EEEvT1_,comdat
	.protected	_ZN7rocprim17ROCPRIM_400000_NS6detail17trampoline_kernelINS0_14default_configENS1_20scan_config_selectorIlEEZZNS1_9scan_implILNS1_25lookback_scan_determinismE0ELb0ELb0ES3_PlS8_lN6thrust23THRUST_200600_302600_NS4plusIvEElEEDaPvRmT3_T4_T5_mT6_P12ihipStream_tbENKUlT_T0_E_clISt17integral_constantIbLb1EESQ_EEDaSL_SM_EUlSL_E_NS1_11comp_targetILNS1_3genE0ELNS1_11target_archE4294967295ELNS1_3gpuE0ELNS1_3repE0EEENS1_30default_config_static_selectorELNS0_4arch9wavefront6targetE0EEEvT1_ ; -- Begin function _ZN7rocprim17ROCPRIM_400000_NS6detail17trampoline_kernelINS0_14default_configENS1_20scan_config_selectorIlEEZZNS1_9scan_implILNS1_25lookback_scan_determinismE0ELb0ELb0ES3_PlS8_lN6thrust23THRUST_200600_302600_NS4plusIvEElEEDaPvRmT3_T4_T5_mT6_P12ihipStream_tbENKUlT_T0_E_clISt17integral_constantIbLb1EESQ_EEDaSL_SM_EUlSL_E_NS1_11comp_targetILNS1_3genE0ELNS1_11target_archE4294967295ELNS1_3gpuE0ELNS1_3repE0EEENS1_30default_config_static_selectorELNS0_4arch9wavefront6targetE0EEEvT1_
	.globl	_ZN7rocprim17ROCPRIM_400000_NS6detail17trampoline_kernelINS0_14default_configENS1_20scan_config_selectorIlEEZZNS1_9scan_implILNS1_25lookback_scan_determinismE0ELb0ELb0ES3_PlS8_lN6thrust23THRUST_200600_302600_NS4plusIvEElEEDaPvRmT3_T4_T5_mT6_P12ihipStream_tbENKUlT_T0_E_clISt17integral_constantIbLb1EESQ_EEDaSL_SM_EUlSL_E_NS1_11comp_targetILNS1_3genE0ELNS1_11target_archE4294967295ELNS1_3gpuE0ELNS1_3repE0EEENS1_30default_config_static_selectorELNS0_4arch9wavefront6targetE0EEEvT1_
	.p2align	8
	.type	_ZN7rocprim17ROCPRIM_400000_NS6detail17trampoline_kernelINS0_14default_configENS1_20scan_config_selectorIlEEZZNS1_9scan_implILNS1_25lookback_scan_determinismE0ELb0ELb0ES3_PlS8_lN6thrust23THRUST_200600_302600_NS4plusIvEElEEDaPvRmT3_T4_T5_mT6_P12ihipStream_tbENKUlT_T0_E_clISt17integral_constantIbLb1EESQ_EEDaSL_SM_EUlSL_E_NS1_11comp_targetILNS1_3genE0ELNS1_11target_archE4294967295ELNS1_3gpuE0ELNS1_3repE0EEENS1_30default_config_static_selectorELNS0_4arch9wavefront6targetE0EEEvT1_,@function
_ZN7rocprim17ROCPRIM_400000_NS6detail17trampoline_kernelINS0_14default_configENS1_20scan_config_selectorIlEEZZNS1_9scan_implILNS1_25lookback_scan_determinismE0ELb0ELb0ES3_PlS8_lN6thrust23THRUST_200600_302600_NS4plusIvEElEEDaPvRmT3_T4_T5_mT6_P12ihipStream_tbENKUlT_T0_E_clISt17integral_constantIbLb1EESQ_EEDaSL_SM_EUlSL_E_NS1_11comp_targetILNS1_3genE0ELNS1_11target_archE4294967295ELNS1_3gpuE0ELNS1_3repE0EEENS1_30default_config_static_selectorELNS0_4arch9wavefront6targetE0EEEvT1_: ; @_ZN7rocprim17ROCPRIM_400000_NS6detail17trampoline_kernelINS0_14default_configENS1_20scan_config_selectorIlEEZZNS1_9scan_implILNS1_25lookback_scan_determinismE0ELb0ELb0ES3_PlS8_lN6thrust23THRUST_200600_302600_NS4plusIvEElEEDaPvRmT3_T4_T5_mT6_P12ihipStream_tbENKUlT_T0_E_clISt17integral_constantIbLb1EESQ_EEDaSL_SM_EUlSL_E_NS1_11comp_targetILNS1_3genE0ELNS1_11target_archE4294967295ELNS1_3gpuE0ELNS1_3repE0EEENS1_30default_config_static_selectorELNS0_4arch9wavefront6targetE0EEEvT1_
; %bb.0:
	s_endpgm
	.section	.rodata,"a",@progbits
	.p2align	6, 0x0
	.amdhsa_kernel _ZN7rocprim17ROCPRIM_400000_NS6detail17trampoline_kernelINS0_14default_configENS1_20scan_config_selectorIlEEZZNS1_9scan_implILNS1_25lookback_scan_determinismE0ELb0ELb0ES3_PlS8_lN6thrust23THRUST_200600_302600_NS4plusIvEElEEDaPvRmT3_T4_T5_mT6_P12ihipStream_tbENKUlT_T0_E_clISt17integral_constantIbLb1EESQ_EEDaSL_SM_EUlSL_E_NS1_11comp_targetILNS1_3genE0ELNS1_11target_archE4294967295ELNS1_3gpuE0ELNS1_3repE0EEENS1_30default_config_static_selectorELNS0_4arch9wavefront6targetE0EEEvT1_
		.amdhsa_group_segment_fixed_size 0
		.amdhsa_private_segment_fixed_size 0
		.amdhsa_kernarg_size 104
		.amdhsa_user_sgpr_count 2
		.amdhsa_user_sgpr_dispatch_ptr 0
		.amdhsa_user_sgpr_queue_ptr 0
		.amdhsa_user_sgpr_kernarg_segment_ptr 1
		.amdhsa_user_sgpr_dispatch_id 0
		.amdhsa_user_sgpr_kernarg_preload_length 0
		.amdhsa_user_sgpr_kernarg_preload_offset 0
		.amdhsa_user_sgpr_private_segment_size 0
		.amdhsa_wavefront_size32 1
		.amdhsa_uses_dynamic_stack 0
		.amdhsa_enable_private_segment 0
		.amdhsa_system_sgpr_workgroup_id_x 1
		.amdhsa_system_sgpr_workgroup_id_y 0
		.amdhsa_system_sgpr_workgroup_id_z 0
		.amdhsa_system_sgpr_workgroup_info 0
		.amdhsa_system_vgpr_workitem_id 0
		.amdhsa_next_free_vgpr 1
		.amdhsa_next_free_sgpr 1
		.amdhsa_named_barrier_count 0
		.amdhsa_reserve_vcc 0
		.amdhsa_float_round_mode_32 0
		.amdhsa_float_round_mode_16_64 0
		.amdhsa_float_denorm_mode_32 3
		.amdhsa_float_denorm_mode_16_64 3
		.amdhsa_fp16_overflow 0
		.amdhsa_memory_ordered 1
		.amdhsa_forward_progress 1
		.amdhsa_inst_pref_size 1
		.amdhsa_round_robin_scheduling 0
		.amdhsa_exception_fp_ieee_invalid_op 0
		.amdhsa_exception_fp_denorm_src 0
		.amdhsa_exception_fp_ieee_div_zero 0
		.amdhsa_exception_fp_ieee_overflow 0
		.amdhsa_exception_fp_ieee_underflow 0
		.amdhsa_exception_fp_ieee_inexact 0
		.amdhsa_exception_int_div_zero 0
	.end_amdhsa_kernel
	.section	.text._ZN7rocprim17ROCPRIM_400000_NS6detail17trampoline_kernelINS0_14default_configENS1_20scan_config_selectorIlEEZZNS1_9scan_implILNS1_25lookback_scan_determinismE0ELb0ELb0ES3_PlS8_lN6thrust23THRUST_200600_302600_NS4plusIvEElEEDaPvRmT3_T4_T5_mT6_P12ihipStream_tbENKUlT_T0_E_clISt17integral_constantIbLb1EESQ_EEDaSL_SM_EUlSL_E_NS1_11comp_targetILNS1_3genE0ELNS1_11target_archE4294967295ELNS1_3gpuE0ELNS1_3repE0EEENS1_30default_config_static_selectorELNS0_4arch9wavefront6targetE0EEEvT1_,"axG",@progbits,_ZN7rocprim17ROCPRIM_400000_NS6detail17trampoline_kernelINS0_14default_configENS1_20scan_config_selectorIlEEZZNS1_9scan_implILNS1_25lookback_scan_determinismE0ELb0ELb0ES3_PlS8_lN6thrust23THRUST_200600_302600_NS4plusIvEElEEDaPvRmT3_T4_T5_mT6_P12ihipStream_tbENKUlT_T0_E_clISt17integral_constantIbLb1EESQ_EEDaSL_SM_EUlSL_E_NS1_11comp_targetILNS1_3genE0ELNS1_11target_archE4294967295ELNS1_3gpuE0ELNS1_3repE0EEENS1_30default_config_static_selectorELNS0_4arch9wavefront6targetE0EEEvT1_,comdat
.Lfunc_end103:
	.size	_ZN7rocprim17ROCPRIM_400000_NS6detail17trampoline_kernelINS0_14default_configENS1_20scan_config_selectorIlEEZZNS1_9scan_implILNS1_25lookback_scan_determinismE0ELb0ELb0ES3_PlS8_lN6thrust23THRUST_200600_302600_NS4plusIvEElEEDaPvRmT3_T4_T5_mT6_P12ihipStream_tbENKUlT_T0_E_clISt17integral_constantIbLb1EESQ_EEDaSL_SM_EUlSL_E_NS1_11comp_targetILNS1_3genE0ELNS1_11target_archE4294967295ELNS1_3gpuE0ELNS1_3repE0EEENS1_30default_config_static_selectorELNS0_4arch9wavefront6targetE0EEEvT1_, .Lfunc_end103-_ZN7rocprim17ROCPRIM_400000_NS6detail17trampoline_kernelINS0_14default_configENS1_20scan_config_selectorIlEEZZNS1_9scan_implILNS1_25lookback_scan_determinismE0ELb0ELb0ES3_PlS8_lN6thrust23THRUST_200600_302600_NS4plusIvEElEEDaPvRmT3_T4_T5_mT6_P12ihipStream_tbENKUlT_T0_E_clISt17integral_constantIbLb1EESQ_EEDaSL_SM_EUlSL_E_NS1_11comp_targetILNS1_3genE0ELNS1_11target_archE4294967295ELNS1_3gpuE0ELNS1_3repE0EEENS1_30default_config_static_selectorELNS0_4arch9wavefront6targetE0EEEvT1_
                                        ; -- End function
	.set _ZN7rocprim17ROCPRIM_400000_NS6detail17trampoline_kernelINS0_14default_configENS1_20scan_config_selectorIlEEZZNS1_9scan_implILNS1_25lookback_scan_determinismE0ELb0ELb0ES3_PlS8_lN6thrust23THRUST_200600_302600_NS4plusIvEElEEDaPvRmT3_T4_T5_mT6_P12ihipStream_tbENKUlT_T0_E_clISt17integral_constantIbLb1EESQ_EEDaSL_SM_EUlSL_E_NS1_11comp_targetILNS1_3genE0ELNS1_11target_archE4294967295ELNS1_3gpuE0ELNS1_3repE0EEENS1_30default_config_static_selectorELNS0_4arch9wavefront6targetE0EEEvT1_.num_vgpr, 0
	.set _ZN7rocprim17ROCPRIM_400000_NS6detail17trampoline_kernelINS0_14default_configENS1_20scan_config_selectorIlEEZZNS1_9scan_implILNS1_25lookback_scan_determinismE0ELb0ELb0ES3_PlS8_lN6thrust23THRUST_200600_302600_NS4plusIvEElEEDaPvRmT3_T4_T5_mT6_P12ihipStream_tbENKUlT_T0_E_clISt17integral_constantIbLb1EESQ_EEDaSL_SM_EUlSL_E_NS1_11comp_targetILNS1_3genE0ELNS1_11target_archE4294967295ELNS1_3gpuE0ELNS1_3repE0EEENS1_30default_config_static_selectorELNS0_4arch9wavefront6targetE0EEEvT1_.num_agpr, 0
	.set _ZN7rocprim17ROCPRIM_400000_NS6detail17trampoline_kernelINS0_14default_configENS1_20scan_config_selectorIlEEZZNS1_9scan_implILNS1_25lookback_scan_determinismE0ELb0ELb0ES3_PlS8_lN6thrust23THRUST_200600_302600_NS4plusIvEElEEDaPvRmT3_T4_T5_mT6_P12ihipStream_tbENKUlT_T0_E_clISt17integral_constantIbLb1EESQ_EEDaSL_SM_EUlSL_E_NS1_11comp_targetILNS1_3genE0ELNS1_11target_archE4294967295ELNS1_3gpuE0ELNS1_3repE0EEENS1_30default_config_static_selectorELNS0_4arch9wavefront6targetE0EEEvT1_.numbered_sgpr, 0
	.set _ZN7rocprim17ROCPRIM_400000_NS6detail17trampoline_kernelINS0_14default_configENS1_20scan_config_selectorIlEEZZNS1_9scan_implILNS1_25lookback_scan_determinismE0ELb0ELb0ES3_PlS8_lN6thrust23THRUST_200600_302600_NS4plusIvEElEEDaPvRmT3_T4_T5_mT6_P12ihipStream_tbENKUlT_T0_E_clISt17integral_constantIbLb1EESQ_EEDaSL_SM_EUlSL_E_NS1_11comp_targetILNS1_3genE0ELNS1_11target_archE4294967295ELNS1_3gpuE0ELNS1_3repE0EEENS1_30default_config_static_selectorELNS0_4arch9wavefront6targetE0EEEvT1_.num_named_barrier, 0
	.set _ZN7rocprim17ROCPRIM_400000_NS6detail17trampoline_kernelINS0_14default_configENS1_20scan_config_selectorIlEEZZNS1_9scan_implILNS1_25lookback_scan_determinismE0ELb0ELb0ES3_PlS8_lN6thrust23THRUST_200600_302600_NS4plusIvEElEEDaPvRmT3_T4_T5_mT6_P12ihipStream_tbENKUlT_T0_E_clISt17integral_constantIbLb1EESQ_EEDaSL_SM_EUlSL_E_NS1_11comp_targetILNS1_3genE0ELNS1_11target_archE4294967295ELNS1_3gpuE0ELNS1_3repE0EEENS1_30default_config_static_selectorELNS0_4arch9wavefront6targetE0EEEvT1_.private_seg_size, 0
	.set _ZN7rocprim17ROCPRIM_400000_NS6detail17trampoline_kernelINS0_14default_configENS1_20scan_config_selectorIlEEZZNS1_9scan_implILNS1_25lookback_scan_determinismE0ELb0ELb0ES3_PlS8_lN6thrust23THRUST_200600_302600_NS4plusIvEElEEDaPvRmT3_T4_T5_mT6_P12ihipStream_tbENKUlT_T0_E_clISt17integral_constantIbLb1EESQ_EEDaSL_SM_EUlSL_E_NS1_11comp_targetILNS1_3genE0ELNS1_11target_archE4294967295ELNS1_3gpuE0ELNS1_3repE0EEENS1_30default_config_static_selectorELNS0_4arch9wavefront6targetE0EEEvT1_.uses_vcc, 0
	.set _ZN7rocprim17ROCPRIM_400000_NS6detail17trampoline_kernelINS0_14default_configENS1_20scan_config_selectorIlEEZZNS1_9scan_implILNS1_25lookback_scan_determinismE0ELb0ELb0ES3_PlS8_lN6thrust23THRUST_200600_302600_NS4plusIvEElEEDaPvRmT3_T4_T5_mT6_P12ihipStream_tbENKUlT_T0_E_clISt17integral_constantIbLb1EESQ_EEDaSL_SM_EUlSL_E_NS1_11comp_targetILNS1_3genE0ELNS1_11target_archE4294967295ELNS1_3gpuE0ELNS1_3repE0EEENS1_30default_config_static_selectorELNS0_4arch9wavefront6targetE0EEEvT1_.uses_flat_scratch, 0
	.set _ZN7rocprim17ROCPRIM_400000_NS6detail17trampoline_kernelINS0_14default_configENS1_20scan_config_selectorIlEEZZNS1_9scan_implILNS1_25lookback_scan_determinismE0ELb0ELb0ES3_PlS8_lN6thrust23THRUST_200600_302600_NS4plusIvEElEEDaPvRmT3_T4_T5_mT6_P12ihipStream_tbENKUlT_T0_E_clISt17integral_constantIbLb1EESQ_EEDaSL_SM_EUlSL_E_NS1_11comp_targetILNS1_3genE0ELNS1_11target_archE4294967295ELNS1_3gpuE0ELNS1_3repE0EEENS1_30default_config_static_selectorELNS0_4arch9wavefront6targetE0EEEvT1_.has_dyn_sized_stack, 0
	.set _ZN7rocprim17ROCPRIM_400000_NS6detail17trampoline_kernelINS0_14default_configENS1_20scan_config_selectorIlEEZZNS1_9scan_implILNS1_25lookback_scan_determinismE0ELb0ELb0ES3_PlS8_lN6thrust23THRUST_200600_302600_NS4plusIvEElEEDaPvRmT3_T4_T5_mT6_P12ihipStream_tbENKUlT_T0_E_clISt17integral_constantIbLb1EESQ_EEDaSL_SM_EUlSL_E_NS1_11comp_targetILNS1_3genE0ELNS1_11target_archE4294967295ELNS1_3gpuE0ELNS1_3repE0EEENS1_30default_config_static_selectorELNS0_4arch9wavefront6targetE0EEEvT1_.has_recursion, 0
	.set _ZN7rocprim17ROCPRIM_400000_NS6detail17trampoline_kernelINS0_14default_configENS1_20scan_config_selectorIlEEZZNS1_9scan_implILNS1_25lookback_scan_determinismE0ELb0ELb0ES3_PlS8_lN6thrust23THRUST_200600_302600_NS4plusIvEElEEDaPvRmT3_T4_T5_mT6_P12ihipStream_tbENKUlT_T0_E_clISt17integral_constantIbLb1EESQ_EEDaSL_SM_EUlSL_E_NS1_11comp_targetILNS1_3genE0ELNS1_11target_archE4294967295ELNS1_3gpuE0ELNS1_3repE0EEENS1_30default_config_static_selectorELNS0_4arch9wavefront6targetE0EEEvT1_.has_indirect_call, 0
	.section	.AMDGPU.csdata,"",@progbits
; Kernel info:
; codeLenInByte = 4
; TotalNumSgprs: 0
; NumVgprs: 0
; ScratchSize: 0
; MemoryBound: 0
; FloatMode: 240
; IeeeMode: 1
; LDSByteSize: 0 bytes/workgroup (compile time only)
; SGPRBlocks: 0
; VGPRBlocks: 0
; NumSGPRsForWavesPerEU: 1
; NumVGPRsForWavesPerEU: 1
; NamedBarCnt: 0
; Occupancy: 16
; WaveLimiterHint : 0
; COMPUTE_PGM_RSRC2:SCRATCH_EN: 0
; COMPUTE_PGM_RSRC2:USER_SGPR: 2
; COMPUTE_PGM_RSRC2:TRAP_HANDLER: 0
; COMPUTE_PGM_RSRC2:TGID_X_EN: 1
; COMPUTE_PGM_RSRC2:TGID_Y_EN: 0
; COMPUTE_PGM_RSRC2:TGID_Z_EN: 0
; COMPUTE_PGM_RSRC2:TIDIG_COMP_CNT: 0
	.section	.text._ZN7rocprim17ROCPRIM_400000_NS6detail17trampoline_kernelINS0_14default_configENS1_20scan_config_selectorIlEEZZNS1_9scan_implILNS1_25lookback_scan_determinismE0ELb0ELb0ES3_PlS8_lN6thrust23THRUST_200600_302600_NS4plusIvEElEEDaPvRmT3_T4_T5_mT6_P12ihipStream_tbENKUlT_T0_E_clISt17integral_constantIbLb1EESQ_EEDaSL_SM_EUlSL_E_NS1_11comp_targetILNS1_3genE5ELNS1_11target_archE942ELNS1_3gpuE9ELNS1_3repE0EEENS1_30default_config_static_selectorELNS0_4arch9wavefront6targetE0EEEvT1_,"axG",@progbits,_ZN7rocprim17ROCPRIM_400000_NS6detail17trampoline_kernelINS0_14default_configENS1_20scan_config_selectorIlEEZZNS1_9scan_implILNS1_25lookback_scan_determinismE0ELb0ELb0ES3_PlS8_lN6thrust23THRUST_200600_302600_NS4plusIvEElEEDaPvRmT3_T4_T5_mT6_P12ihipStream_tbENKUlT_T0_E_clISt17integral_constantIbLb1EESQ_EEDaSL_SM_EUlSL_E_NS1_11comp_targetILNS1_3genE5ELNS1_11target_archE942ELNS1_3gpuE9ELNS1_3repE0EEENS1_30default_config_static_selectorELNS0_4arch9wavefront6targetE0EEEvT1_,comdat
	.protected	_ZN7rocprim17ROCPRIM_400000_NS6detail17trampoline_kernelINS0_14default_configENS1_20scan_config_selectorIlEEZZNS1_9scan_implILNS1_25lookback_scan_determinismE0ELb0ELb0ES3_PlS8_lN6thrust23THRUST_200600_302600_NS4plusIvEElEEDaPvRmT3_T4_T5_mT6_P12ihipStream_tbENKUlT_T0_E_clISt17integral_constantIbLb1EESQ_EEDaSL_SM_EUlSL_E_NS1_11comp_targetILNS1_3genE5ELNS1_11target_archE942ELNS1_3gpuE9ELNS1_3repE0EEENS1_30default_config_static_selectorELNS0_4arch9wavefront6targetE0EEEvT1_ ; -- Begin function _ZN7rocprim17ROCPRIM_400000_NS6detail17trampoline_kernelINS0_14default_configENS1_20scan_config_selectorIlEEZZNS1_9scan_implILNS1_25lookback_scan_determinismE0ELb0ELb0ES3_PlS8_lN6thrust23THRUST_200600_302600_NS4plusIvEElEEDaPvRmT3_T4_T5_mT6_P12ihipStream_tbENKUlT_T0_E_clISt17integral_constantIbLb1EESQ_EEDaSL_SM_EUlSL_E_NS1_11comp_targetILNS1_3genE5ELNS1_11target_archE942ELNS1_3gpuE9ELNS1_3repE0EEENS1_30default_config_static_selectorELNS0_4arch9wavefront6targetE0EEEvT1_
	.globl	_ZN7rocprim17ROCPRIM_400000_NS6detail17trampoline_kernelINS0_14default_configENS1_20scan_config_selectorIlEEZZNS1_9scan_implILNS1_25lookback_scan_determinismE0ELb0ELb0ES3_PlS8_lN6thrust23THRUST_200600_302600_NS4plusIvEElEEDaPvRmT3_T4_T5_mT6_P12ihipStream_tbENKUlT_T0_E_clISt17integral_constantIbLb1EESQ_EEDaSL_SM_EUlSL_E_NS1_11comp_targetILNS1_3genE5ELNS1_11target_archE942ELNS1_3gpuE9ELNS1_3repE0EEENS1_30default_config_static_selectorELNS0_4arch9wavefront6targetE0EEEvT1_
	.p2align	8
	.type	_ZN7rocprim17ROCPRIM_400000_NS6detail17trampoline_kernelINS0_14default_configENS1_20scan_config_selectorIlEEZZNS1_9scan_implILNS1_25lookback_scan_determinismE0ELb0ELb0ES3_PlS8_lN6thrust23THRUST_200600_302600_NS4plusIvEElEEDaPvRmT3_T4_T5_mT6_P12ihipStream_tbENKUlT_T0_E_clISt17integral_constantIbLb1EESQ_EEDaSL_SM_EUlSL_E_NS1_11comp_targetILNS1_3genE5ELNS1_11target_archE942ELNS1_3gpuE9ELNS1_3repE0EEENS1_30default_config_static_selectorELNS0_4arch9wavefront6targetE0EEEvT1_,@function
_ZN7rocprim17ROCPRIM_400000_NS6detail17trampoline_kernelINS0_14default_configENS1_20scan_config_selectorIlEEZZNS1_9scan_implILNS1_25lookback_scan_determinismE0ELb0ELb0ES3_PlS8_lN6thrust23THRUST_200600_302600_NS4plusIvEElEEDaPvRmT3_T4_T5_mT6_P12ihipStream_tbENKUlT_T0_E_clISt17integral_constantIbLb1EESQ_EEDaSL_SM_EUlSL_E_NS1_11comp_targetILNS1_3genE5ELNS1_11target_archE942ELNS1_3gpuE9ELNS1_3repE0EEENS1_30default_config_static_selectorELNS0_4arch9wavefront6targetE0EEEvT1_: ; @_ZN7rocprim17ROCPRIM_400000_NS6detail17trampoline_kernelINS0_14default_configENS1_20scan_config_selectorIlEEZZNS1_9scan_implILNS1_25lookback_scan_determinismE0ELb0ELb0ES3_PlS8_lN6thrust23THRUST_200600_302600_NS4plusIvEElEEDaPvRmT3_T4_T5_mT6_P12ihipStream_tbENKUlT_T0_E_clISt17integral_constantIbLb1EESQ_EEDaSL_SM_EUlSL_E_NS1_11comp_targetILNS1_3genE5ELNS1_11target_archE942ELNS1_3gpuE9ELNS1_3repE0EEENS1_30default_config_static_selectorELNS0_4arch9wavefront6targetE0EEEvT1_
; %bb.0:
	.section	.rodata,"a",@progbits
	.p2align	6, 0x0
	.amdhsa_kernel _ZN7rocprim17ROCPRIM_400000_NS6detail17trampoline_kernelINS0_14default_configENS1_20scan_config_selectorIlEEZZNS1_9scan_implILNS1_25lookback_scan_determinismE0ELb0ELb0ES3_PlS8_lN6thrust23THRUST_200600_302600_NS4plusIvEElEEDaPvRmT3_T4_T5_mT6_P12ihipStream_tbENKUlT_T0_E_clISt17integral_constantIbLb1EESQ_EEDaSL_SM_EUlSL_E_NS1_11comp_targetILNS1_3genE5ELNS1_11target_archE942ELNS1_3gpuE9ELNS1_3repE0EEENS1_30default_config_static_selectorELNS0_4arch9wavefront6targetE0EEEvT1_
		.amdhsa_group_segment_fixed_size 0
		.amdhsa_private_segment_fixed_size 0
		.amdhsa_kernarg_size 104
		.amdhsa_user_sgpr_count 2
		.amdhsa_user_sgpr_dispatch_ptr 0
		.amdhsa_user_sgpr_queue_ptr 0
		.amdhsa_user_sgpr_kernarg_segment_ptr 1
		.amdhsa_user_sgpr_dispatch_id 0
		.amdhsa_user_sgpr_kernarg_preload_length 0
		.amdhsa_user_sgpr_kernarg_preload_offset 0
		.amdhsa_user_sgpr_private_segment_size 0
		.amdhsa_wavefront_size32 1
		.amdhsa_uses_dynamic_stack 0
		.amdhsa_enable_private_segment 0
		.amdhsa_system_sgpr_workgroup_id_x 1
		.amdhsa_system_sgpr_workgroup_id_y 0
		.amdhsa_system_sgpr_workgroup_id_z 0
		.amdhsa_system_sgpr_workgroup_info 0
		.amdhsa_system_vgpr_workitem_id 0
		.amdhsa_next_free_vgpr 1
		.amdhsa_next_free_sgpr 1
		.amdhsa_named_barrier_count 0
		.amdhsa_reserve_vcc 0
		.amdhsa_float_round_mode_32 0
		.amdhsa_float_round_mode_16_64 0
		.amdhsa_float_denorm_mode_32 3
		.amdhsa_float_denorm_mode_16_64 3
		.amdhsa_fp16_overflow 0
		.amdhsa_memory_ordered 1
		.amdhsa_forward_progress 1
		.amdhsa_inst_pref_size 0
		.amdhsa_round_robin_scheduling 0
		.amdhsa_exception_fp_ieee_invalid_op 0
		.amdhsa_exception_fp_denorm_src 0
		.amdhsa_exception_fp_ieee_div_zero 0
		.amdhsa_exception_fp_ieee_overflow 0
		.amdhsa_exception_fp_ieee_underflow 0
		.amdhsa_exception_fp_ieee_inexact 0
		.amdhsa_exception_int_div_zero 0
	.end_amdhsa_kernel
	.section	.text._ZN7rocprim17ROCPRIM_400000_NS6detail17trampoline_kernelINS0_14default_configENS1_20scan_config_selectorIlEEZZNS1_9scan_implILNS1_25lookback_scan_determinismE0ELb0ELb0ES3_PlS8_lN6thrust23THRUST_200600_302600_NS4plusIvEElEEDaPvRmT3_T4_T5_mT6_P12ihipStream_tbENKUlT_T0_E_clISt17integral_constantIbLb1EESQ_EEDaSL_SM_EUlSL_E_NS1_11comp_targetILNS1_3genE5ELNS1_11target_archE942ELNS1_3gpuE9ELNS1_3repE0EEENS1_30default_config_static_selectorELNS0_4arch9wavefront6targetE0EEEvT1_,"axG",@progbits,_ZN7rocprim17ROCPRIM_400000_NS6detail17trampoline_kernelINS0_14default_configENS1_20scan_config_selectorIlEEZZNS1_9scan_implILNS1_25lookback_scan_determinismE0ELb0ELb0ES3_PlS8_lN6thrust23THRUST_200600_302600_NS4plusIvEElEEDaPvRmT3_T4_T5_mT6_P12ihipStream_tbENKUlT_T0_E_clISt17integral_constantIbLb1EESQ_EEDaSL_SM_EUlSL_E_NS1_11comp_targetILNS1_3genE5ELNS1_11target_archE942ELNS1_3gpuE9ELNS1_3repE0EEENS1_30default_config_static_selectorELNS0_4arch9wavefront6targetE0EEEvT1_,comdat
.Lfunc_end104:
	.size	_ZN7rocprim17ROCPRIM_400000_NS6detail17trampoline_kernelINS0_14default_configENS1_20scan_config_selectorIlEEZZNS1_9scan_implILNS1_25lookback_scan_determinismE0ELb0ELb0ES3_PlS8_lN6thrust23THRUST_200600_302600_NS4plusIvEElEEDaPvRmT3_T4_T5_mT6_P12ihipStream_tbENKUlT_T0_E_clISt17integral_constantIbLb1EESQ_EEDaSL_SM_EUlSL_E_NS1_11comp_targetILNS1_3genE5ELNS1_11target_archE942ELNS1_3gpuE9ELNS1_3repE0EEENS1_30default_config_static_selectorELNS0_4arch9wavefront6targetE0EEEvT1_, .Lfunc_end104-_ZN7rocprim17ROCPRIM_400000_NS6detail17trampoline_kernelINS0_14default_configENS1_20scan_config_selectorIlEEZZNS1_9scan_implILNS1_25lookback_scan_determinismE0ELb0ELb0ES3_PlS8_lN6thrust23THRUST_200600_302600_NS4plusIvEElEEDaPvRmT3_T4_T5_mT6_P12ihipStream_tbENKUlT_T0_E_clISt17integral_constantIbLb1EESQ_EEDaSL_SM_EUlSL_E_NS1_11comp_targetILNS1_3genE5ELNS1_11target_archE942ELNS1_3gpuE9ELNS1_3repE0EEENS1_30default_config_static_selectorELNS0_4arch9wavefront6targetE0EEEvT1_
                                        ; -- End function
	.set _ZN7rocprim17ROCPRIM_400000_NS6detail17trampoline_kernelINS0_14default_configENS1_20scan_config_selectorIlEEZZNS1_9scan_implILNS1_25lookback_scan_determinismE0ELb0ELb0ES3_PlS8_lN6thrust23THRUST_200600_302600_NS4plusIvEElEEDaPvRmT3_T4_T5_mT6_P12ihipStream_tbENKUlT_T0_E_clISt17integral_constantIbLb1EESQ_EEDaSL_SM_EUlSL_E_NS1_11comp_targetILNS1_3genE5ELNS1_11target_archE942ELNS1_3gpuE9ELNS1_3repE0EEENS1_30default_config_static_selectorELNS0_4arch9wavefront6targetE0EEEvT1_.num_vgpr, 0
	.set _ZN7rocprim17ROCPRIM_400000_NS6detail17trampoline_kernelINS0_14default_configENS1_20scan_config_selectorIlEEZZNS1_9scan_implILNS1_25lookback_scan_determinismE0ELb0ELb0ES3_PlS8_lN6thrust23THRUST_200600_302600_NS4plusIvEElEEDaPvRmT3_T4_T5_mT6_P12ihipStream_tbENKUlT_T0_E_clISt17integral_constantIbLb1EESQ_EEDaSL_SM_EUlSL_E_NS1_11comp_targetILNS1_3genE5ELNS1_11target_archE942ELNS1_3gpuE9ELNS1_3repE0EEENS1_30default_config_static_selectorELNS0_4arch9wavefront6targetE0EEEvT1_.num_agpr, 0
	.set _ZN7rocprim17ROCPRIM_400000_NS6detail17trampoline_kernelINS0_14default_configENS1_20scan_config_selectorIlEEZZNS1_9scan_implILNS1_25lookback_scan_determinismE0ELb0ELb0ES3_PlS8_lN6thrust23THRUST_200600_302600_NS4plusIvEElEEDaPvRmT3_T4_T5_mT6_P12ihipStream_tbENKUlT_T0_E_clISt17integral_constantIbLb1EESQ_EEDaSL_SM_EUlSL_E_NS1_11comp_targetILNS1_3genE5ELNS1_11target_archE942ELNS1_3gpuE9ELNS1_3repE0EEENS1_30default_config_static_selectorELNS0_4arch9wavefront6targetE0EEEvT1_.numbered_sgpr, 0
	.set _ZN7rocprim17ROCPRIM_400000_NS6detail17trampoline_kernelINS0_14default_configENS1_20scan_config_selectorIlEEZZNS1_9scan_implILNS1_25lookback_scan_determinismE0ELb0ELb0ES3_PlS8_lN6thrust23THRUST_200600_302600_NS4plusIvEElEEDaPvRmT3_T4_T5_mT6_P12ihipStream_tbENKUlT_T0_E_clISt17integral_constantIbLb1EESQ_EEDaSL_SM_EUlSL_E_NS1_11comp_targetILNS1_3genE5ELNS1_11target_archE942ELNS1_3gpuE9ELNS1_3repE0EEENS1_30default_config_static_selectorELNS0_4arch9wavefront6targetE0EEEvT1_.num_named_barrier, 0
	.set _ZN7rocprim17ROCPRIM_400000_NS6detail17trampoline_kernelINS0_14default_configENS1_20scan_config_selectorIlEEZZNS1_9scan_implILNS1_25lookback_scan_determinismE0ELb0ELb0ES3_PlS8_lN6thrust23THRUST_200600_302600_NS4plusIvEElEEDaPvRmT3_T4_T5_mT6_P12ihipStream_tbENKUlT_T0_E_clISt17integral_constantIbLb1EESQ_EEDaSL_SM_EUlSL_E_NS1_11comp_targetILNS1_3genE5ELNS1_11target_archE942ELNS1_3gpuE9ELNS1_3repE0EEENS1_30default_config_static_selectorELNS0_4arch9wavefront6targetE0EEEvT1_.private_seg_size, 0
	.set _ZN7rocprim17ROCPRIM_400000_NS6detail17trampoline_kernelINS0_14default_configENS1_20scan_config_selectorIlEEZZNS1_9scan_implILNS1_25lookback_scan_determinismE0ELb0ELb0ES3_PlS8_lN6thrust23THRUST_200600_302600_NS4plusIvEElEEDaPvRmT3_T4_T5_mT6_P12ihipStream_tbENKUlT_T0_E_clISt17integral_constantIbLb1EESQ_EEDaSL_SM_EUlSL_E_NS1_11comp_targetILNS1_3genE5ELNS1_11target_archE942ELNS1_3gpuE9ELNS1_3repE0EEENS1_30default_config_static_selectorELNS0_4arch9wavefront6targetE0EEEvT1_.uses_vcc, 0
	.set _ZN7rocprim17ROCPRIM_400000_NS6detail17trampoline_kernelINS0_14default_configENS1_20scan_config_selectorIlEEZZNS1_9scan_implILNS1_25lookback_scan_determinismE0ELb0ELb0ES3_PlS8_lN6thrust23THRUST_200600_302600_NS4plusIvEElEEDaPvRmT3_T4_T5_mT6_P12ihipStream_tbENKUlT_T0_E_clISt17integral_constantIbLb1EESQ_EEDaSL_SM_EUlSL_E_NS1_11comp_targetILNS1_3genE5ELNS1_11target_archE942ELNS1_3gpuE9ELNS1_3repE0EEENS1_30default_config_static_selectorELNS0_4arch9wavefront6targetE0EEEvT1_.uses_flat_scratch, 0
	.set _ZN7rocprim17ROCPRIM_400000_NS6detail17trampoline_kernelINS0_14default_configENS1_20scan_config_selectorIlEEZZNS1_9scan_implILNS1_25lookback_scan_determinismE0ELb0ELb0ES3_PlS8_lN6thrust23THRUST_200600_302600_NS4plusIvEElEEDaPvRmT3_T4_T5_mT6_P12ihipStream_tbENKUlT_T0_E_clISt17integral_constantIbLb1EESQ_EEDaSL_SM_EUlSL_E_NS1_11comp_targetILNS1_3genE5ELNS1_11target_archE942ELNS1_3gpuE9ELNS1_3repE0EEENS1_30default_config_static_selectorELNS0_4arch9wavefront6targetE0EEEvT1_.has_dyn_sized_stack, 0
	.set _ZN7rocprim17ROCPRIM_400000_NS6detail17trampoline_kernelINS0_14default_configENS1_20scan_config_selectorIlEEZZNS1_9scan_implILNS1_25lookback_scan_determinismE0ELb0ELb0ES3_PlS8_lN6thrust23THRUST_200600_302600_NS4plusIvEElEEDaPvRmT3_T4_T5_mT6_P12ihipStream_tbENKUlT_T0_E_clISt17integral_constantIbLb1EESQ_EEDaSL_SM_EUlSL_E_NS1_11comp_targetILNS1_3genE5ELNS1_11target_archE942ELNS1_3gpuE9ELNS1_3repE0EEENS1_30default_config_static_selectorELNS0_4arch9wavefront6targetE0EEEvT1_.has_recursion, 0
	.set _ZN7rocprim17ROCPRIM_400000_NS6detail17trampoline_kernelINS0_14default_configENS1_20scan_config_selectorIlEEZZNS1_9scan_implILNS1_25lookback_scan_determinismE0ELb0ELb0ES3_PlS8_lN6thrust23THRUST_200600_302600_NS4plusIvEElEEDaPvRmT3_T4_T5_mT6_P12ihipStream_tbENKUlT_T0_E_clISt17integral_constantIbLb1EESQ_EEDaSL_SM_EUlSL_E_NS1_11comp_targetILNS1_3genE5ELNS1_11target_archE942ELNS1_3gpuE9ELNS1_3repE0EEENS1_30default_config_static_selectorELNS0_4arch9wavefront6targetE0EEEvT1_.has_indirect_call, 0
	.section	.AMDGPU.csdata,"",@progbits
; Kernel info:
; codeLenInByte = 0
; TotalNumSgprs: 0
; NumVgprs: 0
; ScratchSize: 0
; MemoryBound: 0
; FloatMode: 240
; IeeeMode: 1
; LDSByteSize: 0 bytes/workgroup (compile time only)
; SGPRBlocks: 0
; VGPRBlocks: 0
; NumSGPRsForWavesPerEU: 1
; NumVGPRsForWavesPerEU: 1
; NamedBarCnt: 0
; Occupancy: 16
; WaveLimiterHint : 0
; COMPUTE_PGM_RSRC2:SCRATCH_EN: 0
; COMPUTE_PGM_RSRC2:USER_SGPR: 2
; COMPUTE_PGM_RSRC2:TRAP_HANDLER: 0
; COMPUTE_PGM_RSRC2:TGID_X_EN: 1
; COMPUTE_PGM_RSRC2:TGID_Y_EN: 0
; COMPUTE_PGM_RSRC2:TGID_Z_EN: 0
; COMPUTE_PGM_RSRC2:TIDIG_COMP_CNT: 0
	.section	.text._ZN7rocprim17ROCPRIM_400000_NS6detail17trampoline_kernelINS0_14default_configENS1_20scan_config_selectorIlEEZZNS1_9scan_implILNS1_25lookback_scan_determinismE0ELb0ELb0ES3_PlS8_lN6thrust23THRUST_200600_302600_NS4plusIvEElEEDaPvRmT3_T4_T5_mT6_P12ihipStream_tbENKUlT_T0_E_clISt17integral_constantIbLb1EESQ_EEDaSL_SM_EUlSL_E_NS1_11comp_targetILNS1_3genE4ELNS1_11target_archE910ELNS1_3gpuE8ELNS1_3repE0EEENS1_30default_config_static_selectorELNS0_4arch9wavefront6targetE0EEEvT1_,"axG",@progbits,_ZN7rocprim17ROCPRIM_400000_NS6detail17trampoline_kernelINS0_14default_configENS1_20scan_config_selectorIlEEZZNS1_9scan_implILNS1_25lookback_scan_determinismE0ELb0ELb0ES3_PlS8_lN6thrust23THRUST_200600_302600_NS4plusIvEElEEDaPvRmT3_T4_T5_mT6_P12ihipStream_tbENKUlT_T0_E_clISt17integral_constantIbLb1EESQ_EEDaSL_SM_EUlSL_E_NS1_11comp_targetILNS1_3genE4ELNS1_11target_archE910ELNS1_3gpuE8ELNS1_3repE0EEENS1_30default_config_static_selectorELNS0_4arch9wavefront6targetE0EEEvT1_,comdat
	.protected	_ZN7rocprim17ROCPRIM_400000_NS6detail17trampoline_kernelINS0_14default_configENS1_20scan_config_selectorIlEEZZNS1_9scan_implILNS1_25lookback_scan_determinismE0ELb0ELb0ES3_PlS8_lN6thrust23THRUST_200600_302600_NS4plusIvEElEEDaPvRmT3_T4_T5_mT6_P12ihipStream_tbENKUlT_T0_E_clISt17integral_constantIbLb1EESQ_EEDaSL_SM_EUlSL_E_NS1_11comp_targetILNS1_3genE4ELNS1_11target_archE910ELNS1_3gpuE8ELNS1_3repE0EEENS1_30default_config_static_selectorELNS0_4arch9wavefront6targetE0EEEvT1_ ; -- Begin function _ZN7rocprim17ROCPRIM_400000_NS6detail17trampoline_kernelINS0_14default_configENS1_20scan_config_selectorIlEEZZNS1_9scan_implILNS1_25lookback_scan_determinismE0ELb0ELb0ES3_PlS8_lN6thrust23THRUST_200600_302600_NS4plusIvEElEEDaPvRmT3_T4_T5_mT6_P12ihipStream_tbENKUlT_T0_E_clISt17integral_constantIbLb1EESQ_EEDaSL_SM_EUlSL_E_NS1_11comp_targetILNS1_3genE4ELNS1_11target_archE910ELNS1_3gpuE8ELNS1_3repE0EEENS1_30default_config_static_selectorELNS0_4arch9wavefront6targetE0EEEvT1_
	.globl	_ZN7rocprim17ROCPRIM_400000_NS6detail17trampoline_kernelINS0_14default_configENS1_20scan_config_selectorIlEEZZNS1_9scan_implILNS1_25lookback_scan_determinismE0ELb0ELb0ES3_PlS8_lN6thrust23THRUST_200600_302600_NS4plusIvEElEEDaPvRmT3_T4_T5_mT6_P12ihipStream_tbENKUlT_T0_E_clISt17integral_constantIbLb1EESQ_EEDaSL_SM_EUlSL_E_NS1_11comp_targetILNS1_3genE4ELNS1_11target_archE910ELNS1_3gpuE8ELNS1_3repE0EEENS1_30default_config_static_selectorELNS0_4arch9wavefront6targetE0EEEvT1_
	.p2align	8
	.type	_ZN7rocprim17ROCPRIM_400000_NS6detail17trampoline_kernelINS0_14default_configENS1_20scan_config_selectorIlEEZZNS1_9scan_implILNS1_25lookback_scan_determinismE0ELb0ELb0ES3_PlS8_lN6thrust23THRUST_200600_302600_NS4plusIvEElEEDaPvRmT3_T4_T5_mT6_P12ihipStream_tbENKUlT_T0_E_clISt17integral_constantIbLb1EESQ_EEDaSL_SM_EUlSL_E_NS1_11comp_targetILNS1_3genE4ELNS1_11target_archE910ELNS1_3gpuE8ELNS1_3repE0EEENS1_30default_config_static_selectorELNS0_4arch9wavefront6targetE0EEEvT1_,@function
_ZN7rocprim17ROCPRIM_400000_NS6detail17trampoline_kernelINS0_14default_configENS1_20scan_config_selectorIlEEZZNS1_9scan_implILNS1_25lookback_scan_determinismE0ELb0ELb0ES3_PlS8_lN6thrust23THRUST_200600_302600_NS4plusIvEElEEDaPvRmT3_T4_T5_mT6_P12ihipStream_tbENKUlT_T0_E_clISt17integral_constantIbLb1EESQ_EEDaSL_SM_EUlSL_E_NS1_11comp_targetILNS1_3genE4ELNS1_11target_archE910ELNS1_3gpuE8ELNS1_3repE0EEENS1_30default_config_static_selectorELNS0_4arch9wavefront6targetE0EEEvT1_: ; @_ZN7rocprim17ROCPRIM_400000_NS6detail17trampoline_kernelINS0_14default_configENS1_20scan_config_selectorIlEEZZNS1_9scan_implILNS1_25lookback_scan_determinismE0ELb0ELb0ES3_PlS8_lN6thrust23THRUST_200600_302600_NS4plusIvEElEEDaPvRmT3_T4_T5_mT6_P12ihipStream_tbENKUlT_T0_E_clISt17integral_constantIbLb1EESQ_EEDaSL_SM_EUlSL_E_NS1_11comp_targetILNS1_3genE4ELNS1_11target_archE910ELNS1_3gpuE8ELNS1_3repE0EEENS1_30default_config_static_selectorELNS0_4arch9wavefront6targetE0EEEvT1_
; %bb.0:
	.section	.rodata,"a",@progbits
	.p2align	6, 0x0
	.amdhsa_kernel _ZN7rocprim17ROCPRIM_400000_NS6detail17trampoline_kernelINS0_14default_configENS1_20scan_config_selectorIlEEZZNS1_9scan_implILNS1_25lookback_scan_determinismE0ELb0ELb0ES3_PlS8_lN6thrust23THRUST_200600_302600_NS4plusIvEElEEDaPvRmT3_T4_T5_mT6_P12ihipStream_tbENKUlT_T0_E_clISt17integral_constantIbLb1EESQ_EEDaSL_SM_EUlSL_E_NS1_11comp_targetILNS1_3genE4ELNS1_11target_archE910ELNS1_3gpuE8ELNS1_3repE0EEENS1_30default_config_static_selectorELNS0_4arch9wavefront6targetE0EEEvT1_
		.amdhsa_group_segment_fixed_size 0
		.amdhsa_private_segment_fixed_size 0
		.amdhsa_kernarg_size 104
		.amdhsa_user_sgpr_count 2
		.amdhsa_user_sgpr_dispatch_ptr 0
		.amdhsa_user_sgpr_queue_ptr 0
		.amdhsa_user_sgpr_kernarg_segment_ptr 1
		.amdhsa_user_sgpr_dispatch_id 0
		.amdhsa_user_sgpr_kernarg_preload_length 0
		.amdhsa_user_sgpr_kernarg_preload_offset 0
		.amdhsa_user_sgpr_private_segment_size 0
		.amdhsa_wavefront_size32 1
		.amdhsa_uses_dynamic_stack 0
		.amdhsa_enable_private_segment 0
		.amdhsa_system_sgpr_workgroup_id_x 1
		.amdhsa_system_sgpr_workgroup_id_y 0
		.amdhsa_system_sgpr_workgroup_id_z 0
		.amdhsa_system_sgpr_workgroup_info 0
		.amdhsa_system_vgpr_workitem_id 0
		.amdhsa_next_free_vgpr 1
		.amdhsa_next_free_sgpr 1
		.amdhsa_named_barrier_count 0
		.amdhsa_reserve_vcc 0
		.amdhsa_float_round_mode_32 0
		.amdhsa_float_round_mode_16_64 0
		.amdhsa_float_denorm_mode_32 3
		.amdhsa_float_denorm_mode_16_64 3
		.amdhsa_fp16_overflow 0
		.amdhsa_memory_ordered 1
		.amdhsa_forward_progress 1
		.amdhsa_inst_pref_size 0
		.amdhsa_round_robin_scheduling 0
		.amdhsa_exception_fp_ieee_invalid_op 0
		.amdhsa_exception_fp_denorm_src 0
		.amdhsa_exception_fp_ieee_div_zero 0
		.amdhsa_exception_fp_ieee_overflow 0
		.amdhsa_exception_fp_ieee_underflow 0
		.amdhsa_exception_fp_ieee_inexact 0
		.amdhsa_exception_int_div_zero 0
	.end_amdhsa_kernel
	.section	.text._ZN7rocprim17ROCPRIM_400000_NS6detail17trampoline_kernelINS0_14default_configENS1_20scan_config_selectorIlEEZZNS1_9scan_implILNS1_25lookback_scan_determinismE0ELb0ELb0ES3_PlS8_lN6thrust23THRUST_200600_302600_NS4plusIvEElEEDaPvRmT3_T4_T5_mT6_P12ihipStream_tbENKUlT_T0_E_clISt17integral_constantIbLb1EESQ_EEDaSL_SM_EUlSL_E_NS1_11comp_targetILNS1_3genE4ELNS1_11target_archE910ELNS1_3gpuE8ELNS1_3repE0EEENS1_30default_config_static_selectorELNS0_4arch9wavefront6targetE0EEEvT1_,"axG",@progbits,_ZN7rocprim17ROCPRIM_400000_NS6detail17trampoline_kernelINS0_14default_configENS1_20scan_config_selectorIlEEZZNS1_9scan_implILNS1_25lookback_scan_determinismE0ELb0ELb0ES3_PlS8_lN6thrust23THRUST_200600_302600_NS4plusIvEElEEDaPvRmT3_T4_T5_mT6_P12ihipStream_tbENKUlT_T0_E_clISt17integral_constantIbLb1EESQ_EEDaSL_SM_EUlSL_E_NS1_11comp_targetILNS1_3genE4ELNS1_11target_archE910ELNS1_3gpuE8ELNS1_3repE0EEENS1_30default_config_static_selectorELNS0_4arch9wavefront6targetE0EEEvT1_,comdat
.Lfunc_end105:
	.size	_ZN7rocprim17ROCPRIM_400000_NS6detail17trampoline_kernelINS0_14default_configENS1_20scan_config_selectorIlEEZZNS1_9scan_implILNS1_25lookback_scan_determinismE0ELb0ELb0ES3_PlS8_lN6thrust23THRUST_200600_302600_NS4plusIvEElEEDaPvRmT3_T4_T5_mT6_P12ihipStream_tbENKUlT_T0_E_clISt17integral_constantIbLb1EESQ_EEDaSL_SM_EUlSL_E_NS1_11comp_targetILNS1_3genE4ELNS1_11target_archE910ELNS1_3gpuE8ELNS1_3repE0EEENS1_30default_config_static_selectorELNS0_4arch9wavefront6targetE0EEEvT1_, .Lfunc_end105-_ZN7rocprim17ROCPRIM_400000_NS6detail17trampoline_kernelINS0_14default_configENS1_20scan_config_selectorIlEEZZNS1_9scan_implILNS1_25lookback_scan_determinismE0ELb0ELb0ES3_PlS8_lN6thrust23THRUST_200600_302600_NS4plusIvEElEEDaPvRmT3_T4_T5_mT6_P12ihipStream_tbENKUlT_T0_E_clISt17integral_constantIbLb1EESQ_EEDaSL_SM_EUlSL_E_NS1_11comp_targetILNS1_3genE4ELNS1_11target_archE910ELNS1_3gpuE8ELNS1_3repE0EEENS1_30default_config_static_selectorELNS0_4arch9wavefront6targetE0EEEvT1_
                                        ; -- End function
	.set _ZN7rocprim17ROCPRIM_400000_NS6detail17trampoline_kernelINS0_14default_configENS1_20scan_config_selectorIlEEZZNS1_9scan_implILNS1_25lookback_scan_determinismE0ELb0ELb0ES3_PlS8_lN6thrust23THRUST_200600_302600_NS4plusIvEElEEDaPvRmT3_T4_T5_mT6_P12ihipStream_tbENKUlT_T0_E_clISt17integral_constantIbLb1EESQ_EEDaSL_SM_EUlSL_E_NS1_11comp_targetILNS1_3genE4ELNS1_11target_archE910ELNS1_3gpuE8ELNS1_3repE0EEENS1_30default_config_static_selectorELNS0_4arch9wavefront6targetE0EEEvT1_.num_vgpr, 0
	.set _ZN7rocprim17ROCPRIM_400000_NS6detail17trampoline_kernelINS0_14default_configENS1_20scan_config_selectorIlEEZZNS1_9scan_implILNS1_25lookback_scan_determinismE0ELb0ELb0ES3_PlS8_lN6thrust23THRUST_200600_302600_NS4plusIvEElEEDaPvRmT3_T4_T5_mT6_P12ihipStream_tbENKUlT_T0_E_clISt17integral_constantIbLb1EESQ_EEDaSL_SM_EUlSL_E_NS1_11comp_targetILNS1_3genE4ELNS1_11target_archE910ELNS1_3gpuE8ELNS1_3repE0EEENS1_30default_config_static_selectorELNS0_4arch9wavefront6targetE0EEEvT1_.num_agpr, 0
	.set _ZN7rocprim17ROCPRIM_400000_NS6detail17trampoline_kernelINS0_14default_configENS1_20scan_config_selectorIlEEZZNS1_9scan_implILNS1_25lookback_scan_determinismE0ELb0ELb0ES3_PlS8_lN6thrust23THRUST_200600_302600_NS4plusIvEElEEDaPvRmT3_T4_T5_mT6_P12ihipStream_tbENKUlT_T0_E_clISt17integral_constantIbLb1EESQ_EEDaSL_SM_EUlSL_E_NS1_11comp_targetILNS1_3genE4ELNS1_11target_archE910ELNS1_3gpuE8ELNS1_3repE0EEENS1_30default_config_static_selectorELNS0_4arch9wavefront6targetE0EEEvT1_.numbered_sgpr, 0
	.set _ZN7rocprim17ROCPRIM_400000_NS6detail17trampoline_kernelINS0_14default_configENS1_20scan_config_selectorIlEEZZNS1_9scan_implILNS1_25lookback_scan_determinismE0ELb0ELb0ES3_PlS8_lN6thrust23THRUST_200600_302600_NS4plusIvEElEEDaPvRmT3_T4_T5_mT6_P12ihipStream_tbENKUlT_T0_E_clISt17integral_constantIbLb1EESQ_EEDaSL_SM_EUlSL_E_NS1_11comp_targetILNS1_3genE4ELNS1_11target_archE910ELNS1_3gpuE8ELNS1_3repE0EEENS1_30default_config_static_selectorELNS0_4arch9wavefront6targetE0EEEvT1_.num_named_barrier, 0
	.set _ZN7rocprim17ROCPRIM_400000_NS6detail17trampoline_kernelINS0_14default_configENS1_20scan_config_selectorIlEEZZNS1_9scan_implILNS1_25lookback_scan_determinismE0ELb0ELb0ES3_PlS8_lN6thrust23THRUST_200600_302600_NS4plusIvEElEEDaPvRmT3_T4_T5_mT6_P12ihipStream_tbENKUlT_T0_E_clISt17integral_constantIbLb1EESQ_EEDaSL_SM_EUlSL_E_NS1_11comp_targetILNS1_3genE4ELNS1_11target_archE910ELNS1_3gpuE8ELNS1_3repE0EEENS1_30default_config_static_selectorELNS0_4arch9wavefront6targetE0EEEvT1_.private_seg_size, 0
	.set _ZN7rocprim17ROCPRIM_400000_NS6detail17trampoline_kernelINS0_14default_configENS1_20scan_config_selectorIlEEZZNS1_9scan_implILNS1_25lookback_scan_determinismE0ELb0ELb0ES3_PlS8_lN6thrust23THRUST_200600_302600_NS4plusIvEElEEDaPvRmT3_T4_T5_mT6_P12ihipStream_tbENKUlT_T0_E_clISt17integral_constantIbLb1EESQ_EEDaSL_SM_EUlSL_E_NS1_11comp_targetILNS1_3genE4ELNS1_11target_archE910ELNS1_3gpuE8ELNS1_3repE0EEENS1_30default_config_static_selectorELNS0_4arch9wavefront6targetE0EEEvT1_.uses_vcc, 0
	.set _ZN7rocprim17ROCPRIM_400000_NS6detail17trampoline_kernelINS0_14default_configENS1_20scan_config_selectorIlEEZZNS1_9scan_implILNS1_25lookback_scan_determinismE0ELb0ELb0ES3_PlS8_lN6thrust23THRUST_200600_302600_NS4plusIvEElEEDaPvRmT3_T4_T5_mT6_P12ihipStream_tbENKUlT_T0_E_clISt17integral_constantIbLb1EESQ_EEDaSL_SM_EUlSL_E_NS1_11comp_targetILNS1_3genE4ELNS1_11target_archE910ELNS1_3gpuE8ELNS1_3repE0EEENS1_30default_config_static_selectorELNS0_4arch9wavefront6targetE0EEEvT1_.uses_flat_scratch, 0
	.set _ZN7rocprim17ROCPRIM_400000_NS6detail17trampoline_kernelINS0_14default_configENS1_20scan_config_selectorIlEEZZNS1_9scan_implILNS1_25lookback_scan_determinismE0ELb0ELb0ES3_PlS8_lN6thrust23THRUST_200600_302600_NS4plusIvEElEEDaPvRmT3_T4_T5_mT6_P12ihipStream_tbENKUlT_T0_E_clISt17integral_constantIbLb1EESQ_EEDaSL_SM_EUlSL_E_NS1_11comp_targetILNS1_3genE4ELNS1_11target_archE910ELNS1_3gpuE8ELNS1_3repE0EEENS1_30default_config_static_selectorELNS0_4arch9wavefront6targetE0EEEvT1_.has_dyn_sized_stack, 0
	.set _ZN7rocprim17ROCPRIM_400000_NS6detail17trampoline_kernelINS0_14default_configENS1_20scan_config_selectorIlEEZZNS1_9scan_implILNS1_25lookback_scan_determinismE0ELb0ELb0ES3_PlS8_lN6thrust23THRUST_200600_302600_NS4plusIvEElEEDaPvRmT3_T4_T5_mT6_P12ihipStream_tbENKUlT_T0_E_clISt17integral_constantIbLb1EESQ_EEDaSL_SM_EUlSL_E_NS1_11comp_targetILNS1_3genE4ELNS1_11target_archE910ELNS1_3gpuE8ELNS1_3repE0EEENS1_30default_config_static_selectorELNS0_4arch9wavefront6targetE0EEEvT1_.has_recursion, 0
	.set _ZN7rocprim17ROCPRIM_400000_NS6detail17trampoline_kernelINS0_14default_configENS1_20scan_config_selectorIlEEZZNS1_9scan_implILNS1_25lookback_scan_determinismE0ELb0ELb0ES3_PlS8_lN6thrust23THRUST_200600_302600_NS4plusIvEElEEDaPvRmT3_T4_T5_mT6_P12ihipStream_tbENKUlT_T0_E_clISt17integral_constantIbLb1EESQ_EEDaSL_SM_EUlSL_E_NS1_11comp_targetILNS1_3genE4ELNS1_11target_archE910ELNS1_3gpuE8ELNS1_3repE0EEENS1_30default_config_static_selectorELNS0_4arch9wavefront6targetE0EEEvT1_.has_indirect_call, 0
	.section	.AMDGPU.csdata,"",@progbits
; Kernel info:
; codeLenInByte = 0
; TotalNumSgprs: 0
; NumVgprs: 0
; ScratchSize: 0
; MemoryBound: 0
; FloatMode: 240
; IeeeMode: 1
; LDSByteSize: 0 bytes/workgroup (compile time only)
; SGPRBlocks: 0
; VGPRBlocks: 0
; NumSGPRsForWavesPerEU: 1
; NumVGPRsForWavesPerEU: 1
; NamedBarCnt: 0
; Occupancy: 16
; WaveLimiterHint : 0
; COMPUTE_PGM_RSRC2:SCRATCH_EN: 0
; COMPUTE_PGM_RSRC2:USER_SGPR: 2
; COMPUTE_PGM_RSRC2:TRAP_HANDLER: 0
; COMPUTE_PGM_RSRC2:TGID_X_EN: 1
; COMPUTE_PGM_RSRC2:TGID_Y_EN: 0
; COMPUTE_PGM_RSRC2:TGID_Z_EN: 0
; COMPUTE_PGM_RSRC2:TIDIG_COMP_CNT: 0
	.section	.text._ZN7rocprim17ROCPRIM_400000_NS6detail17trampoline_kernelINS0_14default_configENS1_20scan_config_selectorIlEEZZNS1_9scan_implILNS1_25lookback_scan_determinismE0ELb0ELb0ES3_PlS8_lN6thrust23THRUST_200600_302600_NS4plusIvEElEEDaPvRmT3_T4_T5_mT6_P12ihipStream_tbENKUlT_T0_E_clISt17integral_constantIbLb1EESQ_EEDaSL_SM_EUlSL_E_NS1_11comp_targetILNS1_3genE3ELNS1_11target_archE908ELNS1_3gpuE7ELNS1_3repE0EEENS1_30default_config_static_selectorELNS0_4arch9wavefront6targetE0EEEvT1_,"axG",@progbits,_ZN7rocprim17ROCPRIM_400000_NS6detail17trampoline_kernelINS0_14default_configENS1_20scan_config_selectorIlEEZZNS1_9scan_implILNS1_25lookback_scan_determinismE0ELb0ELb0ES3_PlS8_lN6thrust23THRUST_200600_302600_NS4plusIvEElEEDaPvRmT3_T4_T5_mT6_P12ihipStream_tbENKUlT_T0_E_clISt17integral_constantIbLb1EESQ_EEDaSL_SM_EUlSL_E_NS1_11comp_targetILNS1_3genE3ELNS1_11target_archE908ELNS1_3gpuE7ELNS1_3repE0EEENS1_30default_config_static_selectorELNS0_4arch9wavefront6targetE0EEEvT1_,comdat
	.protected	_ZN7rocprim17ROCPRIM_400000_NS6detail17trampoline_kernelINS0_14default_configENS1_20scan_config_selectorIlEEZZNS1_9scan_implILNS1_25lookback_scan_determinismE0ELb0ELb0ES3_PlS8_lN6thrust23THRUST_200600_302600_NS4plusIvEElEEDaPvRmT3_T4_T5_mT6_P12ihipStream_tbENKUlT_T0_E_clISt17integral_constantIbLb1EESQ_EEDaSL_SM_EUlSL_E_NS1_11comp_targetILNS1_3genE3ELNS1_11target_archE908ELNS1_3gpuE7ELNS1_3repE0EEENS1_30default_config_static_selectorELNS0_4arch9wavefront6targetE0EEEvT1_ ; -- Begin function _ZN7rocprim17ROCPRIM_400000_NS6detail17trampoline_kernelINS0_14default_configENS1_20scan_config_selectorIlEEZZNS1_9scan_implILNS1_25lookback_scan_determinismE0ELb0ELb0ES3_PlS8_lN6thrust23THRUST_200600_302600_NS4plusIvEElEEDaPvRmT3_T4_T5_mT6_P12ihipStream_tbENKUlT_T0_E_clISt17integral_constantIbLb1EESQ_EEDaSL_SM_EUlSL_E_NS1_11comp_targetILNS1_3genE3ELNS1_11target_archE908ELNS1_3gpuE7ELNS1_3repE0EEENS1_30default_config_static_selectorELNS0_4arch9wavefront6targetE0EEEvT1_
	.globl	_ZN7rocprim17ROCPRIM_400000_NS6detail17trampoline_kernelINS0_14default_configENS1_20scan_config_selectorIlEEZZNS1_9scan_implILNS1_25lookback_scan_determinismE0ELb0ELb0ES3_PlS8_lN6thrust23THRUST_200600_302600_NS4plusIvEElEEDaPvRmT3_T4_T5_mT6_P12ihipStream_tbENKUlT_T0_E_clISt17integral_constantIbLb1EESQ_EEDaSL_SM_EUlSL_E_NS1_11comp_targetILNS1_3genE3ELNS1_11target_archE908ELNS1_3gpuE7ELNS1_3repE0EEENS1_30default_config_static_selectorELNS0_4arch9wavefront6targetE0EEEvT1_
	.p2align	8
	.type	_ZN7rocprim17ROCPRIM_400000_NS6detail17trampoline_kernelINS0_14default_configENS1_20scan_config_selectorIlEEZZNS1_9scan_implILNS1_25lookback_scan_determinismE0ELb0ELb0ES3_PlS8_lN6thrust23THRUST_200600_302600_NS4plusIvEElEEDaPvRmT3_T4_T5_mT6_P12ihipStream_tbENKUlT_T0_E_clISt17integral_constantIbLb1EESQ_EEDaSL_SM_EUlSL_E_NS1_11comp_targetILNS1_3genE3ELNS1_11target_archE908ELNS1_3gpuE7ELNS1_3repE0EEENS1_30default_config_static_selectorELNS0_4arch9wavefront6targetE0EEEvT1_,@function
_ZN7rocprim17ROCPRIM_400000_NS6detail17trampoline_kernelINS0_14default_configENS1_20scan_config_selectorIlEEZZNS1_9scan_implILNS1_25lookback_scan_determinismE0ELb0ELb0ES3_PlS8_lN6thrust23THRUST_200600_302600_NS4plusIvEElEEDaPvRmT3_T4_T5_mT6_P12ihipStream_tbENKUlT_T0_E_clISt17integral_constantIbLb1EESQ_EEDaSL_SM_EUlSL_E_NS1_11comp_targetILNS1_3genE3ELNS1_11target_archE908ELNS1_3gpuE7ELNS1_3repE0EEENS1_30default_config_static_selectorELNS0_4arch9wavefront6targetE0EEEvT1_: ; @_ZN7rocprim17ROCPRIM_400000_NS6detail17trampoline_kernelINS0_14default_configENS1_20scan_config_selectorIlEEZZNS1_9scan_implILNS1_25lookback_scan_determinismE0ELb0ELb0ES3_PlS8_lN6thrust23THRUST_200600_302600_NS4plusIvEElEEDaPvRmT3_T4_T5_mT6_P12ihipStream_tbENKUlT_T0_E_clISt17integral_constantIbLb1EESQ_EEDaSL_SM_EUlSL_E_NS1_11comp_targetILNS1_3genE3ELNS1_11target_archE908ELNS1_3gpuE7ELNS1_3repE0EEENS1_30default_config_static_selectorELNS0_4arch9wavefront6targetE0EEEvT1_
; %bb.0:
	.section	.rodata,"a",@progbits
	.p2align	6, 0x0
	.amdhsa_kernel _ZN7rocprim17ROCPRIM_400000_NS6detail17trampoline_kernelINS0_14default_configENS1_20scan_config_selectorIlEEZZNS1_9scan_implILNS1_25lookback_scan_determinismE0ELb0ELb0ES3_PlS8_lN6thrust23THRUST_200600_302600_NS4plusIvEElEEDaPvRmT3_T4_T5_mT6_P12ihipStream_tbENKUlT_T0_E_clISt17integral_constantIbLb1EESQ_EEDaSL_SM_EUlSL_E_NS1_11comp_targetILNS1_3genE3ELNS1_11target_archE908ELNS1_3gpuE7ELNS1_3repE0EEENS1_30default_config_static_selectorELNS0_4arch9wavefront6targetE0EEEvT1_
		.amdhsa_group_segment_fixed_size 0
		.amdhsa_private_segment_fixed_size 0
		.amdhsa_kernarg_size 104
		.amdhsa_user_sgpr_count 2
		.amdhsa_user_sgpr_dispatch_ptr 0
		.amdhsa_user_sgpr_queue_ptr 0
		.amdhsa_user_sgpr_kernarg_segment_ptr 1
		.amdhsa_user_sgpr_dispatch_id 0
		.amdhsa_user_sgpr_kernarg_preload_length 0
		.amdhsa_user_sgpr_kernarg_preload_offset 0
		.amdhsa_user_sgpr_private_segment_size 0
		.amdhsa_wavefront_size32 1
		.amdhsa_uses_dynamic_stack 0
		.amdhsa_enable_private_segment 0
		.amdhsa_system_sgpr_workgroup_id_x 1
		.amdhsa_system_sgpr_workgroup_id_y 0
		.amdhsa_system_sgpr_workgroup_id_z 0
		.amdhsa_system_sgpr_workgroup_info 0
		.amdhsa_system_vgpr_workitem_id 0
		.amdhsa_next_free_vgpr 1
		.amdhsa_next_free_sgpr 1
		.amdhsa_named_barrier_count 0
		.amdhsa_reserve_vcc 0
		.amdhsa_float_round_mode_32 0
		.amdhsa_float_round_mode_16_64 0
		.amdhsa_float_denorm_mode_32 3
		.amdhsa_float_denorm_mode_16_64 3
		.amdhsa_fp16_overflow 0
		.amdhsa_memory_ordered 1
		.amdhsa_forward_progress 1
		.amdhsa_inst_pref_size 0
		.amdhsa_round_robin_scheduling 0
		.amdhsa_exception_fp_ieee_invalid_op 0
		.amdhsa_exception_fp_denorm_src 0
		.amdhsa_exception_fp_ieee_div_zero 0
		.amdhsa_exception_fp_ieee_overflow 0
		.amdhsa_exception_fp_ieee_underflow 0
		.amdhsa_exception_fp_ieee_inexact 0
		.amdhsa_exception_int_div_zero 0
	.end_amdhsa_kernel
	.section	.text._ZN7rocprim17ROCPRIM_400000_NS6detail17trampoline_kernelINS0_14default_configENS1_20scan_config_selectorIlEEZZNS1_9scan_implILNS1_25lookback_scan_determinismE0ELb0ELb0ES3_PlS8_lN6thrust23THRUST_200600_302600_NS4plusIvEElEEDaPvRmT3_T4_T5_mT6_P12ihipStream_tbENKUlT_T0_E_clISt17integral_constantIbLb1EESQ_EEDaSL_SM_EUlSL_E_NS1_11comp_targetILNS1_3genE3ELNS1_11target_archE908ELNS1_3gpuE7ELNS1_3repE0EEENS1_30default_config_static_selectorELNS0_4arch9wavefront6targetE0EEEvT1_,"axG",@progbits,_ZN7rocprim17ROCPRIM_400000_NS6detail17trampoline_kernelINS0_14default_configENS1_20scan_config_selectorIlEEZZNS1_9scan_implILNS1_25lookback_scan_determinismE0ELb0ELb0ES3_PlS8_lN6thrust23THRUST_200600_302600_NS4plusIvEElEEDaPvRmT3_T4_T5_mT6_P12ihipStream_tbENKUlT_T0_E_clISt17integral_constantIbLb1EESQ_EEDaSL_SM_EUlSL_E_NS1_11comp_targetILNS1_3genE3ELNS1_11target_archE908ELNS1_3gpuE7ELNS1_3repE0EEENS1_30default_config_static_selectorELNS0_4arch9wavefront6targetE0EEEvT1_,comdat
.Lfunc_end106:
	.size	_ZN7rocprim17ROCPRIM_400000_NS6detail17trampoline_kernelINS0_14default_configENS1_20scan_config_selectorIlEEZZNS1_9scan_implILNS1_25lookback_scan_determinismE0ELb0ELb0ES3_PlS8_lN6thrust23THRUST_200600_302600_NS4plusIvEElEEDaPvRmT3_T4_T5_mT6_P12ihipStream_tbENKUlT_T0_E_clISt17integral_constantIbLb1EESQ_EEDaSL_SM_EUlSL_E_NS1_11comp_targetILNS1_3genE3ELNS1_11target_archE908ELNS1_3gpuE7ELNS1_3repE0EEENS1_30default_config_static_selectorELNS0_4arch9wavefront6targetE0EEEvT1_, .Lfunc_end106-_ZN7rocprim17ROCPRIM_400000_NS6detail17trampoline_kernelINS0_14default_configENS1_20scan_config_selectorIlEEZZNS1_9scan_implILNS1_25lookback_scan_determinismE0ELb0ELb0ES3_PlS8_lN6thrust23THRUST_200600_302600_NS4plusIvEElEEDaPvRmT3_T4_T5_mT6_P12ihipStream_tbENKUlT_T0_E_clISt17integral_constantIbLb1EESQ_EEDaSL_SM_EUlSL_E_NS1_11comp_targetILNS1_3genE3ELNS1_11target_archE908ELNS1_3gpuE7ELNS1_3repE0EEENS1_30default_config_static_selectorELNS0_4arch9wavefront6targetE0EEEvT1_
                                        ; -- End function
	.set _ZN7rocprim17ROCPRIM_400000_NS6detail17trampoline_kernelINS0_14default_configENS1_20scan_config_selectorIlEEZZNS1_9scan_implILNS1_25lookback_scan_determinismE0ELb0ELb0ES3_PlS8_lN6thrust23THRUST_200600_302600_NS4plusIvEElEEDaPvRmT3_T4_T5_mT6_P12ihipStream_tbENKUlT_T0_E_clISt17integral_constantIbLb1EESQ_EEDaSL_SM_EUlSL_E_NS1_11comp_targetILNS1_3genE3ELNS1_11target_archE908ELNS1_3gpuE7ELNS1_3repE0EEENS1_30default_config_static_selectorELNS0_4arch9wavefront6targetE0EEEvT1_.num_vgpr, 0
	.set _ZN7rocprim17ROCPRIM_400000_NS6detail17trampoline_kernelINS0_14default_configENS1_20scan_config_selectorIlEEZZNS1_9scan_implILNS1_25lookback_scan_determinismE0ELb0ELb0ES3_PlS8_lN6thrust23THRUST_200600_302600_NS4plusIvEElEEDaPvRmT3_T4_T5_mT6_P12ihipStream_tbENKUlT_T0_E_clISt17integral_constantIbLb1EESQ_EEDaSL_SM_EUlSL_E_NS1_11comp_targetILNS1_3genE3ELNS1_11target_archE908ELNS1_3gpuE7ELNS1_3repE0EEENS1_30default_config_static_selectorELNS0_4arch9wavefront6targetE0EEEvT1_.num_agpr, 0
	.set _ZN7rocprim17ROCPRIM_400000_NS6detail17trampoline_kernelINS0_14default_configENS1_20scan_config_selectorIlEEZZNS1_9scan_implILNS1_25lookback_scan_determinismE0ELb0ELb0ES3_PlS8_lN6thrust23THRUST_200600_302600_NS4plusIvEElEEDaPvRmT3_T4_T5_mT6_P12ihipStream_tbENKUlT_T0_E_clISt17integral_constantIbLb1EESQ_EEDaSL_SM_EUlSL_E_NS1_11comp_targetILNS1_3genE3ELNS1_11target_archE908ELNS1_3gpuE7ELNS1_3repE0EEENS1_30default_config_static_selectorELNS0_4arch9wavefront6targetE0EEEvT1_.numbered_sgpr, 0
	.set _ZN7rocprim17ROCPRIM_400000_NS6detail17trampoline_kernelINS0_14default_configENS1_20scan_config_selectorIlEEZZNS1_9scan_implILNS1_25lookback_scan_determinismE0ELb0ELb0ES3_PlS8_lN6thrust23THRUST_200600_302600_NS4plusIvEElEEDaPvRmT3_T4_T5_mT6_P12ihipStream_tbENKUlT_T0_E_clISt17integral_constantIbLb1EESQ_EEDaSL_SM_EUlSL_E_NS1_11comp_targetILNS1_3genE3ELNS1_11target_archE908ELNS1_3gpuE7ELNS1_3repE0EEENS1_30default_config_static_selectorELNS0_4arch9wavefront6targetE0EEEvT1_.num_named_barrier, 0
	.set _ZN7rocprim17ROCPRIM_400000_NS6detail17trampoline_kernelINS0_14default_configENS1_20scan_config_selectorIlEEZZNS1_9scan_implILNS1_25lookback_scan_determinismE0ELb0ELb0ES3_PlS8_lN6thrust23THRUST_200600_302600_NS4plusIvEElEEDaPvRmT3_T4_T5_mT6_P12ihipStream_tbENKUlT_T0_E_clISt17integral_constantIbLb1EESQ_EEDaSL_SM_EUlSL_E_NS1_11comp_targetILNS1_3genE3ELNS1_11target_archE908ELNS1_3gpuE7ELNS1_3repE0EEENS1_30default_config_static_selectorELNS0_4arch9wavefront6targetE0EEEvT1_.private_seg_size, 0
	.set _ZN7rocprim17ROCPRIM_400000_NS6detail17trampoline_kernelINS0_14default_configENS1_20scan_config_selectorIlEEZZNS1_9scan_implILNS1_25lookback_scan_determinismE0ELb0ELb0ES3_PlS8_lN6thrust23THRUST_200600_302600_NS4plusIvEElEEDaPvRmT3_T4_T5_mT6_P12ihipStream_tbENKUlT_T0_E_clISt17integral_constantIbLb1EESQ_EEDaSL_SM_EUlSL_E_NS1_11comp_targetILNS1_3genE3ELNS1_11target_archE908ELNS1_3gpuE7ELNS1_3repE0EEENS1_30default_config_static_selectorELNS0_4arch9wavefront6targetE0EEEvT1_.uses_vcc, 0
	.set _ZN7rocprim17ROCPRIM_400000_NS6detail17trampoline_kernelINS0_14default_configENS1_20scan_config_selectorIlEEZZNS1_9scan_implILNS1_25lookback_scan_determinismE0ELb0ELb0ES3_PlS8_lN6thrust23THRUST_200600_302600_NS4plusIvEElEEDaPvRmT3_T4_T5_mT6_P12ihipStream_tbENKUlT_T0_E_clISt17integral_constantIbLb1EESQ_EEDaSL_SM_EUlSL_E_NS1_11comp_targetILNS1_3genE3ELNS1_11target_archE908ELNS1_3gpuE7ELNS1_3repE0EEENS1_30default_config_static_selectorELNS0_4arch9wavefront6targetE0EEEvT1_.uses_flat_scratch, 0
	.set _ZN7rocprim17ROCPRIM_400000_NS6detail17trampoline_kernelINS0_14default_configENS1_20scan_config_selectorIlEEZZNS1_9scan_implILNS1_25lookback_scan_determinismE0ELb0ELb0ES3_PlS8_lN6thrust23THRUST_200600_302600_NS4plusIvEElEEDaPvRmT3_T4_T5_mT6_P12ihipStream_tbENKUlT_T0_E_clISt17integral_constantIbLb1EESQ_EEDaSL_SM_EUlSL_E_NS1_11comp_targetILNS1_3genE3ELNS1_11target_archE908ELNS1_3gpuE7ELNS1_3repE0EEENS1_30default_config_static_selectorELNS0_4arch9wavefront6targetE0EEEvT1_.has_dyn_sized_stack, 0
	.set _ZN7rocprim17ROCPRIM_400000_NS6detail17trampoline_kernelINS0_14default_configENS1_20scan_config_selectorIlEEZZNS1_9scan_implILNS1_25lookback_scan_determinismE0ELb0ELb0ES3_PlS8_lN6thrust23THRUST_200600_302600_NS4plusIvEElEEDaPvRmT3_T4_T5_mT6_P12ihipStream_tbENKUlT_T0_E_clISt17integral_constantIbLb1EESQ_EEDaSL_SM_EUlSL_E_NS1_11comp_targetILNS1_3genE3ELNS1_11target_archE908ELNS1_3gpuE7ELNS1_3repE0EEENS1_30default_config_static_selectorELNS0_4arch9wavefront6targetE0EEEvT1_.has_recursion, 0
	.set _ZN7rocprim17ROCPRIM_400000_NS6detail17trampoline_kernelINS0_14default_configENS1_20scan_config_selectorIlEEZZNS1_9scan_implILNS1_25lookback_scan_determinismE0ELb0ELb0ES3_PlS8_lN6thrust23THRUST_200600_302600_NS4plusIvEElEEDaPvRmT3_T4_T5_mT6_P12ihipStream_tbENKUlT_T0_E_clISt17integral_constantIbLb1EESQ_EEDaSL_SM_EUlSL_E_NS1_11comp_targetILNS1_3genE3ELNS1_11target_archE908ELNS1_3gpuE7ELNS1_3repE0EEENS1_30default_config_static_selectorELNS0_4arch9wavefront6targetE0EEEvT1_.has_indirect_call, 0
	.section	.AMDGPU.csdata,"",@progbits
; Kernel info:
; codeLenInByte = 0
; TotalNumSgprs: 0
; NumVgprs: 0
; ScratchSize: 0
; MemoryBound: 0
; FloatMode: 240
; IeeeMode: 1
; LDSByteSize: 0 bytes/workgroup (compile time only)
; SGPRBlocks: 0
; VGPRBlocks: 0
; NumSGPRsForWavesPerEU: 1
; NumVGPRsForWavesPerEU: 1
; NamedBarCnt: 0
; Occupancy: 16
; WaveLimiterHint : 0
; COMPUTE_PGM_RSRC2:SCRATCH_EN: 0
; COMPUTE_PGM_RSRC2:USER_SGPR: 2
; COMPUTE_PGM_RSRC2:TRAP_HANDLER: 0
; COMPUTE_PGM_RSRC2:TGID_X_EN: 1
; COMPUTE_PGM_RSRC2:TGID_Y_EN: 0
; COMPUTE_PGM_RSRC2:TGID_Z_EN: 0
; COMPUTE_PGM_RSRC2:TIDIG_COMP_CNT: 0
	.section	.text._ZN7rocprim17ROCPRIM_400000_NS6detail17trampoline_kernelINS0_14default_configENS1_20scan_config_selectorIlEEZZNS1_9scan_implILNS1_25lookback_scan_determinismE0ELb0ELb0ES3_PlS8_lN6thrust23THRUST_200600_302600_NS4plusIvEElEEDaPvRmT3_T4_T5_mT6_P12ihipStream_tbENKUlT_T0_E_clISt17integral_constantIbLb1EESQ_EEDaSL_SM_EUlSL_E_NS1_11comp_targetILNS1_3genE2ELNS1_11target_archE906ELNS1_3gpuE6ELNS1_3repE0EEENS1_30default_config_static_selectorELNS0_4arch9wavefront6targetE0EEEvT1_,"axG",@progbits,_ZN7rocprim17ROCPRIM_400000_NS6detail17trampoline_kernelINS0_14default_configENS1_20scan_config_selectorIlEEZZNS1_9scan_implILNS1_25lookback_scan_determinismE0ELb0ELb0ES3_PlS8_lN6thrust23THRUST_200600_302600_NS4plusIvEElEEDaPvRmT3_T4_T5_mT6_P12ihipStream_tbENKUlT_T0_E_clISt17integral_constantIbLb1EESQ_EEDaSL_SM_EUlSL_E_NS1_11comp_targetILNS1_3genE2ELNS1_11target_archE906ELNS1_3gpuE6ELNS1_3repE0EEENS1_30default_config_static_selectorELNS0_4arch9wavefront6targetE0EEEvT1_,comdat
	.protected	_ZN7rocprim17ROCPRIM_400000_NS6detail17trampoline_kernelINS0_14default_configENS1_20scan_config_selectorIlEEZZNS1_9scan_implILNS1_25lookback_scan_determinismE0ELb0ELb0ES3_PlS8_lN6thrust23THRUST_200600_302600_NS4plusIvEElEEDaPvRmT3_T4_T5_mT6_P12ihipStream_tbENKUlT_T0_E_clISt17integral_constantIbLb1EESQ_EEDaSL_SM_EUlSL_E_NS1_11comp_targetILNS1_3genE2ELNS1_11target_archE906ELNS1_3gpuE6ELNS1_3repE0EEENS1_30default_config_static_selectorELNS0_4arch9wavefront6targetE0EEEvT1_ ; -- Begin function _ZN7rocprim17ROCPRIM_400000_NS6detail17trampoline_kernelINS0_14default_configENS1_20scan_config_selectorIlEEZZNS1_9scan_implILNS1_25lookback_scan_determinismE0ELb0ELb0ES3_PlS8_lN6thrust23THRUST_200600_302600_NS4plusIvEElEEDaPvRmT3_T4_T5_mT6_P12ihipStream_tbENKUlT_T0_E_clISt17integral_constantIbLb1EESQ_EEDaSL_SM_EUlSL_E_NS1_11comp_targetILNS1_3genE2ELNS1_11target_archE906ELNS1_3gpuE6ELNS1_3repE0EEENS1_30default_config_static_selectorELNS0_4arch9wavefront6targetE0EEEvT1_
	.globl	_ZN7rocprim17ROCPRIM_400000_NS6detail17trampoline_kernelINS0_14default_configENS1_20scan_config_selectorIlEEZZNS1_9scan_implILNS1_25lookback_scan_determinismE0ELb0ELb0ES3_PlS8_lN6thrust23THRUST_200600_302600_NS4plusIvEElEEDaPvRmT3_T4_T5_mT6_P12ihipStream_tbENKUlT_T0_E_clISt17integral_constantIbLb1EESQ_EEDaSL_SM_EUlSL_E_NS1_11comp_targetILNS1_3genE2ELNS1_11target_archE906ELNS1_3gpuE6ELNS1_3repE0EEENS1_30default_config_static_selectorELNS0_4arch9wavefront6targetE0EEEvT1_
	.p2align	8
	.type	_ZN7rocprim17ROCPRIM_400000_NS6detail17trampoline_kernelINS0_14default_configENS1_20scan_config_selectorIlEEZZNS1_9scan_implILNS1_25lookback_scan_determinismE0ELb0ELb0ES3_PlS8_lN6thrust23THRUST_200600_302600_NS4plusIvEElEEDaPvRmT3_T4_T5_mT6_P12ihipStream_tbENKUlT_T0_E_clISt17integral_constantIbLb1EESQ_EEDaSL_SM_EUlSL_E_NS1_11comp_targetILNS1_3genE2ELNS1_11target_archE906ELNS1_3gpuE6ELNS1_3repE0EEENS1_30default_config_static_selectorELNS0_4arch9wavefront6targetE0EEEvT1_,@function
_ZN7rocprim17ROCPRIM_400000_NS6detail17trampoline_kernelINS0_14default_configENS1_20scan_config_selectorIlEEZZNS1_9scan_implILNS1_25lookback_scan_determinismE0ELb0ELb0ES3_PlS8_lN6thrust23THRUST_200600_302600_NS4plusIvEElEEDaPvRmT3_T4_T5_mT6_P12ihipStream_tbENKUlT_T0_E_clISt17integral_constantIbLb1EESQ_EEDaSL_SM_EUlSL_E_NS1_11comp_targetILNS1_3genE2ELNS1_11target_archE906ELNS1_3gpuE6ELNS1_3repE0EEENS1_30default_config_static_selectorELNS0_4arch9wavefront6targetE0EEEvT1_: ; @_ZN7rocprim17ROCPRIM_400000_NS6detail17trampoline_kernelINS0_14default_configENS1_20scan_config_selectorIlEEZZNS1_9scan_implILNS1_25lookback_scan_determinismE0ELb0ELb0ES3_PlS8_lN6thrust23THRUST_200600_302600_NS4plusIvEElEEDaPvRmT3_T4_T5_mT6_P12ihipStream_tbENKUlT_T0_E_clISt17integral_constantIbLb1EESQ_EEDaSL_SM_EUlSL_E_NS1_11comp_targetILNS1_3genE2ELNS1_11target_archE906ELNS1_3gpuE6ELNS1_3repE0EEENS1_30default_config_static_selectorELNS0_4arch9wavefront6targetE0EEEvT1_
; %bb.0:
	.section	.rodata,"a",@progbits
	.p2align	6, 0x0
	.amdhsa_kernel _ZN7rocprim17ROCPRIM_400000_NS6detail17trampoline_kernelINS0_14default_configENS1_20scan_config_selectorIlEEZZNS1_9scan_implILNS1_25lookback_scan_determinismE0ELb0ELb0ES3_PlS8_lN6thrust23THRUST_200600_302600_NS4plusIvEElEEDaPvRmT3_T4_T5_mT6_P12ihipStream_tbENKUlT_T0_E_clISt17integral_constantIbLb1EESQ_EEDaSL_SM_EUlSL_E_NS1_11comp_targetILNS1_3genE2ELNS1_11target_archE906ELNS1_3gpuE6ELNS1_3repE0EEENS1_30default_config_static_selectorELNS0_4arch9wavefront6targetE0EEEvT1_
		.amdhsa_group_segment_fixed_size 0
		.amdhsa_private_segment_fixed_size 0
		.amdhsa_kernarg_size 104
		.amdhsa_user_sgpr_count 2
		.amdhsa_user_sgpr_dispatch_ptr 0
		.amdhsa_user_sgpr_queue_ptr 0
		.amdhsa_user_sgpr_kernarg_segment_ptr 1
		.amdhsa_user_sgpr_dispatch_id 0
		.amdhsa_user_sgpr_kernarg_preload_length 0
		.amdhsa_user_sgpr_kernarg_preload_offset 0
		.amdhsa_user_sgpr_private_segment_size 0
		.amdhsa_wavefront_size32 1
		.amdhsa_uses_dynamic_stack 0
		.amdhsa_enable_private_segment 0
		.amdhsa_system_sgpr_workgroup_id_x 1
		.amdhsa_system_sgpr_workgroup_id_y 0
		.amdhsa_system_sgpr_workgroup_id_z 0
		.amdhsa_system_sgpr_workgroup_info 0
		.amdhsa_system_vgpr_workitem_id 0
		.amdhsa_next_free_vgpr 1
		.amdhsa_next_free_sgpr 1
		.amdhsa_named_barrier_count 0
		.amdhsa_reserve_vcc 0
		.amdhsa_float_round_mode_32 0
		.amdhsa_float_round_mode_16_64 0
		.amdhsa_float_denorm_mode_32 3
		.amdhsa_float_denorm_mode_16_64 3
		.amdhsa_fp16_overflow 0
		.amdhsa_memory_ordered 1
		.amdhsa_forward_progress 1
		.amdhsa_inst_pref_size 0
		.amdhsa_round_robin_scheduling 0
		.amdhsa_exception_fp_ieee_invalid_op 0
		.amdhsa_exception_fp_denorm_src 0
		.amdhsa_exception_fp_ieee_div_zero 0
		.amdhsa_exception_fp_ieee_overflow 0
		.amdhsa_exception_fp_ieee_underflow 0
		.amdhsa_exception_fp_ieee_inexact 0
		.amdhsa_exception_int_div_zero 0
	.end_amdhsa_kernel
	.section	.text._ZN7rocprim17ROCPRIM_400000_NS6detail17trampoline_kernelINS0_14default_configENS1_20scan_config_selectorIlEEZZNS1_9scan_implILNS1_25lookback_scan_determinismE0ELb0ELb0ES3_PlS8_lN6thrust23THRUST_200600_302600_NS4plusIvEElEEDaPvRmT3_T4_T5_mT6_P12ihipStream_tbENKUlT_T0_E_clISt17integral_constantIbLb1EESQ_EEDaSL_SM_EUlSL_E_NS1_11comp_targetILNS1_3genE2ELNS1_11target_archE906ELNS1_3gpuE6ELNS1_3repE0EEENS1_30default_config_static_selectorELNS0_4arch9wavefront6targetE0EEEvT1_,"axG",@progbits,_ZN7rocprim17ROCPRIM_400000_NS6detail17trampoline_kernelINS0_14default_configENS1_20scan_config_selectorIlEEZZNS1_9scan_implILNS1_25lookback_scan_determinismE0ELb0ELb0ES3_PlS8_lN6thrust23THRUST_200600_302600_NS4plusIvEElEEDaPvRmT3_T4_T5_mT6_P12ihipStream_tbENKUlT_T0_E_clISt17integral_constantIbLb1EESQ_EEDaSL_SM_EUlSL_E_NS1_11comp_targetILNS1_3genE2ELNS1_11target_archE906ELNS1_3gpuE6ELNS1_3repE0EEENS1_30default_config_static_selectorELNS0_4arch9wavefront6targetE0EEEvT1_,comdat
.Lfunc_end107:
	.size	_ZN7rocprim17ROCPRIM_400000_NS6detail17trampoline_kernelINS0_14default_configENS1_20scan_config_selectorIlEEZZNS1_9scan_implILNS1_25lookback_scan_determinismE0ELb0ELb0ES3_PlS8_lN6thrust23THRUST_200600_302600_NS4plusIvEElEEDaPvRmT3_T4_T5_mT6_P12ihipStream_tbENKUlT_T0_E_clISt17integral_constantIbLb1EESQ_EEDaSL_SM_EUlSL_E_NS1_11comp_targetILNS1_3genE2ELNS1_11target_archE906ELNS1_3gpuE6ELNS1_3repE0EEENS1_30default_config_static_selectorELNS0_4arch9wavefront6targetE0EEEvT1_, .Lfunc_end107-_ZN7rocprim17ROCPRIM_400000_NS6detail17trampoline_kernelINS0_14default_configENS1_20scan_config_selectorIlEEZZNS1_9scan_implILNS1_25lookback_scan_determinismE0ELb0ELb0ES3_PlS8_lN6thrust23THRUST_200600_302600_NS4plusIvEElEEDaPvRmT3_T4_T5_mT6_P12ihipStream_tbENKUlT_T0_E_clISt17integral_constantIbLb1EESQ_EEDaSL_SM_EUlSL_E_NS1_11comp_targetILNS1_3genE2ELNS1_11target_archE906ELNS1_3gpuE6ELNS1_3repE0EEENS1_30default_config_static_selectorELNS0_4arch9wavefront6targetE0EEEvT1_
                                        ; -- End function
	.set _ZN7rocprim17ROCPRIM_400000_NS6detail17trampoline_kernelINS0_14default_configENS1_20scan_config_selectorIlEEZZNS1_9scan_implILNS1_25lookback_scan_determinismE0ELb0ELb0ES3_PlS8_lN6thrust23THRUST_200600_302600_NS4plusIvEElEEDaPvRmT3_T4_T5_mT6_P12ihipStream_tbENKUlT_T0_E_clISt17integral_constantIbLb1EESQ_EEDaSL_SM_EUlSL_E_NS1_11comp_targetILNS1_3genE2ELNS1_11target_archE906ELNS1_3gpuE6ELNS1_3repE0EEENS1_30default_config_static_selectorELNS0_4arch9wavefront6targetE0EEEvT1_.num_vgpr, 0
	.set _ZN7rocprim17ROCPRIM_400000_NS6detail17trampoline_kernelINS0_14default_configENS1_20scan_config_selectorIlEEZZNS1_9scan_implILNS1_25lookback_scan_determinismE0ELb0ELb0ES3_PlS8_lN6thrust23THRUST_200600_302600_NS4plusIvEElEEDaPvRmT3_T4_T5_mT6_P12ihipStream_tbENKUlT_T0_E_clISt17integral_constantIbLb1EESQ_EEDaSL_SM_EUlSL_E_NS1_11comp_targetILNS1_3genE2ELNS1_11target_archE906ELNS1_3gpuE6ELNS1_3repE0EEENS1_30default_config_static_selectorELNS0_4arch9wavefront6targetE0EEEvT1_.num_agpr, 0
	.set _ZN7rocprim17ROCPRIM_400000_NS6detail17trampoline_kernelINS0_14default_configENS1_20scan_config_selectorIlEEZZNS1_9scan_implILNS1_25lookback_scan_determinismE0ELb0ELb0ES3_PlS8_lN6thrust23THRUST_200600_302600_NS4plusIvEElEEDaPvRmT3_T4_T5_mT6_P12ihipStream_tbENKUlT_T0_E_clISt17integral_constantIbLb1EESQ_EEDaSL_SM_EUlSL_E_NS1_11comp_targetILNS1_3genE2ELNS1_11target_archE906ELNS1_3gpuE6ELNS1_3repE0EEENS1_30default_config_static_selectorELNS0_4arch9wavefront6targetE0EEEvT1_.numbered_sgpr, 0
	.set _ZN7rocprim17ROCPRIM_400000_NS6detail17trampoline_kernelINS0_14default_configENS1_20scan_config_selectorIlEEZZNS1_9scan_implILNS1_25lookback_scan_determinismE0ELb0ELb0ES3_PlS8_lN6thrust23THRUST_200600_302600_NS4plusIvEElEEDaPvRmT3_T4_T5_mT6_P12ihipStream_tbENKUlT_T0_E_clISt17integral_constantIbLb1EESQ_EEDaSL_SM_EUlSL_E_NS1_11comp_targetILNS1_3genE2ELNS1_11target_archE906ELNS1_3gpuE6ELNS1_3repE0EEENS1_30default_config_static_selectorELNS0_4arch9wavefront6targetE0EEEvT1_.num_named_barrier, 0
	.set _ZN7rocprim17ROCPRIM_400000_NS6detail17trampoline_kernelINS0_14default_configENS1_20scan_config_selectorIlEEZZNS1_9scan_implILNS1_25lookback_scan_determinismE0ELb0ELb0ES3_PlS8_lN6thrust23THRUST_200600_302600_NS4plusIvEElEEDaPvRmT3_T4_T5_mT6_P12ihipStream_tbENKUlT_T0_E_clISt17integral_constantIbLb1EESQ_EEDaSL_SM_EUlSL_E_NS1_11comp_targetILNS1_3genE2ELNS1_11target_archE906ELNS1_3gpuE6ELNS1_3repE0EEENS1_30default_config_static_selectorELNS0_4arch9wavefront6targetE0EEEvT1_.private_seg_size, 0
	.set _ZN7rocprim17ROCPRIM_400000_NS6detail17trampoline_kernelINS0_14default_configENS1_20scan_config_selectorIlEEZZNS1_9scan_implILNS1_25lookback_scan_determinismE0ELb0ELb0ES3_PlS8_lN6thrust23THRUST_200600_302600_NS4plusIvEElEEDaPvRmT3_T4_T5_mT6_P12ihipStream_tbENKUlT_T0_E_clISt17integral_constantIbLb1EESQ_EEDaSL_SM_EUlSL_E_NS1_11comp_targetILNS1_3genE2ELNS1_11target_archE906ELNS1_3gpuE6ELNS1_3repE0EEENS1_30default_config_static_selectorELNS0_4arch9wavefront6targetE0EEEvT1_.uses_vcc, 0
	.set _ZN7rocprim17ROCPRIM_400000_NS6detail17trampoline_kernelINS0_14default_configENS1_20scan_config_selectorIlEEZZNS1_9scan_implILNS1_25lookback_scan_determinismE0ELb0ELb0ES3_PlS8_lN6thrust23THRUST_200600_302600_NS4plusIvEElEEDaPvRmT3_T4_T5_mT6_P12ihipStream_tbENKUlT_T0_E_clISt17integral_constantIbLb1EESQ_EEDaSL_SM_EUlSL_E_NS1_11comp_targetILNS1_3genE2ELNS1_11target_archE906ELNS1_3gpuE6ELNS1_3repE0EEENS1_30default_config_static_selectorELNS0_4arch9wavefront6targetE0EEEvT1_.uses_flat_scratch, 0
	.set _ZN7rocprim17ROCPRIM_400000_NS6detail17trampoline_kernelINS0_14default_configENS1_20scan_config_selectorIlEEZZNS1_9scan_implILNS1_25lookback_scan_determinismE0ELb0ELb0ES3_PlS8_lN6thrust23THRUST_200600_302600_NS4plusIvEElEEDaPvRmT3_T4_T5_mT6_P12ihipStream_tbENKUlT_T0_E_clISt17integral_constantIbLb1EESQ_EEDaSL_SM_EUlSL_E_NS1_11comp_targetILNS1_3genE2ELNS1_11target_archE906ELNS1_3gpuE6ELNS1_3repE0EEENS1_30default_config_static_selectorELNS0_4arch9wavefront6targetE0EEEvT1_.has_dyn_sized_stack, 0
	.set _ZN7rocprim17ROCPRIM_400000_NS6detail17trampoline_kernelINS0_14default_configENS1_20scan_config_selectorIlEEZZNS1_9scan_implILNS1_25lookback_scan_determinismE0ELb0ELb0ES3_PlS8_lN6thrust23THRUST_200600_302600_NS4plusIvEElEEDaPvRmT3_T4_T5_mT6_P12ihipStream_tbENKUlT_T0_E_clISt17integral_constantIbLb1EESQ_EEDaSL_SM_EUlSL_E_NS1_11comp_targetILNS1_3genE2ELNS1_11target_archE906ELNS1_3gpuE6ELNS1_3repE0EEENS1_30default_config_static_selectorELNS0_4arch9wavefront6targetE0EEEvT1_.has_recursion, 0
	.set _ZN7rocprim17ROCPRIM_400000_NS6detail17trampoline_kernelINS0_14default_configENS1_20scan_config_selectorIlEEZZNS1_9scan_implILNS1_25lookback_scan_determinismE0ELb0ELb0ES3_PlS8_lN6thrust23THRUST_200600_302600_NS4plusIvEElEEDaPvRmT3_T4_T5_mT6_P12ihipStream_tbENKUlT_T0_E_clISt17integral_constantIbLb1EESQ_EEDaSL_SM_EUlSL_E_NS1_11comp_targetILNS1_3genE2ELNS1_11target_archE906ELNS1_3gpuE6ELNS1_3repE0EEENS1_30default_config_static_selectorELNS0_4arch9wavefront6targetE0EEEvT1_.has_indirect_call, 0
	.section	.AMDGPU.csdata,"",@progbits
; Kernel info:
; codeLenInByte = 0
; TotalNumSgprs: 0
; NumVgprs: 0
; ScratchSize: 0
; MemoryBound: 0
; FloatMode: 240
; IeeeMode: 1
; LDSByteSize: 0 bytes/workgroup (compile time only)
; SGPRBlocks: 0
; VGPRBlocks: 0
; NumSGPRsForWavesPerEU: 1
; NumVGPRsForWavesPerEU: 1
; NamedBarCnt: 0
; Occupancy: 16
; WaveLimiterHint : 0
; COMPUTE_PGM_RSRC2:SCRATCH_EN: 0
; COMPUTE_PGM_RSRC2:USER_SGPR: 2
; COMPUTE_PGM_RSRC2:TRAP_HANDLER: 0
; COMPUTE_PGM_RSRC2:TGID_X_EN: 1
; COMPUTE_PGM_RSRC2:TGID_Y_EN: 0
; COMPUTE_PGM_RSRC2:TGID_Z_EN: 0
; COMPUTE_PGM_RSRC2:TIDIG_COMP_CNT: 0
	.section	.text._ZN7rocprim17ROCPRIM_400000_NS6detail17trampoline_kernelINS0_14default_configENS1_20scan_config_selectorIlEEZZNS1_9scan_implILNS1_25lookback_scan_determinismE0ELb0ELb0ES3_PlS8_lN6thrust23THRUST_200600_302600_NS4plusIvEElEEDaPvRmT3_T4_T5_mT6_P12ihipStream_tbENKUlT_T0_E_clISt17integral_constantIbLb1EESQ_EEDaSL_SM_EUlSL_E_NS1_11comp_targetILNS1_3genE10ELNS1_11target_archE1201ELNS1_3gpuE5ELNS1_3repE0EEENS1_30default_config_static_selectorELNS0_4arch9wavefront6targetE0EEEvT1_,"axG",@progbits,_ZN7rocprim17ROCPRIM_400000_NS6detail17trampoline_kernelINS0_14default_configENS1_20scan_config_selectorIlEEZZNS1_9scan_implILNS1_25lookback_scan_determinismE0ELb0ELb0ES3_PlS8_lN6thrust23THRUST_200600_302600_NS4plusIvEElEEDaPvRmT3_T4_T5_mT6_P12ihipStream_tbENKUlT_T0_E_clISt17integral_constantIbLb1EESQ_EEDaSL_SM_EUlSL_E_NS1_11comp_targetILNS1_3genE10ELNS1_11target_archE1201ELNS1_3gpuE5ELNS1_3repE0EEENS1_30default_config_static_selectorELNS0_4arch9wavefront6targetE0EEEvT1_,comdat
	.protected	_ZN7rocprim17ROCPRIM_400000_NS6detail17trampoline_kernelINS0_14default_configENS1_20scan_config_selectorIlEEZZNS1_9scan_implILNS1_25lookback_scan_determinismE0ELb0ELb0ES3_PlS8_lN6thrust23THRUST_200600_302600_NS4plusIvEElEEDaPvRmT3_T4_T5_mT6_P12ihipStream_tbENKUlT_T0_E_clISt17integral_constantIbLb1EESQ_EEDaSL_SM_EUlSL_E_NS1_11comp_targetILNS1_3genE10ELNS1_11target_archE1201ELNS1_3gpuE5ELNS1_3repE0EEENS1_30default_config_static_selectorELNS0_4arch9wavefront6targetE0EEEvT1_ ; -- Begin function _ZN7rocprim17ROCPRIM_400000_NS6detail17trampoline_kernelINS0_14default_configENS1_20scan_config_selectorIlEEZZNS1_9scan_implILNS1_25lookback_scan_determinismE0ELb0ELb0ES3_PlS8_lN6thrust23THRUST_200600_302600_NS4plusIvEElEEDaPvRmT3_T4_T5_mT6_P12ihipStream_tbENKUlT_T0_E_clISt17integral_constantIbLb1EESQ_EEDaSL_SM_EUlSL_E_NS1_11comp_targetILNS1_3genE10ELNS1_11target_archE1201ELNS1_3gpuE5ELNS1_3repE0EEENS1_30default_config_static_selectorELNS0_4arch9wavefront6targetE0EEEvT1_
	.globl	_ZN7rocprim17ROCPRIM_400000_NS6detail17trampoline_kernelINS0_14default_configENS1_20scan_config_selectorIlEEZZNS1_9scan_implILNS1_25lookback_scan_determinismE0ELb0ELb0ES3_PlS8_lN6thrust23THRUST_200600_302600_NS4plusIvEElEEDaPvRmT3_T4_T5_mT6_P12ihipStream_tbENKUlT_T0_E_clISt17integral_constantIbLb1EESQ_EEDaSL_SM_EUlSL_E_NS1_11comp_targetILNS1_3genE10ELNS1_11target_archE1201ELNS1_3gpuE5ELNS1_3repE0EEENS1_30default_config_static_selectorELNS0_4arch9wavefront6targetE0EEEvT1_
	.p2align	8
	.type	_ZN7rocprim17ROCPRIM_400000_NS6detail17trampoline_kernelINS0_14default_configENS1_20scan_config_selectorIlEEZZNS1_9scan_implILNS1_25lookback_scan_determinismE0ELb0ELb0ES3_PlS8_lN6thrust23THRUST_200600_302600_NS4plusIvEElEEDaPvRmT3_T4_T5_mT6_P12ihipStream_tbENKUlT_T0_E_clISt17integral_constantIbLb1EESQ_EEDaSL_SM_EUlSL_E_NS1_11comp_targetILNS1_3genE10ELNS1_11target_archE1201ELNS1_3gpuE5ELNS1_3repE0EEENS1_30default_config_static_selectorELNS0_4arch9wavefront6targetE0EEEvT1_,@function
_ZN7rocprim17ROCPRIM_400000_NS6detail17trampoline_kernelINS0_14default_configENS1_20scan_config_selectorIlEEZZNS1_9scan_implILNS1_25lookback_scan_determinismE0ELb0ELb0ES3_PlS8_lN6thrust23THRUST_200600_302600_NS4plusIvEElEEDaPvRmT3_T4_T5_mT6_P12ihipStream_tbENKUlT_T0_E_clISt17integral_constantIbLb1EESQ_EEDaSL_SM_EUlSL_E_NS1_11comp_targetILNS1_3genE10ELNS1_11target_archE1201ELNS1_3gpuE5ELNS1_3repE0EEENS1_30default_config_static_selectorELNS0_4arch9wavefront6targetE0EEEvT1_: ; @_ZN7rocprim17ROCPRIM_400000_NS6detail17trampoline_kernelINS0_14default_configENS1_20scan_config_selectorIlEEZZNS1_9scan_implILNS1_25lookback_scan_determinismE0ELb0ELb0ES3_PlS8_lN6thrust23THRUST_200600_302600_NS4plusIvEElEEDaPvRmT3_T4_T5_mT6_P12ihipStream_tbENKUlT_T0_E_clISt17integral_constantIbLb1EESQ_EEDaSL_SM_EUlSL_E_NS1_11comp_targetILNS1_3genE10ELNS1_11target_archE1201ELNS1_3gpuE5ELNS1_3repE0EEENS1_30default_config_static_selectorELNS0_4arch9wavefront6targetE0EEEvT1_
; %bb.0:
	.section	.rodata,"a",@progbits
	.p2align	6, 0x0
	.amdhsa_kernel _ZN7rocprim17ROCPRIM_400000_NS6detail17trampoline_kernelINS0_14default_configENS1_20scan_config_selectorIlEEZZNS1_9scan_implILNS1_25lookback_scan_determinismE0ELb0ELb0ES3_PlS8_lN6thrust23THRUST_200600_302600_NS4plusIvEElEEDaPvRmT3_T4_T5_mT6_P12ihipStream_tbENKUlT_T0_E_clISt17integral_constantIbLb1EESQ_EEDaSL_SM_EUlSL_E_NS1_11comp_targetILNS1_3genE10ELNS1_11target_archE1201ELNS1_3gpuE5ELNS1_3repE0EEENS1_30default_config_static_selectorELNS0_4arch9wavefront6targetE0EEEvT1_
		.amdhsa_group_segment_fixed_size 0
		.amdhsa_private_segment_fixed_size 0
		.amdhsa_kernarg_size 104
		.amdhsa_user_sgpr_count 2
		.amdhsa_user_sgpr_dispatch_ptr 0
		.amdhsa_user_sgpr_queue_ptr 0
		.amdhsa_user_sgpr_kernarg_segment_ptr 1
		.amdhsa_user_sgpr_dispatch_id 0
		.amdhsa_user_sgpr_kernarg_preload_length 0
		.amdhsa_user_sgpr_kernarg_preload_offset 0
		.amdhsa_user_sgpr_private_segment_size 0
		.amdhsa_wavefront_size32 1
		.amdhsa_uses_dynamic_stack 0
		.amdhsa_enable_private_segment 0
		.amdhsa_system_sgpr_workgroup_id_x 1
		.amdhsa_system_sgpr_workgroup_id_y 0
		.amdhsa_system_sgpr_workgroup_id_z 0
		.amdhsa_system_sgpr_workgroup_info 0
		.amdhsa_system_vgpr_workitem_id 0
		.amdhsa_next_free_vgpr 1
		.amdhsa_next_free_sgpr 1
		.amdhsa_named_barrier_count 0
		.amdhsa_reserve_vcc 0
		.amdhsa_float_round_mode_32 0
		.amdhsa_float_round_mode_16_64 0
		.amdhsa_float_denorm_mode_32 3
		.amdhsa_float_denorm_mode_16_64 3
		.amdhsa_fp16_overflow 0
		.amdhsa_memory_ordered 1
		.amdhsa_forward_progress 1
		.amdhsa_inst_pref_size 0
		.amdhsa_round_robin_scheduling 0
		.amdhsa_exception_fp_ieee_invalid_op 0
		.amdhsa_exception_fp_denorm_src 0
		.amdhsa_exception_fp_ieee_div_zero 0
		.amdhsa_exception_fp_ieee_overflow 0
		.amdhsa_exception_fp_ieee_underflow 0
		.amdhsa_exception_fp_ieee_inexact 0
		.amdhsa_exception_int_div_zero 0
	.end_amdhsa_kernel
	.section	.text._ZN7rocprim17ROCPRIM_400000_NS6detail17trampoline_kernelINS0_14default_configENS1_20scan_config_selectorIlEEZZNS1_9scan_implILNS1_25lookback_scan_determinismE0ELb0ELb0ES3_PlS8_lN6thrust23THRUST_200600_302600_NS4plusIvEElEEDaPvRmT3_T4_T5_mT6_P12ihipStream_tbENKUlT_T0_E_clISt17integral_constantIbLb1EESQ_EEDaSL_SM_EUlSL_E_NS1_11comp_targetILNS1_3genE10ELNS1_11target_archE1201ELNS1_3gpuE5ELNS1_3repE0EEENS1_30default_config_static_selectorELNS0_4arch9wavefront6targetE0EEEvT1_,"axG",@progbits,_ZN7rocprim17ROCPRIM_400000_NS6detail17trampoline_kernelINS0_14default_configENS1_20scan_config_selectorIlEEZZNS1_9scan_implILNS1_25lookback_scan_determinismE0ELb0ELb0ES3_PlS8_lN6thrust23THRUST_200600_302600_NS4plusIvEElEEDaPvRmT3_T4_T5_mT6_P12ihipStream_tbENKUlT_T0_E_clISt17integral_constantIbLb1EESQ_EEDaSL_SM_EUlSL_E_NS1_11comp_targetILNS1_3genE10ELNS1_11target_archE1201ELNS1_3gpuE5ELNS1_3repE0EEENS1_30default_config_static_selectorELNS0_4arch9wavefront6targetE0EEEvT1_,comdat
.Lfunc_end108:
	.size	_ZN7rocprim17ROCPRIM_400000_NS6detail17trampoline_kernelINS0_14default_configENS1_20scan_config_selectorIlEEZZNS1_9scan_implILNS1_25lookback_scan_determinismE0ELb0ELb0ES3_PlS8_lN6thrust23THRUST_200600_302600_NS4plusIvEElEEDaPvRmT3_T4_T5_mT6_P12ihipStream_tbENKUlT_T0_E_clISt17integral_constantIbLb1EESQ_EEDaSL_SM_EUlSL_E_NS1_11comp_targetILNS1_3genE10ELNS1_11target_archE1201ELNS1_3gpuE5ELNS1_3repE0EEENS1_30default_config_static_selectorELNS0_4arch9wavefront6targetE0EEEvT1_, .Lfunc_end108-_ZN7rocprim17ROCPRIM_400000_NS6detail17trampoline_kernelINS0_14default_configENS1_20scan_config_selectorIlEEZZNS1_9scan_implILNS1_25lookback_scan_determinismE0ELb0ELb0ES3_PlS8_lN6thrust23THRUST_200600_302600_NS4plusIvEElEEDaPvRmT3_T4_T5_mT6_P12ihipStream_tbENKUlT_T0_E_clISt17integral_constantIbLb1EESQ_EEDaSL_SM_EUlSL_E_NS1_11comp_targetILNS1_3genE10ELNS1_11target_archE1201ELNS1_3gpuE5ELNS1_3repE0EEENS1_30default_config_static_selectorELNS0_4arch9wavefront6targetE0EEEvT1_
                                        ; -- End function
	.set _ZN7rocprim17ROCPRIM_400000_NS6detail17trampoline_kernelINS0_14default_configENS1_20scan_config_selectorIlEEZZNS1_9scan_implILNS1_25lookback_scan_determinismE0ELb0ELb0ES3_PlS8_lN6thrust23THRUST_200600_302600_NS4plusIvEElEEDaPvRmT3_T4_T5_mT6_P12ihipStream_tbENKUlT_T0_E_clISt17integral_constantIbLb1EESQ_EEDaSL_SM_EUlSL_E_NS1_11comp_targetILNS1_3genE10ELNS1_11target_archE1201ELNS1_3gpuE5ELNS1_3repE0EEENS1_30default_config_static_selectorELNS0_4arch9wavefront6targetE0EEEvT1_.num_vgpr, 0
	.set _ZN7rocprim17ROCPRIM_400000_NS6detail17trampoline_kernelINS0_14default_configENS1_20scan_config_selectorIlEEZZNS1_9scan_implILNS1_25lookback_scan_determinismE0ELb0ELb0ES3_PlS8_lN6thrust23THRUST_200600_302600_NS4plusIvEElEEDaPvRmT3_T4_T5_mT6_P12ihipStream_tbENKUlT_T0_E_clISt17integral_constantIbLb1EESQ_EEDaSL_SM_EUlSL_E_NS1_11comp_targetILNS1_3genE10ELNS1_11target_archE1201ELNS1_3gpuE5ELNS1_3repE0EEENS1_30default_config_static_selectorELNS0_4arch9wavefront6targetE0EEEvT1_.num_agpr, 0
	.set _ZN7rocprim17ROCPRIM_400000_NS6detail17trampoline_kernelINS0_14default_configENS1_20scan_config_selectorIlEEZZNS1_9scan_implILNS1_25lookback_scan_determinismE0ELb0ELb0ES3_PlS8_lN6thrust23THRUST_200600_302600_NS4plusIvEElEEDaPvRmT3_T4_T5_mT6_P12ihipStream_tbENKUlT_T0_E_clISt17integral_constantIbLb1EESQ_EEDaSL_SM_EUlSL_E_NS1_11comp_targetILNS1_3genE10ELNS1_11target_archE1201ELNS1_3gpuE5ELNS1_3repE0EEENS1_30default_config_static_selectorELNS0_4arch9wavefront6targetE0EEEvT1_.numbered_sgpr, 0
	.set _ZN7rocprim17ROCPRIM_400000_NS6detail17trampoline_kernelINS0_14default_configENS1_20scan_config_selectorIlEEZZNS1_9scan_implILNS1_25lookback_scan_determinismE0ELb0ELb0ES3_PlS8_lN6thrust23THRUST_200600_302600_NS4plusIvEElEEDaPvRmT3_T4_T5_mT6_P12ihipStream_tbENKUlT_T0_E_clISt17integral_constantIbLb1EESQ_EEDaSL_SM_EUlSL_E_NS1_11comp_targetILNS1_3genE10ELNS1_11target_archE1201ELNS1_3gpuE5ELNS1_3repE0EEENS1_30default_config_static_selectorELNS0_4arch9wavefront6targetE0EEEvT1_.num_named_barrier, 0
	.set _ZN7rocprim17ROCPRIM_400000_NS6detail17trampoline_kernelINS0_14default_configENS1_20scan_config_selectorIlEEZZNS1_9scan_implILNS1_25lookback_scan_determinismE0ELb0ELb0ES3_PlS8_lN6thrust23THRUST_200600_302600_NS4plusIvEElEEDaPvRmT3_T4_T5_mT6_P12ihipStream_tbENKUlT_T0_E_clISt17integral_constantIbLb1EESQ_EEDaSL_SM_EUlSL_E_NS1_11comp_targetILNS1_3genE10ELNS1_11target_archE1201ELNS1_3gpuE5ELNS1_3repE0EEENS1_30default_config_static_selectorELNS0_4arch9wavefront6targetE0EEEvT1_.private_seg_size, 0
	.set _ZN7rocprim17ROCPRIM_400000_NS6detail17trampoline_kernelINS0_14default_configENS1_20scan_config_selectorIlEEZZNS1_9scan_implILNS1_25lookback_scan_determinismE0ELb0ELb0ES3_PlS8_lN6thrust23THRUST_200600_302600_NS4plusIvEElEEDaPvRmT3_T4_T5_mT6_P12ihipStream_tbENKUlT_T0_E_clISt17integral_constantIbLb1EESQ_EEDaSL_SM_EUlSL_E_NS1_11comp_targetILNS1_3genE10ELNS1_11target_archE1201ELNS1_3gpuE5ELNS1_3repE0EEENS1_30default_config_static_selectorELNS0_4arch9wavefront6targetE0EEEvT1_.uses_vcc, 0
	.set _ZN7rocprim17ROCPRIM_400000_NS6detail17trampoline_kernelINS0_14default_configENS1_20scan_config_selectorIlEEZZNS1_9scan_implILNS1_25lookback_scan_determinismE0ELb0ELb0ES3_PlS8_lN6thrust23THRUST_200600_302600_NS4plusIvEElEEDaPvRmT3_T4_T5_mT6_P12ihipStream_tbENKUlT_T0_E_clISt17integral_constantIbLb1EESQ_EEDaSL_SM_EUlSL_E_NS1_11comp_targetILNS1_3genE10ELNS1_11target_archE1201ELNS1_3gpuE5ELNS1_3repE0EEENS1_30default_config_static_selectorELNS0_4arch9wavefront6targetE0EEEvT1_.uses_flat_scratch, 0
	.set _ZN7rocprim17ROCPRIM_400000_NS6detail17trampoline_kernelINS0_14default_configENS1_20scan_config_selectorIlEEZZNS1_9scan_implILNS1_25lookback_scan_determinismE0ELb0ELb0ES3_PlS8_lN6thrust23THRUST_200600_302600_NS4plusIvEElEEDaPvRmT3_T4_T5_mT6_P12ihipStream_tbENKUlT_T0_E_clISt17integral_constantIbLb1EESQ_EEDaSL_SM_EUlSL_E_NS1_11comp_targetILNS1_3genE10ELNS1_11target_archE1201ELNS1_3gpuE5ELNS1_3repE0EEENS1_30default_config_static_selectorELNS0_4arch9wavefront6targetE0EEEvT1_.has_dyn_sized_stack, 0
	.set _ZN7rocprim17ROCPRIM_400000_NS6detail17trampoline_kernelINS0_14default_configENS1_20scan_config_selectorIlEEZZNS1_9scan_implILNS1_25lookback_scan_determinismE0ELb0ELb0ES3_PlS8_lN6thrust23THRUST_200600_302600_NS4plusIvEElEEDaPvRmT3_T4_T5_mT6_P12ihipStream_tbENKUlT_T0_E_clISt17integral_constantIbLb1EESQ_EEDaSL_SM_EUlSL_E_NS1_11comp_targetILNS1_3genE10ELNS1_11target_archE1201ELNS1_3gpuE5ELNS1_3repE0EEENS1_30default_config_static_selectorELNS0_4arch9wavefront6targetE0EEEvT1_.has_recursion, 0
	.set _ZN7rocprim17ROCPRIM_400000_NS6detail17trampoline_kernelINS0_14default_configENS1_20scan_config_selectorIlEEZZNS1_9scan_implILNS1_25lookback_scan_determinismE0ELb0ELb0ES3_PlS8_lN6thrust23THRUST_200600_302600_NS4plusIvEElEEDaPvRmT3_T4_T5_mT6_P12ihipStream_tbENKUlT_T0_E_clISt17integral_constantIbLb1EESQ_EEDaSL_SM_EUlSL_E_NS1_11comp_targetILNS1_3genE10ELNS1_11target_archE1201ELNS1_3gpuE5ELNS1_3repE0EEENS1_30default_config_static_selectorELNS0_4arch9wavefront6targetE0EEEvT1_.has_indirect_call, 0
	.section	.AMDGPU.csdata,"",@progbits
; Kernel info:
; codeLenInByte = 0
; TotalNumSgprs: 0
; NumVgprs: 0
; ScratchSize: 0
; MemoryBound: 0
; FloatMode: 240
; IeeeMode: 1
; LDSByteSize: 0 bytes/workgroup (compile time only)
; SGPRBlocks: 0
; VGPRBlocks: 0
; NumSGPRsForWavesPerEU: 1
; NumVGPRsForWavesPerEU: 1
; NamedBarCnt: 0
; Occupancy: 16
; WaveLimiterHint : 0
; COMPUTE_PGM_RSRC2:SCRATCH_EN: 0
; COMPUTE_PGM_RSRC2:USER_SGPR: 2
; COMPUTE_PGM_RSRC2:TRAP_HANDLER: 0
; COMPUTE_PGM_RSRC2:TGID_X_EN: 1
; COMPUTE_PGM_RSRC2:TGID_Y_EN: 0
; COMPUTE_PGM_RSRC2:TGID_Z_EN: 0
; COMPUTE_PGM_RSRC2:TIDIG_COMP_CNT: 0
	.section	.text._ZN7rocprim17ROCPRIM_400000_NS6detail17trampoline_kernelINS0_14default_configENS1_20scan_config_selectorIlEEZZNS1_9scan_implILNS1_25lookback_scan_determinismE0ELb0ELb0ES3_PlS8_lN6thrust23THRUST_200600_302600_NS4plusIvEElEEDaPvRmT3_T4_T5_mT6_P12ihipStream_tbENKUlT_T0_E_clISt17integral_constantIbLb1EESQ_EEDaSL_SM_EUlSL_E_NS1_11comp_targetILNS1_3genE10ELNS1_11target_archE1200ELNS1_3gpuE4ELNS1_3repE0EEENS1_30default_config_static_selectorELNS0_4arch9wavefront6targetE0EEEvT1_,"axG",@progbits,_ZN7rocprim17ROCPRIM_400000_NS6detail17trampoline_kernelINS0_14default_configENS1_20scan_config_selectorIlEEZZNS1_9scan_implILNS1_25lookback_scan_determinismE0ELb0ELb0ES3_PlS8_lN6thrust23THRUST_200600_302600_NS4plusIvEElEEDaPvRmT3_T4_T5_mT6_P12ihipStream_tbENKUlT_T0_E_clISt17integral_constantIbLb1EESQ_EEDaSL_SM_EUlSL_E_NS1_11comp_targetILNS1_3genE10ELNS1_11target_archE1200ELNS1_3gpuE4ELNS1_3repE0EEENS1_30default_config_static_selectorELNS0_4arch9wavefront6targetE0EEEvT1_,comdat
	.protected	_ZN7rocprim17ROCPRIM_400000_NS6detail17trampoline_kernelINS0_14default_configENS1_20scan_config_selectorIlEEZZNS1_9scan_implILNS1_25lookback_scan_determinismE0ELb0ELb0ES3_PlS8_lN6thrust23THRUST_200600_302600_NS4plusIvEElEEDaPvRmT3_T4_T5_mT6_P12ihipStream_tbENKUlT_T0_E_clISt17integral_constantIbLb1EESQ_EEDaSL_SM_EUlSL_E_NS1_11comp_targetILNS1_3genE10ELNS1_11target_archE1200ELNS1_3gpuE4ELNS1_3repE0EEENS1_30default_config_static_selectorELNS0_4arch9wavefront6targetE0EEEvT1_ ; -- Begin function _ZN7rocprim17ROCPRIM_400000_NS6detail17trampoline_kernelINS0_14default_configENS1_20scan_config_selectorIlEEZZNS1_9scan_implILNS1_25lookback_scan_determinismE0ELb0ELb0ES3_PlS8_lN6thrust23THRUST_200600_302600_NS4plusIvEElEEDaPvRmT3_T4_T5_mT6_P12ihipStream_tbENKUlT_T0_E_clISt17integral_constantIbLb1EESQ_EEDaSL_SM_EUlSL_E_NS1_11comp_targetILNS1_3genE10ELNS1_11target_archE1200ELNS1_3gpuE4ELNS1_3repE0EEENS1_30default_config_static_selectorELNS0_4arch9wavefront6targetE0EEEvT1_
	.globl	_ZN7rocprim17ROCPRIM_400000_NS6detail17trampoline_kernelINS0_14default_configENS1_20scan_config_selectorIlEEZZNS1_9scan_implILNS1_25lookback_scan_determinismE0ELb0ELb0ES3_PlS8_lN6thrust23THRUST_200600_302600_NS4plusIvEElEEDaPvRmT3_T4_T5_mT6_P12ihipStream_tbENKUlT_T0_E_clISt17integral_constantIbLb1EESQ_EEDaSL_SM_EUlSL_E_NS1_11comp_targetILNS1_3genE10ELNS1_11target_archE1200ELNS1_3gpuE4ELNS1_3repE0EEENS1_30default_config_static_selectorELNS0_4arch9wavefront6targetE0EEEvT1_
	.p2align	8
	.type	_ZN7rocprim17ROCPRIM_400000_NS6detail17trampoline_kernelINS0_14default_configENS1_20scan_config_selectorIlEEZZNS1_9scan_implILNS1_25lookback_scan_determinismE0ELb0ELb0ES3_PlS8_lN6thrust23THRUST_200600_302600_NS4plusIvEElEEDaPvRmT3_T4_T5_mT6_P12ihipStream_tbENKUlT_T0_E_clISt17integral_constantIbLb1EESQ_EEDaSL_SM_EUlSL_E_NS1_11comp_targetILNS1_3genE10ELNS1_11target_archE1200ELNS1_3gpuE4ELNS1_3repE0EEENS1_30default_config_static_selectorELNS0_4arch9wavefront6targetE0EEEvT1_,@function
_ZN7rocprim17ROCPRIM_400000_NS6detail17trampoline_kernelINS0_14default_configENS1_20scan_config_selectorIlEEZZNS1_9scan_implILNS1_25lookback_scan_determinismE0ELb0ELb0ES3_PlS8_lN6thrust23THRUST_200600_302600_NS4plusIvEElEEDaPvRmT3_T4_T5_mT6_P12ihipStream_tbENKUlT_T0_E_clISt17integral_constantIbLb1EESQ_EEDaSL_SM_EUlSL_E_NS1_11comp_targetILNS1_3genE10ELNS1_11target_archE1200ELNS1_3gpuE4ELNS1_3repE0EEENS1_30default_config_static_selectorELNS0_4arch9wavefront6targetE0EEEvT1_: ; @_ZN7rocprim17ROCPRIM_400000_NS6detail17trampoline_kernelINS0_14default_configENS1_20scan_config_selectorIlEEZZNS1_9scan_implILNS1_25lookback_scan_determinismE0ELb0ELb0ES3_PlS8_lN6thrust23THRUST_200600_302600_NS4plusIvEElEEDaPvRmT3_T4_T5_mT6_P12ihipStream_tbENKUlT_T0_E_clISt17integral_constantIbLb1EESQ_EEDaSL_SM_EUlSL_E_NS1_11comp_targetILNS1_3genE10ELNS1_11target_archE1200ELNS1_3gpuE4ELNS1_3repE0EEENS1_30default_config_static_selectorELNS0_4arch9wavefront6targetE0EEEvT1_
; %bb.0:
	.section	.rodata,"a",@progbits
	.p2align	6, 0x0
	.amdhsa_kernel _ZN7rocprim17ROCPRIM_400000_NS6detail17trampoline_kernelINS0_14default_configENS1_20scan_config_selectorIlEEZZNS1_9scan_implILNS1_25lookback_scan_determinismE0ELb0ELb0ES3_PlS8_lN6thrust23THRUST_200600_302600_NS4plusIvEElEEDaPvRmT3_T4_T5_mT6_P12ihipStream_tbENKUlT_T0_E_clISt17integral_constantIbLb1EESQ_EEDaSL_SM_EUlSL_E_NS1_11comp_targetILNS1_3genE10ELNS1_11target_archE1200ELNS1_3gpuE4ELNS1_3repE0EEENS1_30default_config_static_selectorELNS0_4arch9wavefront6targetE0EEEvT1_
		.amdhsa_group_segment_fixed_size 0
		.amdhsa_private_segment_fixed_size 0
		.amdhsa_kernarg_size 104
		.amdhsa_user_sgpr_count 2
		.amdhsa_user_sgpr_dispatch_ptr 0
		.amdhsa_user_sgpr_queue_ptr 0
		.amdhsa_user_sgpr_kernarg_segment_ptr 1
		.amdhsa_user_sgpr_dispatch_id 0
		.amdhsa_user_sgpr_kernarg_preload_length 0
		.amdhsa_user_sgpr_kernarg_preload_offset 0
		.amdhsa_user_sgpr_private_segment_size 0
		.amdhsa_wavefront_size32 1
		.amdhsa_uses_dynamic_stack 0
		.amdhsa_enable_private_segment 0
		.amdhsa_system_sgpr_workgroup_id_x 1
		.amdhsa_system_sgpr_workgroup_id_y 0
		.amdhsa_system_sgpr_workgroup_id_z 0
		.amdhsa_system_sgpr_workgroup_info 0
		.amdhsa_system_vgpr_workitem_id 0
		.amdhsa_next_free_vgpr 1
		.amdhsa_next_free_sgpr 1
		.amdhsa_named_barrier_count 0
		.amdhsa_reserve_vcc 0
		.amdhsa_float_round_mode_32 0
		.amdhsa_float_round_mode_16_64 0
		.amdhsa_float_denorm_mode_32 3
		.amdhsa_float_denorm_mode_16_64 3
		.amdhsa_fp16_overflow 0
		.amdhsa_memory_ordered 1
		.amdhsa_forward_progress 1
		.amdhsa_inst_pref_size 0
		.amdhsa_round_robin_scheduling 0
		.amdhsa_exception_fp_ieee_invalid_op 0
		.amdhsa_exception_fp_denorm_src 0
		.amdhsa_exception_fp_ieee_div_zero 0
		.amdhsa_exception_fp_ieee_overflow 0
		.amdhsa_exception_fp_ieee_underflow 0
		.amdhsa_exception_fp_ieee_inexact 0
		.amdhsa_exception_int_div_zero 0
	.end_amdhsa_kernel
	.section	.text._ZN7rocprim17ROCPRIM_400000_NS6detail17trampoline_kernelINS0_14default_configENS1_20scan_config_selectorIlEEZZNS1_9scan_implILNS1_25lookback_scan_determinismE0ELb0ELb0ES3_PlS8_lN6thrust23THRUST_200600_302600_NS4plusIvEElEEDaPvRmT3_T4_T5_mT6_P12ihipStream_tbENKUlT_T0_E_clISt17integral_constantIbLb1EESQ_EEDaSL_SM_EUlSL_E_NS1_11comp_targetILNS1_3genE10ELNS1_11target_archE1200ELNS1_3gpuE4ELNS1_3repE0EEENS1_30default_config_static_selectorELNS0_4arch9wavefront6targetE0EEEvT1_,"axG",@progbits,_ZN7rocprim17ROCPRIM_400000_NS6detail17trampoline_kernelINS0_14default_configENS1_20scan_config_selectorIlEEZZNS1_9scan_implILNS1_25lookback_scan_determinismE0ELb0ELb0ES3_PlS8_lN6thrust23THRUST_200600_302600_NS4plusIvEElEEDaPvRmT3_T4_T5_mT6_P12ihipStream_tbENKUlT_T0_E_clISt17integral_constantIbLb1EESQ_EEDaSL_SM_EUlSL_E_NS1_11comp_targetILNS1_3genE10ELNS1_11target_archE1200ELNS1_3gpuE4ELNS1_3repE0EEENS1_30default_config_static_selectorELNS0_4arch9wavefront6targetE0EEEvT1_,comdat
.Lfunc_end109:
	.size	_ZN7rocprim17ROCPRIM_400000_NS6detail17trampoline_kernelINS0_14default_configENS1_20scan_config_selectorIlEEZZNS1_9scan_implILNS1_25lookback_scan_determinismE0ELb0ELb0ES3_PlS8_lN6thrust23THRUST_200600_302600_NS4plusIvEElEEDaPvRmT3_T4_T5_mT6_P12ihipStream_tbENKUlT_T0_E_clISt17integral_constantIbLb1EESQ_EEDaSL_SM_EUlSL_E_NS1_11comp_targetILNS1_3genE10ELNS1_11target_archE1200ELNS1_3gpuE4ELNS1_3repE0EEENS1_30default_config_static_selectorELNS0_4arch9wavefront6targetE0EEEvT1_, .Lfunc_end109-_ZN7rocprim17ROCPRIM_400000_NS6detail17trampoline_kernelINS0_14default_configENS1_20scan_config_selectorIlEEZZNS1_9scan_implILNS1_25lookback_scan_determinismE0ELb0ELb0ES3_PlS8_lN6thrust23THRUST_200600_302600_NS4plusIvEElEEDaPvRmT3_T4_T5_mT6_P12ihipStream_tbENKUlT_T0_E_clISt17integral_constantIbLb1EESQ_EEDaSL_SM_EUlSL_E_NS1_11comp_targetILNS1_3genE10ELNS1_11target_archE1200ELNS1_3gpuE4ELNS1_3repE0EEENS1_30default_config_static_selectorELNS0_4arch9wavefront6targetE0EEEvT1_
                                        ; -- End function
	.set _ZN7rocprim17ROCPRIM_400000_NS6detail17trampoline_kernelINS0_14default_configENS1_20scan_config_selectorIlEEZZNS1_9scan_implILNS1_25lookback_scan_determinismE0ELb0ELb0ES3_PlS8_lN6thrust23THRUST_200600_302600_NS4plusIvEElEEDaPvRmT3_T4_T5_mT6_P12ihipStream_tbENKUlT_T0_E_clISt17integral_constantIbLb1EESQ_EEDaSL_SM_EUlSL_E_NS1_11comp_targetILNS1_3genE10ELNS1_11target_archE1200ELNS1_3gpuE4ELNS1_3repE0EEENS1_30default_config_static_selectorELNS0_4arch9wavefront6targetE0EEEvT1_.num_vgpr, 0
	.set _ZN7rocprim17ROCPRIM_400000_NS6detail17trampoline_kernelINS0_14default_configENS1_20scan_config_selectorIlEEZZNS1_9scan_implILNS1_25lookback_scan_determinismE0ELb0ELb0ES3_PlS8_lN6thrust23THRUST_200600_302600_NS4plusIvEElEEDaPvRmT3_T4_T5_mT6_P12ihipStream_tbENKUlT_T0_E_clISt17integral_constantIbLb1EESQ_EEDaSL_SM_EUlSL_E_NS1_11comp_targetILNS1_3genE10ELNS1_11target_archE1200ELNS1_3gpuE4ELNS1_3repE0EEENS1_30default_config_static_selectorELNS0_4arch9wavefront6targetE0EEEvT1_.num_agpr, 0
	.set _ZN7rocprim17ROCPRIM_400000_NS6detail17trampoline_kernelINS0_14default_configENS1_20scan_config_selectorIlEEZZNS1_9scan_implILNS1_25lookback_scan_determinismE0ELb0ELb0ES3_PlS8_lN6thrust23THRUST_200600_302600_NS4plusIvEElEEDaPvRmT3_T4_T5_mT6_P12ihipStream_tbENKUlT_T0_E_clISt17integral_constantIbLb1EESQ_EEDaSL_SM_EUlSL_E_NS1_11comp_targetILNS1_3genE10ELNS1_11target_archE1200ELNS1_3gpuE4ELNS1_3repE0EEENS1_30default_config_static_selectorELNS0_4arch9wavefront6targetE0EEEvT1_.numbered_sgpr, 0
	.set _ZN7rocprim17ROCPRIM_400000_NS6detail17trampoline_kernelINS0_14default_configENS1_20scan_config_selectorIlEEZZNS1_9scan_implILNS1_25lookback_scan_determinismE0ELb0ELb0ES3_PlS8_lN6thrust23THRUST_200600_302600_NS4plusIvEElEEDaPvRmT3_T4_T5_mT6_P12ihipStream_tbENKUlT_T0_E_clISt17integral_constantIbLb1EESQ_EEDaSL_SM_EUlSL_E_NS1_11comp_targetILNS1_3genE10ELNS1_11target_archE1200ELNS1_3gpuE4ELNS1_3repE0EEENS1_30default_config_static_selectorELNS0_4arch9wavefront6targetE0EEEvT1_.num_named_barrier, 0
	.set _ZN7rocprim17ROCPRIM_400000_NS6detail17trampoline_kernelINS0_14default_configENS1_20scan_config_selectorIlEEZZNS1_9scan_implILNS1_25lookback_scan_determinismE0ELb0ELb0ES3_PlS8_lN6thrust23THRUST_200600_302600_NS4plusIvEElEEDaPvRmT3_T4_T5_mT6_P12ihipStream_tbENKUlT_T0_E_clISt17integral_constantIbLb1EESQ_EEDaSL_SM_EUlSL_E_NS1_11comp_targetILNS1_3genE10ELNS1_11target_archE1200ELNS1_3gpuE4ELNS1_3repE0EEENS1_30default_config_static_selectorELNS0_4arch9wavefront6targetE0EEEvT1_.private_seg_size, 0
	.set _ZN7rocprim17ROCPRIM_400000_NS6detail17trampoline_kernelINS0_14default_configENS1_20scan_config_selectorIlEEZZNS1_9scan_implILNS1_25lookback_scan_determinismE0ELb0ELb0ES3_PlS8_lN6thrust23THRUST_200600_302600_NS4plusIvEElEEDaPvRmT3_T4_T5_mT6_P12ihipStream_tbENKUlT_T0_E_clISt17integral_constantIbLb1EESQ_EEDaSL_SM_EUlSL_E_NS1_11comp_targetILNS1_3genE10ELNS1_11target_archE1200ELNS1_3gpuE4ELNS1_3repE0EEENS1_30default_config_static_selectorELNS0_4arch9wavefront6targetE0EEEvT1_.uses_vcc, 0
	.set _ZN7rocprim17ROCPRIM_400000_NS6detail17trampoline_kernelINS0_14default_configENS1_20scan_config_selectorIlEEZZNS1_9scan_implILNS1_25lookback_scan_determinismE0ELb0ELb0ES3_PlS8_lN6thrust23THRUST_200600_302600_NS4plusIvEElEEDaPvRmT3_T4_T5_mT6_P12ihipStream_tbENKUlT_T0_E_clISt17integral_constantIbLb1EESQ_EEDaSL_SM_EUlSL_E_NS1_11comp_targetILNS1_3genE10ELNS1_11target_archE1200ELNS1_3gpuE4ELNS1_3repE0EEENS1_30default_config_static_selectorELNS0_4arch9wavefront6targetE0EEEvT1_.uses_flat_scratch, 0
	.set _ZN7rocprim17ROCPRIM_400000_NS6detail17trampoline_kernelINS0_14default_configENS1_20scan_config_selectorIlEEZZNS1_9scan_implILNS1_25lookback_scan_determinismE0ELb0ELb0ES3_PlS8_lN6thrust23THRUST_200600_302600_NS4plusIvEElEEDaPvRmT3_T4_T5_mT6_P12ihipStream_tbENKUlT_T0_E_clISt17integral_constantIbLb1EESQ_EEDaSL_SM_EUlSL_E_NS1_11comp_targetILNS1_3genE10ELNS1_11target_archE1200ELNS1_3gpuE4ELNS1_3repE0EEENS1_30default_config_static_selectorELNS0_4arch9wavefront6targetE0EEEvT1_.has_dyn_sized_stack, 0
	.set _ZN7rocprim17ROCPRIM_400000_NS6detail17trampoline_kernelINS0_14default_configENS1_20scan_config_selectorIlEEZZNS1_9scan_implILNS1_25lookback_scan_determinismE0ELb0ELb0ES3_PlS8_lN6thrust23THRUST_200600_302600_NS4plusIvEElEEDaPvRmT3_T4_T5_mT6_P12ihipStream_tbENKUlT_T0_E_clISt17integral_constantIbLb1EESQ_EEDaSL_SM_EUlSL_E_NS1_11comp_targetILNS1_3genE10ELNS1_11target_archE1200ELNS1_3gpuE4ELNS1_3repE0EEENS1_30default_config_static_selectorELNS0_4arch9wavefront6targetE0EEEvT1_.has_recursion, 0
	.set _ZN7rocprim17ROCPRIM_400000_NS6detail17trampoline_kernelINS0_14default_configENS1_20scan_config_selectorIlEEZZNS1_9scan_implILNS1_25lookback_scan_determinismE0ELb0ELb0ES3_PlS8_lN6thrust23THRUST_200600_302600_NS4plusIvEElEEDaPvRmT3_T4_T5_mT6_P12ihipStream_tbENKUlT_T0_E_clISt17integral_constantIbLb1EESQ_EEDaSL_SM_EUlSL_E_NS1_11comp_targetILNS1_3genE10ELNS1_11target_archE1200ELNS1_3gpuE4ELNS1_3repE0EEENS1_30default_config_static_selectorELNS0_4arch9wavefront6targetE0EEEvT1_.has_indirect_call, 0
	.section	.AMDGPU.csdata,"",@progbits
; Kernel info:
; codeLenInByte = 0
; TotalNumSgprs: 0
; NumVgprs: 0
; ScratchSize: 0
; MemoryBound: 0
; FloatMode: 240
; IeeeMode: 1
; LDSByteSize: 0 bytes/workgroup (compile time only)
; SGPRBlocks: 0
; VGPRBlocks: 0
; NumSGPRsForWavesPerEU: 1
; NumVGPRsForWavesPerEU: 1
; NamedBarCnt: 0
; Occupancy: 16
; WaveLimiterHint : 0
; COMPUTE_PGM_RSRC2:SCRATCH_EN: 0
; COMPUTE_PGM_RSRC2:USER_SGPR: 2
; COMPUTE_PGM_RSRC2:TRAP_HANDLER: 0
; COMPUTE_PGM_RSRC2:TGID_X_EN: 1
; COMPUTE_PGM_RSRC2:TGID_Y_EN: 0
; COMPUTE_PGM_RSRC2:TGID_Z_EN: 0
; COMPUTE_PGM_RSRC2:TIDIG_COMP_CNT: 0
	.section	.text._ZN7rocprim17ROCPRIM_400000_NS6detail17trampoline_kernelINS0_14default_configENS1_20scan_config_selectorIlEEZZNS1_9scan_implILNS1_25lookback_scan_determinismE0ELb0ELb0ES3_PlS8_lN6thrust23THRUST_200600_302600_NS4plusIvEElEEDaPvRmT3_T4_T5_mT6_P12ihipStream_tbENKUlT_T0_E_clISt17integral_constantIbLb1EESQ_EEDaSL_SM_EUlSL_E_NS1_11comp_targetILNS1_3genE9ELNS1_11target_archE1100ELNS1_3gpuE3ELNS1_3repE0EEENS1_30default_config_static_selectorELNS0_4arch9wavefront6targetE0EEEvT1_,"axG",@progbits,_ZN7rocprim17ROCPRIM_400000_NS6detail17trampoline_kernelINS0_14default_configENS1_20scan_config_selectorIlEEZZNS1_9scan_implILNS1_25lookback_scan_determinismE0ELb0ELb0ES3_PlS8_lN6thrust23THRUST_200600_302600_NS4plusIvEElEEDaPvRmT3_T4_T5_mT6_P12ihipStream_tbENKUlT_T0_E_clISt17integral_constantIbLb1EESQ_EEDaSL_SM_EUlSL_E_NS1_11comp_targetILNS1_3genE9ELNS1_11target_archE1100ELNS1_3gpuE3ELNS1_3repE0EEENS1_30default_config_static_selectorELNS0_4arch9wavefront6targetE0EEEvT1_,comdat
	.protected	_ZN7rocprim17ROCPRIM_400000_NS6detail17trampoline_kernelINS0_14default_configENS1_20scan_config_selectorIlEEZZNS1_9scan_implILNS1_25lookback_scan_determinismE0ELb0ELb0ES3_PlS8_lN6thrust23THRUST_200600_302600_NS4plusIvEElEEDaPvRmT3_T4_T5_mT6_P12ihipStream_tbENKUlT_T0_E_clISt17integral_constantIbLb1EESQ_EEDaSL_SM_EUlSL_E_NS1_11comp_targetILNS1_3genE9ELNS1_11target_archE1100ELNS1_3gpuE3ELNS1_3repE0EEENS1_30default_config_static_selectorELNS0_4arch9wavefront6targetE0EEEvT1_ ; -- Begin function _ZN7rocprim17ROCPRIM_400000_NS6detail17trampoline_kernelINS0_14default_configENS1_20scan_config_selectorIlEEZZNS1_9scan_implILNS1_25lookback_scan_determinismE0ELb0ELb0ES3_PlS8_lN6thrust23THRUST_200600_302600_NS4plusIvEElEEDaPvRmT3_T4_T5_mT6_P12ihipStream_tbENKUlT_T0_E_clISt17integral_constantIbLb1EESQ_EEDaSL_SM_EUlSL_E_NS1_11comp_targetILNS1_3genE9ELNS1_11target_archE1100ELNS1_3gpuE3ELNS1_3repE0EEENS1_30default_config_static_selectorELNS0_4arch9wavefront6targetE0EEEvT1_
	.globl	_ZN7rocprim17ROCPRIM_400000_NS6detail17trampoline_kernelINS0_14default_configENS1_20scan_config_selectorIlEEZZNS1_9scan_implILNS1_25lookback_scan_determinismE0ELb0ELb0ES3_PlS8_lN6thrust23THRUST_200600_302600_NS4plusIvEElEEDaPvRmT3_T4_T5_mT6_P12ihipStream_tbENKUlT_T0_E_clISt17integral_constantIbLb1EESQ_EEDaSL_SM_EUlSL_E_NS1_11comp_targetILNS1_3genE9ELNS1_11target_archE1100ELNS1_3gpuE3ELNS1_3repE0EEENS1_30default_config_static_selectorELNS0_4arch9wavefront6targetE0EEEvT1_
	.p2align	8
	.type	_ZN7rocprim17ROCPRIM_400000_NS6detail17trampoline_kernelINS0_14default_configENS1_20scan_config_selectorIlEEZZNS1_9scan_implILNS1_25lookback_scan_determinismE0ELb0ELb0ES3_PlS8_lN6thrust23THRUST_200600_302600_NS4plusIvEElEEDaPvRmT3_T4_T5_mT6_P12ihipStream_tbENKUlT_T0_E_clISt17integral_constantIbLb1EESQ_EEDaSL_SM_EUlSL_E_NS1_11comp_targetILNS1_3genE9ELNS1_11target_archE1100ELNS1_3gpuE3ELNS1_3repE0EEENS1_30default_config_static_selectorELNS0_4arch9wavefront6targetE0EEEvT1_,@function
_ZN7rocprim17ROCPRIM_400000_NS6detail17trampoline_kernelINS0_14default_configENS1_20scan_config_selectorIlEEZZNS1_9scan_implILNS1_25lookback_scan_determinismE0ELb0ELb0ES3_PlS8_lN6thrust23THRUST_200600_302600_NS4plusIvEElEEDaPvRmT3_T4_T5_mT6_P12ihipStream_tbENKUlT_T0_E_clISt17integral_constantIbLb1EESQ_EEDaSL_SM_EUlSL_E_NS1_11comp_targetILNS1_3genE9ELNS1_11target_archE1100ELNS1_3gpuE3ELNS1_3repE0EEENS1_30default_config_static_selectorELNS0_4arch9wavefront6targetE0EEEvT1_: ; @_ZN7rocprim17ROCPRIM_400000_NS6detail17trampoline_kernelINS0_14default_configENS1_20scan_config_selectorIlEEZZNS1_9scan_implILNS1_25lookback_scan_determinismE0ELb0ELb0ES3_PlS8_lN6thrust23THRUST_200600_302600_NS4plusIvEElEEDaPvRmT3_T4_T5_mT6_P12ihipStream_tbENKUlT_T0_E_clISt17integral_constantIbLb1EESQ_EEDaSL_SM_EUlSL_E_NS1_11comp_targetILNS1_3genE9ELNS1_11target_archE1100ELNS1_3gpuE3ELNS1_3repE0EEENS1_30default_config_static_selectorELNS0_4arch9wavefront6targetE0EEEvT1_
; %bb.0:
	.section	.rodata,"a",@progbits
	.p2align	6, 0x0
	.amdhsa_kernel _ZN7rocprim17ROCPRIM_400000_NS6detail17trampoline_kernelINS0_14default_configENS1_20scan_config_selectorIlEEZZNS1_9scan_implILNS1_25lookback_scan_determinismE0ELb0ELb0ES3_PlS8_lN6thrust23THRUST_200600_302600_NS4plusIvEElEEDaPvRmT3_T4_T5_mT6_P12ihipStream_tbENKUlT_T0_E_clISt17integral_constantIbLb1EESQ_EEDaSL_SM_EUlSL_E_NS1_11comp_targetILNS1_3genE9ELNS1_11target_archE1100ELNS1_3gpuE3ELNS1_3repE0EEENS1_30default_config_static_selectorELNS0_4arch9wavefront6targetE0EEEvT1_
		.amdhsa_group_segment_fixed_size 0
		.amdhsa_private_segment_fixed_size 0
		.amdhsa_kernarg_size 104
		.amdhsa_user_sgpr_count 2
		.amdhsa_user_sgpr_dispatch_ptr 0
		.amdhsa_user_sgpr_queue_ptr 0
		.amdhsa_user_sgpr_kernarg_segment_ptr 1
		.amdhsa_user_sgpr_dispatch_id 0
		.amdhsa_user_sgpr_kernarg_preload_length 0
		.amdhsa_user_sgpr_kernarg_preload_offset 0
		.amdhsa_user_sgpr_private_segment_size 0
		.amdhsa_wavefront_size32 1
		.amdhsa_uses_dynamic_stack 0
		.amdhsa_enable_private_segment 0
		.amdhsa_system_sgpr_workgroup_id_x 1
		.amdhsa_system_sgpr_workgroup_id_y 0
		.amdhsa_system_sgpr_workgroup_id_z 0
		.amdhsa_system_sgpr_workgroup_info 0
		.amdhsa_system_vgpr_workitem_id 0
		.amdhsa_next_free_vgpr 1
		.amdhsa_next_free_sgpr 1
		.amdhsa_named_barrier_count 0
		.amdhsa_reserve_vcc 0
		.amdhsa_float_round_mode_32 0
		.amdhsa_float_round_mode_16_64 0
		.amdhsa_float_denorm_mode_32 3
		.amdhsa_float_denorm_mode_16_64 3
		.amdhsa_fp16_overflow 0
		.amdhsa_memory_ordered 1
		.amdhsa_forward_progress 1
		.amdhsa_inst_pref_size 0
		.amdhsa_round_robin_scheduling 0
		.amdhsa_exception_fp_ieee_invalid_op 0
		.amdhsa_exception_fp_denorm_src 0
		.amdhsa_exception_fp_ieee_div_zero 0
		.amdhsa_exception_fp_ieee_overflow 0
		.amdhsa_exception_fp_ieee_underflow 0
		.amdhsa_exception_fp_ieee_inexact 0
		.amdhsa_exception_int_div_zero 0
	.end_amdhsa_kernel
	.section	.text._ZN7rocprim17ROCPRIM_400000_NS6detail17trampoline_kernelINS0_14default_configENS1_20scan_config_selectorIlEEZZNS1_9scan_implILNS1_25lookback_scan_determinismE0ELb0ELb0ES3_PlS8_lN6thrust23THRUST_200600_302600_NS4plusIvEElEEDaPvRmT3_T4_T5_mT6_P12ihipStream_tbENKUlT_T0_E_clISt17integral_constantIbLb1EESQ_EEDaSL_SM_EUlSL_E_NS1_11comp_targetILNS1_3genE9ELNS1_11target_archE1100ELNS1_3gpuE3ELNS1_3repE0EEENS1_30default_config_static_selectorELNS0_4arch9wavefront6targetE0EEEvT1_,"axG",@progbits,_ZN7rocprim17ROCPRIM_400000_NS6detail17trampoline_kernelINS0_14default_configENS1_20scan_config_selectorIlEEZZNS1_9scan_implILNS1_25lookback_scan_determinismE0ELb0ELb0ES3_PlS8_lN6thrust23THRUST_200600_302600_NS4plusIvEElEEDaPvRmT3_T4_T5_mT6_P12ihipStream_tbENKUlT_T0_E_clISt17integral_constantIbLb1EESQ_EEDaSL_SM_EUlSL_E_NS1_11comp_targetILNS1_3genE9ELNS1_11target_archE1100ELNS1_3gpuE3ELNS1_3repE0EEENS1_30default_config_static_selectorELNS0_4arch9wavefront6targetE0EEEvT1_,comdat
.Lfunc_end110:
	.size	_ZN7rocprim17ROCPRIM_400000_NS6detail17trampoline_kernelINS0_14default_configENS1_20scan_config_selectorIlEEZZNS1_9scan_implILNS1_25lookback_scan_determinismE0ELb0ELb0ES3_PlS8_lN6thrust23THRUST_200600_302600_NS4plusIvEElEEDaPvRmT3_T4_T5_mT6_P12ihipStream_tbENKUlT_T0_E_clISt17integral_constantIbLb1EESQ_EEDaSL_SM_EUlSL_E_NS1_11comp_targetILNS1_3genE9ELNS1_11target_archE1100ELNS1_3gpuE3ELNS1_3repE0EEENS1_30default_config_static_selectorELNS0_4arch9wavefront6targetE0EEEvT1_, .Lfunc_end110-_ZN7rocprim17ROCPRIM_400000_NS6detail17trampoline_kernelINS0_14default_configENS1_20scan_config_selectorIlEEZZNS1_9scan_implILNS1_25lookback_scan_determinismE0ELb0ELb0ES3_PlS8_lN6thrust23THRUST_200600_302600_NS4plusIvEElEEDaPvRmT3_T4_T5_mT6_P12ihipStream_tbENKUlT_T0_E_clISt17integral_constantIbLb1EESQ_EEDaSL_SM_EUlSL_E_NS1_11comp_targetILNS1_3genE9ELNS1_11target_archE1100ELNS1_3gpuE3ELNS1_3repE0EEENS1_30default_config_static_selectorELNS0_4arch9wavefront6targetE0EEEvT1_
                                        ; -- End function
	.set _ZN7rocprim17ROCPRIM_400000_NS6detail17trampoline_kernelINS0_14default_configENS1_20scan_config_selectorIlEEZZNS1_9scan_implILNS1_25lookback_scan_determinismE0ELb0ELb0ES3_PlS8_lN6thrust23THRUST_200600_302600_NS4plusIvEElEEDaPvRmT3_T4_T5_mT6_P12ihipStream_tbENKUlT_T0_E_clISt17integral_constantIbLb1EESQ_EEDaSL_SM_EUlSL_E_NS1_11comp_targetILNS1_3genE9ELNS1_11target_archE1100ELNS1_3gpuE3ELNS1_3repE0EEENS1_30default_config_static_selectorELNS0_4arch9wavefront6targetE0EEEvT1_.num_vgpr, 0
	.set _ZN7rocprim17ROCPRIM_400000_NS6detail17trampoline_kernelINS0_14default_configENS1_20scan_config_selectorIlEEZZNS1_9scan_implILNS1_25lookback_scan_determinismE0ELb0ELb0ES3_PlS8_lN6thrust23THRUST_200600_302600_NS4plusIvEElEEDaPvRmT3_T4_T5_mT6_P12ihipStream_tbENKUlT_T0_E_clISt17integral_constantIbLb1EESQ_EEDaSL_SM_EUlSL_E_NS1_11comp_targetILNS1_3genE9ELNS1_11target_archE1100ELNS1_3gpuE3ELNS1_3repE0EEENS1_30default_config_static_selectorELNS0_4arch9wavefront6targetE0EEEvT1_.num_agpr, 0
	.set _ZN7rocprim17ROCPRIM_400000_NS6detail17trampoline_kernelINS0_14default_configENS1_20scan_config_selectorIlEEZZNS1_9scan_implILNS1_25lookback_scan_determinismE0ELb0ELb0ES3_PlS8_lN6thrust23THRUST_200600_302600_NS4plusIvEElEEDaPvRmT3_T4_T5_mT6_P12ihipStream_tbENKUlT_T0_E_clISt17integral_constantIbLb1EESQ_EEDaSL_SM_EUlSL_E_NS1_11comp_targetILNS1_3genE9ELNS1_11target_archE1100ELNS1_3gpuE3ELNS1_3repE0EEENS1_30default_config_static_selectorELNS0_4arch9wavefront6targetE0EEEvT1_.numbered_sgpr, 0
	.set _ZN7rocprim17ROCPRIM_400000_NS6detail17trampoline_kernelINS0_14default_configENS1_20scan_config_selectorIlEEZZNS1_9scan_implILNS1_25lookback_scan_determinismE0ELb0ELb0ES3_PlS8_lN6thrust23THRUST_200600_302600_NS4plusIvEElEEDaPvRmT3_T4_T5_mT6_P12ihipStream_tbENKUlT_T0_E_clISt17integral_constantIbLb1EESQ_EEDaSL_SM_EUlSL_E_NS1_11comp_targetILNS1_3genE9ELNS1_11target_archE1100ELNS1_3gpuE3ELNS1_3repE0EEENS1_30default_config_static_selectorELNS0_4arch9wavefront6targetE0EEEvT1_.num_named_barrier, 0
	.set _ZN7rocprim17ROCPRIM_400000_NS6detail17trampoline_kernelINS0_14default_configENS1_20scan_config_selectorIlEEZZNS1_9scan_implILNS1_25lookback_scan_determinismE0ELb0ELb0ES3_PlS8_lN6thrust23THRUST_200600_302600_NS4plusIvEElEEDaPvRmT3_T4_T5_mT6_P12ihipStream_tbENKUlT_T0_E_clISt17integral_constantIbLb1EESQ_EEDaSL_SM_EUlSL_E_NS1_11comp_targetILNS1_3genE9ELNS1_11target_archE1100ELNS1_3gpuE3ELNS1_3repE0EEENS1_30default_config_static_selectorELNS0_4arch9wavefront6targetE0EEEvT1_.private_seg_size, 0
	.set _ZN7rocprim17ROCPRIM_400000_NS6detail17trampoline_kernelINS0_14default_configENS1_20scan_config_selectorIlEEZZNS1_9scan_implILNS1_25lookback_scan_determinismE0ELb0ELb0ES3_PlS8_lN6thrust23THRUST_200600_302600_NS4plusIvEElEEDaPvRmT3_T4_T5_mT6_P12ihipStream_tbENKUlT_T0_E_clISt17integral_constantIbLb1EESQ_EEDaSL_SM_EUlSL_E_NS1_11comp_targetILNS1_3genE9ELNS1_11target_archE1100ELNS1_3gpuE3ELNS1_3repE0EEENS1_30default_config_static_selectorELNS0_4arch9wavefront6targetE0EEEvT1_.uses_vcc, 0
	.set _ZN7rocprim17ROCPRIM_400000_NS6detail17trampoline_kernelINS0_14default_configENS1_20scan_config_selectorIlEEZZNS1_9scan_implILNS1_25lookback_scan_determinismE0ELb0ELb0ES3_PlS8_lN6thrust23THRUST_200600_302600_NS4plusIvEElEEDaPvRmT3_T4_T5_mT6_P12ihipStream_tbENKUlT_T0_E_clISt17integral_constantIbLb1EESQ_EEDaSL_SM_EUlSL_E_NS1_11comp_targetILNS1_3genE9ELNS1_11target_archE1100ELNS1_3gpuE3ELNS1_3repE0EEENS1_30default_config_static_selectorELNS0_4arch9wavefront6targetE0EEEvT1_.uses_flat_scratch, 0
	.set _ZN7rocprim17ROCPRIM_400000_NS6detail17trampoline_kernelINS0_14default_configENS1_20scan_config_selectorIlEEZZNS1_9scan_implILNS1_25lookback_scan_determinismE0ELb0ELb0ES3_PlS8_lN6thrust23THRUST_200600_302600_NS4plusIvEElEEDaPvRmT3_T4_T5_mT6_P12ihipStream_tbENKUlT_T0_E_clISt17integral_constantIbLb1EESQ_EEDaSL_SM_EUlSL_E_NS1_11comp_targetILNS1_3genE9ELNS1_11target_archE1100ELNS1_3gpuE3ELNS1_3repE0EEENS1_30default_config_static_selectorELNS0_4arch9wavefront6targetE0EEEvT1_.has_dyn_sized_stack, 0
	.set _ZN7rocprim17ROCPRIM_400000_NS6detail17trampoline_kernelINS0_14default_configENS1_20scan_config_selectorIlEEZZNS1_9scan_implILNS1_25lookback_scan_determinismE0ELb0ELb0ES3_PlS8_lN6thrust23THRUST_200600_302600_NS4plusIvEElEEDaPvRmT3_T4_T5_mT6_P12ihipStream_tbENKUlT_T0_E_clISt17integral_constantIbLb1EESQ_EEDaSL_SM_EUlSL_E_NS1_11comp_targetILNS1_3genE9ELNS1_11target_archE1100ELNS1_3gpuE3ELNS1_3repE0EEENS1_30default_config_static_selectorELNS0_4arch9wavefront6targetE0EEEvT1_.has_recursion, 0
	.set _ZN7rocprim17ROCPRIM_400000_NS6detail17trampoline_kernelINS0_14default_configENS1_20scan_config_selectorIlEEZZNS1_9scan_implILNS1_25lookback_scan_determinismE0ELb0ELb0ES3_PlS8_lN6thrust23THRUST_200600_302600_NS4plusIvEElEEDaPvRmT3_T4_T5_mT6_P12ihipStream_tbENKUlT_T0_E_clISt17integral_constantIbLb1EESQ_EEDaSL_SM_EUlSL_E_NS1_11comp_targetILNS1_3genE9ELNS1_11target_archE1100ELNS1_3gpuE3ELNS1_3repE0EEENS1_30default_config_static_selectorELNS0_4arch9wavefront6targetE0EEEvT1_.has_indirect_call, 0
	.section	.AMDGPU.csdata,"",@progbits
; Kernel info:
; codeLenInByte = 0
; TotalNumSgprs: 0
; NumVgprs: 0
; ScratchSize: 0
; MemoryBound: 0
; FloatMode: 240
; IeeeMode: 1
; LDSByteSize: 0 bytes/workgroup (compile time only)
; SGPRBlocks: 0
; VGPRBlocks: 0
; NumSGPRsForWavesPerEU: 1
; NumVGPRsForWavesPerEU: 1
; NamedBarCnt: 0
; Occupancy: 16
; WaveLimiterHint : 0
; COMPUTE_PGM_RSRC2:SCRATCH_EN: 0
; COMPUTE_PGM_RSRC2:USER_SGPR: 2
; COMPUTE_PGM_RSRC2:TRAP_HANDLER: 0
; COMPUTE_PGM_RSRC2:TGID_X_EN: 1
; COMPUTE_PGM_RSRC2:TGID_Y_EN: 0
; COMPUTE_PGM_RSRC2:TGID_Z_EN: 0
; COMPUTE_PGM_RSRC2:TIDIG_COMP_CNT: 0
	.section	.text._ZN7rocprim17ROCPRIM_400000_NS6detail17trampoline_kernelINS0_14default_configENS1_20scan_config_selectorIlEEZZNS1_9scan_implILNS1_25lookback_scan_determinismE0ELb0ELb0ES3_PlS8_lN6thrust23THRUST_200600_302600_NS4plusIvEElEEDaPvRmT3_T4_T5_mT6_P12ihipStream_tbENKUlT_T0_E_clISt17integral_constantIbLb1EESQ_EEDaSL_SM_EUlSL_E_NS1_11comp_targetILNS1_3genE8ELNS1_11target_archE1030ELNS1_3gpuE2ELNS1_3repE0EEENS1_30default_config_static_selectorELNS0_4arch9wavefront6targetE0EEEvT1_,"axG",@progbits,_ZN7rocprim17ROCPRIM_400000_NS6detail17trampoline_kernelINS0_14default_configENS1_20scan_config_selectorIlEEZZNS1_9scan_implILNS1_25lookback_scan_determinismE0ELb0ELb0ES3_PlS8_lN6thrust23THRUST_200600_302600_NS4plusIvEElEEDaPvRmT3_T4_T5_mT6_P12ihipStream_tbENKUlT_T0_E_clISt17integral_constantIbLb1EESQ_EEDaSL_SM_EUlSL_E_NS1_11comp_targetILNS1_3genE8ELNS1_11target_archE1030ELNS1_3gpuE2ELNS1_3repE0EEENS1_30default_config_static_selectorELNS0_4arch9wavefront6targetE0EEEvT1_,comdat
	.protected	_ZN7rocprim17ROCPRIM_400000_NS6detail17trampoline_kernelINS0_14default_configENS1_20scan_config_selectorIlEEZZNS1_9scan_implILNS1_25lookback_scan_determinismE0ELb0ELb0ES3_PlS8_lN6thrust23THRUST_200600_302600_NS4plusIvEElEEDaPvRmT3_T4_T5_mT6_P12ihipStream_tbENKUlT_T0_E_clISt17integral_constantIbLb1EESQ_EEDaSL_SM_EUlSL_E_NS1_11comp_targetILNS1_3genE8ELNS1_11target_archE1030ELNS1_3gpuE2ELNS1_3repE0EEENS1_30default_config_static_selectorELNS0_4arch9wavefront6targetE0EEEvT1_ ; -- Begin function _ZN7rocprim17ROCPRIM_400000_NS6detail17trampoline_kernelINS0_14default_configENS1_20scan_config_selectorIlEEZZNS1_9scan_implILNS1_25lookback_scan_determinismE0ELb0ELb0ES3_PlS8_lN6thrust23THRUST_200600_302600_NS4plusIvEElEEDaPvRmT3_T4_T5_mT6_P12ihipStream_tbENKUlT_T0_E_clISt17integral_constantIbLb1EESQ_EEDaSL_SM_EUlSL_E_NS1_11comp_targetILNS1_3genE8ELNS1_11target_archE1030ELNS1_3gpuE2ELNS1_3repE0EEENS1_30default_config_static_selectorELNS0_4arch9wavefront6targetE0EEEvT1_
	.globl	_ZN7rocprim17ROCPRIM_400000_NS6detail17trampoline_kernelINS0_14default_configENS1_20scan_config_selectorIlEEZZNS1_9scan_implILNS1_25lookback_scan_determinismE0ELb0ELb0ES3_PlS8_lN6thrust23THRUST_200600_302600_NS4plusIvEElEEDaPvRmT3_T4_T5_mT6_P12ihipStream_tbENKUlT_T0_E_clISt17integral_constantIbLb1EESQ_EEDaSL_SM_EUlSL_E_NS1_11comp_targetILNS1_3genE8ELNS1_11target_archE1030ELNS1_3gpuE2ELNS1_3repE0EEENS1_30default_config_static_selectorELNS0_4arch9wavefront6targetE0EEEvT1_
	.p2align	8
	.type	_ZN7rocprim17ROCPRIM_400000_NS6detail17trampoline_kernelINS0_14default_configENS1_20scan_config_selectorIlEEZZNS1_9scan_implILNS1_25lookback_scan_determinismE0ELb0ELb0ES3_PlS8_lN6thrust23THRUST_200600_302600_NS4plusIvEElEEDaPvRmT3_T4_T5_mT6_P12ihipStream_tbENKUlT_T0_E_clISt17integral_constantIbLb1EESQ_EEDaSL_SM_EUlSL_E_NS1_11comp_targetILNS1_3genE8ELNS1_11target_archE1030ELNS1_3gpuE2ELNS1_3repE0EEENS1_30default_config_static_selectorELNS0_4arch9wavefront6targetE0EEEvT1_,@function
_ZN7rocprim17ROCPRIM_400000_NS6detail17trampoline_kernelINS0_14default_configENS1_20scan_config_selectorIlEEZZNS1_9scan_implILNS1_25lookback_scan_determinismE0ELb0ELb0ES3_PlS8_lN6thrust23THRUST_200600_302600_NS4plusIvEElEEDaPvRmT3_T4_T5_mT6_P12ihipStream_tbENKUlT_T0_E_clISt17integral_constantIbLb1EESQ_EEDaSL_SM_EUlSL_E_NS1_11comp_targetILNS1_3genE8ELNS1_11target_archE1030ELNS1_3gpuE2ELNS1_3repE0EEENS1_30default_config_static_selectorELNS0_4arch9wavefront6targetE0EEEvT1_: ; @_ZN7rocprim17ROCPRIM_400000_NS6detail17trampoline_kernelINS0_14default_configENS1_20scan_config_selectorIlEEZZNS1_9scan_implILNS1_25lookback_scan_determinismE0ELb0ELb0ES3_PlS8_lN6thrust23THRUST_200600_302600_NS4plusIvEElEEDaPvRmT3_T4_T5_mT6_P12ihipStream_tbENKUlT_T0_E_clISt17integral_constantIbLb1EESQ_EEDaSL_SM_EUlSL_E_NS1_11comp_targetILNS1_3genE8ELNS1_11target_archE1030ELNS1_3gpuE2ELNS1_3repE0EEENS1_30default_config_static_selectorELNS0_4arch9wavefront6targetE0EEEvT1_
; %bb.0:
	.section	.rodata,"a",@progbits
	.p2align	6, 0x0
	.amdhsa_kernel _ZN7rocprim17ROCPRIM_400000_NS6detail17trampoline_kernelINS0_14default_configENS1_20scan_config_selectorIlEEZZNS1_9scan_implILNS1_25lookback_scan_determinismE0ELb0ELb0ES3_PlS8_lN6thrust23THRUST_200600_302600_NS4plusIvEElEEDaPvRmT3_T4_T5_mT6_P12ihipStream_tbENKUlT_T0_E_clISt17integral_constantIbLb1EESQ_EEDaSL_SM_EUlSL_E_NS1_11comp_targetILNS1_3genE8ELNS1_11target_archE1030ELNS1_3gpuE2ELNS1_3repE0EEENS1_30default_config_static_selectorELNS0_4arch9wavefront6targetE0EEEvT1_
		.amdhsa_group_segment_fixed_size 0
		.amdhsa_private_segment_fixed_size 0
		.amdhsa_kernarg_size 104
		.amdhsa_user_sgpr_count 2
		.amdhsa_user_sgpr_dispatch_ptr 0
		.amdhsa_user_sgpr_queue_ptr 0
		.amdhsa_user_sgpr_kernarg_segment_ptr 1
		.amdhsa_user_sgpr_dispatch_id 0
		.amdhsa_user_sgpr_kernarg_preload_length 0
		.amdhsa_user_sgpr_kernarg_preload_offset 0
		.amdhsa_user_sgpr_private_segment_size 0
		.amdhsa_wavefront_size32 1
		.amdhsa_uses_dynamic_stack 0
		.amdhsa_enable_private_segment 0
		.amdhsa_system_sgpr_workgroup_id_x 1
		.amdhsa_system_sgpr_workgroup_id_y 0
		.amdhsa_system_sgpr_workgroup_id_z 0
		.amdhsa_system_sgpr_workgroup_info 0
		.amdhsa_system_vgpr_workitem_id 0
		.amdhsa_next_free_vgpr 1
		.amdhsa_next_free_sgpr 1
		.amdhsa_named_barrier_count 0
		.amdhsa_reserve_vcc 0
		.amdhsa_float_round_mode_32 0
		.amdhsa_float_round_mode_16_64 0
		.amdhsa_float_denorm_mode_32 3
		.amdhsa_float_denorm_mode_16_64 3
		.amdhsa_fp16_overflow 0
		.amdhsa_memory_ordered 1
		.amdhsa_forward_progress 1
		.amdhsa_inst_pref_size 0
		.amdhsa_round_robin_scheduling 0
		.amdhsa_exception_fp_ieee_invalid_op 0
		.amdhsa_exception_fp_denorm_src 0
		.amdhsa_exception_fp_ieee_div_zero 0
		.amdhsa_exception_fp_ieee_overflow 0
		.amdhsa_exception_fp_ieee_underflow 0
		.amdhsa_exception_fp_ieee_inexact 0
		.amdhsa_exception_int_div_zero 0
	.end_amdhsa_kernel
	.section	.text._ZN7rocprim17ROCPRIM_400000_NS6detail17trampoline_kernelINS0_14default_configENS1_20scan_config_selectorIlEEZZNS1_9scan_implILNS1_25lookback_scan_determinismE0ELb0ELb0ES3_PlS8_lN6thrust23THRUST_200600_302600_NS4plusIvEElEEDaPvRmT3_T4_T5_mT6_P12ihipStream_tbENKUlT_T0_E_clISt17integral_constantIbLb1EESQ_EEDaSL_SM_EUlSL_E_NS1_11comp_targetILNS1_3genE8ELNS1_11target_archE1030ELNS1_3gpuE2ELNS1_3repE0EEENS1_30default_config_static_selectorELNS0_4arch9wavefront6targetE0EEEvT1_,"axG",@progbits,_ZN7rocprim17ROCPRIM_400000_NS6detail17trampoline_kernelINS0_14default_configENS1_20scan_config_selectorIlEEZZNS1_9scan_implILNS1_25lookback_scan_determinismE0ELb0ELb0ES3_PlS8_lN6thrust23THRUST_200600_302600_NS4plusIvEElEEDaPvRmT3_T4_T5_mT6_P12ihipStream_tbENKUlT_T0_E_clISt17integral_constantIbLb1EESQ_EEDaSL_SM_EUlSL_E_NS1_11comp_targetILNS1_3genE8ELNS1_11target_archE1030ELNS1_3gpuE2ELNS1_3repE0EEENS1_30default_config_static_selectorELNS0_4arch9wavefront6targetE0EEEvT1_,comdat
.Lfunc_end111:
	.size	_ZN7rocprim17ROCPRIM_400000_NS6detail17trampoline_kernelINS0_14default_configENS1_20scan_config_selectorIlEEZZNS1_9scan_implILNS1_25lookback_scan_determinismE0ELb0ELb0ES3_PlS8_lN6thrust23THRUST_200600_302600_NS4plusIvEElEEDaPvRmT3_T4_T5_mT6_P12ihipStream_tbENKUlT_T0_E_clISt17integral_constantIbLb1EESQ_EEDaSL_SM_EUlSL_E_NS1_11comp_targetILNS1_3genE8ELNS1_11target_archE1030ELNS1_3gpuE2ELNS1_3repE0EEENS1_30default_config_static_selectorELNS0_4arch9wavefront6targetE0EEEvT1_, .Lfunc_end111-_ZN7rocprim17ROCPRIM_400000_NS6detail17trampoline_kernelINS0_14default_configENS1_20scan_config_selectorIlEEZZNS1_9scan_implILNS1_25lookback_scan_determinismE0ELb0ELb0ES3_PlS8_lN6thrust23THRUST_200600_302600_NS4plusIvEElEEDaPvRmT3_T4_T5_mT6_P12ihipStream_tbENKUlT_T0_E_clISt17integral_constantIbLb1EESQ_EEDaSL_SM_EUlSL_E_NS1_11comp_targetILNS1_3genE8ELNS1_11target_archE1030ELNS1_3gpuE2ELNS1_3repE0EEENS1_30default_config_static_selectorELNS0_4arch9wavefront6targetE0EEEvT1_
                                        ; -- End function
	.set _ZN7rocprim17ROCPRIM_400000_NS6detail17trampoline_kernelINS0_14default_configENS1_20scan_config_selectorIlEEZZNS1_9scan_implILNS1_25lookback_scan_determinismE0ELb0ELb0ES3_PlS8_lN6thrust23THRUST_200600_302600_NS4plusIvEElEEDaPvRmT3_T4_T5_mT6_P12ihipStream_tbENKUlT_T0_E_clISt17integral_constantIbLb1EESQ_EEDaSL_SM_EUlSL_E_NS1_11comp_targetILNS1_3genE8ELNS1_11target_archE1030ELNS1_3gpuE2ELNS1_3repE0EEENS1_30default_config_static_selectorELNS0_4arch9wavefront6targetE0EEEvT1_.num_vgpr, 0
	.set _ZN7rocprim17ROCPRIM_400000_NS6detail17trampoline_kernelINS0_14default_configENS1_20scan_config_selectorIlEEZZNS1_9scan_implILNS1_25lookback_scan_determinismE0ELb0ELb0ES3_PlS8_lN6thrust23THRUST_200600_302600_NS4plusIvEElEEDaPvRmT3_T4_T5_mT6_P12ihipStream_tbENKUlT_T0_E_clISt17integral_constantIbLb1EESQ_EEDaSL_SM_EUlSL_E_NS1_11comp_targetILNS1_3genE8ELNS1_11target_archE1030ELNS1_3gpuE2ELNS1_3repE0EEENS1_30default_config_static_selectorELNS0_4arch9wavefront6targetE0EEEvT1_.num_agpr, 0
	.set _ZN7rocprim17ROCPRIM_400000_NS6detail17trampoline_kernelINS0_14default_configENS1_20scan_config_selectorIlEEZZNS1_9scan_implILNS1_25lookback_scan_determinismE0ELb0ELb0ES3_PlS8_lN6thrust23THRUST_200600_302600_NS4plusIvEElEEDaPvRmT3_T4_T5_mT6_P12ihipStream_tbENKUlT_T0_E_clISt17integral_constantIbLb1EESQ_EEDaSL_SM_EUlSL_E_NS1_11comp_targetILNS1_3genE8ELNS1_11target_archE1030ELNS1_3gpuE2ELNS1_3repE0EEENS1_30default_config_static_selectorELNS0_4arch9wavefront6targetE0EEEvT1_.numbered_sgpr, 0
	.set _ZN7rocprim17ROCPRIM_400000_NS6detail17trampoline_kernelINS0_14default_configENS1_20scan_config_selectorIlEEZZNS1_9scan_implILNS1_25lookback_scan_determinismE0ELb0ELb0ES3_PlS8_lN6thrust23THRUST_200600_302600_NS4plusIvEElEEDaPvRmT3_T4_T5_mT6_P12ihipStream_tbENKUlT_T0_E_clISt17integral_constantIbLb1EESQ_EEDaSL_SM_EUlSL_E_NS1_11comp_targetILNS1_3genE8ELNS1_11target_archE1030ELNS1_3gpuE2ELNS1_3repE0EEENS1_30default_config_static_selectorELNS0_4arch9wavefront6targetE0EEEvT1_.num_named_barrier, 0
	.set _ZN7rocprim17ROCPRIM_400000_NS6detail17trampoline_kernelINS0_14default_configENS1_20scan_config_selectorIlEEZZNS1_9scan_implILNS1_25lookback_scan_determinismE0ELb0ELb0ES3_PlS8_lN6thrust23THRUST_200600_302600_NS4plusIvEElEEDaPvRmT3_T4_T5_mT6_P12ihipStream_tbENKUlT_T0_E_clISt17integral_constantIbLb1EESQ_EEDaSL_SM_EUlSL_E_NS1_11comp_targetILNS1_3genE8ELNS1_11target_archE1030ELNS1_3gpuE2ELNS1_3repE0EEENS1_30default_config_static_selectorELNS0_4arch9wavefront6targetE0EEEvT1_.private_seg_size, 0
	.set _ZN7rocprim17ROCPRIM_400000_NS6detail17trampoline_kernelINS0_14default_configENS1_20scan_config_selectorIlEEZZNS1_9scan_implILNS1_25lookback_scan_determinismE0ELb0ELb0ES3_PlS8_lN6thrust23THRUST_200600_302600_NS4plusIvEElEEDaPvRmT3_T4_T5_mT6_P12ihipStream_tbENKUlT_T0_E_clISt17integral_constantIbLb1EESQ_EEDaSL_SM_EUlSL_E_NS1_11comp_targetILNS1_3genE8ELNS1_11target_archE1030ELNS1_3gpuE2ELNS1_3repE0EEENS1_30default_config_static_selectorELNS0_4arch9wavefront6targetE0EEEvT1_.uses_vcc, 0
	.set _ZN7rocprim17ROCPRIM_400000_NS6detail17trampoline_kernelINS0_14default_configENS1_20scan_config_selectorIlEEZZNS1_9scan_implILNS1_25lookback_scan_determinismE0ELb0ELb0ES3_PlS8_lN6thrust23THRUST_200600_302600_NS4plusIvEElEEDaPvRmT3_T4_T5_mT6_P12ihipStream_tbENKUlT_T0_E_clISt17integral_constantIbLb1EESQ_EEDaSL_SM_EUlSL_E_NS1_11comp_targetILNS1_3genE8ELNS1_11target_archE1030ELNS1_3gpuE2ELNS1_3repE0EEENS1_30default_config_static_selectorELNS0_4arch9wavefront6targetE0EEEvT1_.uses_flat_scratch, 0
	.set _ZN7rocprim17ROCPRIM_400000_NS6detail17trampoline_kernelINS0_14default_configENS1_20scan_config_selectorIlEEZZNS1_9scan_implILNS1_25lookback_scan_determinismE0ELb0ELb0ES3_PlS8_lN6thrust23THRUST_200600_302600_NS4plusIvEElEEDaPvRmT3_T4_T5_mT6_P12ihipStream_tbENKUlT_T0_E_clISt17integral_constantIbLb1EESQ_EEDaSL_SM_EUlSL_E_NS1_11comp_targetILNS1_3genE8ELNS1_11target_archE1030ELNS1_3gpuE2ELNS1_3repE0EEENS1_30default_config_static_selectorELNS0_4arch9wavefront6targetE0EEEvT1_.has_dyn_sized_stack, 0
	.set _ZN7rocprim17ROCPRIM_400000_NS6detail17trampoline_kernelINS0_14default_configENS1_20scan_config_selectorIlEEZZNS1_9scan_implILNS1_25lookback_scan_determinismE0ELb0ELb0ES3_PlS8_lN6thrust23THRUST_200600_302600_NS4plusIvEElEEDaPvRmT3_T4_T5_mT6_P12ihipStream_tbENKUlT_T0_E_clISt17integral_constantIbLb1EESQ_EEDaSL_SM_EUlSL_E_NS1_11comp_targetILNS1_3genE8ELNS1_11target_archE1030ELNS1_3gpuE2ELNS1_3repE0EEENS1_30default_config_static_selectorELNS0_4arch9wavefront6targetE0EEEvT1_.has_recursion, 0
	.set _ZN7rocprim17ROCPRIM_400000_NS6detail17trampoline_kernelINS0_14default_configENS1_20scan_config_selectorIlEEZZNS1_9scan_implILNS1_25lookback_scan_determinismE0ELb0ELb0ES3_PlS8_lN6thrust23THRUST_200600_302600_NS4plusIvEElEEDaPvRmT3_T4_T5_mT6_P12ihipStream_tbENKUlT_T0_E_clISt17integral_constantIbLb1EESQ_EEDaSL_SM_EUlSL_E_NS1_11comp_targetILNS1_3genE8ELNS1_11target_archE1030ELNS1_3gpuE2ELNS1_3repE0EEENS1_30default_config_static_selectorELNS0_4arch9wavefront6targetE0EEEvT1_.has_indirect_call, 0
	.section	.AMDGPU.csdata,"",@progbits
; Kernel info:
; codeLenInByte = 0
; TotalNumSgprs: 0
; NumVgprs: 0
; ScratchSize: 0
; MemoryBound: 0
; FloatMode: 240
; IeeeMode: 1
; LDSByteSize: 0 bytes/workgroup (compile time only)
; SGPRBlocks: 0
; VGPRBlocks: 0
; NumSGPRsForWavesPerEU: 1
; NumVGPRsForWavesPerEU: 1
; NamedBarCnt: 0
; Occupancy: 16
; WaveLimiterHint : 0
; COMPUTE_PGM_RSRC2:SCRATCH_EN: 0
; COMPUTE_PGM_RSRC2:USER_SGPR: 2
; COMPUTE_PGM_RSRC2:TRAP_HANDLER: 0
; COMPUTE_PGM_RSRC2:TGID_X_EN: 1
; COMPUTE_PGM_RSRC2:TGID_Y_EN: 0
; COMPUTE_PGM_RSRC2:TGID_Z_EN: 0
; COMPUTE_PGM_RSRC2:TIDIG_COMP_CNT: 0
	.section	.text._ZN7rocprim17ROCPRIM_400000_NS6detail17trampoline_kernelINS0_14default_configENS1_20scan_config_selectorIlEEZZNS1_9scan_implILNS1_25lookback_scan_determinismE0ELb0ELb0ES3_PlS8_lN6thrust23THRUST_200600_302600_NS4plusIvEElEEDaPvRmT3_T4_T5_mT6_P12ihipStream_tbENKUlT_T0_E_clISt17integral_constantIbLb1EESQ_EEDaSL_SM_EUlSL_E0_NS1_11comp_targetILNS1_3genE0ELNS1_11target_archE4294967295ELNS1_3gpuE0ELNS1_3repE0EEENS1_30default_config_static_selectorELNS0_4arch9wavefront6targetE0EEEvT1_,"axG",@progbits,_ZN7rocprim17ROCPRIM_400000_NS6detail17trampoline_kernelINS0_14default_configENS1_20scan_config_selectorIlEEZZNS1_9scan_implILNS1_25lookback_scan_determinismE0ELb0ELb0ES3_PlS8_lN6thrust23THRUST_200600_302600_NS4plusIvEElEEDaPvRmT3_T4_T5_mT6_P12ihipStream_tbENKUlT_T0_E_clISt17integral_constantIbLb1EESQ_EEDaSL_SM_EUlSL_E0_NS1_11comp_targetILNS1_3genE0ELNS1_11target_archE4294967295ELNS1_3gpuE0ELNS1_3repE0EEENS1_30default_config_static_selectorELNS0_4arch9wavefront6targetE0EEEvT1_,comdat
	.protected	_ZN7rocprim17ROCPRIM_400000_NS6detail17trampoline_kernelINS0_14default_configENS1_20scan_config_selectorIlEEZZNS1_9scan_implILNS1_25lookback_scan_determinismE0ELb0ELb0ES3_PlS8_lN6thrust23THRUST_200600_302600_NS4plusIvEElEEDaPvRmT3_T4_T5_mT6_P12ihipStream_tbENKUlT_T0_E_clISt17integral_constantIbLb1EESQ_EEDaSL_SM_EUlSL_E0_NS1_11comp_targetILNS1_3genE0ELNS1_11target_archE4294967295ELNS1_3gpuE0ELNS1_3repE0EEENS1_30default_config_static_selectorELNS0_4arch9wavefront6targetE0EEEvT1_ ; -- Begin function _ZN7rocprim17ROCPRIM_400000_NS6detail17trampoline_kernelINS0_14default_configENS1_20scan_config_selectorIlEEZZNS1_9scan_implILNS1_25lookback_scan_determinismE0ELb0ELb0ES3_PlS8_lN6thrust23THRUST_200600_302600_NS4plusIvEElEEDaPvRmT3_T4_T5_mT6_P12ihipStream_tbENKUlT_T0_E_clISt17integral_constantIbLb1EESQ_EEDaSL_SM_EUlSL_E0_NS1_11comp_targetILNS1_3genE0ELNS1_11target_archE4294967295ELNS1_3gpuE0ELNS1_3repE0EEENS1_30default_config_static_selectorELNS0_4arch9wavefront6targetE0EEEvT1_
	.globl	_ZN7rocprim17ROCPRIM_400000_NS6detail17trampoline_kernelINS0_14default_configENS1_20scan_config_selectorIlEEZZNS1_9scan_implILNS1_25lookback_scan_determinismE0ELb0ELb0ES3_PlS8_lN6thrust23THRUST_200600_302600_NS4plusIvEElEEDaPvRmT3_T4_T5_mT6_P12ihipStream_tbENKUlT_T0_E_clISt17integral_constantIbLb1EESQ_EEDaSL_SM_EUlSL_E0_NS1_11comp_targetILNS1_3genE0ELNS1_11target_archE4294967295ELNS1_3gpuE0ELNS1_3repE0EEENS1_30default_config_static_selectorELNS0_4arch9wavefront6targetE0EEEvT1_
	.p2align	8
	.type	_ZN7rocprim17ROCPRIM_400000_NS6detail17trampoline_kernelINS0_14default_configENS1_20scan_config_selectorIlEEZZNS1_9scan_implILNS1_25lookback_scan_determinismE0ELb0ELb0ES3_PlS8_lN6thrust23THRUST_200600_302600_NS4plusIvEElEEDaPvRmT3_T4_T5_mT6_P12ihipStream_tbENKUlT_T0_E_clISt17integral_constantIbLb1EESQ_EEDaSL_SM_EUlSL_E0_NS1_11comp_targetILNS1_3genE0ELNS1_11target_archE4294967295ELNS1_3gpuE0ELNS1_3repE0EEENS1_30default_config_static_selectorELNS0_4arch9wavefront6targetE0EEEvT1_,@function
_ZN7rocprim17ROCPRIM_400000_NS6detail17trampoline_kernelINS0_14default_configENS1_20scan_config_selectorIlEEZZNS1_9scan_implILNS1_25lookback_scan_determinismE0ELb0ELb0ES3_PlS8_lN6thrust23THRUST_200600_302600_NS4plusIvEElEEDaPvRmT3_T4_T5_mT6_P12ihipStream_tbENKUlT_T0_E_clISt17integral_constantIbLb1EESQ_EEDaSL_SM_EUlSL_E0_NS1_11comp_targetILNS1_3genE0ELNS1_11target_archE4294967295ELNS1_3gpuE0ELNS1_3repE0EEENS1_30default_config_static_selectorELNS0_4arch9wavefront6targetE0EEEvT1_: ; @_ZN7rocprim17ROCPRIM_400000_NS6detail17trampoline_kernelINS0_14default_configENS1_20scan_config_selectorIlEEZZNS1_9scan_implILNS1_25lookback_scan_determinismE0ELb0ELb0ES3_PlS8_lN6thrust23THRUST_200600_302600_NS4plusIvEElEEDaPvRmT3_T4_T5_mT6_P12ihipStream_tbENKUlT_T0_E_clISt17integral_constantIbLb1EESQ_EEDaSL_SM_EUlSL_E0_NS1_11comp_targetILNS1_3genE0ELNS1_11target_archE4294967295ELNS1_3gpuE0ELNS1_3repE0EEENS1_30default_config_static_selectorELNS0_4arch9wavefront6targetE0EEEvT1_
; %bb.0:
	s_load_b128 s[8:11], s[0:1], 0x0
	s_wait_kmcnt 0x0
	v_cmp_gt_u32_e32 vcc_lo, s10, v0
	s_load_b64 s[12:13], s[8:9], 0x0
	s_wait_kmcnt 0x0
	v_mov_b64_e32 v[2:3], s[12:13]
	s_and_saveexec_b32 s2, vcc_lo
	s_cbranch_execz .LBB112_2
; %bb.1:
	global_load_b64 v[2:3], v0, s[8:9] scale_offset
.LBB112_2:
	s_wait_xcnt 0x0
	s_or_b32 exec_lo, exec_lo, s2
	v_or_b32_e32 v1, 0x100, v0
	v_mov_b64_e32 v[4:5], s[12:13]
	s_delay_alu instid0(VALU_DEP_2)
	v_cmp_gt_u32_e64 s2, s10, v1
	s_and_saveexec_b32 s3, s2
	s_cbranch_execz .LBB112_4
; %bb.3:
	global_load_b64 v[4:5], v0, s[8:9] offset:2048 scale_offset
.LBB112_4:
	s_wait_xcnt 0x0
	s_or_b32 exec_lo, exec_lo, s3
	v_or_b32_e32 v1, 0x200, v0
	v_mov_b64_e32 v[6:7], s[12:13]
	s_delay_alu instid0(VALU_DEP_2)
	v_cmp_gt_u32_e64 s3, s10, v1
	s_and_saveexec_b32 s4, s3
	s_cbranch_execz .LBB112_6
; %bb.5:
	global_load_b64 v[6:7], v0, s[8:9] offset:4096 scale_offset
.LBB112_6:
	s_wait_xcnt 0x0
	s_or_b32 exec_lo, exec_lo, s4
	v_or_b32_e32 v1, 0x300, v0
	v_mov_b64_e32 v[8:9], s[12:13]
	s_delay_alu instid0(VALU_DEP_2)
	v_cmp_gt_u32_e64 s4, s10, v1
	s_and_saveexec_b32 s5, s4
	s_cbranch_execz .LBB112_8
; %bb.7:
	global_load_b64 v[8:9], v0, s[8:9] offset:6144 scale_offset
.LBB112_8:
	s_wait_xcnt 0x0
	s_or_b32 exec_lo, exec_lo, s5
	v_or_b32_e32 v1, 0x400, v0
	v_mov_b64_e32 v[10:11], s[12:13]
	s_delay_alu instid0(VALU_DEP_2)
	v_cmp_gt_u32_e64 s5, s10, v1
	s_and_saveexec_b32 s6, s5
	s_cbranch_execz .LBB112_10
; %bb.9:
	global_load_b64 v[10:11], v0, s[8:9] offset:8192 scale_offset
.LBB112_10:
	s_wait_xcnt 0x0
	s_or_b32 exec_lo, exec_lo, s6
	v_or_b32_e32 v1, 0x500, v0
	s_delay_alu instid0(VALU_DEP_1) | instskip(SKIP_2) | instid1(SALU_CYCLE_1)
	v_cmp_gt_u32_e64 s6, s10, v1
	v_cmp_le_u32_e64 s7, s10, v1
	s_and_saveexec_b32 s10, s7
	s_xor_b32 s7, exec_lo, s10
	s_delay_alu instid0(SALU_CYCLE_1)
	s_or_saveexec_b32 s7, s7
	v_mov_b64_e32 v[12:13], s[12:13]
	s_xor_b32 exec_lo, exec_lo, s7
	s_cbranch_execz .LBB112_12
; %bb.11:
	global_load_b64 v[12:13], v0, s[8:9] offset:10240 scale_offset
.LBB112_12:
	s_wait_xcnt 0x0
	s_or_b32 exec_lo, exec_lo, s7
	v_lshlrev_b32_e32 v36, 3, v0
	s_mov_b32 s8, exec_lo
	s_wait_loadcnt 0x0
	ds_store_2addr_stride64_b64 v36, v[2:3], v[4:5] offset1:4
	ds_store_2addr_stride64_b64 v36, v[6:7], v[8:9] offset0:8 offset1:12
	ds_store_2addr_stride64_b64 v36, v[10:11], v[12:13] offset0:16 offset1:20
	v_mad_u32_u24 v1, v0, 40, v36
	s_wait_dscnt 0x0
	s_barrier_signal -1
	s_barrier_wait -1
	ds_load_b128 v[2:5], v1
	ds_load_b128 v[14:17], v1 offset:16
	ds_load_b128 v[18:21], v1 offset:32
	v_mbcnt_lo_u32_b32 v1, -1, 0
	s_wait_dscnt 0x0
	s_barrier_signal -1
	s_barrier_wait -1
	s_delay_alu instid0(VALU_DEP_1) | instskip(SKIP_1) | instid1(VALU_DEP_1)
	v_and_b32_e32 v32, 15, v1
	v_add_nc_u64_e32 v[22:23], v[4:5], v[2:3]
	v_add_nc_u64_e32 v[10:11], v[22:23], v[14:15]
	s_delay_alu instid0(VALU_DEP_1) | instskip(NEXT) | instid1(VALU_DEP_1)
	v_add_nc_u64_e32 v[12:13], v[10:11], v[16:17]
	v_add_nc_u64_e32 v[6:7], v[12:13], v[18:19]
	s_delay_alu instid0(VALU_DEP_1) | instskip(NEXT) | instid1(VALU_DEP_1)
	v_add_nc_u64_e32 v[8:9], v[6:7], v[20:21]
	v_mov_b64_e32 v[28:29], v[8:9]
	v_mov_b32_dpp v26, v8 row_shr:1 row_mask:0xf bank_mask:0xf
	v_mov_b32_dpp v31, v9 row_shr:1 row_mask:0xf bank_mask:0xf
	v_dual_mov_b32 v27, v9 :: v_dual_mov_b32 v24, v8
	v_cmpx_ne_u32_e32 0, v32
; %bb.13:
	v_mov_b32_e32 v30, 0
	s_delay_alu instid0(VALU_DEP_1) | instskip(NEXT) | instid1(VALU_DEP_1)
	v_mov_b32_e32 v27, v30
	v_add_nc_u64_e32 v[24:25], v[8:9], v[26:27]
	s_delay_alu instid0(VALU_DEP_1) | instskip(NEXT) | instid1(VALU_DEP_1)
	v_add_nc_u64_e32 v[26:27], v[30:31], v[24:25]
	v_mov_b64_e32 v[28:29], v[26:27]
; %bb.14:
	s_or_b32 exec_lo, exec_lo, s8
	v_mov_b32_dpp v26, v24 row_shr:2 row_mask:0xf bank_mask:0xf
	v_mov_b32_dpp v31, v27 row_shr:2 row_mask:0xf bank_mask:0xf
	s_mov_b32 s8, exec_lo
	v_cmpx_lt_u32_e32 1, v32
; %bb.15:
	v_mov_b32_e32 v30, 0
	s_delay_alu instid0(VALU_DEP_1) | instskip(NEXT) | instid1(VALU_DEP_1)
	v_mov_b32_e32 v27, v30
	v_add_nc_u64_e32 v[24:25], v[28:29], v[26:27]
	s_delay_alu instid0(VALU_DEP_1) | instskip(NEXT) | instid1(VALU_DEP_1)
	v_add_nc_u64_e32 v[26:27], v[30:31], v[24:25]
	v_mov_b64_e32 v[28:29], v[26:27]
; %bb.16:
	s_or_b32 exec_lo, exec_lo, s8
	v_mov_b32_dpp v26, v24 row_shr:4 row_mask:0xf bank_mask:0xf
	v_mov_b32_dpp v31, v27 row_shr:4 row_mask:0xf bank_mask:0xf
	s_mov_b32 s8, exec_lo
	v_cmpx_lt_u32_e32 3, v32
	;; [unrolled: 14-line block ×3, first 2 shown]
; %bb.19:
	v_mov_b32_e32 v30, 0
	s_delay_alu instid0(VALU_DEP_1) | instskip(NEXT) | instid1(VALU_DEP_1)
	v_mov_b32_e32 v27, v30
	v_add_nc_u64_e32 v[24:25], v[28:29], v[26:27]
	s_delay_alu instid0(VALU_DEP_1) | instskip(NEXT) | instid1(VALU_DEP_1)
	v_add_nc_u64_e32 v[28:29], v[30:31], v[24:25]
	v_mov_b32_e32 v27, v29
; %bb.20:
	s_or_b32 exec_lo, exec_lo, s8
	ds_swizzle_b32 v26, v24 offset:swizzle(BROADCAST,32,15)
	ds_swizzle_b32 v31, v27 offset:swizzle(BROADCAST,32,15)
	v_and_b32_e32 v25, 16, v1
	s_mov_b32 s8, exec_lo
	s_delay_alu instid0(VALU_DEP_1)
	v_cmpx_ne_u32_e32 0, v25
	s_cbranch_execz .LBB112_22
; %bb.21:
	v_mov_b32_e32 v30, 0
	s_delay_alu instid0(VALU_DEP_1) | instskip(SKIP_1) | instid1(VALU_DEP_1)
	v_mov_b32_e32 v27, v30
	s_wait_dscnt 0x1
	v_add_nc_u64_e32 v[24:25], v[28:29], v[26:27]
	s_wait_dscnt 0x0
	s_delay_alu instid0(VALU_DEP_1) | instskip(NEXT) | instid1(VALU_DEP_1)
	v_add_nc_u64_e32 v[26:27], v[30:31], v[24:25]
	v_mov_b64_e32 v[28:29], v[26:27]
.LBB112_22:
	s_or_b32 exec_lo, exec_lo, s8
	s_wait_dscnt 0x1
	v_dual_lshrrev_b32 v25, 5, v0 :: v_dual_bitop2_b32 v26, 31, v0 bitop3:0x54
	s_mov_b32 s8, exec_lo
	s_delay_alu instid0(VALU_DEP_1)
	v_cmpx_eq_u32_e64 v0, v26
; %bb.23:
	s_delay_alu instid0(VALU_DEP_2)
	v_lshlrev_b32_e32 v26, 3, v25
	ds_store_b64 v26, v[28:29]
; %bb.24:
	s_or_b32 exec_lo, exec_lo, s8
	s_delay_alu instid0(SALU_CYCLE_1)
	s_mov_b32 s8, exec_lo
	s_wait_dscnt 0x0
	s_barrier_signal -1
	s_barrier_wait -1
	v_cmpx_gt_u32_e32 8, v0
	s_cbranch_execz .LBB112_32
; %bb.25:
	ds_load_b64 v[28:29], v36
	v_and_b32_e32 v26, 7, v1
	s_mov_b32 s9, exec_lo
	s_wait_dscnt 0x0
	v_mov_b32_dpp v32, v28 row_shr:1 row_mask:0xf bank_mask:0xf
	v_mov_b32_dpp v35, v29 row_shr:1 row_mask:0xf bank_mask:0xf
	v_mov_b32_e32 v30, v28
	v_cmpx_ne_u32_e32 0, v26
; %bb.26:
	v_mov_b32_e32 v34, 0
	s_delay_alu instid0(VALU_DEP_1) | instskip(NEXT) | instid1(VALU_DEP_1)
	v_mov_b32_e32 v33, v34
	v_add_nc_u64_e32 v[30:31], v[28:29], v[32:33]
	s_delay_alu instid0(VALU_DEP_1)
	v_add_nc_u64_e32 v[28:29], v[34:35], v[30:31]
; %bb.27:
	s_or_b32 exec_lo, exec_lo, s9
	v_mov_b32_dpp v32, v30 row_shr:2 row_mask:0xf bank_mask:0xf
	s_delay_alu instid0(VALU_DEP_2)
	v_mov_b32_dpp v35, v29 row_shr:2 row_mask:0xf bank_mask:0xf
	s_mov_b32 s9, exec_lo
	v_cmpx_lt_u32_e32 1, v26
; %bb.28:
	v_mov_b32_e32 v34, 0
	s_delay_alu instid0(VALU_DEP_1) | instskip(NEXT) | instid1(VALU_DEP_1)
	v_mov_b32_e32 v33, v34
	v_add_nc_u64_e32 v[30:31], v[28:29], v[32:33]
	s_delay_alu instid0(VALU_DEP_1)
	v_add_nc_u64_e32 v[28:29], v[34:35], v[30:31]
; %bb.29:
	s_or_b32 exec_lo, exec_lo, s9
	v_mov_b32_dpp v30, v30 row_shr:4 row_mask:0xf bank_mask:0xf
	s_delay_alu instid0(VALU_DEP_2)
	v_mov_b32_dpp v33, v29 row_shr:4 row_mask:0xf bank_mask:0xf
	s_mov_b32 s9, exec_lo
	v_cmpx_lt_u32_e32 3, v26
; %bb.30:
	v_mov_b32_e32 v32, 0
	s_delay_alu instid0(VALU_DEP_1) | instskip(NEXT) | instid1(VALU_DEP_1)
	v_mov_b32_e32 v31, v32
	v_add_nc_u64_e32 v[28:29], v[28:29], v[30:31]
	s_delay_alu instid0(VALU_DEP_1)
	v_add_nc_u64_e32 v[28:29], v[28:29], v[32:33]
; %bb.31:
	s_or_b32 exec_lo, exec_lo, s9
	ds_store_b64 v36, v[28:29]
.LBB112_32:
	s_or_b32 exec_lo, exec_lo, s8
	s_load_b64 s[8:9], s[0:1], 0x20
	v_mul_u32_u24_e32 v30, 40, v0
	s_wait_xcnt 0x0
	s_mov_b32 s1, exec_lo
	s_wait_dscnt 0x0
	s_barrier_signal -1
	s_barrier_wait -1
                                        ; implicit-def: $vgpr28_vgpr29
	v_cmpx_lt_u32_e32 31, v0
	s_cbranch_execz .LBB112_34
; %bb.33:
	v_lshl_add_u32 v25, v25, 3, -8
	ds_load_b64 v[28:29], v25
	v_mov_b32_e32 v25, v27
	s_wait_dscnt 0x0
	s_delay_alu instid0(VALU_DEP_1) | instskip(NEXT) | instid1(VALU_DEP_1)
	v_add_nc_u64_e32 v[26:27], v[24:25], v[28:29]
	v_mov_b32_e32 v24, v26
.LBB112_34:
	s_or_b32 exec_lo, exec_lo, s1
	v_add_nc_u32_e32 v25, -1, v1
	s_mov_b32 s1, exec_lo
	s_delay_alu instid0(VALU_DEP_1) | instskip(NEXT) | instid1(VALU_DEP_1)
	v_cmp_gt_i32_e64 s0, 0, v25
	v_cndmask_b32_e64 v25, v25, v1, s0
	s_delay_alu instid0(VALU_DEP_1)
	v_lshlrev_b32_e32 v25, 2, v25
	ds_bpermute_b32 v24, v25, v24
	ds_bpermute_b32 v25, v25, v27
	v_cmpx_ne_u32_e32 0, v0
	s_cbranch_execz .LBB112_36
; %bb.35:
	v_cmp_eq_u32_e64 s0, 0, v1
	;;#ASMSTART
	;;#ASMEND
	s_wait_dscnt 0x0
	s_delay_alu instid0(VALU_DEP_1) | instskip(NEXT) | instid1(VALU_DEP_1)
	v_dual_cndmask_b32 v7, v25, v29, s0 :: v_dual_cndmask_b32 v6, v24, v28, s0
	v_add_nc_u64_e32 v[2:3], v[6:7], v[2:3]
	s_delay_alu instid0(VALU_DEP_1) | instskip(NEXT) | instid1(VALU_DEP_1)
	v_add_nc_u64_e32 v[22:23], v[2:3], v[4:5]
	v_add_nc_u64_e32 v[10:11], v[22:23], v[14:15]
	s_delay_alu instid0(VALU_DEP_1) | instskip(NEXT) | instid1(VALU_DEP_1)
	v_add_nc_u64_e32 v[12:13], v[10:11], v[16:17]
	v_add_nc_u64_e32 v[6:7], v[12:13], v[18:19]
	s_delay_alu instid0(VALU_DEP_1)
	v_add_nc_u64_e32 v[8:9], v[6:7], v[20:21]
.LBB112_36:
	s_or_b32 exec_lo, exec_lo, s1
	v_dual_mov_b32 v4, v22 :: v_dual_add_nc_u32 v1, v36, v30
	v_dual_mov_b32 v5, v23 :: v_dual_lshlrev_b32 v0, 3, v0
	s_wait_dscnt 0x0
	s_barrier_signal -1
	s_barrier_wait -1
	ds_store_b128 v1, v[2:5]
	ds_store_b128 v1, v[10:13] offset:16
	ds_store_b128 v1, v[6:9] offset:32
	s_wait_dscnt 0x0
	s_barrier_signal -1
	s_barrier_wait -1
	ds_load_2addr_stride64_b64 v[6:9], v36 offset0:4 offset1:8
	ds_load_2addr_stride64_b64 v[2:5], v36 offset0:12 offset1:16
	ds_load_b64 v[10:11], v36 offset:10240
	v_mov_b32_e32 v1, 0
	s_wait_kmcnt 0x0
	s_delay_alu instid0(VALU_DEP_1)
	v_add_nc_u64_e32 v[0:1], s[8:9], v[0:1]
	s_and_saveexec_b32 s0, vcc_lo
	s_cbranch_execnz .LBB112_43
; %bb.37:
	s_or_b32 exec_lo, exec_lo, s0
	s_and_saveexec_b32 s0, s2
	s_cbranch_execnz .LBB112_44
.LBB112_38:
	s_or_b32 exec_lo, exec_lo, s0
	s_and_saveexec_b32 s0, s3
	s_cbranch_execnz .LBB112_45
.LBB112_39:
	s_or_b32 exec_lo, exec_lo, s0
	s_and_saveexec_b32 s0, s4
	s_cbranch_execnz .LBB112_46
.LBB112_40:
	s_or_b32 exec_lo, exec_lo, s0
	s_and_saveexec_b32 s0, s5
	s_cbranch_execnz .LBB112_47
.LBB112_41:
	s_or_b32 exec_lo, exec_lo, s0
	s_and_saveexec_b32 s0, s6
	s_cbranch_execnz .LBB112_48
.LBB112_42:
	s_endpgm
.LBB112_43:
	ds_load_b64 v[12:13], v36
	s_wait_dscnt 0x0
	global_store_b64 v[0:1], v[12:13], off
	s_wait_xcnt 0x0
	s_or_b32 exec_lo, exec_lo, s0
	s_and_saveexec_b32 s0, s2
	s_cbranch_execz .LBB112_38
.LBB112_44:
	s_wait_dscnt 0x2
	global_store_b64 v[0:1], v[6:7], off offset:2048
	s_wait_xcnt 0x0
	s_or_b32 exec_lo, exec_lo, s0
	s_and_saveexec_b32 s0, s3
	s_cbranch_execz .LBB112_39
.LBB112_45:
	s_wait_dscnt 0x2
	global_store_b64 v[0:1], v[8:9], off offset:4096
	s_wait_xcnt 0x0
	s_or_b32 exec_lo, exec_lo, s0
	s_and_saveexec_b32 s0, s4
	s_cbranch_execz .LBB112_40
.LBB112_46:
	s_wait_dscnt 0x1
	global_store_b64 v[0:1], v[2:3], off offset:6144
	s_wait_xcnt 0x0
	s_or_b32 exec_lo, exec_lo, s0
	s_and_saveexec_b32 s0, s5
	s_cbranch_execz .LBB112_41
.LBB112_47:
	s_wait_dscnt 0x1
	global_store_b64 v[0:1], v[4:5], off offset:8192
	s_wait_xcnt 0x0
	s_or_b32 exec_lo, exec_lo, s0
	s_and_saveexec_b32 s0, s6
	s_cbranch_execz .LBB112_42
.LBB112_48:
	s_wait_dscnt 0x0
	global_store_b64 v[0:1], v[10:11], off offset:10240
	s_endpgm
	.section	.rodata,"a",@progbits
	.p2align	6, 0x0
	.amdhsa_kernel _ZN7rocprim17ROCPRIM_400000_NS6detail17trampoline_kernelINS0_14default_configENS1_20scan_config_selectorIlEEZZNS1_9scan_implILNS1_25lookback_scan_determinismE0ELb0ELb0ES3_PlS8_lN6thrust23THRUST_200600_302600_NS4plusIvEElEEDaPvRmT3_T4_T5_mT6_P12ihipStream_tbENKUlT_T0_E_clISt17integral_constantIbLb1EESQ_EEDaSL_SM_EUlSL_E0_NS1_11comp_targetILNS1_3genE0ELNS1_11target_archE4294967295ELNS1_3gpuE0ELNS1_3repE0EEENS1_30default_config_static_selectorELNS0_4arch9wavefront6targetE0EEEvT1_
		.amdhsa_group_segment_fixed_size 12288
		.amdhsa_private_segment_fixed_size 0
		.amdhsa_kernarg_size 40
		.amdhsa_user_sgpr_count 2
		.amdhsa_user_sgpr_dispatch_ptr 0
		.amdhsa_user_sgpr_queue_ptr 0
		.amdhsa_user_sgpr_kernarg_segment_ptr 1
		.amdhsa_user_sgpr_dispatch_id 0
		.amdhsa_user_sgpr_kernarg_preload_length 0
		.amdhsa_user_sgpr_kernarg_preload_offset 0
		.amdhsa_user_sgpr_private_segment_size 0
		.amdhsa_wavefront_size32 1
		.amdhsa_uses_dynamic_stack 0
		.amdhsa_enable_private_segment 0
		.amdhsa_system_sgpr_workgroup_id_x 1
		.amdhsa_system_sgpr_workgroup_id_y 0
		.amdhsa_system_sgpr_workgroup_id_z 0
		.amdhsa_system_sgpr_workgroup_info 0
		.amdhsa_system_vgpr_workitem_id 0
		.amdhsa_next_free_vgpr 37
		.amdhsa_next_free_sgpr 14
		.amdhsa_named_barrier_count 0
		.amdhsa_reserve_vcc 1
		.amdhsa_float_round_mode_32 0
		.amdhsa_float_round_mode_16_64 0
		.amdhsa_float_denorm_mode_32 3
		.amdhsa_float_denorm_mode_16_64 3
		.amdhsa_fp16_overflow 0
		.amdhsa_memory_ordered 1
		.amdhsa_forward_progress 1
		.amdhsa_inst_pref_size 13
		.amdhsa_round_robin_scheduling 0
		.amdhsa_exception_fp_ieee_invalid_op 0
		.amdhsa_exception_fp_denorm_src 0
		.amdhsa_exception_fp_ieee_div_zero 0
		.amdhsa_exception_fp_ieee_overflow 0
		.amdhsa_exception_fp_ieee_underflow 0
		.amdhsa_exception_fp_ieee_inexact 0
		.amdhsa_exception_int_div_zero 0
	.end_amdhsa_kernel
	.section	.text._ZN7rocprim17ROCPRIM_400000_NS6detail17trampoline_kernelINS0_14default_configENS1_20scan_config_selectorIlEEZZNS1_9scan_implILNS1_25lookback_scan_determinismE0ELb0ELb0ES3_PlS8_lN6thrust23THRUST_200600_302600_NS4plusIvEElEEDaPvRmT3_T4_T5_mT6_P12ihipStream_tbENKUlT_T0_E_clISt17integral_constantIbLb1EESQ_EEDaSL_SM_EUlSL_E0_NS1_11comp_targetILNS1_3genE0ELNS1_11target_archE4294967295ELNS1_3gpuE0ELNS1_3repE0EEENS1_30default_config_static_selectorELNS0_4arch9wavefront6targetE0EEEvT1_,"axG",@progbits,_ZN7rocprim17ROCPRIM_400000_NS6detail17trampoline_kernelINS0_14default_configENS1_20scan_config_selectorIlEEZZNS1_9scan_implILNS1_25lookback_scan_determinismE0ELb0ELb0ES3_PlS8_lN6thrust23THRUST_200600_302600_NS4plusIvEElEEDaPvRmT3_T4_T5_mT6_P12ihipStream_tbENKUlT_T0_E_clISt17integral_constantIbLb1EESQ_EEDaSL_SM_EUlSL_E0_NS1_11comp_targetILNS1_3genE0ELNS1_11target_archE4294967295ELNS1_3gpuE0ELNS1_3repE0EEENS1_30default_config_static_selectorELNS0_4arch9wavefront6targetE0EEEvT1_,comdat
.Lfunc_end112:
	.size	_ZN7rocprim17ROCPRIM_400000_NS6detail17trampoline_kernelINS0_14default_configENS1_20scan_config_selectorIlEEZZNS1_9scan_implILNS1_25lookback_scan_determinismE0ELb0ELb0ES3_PlS8_lN6thrust23THRUST_200600_302600_NS4plusIvEElEEDaPvRmT3_T4_T5_mT6_P12ihipStream_tbENKUlT_T0_E_clISt17integral_constantIbLb1EESQ_EEDaSL_SM_EUlSL_E0_NS1_11comp_targetILNS1_3genE0ELNS1_11target_archE4294967295ELNS1_3gpuE0ELNS1_3repE0EEENS1_30default_config_static_selectorELNS0_4arch9wavefront6targetE0EEEvT1_, .Lfunc_end112-_ZN7rocprim17ROCPRIM_400000_NS6detail17trampoline_kernelINS0_14default_configENS1_20scan_config_selectorIlEEZZNS1_9scan_implILNS1_25lookback_scan_determinismE0ELb0ELb0ES3_PlS8_lN6thrust23THRUST_200600_302600_NS4plusIvEElEEDaPvRmT3_T4_T5_mT6_P12ihipStream_tbENKUlT_T0_E_clISt17integral_constantIbLb1EESQ_EEDaSL_SM_EUlSL_E0_NS1_11comp_targetILNS1_3genE0ELNS1_11target_archE4294967295ELNS1_3gpuE0ELNS1_3repE0EEENS1_30default_config_static_selectorELNS0_4arch9wavefront6targetE0EEEvT1_
                                        ; -- End function
	.set _ZN7rocprim17ROCPRIM_400000_NS6detail17trampoline_kernelINS0_14default_configENS1_20scan_config_selectorIlEEZZNS1_9scan_implILNS1_25lookback_scan_determinismE0ELb0ELb0ES3_PlS8_lN6thrust23THRUST_200600_302600_NS4plusIvEElEEDaPvRmT3_T4_T5_mT6_P12ihipStream_tbENKUlT_T0_E_clISt17integral_constantIbLb1EESQ_EEDaSL_SM_EUlSL_E0_NS1_11comp_targetILNS1_3genE0ELNS1_11target_archE4294967295ELNS1_3gpuE0ELNS1_3repE0EEENS1_30default_config_static_selectorELNS0_4arch9wavefront6targetE0EEEvT1_.num_vgpr, 37
	.set _ZN7rocprim17ROCPRIM_400000_NS6detail17trampoline_kernelINS0_14default_configENS1_20scan_config_selectorIlEEZZNS1_9scan_implILNS1_25lookback_scan_determinismE0ELb0ELb0ES3_PlS8_lN6thrust23THRUST_200600_302600_NS4plusIvEElEEDaPvRmT3_T4_T5_mT6_P12ihipStream_tbENKUlT_T0_E_clISt17integral_constantIbLb1EESQ_EEDaSL_SM_EUlSL_E0_NS1_11comp_targetILNS1_3genE0ELNS1_11target_archE4294967295ELNS1_3gpuE0ELNS1_3repE0EEENS1_30default_config_static_selectorELNS0_4arch9wavefront6targetE0EEEvT1_.num_agpr, 0
	.set _ZN7rocprim17ROCPRIM_400000_NS6detail17trampoline_kernelINS0_14default_configENS1_20scan_config_selectorIlEEZZNS1_9scan_implILNS1_25lookback_scan_determinismE0ELb0ELb0ES3_PlS8_lN6thrust23THRUST_200600_302600_NS4plusIvEElEEDaPvRmT3_T4_T5_mT6_P12ihipStream_tbENKUlT_T0_E_clISt17integral_constantIbLb1EESQ_EEDaSL_SM_EUlSL_E0_NS1_11comp_targetILNS1_3genE0ELNS1_11target_archE4294967295ELNS1_3gpuE0ELNS1_3repE0EEENS1_30default_config_static_selectorELNS0_4arch9wavefront6targetE0EEEvT1_.numbered_sgpr, 14
	.set _ZN7rocprim17ROCPRIM_400000_NS6detail17trampoline_kernelINS0_14default_configENS1_20scan_config_selectorIlEEZZNS1_9scan_implILNS1_25lookback_scan_determinismE0ELb0ELb0ES3_PlS8_lN6thrust23THRUST_200600_302600_NS4plusIvEElEEDaPvRmT3_T4_T5_mT6_P12ihipStream_tbENKUlT_T0_E_clISt17integral_constantIbLb1EESQ_EEDaSL_SM_EUlSL_E0_NS1_11comp_targetILNS1_3genE0ELNS1_11target_archE4294967295ELNS1_3gpuE0ELNS1_3repE0EEENS1_30default_config_static_selectorELNS0_4arch9wavefront6targetE0EEEvT1_.num_named_barrier, 0
	.set _ZN7rocprim17ROCPRIM_400000_NS6detail17trampoline_kernelINS0_14default_configENS1_20scan_config_selectorIlEEZZNS1_9scan_implILNS1_25lookback_scan_determinismE0ELb0ELb0ES3_PlS8_lN6thrust23THRUST_200600_302600_NS4plusIvEElEEDaPvRmT3_T4_T5_mT6_P12ihipStream_tbENKUlT_T0_E_clISt17integral_constantIbLb1EESQ_EEDaSL_SM_EUlSL_E0_NS1_11comp_targetILNS1_3genE0ELNS1_11target_archE4294967295ELNS1_3gpuE0ELNS1_3repE0EEENS1_30default_config_static_selectorELNS0_4arch9wavefront6targetE0EEEvT1_.private_seg_size, 0
	.set _ZN7rocprim17ROCPRIM_400000_NS6detail17trampoline_kernelINS0_14default_configENS1_20scan_config_selectorIlEEZZNS1_9scan_implILNS1_25lookback_scan_determinismE0ELb0ELb0ES3_PlS8_lN6thrust23THRUST_200600_302600_NS4plusIvEElEEDaPvRmT3_T4_T5_mT6_P12ihipStream_tbENKUlT_T0_E_clISt17integral_constantIbLb1EESQ_EEDaSL_SM_EUlSL_E0_NS1_11comp_targetILNS1_3genE0ELNS1_11target_archE4294967295ELNS1_3gpuE0ELNS1_3repE0EEENS1_30default_config_static_selectorELNS0_4arch9wavefront6targetE0EEEvT1_.uses_vcc, 1
	.set _ZN7rocprim17ROCPRIM_400000_NS6detail17trampoline_kernelINS0_14default_configENS1_20scan_config_selectorIlEEZZNS1_9scan_implILNS1_25lookback_scan_determinismE0ELb0ELb0ES3_PlS8_lN6thrust23THRUST_200600_302600_NS4plusIvEElEEDaPvRmT3_T4_T5_mT6_P12ihipStream_tbENKUlT_T0_E_clISt17integral_constantIbLb1EESQ_EEDaSL_SM_EUlSL_E0_NS1_11comp_targetILNS1_3genE0ELNS1_11target_archE4294967295ELNS1_3gpuE0ELNS1_3repE0EEENS1_30default_config_static_selectorELNS0_4arch9wavefront6targetE0EEEvT1_.uses_flat_scratch, 0
	.set _ZN7rocprim17ROCPRIM_400000_NS6detail17trampoline_kernelINS0_14default_configENS1_20scan_config_selectorIlEEZZNS1_9scan_implILNS1_25lookback_scan_determinismE0ELb0ELb0ES3_PlS8_lN6thrust23THRUST_200600_302600_NS4plusIvEElEEDaPvRmT3_T4_T5_mT6_P12ihipStream_tbENKUlT_T0_E_clISt17integral_constantIbLb1EESQ_EEDaSL_SM_EUlSL_E0_NS1_11comp_targetILNS1_3genE0ELNS1_11target_archE4294967295ELNS1_3gpuE0ELNS1_3repE0EEENS1_30default_config_static_selectorELNS0_4arch9wavefront6targetE0EEEvT1_.has_dyn_sized_stack, 0
	.set _ZN7rocprim17ROCPRIM_400000_NS6detail17trampoline_kernelINS0_14default_configENS1_20scan_config_selectorIlEEZZNS1_9scan_implILNS1_25lookback_scan_determinismE0ELb0ELb0ES3_PlS8_lN6thrust23THRUST_200600_302600_NS4plusIvEElEEDaPvRmT3_T4_T5_mT6_P12ihipStream_tbENKUlT_T0_E_clISt17integral_constantIbLb1EESQ_EEDaSL_SM_EUlSL_E0_NS1_11comp_targetILNS1_3genE0ELNS1_11target_archE4294967295ELNS1_3gpuE0ELNS1_3repE0EEENS1_30default_config_static_selectorELNS0_4arch9wavefront6targetE0EEEvT1_.has_recursion, 0
	.set _ZN7rocprim17ROCPRIM_400000_NS6detail17trampoline_kernelINS0_14default_configENS1_20scan_config_selectorIlEEZZNS1_9scan_implILNS1_25lookback_scan_determinismE0ELb0ELb0ES3_PlS8_lN6thrust23THRUST_200600_302600_NS4plusIvEElEEDaPvRmT3_T4_T5_mT6_P12ihipStream_tbENKUlT_T0_E_clISt17integral_constantIbLb1EESQ_EEDaSL_SM_EUlSL_E0_NS1_11comp_targetILNS1_3genE0ELNS1_11target_archE4294967295ELNS1_3gpuE0ELNS1_3repE0EEENS1_30default_config_static_selectorELNS0_4arch9wavefront6targetE0EEEvT1_.has_indirect_call, 0
	.section	.AMDGPU.csdata,"",@progbits
; Kernel info:
; codeLenInByte = 1636
; TotalNumSgprs: 16
; NumVgprs: 37
; ScratchSize: 0
; MemoryBound: 0
; FloatMode: 240
; IeeeMode: 1
; LDSByteSize: 12288 bytes/workgroup (compile time only)
; SGPRBlocks: 0
; VGPRBlocks: 2
; NumSGPRsForWavesPerEU: 16
; NumVGPRsForWavesPerEU: 37
; NamedBarCnt: 0
; Occupancy: 16
; WaveLimiterHint : 0
; COMPUTE_PGM_RSRC2:SCRATCH_EN: 0
; COMPUTE_PGM_RSRC2:USER_SGPR: 2
; COMPUTE_PGM_RSRC2:TRAP_HANDLER: 0
; COMPUTE_PGM_RSRC2:TGID_X_EN: 1
; COMPUTE_PGM_RSRC2:TGID_Y_EN: 0
; COMPUTE_PGM_RSRC2:TGID_Z_EN: 0
; COMPUTE_PGM_RSRC2:TIDIG_COMP_CNT: 0
	.section	.text._ZN7rocprim17ROCPRIM_400000_NS6detail17trampoline_kernelINS0_14default_configENS1_20scan_config_selectorIlEEZZNS1_9scan_implILNS1_25lookback_scan_determinismE0ELb0ELb0ES3_PlS8_lN6thrust23THRUST_200600_302600_NS4plusIvEElEEDaPvRmT3_T4_T5_mT6_P12ihipStream_tbENKUlT_T0_E_clISt17integral_constantIbLb1EESQ_EEDaSL_SM_EUlSL_E0_NS1_11comp_targetILNS1_3genE5ELNS1_11target_archE942ELNS1_3gpuE9ELNS1_3repE0EEENS1_30default_config_static_selectorELNS0_4arch9wavefront6targetE0EEEvT1_,"axG",@progbits,_ZN7rocprim17ROCPRIM_400000_NS6detail17trampoline_kernelINS0_14default_configENS1_20scan_config_selectorIlEEZZNS1_9scan_implILNS1_25lookback_scan_determinismE0ELb0ELb0ES3_PlS8_lN6thrust23THRUST_200600_302600_NS4plusIvEElEEDaPvRmT3_T4_T5_mT6_P12ihipStream_tbENKUlT_T0_E_clISt17integral_constantIbLb1EESQ_EEDaSL_SM_EUlSL_E0_NS1_11comp_targetILNS1_3genE5ELNS1_11target_archE942ELNS1_3gpuE9ELNS1_3repE0EEENS1_30default_config_static_selectorELNS0_4arch9wavefront6targetE0EEEvT1_,comdat
	.protected	_ZN7rocprim17ROCPRIM_400000_NS6detail17trampoline_kernelINS0_14default_configENS1_20scan_config_selectorIlEEZZNS1_9scan_implILNS1_25lookback_scan_determinismE0ELb0ELb0ES3_PlS8_lN6thrust23THRUST_200600_302600_NS4plusIvEElEEDaPvRmT3_T4_T5_mT6_P12ihipStream_tbENKUlT_T0_E_clISt17integral_constantIbLb1EESQ_EEDaSL_SM_EUlSL_E0_NS1_11comp_targetILNS1_3genE5ELNS1_11target_archE942ELNS1_3gpuE9ELNS1_3repE0EEENS1_30default_config_static_selectorELNS0_4arch9wavefront6targetE0EEEvT1_ ; -- Begin function _ZN7rocprim17ROCPRIM_400000_NS6detail17trampoline_kernelINS0_14default_configENS1_20scan_config_selectorIlEEZZNS1_9scan_implILNS1_25lookback_scan_determinismE0ELb0ELb0ES3_PlS8_lN6thrust23THRUST_200600_302600_NS4plusIvEElEEDaPvRmT3_T4_T5_mT6_P12ihipStream_tbENKUlT_T0_E_clISt17integral_constantIbLb1EESQ_EEDaSL_SM_EUlSL_E0_NS1_11comp_targetILNS1_3genE5ELNS1_11target_archE942ELNS1_3gpuE9ELNS1_3repE0EEENS1_30default_config_static_selectorELNS0_4arch9wavefront6targetE0EEEvT1_
	.globl	_ZN7rocprim17ROCPRIM_400000_NS6detail17trampoline_kernelINS0_14default_configENS1_20scan_config_selectorIlEEZZNS1_9scan_implILNS1_25lookback_scan_determinismE0ELb0ELb0ES3_PlS8_lN6thrust23THRUST_200600_302600_NS4plusIvEElEEDaPvRmT3_T4_T5_mT6_P12ihipStream_tbENKUlT_T0_E_clISt17integral_constantIbLb1EESQ_EEDaSL_SM_EUlSL_E0_NS1_11comp_targetILNS1_3genE5ELNS1_11target_archE942ELNS1_3gpuE9ELNS1_3repE0EEENS1_30default_config_static_selectorELNS0_4arch9wavefront6targetE0EEEvT1_
	.p2align	8
	.type	_ZN7rocprim17ROCPRIM_400000_NS6detail17trampoline_kernelINS0_14default_configENS1_20scan_config_selectorIlEEZZNS1_9scan_implILNS1_25lookback_scan_determinismE0ELb0ELb0ES3_PlS8_lN6thrust23THRUST_200600_302600_NS4plusIvEElEEDaPvRmT3_T4_T5_mT6_P12ihipStream_tbENKUlT_T0_E_clISt17integral_constantIbLb1EESQ_EEDaSL_SM_EUlSL_E0_NS1_11comp_targetILNS1_3genE5ELNS1_11target_archE942ELNS1_3gpuE9ELNS1_3repE0EEENS1_30default_config_static_selectorELNS0_4arch9wavefront6targetE0EEEvT1_,@function
_ZN7rocprim17ROCPRIM_400000_NS6detail17trampoline_kernelINS0_14default_configENS1_20scan_config_selectorIlEEZZNS1_9scan_implILNS1_25lookback_scan_determinismE0ELb0ELb0ES3_PlS8_lN6thrust23THRUST_200600_302600_NS4plusIvEElEEDaPvRmT3_T4_T5_mT6_P12ihipStream_tbENKUlT_T0_E_clISt17integral_constantIbLb1EESQ_EEDaSL_SM_EUlSL_E0_NS1_11comp_targetILNS1_3genE5ELNS1_11target_archE942ELNS1_3gpuE9ELNS1_3repE0EEENS1_30default_config_static_selectorELNS0_4arch9wavefront6targetE0EEEvT1_: ; @_ZN7rocprim17ROCPRIM_400000_NS6detail17trampoline_kernelINS0_14default_configENS1_20scan_config_selectorIlEEZZNS1_9scan_implILNS1_25lookback_scan_determinismE0ELb0ELb0ES3_PlS8_lN6thrust23THRUST_200600_302600_NS4plusIvEElEEDaPvRmT3_T4_T5_mT6_P12ihipStream_tbENKUlT_T0_E_clISt17integral_constantIbLb1EESQ_EEDaSL_SM_EUlSL_E0_NS1_11comp_targetILNS1_3genE5ELNS1_11target_archE942ELNS1_3gpuE9ELNS1_3repE0EEENS1_30default_config_static_selectorELNS0_4arch9wavefront6targetE0EEEvT1_
; %bb.0:
	.section	.rodata,"a",@progbits
	.p2align	6, 0x0
	.amdhsa_kernel _ZN7rocprim17ROCPRIM_400000_NS6detail17trampoline_kernelINS0_14default_configENS1_20scan_config_selectorIlEEZZNS1_9scan_implILNS1_25lookback_scan_determinismE0ELb0ELb0ES3_PlS8_lN6thrust23THRUST_200600_302600_NS4plusIvEElEEDaPvRmT3_T4_T5_mT6_P12ihipStream_tbENKUlT_T0_E_clISt17integral_constantIbLb1EESQ_EEDaSL_SM_EUlSL_E0_NS1_11comp_targetILNS1_3genE5ELNS1_11target_archE942ELNS1_3gpuE9ELNS1_3repE0EEENS1_30default_config_static_selectorELNS0_4arch9wavefront6targetE0EEEvT1_
		.amdhsa_group_segment_fixed_size 0
		.amdhsa_private_segment_fixed_size 0
		.amdhsa_kernarg_size 40
		.amdhsa_user_sgpr_count 2
		.amdhsa_user_sgpr_dispatch_ptr 0
		.amdhsa_user_sgpr_queue_ptr 0
		.amdhsa_user_sgpr_kernarg_segment_ptr 1
		.amdhsa_user_sgpr_dispatch_id 0
		.amdhsa_user_sgpr_kernarg_preload_length 0
		.amdhsa_user_sgpr_kernarg_preload_offset 0
		.amdhsa_user_sgpr_private_segment_size 0
		.amdhsa_wavefront_size32 1
		.amdhsa_uses_dynamic_stack 0
		.amdhsa_enable_private_segment 0
		.amdhsa_system_sgpr_workgroup_id_x 1
		.amdhsa_system_sgpr_workgroup_id_y 0
		.amdhsa_system_sgpr_workgroup_id_z 0
		.amdhsa_system_sgpr_workgroup_info 0
		.amdhsa_system_vgpr_workitem_id 0
		.amdhsa_next_free_vgpr 1
		.amdhsa_next_free_sgpr 1
		.amdhsa_named_barrier_count 0
		.amdhsa_reserve_vcc 0
		.amdhsa_float_round_mode_32 0
		.amdhsa_float_round_mode_16_64 0
		.amdhsa_float_denorm_mode_32 3
		.amdhsa_float_denorm_mode_16_64 3
		.amdhsa_fp16_overflow 0
		.amdhsa_memory_ordered 1
		.amdhsa_forward_progress 1
		.amdhsa_inst_pref_size 0
		.amdhsa_round_robin_scheduling 0
		.amdhsa_exception_fp_ieee_invalid_op 0
		.amdhsa_exception_fp_denorm_src 0
		.amdhsa_exception_fp_ieee_div_zero 0
		.amdhsa_exception_fp_ieee_overflow 0
		.amdhsa_exception_fp_ieee_underflow 0
		.amdhsa_exception_fp_ieee_inexact 0
		.amdhsa_exception_int_div_zero 0
	.end_amdhsa_kernel
	.section	.text._ZN7rocprim17ROCPRIM_400000_NS6detail17trampoline_kernelINS0_14default_configENS1_20scan_config_selectorIlEEZZNS1_9scan_implILNS1_25lookback_scan_determinismE0ELb0ELb0ES3_PlS8_lN6thrust23THRUST_200600_302600_NS4plusIvEElEEDaPvRmT3_T4_T5_mT6_P12ihipStream_tbENKUlT_T0_E_clISt17integral_constantIbLb1EESQ_EEDaSL_SM_EUlSL_E0_NS1_11comp_targetILNS1_3genE5ELNS1_11target_archE942ELNS1_3gpuE9ELNS1_3repE0EEENS1_30default_config_static_selectorELNS0_4arch9wavefront6targetE0EEEvT1_,"axG",@progbits,_ZN7rocprim17ROCPRIM_400000_NS6detail17trampoline_kernelINS0_14default_configENS1_20scan_config_selectorIlEEZZNS1_9scan_implILNS1_25lookback_scan_determinismE0ELb0ELb0ES3_PlS8_lN6thrust23THRUST_200600_302600_NS4plusIvEElEEDaPvRmT3_T4_T5_mT6_P12ihipStream_tbENKUlT_T0_E_clISt17integral_constantIbLb1EESQ_EEDaSL_SM_EUlSL_E0_NS1_11comp_targetILNS1_3genE5ELNS1_11target_archE942ELNS1_3gpuE9ELNS1_3repE0EEENS1_30default_config_static_selectorELNS0_4arch9wavefront6targetE0EEEvT1_,comdat
.Lfunc_end113:
	.size	_ZN7rocprim17ROCPRIM_400000_NS6detail17trampoline_kernelINS0_14default_configENS1_20scan_config_selectorIlEEZZNS1_9scan_implILNS1_25lookback_scan_determinismE0ELb0ELb0ES3_PlS8_lN6thrust23THRUST_200600_302600_NS4plusIvEElEEDaPvRmT3_T4_T5_mT6_P12ihipStream_tbENKUlT_T0_E_clISt17integral_constantIbLb1EESQ_EEDaSL_SM_EUlSL_E0_NS1_11comp_targetILNS1_3genE5ELNS1_11target_archE942ELNS1_3gpuE9ELNS1_3repE0EEENS1_30default_config_static_selectorELNS0_4arch9wavefront6targetE0EEEvT1_, .Lfunc_end113-_ZN7rocprim17ROCPRIM_400000_NS6detail17trampoline_kernelINS0_14default_configENS1_20scan_config_selectorIlEEZZNS1_9scan_implILNS1_25lookback_scan_determinismE0ELb0ELb0ES3_PlS8_lN6thrust23THRUST_200600_302600_NS4plusIvEElEEDaPvRmT3_T4_T5_mT6_P12ihipStream_tbENKUlT_T0_E_clISt17integral_constantIbLb1EESQ_EEDaSL_SM_EUlSL_E0_NS1_11comp_targetILNS1_3genE5ELNS1_11target_archE942ELNS1_3gpuE9ELNS1_3repE0EEENS1_30default_config_static_selectorELNS0_4arch9wavefront6targetE0EEEvT1_
                                        ; -- End function
	.set _ZN7rocprim17ROCPRIM_400000_NS6detail17trampoline_kernelINS0_14default_configENS1_20scan_config_selectorIlEEZZNS1_9scan_implILNS1_25lookback_scan_determinismE0ELb0ELb0ES3_PlS8_lN6thrust23THRUST_200600_302600_NS4plusIvEElEEDaPvRmT3_T4_T5_mT6_P12ihipStream_tbENKUlT_T0_E_clISt17integral_constantIbLb1EESQ_EEDaSL_SM_EUlSL_E0_NS1_11comp_targetILNS1_3genE5ELNS1_11target_archE942ELNS1_3gpuE9ELNS1_3repE0EEENS1_30default_config_static_selectorELNS0_4arch9wavefront6targetE0EEEvT1_.num_vgpr, 0
	.set _ZN7rocprim17ROCPRIM_400000_NS6detail17trampoline_kernelINS0_14default_configENS1_20scan_config_selectorIlEEZZNS1_9scan_implILNS1_25lookback_scan_determinismE0ELb0ELb0ES3_PlS8_lN6thrust23THRUST_200600_302600_NS4plusIvEElEEDaPvRmT3_T4_T5_mT6_P12ihipStream_tbENKUlT_T0_E_clISt17integral_constantIbLb1EESQ_EEDaSL_SM_EUlSL_E0_NS1_11comp_targetILNS1_3genE5ELNS1_11target_archE942ELNS1_3gpuE9ELNS1_3repE0EEENS1_30default_config_static_selectorELNS0_4arch9wavefront6targetE0EEEvT1_.num_agpr, 0
	.set _ZN7rocprim17ROCPRIM_400000_NS6detail17trampoline_kernelINS0_14default_configENS1_20scan_config_selectorIlEEZZNS1_9scan_implILNS1_25lookback_scan_determinismE0ELb0ELb0ES3_PlS8_lN6thrust23THRUST_200600_302600_NS4plusIvEElEEDaPvRmT3_T4_T5_mT6_P12ihipStream_tbENKUlT_T0_E_clISt17integral_constantIbLb1EESQ_EEDaSL_SM_EUlSL_E0_NS1_11comp_targetILNS1_3genE5ELNS1_11target_archE942ELNS1_3gpuE9ELNS1_3repE0EEENS1_30default_config_static_selectorELNS0_4arch9wavefront6targetE0EEEvT1_.numbered_sgpr, 0
	.set _ZN7rocprim17ROCPRIM_400000_NS6detail17trampoline_kernelINS0_14default_configENS1_20scan_config_selectorIlEEZZNS1_9scan_implILNS1_25lookback_scan_determinismE0ELb0ELb0ES3_PlS8_lN6thrust23THRUST_200600_302600_NS4plusIvEElEEDaPvRmT3_T4_T5_mT6_P12ihipStream_tbENKUlT_T0_E_clISt17integral_constantIbLb1EESQ_EEDaSL_SM_EUlSL_E0_NS1_11comp_targetILNS1_3genE5ELNS1_11target_archE942ELNS1_3gpuE9ELNS1_3repE0EEENS1_30default_config_static_selectorELNS0_4arch9wavefront6targetE0EEEvT1_.num_named_barrier, 0
	.set _ZN7rocprim17ROCPRIM_400000_NS6detail17trampoline_kernelINS0_14default_configENS1_20scan_config_selectorIlEEZZNS1_9scan_implILNS1_25lookback_scan_determinismE0ELb0ELb0ES3_PlS8_lN6thrust23THRUST_200600_302600_NS4plusIvEElEEDaPvRmT3_T4_T5_mT6_P12ihipStream_tbENKUlT_T0_E_clISt17integral_constantIbLb1EESQ_EEDaSL_SM_EUlSL_E0_NS1_11comp_targetILNS1_3genE5ELNS1_11target_archE942ELNS1_3gpuE9ELNS1_3repE0EEENS1_30default_config_static_selectorELNS0_4arch9wavefront6targetE0EEEvT1_.private_seg_size, 0
	.set _ZN7rocprim17ROCPRIM_400000_NS6detail17trampoline_kernelINS0_14default_configENS1_20scan_config_selectorIlEEZZNS1_9scan_implILNS1_25lookback_scan_determinismE0ELb0ELb0ES3_PlS8_lN6thrust23THRUST_200600_302600_NS4plusIvEElEEDaPvRmT3_T4_T5_mT6_P12ihipStream_tbENKUlT_T0_E_clISt17integral_constantIbLb1EESQ_EEDaSL_SM_EUlSL_E0_NS1_11comp_targetILNS1_3genE5ELNS1_11target_archE942ELNS1_3gpuE9ELNS1_3repE0EEENS1_30default_config_static_selectorELNS0_4arch9wavefront6targetE0EEEvT1_.uses_vcc, 0
	.set _ZN7rocprim17ROCPRIM_400000_NS6detail17trampoline_kernelINS0_14default_configENS1_20scan_config_selectorIlEEZZNS1_9scan_implILNS1_25lookback_scan_determinismE0ELb0ELb0ES3_PlS8_lN6thrust23THRUST_200600_302600_NS4plusIvEElEEDaPvRmT3_T4_T5_mT6_P12ihipStream_tbENKUlT_T0_E_clISt17integral_constantIbLb1EESQ_EEDaSL_SM_EUlSL_E0_NS1_11comp_targetILNS1_3genE5ELNS1_11target_archE942ELNS1_3gpuE9ELNS1_3repE0EEENS1_30default_config_static_selectorELNS0_4arch9wavefront6targetE0EEEvT1_.uses_flat_scratch, 0
	.set _ZN7rocprim17ROCPRIM_400000_NS6detail17trampoline_kernelINS0_14default_configENS1_20scan_config_selectorIlEEZZNS1_9scan_implILNS1_25lookback_scan_determinismE0ELb0ELb0ES3_PlS8_lN6thrust23THRUST_200600_302600_NS4plusIvEElEEDaPvRmT3_T4_T5_mT6_P12ihipStream_tbENKUlT_T0_E_clISt17integral_constantIbLb1EESQ_EEDaSL_SM_EUlSL_E0_NS1_11comp_targetILNS1_3genE5ELNS1_11target_archE942ELNS1_3gpuE9ELNS1_3repE0EEENS1_30default_config_static_selectorELNS0_4arch9wavefront6targetE0EEEvT1_.has_dyn_sized_stack, 0
	.set _ZN7rocprim17ROCPRIM_400000_NS6detail17trampoline_kernelINS0_14default_configENS1_20scan_config_selectorIlEEZZNS1_9scan_implILNS1_25lookback_scan_determinismE0ELb0ELb0ES3_PlS8_lN6thrust23THRUST_200600_302600_NS4plusIvEElEEDaPvRmT3_T4_T5_mT6_P12ihipStream_tbENKUlT_T0_E_clISt17integral_constantIbLb1EESQ_EEDaSL_SM_EUlSL_E0_NS1_11comp_targetILNS1_3genE5ELNS1_11target_archE942ELNS1_3gpuE9ELNS1_3repE0EEENS1_30default_config_static_selectorELNS0_4arch9wavefront6targetE0EEEvT1_.has_recursion, 0
	.set _ZN7rocprim17ROCPRIM_400000_NS6detail17trampoline_kernelINS0_14default_configENS1_20scan_config_selectorIlEEZZNS1_9scan_implILNS1_25lookback_scan_determinismE0ELb0ELb0ES3_PlS8_lN6thrust23THRUST_200600_302600_NS4plusIvEElEEDaPvRmT3_T4_T5_mT6_P12ihipStream_tbENKUlT_T0_E_clISt17integral_constantIbLb1EESQ_EEDaSL_SM_EUlSL_E0_NS1_11comp_targetILNS1_3genE5ELNS1_11target_archE942ELNS1_3gpuE9ELNS1_3repE0EEENS1_30default_config_static_selectorELNS0_4arch9wavefront6targetE0EEEvT1_.has_indirect_call, 0
	.section	.AMDGPU.csdata,"",@progbits
; Kernel info:
; codeLenInByte = 0
; TotalNumSgprs: 0
; NumVgprs: 0
; ScratchSize: 0
; MemoryBound: 0
; FloatMode: 240
; IeeeMode: 1
; LDSByteSize: 0 bytes/workgroup (compile time only)
; SGPRBlocks: 0
; VGPRBlocks: 0
; NumSGPRsForWavesPerEU: 1
; NumVGPRsForWavesPerEU: 1
; NamedBarCnt: 0
; Occupancy: 16
; WaveLimiterHint : 0
; COMPUTE_PGM_RSRC2:SCRATCH_EN: 0
; COMPUTE_PGM_RSRC2:USER_SGPR: 2
; COMPUTE_PGM_RSRC2:TRAP_HANDLER: 0
; COMPUTE_PGM_RSRC2:TGID_X_EN: 1
; COMPUTE_PGM_RSRC2:TGID_Y_EN: 0
; COMPUTE_PGM_RSRC2:TGID_Z_EN: 0
; COMPUTE_PGM_RSRC2:TIDIG_COMP_CNT: 0
	.section	.text._ZN7rocprim17ROCPRIM_400000_NS6detail17trampoline_kernelINS0_14default_configENS1_20scan_config_selectorIlEEZZNS1_9scan_implILNS1_25lookback_scan_determinismE0ELb0ELb0ES3_PlS8_lN6thrust23THRUST_200600_302600_NS4plusIvEElEEDaPvRmT3_T4_T5_mT6_P12ihipStream_tbENKUlT_T0_E_clISt17integral_constantIbLb1EESQ_EEDaSL_SM_EUlSL_E0_NS1_11comp_targetILNS1_3genE4ELNS1_11target_archE910ELNS1_3gpuE8ELNS1_3repE0EEENS1_30default_config_static_selectorELNS0_4arch9wavefront6targetE0EEEvT1_,"axG",@progbits,_ZN7rocprim17ROCPRIM_400000_NS6detail17trampoline_kernelINS0_14default_configENS1_20scan_config_selectorIlEEZZNS1_9scan_implILNS1_25lookback_scan_determinismE0ELb0ELb0ES3_PlS8_lN6thrust23THRUST_200600_302600_NS4plusIvEElEEDaPvRmT3_T4_T5_mT6_P12ihipStream_tbENKUlT_T0_E_clISt17integral_constantIbLb1EESQ_EEDaSL_SM_EUlSL_E0_NS1_11comp_targetILNS1_3genE4ELNS1_11target_archE910ELNS1_3gpuE8ELNS1_3repE0EEENS1_30default_config_static_selectorELNS0_4arch9wavefront6targetE0EEEvT1_,comdat
	.protected	_ZN7rocprim17ROCPRIM_400000_NS6detail17trampoline_kernelINS0_14default_configENS1_20scan_config_selectorIlEEZZNS1_9scan_implILNS1_25lookback_scan_determinismE0ELb0ELb0ES3_PlS8_lN6thrust23THRUST_200600_302600_NS4plusIvEElEEDaPvRmT3_T4_T5_mT6_P12ihipStream_tbENKUlT_T0_E_clISt17integral_constantIbLb1EESQ_EEDaSL_SM_EUlSL_E0_NS1_11comp_targetILNS1_3genE4ELNS1_11target_archE910ELNS1_3gpuE8ELNS1_3repE0EEENS1_30default_config_static_selectorELNS0_4arch9wavefront6targetE0EEEvT1_ ; -- Begin function _ZN7rocprim17ROCPRIM_400000_NS6detail17trampoline_kernelINS0_14default_configENS1_20scan_config_selectorIlEEZZNS1_9scan_implILNS1_25lookback_scan_determinismE0ELb0ELb0ES3_PlS8_lN6thrust23THRUST_200600_302600_NS4plusIvEElEEDaPvRmT3_T4_T5_mT6_P12ihipStream_tbENKUlT_T0_E_clISt17integral_constantIbLb1EESQ_EEDaSL_SM_EUlSL_E0_NS1_11comp_targetILNS1_3genE4ELNS1_11target_archE910ELNS1_3gpuE8ELNS1_3repE0EEENS1_30default_config_static_selectorELNS0_4arch9wavefront6targetE0EEEvT1_
	.globl	_ZN7rocprim17ROCPRIM_400000_NS6detail17trampoline_kernelINS0_14default_configENS1_20scan_config_selectorIlEEZZNS1_9scan_implILNS1_25lookback_scan_determinismE0ELb0ELb0ES3_PlS8_lN6thrust23THRUST_200600_302600_NS4plusIvEElEEDaPvRmT3_T4_T5_mT6_P12ihipStream_tbENKUlT_T0_E_clISt17integral_constantIbLb1EESQ_EEDaSL_SM_EUlSL_E0_NS1_11comp_targetILNS1_3genE4ELNS1_11target_archE910ELNS1_3gpuE8ELNS1_3repE0EEENS1_30default_config_static_selectorELNS0_4arch9wavefront6targetE0EEEvT1_
	.p2align	8
	.type	_ZN7rocprim17ROCPRIM_400000_NS6detail17trampoline_kernelINS0_14default_configENS1_20scan_config_selectorIlEEZZNS1_9scan_implILNS1_25lookback_scan_determinismE0ELb0ELb0ES3_PlS8_lN6thrust23THRUST_200600_302600_NS4plusIvEElEEDaPvRmT3_T4_T5_mT6_P12ihipStream_tbENKUlT_T0_E_clISt17integral_constantIbLb1EESQ_EEDaSL_SM_EUlSL_E0_NS1_11comp_targetILNS1_3genE4ELNS1_11target_archE910ELNS1_3gpuE8ELNS1_3repE0EEENS1_30default_config_static_selectorELNS0_4arch9wavefront6targetE0EEEvT1_,@function
_ZN7rocprim17ROCPRIM_400000_NS6detail17trampoline_kernelINS0_14default_configENS1_20scan_config_selectorIlEEZZNS1_9scan_implILNS1_25lookback_scan_determinismE0ELb0ELb0ES3_PlS8_lN6thrust23THRUST_200600_302600_NS4plusIvEElEEDaPvRmT3_T4_T5_mT6_P12ihipStream_tbENKUlT_T0_E_clISt17integral_constantIbLb1EESQ_EEDaSL_SM_EUlSL_E0_NS1_11comp_targetILNS1_3genE4ELNS1_11target_archE910ELNS1_3gpuE8ELNS1_3repE0EEENS1_30default_config_static_selectorELNS0_4arch9wavefront6targetE0EEEvT1_: ; @_ZN7rocprim17ROCPRIM_400000_NS6detail17trampoline_kernelINS0_14default_configENS1_20scan_config_selectorIlEEZZNS1_9scan_implILNS1_25lookback_scan_determinismE0ELb0ELb0ES3_PlS8_lN6thrust23THRUST_200600_302600_NS4plusIvEElEEDaPvRmT3_T4_T5_mT6_P12ihipStream_tbENKUlT_T0_E_clISt17integral_constantIbLb1EESQ_EEDaSL_SM_EUlSL_E0_NS1_11comp_targetILNS1_3genE4ELNS1_11target_archE910ELNS1_3gpuE8ELNS1_3repE0EEENS1_30default_config_static_selectorELNS0_4arch9wavefront6targetE0EEEvT1_
; %bb.0:
	.section	.rodata,"a",@progbits
	.p2align	6, 0x0
	.amdhsa_kernel _ZN7rocprim17ROCPRIM_400000_NS6detail17trampoline_kernelINS0_14default_configENS1_20scan_config_selectorIlEEZZNS1_9scan_implILNS1_25lookback_scan_determinismE0ELb0ELb0ES3_PlS8_lN6thrust23THRUST_200600_302600_NS4plusIvEElEEDaPvRmT3_T4_T5_mT6_P12ihipStream_tbENKUlT_T0_E_clISt17integral_constantIbLb1EESQ_EEDaSL_SM_EUlSL_E0_NS1_11comp_targetILNS1_3genE4ELNS1_11target_archE910ELNS1_3gpuE8ELNS1_3repE0EEENS1_30default_config_static_selectorELNS0_4arch9wavefront6targetE0EEEvT1_
		.amdhsa_group_segment_fixed_size 0
		.amdhsa_private_segment_fixed_size 0
		.amdhsa_kernarg_size 40
		.amdhsa_user_sgpr_count 2
		.amdhsa_user_sgpr_dispatch_ptr 0
		.amdhsa_user_sgpr_queue_ptr 0
		.amdhsa_user_sgpr_kernarg_segment_ptr 1
		.amdhsa_user_sgpr_dispatch_id 0
		.amdhsa_user_sgpr_kernarg_preload_length 0
		.amdhsa_user_sgpr_kernarg_preload_offset 0
		.amdhsa_user_sgpr_private_segment_size 0
		.amdhsa_wavefront_size32 1
		.amdhsa_uses_dynamic_stack 0
		.amdhsa_enable_private_segment 0
		.amdhsa_system_sgpr_workgroup_id_x 1
		.amdhsa_system_sgpr_workgroup_id_y 0
		.amdhsa_system_sgpr_workgroup_id_z 0
		.amdhsa_system_sgpr_workgroup_info 0
		.amdhsa_system_vgpr_workitem_id 0
		.amdhsa_next_free_vgpr 1
		.amdhsa_next_free_sgpr 1
		.amdhsa_named_barrier_count 0
		.amdhsa_reserve_vcc 0
		.amdhsa_float_round_mode_32 0
		.amdhsa_float_round_mode_16_64 0
		.amdhsa_float_denorm_mode_32 3
		.amdhsa_float_denorm_mode_16_64 3
		.amdhsa_fp16_overflow 0
		.amdhsa_memory_ordered 1
		.amdhsa_forward_progress 1
		.amdhsa_inst_pref_size 0
		.amdhsa_round_robin_scheduling 0
		.amdhsa_exception_fp_ieee_invalid_op 0
		.amdhsa_exception_fp_denorm_src 0
		.amdhsa_exception_fp_ieee_div_zero 0
		.amdhsa_exception_fp_ieee_overflow 0
		.amdhsa_exception_fp_ieee_underflow 0
		.amdhsa_exception_fp_ieee_inexact 0
		.amdhsa_exception_int_div_zero 0
	.end_amdhsa_kernel
	.section	.text._ZN7rocprim17ROCPRIM_400000_NS6detail17trampoline_kernelINS0_14default_configENS1_20scan_config_selectorIlEEZZNS1_9scan_implILNS1_25lookback_scan_determinismE0ELb0ELb0ES3_PlS8_lN6thrust23THRUST_200600_302600_NS4plusIvEElEEDaPvRmT3_T4_T5_mT6_P12ihipStream_tbENKUlT_T0_E_clISt17integral_constantIbLb1EESQ_EEDaSL_SM_EUlSL_E0_NS1_11comp_targetILNS1_3genE4ELNS1_11target_archE910ELNS1_3gpuE8ELNS1_3repE0EEENS1_30default_config_static_selectorELNS0_4arch9wavefront6targetE0EEEvT1_,"axG",@progbits,_ZN7rocprim17ROCPRIM_400000_NS6detail17trampoline_kernelINS0_14default_configENS1_20scan_config_selectorIlEEZZNS1_9scan_implILNS1_25lookback_scan_determinismE0ELb0ELb0ES3_PlS8_lN6thrust23THRUST_200600_302600_NS4plusIvEElEEDaPvRmT3_T4_T5_mT6_P12ihipStream_tbENKUlT_T0_E_clISt17integral_constantIbLb1EESQ_EEDaSL_SM_EUlSL_E0_NS1_11comp_targetILNS1_3genE4ELNS1_11target_archE910ELNS1_3gpuE8ELNS1_3repE0EEENS1_30default_config_static_selectorELNS0_4arch9wavefront6targetE0EEEvT1_,comdat
.Lfunc_end114:
	.size	_ZN7rocprim17ROCPRIM_400000_NS6detail17trampoline_kernelINS0_14default_configENS1_20scan_config_selectorIlEEZZNS1_9scan_implILNS1_25lookback_scan_determinismE0ELb0ELb0ES3_PlS8_lN6thrust23THRUST_200600_302600_NS4plusIvEElEEDaPvRmT3_T4_T5_mT6_P12ihipStream_tbENKUlT_T0_E_clISt17integral_constantIbLb1EESQ_EEDaSL_SM_EUlSL_E0_NS1_11comp_targetILNS1_3genE4ELNS1_11target_archE910ELNS1_3gpuE8ELNS1_3repE0EEENS1_30default_config_static_selectorELNS0_4arch9wavefront6targetE0EEEvT1_, .Lfunc_end114-_ZN7rocprim17ROCPRIM_400000_NS6detail17trampoline_kernelINS0_14default_configENS1_20scan_config_selectorIlEEZZNS1_9scan_implILNS1_25lookback_scan_determinismE0ELb0ELb0ES3_PlS8_lN6thrust23THRUST_200600_302600_NS4plusIvEElEEDaPvRmT3_T4_T5_mT6_P12ihipStream_tbENKUlT_T0_E_clISt17integral_constantIbLb1EESQ_EEDaSL_SM_EUlSL_E0_NS1_11comp_targetILNS1_3genE4ELNS1_11target_archE910ELNS1_3gpuE8ELNS1_3repE0EEENS1_30default_config_static_selectorELNS0_4arch9wavefront6targetE0EEEvT1_
                                        ; -- End function
	.set _ZN7rocprim17ROCPRIM_400000_NS6detail17trampoline_kernelINS0_14default_configENS1_20scan_config_selectorIlEEZZNS1_9scan_implILNS1_25lookback_scan_determinismE0ELb0ELb0ES3_PlS8_lN6thrust23THRUST_200600_302600_NS4plusIvEElEEDaPvRmT3_T4_T5_mT6_P12ihipStream_tbENKUlT_T0_E_clISt17integral_constantIbLb1EESQ_EEDaSL_SM_EUlSL_E0_NS1_11comp_targetILNS1_3genE4ELNS1_11target_archE910ELNS1_3gpuE8ELNS1_3repE0EEENS1_30default_config_static_selectorELNS0_4arch9wavefront6targetE0EEEvT1_.num_vgpr, 0
	.set _ZN7rocprim17ROCPRIM_400000_NS6detail17trampoline_kernelINS0_14default_configENS1_20scan_config_selectorIlEEZZNS1_9scan_implILNS1_25lookback_scan_determinismE0ELb0ELb0ES3_PlS8_lN6thrust23THRUST_200600_302600_NS4plusIvEElEEDaPvRmT3_T4_T5_mT6_P12ihipStream_tbENKUlT_T0_E_clISt17integral_constantIbLb1EESQ_EEDaSL_SM_EUlSL_E0_NS1_11comp_targetILNS1_3genE4ELNS1_11target_archE910ELNS1_3gpuE8ELNS1_3repE0EEENS1_30default_config_static_selectorELNS0_4arch9wavefront6targetE0EEEvT1_.num_agpr, 0
	.set _ZN7rocprim17ROCPRIM_400000_NS6detail17trampoline_kernelINS0_14default_configENS1_20scan_config_selectorIlEEZZNS1_9scan_implILNS1_25lookback_scan_determinismE0ELb0ELb0ES3_PlS8_lN6thrust23THRUST_200600_302600_NS4plusIvEElEEDaPvRmT3_T4_T5_mT6_P12ihipStream_tbENKUlT_T0_E_clISt17integral_constantIbLb1EESQ_EEDaSL_SM_EUlSL_E0_NS1_11comp_targetILNS1_3genE4ELNS1_11target_archE910ELNS1_3gpuE8ELNS1_3repE0EEENS1_30default_config_static_selectorELNS0_4arch9wavefront6targetE0EEEvT1_.numbered_sgpr, 0
	.set _ZN7rocprim17ROCPRIM_400000_NS6detail17trampoline_kernelINS0_14default_configENS1_20scan_config_selectorIlEEZZNS1_9scan_implILNS1_25lookback_scan_determinismE0ELb0ELb0ES3_PlS8_lN6thrust23THRUST_200600_302600_NS4plusIvEElEEDaPvRmT3_T4_T5_mT6_P12ihipStream_tbENKUlT_T0_E_clISt17integral_constantIbLb1EESQ_EEDaSL_SM_EUlSL_E0_NS1_11comp_targetILNS1_3genE4ELNS1_11target_archE910ELNS1_3gpuE8ELNS1_3repE0EEENS1_30default_config_static_selectorELNS0_4arch9wavefront6targetE0EEEvT1_.num_named_barrier, 0
	.set _ZN7rocprim17ROCPRIM_400000_NS6detail17trampoline_kernelINS0_14default_configENS1_20scan_config_selectorIlEEZZNS1_9scan_implILNS1_25lookback_scan_determinismE0ELb0ELb0ES3_PlS8_lN6thrust23THRUST_200600_302600_NS4plusIvEElEEDaPvRmT3_T4_T5_mT6_P12ihipStream_tbENKUlT_T0_E_clISt17integral_constantIbLb1EESQ_EEDaSL_SM_EUlSL_E0_NS1_11comp_targetILNS1_3genE4ELNS1_11target_archE910ELNS1_3gpuE8ELNS1_3repE0EEENS1_30default_config_static_selectorELNS0_4arch9wavefront6targetE0EEEvT1_.private_seg_size, 0
	.set _ZN7rocprim17ROCPRIM_400000_NS6detail17trampoline_kernelINS0_14default_configENS1_20scan_config_selectorIlEEZZNS1_9scan_implILNS1_25lookback_scan_determinismE0ELb0ELb0ES3_PlS8_lN6thrust23THRUST_200600_302600_NS4plusIvEElEEDaPvRmT3_T4_T5_mT6_P12ihipStream_tbENKUlT_T0_E_clISt17integral_constantIbLb1EESQ_EEDaSL_SM_EUlSL_E0_NS1_11comp_targetILNS1_3genE4ELNS1_11target_archE910ELNS1_3gpuE8ELNS1_3repE0EEENS1_30default_config_static_selectorELNS0_4arch9wavefront6targetE0EEEvT1_.uses_vcc, 0
	.set _ZN7rocprim17ROCPRIM_400000_NS6detail17trampoline_kernelINS0_14default_configENS1_20scan_config_selectorIlEEZZNS1_9scan_implILNS1_25lookback_scan_determinismE0ELb0ELb0ES3_PlS8_lN6thrust23THRUST_200600_302600_NS4plusIvEElEEDaPvRmT3_T4_T5_mT6_P12ihipStream_tbENKUlT_T0_E_clISt17integral_constantIbLb1EESQ_EEDaSL_SM_EUlSL_E0_NS1_11comp_targetILNS1_3genE4ELNS1_11target_archE910ELNS1_3gpuE8ELNS1_3repE0EEENS1_30default_config_static_selectorELNS0_4arch9wavefront6targetE0EEEvT1_.uses_flat_scratch, 0
	.set _ZN7rocprim17ROCPRIM_400000_NS6detail17trampoline_kernelINS0_14default_configENS1_20scan_config_selectorIlEEZZNS1_9scan_implILNS1_25lookback_scan_determinismE0ELb0ELb0ES3_PlS8_lN6thrust23THRUST_200600_302600_NS4plusIvEElEEDaPvRmT3_T4_T5_mT6_P12ihipStream_tbENKUlT_T0_E_clISt17integral_constantIbLb1EESQ_EEDaSL_SM_EUlSL_E0_NS1_11comp_targetILNS1_3genE4ELNS1_11target_archE910ELNS1_3gpuE8ELNS1_3repE0EEENS1_30default_config_static_selectorELNS0_4arch9wavefront6targetE0EEEvT1_.has_dyn_sized_stack, 0
	.set _ZN7rocprim17ROCPRIM_400000_NS6detail17trampoline_kernelINS0_14default_configENS1_20scan_config_selectorIlEEZZNS1_9scan_implILNS1_25lookback_scan_determinismE0ELb0ELb0ES3_PlS8_lN6thrust23THRUST_200600_302600_NS4plusIvEElEEDaPvRmT3_T4_T5_mT6_P12ihipStream_tbENKUlT_T0_E_clISt17integral_constantIbLb1EESQ_EEDaSL_SM_EUlSL_E0_NS1_11comp_targetILNS1_3genE4ELNS1_11target_archE910ELNS1_3gpuE8ELNS1_3repE0EEENS1_30default_config_static_selectorELNS0_4arch9wavefront6targetE0EEEvT1_.has_recursion, 0
	.set _ZN7rocprim17ROCPRIM_400000_NS6detail17trampoline_kernelINS0_14default_configENS1_20scan_config_selectorIlEEZZNS1_9scan_implILNS1_25lookback_scan_determinismE0ELb0ELb0ES3_PlS8_lN6thrust23THRUST_200600_302600_NS4plusIvEElEEDaPvRmT3_T4_T5_mT6_P12ihipStream_tbENKUlT_T0_E_clISt17integral_constantIbLb1EESQ_EEDaSL_SM_EUlSL_E0_NS1_11comp_targetILNS1_3genE4ELNS1_11target_archE910ELNS1_3gpuE8ELNS1_3repE0EEENS1_30default_config_static_selectorELNS0_4arch9wavefront6targetE0EEEvT1_.has_indirect_call, 0
	.section	.AMDGPU.csdata,"",@progbits
; Kernel info:
; codeLenInByte = 0
; TotalNumSgprs: 0
; NumVgprs: 0
; ScratchSize: 0
; MemoryBound: 0
; FloatMode: 240
; IeeeMode: 1
; LDSByteSize: 0 bytes/workgroup (compile time only)
; SGPRBlocks: 0
; VGPRBlocks: 0
; NumSGPRsForWavesPerEU: 1
; NumVGPRsForWavesPerEU: 1
; NamedBarCnt: 0
; Occupancy: 16
; WaveLimiterHint : 0
; COMPUTE_PGM_RSRC2:SCRATCH_EN: 0
; COMPUTE_PGM_RSRC2:USER_SGPR: 2
; COMPUTE_PGM_RSRC2:TRAP_HANDLER: 0
; COMPUTE_PGM_RSRC2:TGID_X_EN: 1
; COMPUTE_PGM_RSRC2:TGID_Y_EN: 0
; COMPUTE_PGM_RSRC2:TGID_Z_EN: 0
; COMPUTE_PGM_RSRC2:TIDIG_COMP_CNT: 0
	.section	.text._ZN7rocprim17ROCPRIM_400000_NS6detail17trampoline_kernelINS0_14default_configENS1_20scan_config_selectorIlEEZZNS1_9scan_implILNS1_25lookback_scan_determinismE0ELb0ELb0ES3_PlS8_lN6thrust23THRUST_200600_302600_NS4plusIvEElEEDaPvRmT3_T4_T5_mT6_P12ihipStream_tbENKUlT_T0_E_clISt17integral_constantIbLb1EESQ_EEDaSL_SM_EUlSL_E0_NS1_11comp_targetILNS1_3genE3ELNS1_11target_archE908ELNS1_3gpuE7ELNS1_3repE0EEENS1_30default_config_static_selectorELNS0_4arch9wavefront6targetE0EEEvT1_,"axG",@progbits,_ZN7rocprim17ROCPRIM_400000_NS6detail17trampoline_kernelINS0_14default_configENS1_20scan_config_selectorIlEEZZNS1_9scan_implILNS1_25lookback_scan_determinismE0ELb0ELb0ES3_PlS8_lN6thrust23THRUST_200600_302600_NS4plusIvEElEEDaPvRmT3_T4_T5_mT6_P12ihipStream_tbENKUlT_T0_E_clISt17integral_constantIbLb1EESQ_EEDaSL_SM_EUlSL_E0_NS1_11comp_targetILNS1_3genE3ELNS1_11target_archE908ELNS1_3gpuE7ELNS1_3repE0EEENS1_30default_config_static_selectorELNS0_4arch9wavefront6targetE0EEEvT1_,comdat
	.protected	_ZN7rocprim17ROCPRIM_400000_NS6detail17trampoline_kernelINS0_14default_configENS1_20scan_config_selectorIlEEZZNS1_9scan_implILNS1_25lookback_scan_determinismE0ELb0ELb0ES3_PlS8_lN6thrust23THRUST_200600_302600_NS4plusIvEElEEDaPvRmT3_T4_T5_mT6_P12ihipStream_tbENKUlT_T0_E_clISt17integral_constantIbLb1EESQ_EEDaSL_SM_EUlSL_E0_NS1_11comp_targetILNS1_3genE3ELNS1_11target_archE908ELNS1_3gpuE7ELNS1_3repE0EEENS1_30default_config_static_selectorELNS0_4arch9wavefront6targetE0EEEvT1_ ; -- Begin function _ZN7rocprim17ROCPRIM_400000_NS6detail17trampoline_kernelINS0_14default_configENS1_20scan_config_selectorIlEEZZNS1_9scan_implILNS1_25lookback_scan_determinismE0ELb0ELb0ES3_PlS8_lN6thrust23THRUST_200600_302600_NS4plusIvEElEEDaPvRmT3_T4_T5_mT6_P12ihipStream_tbENKUlT_T0_E_clISt17integral_constantIbLb1EESQ_EEDaSL_SM_EUlSL_E0_NS1_11comp_targetILNS1_3genE3ELNS1_11target_archE908ELNS1_3gpuE7ELNS1_3repE0EEENS1_30default_config_static_selectorELNS0_4arch9wavefront6targetE0EEEvT1_
	.globl	_ZN7rocprim17ROCPRIM_400000_NS6detail17trampoline_kernelINS0_14default_configENS1_20scan_config_selectorIlEEZZNS1_9scan_implILNS1_25lookback_scan_determinismE0ELb0ELb0ES3_PlS8_lN6thrust23THRUST_200600_302600_NS4plusIvEElEEDaPvRmT3_T4_T5_mT6_P12ihipStream_tbENKUlT_T0_E_clISt17integral_constantIbLb1EESQ_EEDaSL_SM_EUlSL_E0_NS1_11comp_targetILNS1_3genE3ELNS1_11target_archE908ELNS1_3gpuE7ELNS1_3repE0EEENS1_30default_config_static_selectorELNS0_4arch9wavefront6targetE0EEEvT1_
	.p2align	8
	.type	_ZN7rocprim17ROCPRIM_400000_NS6detail17trampoline_kernelINS0_14default_configENS1_20scan_config_selectorIlEEZZNS1_9scan_implILNS1_25lookback_scan_determinismE0ELb0ELb0ES3_PlS8_lN6thrust23THRUST_200600_302600_NS4plusIvEElEEDaPvRmT3_T4_T5_mT6_P12ihipStream_tbENKUlT_T0_E_clISt17integral_constantIbLb1EESQ_EEDaSL_SM_EUlSL_E0_NS1_11comp_targetILNS1_3genE3ELNS1_11target_archE908ELNS1_3gpuE7ELNS1_3repE0EEENS1_30default_config_static_selectorELNS0_4arch9wavefront6targetE0EEEvT1_,@function
_ZN7rocprim17ROCPRIM_400000_NS6detail17trampoline_kernelINS0_14default_configENS1_20scan_config_selectorIlEEZZNS1_9scan_implILNS1_25lookback_scan_determinismE0ELb0ELb0ES3_PlS8_lN6thrust23THRUST_200600_302600_NS4plusIvEElEEDaPvRmT3_T4_T5_mT6_P12ihipStream_tbENKUlT_T0_E_clISt17integral_constantIbLb1EESQ_EEDaSL_SM_EUlSL_E0_NS1_11comp_targetILNS1_3genE3ELNS1_11target_archE908ELNS1_3gpuE7ELNS1_3repE0EEENS1_30default_config_static_selectorELNS0_4arch9wavefront6targetE0EEEvT1_: ; @_ZN7rocprim17ROCPRIM_400000_NS6detail17trampoline_kernelINS0_14default_configENS1_20scan_config_selectorIlEEZZNS1_9scan_implILNS1_25lookback_scan_determinismE0ELb0ELb0ES3_PlS8_lN6thrust23THRUST_200600_302600_NS4plusIvEElEEDaPvRmT3_T4_T5_mT6_P12ihipStream_tbENKUlT_T0_E_clISt17integral_constantIbLb1EESQ_EEDaSL_SM_EUlSL_E0_NS1_11comp_targetILNS1_3genE3ELNS1_11target_archE908ELNS1_3gpuE7ELNS1_3repE0EEENS1_30default_config_static_selectorELNS0_4arch9wavefront6targetE0EEEvT1_
; %bb.0:
	.section	.rodata,"a",@progbits
	.p2align	6, 0x0
	.amdhsa_kernel _ZN7rocprim17ROCPRIM_400000_NS6detail17trampoline_kernelINS0_14default_configENS1_20scan_config_selectorIlEEZZNS1_9scan_implILNS1_25lookback_scan_determinismE0ELb0ELb0ES3_PlS8_lN6thrust23THRUST_200600_302600_NS4plusIvEElEEDaPvRmT3_T4_T5_mT6_P12ihipStream_tbENKUlT_T0_E_clISt17integral_constantIbLb1EESQ_EEDaSL_SM_EUlSL_E0_NS1_11comp_targetILNS1_3genE3ELNS1_11target_archE908ELNS1_3gpuE7ELNS1_3repE0EEENS1_30default_config_static_selectorELNS0_4arch9wavefront6targetE0EEEvT1_
		.amdhsa_group_segment_fixed_size 0
		.amdhsa_private_segment_fixed_size 0
		.amdhsa_kernarg_size 40
		.amdhsa_user_sgpr_count 2
		.amdhsa_user_sgpr_dispatch_ptr 0
		.amdhsa_user_sgpr_queue_ptr 0
		.amdhsa_user_sgpr_kernarg_segment_ptr 1
		.amdhsa_user_sgpr_dispatch_id 0
		.amdhsa_user_sgpr_kernarg_preload_length 0
		.amdhsa_user_sgpr_kernarg_preload_offset 0
		.amdhsa_user_sgpr_private_segment_size 0
		.amdhsa_wavefront_size32 1
		.amdhsa_uses_dynamic_stack 0
		.amdhsa_enable_private_segment 0
		.amdhsa_system_sgpr_workgroup_id_x 1
		.amdhsa_system_sgpr_workgroup_id_y 0
		.amdhsa_system_sgpr_workgroup_id_z 0
		.amdhsa_system_sgpr_workgroup_info 0
		.amdhsa_system_vgpr_workitem_id 0
		.amdhsa_next_free_vgpr 1
		.amdhsa_next_free_sgpr 1
		.amdhsa_named_barrier_count 0
		.amdhsa_reserve_vcc 0
		.amdhsa_float_round_mode_32 0
		.amdhsa_float_round_mode_16_64 0
		.amdhsa_float_denorm_mode_32 3
		.amdhsa_float_denorm_mode_16_64 3
		.amdhsa_fp16_overflow 0
		.amdhsa_memory_ordered 1
		.amdhsa_forward_progress 1
		.amdhsa_inst_pref_size 0
		.amdhsa_round_robin_scheduling 0
		.amdhsa_exception_fp_ieee_invalid_op 0
		.amdhsa_exception_fp_denorm_src 0
		.amdhsa_exception_fp_ieee_div_zero 0
		.amdhsa_exception_fp_ieee_overflow 0
		.amdhsa_exception_fp_ieee_underflow 0
		.amdhsa_exception_fp_ieee_inexact 0
		.amdhsa_exception_int_div_zero 0
	.end_amdhsa_kernel
	.section	.text._ZN7rocprim17ROCPRIM_400000_NS6detail17trampoline_kernelINS0_14default_configENS1_20scan_config_selectorIlEEZZNS1_9scan_implILNS1_25lookback_scan_determinismE0ELb0ELb0ES3_PlS8_lN6thrust23THRUST_200600_302600_NS4plusIvEElEEDaPvRmT3_T4_T5_mT6_P12ihipStream_tbENKUlT_T0_E_clISt17integral_constantIbLb1EESQ_EEDaSL_SM_EUlSL_E0_NS1_11comp_targetILNS1_3genE3ELNS1_11target_archE908ELNS1_3gpuE7ELNS1_3repE0EEENS1_30default_config_static_selectorELNS0_4arch9wavefront6targetE0EEEvT1_,"axG",@progbits,_ZN7rocprim17ROCPRIM_400000_NS6detail17trampoline_kernelINS0_14default_configENS1_20scan_config_selectorIlEEZZNS1_9scan_implILNS1_25lookback_scan_determinismE0ELb0ELb0ES3_PlS8_lN6thrust23THRUST_200600_302600_NS4plusIvEElEEDaPvRmT3_T4_T5_mT6_P12ihipStream_tbENKUlT_T0_E_clISt17integral_constantIbLb1EESQ_EEDaSL_SM_EUlSL_E0_NS1_11comp_targetILNS1_3genE3ELNS1_11target_archE908ELNS1_3gpuE7ELNS1_3repE0EEENS1_30default_config_static_selectorELNS0_4arch9wavefront6targetE0EEEvT1_,comdat
.Lfunc_end115:
	.size	_ZN7rocprim17ROCPRIM_400000_NS6detail17trampoline_kernelINS0_14default_configENS1_20scan_config_selectorIlEEZZNS1_9scan_implILNS1_25lookback_scan_determinismE0ELb0ELb0ES3_PlS8_lN6thrust23THRUST_200600_302600_NS4plusIvEElEEDaPvRmT3_T4_T5_mT6_P12ihipStream_tbENKUlT_T0_E_clISt17integral_constantIbLb1EESQ_EEDaSL_SM_EUlSL_E0_NS1_11comp_targetILNS1_3genE3ELNS1_11target_archE908ELNS1_3gpuE7ELNS1_3repE0EEENS1_30default_config_static_selectorELNS0_4arch9wavefront6targetE0EEEvT1_, .Lfunc_end115-_ZN7rocprim17ROCPRIM_400000_NS6detail17trampoline_kernelINS0_14default_configENS1_20scan_config_selectorIlEEZZNS1_9scan_implILNS1_25lookback_scan_determinismE0ELb0ELb0ES3_PlS8_lN6thrust23THRUST_200600_302600_NS4plusIvEElEEDaPvRmT3_T4_T5_mT6_P12ihipStream_tbENKUlT_T0_E_clISt17integral_constantIbLb1EESQ_EEDaSL_SM_EUlSL_E0_NS1_11comp_targetILNS1_3genE3ELNS1_11target_archE908ELNS1_3gpuE7ELNS1_3repE0EEENS1_30default_config_static_selectorELNS0_4arch9wavefront6targetE0EEEvT1_
                                        ; -- End function
	.set _ZN7rocprim17ROCPRIM_400000_NS6detail17trampoline_kernelINS0_14default_configENS1_20scan_config_selectorIlEEZZNS1_9scan_implILNS1_25lookback_scan_determinismE0ELb0ELb0ES3_PlS8_lN6thrust23THRUST_200600_302600_NS4plusIvEElEEDaPvRmT3_T4_T5_mT6_P12ihipStream_tbENKUlT_T0_E_clISt17integral_constantIbLb1EESQ_EEDaSL_SM_EUlSL_E0_NS1_11comp_targetILNS1_3genE3ELNS1_11target_archE908ELNS1_3gpuE7ELNS1_3repE0EEENS1_30default_config_static_selectorELNS0_4arch9wavefront6targetE0EEEvT1_.num_vgpr, 0
	.set _ZN7rocprim17ROCPRIM_400000_NS6detail17trampoline_kernelINS0_14default_configENS1_20scan_config_selectorIlEEZZNS1_9scan_implILNS1_25lookback_scan_determinismE0ELb0ELb0ES3_PlS8_lN6thrust23THRUST_200600_302600_NS4plusIvEElEEDaPvRmT3_T4_T5_mT6_P12ihipStream_tbENKUlT_T0_E_clISt17integral_constantIbLb1EESQ_EEDaSL_SM_EUlSL_E0_NS1_11comp_targetILNS1_3genE3ELNS1_11target_archE908ELNS1_3gpuE7ELNS1_3repE0EEENS1_30default_config_static_selectorELNS0_4arch9wavefront6targetE0EEEvT1_.num_agpr, 0
	.set _ZN7rocprim17ROCPRIM_400000_NS6detail17trampoline_kernelINS0_14default_configENS1_20scan_config_selectorIlEEZZNS1_9scan_implILNS1_25lookback_scan_determinismE0ELb0ELb0ES3_PlS8_lN6thrust23THRUST_200600_302600_NS4plusIvEElEEDaPvRmT3_T4_T5_mT6_P12ihipStream_tbENKUlT_T0_E_clISt17integral_constantIbLb1EESQ_EEDaSL_SM_EUlSL_E0_NS1_11comp_targetILNS1_3genE3ELNS1_11target_archE908ELNS1_3gpuE7ELNS1_3repE0EEENS1_30default_config_static_selectorELNS0_4arch9wavefront6targetE0EEEvT1_.numbered_sgpr, 0
	.set _ZN7rocprim17ROCPRIM_400000_NS6detail17trampoline_kernelINS0_14default_configENS1_20scan_config_selectorIlEEZZNS1_9scan_implILNS1_25lookback_scan_determinismE0ELb0ELb0ES3_PlS8_lN6thrust23THRUST_200600_302600_NS4plusIvEElEEDaPvRmT3_T4_T5_mT6_P12ihipStream_tbENKUlT_T0_E_clISt17integral_constantIbLb1EESQ_EEDaSL_SM_EUlSL_E0_NS1_11comp_targetILNS1_3genE3ELNS1_11target_archE908ELNS1_3gpuE7ELNS1_3repE0EEENS1_30default_config_static_selectorELNS0_4arch9wavefront6targetE0EEEvT1_.num_named_barrier, 0
	.set _ZN7rocprim17ROCPRIM_400000_NS6detail17trampoline_kernelINS0_14default_configENS1_20scan_config_selectorIlEEZZNS1_9scan_implILNS1_25lookback_scan_determinismE0ELb0ELb0ES3_PlS8_lN6thrust23THRUST_200600_302600_NS4plusIvEElEEDaPvRmT3_T4_T5_mT6_P12ihipStream_tbENKUlT_T0_E_clISt17integral_constantIbLb1EESQ_EEDaSL_SM_EUlSL_E0_NS1_11comp_targetILNS1_3genE3ELNS1_11target_archE908ELNS1_3gpuE7ELNS1_3repE0EEENS1_30default_config_static_selectorELNS0_4arch9wavefront6targetE0EEEvT1_.private_seg_size, 0
	.set _ZN7rocprim17ROCPRIM_400000_NS6detail17trampoline_kernelINS0_14default_configENS1_20scan_config_selectorIlEEZZNS1_9scan_implILNS1_25lookback_scan_determinismE0ELb0ELb0ES3_PlS8_lN6thrust23THRUST_200600_302600_NS4plusIvEElEEDaPvRmT3_T4_T5_mT6_P12ihipStream_tbENKUlT_T0_E_clISt17integral_constantIbLb1EESQ_EEDaSL_SM_EUlSL_E0_NS1_11comp_targetILNS1_3genE3ELNS1_11target_archE908ELNS1_3gpuE7ELNS1_3repE0EEENS1_30default_config_static_selectorELNS0_4arch9wavefront6targetE0EEEvT1_.uses_vcc, 0
	.set _ZN7rocprim17ROCPRIM_400000_NS6detail17trampoline_kernelINS0_14default_configENS1_20scan_config_selectorIlEEZZNS1_9scan_implILNS1_25lookback_scan_determinismE0ELb0ELb0ES3_PlS8_lN6thrust23THRUST_200600_302600_NS4plusIvEElEEDaPvRmT3_T4_T5_mT6_P12ihipStream_tbENKUlT_T0_E_clISt17integral_constantIbLb1EESQ_EEDaSL_SM_EUlSL_E0_NS1_11comp_targetILNS1_3genE3ELNS1_11target_archE908ELNS1_3gpuE7ELNS1_3repE0EEENS1_30default_config_static_selectorELNS0_4arch9wavefront6targetE0EEEvT1_.uses_flat_scratch, 0
	.set _ZN7rocprim17ROCPRIM_400000_NS6detail17trampoline_kernelINS0_14default_configENS1_20scan_config_selectorIlEEZZNS1_9scan_implILNS1_25lookback_scan_determinismE0ELb0ELb0ES3_PlS8_lN6thrust23THRUST_200600_302600_NS4plusIvEElEEDaPvRmT3_T4_T5_mT6_P12ihipStream_tbENKUlT_T0_E_clISt17integral_constantIbLb1EESQ_EEDaSL_SM_EUlSL_E0_NS1_11comp_targetILNS1_3genE3ELNS1_11target_archE908ELNS1_3gpuE7ELNS1_3repE0EEENS1_30default_config_static_selectorELNS0_4arch9wavefront6targetE0EEEvT1_.has_dyn_sized_stack, 0
	.set _ZN7rocprim17ROCPRIM_400000_NS6detail17trampoline_kernelINS0_14default_configENS1_20scan_config_selectorIlEEZZNS1_9scan_implILNS1_25lookback_scan_determinismE0ELb0ELb0ES3_PlS8_lN6thrust23THRUST_200600_302600_NS4plusIvEElEEDaPvRmT3_T4_T5_mT6_P12ihipStream_tbENKUlT_T0_E_clISt17integral_constantIbLb1EESQ_EEDaSL_SM_EUlSL_E0_NS1_11comp_targetILNS1_3genE3ELNS1_11target_archE908ELNS1_3gpuE7ELNS1_3repE0EEENS1_30default_config_static_selectorELNS0_4arch9wavefront6targetE0EEEvT1_.has_recursion, 0
	.set _ZN7rocprim17ROCPRIM_400000_NS6detail17trampoline_kernelINS0_14default_configENS1_20scan_config_selectorIlEEZZNS1_9scan_implILNS1_25lookback_scan_determinismE0ELb0ELb0ES3_PlS8_lN6thrust23THRUST_200600_302600_NS4plusIvEElEEDaPvRmT3_T4_T5_mT6_P12ihipStream_tbENKUlT_T0_E_clISt17integral_constantIbLb1EESQ_EEDaSL_SM_EUlSL_E0_NS1_11comp_targetILNS1_3genE3ELNS1_11target_archE908ELNS1_3gpuE7ELNS1_3repE0EEENS1_30default_config_static_selectorELNS0_4arch9wavefront6targetE0EEEvT1_.has_indirect_call, 0
	.section	.AMDGPU.csdata,"",@progbits
; Kernel info:
; codeLenInByte = 0
; TotalNumSgprs: 0
; NumVgprs: 0
; ScratchSize: 0
; MemoryBound: 0
; FloatMode: 240
; IeeeMode: 1
; LDSByteSize: 0 bytes/workgroup (compile time only)
; SGPRBlocks: 0
; VGPRBlocks: 0
; NumSGPRsForWavesPerEU: 1
; NumVGPRsForWavesPerEU: 1
; NamedBarCnt: 0
; Occupancy: 16
; WaveLimiterHint : 0
; COMPUTE_PGM_RSRC2:SCRATCH_EN: 0
; COMPUTE_PGM_RSRC2:USER_SGPR: 2
; COMPUTE_PGM_RSRC2:TRAP_HANDLER: 0
; COMPUTE_PGM_RSRC2:TGID_X_EN: 1
; COMPUTE_PGM_RSRC2:TGID_Y_EN: 0
; COMPUTE_PGM_RSRC2:TGID_Z_EN: 0
; COMPUTE_PGM_RSRC2:TIDIG_COMP_CNT: 0
	.section	.text._ZN7rocprim17ROCPRIM_400000_NS6detail17trampoline_kernelINS0_14default_configENS1_20scan_config_selectorIlEEZZNS1_9scan_implILNS1_25lookback_scan_determinismE0ELb0ELb0ES3_PlS8_lN6thrust23THRUST_200600_302600_NS4plusIvEElEEDaPvRmT3_T4_T5_mT6_P12ihipStream_tbENKUlT_T0_E_clISt17integral_constantIbLb1EESQ_EEDaSL_SM_EUlSL_E0_NS1_11comp_targetILNS1_3genE2ELNS1_11target_archE906ELNS1_3gpuE6ELNS1_3repE0EEENS1_30default_config_static_selectorELNS0_4arch9wavefront6targetE0EEEvT1_,"axG",@progbits,_ZN7rocprim17ROCPRIM_400000_NS6detail17trampoline_kernelINS0_14default_configENS1_20scan_config_selectorIlEEZZNS1_9scan_implILNS1_25lookback_scan_determinismE0ELb0ELb0ES3_PlS8_lN6thrust23THRUST_200600_302600_NS4plusIvEElEEDaPvRmT3_T4_T5_mT6_P12ihipStream_tbENKUlT_T0_E_clISt17integral_constantIbLb1EESQ_EEDaSL_SM_EUlSL_E0_NS1_11comp_targetILNS1_3genE2ELNS1_11target_archE906ELNS1_3gpuE6ELNS1_3repE0EEENS1_30default_config_static_selectorELNS0_4arch9wavefront6targetE0EEEvT1_,comdat
	.protected	_ZN7rocprim17ROCPRIM_400000_NS6detail17trampoline_kernelINS0_14default_configENS1_20scan_config_selectorIlEEZZNS1_9scan_implILNS1_25lookback_scan_determinismE0ELb0ELb0ES3_PlS8_lN6thrust23THRUST_200600_302600_NS4plusIvEElEEDaPvRmT3_T4_T5_mT6_P12ihipStream_tbENKUlT_T0_E_clISt17integral_constantIbLb1EESQ_EEDaSL_SM_EUlSL_E0_NS1_11comp_targetILNS1_3genE2ELNS1_11target_archE906ELNS1_3gpuE6ELNS1_3repE0EEENS1_30default_config_static_selectorELNS0_4arch9wavefront6targetE0EEEvT1_ ; -- Begin function _ZN7rocprim17ROCPRIM_400000_NS6detail17trampoline_kernelINS0_14default_configENS1_20scan_config_selectorIlEEZZNS1_9scan_implILNS1_25lookback_scan_determinismE0ELb0ELb0ES3_PlS8_lN6thrust23THRUST_200600_302600_NS4plusIvEElEEDaPvRmT3_T4_T5_mT6_P12ihipStream_tbENKUlT_T0_E_clISt17integral_constantIbLb1EESQ_EEDaSL_SM_EUlSL_E0_NS1_11comp_targetILNS1_3genE2ELNS1_11target_archE906ELNS1_3gpuE6ELNS1_3repE0EEENS1_30default_config_static_selectorELNS0_4arch9wavefront6targetE0EEEvT1_
	.globl	_ZN7rocprim17ROCPRIM_400000_NS6detail17trampoline_kernelINS0_14default_configENS1_20scan_config_selectorIlEEZZNS1_9scan_implILNS1_25lookback_scan_determinismE0ELb0ELb0ES3_PlS8_lN6thrust23THRUST_200600_302600_NS4plusIvEElEEDaPvRmT3_T4_T5_mT6_P12ihipStream_tbENKUlT_T0_E_clISt17integral_constantIbLb1EESQ_EEDaSL_SM_EUlSL_E0_NS1_11comp_targetILNS1_3genE2ELNS1_11target_archE906ELNS1_3gpuE6ELNS1_3repE0EEENS1_30default_config_static_selectorELNS0_4arch9wavefront6targetE0EEEvT1_
	.p2align	8
	.type	_ZN7rocprim17ROCPRIM_400000_NS6detail17trampoline_kernelINS0_14default_configENS1_20scan_config_selectorIlEEZZNS1_9scan_implILNS1_25lookback_scan_determinismE0ELb0ELb0ES3_PlS8_lN6thrust23THRUST_200600_302600_NS4plusIvEElEEDaPvRmT3_T4_T5_mT6_P12ihipStream_tbENKUlT_T0_E_clISt17integral_constantIbLb1EESQ_EEDaSL_SM_EUlSL_E0_NS1_11comp_targetILNS1_3genE2ELNS1_11target_archE906ELNS1_3gpuE6ELNS1_3repE0EEENS1_30default_config_static_selectorELNS0_4arch9wavefront6targetE0EEEvT1_,@function
_ZN7rocprim17ROCPRIM_400000_NS6detail17trampoline_kernelINS0_14default_configENS1_20scan_config_selectorIlEEZZNS1_9scan_implILNS1_25lookback_scan_determinismE0ELb0ELb0ES3_PlS8_lN6thrust23THRUST_200600_302600_NS4plusIvEElEEDaPvRmT3_T4_T5_mT6_P12ihipStream_tbENKUlT_T0_E_clISt17integral_constantIbLb1EESQ_EEDaSL_SM_EUlSL_E0_NS1_11comp_targetILNS1_3genE2ELNS1_11target_archE906ELNS1_3gpuE6ELNS1_3repE0EEENS1_30default_config_static_selectorELNS0_4arch9wavefront6targetE0EEEvT1_: ; @_ZN7rocprim17ROCPRIM_400000_NS6detail17trampoline_kernelINS0_14default_configENS1_20scan_config_selectorIlEEZZNS1_9scan_implILNS1_25lookback_scan_determinismE0ELb0ELb0ES3_PlS8_lN6thrust23THRUST_200600_302600_NS4plusIvEElEEDaPvRmT3_T4_T5_mT6_P12ihipStream_tbENKUlT_T0_E_clISt17integral_constantIbLb1EESQ_EEDaSL_SM_EUlSL_E0_NS1_11comp_targetILNS1_3genE2ELNS1_11target_archE906ELNS1_3gpuE6ELNS1_3repE0EEENS1_30default_config_static_selectorELNS0_4arch9wavefront6targetE0EEEvT1_
; %bb.0:
	.section	.rodata,"a",@progbits
	.p2align	6, 0x0
	.amdhsa_kernel _ZN7rocprim17ROCPRIM_400000_NS6detail17trampoline_kernelINS0_14default_configENS1_20scan_config_selectorIlEEZZNS1_9scan_implILNS1_25lookback_scan_determinismE0ELb0ELb0ES3_PlS8_lN6thrust23THRUST_200600_302600_NS4plusIvEElEEDaPvRmT3_T4_T5_mT6_P12ihipStream_tbENKUlT_T0_E_clISt17integral_constantIbLb1EESQ_EEDaSL_SM_EUlSL_E0_NS1_11comp_targetILNS1_3genE2ELNS1_11target_archE906ELNS1_3gpuE6ELNS1_3repE0EEENS1_30default_config_static_selectorELNS0_4arch9wavefront6targetE0EEEvT1_
		.amdhsa_group_segment_fixed_size 0
		.amdhsa_private_segment_fixed_size 0
		.amdhsa_kernarg_size 40
		.amdhsa_user_sgpr_count 2
		.amdhsa_user_sgpr_dispatch_ptr 0
		.amdhsa_user_sgpr_queue_ptr 0
		.amdhsa_user_sgpr_kernarg_segment_ptr 1
		.amdhsa_user_sgpr_dispatch_id 0
		.amdhsa_user_sgpr_kernarg_preload_length 0
		.amdhsa_user_sgpr_kernarg_preload_offset 0
		.amdhsa_user_sgpr_private_segment_size 0
		.amdhsa_wavefront_size32 1
		.amdhsa_uses_dynamic_stack 0
		.amdhsa_enable_private_segment 0
		.amdhsa_system_sgpr_workgroup_id_x 1
		.amdhsa_system_sgpr_workgroup_id_y 0
		.amdhsa_system_sgpr_workgroup_id_z 0
		.amdhsa_system_sgpr_workgroup_info 0
		.amdhsa_system_vgpr_workitem_id 0
		.amdhsa_next_free_vgpr 1
		.amdhsa_next_free_sgpr 1
		.amdhsa_named_barrier_count 0
		.amdhsa_reserve_vcc 0
		.amdhsa_float_round_mode_32 0
		.amdhsa_float_round_mode_16_64 0
		.amdhsa_float_denorm_mode_32 3
		.amdhsa_float_denorm_mode_16_64 3
		.amdhsa_fp16_overflow 0
		.amdhsa_memory_ordered 1
		.amdhsa_forward_progress 1
		.amdhsa_inst_pref_size 0
		.amdhsa_round_robin_scheduling 0
		.amdhsa_exception_fp_ieee_invalid_op 0
		.amdhsa_exception_fp_denorm_src 0
		.amdhsa_exception_fp_ieee_div_zero 0
		.amdhsa_exception_fp_ieee_overflow 0
		.amdhsa_exception_fp_ieee_underflow 0
		.amdhsa_exception_fp_ieee_inexact 0
		.amdhsa_exception_int_div_zero 0
	.end_amdhsa_kernel
	.section	.text._ZN7rocprim17ROCPRIM_400000_NS6detail17trampoline_kernelINS0_14default_configENS1_20scan_config_selectorIlEEZZNS1_9scan_implILNS1_25lookback_scan_determinismE0ELb0ELb0ES3_PlS8_lN6thrust23THRUST_200600_302600_NS4plusIvEElEEDaPvRmT3_T4_T5_mT6_P12ihipStream_tbENKUlT_T0_E_clISt17integral_constantIbLb1EESQ_EEDaSL_SM_EUlSL_E0_NS1_11comp_targetILNS1_3genE2ELNS1_11target_archE906ELNS1_3gpuE6ELNS1_3repE0EEENS1_30default_config_static_selectorELNS0_4arch9wavefront6targetE0EEEvT1_,"axG",@progbits,_ZN7rocprim17ROCPRIM_400000_NS6detail17trampoline_kernelINS0_14default_configENS1_20scan_config_selectorIlEEZZNS1_9scan_implILNS1_25lookback_scan_determinismE0ELb0ELb0ES3_PlS8_lN6thrust23THRUST_200600_302600_NS4plusIvEElEEDaPvRmT3_T4_T5_mT6_P12ihipStream_tbENKUlT_T0_E_clISt17integral_constantIbLb1EESQ_EEDaSL_SM_EUlSL_E0_NS1_11comp_targetILNS1_3genE2ELNS1_11target_archE906ELNS1_3gpuE6ELNS1_3repE0EEENS1_30default_config_static_selectorELNS0_4arch9wavefront6targetE0EEEvT1_,comdat
.Lfunc_end116:
	.size	_ZN7rocprim17ROCPRIM_400000_NS6detail17trampoline_kernelINS0_14default_configENS1_20scan_config_selectorIlEEZZNS1_9scan_implILNS1_25lookback_scan_determinismE0ELb0ELb0ES3_PlS8_lN6thrust23THRUST_200600_302600_NS4plusIvEElEEDaPvRmT3_T4_T5_mT6_P12ihipStream_tbENKUlT_T0_E_clISt17integral_constantIbLb1EESQ_EEDaSL_SM_EUlSL_E0_NS1_11comp_targetILNS1_3genE2ELNS1_11target_archE906ELNS1_3gpuE6ELNS1_3repE0EEENS1_30default_config_static_selectorELNS0_4arch9wavefront6targetE0EEEvT1_, .Lfunc_end116-_ZN7rocprim17ROCPRIM_400000_NS6detail17trampoline_kernelINS0_14default_configENS1_20scan_config_selectorIlEEZZNS1_9scan_implILNS1_25lookback_scan_determinismE0ELb0ELb0ES3_PlS8_lN6thrust23THRUST_200600_302600_NS4plusIvEElEEDaPvRmT3_T4_T5_mT6_P12ihipStream_tbENKUlT_T0_E_clISt17integral_constantIbLb1EESQ_EEDaSL_SM_EUlSL_E0_NS1_11comp_targetILNS1_3genE2ELNS1_11target_archE906ELNS1_3gpuE6ELNS1_3repE0EEENS1_30default_config_static_selectorELNS0_4arch9wavefront6targetE0EEEvT1_
                                        ; -- End function
	.set _ZN7rocprim17ROCPRIM_400000_NS6detail17trampoline_kernelINS0_14default_configENS1_20scan_config_selectorIlEEZZNS1_9scan_implILNS1_25lookback_scan_determinismE0ELb0ELb0ES3_PlS8_lN6thrust23THRUST_200600_302600_NS4plusIvEElEEDaPvRmT3_T4_T5_mT6_P12ihipStream_tbENKUlT_T0_E_clISt17integral_constantIbLb1EESQ_EEDaSL_SM_EUlSL_E0_NS1_11comp_targetILNS1_3genE2ELNS1_11target_archE906ELNS1_3gpuE6ELNS1_3repE0EEENS1_30default_config_static_selectorELNS0_4arch9wavefront6targetE0EEEvT1_.num_vgpr, 0
	.set _ZN7rocprim17ROCPRIM_400000_NS6detail17trampoline_kernelINS0_14default_configENS1_20scan_config_selectorIlEEZZNS1_9scan_implILNS1_25lookback_scan_determinismE0ELb0ELb0ES3_PlS8_lN6thrust23THRUST_200600_302600_NS4plusIvEElEEDaPvRmT3_T4_T5_mT6_P12ihipStream_tbENKUlT_T0_E_clISt17integral_constantIbLb1EESQ_EEDaSL_SM_EUlSL_E0_NS1_11comp_targetILNS1_3genE2ELNS1_11target_archE906ELNS1_3gpuE6ELNS1_3repE0EEENS1_30default_config_static_selectorELNS0_4arch9wavefront6targetE0EEEvT1_.num_agpr, 0
	.set _ZN7rocprim17ROCPRIM_400000_NS6detail17trampoline_kernelINS0_14default_configENS1_20scan_config_selectorIlEEZZNS1_9scan_implILNS1_25lookback_scan_determinismE0ELb0ELb0ES3_PlS8_lN6thrust23THRUST_200600_302600_NS4plusIvEElEEDaPvRmT3_T4_T5_mT6_P12ihipStream_tbENKUlT_T0_E_clISt17integral_constantIbLb1EESQ_EEDaSL_SM_EUlSL_E0_NS1_11comp_targetILNS1_3genE2ELNS1_11target_archE906ELNS1_3gpuE6ELNS1_3repE0EEENS1_30default_config_static_selectorELNS0_4arch9wavefront6targetE0EEEvT1_.numbered_sgpr, 0
	.set _ZN7rocprim17ROCPRIM_400000_NS6detail17trampoline_kernelINS0_14default_configENS1_20scan_config_selectorIlEEZZNS1_9scan_implILNS1_25lookback_scan_determinismE0ELb0ELb0ES3_PlS8_lN6thrust23THRUST_200600_302600_NS4plusIvEElEEDaPvRmT3_T4_T5_mT6_P12ihipStream_tbENKUlT_T0_E_clISt17integral_constantIbLb1EESQ_EEDaSL_SM_EUlSL_E0_NS1_11comp_targetILNS1_3genE2ELNS1_11target_archE906ELNS1_3gpuE6ELNS1_3repE0EEENS1_30default_config_static_selectorELNS0_4arch9wavefront6targetE0EEEvT1_.num_named_barrier, 0
	.set _ZN7rocprim17ROCPRIM_400000_NS6detail17trampoline_kernelINS0_14default_configENS1_20scan_config_selectorIlEEZZNS1_9scan_implILNS1_25lookback_scan_determinismE0ELb0ELb0ES3_PlS8_lN6thrust23THRUST_200600_302600_NS4plusIvEElEEDaPvRmT3_T4_T5_mT6_P12ihipStream_tbENKUlT_T0_E_clISt17integral_constantIbLb1EESQ_EEDaSL_SM_EUlSL_E0_NS1_11comp_targetILNS1_3genE2ELNS1_11target_archE906ELNS1_3gpuE6ELNS1_3repE0EEENS1_30default_config_static_selectorELNS0_4arch9wavefront6targetE0EEEvT1_.private_seg_size, 0
	.set _ZN7rocprim17ROCPRIM_400000_NS6detail17trampoline_kernelINS0_14default_configENS1_20scan_config_selectorIlEEZZNS1_9scan_implILNS1_25lookback_scan_determinismE0ELb0ELb0ES3_PlS8_lN6thrust23THRUST_200600_302600_NS4plusIvEElEEDaPvRmT3_T4_T5_mT6_P12ihipStream_tbENKUlT_T0_E_clISt17integral_constantIbLb1EESQ_EEDaSL_SM_EUlSL_E0_NS1_11comp_targetILNS1_3genE2ELNS1_11target_archE906ELNS1_3gpuE6ELNS1_3repE0EEENS1_30default_config_static_selectorELNS0_4arch9wavefront6targetE0EEEvT1_.uses_vcc, 0
	.set _ZN7rocprim17ROCPRIM_400000_NS6detail17trampoline_kernelINS0_14default_configENS1_20scan_config_selectorIlEEZZNS1_9scan_implILNS1_25lookback_scan_determinismE0ELb0ELb0ES3_PlS8_lN6thrust23THRUST_200600_302600_NS4plusIvEElEEDaPvRmT3_T4_T5_mT6_P12ihipStream_tbENKUlT_T0_E_clISt17integral_constantIbLb1EESQ_EEDaSL_SM_EUlSL_E0_NS1_11comp_targetILNS1_3genE2ELNS1_11target_archE906ELNS1_3gpuE6ELNS1_3repE0EEENS1_30default_config_static_selectorELNS0_4arch9wavefront6targetE0EEEvT1_.uses_flat_scratch, 0
	.set _ZN7rocprim17ROCPRIM_400000_NS6detail17trampoline_kernelINS0_14default_configENS1_20scan_config_selectorIlEEZZNS1_9scan_implILNS1_25lookback_scan_determinismE0ELb0ELb0ES3_PlS8_lN6thrust23THRUST_200600_302600_NS4plusIvEElEEDaPvRmT3_T4_T5_mT6_P12ihipStream_tbENKUlT_T0_E_clISt17integral_constantIbLb1EESQ_EEDaSL_SM_EUlSL_E0_NS1_11comp_targetILNS1_3genE2ELNS1_11target_archE906ELNS1_3gpuE6ELNS1_3repE0EEENS1_30default_config_static_selectorELNS0_4arch9wavefront6targetE0EEEvT1_.has_dyn_sized_stack, 0
	.set _ZN7rocprim17ROCPRIM_400000_NS6detail17trampoline_kernelINS0_14default_configENS1_20scan_config_selectorIlEEZZNS1_9scan_implILNS1_25lookback_scan_determinismE0ELb0ELb0ES3_PlS8_lN6thrust23THRUST_200600_302600_NS4plusIvEElEEDaPvRmT3_T4_T5_mT6_P12ihipStream_tbENKUlT_T0_E_clISt17integral_constantIbLb1EESQ_EEDaSL_SM_EUlSL_E0_NS1_11comp_targetILNS1_3genE2ELNS1_11target_archE906ELNS1_3gpuE6ELNS1_3repE0EEENS1_30default_config_static_selectorELNS0_4arch9wavefront6targetE0EEEvT1_.has_recursion, 0
	.set _ZN7rocprim17ROCPRIM_400000_NS6detail17trampoline_kernelINS0_14default_configENS1_20scan_config_selectorIlEEZZNS1_9scan_implILNS1_25lookback_scan_determinismE0ELb0ELb0ES3_PlS8_lN6thrust23THRUST_200600_302600_NS4plusIvEElEEDaPvRmT3_T4_T5_mT6_P12ihipStream_tbENKUlT_T0_E_clISt17integral_constantIbLb1EESQ_EEDaSL_SM_EUlSL_E0_NS1_11comp_targetILNS1_3genE2ELNS1_11target_archE906ELNS1_3gpuE6ELNS1_3repE0EEENS1_30default_config_static_selectorELNS0_4arch9wavefront6targetE0EEEvT1_.has_indirect_call, 0
	.section	.AMDGPU.csdata,"",@progbits
; Kernel info:
; codeLenInByte = 0
; TotalNumSgprs: 0
; NumVgprs: 0
; ScratchSize: 0
; MemoryBound: 0
; FloatMode: 240
; IeeeMode: 1
; LDSByteSize: 0 bytes/workgroup (compile time only)
; SGPRBlocks: 0
; VGPRBlocks: 0
; NumSGPRsForWavesPerEU: 1
; NumVGPRsForWavesPerEU: 1
; NamedBarCnt: 0
; Occupancy: 16
; WaveLimiterHint : 0
; COMPUTE_PGM_RSRC2:SCRATCH_EN: 0
; COMPUTE_PGM_RSRC2:USER_SGPR: 2
; COMPUTE_PGM_RSRC2:TRAP_HANDLER: 0
; COMPUTE_PGM_RSRC2:TGID_X_EN: 1
; COMPUTE_PGM_RSRC2:TGID_Y_EN: 0
; COMPUTE_PGM_RSRC2:TGID_Z_EN: 0
; COMPUTE_PGM_RSRC2:TIDIG_COMP_CNT: 0
	.section	.text._ZN7rocprim17ROCPRIM_400000_NS6detail17trampoline_kernelINS0_14default_configENS1_20scan_config_selectorIlEEZZNS1_9scan_implILNS1_25lookback_scan_determinismE0ELb0ELb0ES3_PlS8_lN6thrust23THRUST_200600_302600_NS4plusIvEElEEDaPvRmT3_T4_T5_mT6_P12ihipStream_tbENKUlT_T0_E_clISt17integral_constantIbLb1EESQ_EEDaSL_SM_EUlSL_E0_NS1_11comp_targetILNS1_3genE10ELNS1_11target_archE1201ELNS1_3gpuE5ELNS1_3repE0EEENS1_30default_config_static_selectorELNS0_4arch9wavefront6targetE0EEEvT1_,"axG",@progbits,_ZN7rocprim17ROCPRIM_400000_NS6detail17trampoline_kernelINS0_14default_configENS1_20scan_config_selectorIlEEZZNS1_9scan_implILNS1_25lookback_scan_determinismE0ELb0ELb0ES3_PlS8_lN6thrust23THRUST_200600_302600_NS4plusIvEElEEDaPvRmT3_T4_T5_mT6_P12ihipStream_tbENKUlT_T0_E_clISt17integral_constantIbLb1EESQ_EEDaSL_SM_EUlSL_E0_NS1_11comp_targetILNS1_3genE10ELNS1_11target_archE1201ELNS1_3gpuE5ELNS1_3repE0EEENS1_30default_config_static_selectorELNS0_4arch9wavefront6targetE0EEEvT1_,comdat
	.protected	_ZN7rocprim17ROCPRIM_400000_NS6detail17trampoline_kernelINS0_14default_configENS1_20scan_config_selectorIlEEZZNS1_9scan_implILNS1_25lookback_scan_determinismE0ELb0ELb0ES3_PlS8_lN6thrust23THRUST_200600_302600_NS4plusIvEElEEDaPvRmT3_T4_T5_mT6_P12ihipStream_tbENKUlT_T0_E_clISt17integral_constantIbLb1EESQ_EEDaSL_SM_EUlSL_E0_NS1_11comp_targetILNS1_3genE10ELNS1_11target_archE1201ELNS1_3gpuE5ELNS1_3repE0EEENS1_30default_config_static_selectorELNS0_4arch9wavefront6targetE0EEEvT1_ ; -- Begin function _ZN7rocprim17ROCPRIM_400000_NS6detail17trampoline_kernelINS0_14default_configENS1_20scan_config_selectorIlEEZZNS1_9scan_implILNS1_25lookback_scan_determinismE0ELb0ELb0ES3_PlS8_lN6thrust23THRUST_200600_302600_NS4plusIvEElEEDaPvRmT3_T4_T5_mT6_P12ihipStream_tbENKUlT_T0_E_clISt17integral_constantIbLb1EESQ_EEDaSL_SM_EUlSL_E0_NS1_11comp_targetILNS1_3genE10ELNS1_11target_archE1201ELNS1_3gpuE5ELNS1_3repE0EEENS1_30default_config_static_selectorELNS0_4arch9wavefront6targetE0EEEvT1_
	.globl	_ZN7rocprim17ROCPRIM_400000_NS6detail17trampoline_kernelINS0_14default_configENS1_20scan_config_selectorIlEEZZNS1_9scan_implILNS1_25lookback_scan_determinismE0ELb0ELb0ES3_PlS8_lN6thrust23THRUST_200600_302600_NS4plusIvEElEEDaPvRmT3_T4_T5_mT6_P12ihipStream_tbENKUlT_T0_E_clISt17integral_constantIbLb1EESQ_EEDaSL_SM_EUlSL_E0_NS1_11comp_targetILNS1_3genE10ELNS1_11target_archE1201ELNS1_3gpuE5ELNS1_3repE0EEENS1_30default_config_static_selectorELNS0_4arch9wavefront6targetE0EEEvT1_
	.p2align	8
	.type	_ZN7rocprim17ROCPRIM_400000_NS6detail17trampoline_kernelINS0_14default_configENS1_20scan_config_selectorIlEEZZNS1_9scan_implILNS1_25lookback_scan_determinismE0ELb0ELb0ES3_PlS8_lN6thrust23THRUST_200600_302600_NS4plusIvEElEEDaPvRmT3_T4_T5_mT6_P12ihipStream_tbENKUlT_T0_E_clISt17integral_constantIbLb1EESQ_EEDaSL_SM_EUlSL_E0_NS1_11comp_targetILNS1_3genE10ELNS1_11target_archE1201ELNS1_3gpuE5ELNS1_3repE0EEENS1_30default_config_static_selectorELNS0_4arch9wavefront6targetE0EEEvT1_,@function
_ZN7rocprim17ROCPRIM_400000_NS6detail17trampoline_kernelINS0_14default_configENS1_20scan_config_selectorIlEEZZNS1_9scan_implILNS1_25lookback_scan_determinismE0ELb0ELb0ES3_PlS8_lN6thrust23THRUST_200600_302600_NS4plusIvEElEEDaPvRmT3_T4_T5_mT6_P12ihipStream_tbENKUlT_T0_E_clISt17integral_constantIbLb1EESQ_EEDaSL_SM_EUlSL_E0_NS1_11comp_targetILNS1_3genE10ELNS1_11target_archE1201ELNS1_3gpuE5ELNS1_3repE0EEENS1_30default_config_static_selectorELNS0_4arch9wavefront6targetE0EEEvT1_: ; @_ZN7rocprim17ROCPRIM_400000_NS6detail17trampoline_kernelINS0_14default_configENS1_20scan_config_selectorIlEEZZNS1_9scan_implILNS1_25lookback_scan_determinismE0ELb0ELb0ES3_PlS8_lN6thrust23THRUST_200600_302600_NS4plusIvEElEEDaPvRmT3_T4_T5_mT6_P12ihipStream_tbENKUlT_T0_E_clISt17integral_constantIbLb1EESQ_EEDaSL_SM_EUlSL_E0_NS1_11comp_targetILNS1_3genE10ELNS1_11target_archE1201ELNS1_3gpuE5ELNS1_3repE0EEENS1_30default_config_static_selectorELNS0_4arch9wavefront6targetE0EEEvT1_
; %bb.0:
	.section	.rodata,"a",@progbits
	.p2align	6, 0x0
	.amdhsa_kernel _ZN7rocprim17ROCPRIM_400000_NS6detail17trampoline_kernelINS0_14default_configENS1_20scan_config_selectorIlEEZZNS1_9scan_implILNS1_25lookback_scan_determinismE0ELb0ELb0ES3_PlS8_lN6thrust23THRUST_200600_302600_NS4plusIvEElEEDaPvRmT3_T4_T5_mT6_P12ihipStream_tbENKUlT_T0_E_clISt17integral_constantIbLb1EESQ_EEDaSL_SM_EUlSL_E0_NS1_11comp_targetILNS1_3genE10ELNS1_11target_archE1201ELNS1_3gpuE5ELNS1_3repE0EEENS1_30default_config_static_selectorELNS0_4arch9wavefront6targetE0EEEvT1_
		.amdhsa_group_segment_fixed_size 0
		.amdhsa_private_segment_fixed_size 0
		.amdhsa_kernarg_size 40
		.amdhsa_user_sgpr_count 2
		.amdhsa_user_sgpr_dispatch_ptr 0
		.amdhsa_user_sgpr_queue_ptr 0
		.amdhsa_user_sgpr_kernarg_segment_ptr 1
		.amdhsa_user_sgpr_dispatch_id 0
		.amdhsa_user_sgpr_kernarg_preload_length 0
		.amdhsa_user_sgpr_kernarg_preload_offset 0
		.amdhsa_user_sgpr_private_segment_size 0
		.amdhsa_wavefront_size32 1
		.amdhsa_uses_dynamic_stack 0
		.amdhsa_enable_private_segment 0
		.amdhsa_system_sgpr_workgroup_id_x 1
		.amdhsa_system_sgpr_workgroup_id_y 0
		.amdhsa_system_sgpr_workgroup_id_z 0
		.amdhsa_system_sgpr_workgroup_info 0
		.amdhsa_system_vgpr_workitem_id 0
		.amdhsa_next_free_vgpr 1
		.amdhsa_next_free_sgpr 1
		.amdhsa_named_barrier_count 0
		.amdhsa_reserve_vcc 0
		.amdhsa_float_round_mode_32 0
		.amdhsa_float_round_mode_16_64 0
		.amdhsa_float_denorm_mode_32 3
		.amdhsa_float_denorm_mode_16_64 3
		.amdhsa_fp16_overflow 0
		.amdhsa_memory_ordered 1
		.amdhsa_forward_progress 1
		.amdhsa_inst_pref_size 0
		.amdhsa_round_robin_scheduling 0
		.amdhsa_exception_fp_ieee_invalid_op 0
		.amdhsa_exception_fp_denorm_src 0
		.amdhsa_exception_fp_ieee_div_zero 0
		.amdhsa_exception_fp_ieee_overflow 0
		.amdhsa_exception_fp_ieee_underflow 0
		.amdhsa_exception_fp_ieee_inexact 0
		.amdhsa_exception_int_div_zero 0
	.end_amdhsa_kernel
	.section	.text._ZN7rocprim17ROCPRIM_400000_NS6detail17trampoline_kernelINS0_14default_configENS1_20scan_config_selectorIlEEZZNS1_9scan_implILNS1_25lookback_scan_determinismE0ELb0ELb0ES3_PlS8_lN6thrust23THRUST_200600_302600_NS4plusIvEElEEDaPvRmT3_T4_T5_mT6_P12ihipStream_tbENKUlT_T0_E_clISt17integral_constantIbLb1EESQ_EEDaSL_SM_EUlSL_E0_NS1_11comp_targetILNS1_3genE10ELNS1_11target_archE1201ELNS1_3gpuE5ELNS1_3repE0EEENS1_30default_config_static_selectorELNS0_4arch9wavefront6targetE0EEEvT1_,"axG",@progbits,_ZN7rocprim17ROCPRIM_400000_NS6detail17trampoline_kernelINS0_14default_configENS1_20scan_config_selectorIlEEZZNS1_9scan_implILNS1_25lookback_scan_determinismE0ELb0ELb0ES3_PlS8_lN6thrust23THRUST_200600_302600_NS4plusIvEElEEDaPvRmT3_T4_T5_mT6_P12ihipStream_tbENKUlT_T0_E_clISt17integral_constantIbLb1EESQ_EEDaSL_SM_EUlSL_E0_NS1_11comp_targetILNS1_3genE10ELNS1_11target_archE1201ELNS1_3gpuE5ELNS1_3repE0EEENS1_30default_config_static_selectorELNS0_4arch9wavefront6targetE0EEEvT1_,comdat
.Lfunc_end117:
	.size	_ZN7rocprim17ROCPRIM_400000_NS6detail17trampoline_kernelINS0_14default_configENS1_20scan_config_selectorIlEEZZNS1_9scan_implILNS1_25lookback_scan_determinismE0ELb0ELb0ES3_PlS8_lN6thrust23THRUST_200600_302600_NS4plusIvEElEEDaPvRmT3_T4_T5_mT6_P12ihipStream_tbENKUlT_T0_E_clISt17integral_constantIbLb1EESQ_EEDaSL_SM_EUlSL_E0_NS1_11comp_targetILNS1_3genE10ELNS1_11target_archE1201ELNS1_3gpuE5ELNS1_3repE0EEENS1_30default_config_static_selectorELNS0_4arch9wavefront6targetE0EEEvT1_, .Lfunc_end117-_ZN7rocprim17ROCPRIM_400000_NS6detail17trampoline_kernelINS0_14default_configENS1_20scan_config_selectorIlEEZZNS1_9scan_implILNS1_25lookback_scan_determinismE0ELb0ELb0ES3_PlS8_lN6thrust23THRUST_200600_302600_NS4plusIvEElEEDaPvRmT3_T4_T5_mT6_P12ihipStream_tbENKUlT_T0_E_clISt17integral_constantIbLb1EESQ_EEDaSL_SM_EUlSL_E0_NS1_11comp_targetILNS1_3genE10ELNS1_11target_archE1201ELNS1_3gpuE5ELNS1_3repE0EEENS1_30default_config_static_selectorELNS0_4arch9wavefront6targetE0EEEvT1_
                                        ; -- End function
	.set _ZN7rocprim17ROCPRIM_400000_NS6detail17trampoline_kernelINS0_14default_configENS1_20scan_config_selectorIlEEZZNS1_9scan_implILNS1_25lookback_scan_determinismE0ELb0ELb0ES3_PlS8_lN6thrust23THRUST_200600_302600_NS4plusIvEElEEDaPvRmT3_T4_T5_mT6_P12ihipStream_tbENKUlT_T0_E_clISt17integral_constantIbLb1EESQ_EEDaSL_SM_EUlSL_E0_NS1_11comp_targetILNS1_3genE10ELNS1_11target_archE1201ELNS1_3gpuE5ELNS1_3repE0EEENS1_30default_config_static_selectorELNS0_4arch9wavefront6targetE0EEEvT1_.num_vgpr, 0
	.set _ZN7rocprim17ROCPRIM_400000_NS6detail17trampoline_kernelINS0_14default_configENS1_20scan_config_selectorIlEEZZNS1_9scan_implILNS1_25lookback_scan_determinismE0ELb0ELb0ES3_PlS8_lN6thrust23THRUST_200600_302600_NS4plusIvEElEEDaPvRmT3_T4_T5_mT6_P12ihipStream_tbENKUlT_T0_E_clISt17integral_constantIbLb1EESQ_EEDaSL_SM_EUlSL_E0_NS1_11comp_targetILNS1_3genE10ELNS1_11target_archE1201ELNS1_3gpuE5ELNS1_3repE0EEENS1_30default_config_static_selectorELNS0_4arch9wavefront6targetE0EEEvT1_.num_agpr, 0
	.set _ZN7rocprim17ROCPRIM_400000_NS6detail17trampoline_kernelINS0_14default_configENS1_20scan_config_selectorIlEEZZNS1_9scan_implILNS1_25lookback_scan_determinismE0ELb0ELb0ES3_PlS8_lN6thrust23THRUST_200600_302600_NS4plusIvEElEEDaPvRmT3_T4_T5_mT6_P12ihipStream_tbENKUlT_T0_E_clISt17integral_constantIbLb1EESQ_EEDaSL_SM_EUlSL_E0_NS1_11comp_targetILNS1_3genE10ELNS1_11target_archE1201ELNS1_3gpuE5ELNS1_3repE0EEENS1_30default_config_static_selectorELNS0_4arch9wavefront6targetE0EEEvT1_.numbered_sgpr, 0
	.set _ZN7rocprim17ROCPRIM_400000_NS6detail17trampoline_kernelINS0_14default_configENS1_20scan_config_selectorIlEEZZNS1_9scan_implILNS1_25lookback_scan_determinismE0ELb0ELb0ES3_PlS8_lN6thrust23THRUST_200600_302600_NS4plusIvEElEEDaPvRmT3_T4_T5_mT6_P12ihipStream_tbENKUlT_T0_E_clISt17integral_constantIbLb1EESQ_EEDaSL_SM_EUlSL_E0_NS1_11comp_targetILNS1_3genE10ELNS1_11target_archE1201ELNS1_3gpuE5ELNS1_3repE0EEENS1_30default_config_static_selectorELNS0_4arch9wavefront6targetE0EEEvT1_.num_named_barrier, 0
	.set _ZN7rocprim17ROCPRIM_400000_NS6detail17trampoline_kernelINS0_14default_configENS1_20scan_config_selectorIlEEZZNS1_9scan_implILNS1_25lookback_scan_determinismE0ELb0ELb0ES3_PlS8_lN6thrust23THRUST_200600_302600_NS4plusIvEElEEDaPvRmT3_T4_T5_mT6_P12ihipStream_tbENKUlT_T0_E_clISt17integral_constantIbLb1EESQ_EEDaSL_SM_EUlSL_E0_NS1_11comp_targetILNS1_3genE10ELNS1_11target_archE1201ELNS1_3gpuE5ELNS1_3repE0EEENS1_30default_config_static_selectorELNS0_4arch9wavefront6targetE0EEEvT1_.private_seg_size, 0
	.set _ZN7rocprim17ROCPRIM_400000_NS6detail17trampoline_kernelINS0_14default_configENS1_20scan_config_selectorIlEEZZNS1_9scan_implILNS1_25lookback_scan_determinismE0ELb0ELb0ES3_PlS8_lN6thrust23THRUST_200600_302600_NS4plusIvEElEEDaPvRmT3_T4_T5_mT6_P12ihipStream_tbENKUlT_T0_E_clISt17integral_constantIbLb1EESQ_EEDaSL_SM_EUlSL_E0_NS1_11comp_targetILNS1_3genE10ELNS1_11target_archE1201ELNS1_3gpuE5ELNS1_3repE0EEENS1_30default_config_static_selectorELNS0_4arch9wavefront6targetE0EEEvT1_.uses_vcc, 0
	.set _ZN7rocprim17ROCPRIM_400000_NS6detail17trampoline_kernelINS0_14default_configENS1_20scan_config_selectorIlEEZZNS1_9scan_implILNS1_25lookback_scan_determinismE0ELb0ELb0ES3_PlS8_lN6thrust23THRUST_200600_302600_NS4plusIvEElEEDaPvRmT3_T4_T5_mT6_P12ihipStream_tbENKUlT_T0_E_clISt17integral_constantIbLb1EESQ_EEDaSL_SM_EUlSL_E0_NS1_11comp_targetILNS1_3genE10ELNS1_11target_archE1201ELNS1_3gpuE5ELNS1_3repE0EEENS1_30default_config_static_selectorELNS0_4arch9wavefront6targetE0EEEvT1_.uses_flat_scratch, 0
	.set _ZN7rocprim17ROCPRIM_400000_NS6detail17trampoline_kernelINS0_14default_configENS1_20scan_config_selectorIlEEZZNS1_9scan_implILNS1_25lookback_scan_determinismE0ELb0ELb0ES3_PlS8_lN6thrust23THRUST_200600_302600_NS4plusIvEElEEDaPvRmT3_T4_T5_mT6_P12ihipStream_tbENKUlT_T0_E_clISt17integral_constantIbLb1EESQ_EEDaSL_SM_EUlSL_E0_NS1_11comp_targetILNS1_3genE10ELNS1_11target_archE1201ELNS1_3gpuE5ELNS1_3repE0EEENS1_30default_config_static_selectorELNS0_4arch9wavefront6targetE0EEEvT1_.has_dyn_sized_stack, 0
	.set _ZN7rocprim17ROCPRIM_400000_NS6detail17trampoline_kernelINS0_14default_configENS1_20scan_config_selectorIlEEZZNS1_9scan_implILNS1_25lookback_scan_determinismE0ELb0ELb0ES3_PlS8_lN6thrust23THRUST_200600_302600_NS4plusIvEElEEDaPvRmT3_T4_T5_mT6_P12ihipStream_tbENKUlT_T0_E_clISt17integral_constantIbLb1EESQ_EEDaSL_SM_EUlSL_E0_NS1_11comp_targetILNS1_3genE10ELNS1_11target_archE1201ELNS1_3gpuE5ELNS1_3repE0EEENS1_30default_config_static_selectorELNS0_4arch9wavefront6targetE0EEEvT1_.has_recursion, 0
	.set _ZN7rocprim17ROCPRIM_400000_NS6detail17trampoline_kernelINS0_14default_configENS1_20scan_config_selectorIlEEZZNS1_9scan_implILNS1_25lookback_scan_determinismE0ELb0ELb0ES3_PlS8_lN6thrust23THRUST_200600_302600_NS4plusIvEElEEDaPvRmT3_T4_T5_mT6_P12ihipStream_tbENKUlT_T0_E_clISt17integral_constantIbLb1EESQ_EEDaSL_SM_EUlSL_E0_NS1_11comp_targetILNS1_3genE10ELNS1_11target_archE1201ELNS1_3gpuE5ELNS1_3repE0EEENS1_30default_config_static_selectorELNS0_4arch9wavefront6targetE0EEEvT1_.has_indirect_call, 0
	.section	.AMDGPU.csdata,"",@progbits
; Kernel info:
; codeLenInByte = 0
; TotalNumSgprs: 0
; NumVgprs: 0
; ScratchSize: 0
; MemoryBound: 0
; FloatMode: 240
; IeeeMode: 1
; LDSByteSize: 0 bytes/workgroup (compile time only)
; SGPRBlocks: 0
; VGPRBlocks: 0
; NumSGPRsForWavesPerEU: 1
; NumVGPRsForWavesPerEU: 1
; NamedBarCnt: 0
; Occupancy: 16
; WaveLimiterHint : 0
; COMPUTE_PGM_RSRC2:SCRATCH_EN: 0
; COMPUTE_PGM_RSRC2:USER_SGPR: 2
; COMPUTE_PGM_RSRC2:TRAP_HANDLER: 0
; COMPUTE_PGM_RSRC2:TGID_X_EN: 1
; COMPUTE_PGM_RSRC2:TGID_Y_EN: 0
; COMPUTE_PGM_RSRC2:TGID_Z_EN: 0
; COMPUTE_PGM_RSRC2:TIDIG_COMP_CNT: 0
	.section	.text._ZN7rocprim17ROCPRIM_400000_NS6detail17trampoline_kernelINS0_14default_configENS1_20scan_config_selectorIlEEZZNS1_9scan_implILNS1_25lookback_scan_determinismE0ELb0ELb0ES3_PlS8_lN6thrust23THRUST_200600_302600_NS4plusIvEElEEDaPvRmT3_T4_T5_mT6_P12ihipStream_tbENKUlT_T0_E_clISt17integral_constantIbLb1EESQ_EEDaSL_SM_EUlSL_E0_NS1_11comp_targetILNS1_3genE10ELNS1_11target_archE1200ELNS1_3gpuE4ELNS1_3repE0EEENS1_30default_config_static_selectorELNS0_4arch9wavefront6targetE0EEEvT1_,"axG",@progbits,_ZN7rocprim17ROCPRIM_400000_NS6detail17trampoline_kernelINS0_14default_configENS1_20scan_config_selectorIlEEZZNS1_9scan_implILNS1_25lookback_scan_determinismE0ELb0ELb0ES3_PlS8_lN6thrust23THRUST_200600_302600_NS4plusIvEElEEDaPvRmT3_T4_T5_mT6_P12ihipStream_tbENKUlT_T0_E_clISt17integral_constantIbLb1EESQ_EEDaSL_SM_EUlSL_E0_NS1_11comp_targetILNS1_3genE10ELNS1_11target_archE1200ELNS1_3gpuE4ELNS1_3repE0EEENS1_30default_config_static_selectorELNS0_4arch9wavefront6targetE0EEEvT1_,comdat
	.protected	_ZN7rocprim17ROCPRIM_400000_NS6detail17trampoline_kernelINS0_14default_configENS1_20scan_config_selectorIlEEZZNS1_9scan_implILNS1_25lookback_scan_determinismE0ELb0ELb0ES3_PlS8_lN6thrust23THRUST_200600_302600_NS4plusIvEElEEDaPvRmT3_T4_T5_mT6_P12ihipStream_tbENKUlT_T0_E_clISt17integral_constantIbLb1EESQ_EEDaSL_SM_EUlSL_E0_NS1_11comp_targetILNS1_3genE10ELNS1_11target_archE1200ELNS1_3gpuE4ELNS1_3repE0EEENS1_30default_config_static_selectorELNS0_4arch9wavefront6targetE0EEEvT1_ ; -- Begin function _ZN7rocprim17ROCPRIM_400000_NS6detail17trampoline_kernelINS0_14default_configENS1_20scan_config_selectorIlEEZZNS1_9scan_implILNS1_25lookback_scan_determinismE0ELb0ELb0ES3_PlS8_lN6thrust23THRUST_200600_302600_NS4plusIvEElEEDaPvRmT3_T4_T5_mT6_P12ihipStream_tbENKUlT_T0_E_clISt17integral_constantIbLb1EESQ_EEDaSL_SM_EUlSL_E0_NS1_11comp_targetILNS1_3genE10ELNS1_11target_archE1200ELNS1_3gpuE4ELNS1_3repE0EEENS1_30default_config_static_selectorELNS0_4arch9wavefront6targetE0EEEvT1_
	.globl	_ZN7rocprim17ROCPRIM_400000_NS6detail17trampoline_kernelINS0_14default_configENS1_20scan_config_selectorIlEEZZNS1_9scan_implILNS1_25lookback_scan_determinismE0ELb0ELb0ES3_PlS8_lN6thrust23THRUST_200600_302600_NS4plusIvEElEEDaPvRmT3_T4_T5_mT6_P12ihipStream_tbENKUlT_T0_E_clISt17integral_constantIbLb1EESQ_EEDaSL_SM_EUlSL_E0_NS1_11comp_targetILNS1_3genE10ELNS1_11target_archE1200ELNS1_3gpuE4ELNS1_3repE0EEENS1_30default_config_static_selectorELNS0_4arch9wavefront6targetE0EEEvT1_
	.p2align	8
	.type	_ZN7rocprim17ROCPRIM_400000_NS6detail17trampoline_kernelINS0_14default_configENS1_20scan_config_selectorIlEEZZNS1_9scan_implILNS1_25lookback_scan_determinismE0ELb0ELb0ES3_PlS8_lN6thrust23THRUST_200600_302600_NS4plusIvEElEEDaPvRmT3_T4_T5_mT6_P12ihipStream_tbENKUlT_T0_E_clISt17integral_constantIbLb1EESQ_EEDaSL_SM_EUlSL_E0_NS1_11comp_targetILNS1_3genE10ELNS1_11target_archE1200ELNS1_3gpuE4ELNS1_3repE0EEENS1_30default_config_static_selectorELNS0_4arch9wavefront6targetE0EEEvT1_,@function
_ZN7rocprim17ROCPRIM_400000_NS6detail17trampoline_kernelINS0_14default_configENS1_20scan_config_selectorIlEEZZNS1_9scan_implILNS1_25lookback_scan_determinismE0ELb0ELb0ES3_PlS8_lN6thrust23THRUST_200600_302600_NS4plusIvEElEEDaPvRmT3_T4_T5_mT6_P12ihipStream_tbENKUlT_T0_E_clISt17integral_constantIbLb1EESQ_EEDaSL_SM_EUlSL_E0_NS1_11comp_targetILNS1_3genE10ELNS1_11target_archE1200ELNS1_3gpuE4ELNS1_3repE0EEENS1_30default_config_static_selectorELNS0_4arch9wavefront6targetE0EEEvT1_: ; @_ZN7rocprim17ROCPRIM_400000_NS6detail17trampoline_kernelINS0_14default_configENS1_20scan_config_selectorIlEEZZNS1_9scan_implILNS1_25lookback_scan_determinismE0ELb0ELb0ES3_PlS8_lN6thrust23THRUST_200600_302600_NS4plusIvEElEEDaPvRmT3_T4_T5_mT6_P12ihipStream_tbENKUlT_T0_E_clISt17integral_constantIbLb1EESQ_EEDaSL_SM_EUlSL_E0_NS1_11comp_targetILNS1_3genE10ELNS1_11target_archE1200ELNS1_3gpuE4ELNS1_3repE0EEENS1_30default_config_static_selectorELNS0_4arch9wavefront6targetE0EEEvT1_
; %bb.0:
	.section	.rodata,"a",@progbits
	.p2align	6, 0x0
	.amdhsa_kernel _ZN7rocprim17ROCPRIM_400000_NS6detail17trampoline_kernelINS0_14default_configENS1_20scan_config_selectorIlEEZZNS1_9scan_implILNS1_25lookback_scan_determinismE0ELb0ELb0ES3_PlS8_lN6thrust23THRUST_200600_302600_NS4plusIvEElEEDaPvRmT3_T4_T5_mT6_P12ihipStream_tbENKUlT_T0_E_clISt17integral_constantIbLb1EESQ_EEDaSL_SM_EUlSL_E0_NS1_11comp_targetILNS1_3genE10ELNS1_11target_archE1200ELNS1_3gpuE4ELNS1_3repE0EEENS1_30default_config_static_selectorELNS0_4arch9wavefront6targetE0EEEvT1_
		.amdhsa_group_segment_fixed_size 0
		.amdhsa_private_segment_fixed_size 0
		.amdhsa_kernarg_size 40
		.amdhsa_user_sgpr_count 2
		.amdhsa_user_sgpr_dispatch_ptr 0
		.amdhsa_user_sgpr_queue_ptr 0
		.amdhsa_user_sgpr_kernarg_segment_ptr 1
		.amdhsa_user_sgpr_dispatch_id 0
		.amdhsa_user_sgpr_kernarg_preload_length 0
		.amdhsa_user_sgpr_kernarg_preload_offset 0
		.amdhsa_user_sgpr_private_segment_size 0
		.amdhsa_wavefront_size32 1
		.amdhsa_uses_dynamic_stack 0
		.amdhsa_enable_private_segment 0
		.amdhsa_system_sgpr_workgroup_id_x 1
		.amdhsa_system_sgpr_workgroup_id_y 0
		.amdhsa_system_sgpr_workgroup_id_z 0
		.amdhsa_system_sgpr_workgroup_info 0
		.amdhsa_system_vgpr_workitem_id 0
		.amdhsa_next_free_vgpr 1
		.amdhsa_next_free_sgpr 1
		.amdhsa_named_barrier_count 0
		.amdhsa_reserve_vcc 0
		.amdhsa_float_round_mode_32 0
		.amdhsa_float_round_mode_16_64 0
		.amdhsa_float_denorm_mode_32 3
		.amdhsa_float_denorm_mode_16_64 3
		.amdhsa_fp16_overflow 0
		.amdhsa_memory_ordered 1
		.amdhsa_forward_progress 1
		.amdhsa_inst_pref_size 0
		.amdhsa_round_robin_scheduling 0
		.amdhsa_exception_fp_ieee_invalid_op 0
		.amdhsa_exception_fp_denorm_src 0
		.amdhsa_exception_fp_ieee_div_zero 0
		.amdhsa_exception_fp_ieee_overflow 0
		.amdhsa_exception_fp_ieee_underflow 0
		.amdhsa_exception_fp_ieee_inexact 0
		.amdhsa_exception_int_div_zero 0
	.end_amdhsa_kernel
	.section	.text._ZN7rocprim17ROCPRIM_400000_NS6detail17trampoline_kernelINS0_14default_configENS1_20scan_config_selectorIlEEZZNS1_9scan_implILNS1_25lookback_scan_determinismE0ELb0ELb0ES3_PlS8_lN6thrust23THRUST_200600_302600_NS4plusIvEElEEDaPvRmT3_T4_T5_mT6_P12ihipStream_tbENKUlT_T0_E_clISt17integral_constantIbLb1EESQ_EEDaSL_SM_EUlSL_E0_NS1_11comp_targetILNS1_3genE10ELNS1_11target_archE1200ELNS1_3gpuE4ELNS1_3repE0EEENS1_30default_config_static_selectorELNS0_4arch9wavefront6targetE0EEEvT1_,"axG",@progbits,_ZN7rocprim17ROCPRIM_400000_NS6detail17trampoline_kernelINS0_14default_configENS1_20scan_config_selectorIlEEZZNS1_9scan_implILNS1_25lookback_scan_determinismE0ELb0ELb0ES3_PlS8_lN6thrust23THRUST_200600_302600_NS4plusIvEElEEDaPvRmT3_T4_T5_mT6_P12ihipStream_tbENKUlT_T0_E_clISt17integral_constantIbLb1EESQ_EEDaSL_SM_EUlSL_E0_NS1_11comp_targetILNS1_3genE10ELNS1_11target_archE1200ELNS1_3gpuE4ELNS1_3repE0EEENS1_30default_config_static_selectorELNS0_4arch9wavefront6targetE0EEEvT1_,comdat
.Lfunc_end118:
	.size	_ZN7rocprim17ROCPRIM_400000_NS6detail17trampoline_kernelINS0_14default_configENS1_20scan_config_selectorIlEEZZNS1_9scan_implILNS1_25lookback_scan_determinismE0ELb0ELb0ES3_PlS8_lN6thrust23THRUST_200600_302600_NS4plusIvEElEEDaPvRmT3_T4_T5_mT6_P12ihipStream_tbENKUlT_T0_E_clISt17integral_constantIbLb1EESQ_EEDaSL_SM_EUlSL_E0_NS1_11comp_targetILNS1_3genE10ELNS1_11target_archE1200ELNS1_3gpuE4ELNS1_3repE0EEENS1_30default_config_static_selectorELNS0_4arch9wavefront6targetE0EEEvT1_, .Lfunc_end118-_ZN7rocprim17ROCPRIM_400000_NS6detail17trampoline_kernelINS0_14default_configENS1_20scan_config_selectorIlEEZZNS1_9scan_implILNS1_25lookback_scan_determinismE0ELb0ELb0ES3_PlS8_lN6thrust23THRUST_200600_302600_NS4plusIvEElEEDaPvRmT3_T4_T5_mT6_P12ihipStream_tbENKUlT_T0_E_clISt17integral_constantIbLb1EESQ_EEDaSL_SM_EUlSL_E0_NS1_11comp_targetILNS1_3genE10ELNS1_11target_archE1200ELNS1_3gpuE4ELNS1_3repE0EEENS1_30default_config_static_selectorELNS0_4arch9wavefront6targetE0EEEvT1_
                                        ; -- End function
	.set _ZN7rocprim17ROCPRIM_400000_NS6detail17trampoline_kernelINS0_14default_configENS1_20scan_config_selectorIlEEZZNS1_9scan_implILNS1_25lookback_scan_determinismE0ELb0ELb0ES3_PlS8_lN6thrust23THRUST_200600_302600_NS4plusIvEElEEDaPvRmT3_T4_T5_mT6_P12ihipStream_tbENKUlT_T0_E_clISt17integral_constantIbLb1EESQ_EEDaSL_SM_EUlSL_E0_NS1_11comp_targetILNS1_3genE10ELNS1_11target_archE1200ELNS1_3gpuE4ELNS1_3repE0EEENS1_30default_config_static_selectorELNS0_4arch9wavefront6targetE0EEEvT1_.num_vgpr, 0
	.set _ZN7rocprim17ROCPRIM_400000_NS6detail17trampoline_kernelINS0_14default_configENS1_20scan_config_selectorIlEEZZNS1_9scan_implILNS1_25lookback_scan_determinismE0ELb0ELb0ES3_PlS8_lN6thrust23THRUST_200600_302600_NS4plusIvEElEEDaPvRmT3_T4_T5_mT6_P12ihipStream_tbENKUlT_T0_E_clISt17integral_constantIbLb1EESQ_EEDaSL_SM_EUlSL_E0_NS1_11comp_targetILNS1_3genE10ELNS1_11target_archE1200ELNS1_3gpuE4ELNS1_3repE0EEENS1_30default_config_static_selectorELNS0_4arch9wavefront6targetE0EEEvT1_.num_agpr, 0
	.set _ZN7rocprim17ROCPRIM_400000_NS6detail17trampoline_kernelINS0_14default_configENS1_20scan_config_selectorIlEEZZNS1_9scan_implILNS1_25lookback_scan_determinismE0ELb0ELb0ES3_PlS8_lN6thrust23THRUST_200600_302600_NS4plusIvEElEEDaPvRmT3_T4_T5_mT6_P12ihipStream_tbENKUlT_T0_E_clISt17integral_constantIbLb1EESQ_EEDaSL_SM_EUlSL_E0_NS1_11comp_targetILNS1_3genE10ELNS1_11target_archE1200ELNS1_3gpuE4ELNS1_3repE0EEENS1_30default_config_static_selectorELNS0_4arch9wavefront6targetE0EEEvT1_.numbered_sgpr, 0
	.set _ZN7rocprim17ROCPRIM_400000_NS6detail17trampoline_kernelINS0_14default_configENS1_20scan_config_selectorIlEEZZNS1_9scan_implILNS1_25lookback_scan_determinismE0ELb0ELb0ES3_PlS8_lN6thrust23THRUST_200600_302600_NS4plusIvEElEEDaPvRmT3_T4_T5_mT6_P12ihipStream_tbENKUlT_T0_E_clISt17integral_constantIbLb1EESQ_EEDaSL_SM_EUlSL_E0_NS1_11comp_targetILNS1_3genE10ELNS1_11target_archE1200ELNS1_3gpuE4ELNS1_3repE0EEENS1_30default_config_static_selectorELNS0_4arch9wavefront6targetE0EEEvT1_.num_named_barrier, 0
	.set _ZN7rocprim17ROCPRIM_400000_NS6detail17trampoline_kernelINS0_14default_configENS1_20scan_config_selectorIlEEZZNS1_9scan_implILNS1_25lookback_scan_determinismE0ELb0ELb0ES3_PlS8_lN6thrust23THRUST_200600_302600_NS4plusIvEElEEDaPvRmT3_T4_T5_mT6_P12ihipStream_tbENKUlT_T0_E_clISt17integral_constantIbLb1EESQ_EEDaSL_SM_EUlSL_E0_NS1_11comp_targetILNS1_3genE10ELNS1_11target_archE1200ELNS1_3gpuE4ELNS1_3repE0EEENS1_30default_config_static_selectorELNS0_4arch9wavefront6targetE0EEEvT1_.private_seg_size, 0
	.set _ZN7rocprim17ROCPRIM_400000_NS6detail17trampoline_kernelINS0_14default_configENS1_20scan_config_selectorIlEEZZNS1_9scan_implILNS1_25lookback_scan_determinismE0ELb0ELb0ES3_PlS8_lN6thrust23THRUST_200600_302600_NS4plusIvEElEEDaPvRmT3_T4_T5_mT6_P12ihipStream_tbENKUlT_T0_E_clISt17integral_constantIbLb1EESQ_EEDaSL_SM_EUlSL_E0_NS1_11comp_targetILNS1_3genE10ELNS1_11target_archE1200ELNS1_3gpuE4ELNS1_3repE0EEENS1_30default_config_static_selectorELNS0_4arch9wavefront6targetE0EEEvT1_.uses_vcc, 0
	.set _ZN7rocprim17ROCPRIM_400000_NS6detail17trampoline_kernelINS0_14default_configENS1_20scan_config_selectorIlEEZZNS1_9scan_implILNS1_25lookback_scan_determinismE0ELb0ELb0ES3_PlS8_lN6thrust23THRUST_200600_302600_NS4plusIvEElEEDaPvRmT3_T4_T5_mT6_P12ihipStream_tbENKUlT_T0_E_clISt17integral_constantIbLb1EESQ_EEDaSL_SM_EUlSL_E0_NS1_11comp_targetILNS1_3genE10ELNS1_11target_archE1200ELNS1_3gpuE4ELNS1_3repE0EEENS1_30default_config_static_selectorELNS0_4arch9wavefront6targetE0EEEvT1_.uses_flat_scratch, 0
	.set _ZN7rocprim17ROCPRIM_400000_NS6detail17trampoline_kernelINS0_14default_configENS1_20scan_config_selectorIlEEZZNS1_9scan_implILNS1_25lookback_scan_determinismE0ELb0ELb0ES3_PlS8_lN6thrust23THRUST_200600_302600_NS4plusIvEElEEDaPvRmT3_T4_T5_mT6_P12ihipStream_tbENKUlT_T0_E_clISt17integral_constantIbLb1EESQ_EEDaSL_SM_EUlSL_E0_NS1_11comp_targetILNS1_3genE10ELNS1_11target_archE1200ELNS1_3gpuE4ELNS1_3repE0EEENS1_30default_config_static_selectorELNS0_4arch9wavefront6targetE0EEEvT1_.has_dyn_sized_stack, 0
	.set _ZN7rocprim17ROCPRIM_400000_NS6detail17trampoline_kernelINS0_14default_configENS1_20scan_config_selectorIlEEZZNS1_9scan_implILNS1_25lookback_scan_determinismE0ELb0ELb0ES3_PlS8_lN6thrust23THRUST_200600_302600_NS4plusIvEElEEDaPvRmT3_T4_T5_mT6_P12ihipStream_tbENKUlT_T0_E_clISt17integral_constantIbLb1EESQ_EEDaSL_SM_EUlSL_E0_NS1_11comp_targetILNS1_3genE10ELNS1_11target_archE1200ELNS1_3gpuE4ELNS1_3repE0EEENS1_30default_config_static_selectorELNS0_4arch9wavefront6targetE0EEEvT1_.has_recursion, 0
	.set _ZN7rocprim17ROCPRIM_400000_NS6detail17trampoline_kernelINS0_14default_configENS1_20scan_config_selectorIlEEZZNS1_9scan_implILNS1_25lookback_scan_determinismE0ELb0ELb0ES3_PlS8_lN6thrust23THRUST_200600_302600_NS4plusIvEElEEDaPvRmT3_T4_T5_mT6_P12ihipStream_tbENKUlT_T0_E_clISt17integral_constantIbLb1EESQ_EEDaSL_SM_EUlSL_E0_NS1_11comp_targetILNS1_3genE10ELNS1_11target_archE1200ELNS1_3gpuE4ELNS1_3repE0EEENS1_30default_config_static_selectorELNS0_4arch9wavefront6targetE0EEEvT1_.has_indirect_call, 0
	.section	.AMDGPU.csdata,"",@progbits
; Kernel info:
; codeLenInByte = 0
; TotalNumSgprs: 0
; NumVgprs: 0
; ScratchSize: 0
; MemoryBound: 0
; FloatMode: 240
; IeeeMode: 1
; LDSByteSize: 0 bytes/workgroup (compile time only)
; SGPRBlocks: 0
; VGPRBlocks: 0
; NumSGPRsForWavesPerEU: 1
; NumVGPRsForWavesPerEU: 1
; NamedBarCnt: 0
; Occupancy: 16
; WaveLimiterHint : 0
; COMPUTE_PGM_RSRC2:SCRATCH_EN: 0
; COMPUTE_PGM_RSRC2:USER_SGPR: 2
; COMPUTE_PGM_RSRC2:TRAP_HANDLER: 0
; COMPUTE_PGM_RSRC2:TGID_X_EN: 1
; COMPUTE_PGM_RSRC2:TGID_Y_EN: 0
; COMPUTE_PGM_RSRC2:TGID_Z_EN: 0
; COMPUTE_PGM_RSRC2:TIDIG_COMP_CNT: 0
	.section	.text._ZN7rocprim17ROCPRIM_400000_NS6detail17trampoline_kernelINS0_14default_configENS1_20scan_config_selectorIlEEZZNS1_9scan_implILNS1_25lookback_scan_determinismE0ELb0ELb0ES3_PlS8_lN6thrust23THRUST_200600_302600_NS4plusIvEElEEDaPvRmT3_T4_T5_mT6_P12ihipStream_tbENKUlT_T0_E_clISt17integral_constantIbLb1EESQ_EEDaSL_SM_EUlSL_E0_NS1_11comp_targetILNS1_3genE9ELNS1_11target_archE1100ELNS1_3gpuE3ELNS1_3repE0EEENS1_30default_config_static_selectorELNS0_4arch9wavefront6targetE0EEEvT1_,"axG",@progbits,_ZN7rocprim17ROCPRIM_400000_NS6detail17trampoline_kernelINS0_14default_configENS1_20scan_config_selectorIlEEZZNS1_9scan_implILNS1_25lookback_scan_determinismE0ELb0ELb0ES3_PlS8_lN6thrust23THRUST_200600_302600_NS4plusIvEElEEDaPvRmT3_T4_T5_mT6_P12ihipStream_tbENKUlT_T0_E_clISt17integral_constantIbLb1EESQ_EEDaSL_SM_EUlSL_E0_NS1_11comp_targetILNS1_3genE9ELNS1_11target_archE1100ELNS1_3gpuE3ELNS1_3repE0EEENS1_30default_config_static_selectorELNS0_4arch9wavefront6targetE0EEEvT1_,comdat
	.protected	_ZN7rocprim17ROCPRIM_400000_NS6detail17trampoline_kernelINS0_14default_configENS1_20scan_config_selectorIlEEZZNS1_9scan_implILNS1_25lookback_scan_determinismE0ELb0ELb0ES3_PlS8_lN6thrust23THRUST_200600_302600_NS4plusIvEElEEDaPvRmT3_T4_T5_mT6_P12ihipStream_tbENKUlT_T0_E_clISt17integral_constantIbLb1EESQ_EEDaSL_SM_EUlSL_E0_NS1_11comp_targetILNS1_3genE9ELNS1_11target_archE1100ELNS1_3gpuE3ELNS1_3repE0EEENS1_30default_config_static_selectorELNS0_4arch9wavefront6targetE0EEEvT1_ ; -- Begin function _ZN7rocprim17ROCPRIM_400000_NS6detail17trampoline_kernelINS0_14default_configENS1_20scan_config_selectorIlEEZZNS1_9scan_implILNS1_25lookback_scan_determinismE0ELb0ELb0ES3_PlS8_lN6thrust23THRUST_200600_302600_NS4plusIvEElEEDaPvRmT3_T4_T5_mT6_P12ihipStream_tbENKUlT_T0_E_clISt17integral_constantIbLb1EESQ_EEDaSL_SM_EUlSL_E0_NS1_11comp_targetILNS1_3genE9ELNS1_11target_archE1100ELNS1_3gpuE3ELNS1_3repE0EEENS1_30default_config_static_selectorELNS0_4arch9wavefront6targetE0EEEvT1_
	.globl	_ZN7rocprim17ROCPRIM_400000_NS6detail17trampoline_kernelINS0_14default_configENS1_20scan_config_selectorIlEEZZNS1_9scan_implILNS1_25lookback_scan_determinismE0ELb0ELb0ES3_PlS8_lN6thrust23THRUST_200600_302600_NS4plusIvEElEEDaPvRmT3_T4_T5_mT6_P12ihipStream_tbENKUlT_T0_E_clISt17integral_constantIbLb1EESQ_EEDaSL_SM_EUlSL_E0_NS1_11comp_targetILNS1_3genE9ELNS1_11target_archE1100ELNS1_3gpuE3ELNS1_3repE0EEENS1_30default_config_static_selectorELNS0_4arch9wavefront6targetE0EEEvT1_
	.p2align	8
	.type	_ZN7rocprim17ROCPRIM_400000_NS6detail17trampoline_kernelINS0_14default_configENS1_20scan_config_selectorIlEEZZNS1_9scan_implILNS1_25lookback_scan_determinismE0ELb0ELb0ES3_PlS8_lN6thrust23THRUST_200600_302600_NS4plusIvEElEEDaPvRmT3_T4_T5_mT6_P12ihipStream_tbENKUlT_T0_E_clISt17integral_constantIbLb1EESQ_EEDaSL_SM_EUlSL_E0_NS1_11comp_targetILNS1_3genE9ELNS1_11target_archE1100ELNS1_3gpuE3ELNS1_3repE0EEENS1_30default_config_static_selectorELNS0_4arch9wavefront6targetE0EEEvT1_,@function
_ZN7rocprim17ROCPRIM_400000_NS6detail17trampoline_kernelINS0_14default_configENS1_20scan_config_selectorIlEEZZNS1_9scan_implILNS1_25lookback_scan_determinismE0ELb0ELb0ES3_PlS8_lN6thrust23THRUST_200600_302600_NS4plusIvEElEEDaPvRmT3_T4_T5_mT6_P12ihipStream_tbENKUlT_T0_E_clISt17integral_constantIbLb1EESQ_EEDaSL_SM_EUlSL_E0_NS1_11comp_targetILNS1_3genE9ELNS1_11target_archE1100ELNS1_3gpuE3ELNS1_3repE0EEENS1_30default_config_static_selectorELNS0_4arch9wavefront6targetE0EEEvT1_: ; @_ZN7rocprim17ROCPRIM_400000_NS6detail17trampoline_kernelINS0_14default_configENS1_20scan_config_selectorIlEEZZNS1_9scan_implILNS1_25lookback_scan_determinismE0ELb0ELb0ES3_PlS8_lN6thrust23THRUST_200600_302600_NS4plusIvEElEEDaPvRmT3_T4_T5_mT6_P12ihipStream_tbENKUlT_T0_E_clISt17integral_constantIbLb1EESQ_EEDaSL_SM_EUlSL_E0_NS1_11comp_targetILNS1_3genE9ELNS1_11target_archE1100ELNS1_3gpuE3ELNS1_3repE0EEENS1_30default_config_static_selectorELNS0_4arch9wavefront6targetE0EEEvT1_
; %bb.0:
	.section	.rodata,"a",@progbits
	.p2align	6, 0x0
	.amdhsa_kernel _ZN7rocprim17ROCPRIM_400000_NS6detail17trampoline_kernelINS0_14default_configENS1_20scan_config_selectorIlEEZZNS1_9scan_implILNS1_25lookback_scan_determinismE0ELb0ELb0ES3_PlS8_lN6thrust23THRUST_200600_302600_NS4plusIvEElEEDaPvRmT3_T4_T5_mT6_P12ihipStream_tbENKUlT_T0_E_clISt17integral_constantIbLb1EESQ_EEDaSL_SM_EUlSL_E0_NS1_11comp_targetILNS1_3genE9ELNS1_11target_archE1100ELNS1_3gpuE3ELNS1_3repE0EEENS1_30default_config_static_selectorELNS0_4arch9wavefront6targetE0EEEvT1_
		.amdhsa_group_segment_fixed_size 0
		.amdhsa_private_segment_fixed_size 0
		.amdhsa_kernarg_size 40
		.amdhsa_user_sgpr_count 2
		.amdhsa_user_sgpr_dispatch_ptr 0
		.amdhsa_user_sgpr_queue_ptr 0
		.amdhsa_user_sgpr_kernarg_segment_ptr 1
		.amdhsa_user_sgpr_dispatch_id 0
		.amdhsa_user_sgpr_kernarg_preload_length 0
		.amdhsa_user_sgpr_kernarg_preload_offset 0
		.amdhsa_user_sgpr_private_segment_size 0
		.amdhsa_wavefront_size32 1
		.amdhsa_uses_dynamic_stack 0
		.amdhsa_enable_private_segment 0
		.amdhsa_system_sgpr_workgroup_id_x 1
		.amdhsa_system_sgpr_workgroup_id_y 0
		.amdhsa_system_sgpr_workgroup_id_z 0
		.amdhsa_system_sgpr_workgroup_info 0
		.amdhsa_system_vgpr_workitem_id 0
		.amdhsa_next_free_vgpr 1
		.amdhsa_next_free_sgpr 1
		.amdhsa_named_barrier_count 0
		.amdhsa_reserve_vcc 0
		.amdhsa_float_round_mode_32 0
		.amdhsa_float_round_mode_16_64 0
		.amdhsa_float_denorm_mode_32 3
		.amdhsa_float_denorm_mode_16_64 3
		.amdhsa_fp16_overflow 0
		.amdhsa_memory_ordered 1
		.amdhsa_forward_progress 1
		.amdhsa_inst_pref_size 0
		.amdhsa_round_robin_scheduling 0
		.amdhsa_exception_fp_ieee_invalid_op 0
		.amdhsa_exception_fp_denorm_src 0
		.amdhsa_exception_fp_ieee_div_zero 0
		.amdhsa_exception_fp_ieee_overflow 0
		.amdhsa_exception_fp_ieee_underflow 0
		.amdhsa_exception_fp_ieee_inexact 0
		.amdhsa_exception_int_div_zero 0
	.end_amdhsa_kernel
	.section	.text._ZN7rocprim17ROCPRIM_400000_NS6detail17trampoline_kernelINS0_14default_configENS1_20scan_config_selectorIlEEZZNS1_9scan_implILNS1_25lookback_scan_determinismE0ELb0ELb0ES3_PlS8_lN6thrust23THRUST_200600_302600_NS4plusIvEElEEDaPvRmT3_T4_T5_mT6_P12ihipStream_tbENKUlT_T0_E_clISt17integral_constantIbLb1EESQ_EEDaSL_SM_EUlSL_E0_NS1_11comp_targetILNS1_3genE9ELNS1_11target_archE1100ELNS1_3gpuE3ELNS1_3repE0EEENS1_30default_config_static_selectorELNS0_4arch9wavefront6targetE0EEEvT1_,"axG",@progbits,_ZN7rocprim17ROCPRIM_400000_NS6detail17trampoline_kernelINS0_14default_configENS1_20scan_config_selectorIlEEZZNS1_9scan_implILNS1_25lookback_scan_determinismE0ELb0ELb0ES3_PlS8_lN6thrust23THRUST_200600_302600_NS4plusIvEElEEDaPvRmT3_T4_T5_mT6_P12ihipStream_tbENKUlT_T0_E_clISt17integral_constantIbLb1EESQ_EEDaSL_SM_EUlSL_E0_NS1_11comp_targetILNS1_3genE9ELNS1_11target_archE1100ELNS1_3gpuE3ELNS1_3repE0EEENS1_30default_config_static_selectorELNS0_4arch9wavefront6targetE0EEEvT1_,comdat
.Lfunc_end119:
	.size	_ZN7rocprim17ROCPRIM_400000_NS6detail17trampoline_kernelINS0_14default_configENS1_20scan_config_selectorIlEEZZNS1_9scan_implILNS1_25lookback_scan_determinismE0ELb0ELb0ES3_PlS8_lN6thrust23THRUST_200600_302600_NS4plusIvEElEEDaPvRmT3_T4_T5_mT6_P12ihipStream_tbENKUlT_T0_E_clISt17integral_constantIbLb1EESQ_EEDaSL_SM_EUlSL_E0_NS1_11comp_targetILNS1_3genE9ELNS1_11target_archE1100ELNS1_3gpuE3ELNS1_3repE0EEENS1_30default_config_static_selectorELNS0_4arch9wavefront6targetE0EEEvT1_, .Lfunc_end119-_ZN7rocprim17ROCPRIM_400000_NS6detail17trampoline_kernelINS0_14default_configENS1_20scan_config_selectorIlEEZZNS1_9scan_implILNS1_25lookback_scan_determinismE0ELb0ELb0ES3_PlS8_lN6thrust23THRUST_200600_302600_NS4plusIvEElEEDaPvRmT3_T4_T5_mT6_P12ihipStream_tbENKUlT_T0_E_clISt17integral_constantIbLb1EESQ_EEDaSL_SM_EUlSL_E0_NS1_11comp_targetILNS1_3genE9ELNS1_11target_archE1100ELNS1_3gpuE3ELNS1_3repE0EEENS1_30default_config_static_selectorELNS0_4arch9wavefront6targetE0EEEvT1_
                                        ; -- End function
	.set _ZN7rocprim17ROCPRIM_400000_NS6detail17trampoline_kernelINS0_14default_configENS1_20scan_config_selectorIlEEZZNS1_9scan_implILNS1_25lookback_scan_determinismE0ELb0ELb0ES3_PlS8_lN6thrust23THRUST_200600_302600_NS4plusIvEElEEDaPvRmT3_T4_T5_mT6_P12ihipStream_tbENKUlT_T0_E_clISt17integral_constantIbLb1EESQ_EEDaSL_SM_EUlSL_E0_NS1_11comp_targetILNS1_3genE9ELNS1_11target_archE1100ELNS1_3gpuE3ELNS1_3repE0EEENS1_30default_config_static_selectorELNS0_4arch9wavefront6targetE0EEEvT1_.num_vgpr, 0
	.set _ZN7rocprim17ROCPRIM_400000_NS6detail17trampoline_kernelINS0_14default_configENS1_20scan_config_selectorIlEEZZNS1_9scan_implILNS1_25lookback_scan_determinismE0ELb0ELb0ES3_PlS8_lN6thrust23THRUST_200600_302600_NS4plusIvEElEEDaPvRmT3_T4_T5_mT6_P12ihipStream_tbENKUlT_T0_E_clISt17integral_constantIbLb1EESQ_EEDaSL_SM_EUlSL_E0_NS1_11comp_targetILNS1_3genE9ELNS1_11target_archE1100ELNS1_3gpuE3ELNS1_3repE0EEENS1_30default_config_static_selectorELNS0_4arch9wavefront6targetE0EEEvT1_.num_agpr, 0
	.set _ZN7rocprim17ROCPRIM_400000_NS6detail17trampoline_kernelINS0_14default_configENS1_20scan_config_selectorIlEEZZNS1_9scan_implILNS1_25lookback_scan_determinismE0ELb0ELb0ES3_PlS8_lN6thrust23THRUST_200600_302600_NS4plusIvEElEEDaPvRmT3_T4_T5_mT6_P12ihipStream_tbENKUlT_T0_E_clISt17integral_constantIbLb1EESQ_EEDaSL_SM_EUlSL_E0_NS1_11comp_targetILNS1_3genE9ELNS1_11target_archE1100ELNS1_3gpuE3ELNS1_3repE0EEENS1_30default_config_static_selectorELNS0_4arch9wavefront6targetE0EEEvT1_.numbered_sgpr, 0
	.set _ZN7rocprim17ROCPRIM_400000_NS6detail17trampoline_kernelINS0_14default_configENS1_20scan_config_selectorIlEEZZNS1_9scan_implILNS1_25lookback_scan_determinismE0ELb0ELb0ES3_PlS8_lN6thrust23THRUST_200600_302600_NS4plusIvEElEEDaPvRmT3_T4_T5_mT6_P12ihipStream_tbENKUlT_T0_E_clISt17integral_constantIbLb1EESQ_EEDaSL_SM_EUlSL_E0_NS1_11comp_targetILNS1_3genE9ELNS1_11target_archE1100ELNS1_3gpuE3ELNS1_3repE0EEENS1_30default_config_static_selectorELNS0_4arch9wavefront6targetE0EEEvT1_.num_named_barrier, 0
	.set _ZN7rocprim17ROCPRIM_400000_NS6detail17trampoline_kernelINS0_14default_configENS1_20scan_config_selectorIlEEZZNS1_9scan_implILNS1_25lookback_scan_determinismE0ELb0ELb0ES3_PlS8_lN6thrust23THRUST_200600_302600_NS4plusIvEElEEDaPvRmT3_T4_T5_mT6_P12ihipStream_tbENKUlT_T0_E_clISt17integral_constantIbLb1EESQ_EEDaSL_SM_EUlSL_E0_NS1_11comp_targetILNS1_3genE9ELNS1_11target_archE1100ELNS1_3gpuE3ELNS1_3repE0EEENS1_30default_config_static_selectorELNS0_4arch9wavefront6targetE0EEEvT1_.private_seg_size, 0
	.set _ZN7rocprim17ROCPRIM_400000_NS6detail17trampoline_kernelINS0_14default_configENS1_20scan_config_selectorIlEEZZNS1_9scan_implILNS1_25lookback_scan_determinismE0ELb0ELb0ES3_PlS8_lN6thrust23THRUST_200600_302600_NS4plusIvEElEEDaPvRmT3_T4_T5_mT6_P12ihipStream_tbENKUlT_T0_E_clISt17integral_constantIbLb1EESQ_EEDaSL_SM_EUlSL_E0_NS1_11comp_targetILNS1_3genE9ELNS1_11target_archE1100ELNS1_3gpuE3ELNS1_3repE0EEENS1_30default_config_static_selectorELNS0_4arch9wavefront6targetE0EEEvT1_.uses_vcc, 0
	.set _ZN7rocprim17ROCPRIM_400000_NS6detail17trampoline_kernelINS0_14default_configENS1_20scan_config_selectorIlEEZZNS1_9scan_implILNS1_25lookback_scan_determinismE0ELb0ELb0ES3_PlS8_lN6thrust23THRUST_200600_302600_NS4plusIvEElEEDaPvRmT3_T4_T5_mT6_P12ihipStream_tbENKUlT_T0_E_clISt17integral_constantIbLb1EESQ_EEDaSL_SM_EUlSL_E0_NS1_11comp_targetILNS1_3genE9ELNS1_11target_archE1100ELNS1_3gpuE3ELNS1_3repE0EEENS1_30default_config_static_selectorELNS0_4arch9wavefront6targetE0EEEvT1_.uses_flat_scratch, 0
	.set _ZN7rocprim17ROCPRIM_400000_NS6detail17trampoline_kernelINS0_14default_configENS1_20scan_config_selectorIlEEZZNS1_9scan_implILNS1_25lookback_scan_determinismE0ELb0ELb0ES3_PlS8_lN6thrust23THRUST_200600_302600_NS4plusIvEElEEDaPvRmT3_T4_T5_mT6_P12ihipStream_tbENKUlT_T0_E_clISt17integral_constantIbLb1EESQ_EEDaSL_SM_EUlSL_E0_NS1_11comp_targetILNS1_3genE9ELNS1_11target_archE1100ELNS1_3gpuE3ELNS1_3repE0EEENS1_30default_config_static_selectorELNS0_4arch9wavefront6targetE0EEEvT1_.has_dyn_sized_stack, 0
	.set _ZN7rocprim17ROCPRIM_400000_NS6detail17trampoline_kernelINS0_14default_configENS1_20scan_config_selectorIlEEZZNS1_9scan_implILNS1_25lookback_scan_determinismE0ELb0ELb0ES3_PlS8_lN6thrust23THRUST_200600_302600_NS4plusIvEElEEDaPvRmT3_T4_T5_mT6_P12ihipStream_tbENKUlT_T0_E_clISt17integral_constantIbLb1EESQ_EEDaSL_SM_EUlSL_E0_NS1_11comp_targetILNS1_3genE9ELNS1_11target_archE1100ELNS1_3gpuE3ELNS1_3repE0EEENS1_30default_config_static_selectorELNS0_4arch9wavefront6targetE0EEEvT1_.has_recursion, 0
	.set _ZN7rocprim17ROCPRIM_400000_NS6detail17trampoline_kernelINS0_14default_configENS1_20scan_config_selectorIlEEZZNS1_9scan_implILNS1_25lookback_scan_determinismE0ELb0ELb0ES3_PlS8_lN6thrust23THRUST_200600_302600_NS4plusIvEElEEDaPvRmT3_T4_T5_mT6_P12ihipStream_tbENKUlT_T0_E_clISt17integral_constantIbLb1EESQ_EEDaSL_SM_EUlSL_E0_NS1_11comp_targetILNS1_3genE9ELNS1_11target_archE1100ELNS1_3gpuE3ELNS1_3repE0EEENS1_30default_config_static_selectorELNS0_4arch9wavefront6targetE0EEEvT1_.has_indirect_call, 0
	.section	.AMDGPU.csdata,"",@progbits
; Kernel info:
; codeLenInByte = 0
; TotalNumSgprs: 0
; NumVgprs: 0
; ScratchSize: 0
; MemoryBound: 0
; FloatMode: 240
; IeeeMode: 1
; LDSByteSize: 0 bytes/workgroup (compile time only)
; SGPRBlocks: 0
; VGPRBlocks: 0
; NumSGPRsForWavesPerEU: 1
; NumVGPRsForWavesPerEU: 1
; NamedBarCnt: 0
; Occupancy: 16
; WaveLimiterHint : 0
; COMPUTE_PGM_RSRC2:SCRATCH_EN: 0
; COMPUTE_PGM_RSRC2:USER_SGPR: 2
; COMPUTE_PGM_RSRC2:TRAP_HANDLER: 0
; COMPUTE_PGM_RSRC2:TGID_X_EN: 1
; COMPUTE_PGM_RSRC2:TGID_Y_EN: 0
; COMPUTE_PGM_RSRC2:TGID_Z_EN: 0
; COMPUTE_PGM_RSRC2:TIDIG_COMP_CNT: 0
	.section	.text._ZN7rocprim17ROCPRIM_400000_NS6detail17trampoline_kernelINS0_14default_configENS1_20scan_config_selectorIlEEZZNS1_9scan_implILNS1_25lookback_scan_determinismE0ELb0ELb0ES3_PlS8_lN6thrust23THRUST_200600_302600_NS4plusIvEElEEDaPvRmT3_T4_T5_mT6_P12ihipStream_tbENKUlT_T0_E_clISt17integral_constantIbLb1EESQ_EEDaSL_SM_EUlSL_E0_NS1_11comp_targetILNS1_3genE8ELNS1_11target_archE1030ELNS1_3gpuE2ELNS1_3repE0EEENS1_30default_config_static_selectorELNS0_4arch9wavefront6targetE0EEEvT1_,"axG",@progbits,_ZN7rocprim17ROCPRIM_400000_NS6detail17trampoline_kernelINS0_14default_configENS1_20scan_config_selectorIlEEZZNS1_9scan_implILNS1_25lookback_scan_determinismE0ELb0ELb0ES3_PlS8_lN6thrust23THRUST_200600_302600_NS4plusIvEElEEDaPvRmT3_T4_T5_mT6_P12ihipStream_tbENKUlT_T0_E_clISt17integral_constantIbLb1EESQ_EEDaSL_SM_EUlSL_E0_NS1_11comp_targetILNS1_3genE8ELNS1_11target_archE1030ELNS1_3gpuE2ELNS1_3repE0EEENS1_30default_config_static_selectorELNS0_4arch9wavefront6targetE0EEEvT1_,comdat
	.protected	_ZN7rocprim17ROCPRIM_400000_NS6detail17trampoline_kernelINS0_14default_configENS1_20scan_config_selectorIlEEZZNS1_9scan_implILNS1_25lookback_scan_determinismE0ELb0ELb0ES3_PlS8_lN6thrust23THRUST_200600_302600_NS4plusIvEElEEDaPvRmT3_T4_T5_mT6_P12ihipStream_tbENKUlT_T0_E_clISt17integral_constantIbLb1EESQ_EEDaSL_SM_EUlSL_E0_NS1_11comp_targetILNS1_3genE8ELNS1_11target_archE1030ELNS1_3gpuE2ELNS1_3repE0EEENS1_30default_config_static_selectorELNS0_4arch9wavefront6targetE0EEEvT1_ ; -- Begin function _ZN7rocprim17ROCPRIM_400000_NS6detail17trampoline_kernelINS0_14default_configENS1_20scan_config_selectorIlEEZZNS1_9scan_implILNS1_25lookback_scan_determinismE0ELb0ELb0ES3_PlS8_lN6thrust23THRUST_200600_302600_NS4plusIvEElEEDaPvRmT3_T4_T5_mT6_P12ihipStream_tbENKUlT_T0_E_clISt17integral_constantIbLb1EESQ_EEDaSL_SM_EUlSL_E0_NS1_11comp_targetILNS1_3genE8ELNS1_11target_archE1030ELNS1_3gpuE2ELNS1_3repE0EEENS1_30default_config_static_selectorELNS0_4arch9wavefront6targetE0EEEvT1_
	.globl	_ZN7rocprim17ROCPRIM_400000_NS6detail17trampoline_kernelINS0_14default_configENS1_20scan_config_selectorIlEEZZNS1_9scan_implILNS1_25lookback_scan_determinismE0ELb0ELb0ES3_PlS8_lN6thrust23THRUST_200600_302600_NS4plusIvEElEEDaPvRmT3_T4_T5_mT6_P12ihipStream_tbENKUlT_T0_E_clISt17integral_constantIbLb1EESQ_EEDaSL_SM_EUlSL_E0_NS1_11comp_targetILNS1_3genE8ELNS1_11target_archE1030ELNS1_3gpuE2ELNS1_3repE0EEENS1_30default_config_static_selectorELNS0_4arch9wavefront6targetE0EEEvT1_
	.p2align	8
	.type	_ZN7rocprim17ROCPRIM_400000_NS6detail17trampoline_kernelINS0_14default_configENS1_20scan_config_selectorIlEEZZNS1_9scan_implILNS1_25lookback_scan_determinismE0ELb0ELb0ES3_PlS8_lN6thrust23THRUST_200600_302600_NS4plusIvEElEEDaPvRmT3_T4_T5_mT6_P12ihipStream_tbENKUlT_T0_E_clISt17integral_constantIbLb1EESQ_EEDaSL_SM_EUlSL_E0_NS1_11comp_targetILNS1_3genE8ELNS1_11target_archE1030ELNS1_3gpuE2ELNS1_3repE0EEENS1_30default_config_static_selectorELNS0_4arch9wavefront6targetE0EEEvT1_,@function
_ZN7rocprim17ROCPRIM_400000_NS6detail17trampoline_kernelINS0_14default_configENS1_20scan_config_selectorIlEEZZNS1_9scan_implILNS1_25lookback_scan_determinismE0ELb0ELb0ES3_PlS8_lN6thrust23THRUST_200600_302600_NS4plusIvEElEEDaPvRmT3_T4_T5_mT6_P12ihipStream_tbENKUlT_T0_E_clISt17integral_constantIbLb1EESQ_EEDaSL_SM_EUlSL_E0_NS1_11comp_targetILNS1_3genE8ELNS1_11target_archE1030ELNS1_3gpuE2ELNS1_3repE0EEENS1_30default_config_static_selectorELNS0_4arch9wavefront6targetE0EEEvT1_: ; @_ZN7rocprim17ROCPRIM_400000_NS6detail17trampoline_kernelINS0_14default_configENS1_20scan_config_selectorIlEEZZNS1_9scan_implILNS1_25lookback_scan_determinismE0ELb0ELb0ES3_PlS8_lN6thrust23THRUST_200600_302600_NS4plusIvEElEEDaPvRmT3_T4_T5_mT6_P12ihipStream_tbENKUlT_T0_E_clISt17integral_constantIbLb1EESQ_EEDaSL_SM_EUlSL_E0_NS1_11comp_targetILNS1_3genE8ELNS1_11target_archE1030ELNS1_3gpuE2ELNS1_3repE0EEENS1_30default_config_static_selectorELNS0_4arch9wavefront6targetE0EEEvT1_
; %bb.0:
	.section	.rodata,"a",@progbits
	.p2align	6, 0x0
	.amdhsa_kernel _ZN7rocprim17ROCPRIM_400000_NS6detail17trampoline_kernelINS0_14default_configENS1_20scan_config_selectorIlEEZZNS1_9scan_implILNS1_25lookback_scan_determinismE0ELb0ELb0ES3_PlS8_lN6thrust23THRUST_200600_302600_NS4plusIvEElEEDaPvRmT3_T4_T5_mT6_P12ihipStream_tbENKUlT_T0_E_clISt17integral_constantIbLb1EESQ_EEDaSL_SM_EUlSL_E0_NS1_11comp_targetILNS1_3genE8ELNS1_11target_archE1030ELNS1_3gpuE2ELNS1_3repE0EEENS1_30default_config_static_selectorELNS0_4arch9wavefront6targetE0EEEvT1_
		.amdhsa_group_segment_fixed_size 0
		.amdhsa_private_segment_fixed_size 0
		.amdhsa_kernarg_size 40
		.amdhsa_user_sgpr_count 2
		.amdhsa_user_sgpr_dispatch_ptr 0
		.amdhsa_user_sgpr_queue_ptr 0
		.amdhsa_user_sgpr_kernarg_segment_ptr 1
		.amdhsa_user_sgpr_dispatch_id 0
		.amdhsa_user_sgpr_kernarg_preload_length 0
		.amdhsa_user_sgpr_kernarg_preload_offset 0
		.amdhsa_user_sgpr_private_segment_size 0
		.amdhsa_wavefront_size32 1
		.amdhsa_uses_dynamic_stack 0
		.amdhsa_enable_private_segment 0
		.amdhsa_system_sgpr_workgroup_id_x 1
		.amdhsa_system_sgpr_workgroup_id_y 0
		.amdhsa_system_sgpr_workgroup_id_z 0
		.amdhsa_system_sgpr_workgroup_info 0
		.amdhsa_system_vgpr_workitem_id 0
		.amdhsa_next_free_vgpr 1
		.amdhsa_next_free_sgpr 1
		.amdhsa_named_barrier_count 0
		.amdhsa_reserve_vcc 0
		.amdhsa_float_round_mode_32 0
		.amdhsa_float_round_mode_16_64 0
		.amdhsa_float_denorm_mode_32 3
		.amdhsa_float_denorm_mode_16_64 3
		.amdhsa_fp16_overflow 0
		.amdhsa_memory_ordered 1
		.amdhsa_forward_progress 1
		.amdhsa_inst_pref_size 0
		.amdhsa_round_robin_scheduling 0
		.amdhsa_exception_fp_ieee_invalid_op 0
		.amdhsa_exception_fp_denorm_src 0
		.amdhsa_exception_fp_ieee_div_zero 0
		.amdhsa_exception_fp_ieee_overflow 0
		.amdhsa_exception_fp_ieee_underflow 0
		.amdhsa_exception_fp_ieee_inexact 0
		.amdhsa_exception_int_div_zero 0
	.end_amdhsa_kernel
	.section	.text._ZN7rocprim17ROCPRIM_400000_NS6detail17trampoline_kernelINS0_14default_configENS1_20scan_config_selectorIlEEZZNS1_9scan_implILNS1_25lookback_scan_determinismE0ELb0ELb0ES3_PlS8_lN6thrust23THRUST_200600_302600_NS4plusIvEElEEDaPvRmT3_T4_T5_mT6_P12ihipStream_tbENKUlT_T0_E_clISt17integral_constantIbLb1EESQ_EEDaSL_SM_EUlSL_E0_NS1_11comp_targetILNS1_3genE8ELNS1_11target_archE1030ELNS1_3gpuE2ELNS1_3repE0EEENS1_30default_config_static_selectorELNS0_4arch9wavefront6targetE0EEEvT1_,"axG",@progbits,_ZN7rocprim17ROCPRIM_400000_NS6detail17trampoline_kernelINS0_14default_configENS1_20scan_config_selectorIlEEZZNS1_9scan_implILNS1_25lookback_scan_determinismE0ELb0ELb0ES3_PlS8_lN6thrust23THRUST_200600_302600_NS4plusIvEElEEDaPvRmT3_T4_T5_mT6_P12ihipStream_tbENKUlT_T0_E_clISt17integral_constantIbLb1EESQ_EEDaSL_SM_EUlSL_E0_NS1_11comp_targetILNS1_3genE8ELNS1_11target_archE1030ELNS1_3gpuE2ELNS1_3repE0EEENS1_30default_config_static_selectorELNS0_4arch9wavefront6targetE0EEEvT1_,comdat
.Lfunc_end120:
	.size	_ZN7rocprim17ROCPRIM_400000_NS6detail17trampoline_kernelINS0_14default_configENS1_20scan_config_selectorIlEEZZNS1_9scan_implILNS1_25lookback_scan_determinismE0ELb0ELb0ES3_PlS8_lN6thrust23THRUST_200600_302600_NS4plusIvEElEEDaPvRmT3_T4_T5_mT6_P12ihipStream_tbENKUlT_T0_E_clISt17integral_constantIbLb1EESQ_EEDaSL_SM_EUlSL_E0_NS1_11comp_targetILNS1_3genE8ELNS1_11target_archE1030ELNS1_3gpuE2ELNS1_3repE0EEENS1_30default_config_static_selectorELNS0_4arch9wavefront6targetE0EEEvT1_, .Lfunc_end120-_ZN7rocprim17ROCPRIM_400000_NS6detail17trampoline_kernelINS0_14default_configENS1_20scan_config_selectorIlEEZZNS1_9scan_implILNS1_25lookback_scan_determinismE0ELb0ELb0ES3_PlS8_lN6thrust23THRUST_200600_302600_NS4plusIvEElEEDaPvRmT3_T4_T5_mT6_P12ihipStream_tbENKUlT_T0_E_clISt17integral_constantIbLb1EESQ_EEDaSL_SM_EUlSL_E0_NS1_11comp_targetILNS1_3genE8ELNS1_11target_archE1030ELNS1_3gpuE2ELNS1_3repE0EEENS1_30default_config_static_selectorELNS0_4arch9wavefront6targetE0EEEvT1_
                                        ; -- End function
	.set _ZN7rocprim17ROCPRIM_400000_NS6detail17trampoline_kernelINS0_14default_configENS1_20scan_config_selectorIlEEZZNS1_9scan_implILNS1_25lookback_scan_determinismE0ELb0ELb0ES3_PlS8_lN6thrust23THRUST_200600_302600_NS4plusIvEElEEDaPvRmT3_T4_T5_mT6_P12ihipStream_tbENKUlT_T0_E_clISt17integral_constantIbLb1EESQ_EEDaSL_SM_EUlSL_E0_NS1_11comp_targetILNS1_3genE8ELNS1_11target_archE1030ELNS1_3gpuE2ELNS1_3repE0EEENS1_30default_config_static_selectorELNS0_4arch9wavefront6targetE0EEEvT1_.num_vgpr, 0
	.set _ZN7rocprim17ROCPRIM_400000_NS6detail17trampoline_kernelINS0_14default_configENS1_20scan_config_selectorIlEEZZNS1_9scan_implILNS1_25lookback_scan_determinismE0ELb0ELb0ES3_PlS8_lN6thrust23THRUST_200600_302600_NS4plusIvEElEEDaPvRmT3_T4_T5_mT6_P12ihipStream_tbENKUlT_T0_E_clISt17integral_constantIbLb1EESQ_EEDaSL_SM_EUlSL_E0_NS1_11comp_targetILNS1_3genE8ELNS1_11target_archE1030ELNS1_3gpuE2ELNS1_3repE0EEENS1_30default_config_static_selectorELNS0_4arch9wavefront6targetE0EEEvT1_.num_agpr, 0
	.set _ZN7rocprim17ROCPRIM_400000_NS6detail17trampoline_kernelINS0_14default_configENS1_20scan_config_selectorIlEEZZNS1_9scan_implILNS1_25lookback_scan_determinismE0ELb0ELb0ES3_PlS8_lN6thrust23THRUST_200600_302600_NS4plusIvEElEEDaPvRmT3_T4_T5_mT6_P12ihipStream_tbENKUlT_T0_E_clISt17integral_constantIbLb1EESQ_EEDaSL_SM_EUlSL_E0_NS1_11comp_targetILNS1_3genE8ELNS1_11target_archE1030ELNS1_3gpuE2ELNS1_3repE0EEENS1_30default_config_static_selectorELNS0_4arch9wavefront6targetE0EEEvT1_.numbered_sgpr, 0
	.set _ZN7rocprim17ROCPRIM_400000_NS6detail17trampoline_kernelINS0_14default_configENS1_20scan_config_selectorIlEEZZNS1_9scan_implILNS1_25lookback_scan_determinismE0ELb0ELb0ES3_PlS8_lN6thrust23THRUST_200600_302600_NS4plusIvEElEEDaPvRmT3_T4_T5_mT6_P12ihipStream_tbENKUlT_T0_E_clISt17integral_constantIbLb1EESQ_EEDaSL_SM_EUlSL_E0_NS1_11comp_targetILNS1_3genE8ELNS1_11target_archE1030ELNS1_3gpuE2ELNS1_3repE0EEENS1_30default_config_static_selectorELNS0_4arch9wavefront6targetE0EEEvT1_.num_named_barrier, 0
	.set _ZN7rocprim17ROCPRIM_400000_NS6detail17trampoline_kernelINS0_14default_configENS1_20scan_config_selectorIlEEZZNS1_9scan_implILNS1_25lookback_scan_determinismE0ELb0ELb0ES3_PlS8_lN6thrust23THRUST_200600_302600_NS4plusIvEElEEDaPvRmT3_T4_T5_mT6_P12ihipStream_tbENKUlT_T0_E_clISt17integral_constantIbLb1EESQ_EEDaSL_SM_EUlSL_E0_NS1_11comp_targetILNS1_3genE8ELNS1_11target_archE1030ELNS1_3gpuE2ELNS1_3repE0EEENS1_30default_config_static_selectorELNS0_4arch9wavefront6targetE0EEEvT1_.private_seg_size, 0
	.set _ZN7rocprim17ROCPRIM_400000_NS6detail17trampoline_kernelINS0_14default_configENS1_20scan_config_selectorIlEEZZNS1_9scan_implILNS1_25lookback_scan_determinismE0ELb0ELb0ES3_PlS8_lN6thrust23THRUST_200600_302600_NS4plusIvEElEEDaPvRmT3_T4_T5_mT6_P12ihipStream_tbENKUlT_T0_E_clISt17integral_constantIbLb1EESQ_EEDaSL_SM_EUlSL_E0_NS1_11comp_targetILNS1_3genE8ELNS1_11target_archE1030ELNS1_3gpuE2ELNS1_3repE0EEENS1_30default_config_static_selectorELNS0_4arch9wavefront6targetE0EEEvT1_.uses_vcc, 0
	.set _ZN7rocprim17ROCPRIM_400000_NS6detail17trampoline_kernelINS0_14default_configENS1_20scan_config_selectorIlEEZZNS1_9scan_implILNS1_25lookback_scan_determinismE0ELb0ELb0ES3_PlS8_lN6thrust23THRUST_200600_302600_NS4plusIvEElEEDaPvRmT3_T4_T5_mT6_P12ihipStream_tbENKUlT_T0_E_clISt17integral_constantIbLb1EESQ_EEDaSL_SM_EUlSL_E0_NS1_11comp_targetILNS1_3genE8ELNS1_11target_archE1030ELNS1_3gpuE2ELNS1_3repE0EEENS1_30default_config_static_selectorELNS0_4arch9wavefront6targetE0EEEvT1_.uses_flat_scratch, 0
	.set _ZN7rocprim17ROCPRIM_400000_NS6detail17trampoline_kernelINS0_14default_configENS1_20scan_config_selectorIlEEZZNS1_9scan_implILNS1_25lookback_scan_determinismE0ELb0ELb0ES3_PlS8_lN6thrust23THRUST_200600_302600_NS4plusIvEElEEDaPvRmT3_T4_T5_mT6_P12ihipStream_tbENKUlT_T0_E_clISt17integral_constantIbLb1EESQ_EEDaSL_SM_EUlSL_E0_NS1_11comp_targetILNS1_3genE8ELNS1_11target_archE1030ELNS1_3gpuE2ELNS1_3repE0EEENS1_30default_config_static_selectorELNS0_4arch9wavefront6targetE0EEEvT1_.has_dyn_sized_stack, 0
	.set _ZN7rocprim17ROCPRIM_400000_NS6detail17trampoline_kernelINS0_14default_configENS1_20scan_config_selectorIlEEZZNS1_9scan_implILNS1_25lookback_scan_determinismE0ELb0ELb0ES3_PlS8_lN6thrust23THRUST_200600_302600_NS4plusIvEElEEDaPvRmT3_T4_T5_mT6_P12ihipStream_tbENKUlT_T0_E_clISt17integral_constantIbLb1EESQ_EEDaSL_SM_EUlSL_E0_NS1_11comp_targetILNS1_3genE8ELNS1_11target_archE1030ELNS1_3gpuE2ELNS1_3repE0EEENS1_30default_config_static_selectorELNS0_4arch9wavefront6targetE0EEEvT1_.has_recursion, 0
	.set _ZN7rocprim17ROCPRIM_400000_NS6detail17trampoline_kernelINS0_14default_configENS1_20scan_config_selectorIlEEZZNS1_9scan_implILNS1_25lookback_scan_determinismE0ELb0ELb0ES3_PlS8_lN6thrust23THRUST_200600_302600_NS4plusIvEElEEDaPvRmT3_T4_T5_mT6_P12ihipStream_tbENKUlT_T0_E_clISt17integral_constantIbLb1EESQ_EEDaSL_SM_EUlSL_E0_NS1_11comp_targetILNS1_3genE8ELNS1_11target_archE1030ELNS1_3gpuE2ELNS1_3repE0EEENS1_30default_config_static_selectorELNS0_4arch9wavefront6targetE0EEEvT1_.has_indirect_call, 0
	.section	.AMDGPU.csdata,"",@progbits
; Kernel info:
; codeLenInByte = 0
; TotalNumSgprs: 0
; NumVgprs: 0
; ScratchSize: 0
; MemoryBound: 0
; FloatMode: 240
; IeeeMode: 1
; LDSByteSize: 0 bytes/workgroup (compile time only)
; SGPRBlocks: 0
; VGPRBlocks: 0
; NumSGPRsForWavesPerEU: 1
; NumVGPRsForWavesPerEU: 1
; NamedBarCnt: 0
; Occupancy: 16
; WaveLimiterHint : 0
; COMPUTE_PGM_RSRC2:SCRATCH_EN: 0
; COMPUTE_PGM_RSRC2:USER_SGPR: 2
; COMPUTE_PGM_RSRC2:TRAP_HANDLER: 0
; COMPUTE_PGM_RSRC2:TGID_X_EN: 1
; COMPUTE_PGM_RSRC2:TGID_Y_EN: 0
; COMPUTE_PGM_RSRC2:TGID_Z_EN: 0
; COMPUTE_PGM_RSRC2:TIDIG_COMP_CNT: 0
	.section	.text._ZN7rocprim17ROCPRIM_400000_NS6detail31init_lookback_scan_state_kernelINS1_19lookback_scan_stateIlLb1ELb1EEENS1_16block_id_wrapperIjLb0EEEEEvT_jT0_jPNS7_10value_typeE,"axG",@progbits,_ZN7rocprim17ROCPRIM_400000_NS6detail31init_lookback_scan_state_kernelINS1_19lookback_scan_stateIlLb1ELb1EEENS1_16block_id_wrapperIjLb0EEEEEvT_jT0_jPNS7_10value_typeE,comdat
	.protected	_ZN7rocprim17ROCPRIM_400000_NS6detail31init_lookback_scan_state_kernelINS1_19lookback_scan_stateIlLb1ELb1EEENS1_16block_id_wrapperIjLb0EEEEEvT_jT0_jPNS7_10value_typeE ; -- Begin function _ZN7rocprim17ROCPRIM_400000_NS6detail31init_lookback_scan_state_kernelINS1_19lookback_scan_stateIlLb1ELb1EEENS1_16block_id_wrapperIjLb0EEEEEvT_jT0_jPNS7_10value_typeE
	.globl	_ZN7rocprim17ROCPRIM_400000_NS6detail31init_lookback_scan_state_kernelINS1_19lookback_scan_stateIlLb1ELb1EEENS1_16block_id_wrapperIjLb0EEEEEvT_jT0_jPNS7_10value_typeE
	.p2align	8
	.type	_ZN7rocprim17ROCPRIM_400000_NS6detail31init_lookback_scan_state_kernelINS1_19lookback_scan_stateIlLb1ELb1EEENS1_16block_id_wrapperIjLb0EEEEEvT_jT0_jPNS7_10value_typeE,@function
_ZN7rocprim17ROCPRIM_400000_NS6detail31init_lookback_scan_state_kernelINS1_19lookback_scan_stateIlLb1ELb1EEENS1_16block_id_wrapperIjLb0EEEEEvT_jT0_jPNS7_10value_typeE: ; @_ZN7rocprim17ROCPRIM_400000_NS6detail31init_lookback_scan_state_kernelINS1_19lookback_scan_stateIlLb1ELb1EEENS1_16block_id_wrapperIjLb0EEEEEvT_jT0_jPNS7_10value_typeE
; %bb.0:
	s_clause 0x2
	s_load_b32 s7, s[0:1], 0x2c
	s_load_b96 s[4:6], s[0:1], 0x0
	s_load_b64 s[2:3], s[0:1], 0x18
	s_bfe_u32 s8, ttmp6, 0x4000c
	s_and_b32 s9, ttmp6, 15
	s_add_co_i32 s8, s8, 1
	s_getreg_b32 s10, hwreg(HW_REG_IB_STS2, 6, 4)
	s_mul_i32 s8, ttmp9, s8
	s_delay_alu instid0(SALU_CYCLE_1)
	s_add_co_i32 s9, s9, s8
	s_wait_kmcnt 0x0
	s_and_b32 s7, s7, 0xffff
	s_cmp_eq_u32 s10, 0
	s_cselect_b32 s8, ttmp9, s9
	s_cmp_eq_u64 s[2:3], 0
	v_mad_u32 v8, s8, s7, v0
	s_cbranch_scc1 .LBB121_10
; %bb.1:
	s_load_b32 s0, s[0:1], 0x10
	s_mov_b32 s7, exec_lo
	s_wait_kmcnt 0x0
	s_cmp_lt_u32 s0, s6
	s_cselect_b32 s1, s0, 0
	s_delay_alu instid0(VALU_DEP_1) | instid1(SALU_CYCLE_1)
	v_cmpx_eq_u32_e64 s1, v8
	s_cbranch_execz .LBB121_9
; %bb.2:
	s_add_co_i32 s0, s0, 32
	s_mov_b32 s1, 0
	v_mov_b32_e32 v5, 0
	s_lshl_b64 s[8:9], s[0:1], 4
	s_mov_b32 s0, exec_lo
	s_add_nc_u64 s[8:9], s[4:5], s[8:9]
	s_delay_alu instid0(SALU_CYCLE_1) | instskip(SKIP_2) | instid1(VALU_DEP_1)
	v_mov_b64_e32 v[0:1], s[8:9]
	;;#ASMSTART
	global_load_b128 v[0:3], v[0:1] off scope:SCOPE_DEV	
s_wait_loadcnt 0x0
	;;#ASMEND
	v_and_b32_e32 v4, 0xff, v2
	v_cmpx_eq_u64_e32 0, v[4:5]
	s_cbranch_execz .LBB121_8
; %bb.3:
	v_mov_b64_e32 v[6:7], s[8:9]
	s_mov_b32 s8, 1
.LBB121_4:                              ; =>This Loop Header: Depth=1
                                        ;     Child Loop BB121_5 Depth 2
	s_delay_alu instid0(SALU_CYCLE_1)
	s_mov_b32 s9, s8
.LBB121_5:                              ;   Parent Loop BB121_4 Depth=1
                                        ; =>  This Inner Loop Header: Depth=2
	s_delay_alu instid0(SALU_CYCLE_1)
	s_add_co_i32 s9, s9, -1
	s_sleep 1
	s_cmp_eq_u32 s9, 0
	s_cbranch_scc0 .LBB121_5
; %bb.6:                                ;   in Loop: Header=BB121_4 Depth=1
	;;#ASMSTART
	global_load_b128 v[0:3], v[6:7] off scope:SCOPE_DEV	
s_wait_loadcnt 0x0
	;;#ASMEND
	v_and_b32_e32 v4, 0xff, v2
	s_cmp_lt_u32 s8, 32
	s_cselect_b32 s9, -1, 0
	s_delay_alu instid0(VALU_DEP_1) | instskip(SKIP_3) | instid1(SALU_CYCLE_1)
	v_cmp_ne_u64_e32 vcc_lo, 0, v[4:5]
	s_cmp_lg_u32 s9, 0
	s_add_co_ci_u32 s8, s8, 0
	s_or_b32 s1, vcc_lo, s1
	s_and_not1_b32 exec_lo, exec_lo, s1
	s_cbranch_execnz .LBB121_4
; %bb.7:
	s_or_b32 exec_lo, exec_lo, s1
.LBB121_8:
	s_delay_alu instid0(SALU_CYCLE_1)
	s_or_b32 exec_lo, exec_lo, s0
	v_mov_b32_e32 v2, 0
	global_store_b64 v2, v[0:1], s[2:3]
.LBB121_9:
	s_wait_xcnt 0x0
	s_or_b32 exec_lo, exec_lo, s7
.LBB121_10:
	s_delay_alu instid0(SALU_CYCLE_1) | instskip(NEXT) | instid1(VALU_DEP_1)
	s_mov_b32 s0, exec_lo
	v_cmpx_gt_u32_e64 s6, v8
	s_cbranch_execz .LBB121_12
; %bb.11:
	v_dual_mov_b32 v0, 0 :: v_dual_add_nc_u32 v4, 32, v8
	s_delay_alu instid0(VALU_DEP_1)
	v_dual_mov_b32 v1, v0 :: v_dual_mov_b32 v2, v0
	v_mov_b32_e32 v3, v0
	global_store_b128 v4, v[0:3], s[4:5] scale_offset
.LBB121_12:
	s_wait_xcnt 0x0
	s_or_b32 exec_lo, exec_lo, s0
	s_delay_alu instid0(SALU_CYCLE_1)
	s_mov_b32 s0, exec_lo
	v_cmpx_gt_u32_e32 32, v8
	s_cbranch_execz .LBB121_14
; %bb.13:
	v_mov_b32_e32 v0, 0
	s_delay_alu instid0(VALU_DEP_1)
	v_dual_mov_b32 v2, 0xff :: v_dual_mov_b32 v1, v0
	v_mov_b32_e32 v3, v0
	global_store_b128 v8, v[0:3], s[4:5] scale_offset
.LBB121_14:
	s_endpgm
	.section	.rodata,"a",@progbits
	.p2align	6, 0x0
	.amdhsa_kernel _ZN7rocprim17ROCPRIM_400000_NS6detail31init_lookback_scan_state_kernelINS1_19lookback_scan_stateIlLb1ELb1EEENS1_16block_id_wrapperIjLb0EEEEEvT_jT0_jPNS7_10value_typeE
		.amdhsa_group_segment_fixed_size 0
		.amdhsa_private_segment_fixed_size 0
		.amdhsa_kernarg_size 288
		.amdhsa_user_sgpr_count 2
		.amdhsa_user_sgpr_dispatch_ptr 0
		.amdhsa_user_sgpr_queue_ptr 0
		.amdhsa_user_sgpr_kernarg_segment_ptr 1
		.amdhsa_user_sgpr_dispatch_id 0
		.amdhsa_user_sgpr_kernarg_preload_length 0
		.amdhsa_user_sgpr_kernarg_preload_offset 0
		.amdhsa_user_sgpr_private_segment_size 0
		.amdhsa_wavefront_size32 1
		.amdhsa_uses_dynamic_stack 0
		.amdhsa_enable_private_segment 0
		.amdhsa_system_sgpr_workgroup_id_x 1
		.amdhsa_system_sgpr_workgroup_id_y 0
		.amdhsa_system_sgpr_workgroup_id_z 0
		.amdhsa_system_sgpr_workgroup_info 0
		.amdhsa_system_vgpr_workitem_id 0
		.amdhsa_next_free_vgpr 9
		.amdhsa_next_free_sgpr 11
		.amdhsa_named_barrier_count 0
		.amdhsa_reserve_vcc 1
		.amdhsa_float_round_mode_32 0
		.amdhsa_float_round_mode_16_64 0
		.amdhsa_float_denorm_mode_32 3
		.amdhsa_float_denorm_mode_16_64 3
		.amdhsa_fp16_overflow 0
		.amdhsa_memory_ordered 1
		.amdhsa_forward_progress 1
		.amdhsa_inst_pref_size 4
		.amdhsa_round_robin_scheduling 0
		.amdhsa_exception_fp_ieee_invalid_op 0
		.amdhsa_exception_fp_denorm_src 0
		.amdhsa_exception_fp_ieee_div_zero 0
		.amdhsa_exception_fp_ieee_overflow 0
		.amdhsa_exception_fp_ieee_underflow 0
		.amdhsa_exception_fp_ieee_inexact 0
		.amdhsa_exception_int_div_zero 0
	.end_amdhsa_kernel
	.section	.text._ZN7rocprim17ROCPRIM_400000_NS6detail31init_lookback_scan_state_kernelINS1_19lookback_scan_stateIlLb1ELb1EEENS1_16block_id_wrapperIjLb0EEEEEvT_jT0_jPNS7_10value_typeE,"axG",@progbits,_ZN7rocprim17ROCPRIM_400000_NS6detail31init_lookback_scan_state_kernelINS1_19lookback_scan_stateIlLb1ELb1EEENS1_16block_id_wrapperIjLb0EEEEEvT_jT0_jPNS7_10value_typeE,comdat
.Lfunc_end121:
	.size	_ZN7rocprim17ROCPRIM_400000_NS6detail31init_lookback_scan_state_kernelINS1_19lookback_scan_stateIlLb1ELb1EEENS1_16block_id_wrapperIjLb0EEEEEvT_jT0_jPNS7_10value_typeE, .Lfunc_end121-_ZN7rocprim17ROCPRIM_400000_NS6detail31init_lookback_scan_state_kernelINS1_19lookback_scan_stateIlLb1ELb1EEENS1_16block_id_wrapperIjLb0EEEEEvT_jT0_jPNS7_10value_typeE
                                        ; -- End function
	.set _ZN7rocprim17ROCPRIM_400000_NS6detail31init_lookback_scan_state_kernelINS1_19lookback_scan_stateIlLb1ELb1EEENS1_16block_id_wrapperIjLb0EEEEEvT_jT0_jPNS7_10value_typeE.num_vgpr, 9
	.set _ZN7rocprim17ROCPRIM_400000_NS6detail31init_lookback_scan_state_kernelINS1_19lookback_scan_stateIlLb1ELb1EEENS1_16block_id_wrapperIjLb0EEEEEvT_jT0_jPNS7_10value_typeE.num_agpr, 0
	.set _ZN7rocprim17ROCPRIM_400000_NS6detail31init_lookback_scan_state_kernelINS1_19lookback_scan_stateIlLb1ELb1EEENS1_16block_id_wrapperIjLb0EEEEEvT_jT0_jPNS7_10value_typeE.numbered_sgpr, 11
	.set _ZN7rocprim17ROCPRIM_400000_NS6detail31init_lookback_scan_state_kernelINS1_19lookback_scan_stateIlLb1ELb1EEENS1_16block_id_wrapperIjLb0EEEEEvT_jT0_jPNS7_10value_typeE.num_named_barrier, 0
	.set _ZN7rocprim17ROCPRIM_400000_NS6detail31init_lookback_scan_state_kernelINS1_19lookback_scan_stateIlLb1ELb1EEENS1_16block_id_wrapperIjLb0EEEEEvT_jT0_jPNS7_10value_typeE.private_seg_size, 0
	.set _ZN7rocprim17ROCPRIM_400000_NS6detail31init_lookback_scan_state_kernelINS1_19lookback_scan_stateIlLb1ELb1EEENS1_16block_id_wrapperIjLb0EEEEEvT_jT0_jPNS7_10value_typeE.uses_vcc, 1
	.set _ZN7rocprim17ROCPRIM_400000_NS6detail31init_lookback_scan_state_kernelINS1_19lookback_scan_stateIlLb1ELb1EEENS1_16block_id_wrapperIjLb0EEEEEvT_jT0_jPNS7_10value_typeE.uses_flat_scratch, 0
	.set _ZN7rocprim17ROCPRIM_400000_NS6detail31init_lookback_scan_state_kernelINS1_19lookback_scan_stateIlLb1ELb1EEENS1_16block_id_wrapperIjLb0EEEEEvT_jT0_jPNS7_10value_typeE.has_dyn_sized_stack, 0
	.set _ZN7rocprim17ROCPRIM_400000_NS6detail31init_lookback_scan_state_kernelINS1_19lookback_scan_stateIlLb1ELb1EEENS1_16block_id_wrapperIjLb0EEEEEvT_jT0_jPNS7_10value_typeE.has_recursion, 0
	.set _ZN7rocprim17ROCPRIM_400000_NS6detail31init_lookback_scan_state_kernelINS1_19lookback_scan_stateIlLb1ELb1EEENS1_16block_id_wrapperIjLb0EEEEEvT_jT0_jPNS7_10value_typeE.has_indirect_call, 0
	.section	.AMDGPU.csdata,"",@progbits
; Kernel info:
; codeLenInByte = 424
; TotalNumSgprs: 13
; NumVgprs: 9
; ScratchSize: 0
; MemoryBound: 0
; FloatMode: 240
; IeeeMode: 1
; LDSByteSize: 0 bytes/workgroup (compile time only)
; SGPRBlocks: 0
; VGPRBlocks: 0
; NumSGPRsForWavesPerEU: 13
; NumVGPRsForWavesPerEU: 9
; NamedBarCnt: 0
; Occupancy: 16
; WaveLimiterHint : 0
; COMPUTE_PGM_RSRC2:SCRATCH_EN: 0
; COMPUTE_PGM_RSRC2:USER_SGPR: 2
; COMPUTE_PGM_RSRC2:TRAP_HANDLER: 0
; COMPUTE_PGM_RSRC2:TGID_X_EN: 1
; COMPUTE_PGM_RSRC2:TGID_Y_EN: 0
; COMPUTE_PGM_RSRC2:TGID_Z_EN: 0
; COMPUTE_PGM_RSRC2:TIDIG_COMP_CNT: 0
	.section	.text._ZN7rocprim17ROCPRIM_400000_NS6detail17trampoline_kernelINS0_14default_configENS1_20scan_config_selectorIlEEZZNS1_9scan_implILNS1_25lookback_scan_determinismE0ELb0ELb0ES3_PlS8_lN6thrust23THRUST_200600_302600_NS4plusIvEElEEDaPvRmT3_T4_T5_mT6_P12ihipStream_tbENKUlT_T0_E_clISt17integral_constantIbLb1EESP_IbLb0EEEEDaSL_SM_EUlSL_E_NS1_11comp_targetILNS1_3genE0ELNS1_11target_archE4294967295ELNS1_3gpuE0ELNS1_3repE0EEENS1_30default_config_static_selectorELNS0_4arch9wavefront6targetE0EEEvT1_,"axG",@progbits,_ZN7rocprim17ROCPRIM_400000_NS6detail17trampoline_kernelINS0_14default_configENS1_20scan_config_selectorIlEEZZNS1_9scan_implILNS1_25lookback_scan_determinismE0ELb0ELb0ES3_PlS8_lN6thrust23THRUST_200600_302600_NS4plusIvEElEEDaPvRmT3_T4_T5_mT6_P12ihipStream_tbENKUlT_T0_E_clISt17integral_constantIbLb1EESP_IbLb0EEEEDaSL_SM_EUlSL_E_NS1_11comp_targetILNS1_3genE0ELNS1_11target_archE4294967295ELNS1_3gpuE0ELNS1_3repE0EEENS1_30default_config_static_selectorELNS0_4arch9wavefront6targetE0EEEvT1_,comdat
	.protected	_ZN7rocprim17ROCPRIM_400000_NS6detail17trampoline_kernelINS0_14default_configENS1_20scan_config_selectorIlEEZZNS1_9scan_implILNS1_25lookback_scan_determinismE0ELb0ELb0ES3_PlS8_lN6thrust23THRUST_200600_302600_NS4plusIvEElEEDaPvRmT3_T4_T5_mT6_P12ihipStream_tbENKUlT_T0_E_clISt17integral_constantIbLb1EESP_IbLb0EEEEDaSL_SM_EUlSL_E_NS1_11comp_targetILNS1_3genE0ELNS1_11target_archE4294967295ELNS1_3gpuE0ELNS1_3repE0EEENS1_30default_config_static_selectorELNS0_4arch9wavefront6targetE0EEEvT1_ ; -- Begin function _ZN7rocprim17ROCPRIM_400000_NS6detail17trampoline_kernelINS0_14default_configENS1_20scan_config_selectorIlEEZZNS1_9scan_implILNS1_25lookback_scan_determinismE0ELb0ELb0ES3_PlS8_lN6thrust23THRUST_200600_302600_NS4plusIvEElEEDaPvRmT3_T4_T5_mT6_P12ihipStream_tbENKUlT_T0_E_clISt17integral_constantIbLb1EESP_IbLb0EEEEDaSL_SM_EUlSL_E_NS1_11comp_targetILNS1_3genE0ELNS1_11target_archE4294967295ELNS1_3gpuE0ELNS1_3repE0EEENS1_30default_config_static_selectorELNS0_4arch9wavefront6targetE0EEEvT1_
	.globl	_ZN7rocprim17ROCPRIM_400000_NS6detail17trampoline_kernelINS0_14default_configENS1_20scan_config_selectorIlEEZZNS1_9scan_implILNS1_25lookback_scan_determinismE0ELb0ELb0ES3_PlS8_lN6thrust23THRUST_200600_302600_NS4plusIvEElEEDaPvRmT3_T4_T5_mT6_P12ihipStream_tbENKUlT_T0_E_clISt17integral_constantIbLb1EESP_IbLb0EEEEDaSL_SM_EUlSL_E_NS1_11comp_targetILNS1_3genE0ELNS1_11target_archE4294967295ELNS1_3gpuE0ELNS1_3repE0EEENS1_30default_config_static_selectorELNS0_4arch9wavefront6targetE0EEEvT1_
	.p2align	8
	.type	_ZN7rocprim17ROCPRIM_400000_NS6detail17trampoline_kernelINS0_14default_configENS1_20scan_config_selectorIlEEZZNS1_9scan_implILNS1_25lookback_scan_determinismE0ELb0ELb0ES3_PlS8_lN6thrust23THRUST_200600_302600_NS4plusIvEElEEDaPvRmT3_T4_T5_mT6_P12ihipStream_tbENKUlT_T0_E_clISt17integral_constantIbLb1EESP_IbLb0EEEEDaSL_SM_EUlSL_E_NS1_11comp_targetILNS1_3genE0ELNS1_11target_archE4294967295ELNS1_3gpuE0ELNS1_3repE0EEENS1_30default_config_static_selectorELNS0_4arch9wavefront6targetE0EEEvT1_,@function
_ZN7rocprim17ROCPRIM_400000_NS6detail17trampoline_kernelINS0_14default_configENS1_20scan_config_selectorIlEEZZNS1_9scan_implILNS1_25lookback_scan_determinismE0ELb0ELb0ES3_PlS8_lN6thrust23THRUST_200600_302600_NS4plusIvEElEEDaPvRmT3_T4_T5_mT6_P12ihipStream_tbENKUlT_T0_E_clISt17integral_constantIbLb1EESP_IbLb0EEEEDaSL_SM_EUlSL_E_NS1_11comp_targetILNS1_3genE0ELNS1_11target_archE4294967295ELNS1_3gpuE0ELNS1_3repE0EEENS1_30default_config_static_selectorELNS0_4arch9wavefront6targetE0EEEvT1_: ; @_ZN7rocprim17ROCPRIM_400000_NS6detail17trampoline_kernelINS0_14default_configENS1_20scan_config_selectorIlEEZZNS1_9scan_implILNS1_25lookback_scan_determinismE0ELb0ELb0ES3_PlS8_lN6thrust23THRUST_200600_302600_NS4plusIvEElEEDaPvRmT3_T4_T5_mT6_P12ihipStream_tbENKUlT_T0_E_clISt17integral_constantIbLb1EESP_IbLb0EEEEDaSL_SM_EUlSL_E_NS1_11comp_targetILNS1_3genE0ELNS1_11target_archE4294967295ELNS1_3gpuE0ELNS1_3repE0EEENS1_30default_config_static_selectorELNS0_4arch9wavefront6targetE0EEEvT1_
; %bb.0:
	s_endpgm
	.section	.rodata,"a",@progbits
	.p2align	6, 0x0
	.amdhsa_kernel _ZN7rocprim17ROCPRIM_400000_NS6detail17trampoline_kernelINS0_14default_configENS1_20scan_config_selectorIlEEZZNS1_9scan_implILNS1_25lookback_scan_determinismE0ELb0ELb0ES3_PlS8_lN6thrust23THRUST_200600_302600_NS4plusIvEElEEDaPvRmT3_T4_T5_mT6_P12ihipStream_tbENKUlT_T0_E_clISt17integral_constantIbLb1EESP_IbLb0EEEEDaSL_SM_EUlSL_E_NS1_11comp_targetILNS1_3genE0ELNS1_11target_archE4294967295ELNS1_3gpuE0ELNS1_3repE0EEENS1_30default_config_static_selectorELNS0_4arch9wavefront6targetE0EEEvT1_
		.amdhsa_group_segment_fixed_size 0
		.amdhsa_private_segment_fixed_size 0
		.amdhsa_kernarg_size 104
		.amdhsa_user_sgpr_count 2
		.amdhsa_user_sgpr_dispatch_ptr 0
		.amdhsa_user_sgpr_queue_ptr 0
		.amdhsa_user_sgpr_kernarg_segment_ptr 1
		.amdhsa_user_sgpr_dispatch_id 0
		.amdhsa_user_sgpr_kernarg_preload_length 0
		.amdhsa_user_sgpr_kernarg_preload_offset 0
		.amdhsa_user_sgpr_private_segment_size 0
		.amdhsa_wavefront_size32 1
		.amdhsa_uses_dynamic_stack 0
		.amdhsa_enable_private_segment 0
		.amdhsa_system_sgpr_workgroup_id_x 1
		.amdhsa_system_sgpr_workgroup_id_y 0
		.amdhsa_system_sgpr_workgroup_id_z 0
		.amdhsa_system_sgpr_workgroup_info 0
		.amdhsa_system_vgpr_workitem_id 0
		.amdhsa_next_free_vgpr 1
		.amdhsa_next_free_sgpr 1
		.amdhsa_named_barrier_count 0
		.amdhsa_reserve_vcc 0
		.amdhsa_float_round_mode_32 0
		.amdhsa_float_round_mode_16_64 0
		.amdhsa_float_denorm_mode_32 3
		.amdhsa_float_denorm_mode_16_64 3
		.amdhsa_fp16_overflow 0
		.amdhsa_memory_ordered 1
		.amdhsa_forward_progress 1
		.amdhsa_inst_pref_size 1
		.amdhsa_round_robin_scheduling 0
		.amdhsa_exception_fp_ieee_invalid_op 0
		.amdhsa_exception_fp_denorm_src 0
		.amdhsa_exception_fp_ieee_div_zero 0
		.amdhsa_exception_fp_ieee_overflow 0
		.amdhsa_exception_fp_ieee_underflow 0
		.amdhsa_exception_fp_ieee_inexact 0
		.amdhsa_exception_int_div_zero 0
	.end_amdhsa_kernel
	.section	.text._ZN7rocprim17ROCPRIM_400000_NS6detail17trampoline_kernelINS0_14default_configENS1_20scan_config_selectorIlEEZZNS1_9scan_implILNS1_25lookback_scan_determinismE0ELb0ELb0ES3_PlS8_lN6thrust23THRUST_200600_302600_NS4plusIvEElEEDaPvRmT3_T4_T5_mT6_P12ihipStream_tbENKUlT_T0_E_clISt17integral_constantIbLb1EESP_IbLb0EEEEDaSL_SM_EUlSL_E_NS1_11comp_targetILNS1_3genE0ELNS1_11target_archE4294967295ELNS1_3gpuE0ELNS1_3repE0EEENS1_30default_config_static_selectorELNS0_4arch9wavefront6targetE0EEEvT1_,"axG",@progbits,_ZN7rocprim17ROCPRIM_400000_NS6detail17trampoline_kernelINS0_14default_configENS1_20scan_config_selectorIlEEZZNS1_9scan_implILNS1_25lookback_scan_determinismE0ELb0ELb0ES3_PlS8_lN6thrust23THRUST_200600_302600_NS4plusIvEElEEDaPvRmT3_T4_T5_mT6_P12ihipStream_tbENKUlT_T0_E_clISt17integral_constantIbLb1EESP_IbLb0EEEEDaSL_SM_EUlSL_E_NS1_11comp_targetILNS1_3genE0ELNS1_11target_archE4294967295ELNS1_3gpuE0ELNS1_3repE0EEENS1_30default_config_static_selectorELNS0_4arch9wavefront6targetE0EEEvT1_,comdat
.Lfunc_end122:
	.size	_ZN7rocprim17ROCPRIM_400000_NS6detail17trampoline_kernelINS0_14default_configENS1_20scan_config_selectorIlEEZZNS1_9scan_implILNS1_25lookback_scan_determinismE0ELb0ELb0ES3_PlS8_lN6thrust23THRUST_200600_302600_NS4plusIvEElEEDaPvRmT3_T4_T5_mT6_P12ihipStream_tbENKUlT_T0_E_clISt17integral_constantIbLb1EESP_IbLb0EEEEDaSL_SM_EUlSL_E_NS1_11comp_targetILNS1_3genE0ELNS1_11target_archE4294967295ELNS1_3gpuE0ELNS1_3repE0EEENS1_30default_config_static_selectorELNS0_4arch9wavefront6targetE0EEEvT1_, .Lfunc_end122-_ZN7rocprim17ROCPRIM_400000_NS6detail17trampoline_kernelINS0_14default_configENS1_20scan_config_selectorIlEEZZNS1_9scan_implILNS1_25lookback_scan_determinismE0ELb0ELb0ES3_PlS8_lN6thrust23THRUST_200600_302600_NS4plusIvEElEEDaPvRmT3_T4_T5_mT6_P12ihipStream_tbENKUlT_T0_E_clISt17integral_constantIbLb1EESP_IbLb0EEEEDaSL_SM_EUlSL_E_NS1_11comp_targetILNS1_3genE0ELNS1_11target_archE4294967295ELNS1_3gpuE0ELNS1_3repE0EEENS1_30default_config_static_selectorELNS0_4arch9wavefront6targetE0EEEvT1_
                                        ; -- End function
	.set _ZN7rocprim17ROCPRIM_400000_NS6detail17trampoline_kernelINS0_14default_configENS1_20scan_config_selectorIlEEZZNS1_9scan_implILNS1_25lookback_scan_determinismE0ELb0ELb0ES3_PlS8_lN6thrust23THRUST_200600_302600_NS4plusIvEElEEDaPvRmT3_T4_T5_mT6_P12ihipStream_tbENKUlT_T0_E_clISt17integral_constantIbLb1EESP_IbLb0EEEEDaSL_SM_EUlSL_E_NS1_11comp_targetILNS1_3genE0ELNS1_11target_archE4294967295ELNS1_3gpuE0ELNS1_3repE0EEENS1_30default_config_static_selectorELNS0_4arch9wavefront6targetE0EEEvT1_.num_vgpr, 0
	.set _ZN7rocprim17ROCPRIM_400000_NS6detail17trampoline_kernelINS0_14default_configENS1_20scan_config_selectorIlEEZZNS1_9scan_implILNS1_25lookback_scan_determinismE0ELb0ELb0ES3_PlS8_lN6thrust23THRUST_200600_302600_NS4plusIvEElEEDaPvRmT3_T4_T5_mT6_P12ihipStream_tbENKUlT_T0_E_clISt17integral_constantIbLb1EESP_IbLb0EEEEDaSL_SM_EUlSL_E_NS1_11comp_targetILNS1_3genE0ELNS1_11target_archE4294967295ELNS1_3gpuE0ELNS1_3repE0EEENS1_30default_config_static_selectorELNS0_4arch9wavefront6targetE0EEEvT1_.num_agpr, 0
	.set _ZN7rocprim17ROCPRIM_400000_NS6detail17trampoline_kernelINS0_14default_configENS1_20scan_config_selectorIlEEZZNS1_9scan_implILNS1_25lookback_scan_determinismE0ELb0ELb0ES3_PlS8_lN6thrust23THRUST_200600_302600_NS4plusIvEElEEDaPvRmT3_T4_T5_mT6_P12ihipStream_tbENKUlT_T0_E_clISt17integral_constantIbLb1EESP_IbLb0EEEEDaSL_SM_EUlSL_E_NS1_11comp_targetILNS1_3genE0ELNS1_11target_archE4294967295ELNS1_3gpuE0ELNS1_3repE0EEENS1_30default_config_static_selectorELNS0_4arch9wavefront6targetE0EEEvT1_.numbered_sgpr, 0
	.set _ZN7rocprim17ROCPRIM_400000_NS6detail17trampoline_kernelINS0_14default_configENS1_20scan_config_selectorIlEEZZNS1_9scan_implILNS1_25lookback_scan_determinismE0ELb0ELb0ES3_PlS8_lN6thrust23THRUST_200600_302600_NS4plusIvEElEEDaPvRmT3_T4_T5_mT6_P12ihipStream_tbENKUlT_T0_E_clISt17integral_constantIbLb1EESP_IbLb0EEEEDaSL_SM_EUlSL_E_NS1_11comp_targetILNS1_3genE0ELNS1_11target_archE4294967295ELNS1_3gpuE0ELNS1_3repE0EEENS1_30default_config_static_selectorELNS0_4arch9wavefront6targetE0EEEvT1_.num_named_barrier, 0
	.set _ZN7rocprim17ROCPRIM_400000_NS6detail17trampoline_kernelINS0_14default_configENS1_20scan_config_selectorIlEEZZNS1_9scan_implILNS1_25lookback_scan_determinismE0ELb0ELb0ES3_PlS8_lN6thrust23THRUST_200600_302600_NS4plusIvEElEEDaPvRmT3_T4_T5_mT6_P12ihipStream_tbENKUlT_T0_E_clISt17integral_constantIbLb1EESP_IbLb0EEEEDaSL_SM_EUlSL_E_NS1_11comp_targetILNS1_3genE0ELNS1_11target_archE4294967295ELNS1_3gpuE0ELNS1_3repE0EEENS1_30default_config_static_selectorELNS0_4arch9wavefront6targetE0EEEvT1_.private_seg_size, 0
	.set _ZN7rocprim17ROCPRIM_400000_NS6detail17trampoline_kernelINS0_14default_configENS1_20scan_config_selectorIlEEZZNS1_9scan_implILNS1_25lookback_scan_determinismE0ELb0ELb0ES3_PlS8_lN6thrust23THRUST_200600_302600_NS4plusIvEElEEDaPvRmT3_T4_T5_mT6_P12ihipStream_tbENKUlT_T0_E_clISt17integral_constantIbLb1EESP_IbLb0EEEEDaSL_SM_EUlSL_E_NS1_11comp_targetILNS1_3genE0ELNS1_11target_archE4294967295ELNS1_3gpuE0ELNS1_3repE0EEENS1_30default_config_static_selectorELNS0_4arch9wavefront6targetE0EEEvT1_.uses_vcc, 0
	.set _ZN7rocprim17ROCPRIM_400000_NS6detail17trampoline_kernelINS0_14default_configENS1_20scan_config_selectorIlEEZZNS1_9scan_implILNS1_25lookback_scan_determinismE0ELb0ELb0ES3_PlS8_lN6thrust23THRUST_200600_302600_NS4plusIvEElEEDaPvRmT3_T4_T5_mT6_P12ihipStream_tbENKUlT_T0_E_clISt17integral_constantIbLb1EESP_IbLb0EEEEDaSL_SM_EUlSL_E_NS1_11comp_targetILNS1_3genE0ELNS1_11target_archE4294967295ELNS1_3gpuE0ELNS1_3repE0EEENS1_30default_config_static_selectorELNS0_4arch9wavefront6targetE0EEEvT1_.uses_flat_scratch, 0
	.set _ZN7rocprim17ROCPRIM_400000_NS6detail17trampoline_kernelINS0_14default_configENS1_20scan_config_selectorIlEEZZNS1_9scan_implILNS1_25lookback_scan_determinismE0ELb0ELb0ES3_PlS8_lN6thrust23THRUST_200600_302600_NS4plusIvEElEEDaPvRmT3_T4_T5_mT6_P12ihipStream_tbENKUlT_T0_E_clISt17integral_constantIbLb1EESP_IbLb0EEEEDaSL_SM_EUlSL_E_NS1_11comp_targetILNS1_3genE0ELNS1_11target_archE4294967295ELNS1_3gpuE0ELNS1_3repE0EEENS1_30default_config_static_selectorELNS0_4arch9wavefront6targetE0EEEvT1_.has_dyn_sized_stack, 0
	.set _ZN7rocprim17ROCPRIM_400000_NS6detail17trampoline_kernelINS0_14default_configENS1_20scan_config_selectorIlEEZZNS1_9scan_implILNS1_25lookback_scan_determinismE0ELb0ELb0ES3_PlS8_lN6thrust23THRUST_200600_302600_NS4plusIvEElEEDaPvRmT3_T4_T5_mT6_P12ihipStream_tbENKUlT_T0_E_clISt17integral_constantIbLb1EESP_IbLb0EEEEDaSL_SM_EUlSL_E_NS1_11comp_targetILNS1_3genE0ELNS1_11target_archE4294967295ELNS1_3gpuE0ELNS1_3repE0EEENS1_30default_config_static_selectorELNS0_4arch9wavefront6targetE0EEEvT1_.has_recursion, 0
	.set _ZN7rocprim17ROCPRIM_400000_NS6detail17trampoline_kernelINS0_14default_configENS1_20scan_config_selectorIlEEZZNS1_9scan_implILNS1_25lookback_scan_determinismE0ELb0ELb0ES3_PlS8_lN6thrust23THRUST_200600_302600_NS4plusIvEElEEDaPvRmT3_T4_T5_mT6_P12ihipStream_tbENKUlT_T0_E_clISt17integral_constantIbLb1EESP_IbLb0EEEEDaSL_SM_EUlSL_E_NS1_11comp_targetILNS1_3genE0ELNS1_11target_archE4294967295ELNS1_3gpuE0ELNS1_3repE0EEENS1_30default_config_static_selectorELNS0_4arch9wavefront6targetE0EEEvT1_.has_indirect_call, 0
	.section	.AMDGPU.csdata,"",@progbits
; Kernel info:
; codeLenInByte = 4
; TotalNumSgprs: 0
; NumVgprs: 0
; ScratchSize: 0
; MemoryBound: 0
; FloatMode: 240
; IeeeMode: 1
; LDSByteSize: 0 bytes/workgroup (compile time only)
; SGPRBlocks: 0
; VGPRBlocks: 0
; NumSGPRsForWavesPerEU: 1
; NumVGPRsForWavesPerEU: 1
; NamedBarCnt: 0
; Occupancy: 16
; WaveLimiterHint : 0
; COMPUTE_PGM_RSRC2:SCRATCH_EN: 0
; COMPUTE_PGM_RSRC2:USER_SGPR: 2
; COMPUTE_PGM_RSRC2:TRAP_HANDLER: 0
; COMPUTE_PGM_RSRC2:TGID_X_EN: 1
; COMPUTE_PGM_RSRC2:TGID_Y_EN: 0
; COMPUTE_PGM_RSRC2:TGID_Z_EN: 0
; COMPUTE_PGM_RSRC2:TIDIG_COMP_CNT: 0
	.section	.text._ZN7rocprim17ROCPRIM_400000_NS6detail17trampoline_kernelINS0_14default_configENS1_20scan_config_selectorIlEEZZNS1_9scan_implILNS1_25lookback_scan_determinismE0ELb0ELb0ES3_PlS8_lN6thrust23THRUST_200600_302600_NS4plusIvEElEEDaPvRmT3_T4_T5_mT6_P12ihipStream_tbENKUlT_T0_E_clISt17integral_constantIbLb1EESP_IbLb0EEEEDaSL_SM_EUlSL_E_NS1_11comp_targetILNS1_3genE5ELNS1_11target_archE942ELNS1_3gpuE9ELNS1_3repE0EEENS1_30default_config_static_selectorELNS0_4arch9wavefront6targetE0EEEvT1_,"axG",@progbits,_ZN7rocprim17ROCPRIM_400000_NS6detail17trampoline_kernelINS0_14default_configENS1_20scan_config_selectorIlEEZZNS1_9scan_implILNS1_25lookback_scan_determinismE0ELb0ELb0ES3_PlS8_lN6thrust23THRUST_200600_302600_NS4plusIvEElEEDaPvRmT3_T4_T5_mT6_P12ihipStream_tbENKUlT_T0_E_clISt17integral_constantIbLb1EESP_IbLb0EEEEDaSL_SM_EUlSL_E_NS1_11comp_targetILNS1_3genE5ELNS1_11target_archE942ELNS1_3gpuE9ELNS1_3repE0EEENS1_30default_config_static_selectorELNS0_4arch9wavefront6targetE0EEEvT1_,comdat
	.protected	_ZN7rocprim17ROCPRIM_400000_NS6detail17trampoline_kernelINS0_14default_configENS1_20scan_config_selectorIlEEZZNS1_9scan_implILNS1_25lookback_scan_determinismE0ELb0ELb0ES3_PlS8_lN6thrust23THRUST_200600_302600_NS4plusIvEElEEDaPvRmT3_T4_T5_mT6_P12ihipStream_tbENKUlT_T0_E_clISt17integral_constantIbLb1EESP_IbLb0EEEEDaSL_SM_EUlSL_E_NS1_11comp_targetILNS1_3genE5ELNS1_11target_archE942ELNS1_3gpuE9ELNS1_3repE0EEENS1_30default_config_static_selectorELNS0_4arch9wavefront6targetE0EEEvT1_ ; -- Begin function _ZN7rocprim17ROCPRIM_400000_NS6detail17trampoline_kernelINS0_14default_configENS1_20scan_config_selectorIlEEZZNS1_9scan_implILNS1_25lookback_scan_determinismE0ELb0ELb0ES3_PlS8_lN6thrust23THRUST_200600_302600_NS4plusIvEElEEDaPvRmT3_T4_T5_mT6_P12ihipStream_tbENKUlT_T0_E_clISt17integral_constantIbLb1EESP_IbLb0EEEEDaSL_SM_EUlSL_E_NS1_11comp_targetILNS1_3genE5ELNS1_11target_archE942ELNS1_3gpuE9ELNS1_3repE0EEENS1_30default_config_static_selectorELNS0_4arch9wavefront6targetE0EEEvT1_
	.globl	_ZN7rocprim17ROCPRIM_400000_NS6detail17trampoline_kernelINS0_14default_configENS1_20scan_config_selectorIlEEZZNS1_9scan_implILNS1_25lookback_scan_determinismE0ELb0ELb0ES3_PlS8_lN6thrust23THRUST_200600_302600_NS4plusIvEElEEDaPvRmT3_T4_T5_mT6_P12ihipStream_tbENKUlT_T0_E_clISt17integral_constantIbLb1EESP_IbLb0EEEEDaSL_SM_EUlSL_E_NS1_11comp_targetILNS1_3genE5ELNS1_11target_archE942ELNS1_3gpuE9ELNS1_3repE0EEENS1_30default_config_static_selectorELNS0_4arch9wavefront6targetE0EEEvT1_
	.p2align	8
	.type	_ZN7rocprim17ROCPRIM_400000_NS6detail17trampoline_kernelINS0_14default_configENS1_20scan_config_selectorIlEEZZNS1_9scan_implILNS1_25lookback_scan_determinismE0ELb0ELb0ES3_PlS8_lN6thrust23THRUST_200600_302600_NS4plusIvEElEEDaPvRmT3_T4_T5_mT6_P12ihipStream_tbENKUlT_T0_E_clISt17integral_constantIbLb1EESP_IbLb0EEEEDaSL_SM_EUlSL_E_NS1_11comp_targetILNS1_3genE5ELNS1_11target_archE942ELNS1_3gpuE9ELNS1_3repE0EEENS1_30default_config_static_selectorELNS0_4arch9wavefront6targetE0EEEvT1_,@function
_ZN7rocprim17ROCPRIM_400000_NS6detail17trampoline_kernelINS0_14default_configENS1_20scan_config_selectorIlEEZZNS1_9scan_implILNS1_25lookback_scan_determinismE0ELb0ELb0ES3_PlS8_lN6thrust23THRUST_200600_302600_NS4plusIvEElEEDaPvRmT3_T4_T5_mT6_P12ihipStream_tbENKUlT_T0_E_clISt17integral_constantIbLb1EESP_IbLb0EEEEDaSL_SM_EUlSL_E_NS1_11comp_targetILNS1_3genE5ELNS1_11target_archE942ELNS1_3gpuE9ELNS1_3repE0EEENS1_30default_config_static_selectorELNS0_4arch9wavefront6targetE0EEEvT1_: ; @_ZN7rocprim17ROCPRIM_400000_NS6detail17trampoline_kernelINS0_14default_configENS1_20scan_config_selectorIlEEZZNS1_9scan_implILNS1_25lookback_scan_determinismE0ELb0ELb0ES3_PlS8_lN6thrust23THRUST_200600_302600_NS4plusIvEElEEDaPvRmT3_T4_T5_mT6_P12ihipStream_tbENKUlT_T0_E_clISt17integral_constantIbLb1EESP_IbLb0EEEEDaSL_SM_EUlSL_E_NS1_11comp_targetILNS1_3genE5ELNS1_11target_archE942ELNS1_3gpuE9ELNS1_3repE0EEENS1_30default_config_static_selectorELNS0_4arch9wavefront6targetE0EEEvT1_
; %bb.0:
	.section	.rodata,"a",@progbits
	.p2align	6, 0x0
	.amdhsa_kernel _ZN7rocprim17ROCPRIM_400000_NS6detail17trampoline_kernelINS0_14default_configENS1_20scan_config_selectorIlEEZZNS1_9scan_implILNS1_25lookback_scan_determinismE0ELb0ELb0ES3_PlS8_lN6thrust23THRUST_200600_302600_NS4plusIvEElEEDaPvRmT3_T4_T5_mT6_P12ihipStream_tbENKUlT_T0_E_clISt17integral_constantIbLb1EESP_IbLb0EEEEDaSL_SM_EUlSL_E_NS1_11comp_targetILNS1_3genE5ELNS1_11target_archE942ELNS1_3gpuE9ELNS1_3repE0EEENS1_30default_config_static_selectorELNS0_4arch9wavefront6targetE0EEEvT1_
		.amdhsa_group_segment_fixed_size 0
		.amdhsa_private_segment_fixed_size 0
		.amdhsa_kernarg_size 104
		.amdhsa_user_sgpr_count 2
		.amdhsa_user_sgpr_dispatch_ptr 0
		.amdhsa_user_sgpr_queue_ptr 0
		.amdhsa_user_sgpr_kernarg_segment_ptr 1
		.amdhsa_user_sgpr_dispatch_id 0
		.amdhsa_user_sgpr_kernarg_preload_length 0
		.amdhsa_user_sgpr_kernarg_preload_offset 0
		.amdhsa_user_sgpr_private_segment_size 0
		.amdhsa_wavefront_size32 1
		.amdhsa_uses_dynamic_stack 0
		.amdhsa_enable_private_segment 0
		.amdhsa_system_sgpr_workgroup_id_x 1
		.amdhsa_system_sgpr_workgroup_id_y 0
		.amdhsa_system_sgpr_workgroup_id_z 0
		.amdhsa_system_sgpr_workgroup_info 0
		.amdhsa_system_vgpr_workitem_id 0
		.amdhsa_next_free_vgpr 1
		.amdhsa_next_free_sgpr 1
		.amdhsa_named_barrier_count 0
		.amdhsa_reserve_vcc 0
		.amdhsa_float_round_mode_32 0
		.amdhsa_float_round_mode_16_64 0
		.amdhsa_float_denorm_mode_32 3
		.amdhsa_float_denorm_mode_16_64 3
		.amdhsa_fp16_overflow 0
		.amdhsa_memory_ordered 1
		.amdhsa_forward_progress 1
		.amdhsa_inst_pref_size 0
		.amdhsa_round_robin_scheduling 0
		.amdhsa_exception_fp_ieee_invalid_op 0
		.amdhsa_exception_fp_denorm_src 0
		.amdhsa_exception_fp_ieee_div_zero 0
		.amdhsa_exception_fp_ieee_overflow 0
		.amdhsa_exception_fp_ieee_underflow 0
		.amdhsa_exception_fp_ieee_inexact 0
		.amdhsa_exception_int_div_zero 0
	.end_amdhsa_kernel
	.section	.text._ZN7rocprim17ROCPRIM_400000_NS6detail17trampoline_kernelINS0_14default_configENS1_20scan_config_selectorIlEEZZNS1_9scan_implILNS1_25lookback_scan_determinismE0ELb0ELb0ES3_PlS8_lN6thrust23THRUST_200600_302600_NS4plusIvEElEEDaPvRmT3_T4_T5_mT6_P12ihipStream_tbENKUlT_T0_E_clISt17integral_constantIbLb1EESP_IbLb0EEEEDaSL_SM_EUlSL_E_NS1_11comp_targetILNS1_3genE5ELNS1_11target_archE942ELNS1_3gpuE9ELNS1_3repE0EEENS1_30default_config_static_selectorELNS0_4arch9wavefront6targetE0EEEvT1_,"axG",@progbits,_ZN7rocprim17ROCPRIM_400000_NS6detail17trampoline_kernelINS0_14default_configENS1_20scan_config_selectorIlEEZZNS1_9scan_implILNS1_25lookback_scan_determinismE0ELb0ELb0ES3_PlS8_lN6thrust23THRUST_200600_302600_NS4plusIvEElEEDaPvRmT3_T4_T5_mT6_P12ihipStream_tbENKUlT_T0_E_clISt17integral_constantIbLb1EESP_IbLb0EEEEDaSL_SM_EUlSL_E_NS1_11comp_targetILNS1_3genE5ELNS1_11target_archE942ELNS1_3gpuE9ELNS1_3repE0EEENS1_30default_config_static_selectorELNS0_4arch9wavefront6targetE0EEEvT1_,comdat
.Lfunc_end123:
	.size	_ZN7rocprim17ROCPRIM_400000_NS6detail17trampoline_kernelINS0_14default_configENS1_20scan_config_selectorIlEEZZNS1_9scan_implILNS1_25lookback_scan_determinismE0ELb0ELb0ES3_PlS8_lN6thrust23THRUST_200600_302600_NS4plusIvEElEEDaPvRmT3_T4_T5_mT6_P12ihipStream_tbENKUlT_T0_E_clISt17integral_constantIbLb1EESP_IbLb0EEEEDaSL_SM_EUlSL_E_NS1_11comp_targetILNS1_3genE5ELNS1_11target_archE942ELNS1_3gpuE9ELNS1_3repE0EEENS1_30default_config_static_selectorELNS0_4arch9wavefront6targetE0EEEvT1_, .Lfunc_end123-_ZN7rocprim17ROCPRIM_400000_NS6detail17trampoline_kernelINS0_14default_configENS1_20scan_config_selectorIlEEZZNS1_9scan_implILNS1_25lookback_scan_determinismE0ELb0ELb0ES3_PlS8_lN6thrust23THRUST_200600_302600_NS4plusIvEElEEDaPvRmT3_T4_T5_mT6_P12ihipStream_tbENKUlT_T0_E_clISt17integral_constantIbLb1EESP_IbLb0EEEEDaSL_SM_EUlSL_E_NS1_11comp_targetILNS1_3genE5ELNS1_11target_archE942ELNS1_3gpuE9ELNS1_3repE0EEENS1_30default_config_static_selectorELNS0_4arch9wavefront6targetE0EEEvT1_
                                        ; -- End function
	.set _ZN7rocprim17ROCPRIM_400000_NS6detail17trampoline_kernelINS0_14default_configENS1_20scan_config_selectorIlEEZZNS1_9scan_implILNS1_25lookback_scan_determinismE0ELb0ELb0ES3_PlS8_lN6thrust23THRUST_200600_302600_NS4plusIvEElEEDaPvRmT3_T4_T5_mT6_P12ihipStream_tbENKUlT_T0_E_clISt17integral_constantIbLb1EESP_IbLb0EEEEDaSL_SM_EUlSL_E_NS1_11comp_targetILNS1_3genE5ELNS1_11target_archE942ELNS1_3gpuE9ELNS1_3repE0EEENS1_30default_config_static_selectorELNS0_4arch9wavefront6targetE0EEEvT1_.num_vgpr, 0
	.set _ZN7rocprim17ROCPRIM_400000_NS6detail17trampoline_kernelINS0_14default_configENS1_20scan_config_selectorIlEEZZNS1_9scan_implILNS1_25lookback_scan_determinismE0ELb0ELb0ES3_PlS8_lN6thrust23THRUST_200600_302600_NS4plusIvEElEEDaPvRmT3_T4_T5_mT6_P12ihipStream_tbENKUlT_T0_E_clISt17integral_constantIbLb1EESP_IbLb0EEEEDaSL_SM_EUlSL_E_NS1_11comp_targetILNS1_3genE5ELNS1_11target_archE942ELNS1_3gpuE9ELNS1_3repE0EEENS1_30default_config_static_selectorELNS0_4arch9wavefront6targetE0EEEvT1_.num_agpr, 0
	.set _ZN7rocprim17ROCPRIM_400000_NS6detail17trampoline_kernelINS0_14default_configENS1_20scan_config_selectorIlEEZZNS1_9scan_implILNS1_25lookback_scan_determinismE0ELb0ELb0ES3_PlS8_lN6thrust23THRUST_200600_302600_NS4plusIvEElEEDaPvRmT3_T4_T5_mT6_P12ihipStream_tbENKUlT_T0_E_clISt17integral_constantIbLb1EESP_IbLb0EEEEDaSL_SM_EUlSL_E_NS1_11comp_targetILNS1_3genE5ELNS1_11target_archE942ELNS1_3gpuE9ELNS1_3repE0EEENS1_30default_config_static_selectorELNS0_4arch9wavefront6targetE0EEEvT1_.numbered_sgpr, 0
	.set _ZN7rocprim17ROCPRIM_400000_NS6detail17trampoline_kernelINS0_14default_configENS1_20scan_config_selectorIlEEZZNS1_9scan_implILNS1_25lookback_scan_determinismE0ELb0ELb0ES3_PlS8_lN6thrust23THRUST_200600_302600_NS4plusIvEElEEDaPvRmT3_T4_T5_mT6_P12ihipStream_tbENKUlT_T0_E_clISt17integral_constantIbLb1EESP_IbLb0EEEEDaSL_SM_EUlSL_E_NS1_11comp_targetILNS1_3genE5ELNS1_11target_archE942ELNS1_3gpuE9ELNS1_3repE0EEENS1_30default_config_static_selectorELNS0_4arch9wavefront6targetE0EEEvT1_.num_named_barrier, 0
	.set _ZN7rocprim17ROCPRIM_400000_NS6detail17trampoline_kernelINS0_14default_configENS1_20scan_config_selectorIlEEZZNS1_9scan_implILNS1_25lookback_scan_determinismE0ELb0ELb0ES3_PlS8_lN6thrust23THRUST_200600_302600_NS4plusIvEElEEDaPvRmT3_T4_T5_mT6_P12ihipStream_tbENKUlT_T0_E_clISt17integral_constantIbLb1EESP_IbLb0EEEEDaSL_SM_EUlSL_E_NS1_11comp_targetILNS1_3genE5ELNS1_11target_archE942ELNS1_3gpuE9ELNS1_3repE0EEENS1_30default_config_static_selectorELNS0_4arch9wavefront6targetE0EEEvT1_.private_seg_size, 0
	.set _ZN7rocprim17ROCPRIM_400000_NS6detail17trampoline_kernelINS0_14default_configENS1_20scan_config_selectorIlEEZZNS1_9scan_implILNS1_25lookback_scan_determinismE0ELb0ELb0ES3_PlS8_lN6thrust23THRUST_200600_302600_NS4plusIvEElEEDaPvRmT3_T4_T5_mT6_P12ihipStream_tbENKUlT_T0_E_clISt17integral_constantIbLb1EESP_IbLb0EEEEDaSL_SM_EUlSL_E_NS1_11comp_targetILNS1_3genE5ELNS1_11target_archE942ELNS1_3gpuE9ELNS1_3repE0EEENS1_30default_config_static_selectorELNS0_4arch9wavefront6targetE0EEEvT1_.uses_vcc, 0
	.set _ZN7rocprim17ROCPRIM_400000_NS6detail17trampoline_kernelINS0_14default_configENS1_20scan_config_selectorIlEEZZNS1_9scan_implILNS1_25lookback_scan_determinismE0ELb0ELb0ES3_PlS8_lN6thrust23THRUST_200600_302600_NS4plusIvEElEEDaPvRmT3_T4_T5_mT6_P12ihipStream_tbENKUlT_T0_E_clISt17integral_constantIbLb1EESP_IbLb0EEEEDaSL_SM_EUlSL_E_NS1_11comp_targetILNS1_3genE5ELNS1_11target_archE942ELNS1_3gpuE9ELNS1_3repE0EEENS1_30default_config_static_selectorELNS0_4arch9wavefront6targetE0EEEvT1_.uses_flat_scratch, 0
	.set _ZN7rocprim17ROCPRIM_400000_NS6detail17trampoline_kernelINS0_14default_configENS1_20scan_config_selectorIlEEZZNS1_9scan_implILNS1_25lookback_scan_determinismE0ELb0ELb0ES3_PlS8_lN6thrust23THRUST_200600_302600_NS4plusIvEElEEDaPvRmT3_T4_T5_mT6_P12ihipStream_tbENKUlT_T0_E_clISt17integral_constantIbLb1EESP_IbLb0EEEEDaSL_SM_EUlSL_E_NS1_11comp_targetILNS1_3genE5ELNS1_11target_archE942ELNS1_3gpuE9ELNS1_3repE0EEENS1_30default_config_static_selectorELNS0_4arch9wavefront6targetE0EEEvT1_.has_dyn_sized_stack, 0
	.set _ZN7rocprim17ROCPRIM_400000_NS6detail17trampoline_kernelINS0_14default_configENS1_20scan_config_selectorIlEEZZNS1_9scan_implILNS1_25lookback_scan_determinismE0ELb0ELb0ES3_PlS8_lN6thrust23THRUST_200600_302600_NS4plusIvEElEEDaPvRmT3_T4_T5_mT6_P12ihipStream_tbENKUlT_T0_E_clISt17integral_constantIbLb1EESP_IbLb0EEEEDaSL_SM_EUlSL_E_NS1_11comp_targetILNS1_3genE5ELNS1_11target_archE942ELNS1_3gpuE9ELNS1_3repE0EEENS1_30default_config_static_selectorELNS0_4arch9wavefront6targetE0EEEvT1_.has_recursion, 0
	.set _ZN7rocprim17ROCPRIM_400000_NS6detail17trampoline_kernelINS0_14default_configENS1_20scan_config_selectorIlEEZZNS1_9scan_implILNS1_25lookback_scan_determinismE0ELb0ELb0ES3_PlS8_lN6thrust23THRUST_200600_302600_NS4plusIvEElEEDaPvRmT3_T4_T5_mT6_P12ihipStream_tbENKUlT_T0_E_clISt17integral_constantIbLb1EESP_IbLb0EEEEDaSL_SM_EUlSL_E_NS1_11comp_targetILNS1_3genE5ELNS1_11target_archE942ELNS1_3gpuE9ELNS1_3repE0EEENS1_30default_config_static_selectorELNS0_4arch9wavefront6targetE0EEEvT1_.has_indirect_call, 0
	.section	.AMDGPU.csdata,"",@progbits
; Kernel info:
; codeLenInByte = 0
; TotalNumSgprs: 0
; NumVgprs: 0
; ScratchSize: 0
; MemoryBound: 0
; FloatMode: 240
; IeeeMode: 1
; LDSByteSize: 0 bytes/workgroup (compile time only)
; SGPRBlocks: 0
; VGPRBlocks: 0
; NumSGPRsForWavesPerEU: 1
; NumVGPRsForWavesPerEU: 1
; NamedBarCnt: 0
; Occupancy: 16
; WaveLimiterHint : 0
; COMPUTE_PGM_RSRC2:SCRATCH_EN: 0
; COMPUTE_PGM_RSRC2:USER_SGPR: 2
; COMPUTE_PGM_RSRC2:TRAP_HANDLER: 0
; COMPUTE_PGM_RSRC2:TGID_X_EN: 1
; COMPUTE_PGM_RSRC2:TGID_Y_EN: 0
; COMPUTE_PGM_RSRC2:TGID_Z_EN: 0
; COMPUTE_PGM_RSRC2:TIDIG_COMP_CNT: 0
	.section	.text._ZN7rocprim17ROCPRIM_400000_NS6detail17trampoline_kernelINS0_14default_configENS1_20scan_config_selectorIlEEZZNS1_9scan_implILNS1_25lookback_scan_determinismE0ELb0ELb0ES3_PlS8_lN6thrust23THRUST_200600_302600_NS4plusIvEElEEDaPvRmT3_T4_T5_mT6_P12ihipStream_tbENKUlT_T0_E_clISt17integral_constantIbLb1EESP_IbLb0EEEEDaSL_SM_EUlSL_E_NS1_11comp_targetILNS1_3genE4ELNS1_11target_archE910ELNS1_3gpuE8ELNS1_3repE0EEENS1_30default_config_static_selectorELNS0_4arch9wavefront6targetE0EEEvT1_,"axG",@progbits,_ZN7rocprim17ROCPRIM_400000_NS6detail17trampoline_kernelINS0_14default_configENS1_20scan_config_selectorIlEEZZNS1_9scan_implILNS1_25lookback_scan_determinismE0ELb0ELb0ES3_PlS8_lN6thrust23THRUST_200600_302600_NS4plusIvEElEEDaPvRmT3_T4_T5_mT6_P12ihipStream_tbENKUlT_T0_E_clISt17integral_constantIbLb1EESP_IbLb0EEEEDaSL_SM_EUlSL_E_NS1_11comp_targetILNS1_3genE4ELNS1_11target_archE910ELNS1_3gpuE8ELNS1_3repE0EEENS1_30default_config_static_selectorELNS0_4arch9wavefront6targetE0EEEvT1_,comdat
	.protected	_ZN7rocprim17ROCPRIM_400000_NS6detail17trampoline_kernelINS0_14default_configENS1_20scan_config_selectorIlEEZZNS1_9scan_implILNS1_25lookback_scan_determinismE0ELb0ELb0ES3_PlS8_lN6thrust23THRUST_200600_302600_NS4plusIvEElEEDaPvRmT3_T4_T5_mT6_P12ihipStream_tbENKUlT_T0_E_clISt17integral_constantIbLb1EESP_IbLb0EEEEDaSL_SM_EUlSL_E_NS1_11comp_targetILNS1_3genE4ELNS1_11target_archE910ELNS1_3gpuE8ELNS1_3repE0EEENS1_30default_config_static_selectorELNS0_4arch9wavefront6targetE0EEEvT1_ ; -- Begin function _ZN7rocprim17ROCPRIM_400000_NS6detail17trampoline_kernelINS0_14default_configENS1_20scan_config_selectorIlEEZZNS1_9scan_implILNS1_25lookback_scan_determinismE0ELb0ELb0ES3_PlS8_lN6thrust23THRUST_200600_302600_NS4plusIvEElEEDaPvRmT3_T4_T5_mT6_P12ihipStream_tbENKUlT_T0_E_clISt17integral_constantIbLb1EESP_IbLb0EEEEDaSL_SM_EUlSL_E_NS1_11comp_targetILNS1_3genE4ELNS1_11target_archE910ELNS1_3gpuE8ELNS1_3repE0EEENS1_30default_config_static_selectorELNS0_4arch9wavefront6targetE0EEEvT1_
	.globl	_ZN7rocprim17ROCPRIM_400000_NS6detail17trampoline_kernelINS0_14default_configENS1_20scan_config_selectorIlEEZZNS1_9scan_implILNS1_25lookback_scan_determinismE0ELb0ELb0ES3_PlS8_lN6thrust23THRUST_200600_302600_NS4plusIvEElEEDaPvRmT3_T4_T5_mT6_P12ihipStream_tbENKUlT_T0_E_clISt17integral_constantIbLb1EESP_IbLb0EEEEDaSL_SM_EUlSL_E_NS1_11comp_targetILNS1_3genE4ELNS1_11target_archE910ELNS1_3gpuE8ELNS1_3repE0EEENS1_30default_config_static_selectorELNS0_4arch9wavefront6targetE0EEEvT1_
	.p2align	8
	.type	_ZN7rocprim17ROCPRIM_400000_NS6detail17trampoline_kernelINS0_14default_configENS1_20scan_config_selectorIlEEZZNS1_9scan_implILNS1_25lookback_scan_determinismE0ELb0ELb0ES3_PlS8_lN6thrust23THRUST_200600_302600_NS4plusIvEElEEDaPvRmT3_T4_T5_mT6_P12ihipStream_tbENKUlT_T0_E_clISt17integral_constantIbLb1EESP_IbLb0EEEEDaSL_SM_EUlSL_E_NS1_11comp_targetILNS1_3genE4ELNS1_11target_archE910ELNS1_3gpuE8ELNS1_3repE0EEENS1_30default_config_static_selectorELNS0_4arch9wavefront6targetE0EEEvT1_,@function
_ZN7rocprim17ROCPRIM_400000_NS6detail17trampoline_kernelINS0_14default_configENS1_20scan_config_selectorIlEEZZNS1_9scan_implILNS1_25lookback_scan_determinismE0ELb0ELb0ES3_PlS8_lN6thrust23THRUST_200600_302600_NS4plusIvEElEEDaPvRmT3_T4_T5_mT6_P12ihipStream_tbENKUlT_T0_E_clISt17integral_constantIbLb1EESP_IbLb0EEEEDaSL_SM_EUlSL_E_NS1_11comp_targetILNS1_3genE4ELNS1_11target_archE910ELNS1_3gpuE8ELNS1_3repE0EEENS1_30default_config_static_selectorELNS0_4arch9wavefront6targetE0EEEvT1_: ; @_ZN7rocprim17ROCPRIM_400000_NS6detail17trampoline_kernelINS0_14default_configENS1_20scan_config_selectorIlEEZZNS1_9scan_implILNS1_25lookback_scan_determinismE0ELb0ELb0ES3_PlS8_lN6thrust23THRUST_200600_302600_NS4plusIvEElEEDaPvRmT3_T4_T5_mT6_P12ihipStream_tbENKUlT_T0_E_clISt17integral_constantIbLb1EESP_IbLb0EEEEDaSL_SM_EUlSL_E_NS1_11comp_targetILNS1_3genE4ELNS1_11target_archE910ELNS1_3gpuE8ELNS1_3repE0EEENS1_30default_config_static_selectorELNS0_4arch9wavefront6targetE0EEEvT1_
; %bb.0:
	.section	.rodata,"a",@progbits
	.p2align	6, 0x0
	.amdhsa_kernel _ZN7rocprim17ROCPRIM_400000_NS6detail17trampoline_kernelINS0_14default_configENS1_20scan_config_selectorIlEEZZNS1_9scan_implILNS1_25lookback_scan_determinismE0ELb0ELb0ES3_PlS8_lN6thrust23THRUST_200600_302600_NS4plusIvEElEEDaPvRmT3_T4_T5_mT6_P12ihipStream_tbENKUlT_T0_E_clISt17integral_constantIbLb1EESP_IbLb0EEEEDaSL_SM_EUlSL_E_NS1_11comp_targetILNS1_3genE4ELNS1_11target_archE910ELNS1_3gpuE8ELNS1_3repE0EEENS1_30default_config_static_selectorELNS0_4arch9wavefront6targetE0EEEvT1_
		.amdhsa_group_segment_fixed_size 0
		.amdhsa_private_segment_fixed_size 0
		.amdhsa_kernarg_size 104
		.amdhsa_user_sgpr_count 2
		.amdhsa_user_sgpr_dispatch_ptr 0
		.amdhsa_user_sgpr_queue_ptr 0
		.amdhsa_user_sgpr_kernarg_segment_ptr 1
		.amdhsa_user_sgpr_dispatch_id 0
		.amdhsa_user_sgpr_kernarg_preload_length 0
		.amdhsa_user_sgpr_kernarg_preload_offset 0
		.amdhsa_user_sgpr_private_segment_size 0
		.amdhsa_wavefront_size32 1
		.amdhsa_uses_dynamic_stack 0
		.amdhsa_enable_private_segment 0
		.amdhsa_system_sgpr_workgroup_id_x 1
		.amdhsa_system_sgpr_workgroup_id_y 0
		.amdhsa_system_sgpr_workgroup_id_z 0
		.amdhsa_system_sgpr_workgroup_info 0
		.amdhsa_system_vgpr_workitem_id 0
		.amdhsa_next_free_vgpr 1
		.amdhsa_next_free_sgpr 1
		.amdhsa_named_barrier_count 0
		.amdhsa_reserve_vcc 0
		.amdhsa_float_round_mode_32 0
		.amdhsa_float_round_mode_16_64 0
		.amdhsa_float_denorm_mode_32 3
		.amdhsa_float_denorm_mode_16_64 3
		.amdhsa_fp16_overflow 0
		.amdhsa_memory_ordered 1
		.amdhsa_forward_progress 1
		.amdhsa_inst_pref_size 0
		.amdhsa_round_robin_scheduling 0
		.amdhsa_exception_fp_ieee_invalid_op 0
		.amdhsa_exception_fp_denorm_src 0
		.amdhsa_exception_fp_ieee_div_zero 0
		.amdhsa_exception_fp_ieee_overflow 0
		.amdhsa_exception_fp_ieee_underflow 0
		.amdhsa_exception_fp_ieee_inexact 0
		.amdhsa_exception_int_div_zero 0
	.end_amdhsa_kernel
	.section	.text._ZN7rocprim17ROCPRIM_400000_NS6detail17trampoline_kernelINS0_14default_configENS1_20scan_config_selectorIlEEZZNS1_9scan_implILNS1_25lookback_scan_determinismE0ELb0ELb0ES3_PlS8_lN6thrust23THRUST_200600_302600_NS4plusIvEElEEDaPvRmT3_T4_T5_mT6_P12ihipStream_tbENKUlT_T0_E_clISt17integral_constantIbLb1EESP_IbLb0EEEEDaSL_SM_EUlSL_E_NS1_11comp_targetILNS1_3genE4ELNS1_11target_archE910ELNS1_3gpuE8ELNS1_3repE0EEENS1_30default_config_static_selectorELNS0_4arch9wavefront6targetE0EEEvT1_,"axG",@progbits,_ZN7rocprim17ROCPRIM_400000_NS6detail17trampoline_kernelINS0_14default_configENS1_20scan_config_selectorIlEEZZNS1_9scan_implILNS1_25lookback_scan_determinismE0ELb0ELb0ES3_PlS8_lN6thrust23THRUST_200600_302600_NS4plusIvEElEEDaPvRmT3_T4_T5_mT6_P12ihipStream_tbENKUlT_T0_E_clISt17integral_constantIbLb1EESP_IbLb0EEEEDaSL_SM_EUlSL_E_NS1_11comp_targetILNS1_3genE4ELNS1_11target_archE910ELNS1_3gpuE8ELNS1_3repE0EEENS1_30default_config_static_selectorELNS0_4arch9wavefront6targetE0EEEvT1_,comdat
.Lfunc_end124:
	.size	_ZN7rocprim17ROCPRIM_400000_NS6detail17trampoline_kernelINS0_14default_configENS1_20scan_config_selectorIlEEZZNS1_9scan_implILNS1_25lookback_scan_determinismE0ELb0ELb0ES3_PlS8_lN6thrust23THRUST_200600_302600_NS4plusIvEElEEDaPvRmT3_T4_T5_mT6_P12ihipStream_tbENKUlT_T0_E_clISt17integral_constantIbLb1EESP_IbLb0EEEEDaSL_SM_EUlSL_E_NS1_11comp_targetILNS1_3genE4ELNS1_11target_archE910ELNS1_3gpuE8ELNS1_3repE0EEENS1_30default_config_static_selectorELNS0_4arch9wavefront6targetE0EEEvT1_, .Lfunc_end124-_ZN7rocprim17ROCPRIM_400000_NS6detail17trampoline_kernelINS0_14default_configENS1_20scan_config_selectorIlEEZZNS1_9scan_implILNS1_25lookback_scan_determinismE0ELb0ELb0ES3_PlS8_lN6thrust23THRUST_200600_302600_NS4plusIvEElEEDaPvRmT3_T4_T5_mT6_P12ihipStream_tbENKUlT_T0_E_clISt17integral_constantIbLb1EESP_IbLb0EEEEDaSL_SM_EUlSL_E_NS1_11comp_targetILNS1_3genE4ELNS1_11target_archE910ELNS1_3gpuE8ELNS1_3repE0EEENS1_30default_config_static_selectorELNS0_4arch9wavefront6targetE0EEEvT1_
                                        ; -- End function
	.set _ZN7rocprim17ROCPRIM_400000_NS6detail17trampoline_kernelINS0_14default_configENS1_20scan_config_selectorIlEEZZNS1_9scan_implILNS1_25lookback_scan_determinismE0ELb0ELb0ES3_PlS8_lN6thrust23THRUST_200600_302600_NS4plusIvEElEEDaPvRmT3_T4_T5_mT6_P12ihipStream_tbENKUlT_T0_E_clISt17integral_constantIbLb1EESP_IbLb0EEEEDaSL_SM_EUlSL_E_NS1_11comp_targetILNS1_3genE4ELNS1_11target_archE910ELNS1_3gpuE8ELNS1_3repE0EEENS1_30default_config_static_selectorELNS0_4arch9wavefront6targetE0EEEvT1_.num_vgpr, 0
	.set _ZN7rocprim17ROCPRIM_400000_NS6detail17trampoline_kernelINS0_14default_configENS1_20scan_config_selectorIlEEZZNS1_9scan_implILNS1_25lookback_scan_determinismE0ELb0ELb0ES3_PlS8_lN6thrust23THRUST_200600_302600_NS4plusIvEElEEDaPvRmT3_T4_T5_mT6_P12ihipStream_tbENKUlT_T0_E_clISt17integral_constantIbLb1EESP_IbLb0EEEEDaSL_SM_EUlSL_E_NS1_11comp_targetILNS1_3genE4ELNS1_11target_archE910ELNS1_3gpuE8ELNS1_3repE0EEENS1_30default_config_static_selectorELNS0_4arch9wavefront6targetE0EEEvT1_.num_agpr, 0
	.set _ZN7rocprim17ROCPRIM_400000_NS6detail17trampoline_kernelINS0_14default_configENS1_20scan_config_selectorIlEEZZNS1_9scan_implILNS1_25lookback_scan_determinismE0ELb0ELb0ES3_PlS8_lN6thrust23THRUST_200600_302600_NS4plusIvEElEEDaPvRmT3_T4_T5_mT6_P12ihipStream_tbENKUlT_T0_E_clISt17integral_constantIbLb1EESP_IbLb0EEEEDaSL_SM_EUlSL_E_NS1_11comp_targetILNS1_3genE4ELNS1_11target_archE910ELNS1_3gpuE8ELNS1_3repE0EEENS1_30default_config_static_selectorELNS0_4arch9wavefront6targetE0EEEvT1_.numbered_sgpr, 0
	.set _ZN7rocprim17ROCPRIM_400000_NS6detail17trampoline_kernelINS0_14default_configENS1_20scan_config_selectorIlEEZZNS1_9scan_implILNS1_25lookback_scan_determinismE0ELb0ELb0ES3_PlS8_lN6thrust23THRUST_200600_302600_NS4plusIvEElEEDaPvRmT3_T4_T5_mT6_P12ihipStream_tbENKUlT_T0_E_clISt17integral_constantIbLb1EESP_IbLb0EEEEDaSL_SM_EUlSL_E_NS1_11comp_targetILNS1_3genE4ELNS1_11target_archE910ELNS1_3gpuE8ELNS1_3repE0EEENS1_30default_config_static_selectorELNS0_4arch9wavefront6targetE0EEEvT1_.num_named_barrier, 0
	.set _ZN7rocprim17ROCPRIM_400000_NS6detail17trampoline_kernelINS0_14default_configENS1_20scan_config_selectorIlEEZZNS1_9scan_implILNS1_25lookback_scan_determinismE0ELb0ELb0ES3_PlS8_lN6thrust23THRUST_200600_302600_NS4plusIvEElEEDaPvRmT3_T4_T5_mT6_P12ihipStream_tbENKUlT_T0_E_clISt17integral_constantIbLb1EESP_IbLb0EEEEDaSL_SM_EUlSL_E_NS1_11comp_targetILNS1_3genE4ELNS1_11target_archE910ELNS1_3gpuE8ELNS1_3repE0EEENS1_30default_config_static_selectorELNS0_4arch9wavefront6targetE0EEEvT1_.private_seg_size, 0
	.set _ZN7rocprim17ROCPRIM_400000_NS6detail17trampoline_kernelINS0_14default_configENS1_20scan_config_selectorIlEEZZNS1_9scan_implILNS1_25lookback_scan_determinismE0ELb0ELb0ES3_PlS8_lN6thrust23THRUST_200600_302600_NS4plusIvEElEEDaPvRmT3_T4_T5_mT6_P12ihipStream_tbENKUlT_T0_E_clISt17integral_constantIbLb1EESP_IbLb0EEEEDaSL_SM_EUlSL_E_NS1_11comp_targetILNS1_3genE4ELNS1_11target_archE910ELNS1_3gpuE8ELNS1_3repE0EEENS1_30default_config_static_selectorELNS0_4arch9wavefront6targetE0EEEvT1_.uses_vcc, 0
	.set _ZN7rocprim17ROCPRIM_400000_NS6detail17trampoline_kernelINS0_14default_configENS1_20scan_config_selectorIlEEZZNS1_9scan_implILNS1_25lookback_scan_determinismE0ELb0ELb0ES3_PlS8_lN6thrust23THRUST_200600_302600_NS4plusIvEElEEDaPvRmT3_T4_T5_mT6_P12ihipStream_tbENKUlT_T0_E_clISt17integral_constantIbLb1EESP_IbLb0EEEEDaSL_SM_EUlSL_E_NS1_11comp_targetILNS1_3genE4ELNS1_11target_archE910ELNS1_3gpuE8ELNS1_3repE0EEENS1_30default_config_static_selectorELNS0_4arch9wavefront6targetE0EEEvT1_.uses_flat_scratch, 0
	.set _ZN7rocprim17ROCPRIM_400000_NS6detail17trampoline_kernelINS0_14default_configENS1_20scan_config_selectorIlEEZZNS1_9scan_implILNS1_25lookback_scan_determinismE0ELb0ELb0ES3_PlS8_lN6thrust23THRUST_200600_302600_NS4plusIvEElEEDaPvRmT3_T4_T5_mT6_P12ihipStream_tbENKUlT_T0_E_clISt17integral_constantIbLb1EESP_IbLb0EEEEDaSL_SM_EUlSL_E_NS1_11comp_targetILNS1_3genE4ELNS1_11target_archE910ELNS1_3gpuE8ELNS1_3repE0EEENS1_30default_config_static_selectorELNS0_4arch9wavefront6targetE0EEEvT1_.has_dyn_sized_stack, 0
	.set _ZN7rocprim17ROCPRIM_400000_NS6detail17trampoline_kernelINS0_14default_configENS1_20scan_config_selectorIlEEZZNS1_9scan_implILNS1_25lookback_scan_determinismE0ELb0ELb0ES3_PlS8_lN6thrust23THRUST_200600_302600_NS4plusIvEElEEDaPvRmT3_T4_T5_mT6_P12ihipStream_tbENKUlT_T0_E_clISt17integral_constantIbLb1EESP_IbLb0EEEEDaSL_SM_EUlSL_E_NS1_11comp_targetILNS1_3genE4ELNS1_11target_archE910ELNS1_3gpuE8ELNS1_3repE0EEENS1_30default_config_static_selectorELNS0_4arch9wavefront6targetE0EEEvT1_.has_recursion, 0
	.set _ZN7rocprim17ROCPRIM_400000_NS6detail17trampoline_kernelINS0_14default_configENS1_20scan_config_selectorIlEEZZNS1_9scan_implILNS1_25lookback_scan_determinismE0ELb0ELb0ES3_PlS8_lN6thrust23THRUST_200600_302600_NS4plusIvEElEEDaPvRmT3_T4_T5_mT6_P12ihipStream_tbENKUlT_T0_E_clISt17integral_constantIbLb1EESP_IbLb0EEEEDaSL_SM_EUlSL_E_NS1_11comp_targetILNS1_3genE4ELNS1_11target_archE910ELNS1_3gpuE8ELNS1_3repE0EEENS1_30default_config_static_selectorELNS0_4arch9wavefront6targetE0EEEvT1_.has_indirect_call, 0
	.section	.AMDGPU.csdata,"",@progbits
; Kernel info:
; codeLenInByte = 0
; TotalNumSgprs: 0
; NumVgprs: 0
; ScratchSize: 0
; MemoryBound: 0
; FloatMode: 240
; IeeeMode: 1
; LDSByteSize: 0 bytes/workgroup (compile time only)
; SGPRBlocks: 0
; VGPRBlocks: 0
; NumSGPRsForWavesPerEU: 1
; NumVGPRsForWavesPerEU: 1
; NamedBarCnt: 0
; Occupancy: 16
; WaveLimiterHint : 0
; COMPUTE_PGM_RSRC2:SCRATCH_EN: 0
; COMPUTE_PGM_RSRC2:USER_SGPR: 2
; COMPUTE_PGM_RSRC2:TRAP_HANDLER: 0
; COMPUTE_PGM_RSRC2:TGID_X_EN: 1
; COMPUTE_PGM_RSRC2:TGID_Y_EN: 0
; COMPUTE_PGM_RSRC2:TGID_Z_EN: 0
; COMPUTE_PGM_RSRC2:TIDIG_COMP_CNT: 0
	.section	.text._ZN7rocprim17ROCPRIM_400000_NS6detail17trampoline_kernelINS0_14default_configENS1_20scan_config_selectorIlEEZZNS1_9scan_implILNS1_25lookback_scan_determinismE0ELb0ELb0ES3_PlS8_lN6thrust23THRUST_200600_302600_NS4plusIvEElEEDaPvRmT3_T4_T5_mT6_P12ihipStream_tbENKUlT_T0_E_clISt17integral_constantIbLb1EESP_IbLb0EEEEDaSL_SM_EUlSL_E_NS1_11comp_targetILNS1_3genE3ELNS1_11target_archE908ELNS1_3gpuE7ELNS1_3repE0EEENS1_30default_config_static_selectorELNS0_4arch9wavefront6targetE0EEEvT1_,"axG",@progbits,_ZN7rocprim17ROCPRIM_400000_NS6detail17trampoline_kernelINS0_14default_configENS1_20scan_config_selectorIlEEZZNS1_9scan_implILNS1_25lookback_scan_determinismE0ELb0ELb0ES3_PlS8_lN6thrust23THRUST_200600_302600_NS4plusIvEElEEDaPvRmT3_T4_T5_mT6_P12ihipStream_tbENKUlT_T0_E_clISt17integral_constantIbLb1EESP_IbLb0EEEEDaSL_SM_EUlSL_E_NS1_11comp_targetILNS1_3genE3ELNS1_11target_archE908ELNS1_3gpuE7ELNS1_3repE0EEENS1_30default_config_static_selectorELNS0_4arch9wavefront6targetE0EEEvT1_,comdat
	.protected	_ZN7rocprim17ROCPRIM_400000_NS6detail17trampoline_kernelINS0_14default_configENS1_20scan_config_selectorIlEEZZNS1_9scan_implILNS1_25lookback_scan_determinismE0ELb0ELb0ES3_PlS8_lN6thrust23THRUST_200600_302600_NS4plusIvEElEEDaPvRmT3_T4_T5_mT6_P12ihipStream_tbENKUlT_T0_E_clISt17integral_constantIbLb1EESP_IbLb0EEEEDaSL_SM_EUlSL_E_NS1_11comp_targetILNS1_3genE3ELNS1_11target_archE908ELNS1_3gpuE7ELNS1_3repE0EEENS1_30default_config_static_selectorELNS0_4arch9wavefront6targetE0EEEvT1_ ; -- Begin function _ZN7rocprim17ROCPRIM_400000_NS6detail17trampoline_kernelINS0_14default_configENS1_20scan_config_selectorIlEEZZNS1_9scan_implILNS1_25lookback_scan_determinismE0ELb0ELb0ES3_PlS8_lN6thrust23THRUST_200600_302600_NS4plusIvEElEEDaPvRmT3_T4_T5_mT6_P12ihipStream_tbENKUlT_T0_E_clISt17integral_constantIbLb1EESP_IbLb0EEEEDaSL_SM_EUlSL_E_NS1_11comp_targetILNS1_3genE3ELNS1_11target_archE908ELNS1_3gpuE7ELNS1_3repE0EEENS1_30default_config_static_selectorELNS0_4arch9wavefront6targetE0EEEvT1_
	.globl	_ZN7rocprim17ROCPRIM_400000_NS6detail17trampoline_kernelINS0_14default_configENS1_20scan_config_selectorIlEEZZNS1_9scan_implILNS1_25lookback_scan_determinismE0ELb0ELb0ES3_PlS8_lN6thrust23THRUST_200600_302600_NS4plusIvEElEEDaPvRmT3_T4_T5_mT6_P12ihipStream_tbENKUlT_T0_E_clISt17integral_constantIbLb1EESP_IbLb0EEEEDaSL_SM_EUlSL_E_NS1_11comp_targetILNS1_3genE3ELNS1_11target_archE908ELNS1_3gpuE7ELNS1_3repE0EEENS1_30default_config_static_selectorELNS0_4arch9wavefront6targetE0EEEvT1_
	.p2align	8
	.type	_ZN7rocprim17ROCPRIM_400000_NS6detail17trampoline_kernelINS0_14default_configENS1_20scan_config_selectorIlEEZZNS1_9scan_implILNS1_25lookback_scan_determinismE0ELb0ELb0ES3_PlS8_lN6thrust23THRUST_200600_302600_NS4plusIvEElEEDaPvRmT3_T4_T5_mT6_P12ihipStream_tbENKUlT_T0_E_clISt17integral_constantIbLb1EESP_IbLb0EEEEDaSL_SM_EUlSL_E_NS1_11comp_targetILNS1_3genE3ELNS1_11target_archE908ELNS1_3gpuE7ELNS1_3repE0EEENS1_30default_config_static_selectorELNS0_4arch9wavefront6targetE0EEEvT1_,@function
_ZN7rocprim17ROCPRIM_400000_NS6detail17trampoline_kernelINS0_14default_configENS1_20scan_config_selectorIlEEZZNS1_9scan_implILNS1_25lookback_scan_determinismE0ELb0ELb0ES3_PlS8_lN6thrust23THRUST_200600_302600_NS4plusIvEElEEDaPvRmT3_T4_T5_mT6_P12ihipStream_tbENKUlT_T0_E_clISt17integral_constantIbLb1EESP_IbLb0EEEEDaSL_SM_EUlSL_E_NS1_11comp_targetILNS1_3genE3ELNS1_11target_archE908ELNS1_3gpuE7ELNS1_3repE0EEENS1_30default_config_static_selectorELNS0_4arch9wavefront6targetE0EEEvT1_: ; @_ZN7rocprim17ROCPRIM_400000_NS6detail17trampoline_kernelINS0_14default_configENS1_20scan_config_selectorIlEEZZNS1_9scan_implILNS1_25lookback_scan_determinismE0ELb0ELb0ES3_PlS8_lN6thrust23THRUST_200600_302600_NS4plusIvEElEEDaPvRmT3_T4_T5_mT6_P12ihipStream_tbENKUlT_T0_E_clISt17integral_constantIbLb1EESP_IbLb0EEEEDaSL_SM_EUlSL_E_NS1_11comp_targetILNS1_3genE3ELNS1_11target_archE908ELNS1_3gpuE7ELNS1_3repE0EEENS1_30default_config_static_selectorELNS0_4arch9wavefront6targetE0EEEvT1_
; %bb.0:
	.section	.rodata,"a",@progbits
	.p2align	6, 0x0
	.amdhsa_kernel _ZN7rocprim17ROCPRIM_400000_NS6detail17trampoline_kernelINS0_14default_configENS1_20scan_config_selectorIlEEZZNS1_9scan_implILNS1_25lookback_scan_determinismE0ELb0ELb0ES3_PlS8_lN6thrust23THRUST_200600_302600_NS4plusIvEElEEDaPvRmT3_T4_T5_mT6_P12ihipStream_tbENKUlT_T0_E_clISt17integral_constantIbLb1EESP_IbLb0EEEEDaSL_SM_EUlSL_E_NS1_11comp_targetILNS1_3genE3ELNS1_11target_archE908ELNS1_3gpuE7ELNS1_3repE0EEENS1_30default_config_static_selectorELNS0_4arch9wavefront6targetE0EEEvT1_
		.amdhsa_group_segment_fixed_size 0
		.amdhsa_private_segment_fixed_size 0
		.amdhsa_kernarg_size 104
		.amdhsa_user_sgpr_count 2
		.amdhsa_user_sgpr_dispatch_ptr 0
		.amdhsa_user_sgpr_queue_ptr 0
		.amdhsa_user_sgpr_kernarg_segment_ptr 1
		.amdhsa_user_sgpr_dispatch_id 0
		.amdhsa_user_sgpr_kernarg_preload_length 0
		.amdhsa_user_sgpr_kernarg_preload_offset 0
		.amdhsa_user_sgpr_private_segment_size 0
		.amdhsa_wavefront_size32 1
		.amdhsa_uses_dynamic_stack 0
		.amdhsa_enable_private_segment 0
		.amdhsa_system_sgpr_workgroup_id_x 1
		.amdhsa_system_sgpr_workgroup_id_y 0
		.amdhsa_system_sgpr_workgroup_id_z 0
		.amdhsa_system_sgpr_workgroup_info 0
		.amdhsa_system_vgpr_workitem_id 0
		.amdhsa_next_free_vgpr 1
		.amdhsa_next_free_sgpr 1
		.amdhsa_named_barrier_count 0
		.amdhsa_reserve_vcc 0
		.amdhsa_float_round_mode_32 0
		.amdhsa_float_round_mode_16_64 0
		.amdhsa_float_denorm_mode_32 3
		.amdhsa_float_denorm_mode_16_64 3
		.amdhsa_fp16_overflow 0
		.amdhsa_memory_ordered 1
		.amdhsa_forward_progress 1
		.amdhsa_inst_pref_size 0
		.amdhsa_round_robin_scheduling 0
		.amdhsa_exception_fp_ieee_invalid_op 0
		.amdhsa_exception_fp_denorm_src 0
		.amdhsa_exception_fp_ieee_div_zero 0
		.amdhsa_exception_fp_ieee_overflow 0
		.amdhsa_exception_fp_ieee_underflow 0
		.amdhsa_exception_fp_ieee_inexact 0
		.amdhsa_exception_int_div_zero 0
	.end_amdhsa_kernel
	.section	.text._ZN7rocprim17ROCPRIM_400000_NS6detail17trampoline_kernelINS0_14default_configENS1_20scan_config_selectorIlEEZZNS1_9scan_implILNS1_25lookback_scan_determinismE0ELb0ELb0ES3_PlS8_lN6thrust23THRUST_200600_302600_NS4plusIvEElEEDaPvRmT3_T4_T5_mT6_P12ihipStream_tbENKUlT_T0_E_clISt17integral_constantIbLb1EESP_IbLb0EEEEDaSL_SM_EUlSL_E_NS1_11comp_targetILNS1_3genE3ELNS1_11target_archE908ELNS1_3gpuE7ELNS1_3repE0EEENS1_30default_config_static_selectorELNS0_4arch9wavefront6targetE0EEEvT1_,"axG",@progbits,_ZN7rocprim17ROCPRIM_400000_NS6detail17trampoline_kernelINS0_14default_configENS1_20scan_config_selectorIlEEZZNS1_9scan_implILNS1_25lookback_scan_determinismE0ELb0ELb0ES3_PlS8_lN6thrust23THRUST_200600_302600_NS4plusIvEElEEDaPvRmT3_T4_T5_mT6_P12ihipStream_tbENKUlT_T0_E_clISt17integral_constantIbLb1EESP_IbLb0EEEEDaSL_SM_EUlSL_E_NS1_11comp_targetILNS1_3genE3ELNS1_11target_archE908ELNS1_3gpuE7ELNS1_3repE0EEENS1_30default_config_static_selectorELNS0_4arch9wavefront6targetE0EEEvT1_,comdat
.Lfunc_end125:
	.size	_ZN7rocprim17ROCPRIM_400000_NS6detail17trampoline_kernelINS0_14default_configENS1_20scan_config_selectorIlEEZZNS1_9scan_implILNS1_25lookback_scan_determinismE0ELb0ELb0ES3_PlS8_lN6thrust23THRUST_200600_302600_NS4plusIvEElEEDaPvRmT3_T4_T5_mT6_P12ihipStream_tbENKUlT_T0_E_clISt17integral_constantIbLb1EESP_IbLb0EEEEDaSL_SM_EUlSL_E_NS1_11comp_targetILNS1_3genE3ELNS1_11target_archE908ELNS1_3gpuE7ELNS1_3repE0EEENS1_30default_config_static_selectorELNS0_4arch9wavefront6targetE0EEEvT1_, .Lfunc_end125-_ZN7rocprim17ROCPRIM_400000_NS6detail17trampoline_kernelINS0_14default_configENS1_20scan_config_selectorIlEEZZNS1_9scan_implILNS1_25lookback_scan_determinismE0ELb0ELb0ES3_PlS8_lN6thrust23THRUST_200600_302600_NS4plusIvEElEEDaPvRmT3_T4_T5_mT6_P12ihipStream_tbENKUlT_T0_E_clISt17integral_constantIbLb1EESP_IbLb0EEEEDaSL_SM_EUlSL_E_NS1_11comp_targetILNS1_3genE3ELNS1_11target_archE908ELNS1_3gpuE7ELNS1_3repE0EEENS1_30default_config_static_selectorELNS0_4arch9wavefront6targetE0EEEvT1_
                                        ; -- End function
	.set _ZN7rocprim17ROCPRIM_400000_NS6detail17trampoline_kernelINS0_14default_configENS1_20scan_config_selectorIlEEZZNS1_9scan_implILNS1_25lookback_scan_determinismE0ELb0ELb0ES3_PlS8_lN6thrust23THRUST_200600_302600_NS4plusIvEElEEDaPvRmT3_T4_T5_mT6_P12ihipStream_tbENKUlT_T0_E_clISt17integral_constantIbLb1EESP_IbLb0EEEEDaSL_SM_EUlSL_E_NS1_11comp_targetILNS1_3genE3ELNS1_11target_archE908ELNS1_3gpuE7ELNS1_3repE0EEENS1_30default_config_static_selectorELNS0_4arch9wavefront6targetE0EEEvT1_.num_vgpr, 0
	.set _ZN7rocprim17ROCPRIM_400000_NS6detail17trampoline_kernelINS0_14default_configENS1_20scan_config_selectorIlEEZZNS1_9scan_implILNS1_25lookback_scan_determinismE0ELb0ELb0ES3_PlS8_lN6thrust23THRUST_200600_302600_NS4plusIvEElEEDaPvRmT3_T4_T5_mT6_P12ihipStream_tbENKUlT_T0_E_clISt17integral_constantIbLb1EESP_IbLb0EEEEDaSL_SM_EUlSL_E_NS1_11comp_targetILNS1_3genE3ELNS1_11target_archE908ELNS1_3gpuE7ELNS1_3repE0EEENS1_30default_config_static_selectorELNS0_4arch9wavefront6targetE0EEEvT1_.num_agpr, 0
	.set _ZN7rocprim17ROCPRIM_400000_NS6detail17trampoline_kernelINS0_14default_configENS1_20scan_config_selectorIlEEZZNS1_9scan_implILNS1_25lookback_scan_determinismE0ELb0ELb0ES3_PlS8_lN6thrust23THRUST_200600_302600_NS4plusIvEElEEDaPvRmT3_T4_T5_mT6_P12ihipStream_tbENKUlT_T0_E_clISt17integral_constantIbLb1EESP_IbLb0EEEEDaSL_SM_EUlSL_E_NS1_11comp_targetILNS1_3genE3ELNS1_11target_archE908ELNS1_3gpuE7ELNS1_3repE0EEENS1_30default_config_static_selectorELNS0_4arch9wavefront6targetE0EEEvT1_.numbered_sgpr, 0
	.set _ZN7rocprim17ROCPRIM_400000_NS6detail17trampoline_kernelINS0_14default_configENS1_20scan_config_selectorIlEEZZNS1_9scan_implILNS1_25lookback_scan_determinismE0ELb0ELb0ES3_PlS8_lN6thrust23THRUST_200600_302600_NS4plusIvEElEEDaPvRmT3_T4_T5_mT6_P12ihipStream_tbENKUlT_T0_E_clISt17integral_constantIbLb1EESP_IbLb0EEEEDaSL_SM_EUlSL_E_NS1_11comp_targetILNS1_3genE3ELNS1_11target_archE908ELNS1_3gpuE7ELNS1_3repE0EEENS1_30default_config_static_selectorELNS0_4arch9wavefront6targetE0EEEvT1_.num_named_barrier, 0
	.set _ZN7rocprim17ROCPRIM_400000_NS6detail17trampoline_kernelINS0_14default_configENS1_20scan_config_selectorIlEEZZNS1_9scan_implILNS1_25lookback_scan_determinismE0ELb0ELb0ES3_PlS8_lN6thrust23THRUST_200600_302600_NS4plusIvEElEEDaPvRmT3_T4_T5_mT6_P12ihipStream_tbENKUlT_T0_E_clISt17integral_constantIbLb1EESP_IbLb0EEEEDaSL_SM_EUlSL_E_NS1_11comp_targetILNS1_3genE3ELNS1_11target_archE908ELNS1_3gpuE7ELNS1_3repE0EEENS1_30default_config_static_selectorELNS0_4arch9wavefront6targetE0EEEvT1_.private_seg_size, 0
	.set _ZN7rocprim17ROCPRIM_400000_NS6detail17trampoline_kernelINS0_14default_configENS1_20scan_config_selectorIlEEZZNS1_9scan_implILNS1_25lookback_scan_determinismE0ELb0ELb0ES3_PlS8_lN6thrust23THRUST_200600_302600_NS4plusIvEElEEDaPvRmT3_T4_T5_mT6_P12ihipStream_tbENKUlT_T0_E_clISt17integral_constantIbLb1EESP_IbLb0EEEEDaSL_SM_EUlSL_E_NS1_11comp_targetILNS1_3genE3ELNS1_11target_archE908ELNS1_3gpuE7ELNS1_3repE0EEENS1_30default_config_static_selectorELNS0_4arch9wavefront6targetE0EEEvT1_.uses_vcc, 0
	.set _ZN7rocprim17ROCPRIM_400000_NS6detail17trampoline_kernelINS0_14default_configENS1_20scan_config_selectorIlEEZZNS1_9scan_implILNS1_25lookback_scan_determinismE0ELb0ELb0ES3_PlS8_lN6thrust23THRUST_200600_302600_NS4plusIvEElEEDaPvRmT3_T4_T5_mT6_P12ihipStream_tbENKUlT_T0_E_clISt17integral_constantIbLb1EESP_IbLb0EEEEDaSL_SM_EUlSL_E_NS1_11comp_targetILNS1_3genE3ELNS1_11target_archE908ELNS1_3gpuE7ELNS1_3repE0EEENS1_30default_config_static_selectorELNS0_4arch9wavefront6targetE0EEEvT1_.uses_flat_scratch, 0
	.set _ZN7rocprim17ROCPRIM_400000_NS6detail17trampoline_kernelINS0_14default_configENS1_20scan_config_selectorIlEEZZNS1_9scan_implILNS1_25lookback_scan_determinismE0ELb0ELb0ES3_PlS8_lN6thrust23THRUST_200600_302600_NS4plusIvEElEEDaPvRmT3_T4_T5_mT6_P12ihipStream_tbENKUlT_T0_E_clISt17integral_constantIbLb1EESP_IbLb0EEEEDaSL_SM_EUlSL_E_NS1_11comp_targetILNS1_3genE3ELNS1_11target_archE908ELNS1_3gpuE7ELNS1_3repE0EEENS1_30default_config_static_selectorELNS0_4arch9wavefront6targetE0EEEvT1_.has_dyn_sized_stack, 0
	.set _ZN7rocprim17ROCPRIM_400000_NS6detail17trampoline_kernelINS0_14default_configENS1_20scan_config_selectorIlEEZZNS1_9scan_implILNS1_25lookback_scan_determinismE0ELb0ELb0ES3_PlS8_lN6thrust23THRUST_200600_302600_NS4plusIvEElEEDaPvRmT3_T4_T5_mT6_P12ihipStream_tbENKUlT_T0_E_clISt17integral_constantIbLb1EESP_IbLb0EEEEDaSL_SM_EUlSL_E_NS1_11comp_targetILNS1_3genE3ELNS1_11target_archE908ELNS1_3gpuE7ELNS1_3repE0EEENS1_30default_config_static_selectorELNS0_4arch9wavefront6targetE0EEEvT1_.has_recursion, 0
	.set _ZN7rocprim17ROCPRIM_400000_NS6detail17trampoline_kernelINS0_14default_configENS1_20scan_config_selectorIlEEZZNS1_9scan_implILNS1_25lookback_scan_determinismE0ELb0ELb0ES3_PlS8_lN6thrust23THRUST_200600_302600_NS4plusIvEElEEDaPvRmT3_T4_T5_mT6_P12ihipStream_tbENKUlT_T0_E_clISt17integral_constantIbLb1EESP_IbLb0EEEEDaSL_SM_EUlSL_E_NS1_11comp_targetILNS1_3genE3ELNS1_11target_archE908ELNS1_3gpuE7ELNS1_3repE0EEENS1_30default_config_static_selectorELNS0_4arch9wavefront6targetE0EEEvT1_.has_indirect_call, 0
	.section	.AMDGPU.csdata,"",@progbits
; Kernel info:
; codeLenInByte = 0
; TotalNumSgprs: 0
; NumVgprs: 0
; ScratchSize: 0
; MemoryBound: 0
; FloatMode: 240
; IeeeMode: 1
; LDSByteSize: 0 bytes/workgroup (compile time only)
; SGPRBlocks: 0
; VGPRBlocks: 0
; NumSGPRsForWavesPerEU: 1
; NumVGPRsForWavesPerEU: 1
; NamedBarCnt: 0
; Occupancy: 16
; WaveLimiterHint : 0
; COMPUTE_PGM_RSRC2:SCRATCH_EN: 0
; COMPUTE_PGM_RSRC2:USER_SGPR: 2
; COMPUTE_PGM_RSRC2:TRAP_HANDLER: 0
; COMPUTE_PGM_RSRC2:TGID_X_EN: 1
; COMPUTE_PGM_RSRC2:TGID_Y_EN: 0
; COMPUTE_PGM_RSRC2:TGID_Z_EN: 0
; COMPUTE_PGM_RSRC2:TIDIG_COMP_CNT: 0
	.section	.text._ZN7rocprim17ROCPRIM_400000_NS6detail17trampoline_kernelINS0_14default_configENS1_20scan_config_selectorIlEEZZNS1_9scan_implILNS1_25lookback_scan_determinismE0ELb0ELb0ES3_PlS8_lN6thrust23THRUST_200600_302600_NS4plusIvEElEEDaPvRmT3_T4_T5_mT6_P12ihipStream_tbENKUlT_T0_E_clISt17integral_constantIbLb1EESP_IbLb0EEEEDaSL_SM_EUlSL_E_NS1_11comp_targetILNS1_3genE2ELNS1_11target_archE906ELNS1_3gpuE6ELNS1_3repE0EEENS1_30default_config_static_selectorELNS0_4arch9wavefront6targetE0EEEvT1_,"axG",@progbits,_ZN7rocprim17ROCPRIM_400000_NS6detail17trampoline_kernelINS0_14default_configENS1_20scan_config_selectorIlEEZZNS1_9scan_implILNS1_25lookback_scan_determinismE0ELb0ELb0ES3_PlS8_lN6thrust23THRUST_200600_302600_NS4plusIvEElEEDaPvRmT3_T4_T5_mT6_P12ihipStream_tbENKUlT_T0_E_clISt17integral_constantIbLb1EESP_IbLb0EEEEDaSL_SM_EUlSL_E_NS1_11comp_targetILNS1_3genE2ELNS1_11target_archE906ELNS1_3gpuE6ELNS1_3repE0EEENS1_30default_config_static_selectorELNS0_4arch9wavefront6targetE0EEEvT1_,comdat
	.protected	_ZN7rocprim17ROCPRIM_400000_NS6detail17trampoline_kernelINS0_14default_configENS1_20scan_config_selectorIlEEZZNS1_9scan_implILNS1_25lookback_scan_determinismE0ELb0ELb0ES3_PlS8_lN6thrust23THRUST_200600_302600_NS4plusIvEElEEDaPvRmT3_T4_T5_mT6_P12ihipStream_tbENKUlT_T0_E_clISt17integral_constantIbLb1EESP_IbLb0EEEEDaSL_SM_EUlSL_E_NS1_11comp_targetILNS1_3genE2ELNS1_11target_archE906ELNS1_3gpuE6ELNS1_3repE0EEENS1_30default_config_static_selectorELNS0_4arch9wavefront6targetE0EEEvT1_ ; -- Begin function _ZN7rocprim17ROCPRIM_400000_NS6detail17trampoline_kernelINS0_14default_configENS1_20scan_config_selectorIlEEZZNS1_9scan_implILNS1_25lookback_scan_determinismE0ELb0ELb0ES3_PlS8_lN6thrust23THRUST_200600_302600_NS4plusIvEElEEDaPvRmT3_T4_T5_mT6_P12ihipStream_tbENKUlT_T0_E_clISt17integral_constantIbLb1EESP_IbLb0EEEEDaSL_SM_EUlSL_E_NS1_11comp_targetILNS1_3genE2ELNS1_11target_archE906ELNS1_3gpuE6ELNS1_3repE0EEENS1_30default_config_static_selectorELNS0_4arch9wavefront6targetE0EEEvT1_
	.globl	_ZN7rocprim17ROCPRIM_400000_NS6detail17trampoline_kernelINS0_14default_configENS1_20scan_config_selectorIlEEZZNS1_9scan_implILNS1_25lookback_scan_determinismE0ELb0ELb0ES3_PlS8_lN6thrust23THRUST_200600_302600_NS4plusIvEElEEDaPvRmT3_T4_T5_mT6_P12ihipStream_tbENKUlT_T0_E_clISt17integral_constantIbLb1EESP_IbLb0EEEEDaSL_SM_EUlSL_E_NS1_11comp_targetILNS1_3genE2ELNS1_11target_archE906ELNS1_3gpuE6ELNS1_3repE0EEENS1_30default_config_static_selectorELNS0_4arch9wavefront6targetE0EEEvT1_
	.p2align	8
	.type	_ZN7rocprim17ROCPRIM_400000_NS6detail17trampoline_kernelINS0_14default_configENS1_20scan_config_selectorIlEEZZNS1_9scan_implILNS1_25lookback_scan_determinismE0ELb0ELb0ES3_PlS8_lN6thrust23THRUST_200600_302600_NS4plusIvEElEEDaPvRmT3_T4_T5_mT6_P12ihipStream_tbENKUlT_T0_E_clISt17integral_constantIbLb1EESP_IbLb0EEEEDaSL_SM_EUlSL_E_NS1_11comp_targetILNS1_3genE2ELNS1_11target_archE906ELNS1_3gpuE6ELNS1_3repE0EEENS1_30default_config_static_selectorELNS0_4arch9wavefront6targetE0EEEvT1_,@function
_ZN7rocprim17ROCPRIM_400000_NS6detail17trampoline_kernelINS0_14default_configENS1_20scan_config_selectorIlEEZZNS1_9scan_implILNS1_25lookback_scan_determinismE0ELb0ELb0ES3_PlS8_lN6thrust23THRUST_200600_302600_NS4plusIvEElEEDaPvRmT3_T4_T5_mT6_P12ihipStream_tbENKUlT_T0_E_clISt17integral_constantIbLb1EESP_IbLb0EEEEDaSL_SM_EUlSL_E_NS1_11comp_targetILNS1_3genE2ELNS1_11target_archE906ELNS1_3gpuE6ELNS1_3repE0EEENS1_30default_config_static_selectorELNS0_4arch9wavefront6targetE0EEEvT1_: ; @_ZN7rocprim17ROCPRIM_400000_NS6detail17trampoline_kernelINS0_14default_configENS1_20scan_config_selectorIlEEZZNS1_9scan_implILNS1_25lookback_scan_determinismE0ELb0ELb0ES3_PlS8_lN6thrust23THRUST_200600_302600_NS4plusIvEElEEDaPvRmT3_T4_T5_mT6_P12ihipStream_tbENKUlT_T0_E_clISt17integral_constantIbLb1EESP_IbLb0EEEEDaSL_SM_EUlSL_E_NS1_11comp_targetILNS1_3genE2ELNS1_11target_archE906ELNS1_3gpuE6ELNS1_3repE0EEENS1_30default_config_static_selectorELNS0_4arch9wavefront6targetE0EEEvT1_
; %bb.0:
	.section	.rodata,"a",@progbits
	.p2align	6, 0x0
	.amdhsa_kernel _ZN7rocprim17ROCPRIM_400000_NS6detail17trampoline_kernelINS0_14default_configENS1_20scan_config_selectorIlEEZZNS1_9scan_implILNS1_25lookback_scan_determinismE0ELb0ELb0ES3_PlS8_lN6thrust23THRUST_200600_302600_NS4plusIvEElEEDaPvRmT3_T4_T5_mT6_P12ihipStream_tbENKUlT_T0_E_clISt17integral_constantIbLb1EESP_IbLb0EEEEDaSL_SM_EUlSL_E_NS1_11comp_targetILNS1_3genE2ELNS1_11target_archE906ELNS1_3gpuE6ELNS1_3repE0EEENS1_30default_config_static_selectorELNS0_4arch9wavefront6targetE0EEEvT1_
		.amdhsa_group_segment_fixed_size 0
		.amdhsa_private_segment_fixed_size 0
		.amdhsa_kernarg_size 104
		.amdhsa_user_sgpr_count 2
		.amdhsa_user_sgpr_dispatch_ptr 0
		.amdhsa_user_sgpr_queue_ptr 0
		.amdhsa_user_sgpr_kernarg_segment_ptr 1
		.amdhsa_user_sgpr_dispatch_id 0
		.amdhsa_user_sgpr_kernarg_preload_length 0
		.amdhsa_user_sgpr_kernarg_preload_offset 0
		.amdhsa_user_sgpr_private_segment_size 0
		.amdhsa_wavefront_size32 1
		.amdhsa_uses_dynamic_stack 0
		.amdhsa_enable_private_segment 0
		.amdhsa_system_sgpr_workgroup_id_x 1
		.amdhsa_system_sgpr_workgroup_id_y 0
		.amdhsa_system_sgpr_workgroup_id_z 0
		.amdhsa_system_sgpr_workgroup_info 0
		.amdhsa_system_vgpr_workitem_id 0
		.amdhsa_next_free_vgpr 1
		.amdhsa_next_free_sgpr 1
		.amdhsa_named_barrier_count 0
		.amdhsa_reserve_vcc 0
		.amdhsa_float_round_mode_32 0
		.amdhsa_float_round_mode_16_64 0
		.amdhsa_float_denorm_mode_32 3
		.amdhsa_float_denorm_mode_16_64 3
		.amdhsa_fp16_overflow 0
		.amdhsa_memory_ordered 1
		.amdhsa_forward_progress 1
		.amdhsa_inst_pref_size 0
		.amdhsa_round_robin_scheduling 0
		.amdhsa_exception_fp_ieee_invalid_op 0
		.amdhsa_exception_fp_denorm_src 0
		.amdhsa_exception_fp_ieee_div_zero 0
		.amdhsa_exception_fp_ieee_overflow 0
		.amdhsa_exception_fp_ieee_underflow 0
		.amdhsa_exception_fp_ieee_inexact 0
		.amdhsa_exception_int_div_zero 0
	.end_amdhsa_kernel
	.section	.text._ZN7rocprim17ROCPRIM_400000_NS6detail17trampoline_kernelINS0_14default_configENS1_20scan_config_selectorIlEEZZNS1_9scan_implILNS1_25lookback_scan_determinismE0ELb0ELb0ES3_PlS8_lN6thrust23THRUST_200600_302600_NS4plusIvEElEEDaPvRmT3_T4_T5_mT6_P12ihipStream_tbENKUlT_T0_E_clISt17integral_constantIbLb1EESP_IbLb0EEEEDaSL_SM_EUlSL_E_NS1_11comp_targetILNS1_3genE2ELNS1_11target_archE906ELNS1_3gpuE6ELNS1_3repE0EEENS1_30default_config_static_selectorELNS0_4arch9wavefront6targetE0EEEvT1_,"axG",@progbits,_ZN7rocprim17ROCPRIM_400000_NS6detail17trampoline_kernelINS0_14default_configENS1_20scan_config_selectorIlEEZZNS1_9scan_implILNS1_25lookback_scan_determinismE0ELb0ELb0ES3_PlS8_lN6thrust23THRUST_200600_302600_NS4plusIvEElEEDaPvRmT3_T4_T5_mT6_P12ihipStream_tbENKUlT_T0_E_clISt17integral_constantIbLb1EESP_IbLb0EEEEDaSL_SM_EUlSL_E_NS1_11comp_targetILNS1_3genE2ELNS1_11target_archE906ELNS1_3gpuE6ELNS1_3repE0EEENS1_30default_config_static_selectorELNS0_4arch9wavefront6targetE0EEEvT1_,comdat
.Lfunc_end126:
	.size	_ZN7rocprim17ROCPRIM_400000_NS6detail17trampoline_kernelINS0_14default_configENS1_20scan_config_selectorIlEEZZNS1_9scan_implILNS1_25lookback_scan_determinismE0ELb0ELb0ES3_PlS8_lN6thrust23THRUST_200600_302600_NS4plusIvEElEEDaPvRmT3_T4_T5_mT6_P12ihipStream_tbENKUlT_T0_E_clISt17integral_constantIbLb1EESP_IbLb0EEEEDaSL_SM_EUlSL_E_NS1_11comp_targetILNS1_3genE2ELNS1_11target_archE906ELNS1_3gpuE6ELNS1_3repE0EEENS1_30default_config_static_selectorELNS0_4arch9wavefront6targetE0EEEvT1_, .Lfunc_end126-_ZN7rocprim17ROCPRIM_400000_NS6detail17trampoline_kernelINS0_14default_configENS1_20scan_config_selectorIlEEZZNS1_9scan_implILNS1_25lookback_scan_determinismE0ELb0ELb0ES3_PlS8_lN6thrust23THRUST_200600_302600_NS4plusIvEElEEDaPvRmT3_T4_T5_mT6_P12ihipStream_tbENKUlT_T0_E_clISt17integral_constantIbLb1EESP_IbLb0EEEEDaSL_SM_EUlSL_E_NS1_11comp_targetILNS1_3genE2ELNS1_11target_archE906ELNS1_3gpuE6ELNS1_3repE0EEENS1_30default_config_static_selectorELNS0_4arch9wavefront6targetE0EEEvT1_
                                        ; -- End function
	.set _ZN7rocprim17ROCPRIM_400000_NS6detail17trampoline_kernelINS0_14default_configENS1_20scan_config_selectorIlEEZZNS1_9scan_implILNS1_25lookback_scan_determinismE0ELb0ELb0ES3_PlS8_lN6thrust23THRUST_200600_302600_NS4plusIvEElEEDaPvRmT3_T4_T5_mT6_P12ihipStream_tbENKUlT_T0_E_clISt17integral_constantIbLb1EESP_IbLb0EEEEDaSL_SM_EUlSL_E_NS1_11comp_targetILNS1_3genE2ELNS1_11target_archE906ELNS1_3gpuE6ELNS1_3repE0EEENS1_30default_config_static_selectorELNS0_4arch9wavefront6targetE0EEEvT1_.num_vgpr, 0
	.set _ZN7rocprim17ROCPRIM_400000_NS6detail17trampoline_kernelINS0_14default_configENS1_20scan_config_selectorIlEEZZNS1_9scan_implILNS1_25lookback_scan_determinismE0ELb0ELb0ES3_PlS8_lN6thrust23THRUST_200600_302600_NS4plusIvEElEEDaPvRmT3_T4_T5_mT6_P12ihipStream_tbENKUlT_T0_E_clISt17integral_constantIbLb1EESP_IbLb0EEEEDaSL_SM_EUlSL_E_NS1_11comp_targetILNS1_3genE2ELNS1_11target_archE906ELNS1_3gpuE6ELNS1_3repE0EEENS1_30default_config_static_selectorELNS0_4arch9wavefront6targetE0EEEvT1_.num_agpr, 0
	.set _ZN7rocprim17ROCPRIM_400000_NS6detail17trampoline_kernelINS0_14default_configENS1_20scan_config_selectorIlEEZZNS1_9scan_implILNS1_25lookback_scan_determinismE0ELb0ELb0ES3_PlS8_lN6thrust23THRUST_200600_302600_NS4plusIvEElEEDaPvRmT3_T4_T5_mT6_P12ihipStream_tbENKUlT_T0_E_clISt17integral_constantIbLb1EESP_IbLb0EEEEDaSL_SM_EUlSL_E_NS1_11comp_targetILNS1_3genE2ELNS1_11target_archE906ELNS1_3gpuE6ELNS1_3repE0EEENS1_30default_config_static_selectorELNS0_4arch9wavefront6targetE0EEEvT1_.numbered_sgpr, 0
	.set _ZN7rocprim17ROCPRIM_400000_NS6detail17trampoline_kernelINS0_14default_configENS1_20scan_config_selectorIlEEZZNS1_9scan_implILNS1_25lookback_scan_determinismE0ELb0ELb0ES3_PlS8_lN6thrust23THRUST_200600_302600_NS4plusIvEElEEDaPvRmT3_T4_T5_mT6_P12ihipStream_tbENKUlT_T0_E_clISt17integral_constantIbLb1EESP_IbLb0EEEEDaSL_SM_EUlSL_E_NS1_11comp_targetILNS1_3genE2ELNS1_11target_archE906ELNS1_3gpuE6ELNS1_3repE0EEENS1_30default_config_static_selectorELNS0_4arch9wavefront6targetE0EEEvT1_.num_named_barrier, 0
	.set _ZN7rocprim17ROCPRIM_400000_NS6detail17trampoline_kernelINS0_14default_configENS1_20scan_config_selectorIlEEZZNS1_9scan_implILNS1_25lookback_scan_determinismE0ELb0ELb0ES3_PlS8_lN6thrust23THRUST_200600_302600_NS4plusIvEElEEDaPvRmT3_T4_T5_mT6_P12ihipStream_tbENKUlT_T0_E_clISt17integral_constantIbLb1EESP_IbLb0EEEEDaSL_SM_EUlSL_E_NS1_11comp_targetILNS1_3genE2ELNS1_11target_archE906ELNS1_3gpuE6ELNS1_3repE0EEENS1_30default_config_static_selectorELNS0_4arch9wavefront6targetE0EEEvT1_.private_seg_size, 0
	.set _ZN7rocprim17ROCPRIM_400000_NS6detail17trampoline_kernelINS0_14default_configENS1_20scan_config_selectorIlEEZZNS1_9scan_implILNS1_25lookback_scan_determinismE0ELb0ELb0ES3_PlS8_lN6thrust23THRUST_200600_302600_NS4plusIvEElEEDaPvRmT3_T4_T5_mT6_P12ihipStream_tbENKUlT_T0_E_clISt17integral_constantIbLb1EESP_IbLb0EEEEDaSL_SM_EUlSL_E_NS1_11comp_targetILNS1_3genE2ELNS1_11target_archE906ELNS1_3gpuE6ELNS1_3repE0EEENS1_30default_config_static_selectorELNS0_4arch9wavefront6targetE0EEEvT1_.uses_vcc, 0
	.set _ZN7rocprim17ROCPRIM_400000_NS6detail17trampoline_kernelINS0_14default_configENS1_20scan_config_selectorIlEEZZNS1_9scan_implILNS1_25lookback_scan_determinismE0ELb0ELb0ES3_PlS8_lN6thrust23THRUST_200600_302600_NS4plusIvEElEEDaPvRmT3_T4_T5_mT6_P12ihipStream_tbENKUlT_T0_E_clISt17integral_constantIbLb1EESP_IbLb0EEEEDaSL_SM_EUlSL_E_NS1_11comp_targetILNS1_3genE2ELNS1_11target_archE906ELNS1_3gpuE6ELNS1_3repE0EEENS1_30default_config_static_selectorELNS0_4arch9wavefront6targetE0EEEvT1_.uses_flat_scratch, 0
	.set _ZN7rocprim17ROCPRIM_400000_NS6detail17trampoline_kernelINS0_14default_configENS1_20scan_config_selectorIlEEZZNS1_9scan_implILNS1_25lookback_scan_determinismE0ELb0ELb0ES3_PlS8_lN6thrust23THRUST_200600_302600_NS4plusIvEElEEDaPvRmT3_T4_T5_mT6_P12ihipStream_tbENKUlT_T0_E_clISt17integral_constantIbLb1EESP_IbLb0EEEEDaSL_SM_EUlSL_E_NS1_11comp_targetILNS1_3genE2ELNS1_11target_archE906ELNS1_3gpuE6ELNS1_3repE0EEENS1_30default_config_static_selectorELNS0_4arch9wavefront6targetE0EEEvT1_.has_dyn_sized_stack, 0
	.set _ZN7rocprim17ROCPRIM_400000_NS6detail17trampoline_kernelINS0_14default_configENS1_20scan_config_selectorIlEEZZNS1_9scan_implILNS1_25lookback_scan_determinismE0ELb0ELb0ES3_PlS8_lN6thrust23THRUST_200600_302600_NS4plusIvEElEEDaPvRmT3_T4_T5_mT6_P12ihipStream_tbENKUlT_T0_E_clISt17integral_constantIbLb1EESP_IbLb0EEEEDaSL_SM_EUlSL_E_NS1_11comp_targetILNS1_3genE2ELNS1_11target_archE906ELNS1_3gpuE6ELNS1_3repE0EEENS1_30default_config_static_selectorELNS0_4arch9wavefront6targetE0EEEvT1_.has_recursion, 0
	.set _ZN7rocprim17ROCPRIM_400000_NS6detail17trampoline_kernelINS0_14default_configENS1_20scan_config_selectorIlEEZZNS1_9scan_implILNS1_25lookback_scan_determinismE0ELb0ELb0ES3_PlS8_lN6thrust23THRUST_200600_302600_NS4plusIvEElEEDaPvRmT3_T4_T5_mT6_P12ihipStream_tbENKUlT_T0_E_clISt17integral_constantIbLb1EESP_IbLb0EEEEDaSL_SM_EUlSL_E_NS1_11comp_targetILNS1_3genE2ELNS1_11target_archE906ELNS1_3gpuE6ELNS1_3repE0EEENS1_30default_config_static_selectorELNS0_4arch9wavefront6targetE0EEEvT1_.has_indirect_call, 0
	.section	.AMDGPU.csdata,"",@progbits
; Kernel info:
; codeLenInByte = 0
; TotalNumSgprs: 0
; NumVgprs: 0
; ScratchSize: 0
; MemoryBound: 0
; FloatMode: 240
; IeeeMode: 1
; LDSByteSize: 0 bytes/workgroup (compile time only)
; SGPRBlocks: 0
; VGPRBlocks: 0
; NumSGPRsForWavesPerEU: 1
; NumVGPRsForWavesPerEU: 1
; NamedBarCnt: 0
; Occupancy: 16
; WaveLimiterHint : 0
; COMPUTE_PGM_RSRC2:SCRATCH_EN: 0
; COMPUTE_PGM_RSRC2:USER_SGPR: 2
; COMPUTE_PGM_RSRC2:TRAP_HANDLER: 0
; COMPUTE_PGM_RSRC2:TGID_X_EN: 1
; COMPUTE_PGM_RSRC2:TGID_Y_EN: 0
; COMPUTE_PGM_RSRC2:TGID_Z_EN: 0
; COMPUTE_PGM_RSRC2:TIDIG_COMP_CNT: 0
	.section	.text._ZN7rocprim17ROCPRIM_400000_NS6detail17trampoline_kernelINS0_14default_configENS1_20scan_config_selectorIlEEZZNS1_9scan_implILNS1_25lookback_scan_determinismE0ELb0ELb0ES3_PlS8_lN6thrust23THRUST_200600_302600_NS4plusIvEElEEDaPvRmT3_T4_T5_mT6_P12ihipStream_tbENKUlT_T0_E_clISt17integral_constantIbLb1EESP_IbLb0EEEEDaSL_SM_EUlSL_E_NS1_11comp_targetILNS1_3genE10ELNS1_11target_archE1201ELNS1_3gpuE5ELNS1_3repE0EEENS1_30default_config_static_selectorELNS0_4arch9wavefront6targetE0EEEvT1_,"axG",@progbits,_ZN7rocprim17ROCPRIM_400000_NS6detail17trampoline_kernelINS0_14default_configENS1_20scan_config_selectorIlEEZZNS1_9scan_implILNS1_25lookback_scan_determinismE0ELb0ELb0ES3_PlS8_lN6thrust23THRUST_200600_302600_NS4plusIvEElEEDaPvRmT3_T4_T5_mT6_P12ihipStream_tbENKUlT_T0_E_clISt17integral_constantIbLb1EESP_IbLb0EEEEDaSL_SM_EUlSL_E_NS1_11comp_targetILNS1_3genE10ELNS1_11target_archE1201ELNS1_3gpuE5ELNS1_3repE0EEENS1_30default_config_static_selectorELNS0_4arch9wavefront6targetE0EEEvT1_,comdat
	.protected	_ZN7rocprim17ROCPRIM_400000_NS6detail17trampoline_kernelINS0_14default_configENS1_20scan_config_selectorIlEEZZNS1_9scan_implILNS1_25lookback_scan_determinismE0ELb0ELb0ES3_PlS8_lN6thrust23THRUST_200600_302600_NS4plusIvEElEEDaPvRmT3_T4_T5_mT6_P12ihipStream_tbENKUlT_T0_E_clISt17integral_constantIbLb1EESP_IbLb0EEEEDaSL_SM_EUlSL_E_NS1_11comp_targetILNS1_3genE10ELNS1_11target_archE1201ELNS1_3gpuE5ELNS1_3repE0EEENS1_30default_config_static_selectorELNS0_4arch9wavefront6targetE0EEEvT1_ ; -- Begin function _ZN7rocprim17ROCPRIM_400000_NS6detail17trampoline_kernelINS0_14default_configENS1_20scan_config_selectorIlEEZZNS1_9scan_implILNS1_25lookback_scan_determinismE0ELb0ELb0ES3_PlS8_lN6thrust23THRUST_200600_302600_NS4plusIvEElEEDaPvRmT3_T4_T5_mT6_P12ihipStream_tbENKUlT_T0_E_clISt17integral_constantIbLb1EESP_IbLb0EEEEDaSL_SM_EUlSL_E_NS1_11comp_targetILNS1_3genE10ELNS1_11target_archE1201ELNS1_3gpuE5ELNS1_3repE0EEENS1_30default_config_static_selectorELNS0_4arch9wavefront6targetE0EEEvT1_
	.globl	_ZN7rocprim17ROCPRIM_400000_NS6detail17trampoline_kernelINS0_14default_configENS1_20scan_config_selectorIlEEZZNS1_9scan_implILNS1_25lookback_scan_determinismE0ELb0ELb0ES3_PlS8_lN6thrust23THRUST_200600_302600_NS4plusIvEElEEDaPvRmT3_T4_T5_mT6_P12ihipStream_tbENKUlT_T0_E_clISt17integral_constantIbLb1EESP_IbLb0EEEEDaSL_SM_EUlSL_E_NS1_11comp_targetILNS1_3genE10ELNS1_11target_archE1201ELNS1_3gpuE5ELNS1_3repE0EEENS1_30default_config_static_selectorELNS0_4arch9wavefront6targetE0EEEvT1_
	.p2align	8
	.type	_ZN7rocprim17ROCPRIM_400000_NS6detail17trampoline_kernelINS0_14default_configENS1_20scan_config_selectorIlEEZZNS1_9scan_implILNS1_25lookback_scan_determinismE0ELb0ELb0ES3_PlS8_lN6thrust23THRUST_200600_302600_NS4plusIvEElEEDaPvRmT3_T4_T5_mT6_P12ihipStream_tbENKUlT_T0_E_clISt17integral_constantIbLb1EESP_IbLb0EEEEDaSL_SM_EUlSL_E_NS1_11comp_targetILNS1_3genE10ELNS1_11target_archE1201ELNS1_3gpuE5ELNS1_3repE0EEENS1_30default_config_static_selectorELNS0_4arch9wavefront6targetE0EEEvT1_,@function
_ZN7rocprim17ROCPRIM_400000_NS6detail17trampoline_kernelINS0_14default_configENS1_20scan_config_selectorIlEEZZNS1_9scan_implILNS1_25lookback_scan_determinismE0ELb0ELb0ES3_PlS8_lN6thrust23THRUST_200600_302600_NS4plusIvEElEEDaPvRmT3_T4_T5_mT6_P12ihipStream_tbENKUlT_T0_E_clISt17integral_constantIbLb1EESP_IbLb0EEEEDaSL_SM_EUlSL_E_NS1_11comp_targetILNS1_3genE10ELNS1_11target_archE1201ELNS1_3gpuE5ELNS1_3repE0EEENS1_30default_config_static_selectorELNS0_4arch9wavefront6targetE0EEEvT1_: ; @_ZN7rocprim17ROCPRIM_400000_NS6detail17trampoline_kernelINS0_14default_configENS1_20scan_config_selectorIlEEZZNS1_9scan_implILNS1_25lookback_scan_determinismE0ELb0ELb0ES3_PlS8_lN6thrust23THRUST_200600_302600_NS4plusIvEElEEDaPvRmT3_T4_T5_mT6_P12ihipStream_tbENKUlT_T0_E_clISt17integral_constantIbLb1EESP_IbLb0EEEEDaSL_SM_EUlSL_E_NS1_11comp_targetILNS1_3genE10ELNS1_11target_archE1201ELNS1_3gpuE5ELNS1_3repE0EEENS1_30default_config_static_selectorELNS0_4arch9wavefront6targetE0EEEvT1_
; %bb.0:
	.section	.rodata,"a",@progbits
	.p2align	6, 0x0
	.amdhsa_kernel _ZN7rocprim17ROCPRIM_400000_NS6detail17trampoline_kernelINS0_14default_configENS1_20scan_config_selectorIlEEZZNS1_9scan_implILNS1_25lookback_scan_determinismE0ELb0ELb0ES3_PlS8_lN6thrust23THRUST_200600_302600_NS4plusIvEElEEDaPvRmT3_T4_T5_mT6_P12ihipStream_tbENKUlT_T0_E_clISt17integral_constantIbLb1EESP_IbLb0EEEEDaSL_SM_EUlSL_E_NS1_11comp_targetILNS1_3genE10ELNS1_11target_archE1201ELNS1_3gpuE5ELNS1_3repE0EEENS1_30default_config_static_selectorELNS0_4arch9wavefront6targetE0EEEvT1_
		.amdhsa_group_segment_fixed_size 0
		.amdhsa_private_segment_fixed_size 0
		.amdhsa_kernarg_size 104
		.amdhsa_user_sgpr_count 2
		.amdhsa_user_sgpr_dispatch_ptr 0
		.amdhsa_user_sgpr_queue_ptr 0
		.amdhsa_user_sgpr_kernarg_segment_ptr 1
		.amdhsa_user_sgpr_dispatch_id 0
		.amdhsa_user_sgpr_kernarg_preload_length 0
		.amdhsa_user_sgpr_kernarg_preload_offset 0
		.amdhsa_user_sgpr_private_segment_size 0
		.amdhsa_wavefront_size32 1
		.amdhsa_uses_dynamic_stack 0
		.amdhsa_enable_private_segment 0
		.amdhsa_system_sgpr_workgroup_id_x 1
		.amdhsa_system_sgpr_workgroup_id_y 0
		.amdhsa_system_sgpr_workgroup_id_z 0
		.amdhsa_system_sgpr_workgroup_info 0
		.amdhsa_system_vgpr_workitem_id 0
		.amdhsa_next_free_vgpr 1
		.amdhsa_next_free_sgpr 1
		.amdhsa_named_barrier_count 0
		.amdhsa_reserve_vcc 0
		.amdhsa_float_round_mode_32 0
		.amdhsa_float_round_mode_16_64 0
		.amdhsa_float_denorm_mode_32 3
		.amdhsa_float_denorm_mode_16_64 3
		.amdhsa_fp16_overflow 0
		.amdhsa_memory_ordered 1
		.amdhsa_forward_progress 1
		.amdhsa_inst_pref_size 0
		.amdhsa_round_robin_scheduling 0
		.amdhsa_exception_fp_ieee_invalid_op 0
		.amdhsa_exception_fp_denorm_src 0
		.amdhsa_exception_fp_ieee_div_zero 0
		.amdhsa_exception_fp_ieee_overflow 0
		.amdhsa_exception_fp_ieee_underflow 0
		.amdhsa_exception_fp_ieee_inexact 0
		.amdhsa_exception_int_div_zero 0
	.end_amdhsa_kernel
	.section	.text._ZN7rocprim17ROCPRIM_400000_NS6detail17trampoline_kernelINS0_14default_configENS1_20scan_config_selectorIlEEZZNS1_9scan_implILNS1_25lookback_scan_determinismE0ELb0ELb0ES3_PlS8_lN6thrust23THRUST_200600_302600_NS4plusIvEElEEDaPvRmT3_T4_T5_mT6_P12ihipStream_tbENKUlT_T0_E_clISt17integral_constantIbLb1EESP_IbLb0EEEEDaSL_SM_EUlSL_E_NS1_11comp_targetILNS1_3genE10ELNS1_11target_archE1201ELNS1_3gpuE5ELNS1_3repE0EEENS1_30default_config_static_selectorELNS0_4arch9wavefront6targetE0EEEvT1_,"axG",@progbits,_ZN7rocprim17ROCPRIM_400000_NS6detail17trampoline_kernelINS0_14default_configENS1_20scan_config_selectorIlEEZZNS1_9scan_implILNS1_25lookback_scan_determinismE0ELb0ELb0ES3_PlS8_lN6thrust23THRUST_200600_302600_NS4plusIvEElEEDaPvRmT3_T4_T5_mT6_P12ihipStream_tbENKUlT_T0_E_clISt17integral_constantIbLb1EESP_IbLb0EEEEDaSL_SM_EUlSL_E_NS1_11comp_targetILNS1_3genE10ELNS1_11target_archE1201ELNS1_3gpuE5ELNS1_3repE0EEENS1_30default_config_static_selectorELNS0_4arch9wavefront6targetE0EEEvT1_,comdat
.Lfunc_end127:
	.size	_ZN7rocprim17ROCPRIM_400000_NS6detail17trampoline_kernelINS0_14default_configENS1_20scan_config_selectorIlEEZZNS1_9scan_implILNS1_25lookback_scan_determinismE0ELb0ELb0ES3_PlS8_lN6thrust23THRUST_200600_302600_NS4plusIvEElEEDaPvRmT3_T4_T5_mT6_P12ihipStream_tbENKUlT_T0_E_clISt17integral_constantIbLb1EESP_IbLb0EEEEDaSL_SM_EUlSL_E_NS1_11comp_targetILNS1_3genE10ELNS1_11target_archE1201ELNS1_3gpuE5ELNS1_3repE0EEENS1_30default_config_static_selectorELNS0_4arch9wavefront6targetE0EEEvT1_, .Lfunc_end127-_ZN7rocprim17ROCPRIM_400000_NS6detail17trampoline_kernelINS0_14default_configENS1_20scan_config_selectorIlEEZZNS1_9scan_implILNS1_25lookback_scan_determinismE0ELb0ELb0ES3_PlS8_lN6thrust23THRUST_200600_302600_NS4plusIvEElEEDaPvRmT3_T4_T5_mT6_P12ihipStream_tbENKUlT_T0_E_clISt17integral_constantIbLb1EESP_IbLb0EEEEDaSL_SM_EUlSL_E_NS1_11comp_targetILNS1_3genE10ELNS1_11target_archE1201ELNS1_3gpuE5ELNS1_3repE0EEENS1_30default_config_static_selectorELNS0_4arch9wavefront6targetE0EEEvT1_
                                        ; -- End function
	.set _ZN7rocprim17ROCPRIM_400000_NS6detail17trampoline_kernelINS0_14default_configENS1_20scan_config_selectorIlEEZZNS1_9scan_implILNS1_25lookback_scan_determinismE0ELb0ELb0ES3_PlS8_lN6thrust23THRUST_200600_302600_NS4plusIvEElEEDaPvRmT3_T4_T5_mT6_P12ihipStream_tbENKUlT_T0_E_clISt17integral_constantIbLb1EESP_IbLb0EEEEDaSL_SM_EUlSL_E_NS1_11comp_targetILNS1_3genE10ELNS1_11target_archE1201ELNS1_3gpuE5ELNS1_3repE0EEENS1_30default_config_static_selectorELNS0_4arch9wavefront6targetE0EEEvT1_.num_vgpr, 0
	.set _ZN7rocprim17ROCPRIM_400000_NS6detail17trampoline_kernelINS0_14default_configENS1_20scan_config_selectorIlEEZZNS1_9scan_implILNS1_25lookback_scan_determinismE0ELb0ELb0ES3_PlS8_lN6thrust23THRUST_200600_302600_NS4plusIvEElEEDaPvRmT3_T4_T5_mT6_P12ihipStream_tbENKUlT_T0_E_clISt17integral_constantIbLb1EESP_IbLb0EEEEDaSL_SM_EUlSL_E_NS1_11comp_targetILNS1_3genE10ELNS1_11target_archE1201ELNS1_3gpuE5ELNS1_3repE0EEENS1_30default_config_static_selectorELNS0_4arch9wavefront6targetE0EEEvT1_.num_agpr, 0
	.set _ZN7rocprim17ROCPRIM_400000_NS6detail17trampoline_kernelINS0_14default_configENS1_20scan_config_selectorIlEEZZNS1_9scan_implILNS1_25lookback_scan_determinismE0ELb0ELb0ES3_PlS8_lN6thrust23THRUST_200600_302600_NS4plusIvEElEEDaPvRmT3_T4_T5_mT6_P12ihipStream_tbENKUlT_T0_E_clISt17integral_constantIbLb1EESP_IbLb0EEEEDaSL_SM_EUlSL_E_NS1_11comp_targetILNS1_3genE10ELNS1_11target_archE1201ELNS1_3gpuE5ELNS1_3repE0EEENS1_30default_config_static_selectorELNS0_4arch9wavefront6targetE0EEEvT1_.numbered_sgpr, 0
	.set _ZN7rocprim17ROCPRIM_400000_NS6detail17trampoline_kernelINS0_14default_configENS1_20scan_config_selectorIlEEZZNS1_9scan_implILNS1_25lookback_scan_determinismE0ELb0ELb0ES3_PlS8_lN6thrust23THRUST_200600_302600_NS4plusIvEElEEDaPvRmT3_T4_T5_mT6_P12ihipStream_tbENKUlT_T0_E_clISt17integral_constantIbLb1EESP_IbLb0EEEEDaSL_SM_EUlSL_E_NS1_11comp_targetILNS1_3genE10ELNS1_11target_archE1201ELNS1_3gpuE5ELNS1_3repE0EEENS1_30default_config_static_selectorELNS0_4arch9wavefront6targetE0EEEvT1_.num_named_barrier, 0
	.set _ZN7rocprim17ROCPRIM_400000_NS6detail17trampoline_kernelINS0_14default_configENS1_20scan_config_selectorIlEEZZNS1_9scan_implILNS1_25lookback_scan_determinismE0ELb0ELb0ES3_PlS8_lN6thrust23THRUST_200600_302600_NS4plusIvEElEEDaPvRmT3_T4_T5_mT6_P12ihipStream_tbENKUlT_T0_E_clISt17integral_constantIbLb1EESP_IbLb0EEEEDaSL_SM_EUlSL_E_NS1_11comp_targetILNS1_3genE10ELNS1_11target_archE1201ELNS1_3gpuE5ELNS1_3repE0EEENS1_30default_config_static_selectorELNS0_4arch9wavefront6targetE0EEEvT1_.private_seg_size, 0
	.set _ZN7rocprim17ROCPRIM_400000_NS6detail17trampoline_kernelINS0_14default_configENS1_20scan_config_selectorIlEEZZNS1_9scan_implILNS1_25lookback_scan_determinismE0ELb0ELb0ES3_PlS8_lN6thrust23THRUST_200600_302600_NS4plusIvEElEEDaPvRmT3_T4_T5_mT6_P12ihipStream_tbENKUlT_T0_E_clISt17integral_constantIbLb1EESP_IbLb0EEEEDaSL_SM_EUlSL_E_NS1_11comp_targetILNS1_3genE10ELNS1_11target_archE1201ELNS1_3gpuE5ELNS1_3repE0EEENS1_30default_config_static_selectorELNS0_4arch9wavefront6targetE0EEEvT1_.uses_vcc, 0
	.set _ZN7rocprim17ROCPRIM_400000_NS6detail17trampoline_kernelINS0_14default_configENS1_20scan_config_selectorIlEEZZNS1_9scan_implILNS1_25lookback_scan_determinismE0ELb0ELb0ES3_PlS8_lN6thrust23THRUST_200600_302600_NS4plusIvEElEEDaPvRmT3_T4_T5_mT6_P12ihipStream_tbENKUlT_T0_E_clISt17integral_constantIbLb1EESP_IbLb0EEEEDaSL_SM_EUlSL_E_NS1_11comp_targetILNS1_3genE10ELNS1_11target_archE1201ELNS1_3gpuE5ELNS1_3repE0EEENS1_30default_config_static_selectorELNS0_4arch9wavefront6targetE0EEEvT1_.uses_flat_scratch, 0
	.set _ZN7rocprim17ROCPRIM_400000_NS6detail17trampoline_kernelINS0_14default_configENS1_20scan_config_selectorIlEEZZNS1_9scan_implILNS1_25lookback_scan_determinismE0ELb0ELb0ES3_PlS8_lN6thrust23THRUST_200600_302600_NS4plusIvEElEEDaPvRmT3_T4_T5_mT6_P12ihipStream_tbENKUlT_T0_E_clISt17integral_constantIbLb1EESP_IbLb0EEEEDaSL_SM_EUlSL_E_NS1_11comp_targetILNS1_3genE10ELNS1_11target_archE1201ELNS1_3gpuE5ELNS1_3repE0EEENS1_30default_config_static_selectorELNS0_4arch9wavefront6targetE0EEEvT1_.has_dyn_sized_stack, 0
	.set _ZN7rocprim17ROCPRIM_400000_NS6detail17trampoline_kernelINS0_14default_configENS1_20scan_config_selectorIlEEZZNS1_9scan_implILNS1_25lookback_scan_determinismE0ELb0ELb0ES3_PlS8_lN6thrust23THRUST_200600_302600_NS4plusIvEElEEDaPvRmT3_T4_T5_mT6_P12ihipStream_tbENKUlT_T0_E_clISt17integral_constantIbLb1EESP_IbLb0EEEEDaSL_SM_EUlSL_E_NS1_11comp_targetILNS1_3genE10ELNS1_11target_archE1201ELNS1_3gpuE5ELNS1_3repE0EEENS1_30default_config_static_selectorELNS0_4arch9wavefront6targetE0EEEvT1_.has_recursion, 0
	.set _ZN7rocprim17ROCPRIM_400000_NS6detail17trampoline_kernelINS0_14default_configENS1_20scan_config_selectorIlEEZZNS1_9scan_implILNS1_25lookback_scan_determinismE0ELb0ELb0ES3_PlS8_lN6thrust23THRUST_200600_302600_NS4plusIvEElEEDaPvRmT3_T4_T5_mT6_P12ihipStream_tbENKUlT_T0_E_clISt17integral_constantIbLb1EESP_IbLb0EEEEDaSL_SM_EUlSL_E_NS1_11comp_targetILNS1_3genE10ELNS1_11target_archE1201ELNS1_3gpuE5ELNS1_3repE0EEENS1_30default_config_static_selectorELNS0_4arch9wavefront6targetE0EEEvT1_.has_indirect_call, 0
	.section	.AMDGPU.csdata,"",@progbits
; Kernel info:
; codeLenInByte = 0
; TotalNumSgprs: 0
; NumVgprs: 0
; ScratchSize: 0
; MemoryBound: 0
; FloatMode: 240
; IeeeMode: 1
; LDSByteSize: 0 bytes/workgroup (compile time only)
; SGPRBlocks: 0
; VGPRBlocks: 0
; NumSGPRsForWavesPerEU: 1
; NumVGPRsForWavesPerEU: 1
; NamedBarCnt: 0
; Occupancy: 16
; WaveLimiterHint : 0
; COMPUTE_PGM_RSRC2:SCRATCH_EN: 0
; COMPUTE_PGM_RSRC2:USER_SGPR: 2
; COMPUTE_PGM_RSRC2:TRAP_HANDLER: 0
; COMPUTE_PGM_RSRC2:TGID_X_EN: 1
; COMPUTE_PGM_RSRC2:TGID_Y_EN: 0
; COMPUTE_PGM_RSRC2:TGID_Z_EN: 0
; COMPUTE_PGM_RSRC2:TIDIG_COMP_CNT: 0
	.section	.text._ZN7rocprim17ROCPRIM_400000_NS6detail17trampoline_kernelINS0_14default_configENS1_20scan_config_selectorIlEEZZNS1_9scan_implILNS1_25lookback_scan_determinismE0ELb0ELb0ES3_PlS8_lN6thrust23THRUST_200600_302600_NS4plusIvEElEEDaPvRmT3_T4_T5_mT6_P12ihipStream_tbENKUlT_T0_E_clISt17integral_constantIbLb1EESP_IbLb0EEEEDaSL_SM_EUlSL_E_NS1_11comp_targetILNS1_3genE10ELNS1_11target_archE1200ELNS1_3gpuE4ELNS1_3repE0EEENS1_30default_config_static_selectorELNS0_4arch9wavefront6targetE0EEEvT1_,"axG",@progbits,_ZN7rocprim17ROCPRIM_400000_NS6detail17trampoline_kernelINS0_14default_configENS1_20scan_config_selectorIlEEZZNS1_9scan_implILNS1_25lookback_scan_determinismE0ELb0ELb0ES3_PlS8_lN6thrust23THRUST_200600_302600_NS4plusIvEElEEDaPvRmT3_T4_T5_mT6_P12ihipStream_tbENKUlT_T0_E_clISt17integral_constantIbLb1EESP_IbLb0EEEEDaSL_SM_EUlSL_E_NS1_11comp_targetILNS1_3genE10ELNS1_11target_archE1200ELNS1_3gpuE4ELNS1_3repE0EEENS1_30default_config_static_selectorELNS0_4arch9wavefront6targetE0EEEvT1_,comdat
	.protected	_ZN7rocprim17ROCPRIM_400000_NS6detail17trampoline_kernelINS0_14default_configENS1_20scan_config_selectorIlEEZZNS1_9scan_implILNS1_25lookback_scan_determinismE0ELb0ELb0ES3_PlS8_lN6thrust23THRUST_200600_302600_NS4plusIvEElEEDaPvRmT3_T4_T5_mT6_P12ihipStream_tbENKUlT_T0_E_clISt17integral_constantIbLb1EESP_IbLb0EEEEDaSL_SM_EUlSL_E_NS1_11comp_targetILNS1_3genE10ELNS1_11target_archE1200ELNS1_3gpuE4ELNS1_3repE0EEENS1_30default_config_static_selectorELNS0_4arch9wavefront6targetE0EEEvT1_ ; -- Begin function _ZN7rocprim17ROCPRIM_400000_NS6detail17trampoline_kernelINS0_14default_configENS1_20scan_config_selectorIlEEZZNS1_9scan_implILNS1_25lookback_scan_determinismE0ELb0ELb0ES3_PlS8_lN6thrust23THRUST_200600_302600_NS4plusIvEElEEDaPvRmT3_T4_T5_mT6_P12ihipStream_tbENKUlT_T0_E_clISt17integral_constantIbLb1EESP_IbLb0EEEEDaSL_SM_EUlSL_E_NS1_11comp_targetILNS1_3genE10ELNS1_11target_archE1200ELNS1_3gpuE4ELNS1_3repE0EEENS1_30default_config_static_selectorELNS0_4arch9wavefront6targetE0EEEvT1_
	.globl	_ZN7rocprim17ROCPRIM_400000_NS6detail17trampoline_kernelINS0_14default_configENS1_20scan_config_selectorIlEEZZNS1_9scan_implILNS1_25lookback_scan_determinismE0ELb0ELb0ES3_PlS8_lN6thrust23THRUST_200600_302600_NS4plusIvEElEEDaPvRmT3_T4_T5_mT6_P12ihipStream_tbENKUlT_T0_E_clISt17integral_constantIbLb1EESP_IbLb0EEEEDaSL_SM_EUlSL_E_NS1_11comp_targetILNS1_3genE10ELNS1_11target_archE1200ELNS1_3gpuE4ELNS1_3repE0EEENS1_30default_config_static_selectorELNS0_4arch9wavefront6targetE0EEEvT1_
	.p2align	8
	.type	_ZN7rocprim17ROCPRIM_400000_NS6detail17trampoline_kernelINS0_14default_configENS1_20scan_config_selectorIlEEZZNS1_9scan_implILNS1_25lookback_scan_determinismE0ELb0ELb0ES3_PlS8_lN6thrust23THRUST_200600_302600_NS4plusIvEElEEDaPvRmT3_T4_T5_mT6_P12ihipStream_tbENKUlT_T0_E_clISt17integral_constantIbLb1EESP_IbLb0EEEEDaSL_SM_EUlSL_E_NS1_11comp_targetILNS1_3genE10ELNS1_11target_archE1200ELNS1_3gpuE4ELNS1_3repE0EEENS1_30default_config_static_selectorELNS0_4arch9wavefront6targetE0EEEvT1_,@function
_ZN7rocprim17ROCPRIM_400000_NS6detail17trampoline_kernelINS0_14default_configENS1_20scan_config_selectorIlEEZZNS1_9scan_implILNS1_25lookback_scan_determinismE0ELb0ELb0ES3_PlS8_lN6thrust23THRUST_200600_302600_NS4plusIvEElEEDaPvRmT3_T4_T5_mT6_P12ihipStream_tbENKUlT_T0_E_clISt17integral_constantIbLb1EESP_IbLb0EEEEDaSL_SM_EUlSL_E_NS1_11comp_targetILNS1_3genE10ELNS1_11target_archE1200ELNS1_3gpuE4ELNS1_3repE0EEENS1_30default_config_static_selectorELNS0_4arch9wavefront6targetE0EEEvT1_: ; @_ZN7rocprim17ROCPRIM_400000_NS6detail17trampoline_kernelINS0_14default_configENS1_20scan_config_selectorIlEEZZNS1_9scan_implILNS1_25lookback_scan_determinismE0ELb0ELb0ES3_PlS8_lN6thrust23THRUST_200600_302600_NS4plusIvEElEEDaPvRmT3_T4_T5_mT6_P12ihipStream_tbENKUlT_T0_E_clISt17integral_constantIbLb1EESP_IbLb0EEEEDaSL_SM_EUlSL_E_NS1_11comp_targetILNS1_3genE10ELNS1_11target_archE1200ELNS1_3gpuE4ELNS1_3repE0EEENS1_30default_config_static_selectorELNS0_4arch9wavefront6targetE0EEEvT1_
; %bb.0:
	.section	.rodata,"a",@progbits
	.p2align	6, 0x0
	.amdhsa_kernel _ZN7rocprim17ROCPRIM_400000_NS6detail17trampoline_kernelINS0_14default_configENS1_20scan_config_selectorIlEEZZNS1_9scan_implILNS1_25lookback_scan_determinismE0ELb0ELb0ES3_PlS8_lN6thrust23THRUST_200600_302600_NS4plusIvEElEEDaPvRmT3_T4_T5_mT6_P12ihipStream_tbENKUlT_T0_E_clISt17integral_constantIbLb1EESP_IbLb0EEEEDaSL_SM_EUlSL_E_NS1_11comp_targetILNS1_3genE10ELNS1_11target_archE1200ELNS1_3gpuE4ELNS1_3repE0EEENS1_30default_config_static_selectorELNS0_4arch9wavefront6targetE0EEEvT1_
		.amdhsa_group_segment_fixed_size 0
		.amdhsa_private_segment_fixed_size 0
		.amdhsa_kernarg_size 104
		.amdhsa_user_sgpr_count 2
		.amdhsa_user_sgpr_dispatch_ptr 0
		.amdhsa_user_sgpr_queue_ptr 0
		.amdhsa_user_sgpr_kernarg_segment_ptr 1
		.amdhsa_user_sgpr_dispatch_id 0
		.amdhsa_user_sgpr_kernarg_preload_length 0
		.amdhsa_user_sgpr_kernarg_preload_offset 0
		.amdhsa_user_sgpr_private_segment_size 0
		.amdhsa_wavefront_size32 1
		.amdhsa_uses_dynamic_stack 0
		.amdhsa_enable_private_segment 0
		.amdhsa_system_sgpr_workgroup_id_x 1
		.amdhsa_system_sgpr_workgroup_id_y 0
		.amdhsa_system_sgpr_workgroup_id_z 0
		.amdhsa_system_sgpr_workgroup_info 0
		.amdhsa_system_vgpr_workitem_id 0
		.amdhsa_next_free_vgpr 1
		.amdhsa_next_free_sgpr 1
		.amdhsa_named_barrier_count 0
		.amdhsa_reserve_vcc 0
		.amdhsa_float_round_mode_32 0
		.amdhsa_float_round_mode_16_64 0
		.amdhsa_float_denorm_mode_32 3
		.amdhsa_float_denorm_mode_16_64 3
		.amdhsa_fp16_overflow 0
		.amdhsa_memory_ordered 1
		.amdhsa_forward_progress 1
		.amdhsa_inst_pref_size 0
		.amdhsa_round_robin_scheduling 0
		.amdhsa_exception_fp_ieee_invalid_op 0
		.amdhsa_exception_fp_denorm_src 0
		.amdhsa_exception_fp_ieee_div_zero 0
		.amdhsa_exception_fp_ieee_overflow 0
		.amdhsa_exception_fp_ieee_underflow 0
		.amdhsa_exception_fp_ieee_inexact 0
		.amdhsa_exception_int_div_zero 0
	.end_amdhsa_kernel
	.section	.text._ZN7rocprim17ROCPRIM_400000_NS6detail17trampoline_kernelINS0_14default_configENS1_20scan_config_selectorIlEEZZNS1_9scan_implILNS1_25lookback_scan_determinismE0ELb0ELb0ES3_PlS8_lN6thrust23THRUST_200600_302600_NS4plusIvEElEEDaPvRmT3_T4_T5_mT6_P12ihipStream_tbENKUlT_T0_E_clISt17integral_constantIbLb1EESP_IbLb0EEEEDaSL_SM_EUlSL_E_NS1_11comp_targetILNS1_3genE10ELNS1_11target_archE1200ELNS1_3gpuE4ELNS1_3repE0EEENS1_30default_config_static_selectorELNS0_4arch9wavefront6targetE0EEEvT1_,"axG",@progbits,_ZN7rocprim17ROCPRIM_400000_NS6detail17trampoline_kernelINS0_14default_configENS1_20scan_config_selectorIlEEZZNS1_9scan_implILNS1_25lookback_scan_determinismE0ELb0ELb0ES3_PlS8_lN6thrust23THRUST_200600_302600_NS4plusIvEElEEDaPvRmT3_T4_T5_mT6_P12ihipStream_tbENKUlT_T0_E_clISt17integral_constantIbLb1EESP_IbLb0EEEEDaSL_SM_EUlSL_E_NS1_11comp_targetILNS1_3genE10ELNS1_11target_archE1200ELNS1_3gpuE4ELNS1_3repE0EEENS1_30default_config_static_selectorELNS0_4arch9wavefront6targetE0EEEvT1_,comdat
.Lfunc_end128:
	.size	_ZN7rocprim17ROCPRIM_400000_NS6detail17trampoline_kernelINS0_14default_configENS1_20scan_config_selectorIlEEZZNS1_9scan_implILNS1_25lookback_scan_determinismE0ELb0ELb0ES3_PlS8_lN6thrust23THRUST_200600_302600_NS4plusIvEElEEDaPvRmT3_T4_T5_mT6_P12ihipStream_tbENKUlT_T0_E_clISt17integral_constantIbLb1EESP_IbLb0EEEEDaSL_SM_EUlSL_E_NS1_11comp_targetILNS1_3genE10ELNS1_11target_archE1200ELNS1_3gpuE4ELNS1_3repE0EEENS1_30default_config_static_selectorELNS0_4arch9wavefront6targetE0EEEvT1_, .Lfunc_end128-_ZN7rocprim17ROCPRIM_400000_NS6detail17trampoline_kernelINS0_14default_configENS1_20scan_config_selectorIlEEZZNS1_9scan_implILNS1_25lookback_scan_determinismE0ELb0ELb0ES3_PlS8_lN6thrust23THRUST_200600_302600_NS4plusIvEElEEDaPvRmT3_T4_T5_mT6_P12ihipStream_tbENKUlT_T0_E_clISt17integral_constantIbLb1EESP_IbLb0EEEEDaSL_SM_EUlSL_E_NS1_11comp_targetILNS1_3genE10ELNS1_11target_archE1200ELNS1_3gpuE4ELNS1_3repE0EEENS1_30default_config_static_selectorELNS0_4arch9wavefront6targetE0EEEvT1_
                                        ; -- End function
	.set _ZN7rocprim17ROCPRIM_400000_NS6detail17trampoline_kernelINS0_14default_configENS1_20scan_config_selectorIlEEZZNS1_9scan_implILNS1_25lookback_scan_determinismE0ELb0ELb0ES3_PlS8_lN6thrust23THRUST_200600_302600_NS4plusIvEElEEDaPvRmT3_T4_T5_mT6_P12ihipStream_tbENKUlT_T0_E_clISt17integral_constantIbLb1EESP_IbLb0EEEEDaSL_SM_EUlSL_E_NS1_11comp_targetILNS1_3genE10ELNS1_11target_archE1200ELNS1_3gpuE4ELNS1_3repE0EEENS1_30default_config_static_selectorELNS0_4arch9wavefront6targetE0EEEvT1_.num_vgpr, 0
	.set _ZN7rocprim17ROCPRIM_400000_NS6detail17trampoline_kernelINS0_14default_configENS1_20scan_config_selectorIlEEZZNS1_9scan_implILNS1_25lookback_scan_determinismE0ELb0ELb0ES3_PlS8_lN6thrust23THRUST_200600_302600_NS4plusIvEElEEDaPvRmT3_T4_T5_mT6_P12ihipStream_tbENKUlT_T0_E_clISt17integral_constantIbLb1EESP_IbLb0EEEEDaSL_SM_EUlSL_E_NS1_11comp_targetILNS1_3genE10ELNS1_11target_archE1200ELNS1_3gpuE4ELNS1_3repE0EEENS1_30default_config_static_selectorELNS0_4arch9wavefront6targetE0EEEvT1_.num_agpr, 0
	.set _ZN7rocprim17ROCPRIM_400000_NS6detail17trampoline_kernelINS0_14default_configENS1_20scan_config_selectorIlEEZZNS1_9scan_implILNS1_25lookback_scan_determinismE0ELb0ELb0ES3_PlS8_lN6thrust23THRUST_200600_302600_NS4plusIvEElEEDaPvRmT3_T4_T5_mT6_P12ihipStream_tbENKUlT_T0_E_clISt17integral_constantIbLb1EESP_IbLb0EEEEDaSL_SM_EUlSL_E_NS1_11comp_targetILNS1_3genE10ELNS1_11target_archE1200ELNS1_3gpuE4ELNS1_3repE0EEENS1_30default_config_static_selectorELNS0_4arch9wavefront6targetE0EEEvT1_.numbered_sgpr, 0
	.set _ZN7rocprim17ROCPRIM_400000_NS6detail17trampoline_kernelINS0_14default_configENS1_20scan_config_selectorIlEEZZNS1_9scan_implILNS1_25lookback_scan_determinismE0ELb0ELb0ES3_PlS8_lN6thrust23THRUST_200600_302600_NS4plusIvEElEEDaPvRmT3_T4_T5_mT6_P12ihipStream_tbENKUlT_T0_E_clISt17integral_constantIbLb1EESP_IbLb0EEEEDaSL_SM_EUlSL_E_NS1_11comp_targetILNS1_3genE10ELNS1_11target_archE1200ELNS1_3gpuE4ELNS1_3repE0EEENS1_30default_config_static_selectorELNS0_4arch9wavefront6targetE0EEEvT1_.num_named_barrier, 0
	.set _ZN7rocprim17ROCPRIM_400000_NS6detail17trampoline_kernelINS0_14default_configENS1_20scan_config_selectorIlEEZZNS1_9scan_implILNS1_25lookback_scan_determinismE0ELb0ELb0ES3_PlS8_lN6thrust23THRUST_200600_302600_NS4plusIvEElEEDaPvRmT3_T4_T5_mT6_P12ihipStream_tbENKUlT_T0_E_clISt17integral_constantIbLb1EESP_IbLb0EEEEDaSL_SM_EUlSL_E_NS1_11comp_targetILNS1_3genE10ELNS1_11target_archE1200ELNS1_3gpuE4ELNS1_3repE0EEENS1_30default_config_static_selectorELNS0_4arch9wavefront6targetE0EEEvT1_.private_seg_size, 0
	.set _ZN7rocprim17ROCPRIM_400000_NS6detail17trampoline_kernelINS0_14default_configENS1_20scan_config_selectorIlEEZZNS1_9scan_implILNS1_25lookback_scan_determinismE0ELb0ELb0ES3_PlS8_lN6thrust23THRUST_200600_302600_NS4plusIvEElEEDaPvRmT3_T4_T5_mT6_P12ihipStream_tbENKUlT_T0_E_clISt17integral_constantIbLb1EESP_IbLb0EEEEDaSL_SM_EUlSL_E_NS1_11comp_targetILNS1_3genE10ELNS1_11target_archE1200ELNS1_3gpuE4ELNS1_3repE0EEENS1_30default_config_static_selectorELNS0_4arch9wavefront6targetE0EEEvT1_.uses_vcc, 0
	.set _ZN7rocprim17ROCPRIM_400000_NS6detail17trampoline_kernelINS0_14default_configENS1_20scan_config_selectorIlEEZZNS1_9scan_implILNS1_25lookback_scan_determinismE0ELb0ELb0ES3_PlS8_lN6thrust23THRUST_200600_302600_NS4plusIvEElEEDaPvRmT3_T4_T5_mT6_P12ihipStream_tbENKUlT_T0_E_clISt17integral_constantIbLb1EESP_IbLb0EEEEDaSL_SM_EUlSL_E_NS1_11comp_targetILNS1_3genE10ELNS1_11target_archE1200ELNS1_3gpuE4ELNS1_3repE0EEENS1_30default_config_static_selectorELNS0_4arch9wavefront6targetE0EEEvT1_.uses_flat_scratch, 0
	.set _ZN7rocprim17ROCPRIM_400000_NS6detail17trampoline_kernelINS0_14default_configENS1_20scan_config_selectorIlEEZZNS1_9scan_implILNS1_25lookback_scan_determinismE0ELb0ELb0ES3_PlS8_lN6thrust23THRUST_200600_302600_NS4plusIvEElEEDaPvRmT3_T4_T5_mT6_P12ihipStream_tbENKUlT_T0_E_clISt17integral_constantIbLb1EESP_IbLb0EEEEDaSL_SM_EUlSL_E_NS1_11comp_targetILNS1_3genE10ELNS1_11target_archE1200ELNS1_3gpuE4ELNS1_3repE0EEENS1_30default_config_static_selectorELNS0_4arch9wavefront6targetE0EEEvT1_.has_dyn_sized_stack, 0
	.set _ZN7rocprim17ROCPRIM_400000_NS6detail17trampoline_kernelINS0_14default_configENS1_20scan_config_selectorIlEEZZNS1_9scan_implILNS1_25lookback_scan_determinismE0ELb0ELb0ES3_PlS8_lN6thrust23THRUST_200600_302600_NS4plusIvEElEEDaPvRmT3_T4_T5_mT6_P12ihipStream_tbENKUlT_T0_E_clISt17integral_constantIbLb1EESP_IbLb0EEEEDaSL_SM_EUlSL_E_NS1_11comp_targetILNS1_3genE10ELNS1_11target_archE1200ELNS1_3gpuE4ELNS1_3repE0EEENS1_30default_config_static_selectorELNS0_4arch9wavefront6targetE0EEEvT1_.has_recursion, 0
	.set _ZN7rocprim17ROCPRIM_400000_NS6detail17trampoline_kernelINS0_14default_configENS1_20scan_config_selectorIlEEZZNS1_9scan_implILNS1_25lookback_scan_determinismE0ELb0ELb0ES3_PlS8_lN6thrust23THRUST_200600_302600_NS4plusIvEElEEDaPvRmT3_T4_T5_mT6_P12ihipStream_tbENKUlT_T0_E_clISt17integral_constantIbLb1EESP_IbLb0EEEEDaSL_SM_EUlSL_E_NS1_11comp_targetILNS1_3genE10ELNS1_11target_archE1200ELNS1_3gpuE4ELNS1_3repE0EEENS1_30default_config_static_selectorELNS0_4arch9wavefront6targetE0EEEvT1_.has_indirect_call, 0
	.section	.AMDGPU.csdata,"",@progbits
; Kernel info:
; codeLenInByte = 0
; TotalNumSgprs: 0
; NumVgprs: 0
; ScratchSize: 0
; MemoryBound: 0
; FloatMode: 240
; IeeeMode: 1
; LDSByteSize: 0 bytes/workgroup (compile time only)
; SGPRBlocks: 0
; VGPRBlocks: 0
; NumSGPRsForWavesPerEU: 1
; NumVGPRsForWavesPerEU: 1
; NamedBarCnt: 0
; Occupancy: 16
; WaveLimiterHint : 0
; COMPUTE_PGM_RSRC2:SCRATCH_EN: 0
; COMPUTE_PGM_RSRC2:USER_SGPR: 2
; COMPUTE_PGM_RSRC2:TRAP_HANDLER: 0
; COMPUTE_PGM_RSRC2:TGID_X_EN: 1
; COMPUTE_PGM_RSRC2:TGID_Y_EN: 0
; COMPUTE_PGM_RSRC2:TGID_Z_EN: 0
; COMPUTE_PGM_RSRC2:TIDIG_COMP_CNT: 0
	.section	.text._ZN7rocprim17ROCPRIM_400000_NS6detail17trampoline_kernelINS0_14default_configENS1_20scan_config_selectorIlEEZZNS1_9scan_implILNS1_25lookback_scan_determinismE0ELb0ELb0ES3_PlS8_lN6thrust23THRUST_200600_302600_NS4plusIvEElEEDaPvRmT3_T4_T5_mT6_P12ihipStream_tbENKUlT_T0_E_clISt17integral_constantIbLb1EESP_IbLb0EEEEDaSL_SM_EUlSL_E_NS1_11comp_targetILNS1_3genE9ELNS1_11target_archE1100ELNS1_3gpuE3ELNS1_3repE0EEENS1_30default_config_static_selectorELNS0_4arch9wavefront6targetE0EEEvT1_,"axG",@progbits,_ZN7rocprim17ROCPRIM_400000_NS6detail17trampoline_kernelINS0_14default_configENS1_20scan_config_selectorIlEEZZNS1_9scan_implILNS1_25lookback_scan_determinismE0ELb0ELb0ES3_PlS8_lN6thrust23THRUST_200600_302600_NS4plusIvEElEEDaPvRmT3_T4_T5_mT6_P12ihipStream_tbENKUlT_T0_E_clISt17integral_constantIbLb1EESP_IbLb0EEEEDaSL_SM_EUlSL_E_NS1_11comp_targetILNS1_3genE9ELNS1_11target_archE1100ELNS1_3gpuE3ELNS1_3repE0EEENS1_30default_config_static_selectorELNS0_4arch9wavefront6targetE0EEEvT1_,comdat
	.protected	_ZN7rocprim17ROCPRIM_400000_NS6detail17trampoline_kernelINS0_14default_configENS1_20scan_config_selectorIlEEZZNS1_9scan_implILNS1_25lookback_scan_determinismE0ELb0ELb0ES3_PlS8_lN6thrust23THRUST_200600_302600_NS4plusIvEElEEDaPvRmT3_T4_T5_mT6_P12ihipStream_tbENKUlT_T0_E_clISt17integral_constantIbLb1EESP_IbLb0EEEEDaSL_SM_EUlSL_E_NS1_11comp_targetILNS1_3genE9ELNS1_11target_archE1100ELNS1_3gpuE3ELNS1_3repE0EEENS1_30default_config_static_selectorELNS0_4arch9wavefront6targetE0EEEvT1_ ; -- Begin function _ZN7rocprim17ROCPRIM_400000_NS6detail17trampoline_kernelINS0_14default_configENS1_20scan_config_selectorIlEEZZNS1_9scan_implILNS1_25lookback_scan_determinismE0ELb0ELb0ES3_PlS8_lN6thrust23THRUST_200600_302600_NS4plusIvEElEEDaPvRmT3_T4_T5_mT6_P12ihipStream_tbENKUlT_T0_E_clISt17integral_constantIbLb1EESP_IbLb0EEEEDaSL_SM_EUlSL_E_NS1_11comp_targetILNS1_3genE9ELNS1_11target_archE1100ELNS1_3gpuE3ELNS1_3repE0EEENS1_30default_config_static_selectorELNS0_4arch9wavefront6targetE0EEEvT1_
	.globl	_ZN7rocprim17ROCPRIM_400000_NS6detail17trampoline_kernelINS0_14default_configENS1_20scan_config_selectorIlEEZZNS1_9scan_implILNS1_25lookback_scan_determinismE0ELb0ELb0ES3_PlS8_lN6thrust23THRUST_200600_302600_NS4plusIvEElEEDaPvRmT3_T4_T5_mT6_P12ihipStream_tbENKUlT_T0_E_clISt17integral_constantIbLb1EESP_IbLb0EEEEDaSL_SM_EUlSL_E_NS1_11comp_targetILNS1_3genE9ELNS1_11target_archE1100ELNS1_3gpuE3ELNS1_3repE0EEENS1_30default_config_static_selectorELNS0_4arch9wavefront6targetE0EEEvT1_
	.p2align	8
	.type	_ZN7rocprim17ROCPRIM_400000_NS6detail17trampoline_kernelINS0_14default_configENS1_20scan_config_selectorIlEEZZNS1_9scan_implILNS1_25lookback_scan_determinismE0ELb0ELb0ES3_PlS8_lN6thrust23THRUST_200600_302600_NS4plusIvEElEEDaPvRmT3_T4_T5_mT6_P12ihipStream_tbENKUlT_T0_E_clISt17integral_constantIbLb1EESP_IbLb0EEEEDaSL_SM_EUlSL_E_NS1_11comp_targetILNS1_3genE9ELNS1_11target_archE1100ELNS1_3gpuE3ELNS1_3repE0EEENS1_30default_config_static_selectorELNS0_4arch9wavefront6targetE0EEEvT1_,@function
_ZN7rocprim17ROCPRIM_400000_NS6detail17trampoline_kernelINS0_14default_configENS1_20scan_config_selectorIlEEZZNS1_9scan_implILNS1_25lookback_scan_determinismE0ELb0ELb0ES3_PlS8_lN6thrust23THRUST_200600_302600_NS4plusIvEElEEDaPvRmT3_T4_T5_mT6_P12ihipStream_tbENKUlT_T0_E_clISt17integral_constantIbLb1EESP_IbLb0EEEEDaSL_SM_EUlSL_E_NS1_11comp_targetILNS1_3genE9ELNS1_11target_archE1100ELNS1_3gpuE3ELNS1_3repE0EEENS1_30default_config_static_selectorELNS0_4arch9wavefront6targetE0EEEvT1_: ; @_ZN7rocprim17ROCPRIM_400000_NS6detail17trampoline_kernelINS0_14default_configENS1_20scan_config_selectorIlEEZZNS1_9scan_implILNS1_25lookback_scan_determinismE0ELb0ELb0ES3_PlS8_lN6thrust23THRUST_200600_302600_NS4plusIvEElEEDaPvRmT3_T4_T5_mT6_P12ihipStream_tbENKUlT_T0_E_clISt17integral_constantIbLb1EESP_IbLb0EEEEDaSL_SM_EUlSL_E_NS1_11comp_targetILNS1_3genE9ELNS1_11target_archE1100ELNS1_3gpuE3ELNS1_3repE0EEENS1_30default_config_static_selectorELNS0_4arch9wavefront6targetE0EEEvT1_
; %bb.0:
	.section	.rodata,"a",@progbits
	.p2align	6, 0x0
	.amdhsa_kernel _ZN7rocprim17ROCPRIM_400000_NS6detail17trampoline_kernelINS0_14default_configENS1_20scan_config_selectorIlEEZZNS1_9scan_implILNS1_25lookback_scan_determinismE0ELb0ELb0ES3_PlS8_lN6thrust23THRUST_200600_302600_NS4plusIvEElEEDaPvRmT3_T4_T5_mT6_P12ihipStream_tbENKUlT_T0_E_clISt17integral_constantIbLb1EESP_IbLb0EEEEDaSL_SM_EUlSL_E_NS1_11comp_targetILNS1_3genE9ELNS1_11target_archE1100ELNS1_3gpuE3ELNS1_3repE0EEENS1_30default_config_static_selectorELNS0_4arch9wavefront6targetE0EEEvT1_
		.amdhsa_group_segment_fixed_size 0
		.amdhsa_private_segment_fixed_size 0
		.amdhsa_kernarg_size 104
		.amdhsa_user_sgpr_count 2
		.amdhsa_user_sgpr_dispatch_ptr 0
		.amdhsa_user_sgpr_queue_ptr 0
		.amdhsa_user_sgpr_kernarg_segment_ptr 1
		.amdhsa_user_sgpr_dispatch_id 0
		.amdhsa_user_sgpr_kernarg_preload_length 0
		.amdhsa_user_sgpr_kernarg_preload_offset 0
		.amdhsa_user_sgpr_private_segment_size 0
		.amdhsa_wavefront_size32 1
		.amdhsa_uses_dynamic_stack 0
		.amdhsa_enable_private_segment 0
		.amdhsa_system_sgpr_workgroup_id_x 1
		.amdhsa_system_sgpr_workgroup_id_y 0
		.amdhsa_system_sgpr_workgroup_id_z 0
		.amdhsa_system_sgpr_workgroup_info 0
		.amdhsa_system_vgpr_workitem_id 0
		.amdhsa_next_free_vgpr 1
		.amdhsa_next_free_sgpr 1
		.amdhsa_named_barrier_count 0
		.amdhsa_reserve_vcc 0
		.amdhsa_float_round_mode_32 0
		.amdhsa_float_round_mode_16_64 0
		.amdhsa_float_denorm_mode_32 3
		.amdhsa_float_denorm_mode_16_64 3
		.amdhsa_fp16_overflow 0
		.amdhsa_memory_ordered 1
		.amdhsa_forward_progress 1
		.amdhsa_inst_pref_size 0
		.amdhsa_round_robin_scheduling 0
		.amdhsa_exception_fp_ieee_invalid_op 0
		.amdhsa_exception_fp_denorm_src 0
		.amdhsa_exception_fp_ieee_div_zero 0
		.amdhsa_exception_fp_ieee_overflow 0
		.amdhsa_exception_fp_ieee_underflow 0
		.amdhsa_exception_fp_ieee_inexact 0
		.amdhsa_exception_int_div_zero 0
	.end_amdhsa_kernel
	.section	.text._ZN7rocprim17ROCPRIM_400000_NS6detail17trampoline_kernelINS0_14default_configENS1_20scan_config_selectorIlEEZZNS1_9scan_implILNS1_25lookback_scan_determinismE0ELb0ELb0ES3_PlS8_lN6thrust23THRUST_200600_302600_NS4plusIvEElEEDaPvRmT3_T4_T5_mT6_P12ihipStream_tbENKUlT_T0_E_clISt17integral_constantIbLb1EESP_IbLb0EEEEDaSL_SM_EUlSL_E_NS1_11comp_targetILNS1_3genE9ELNS1_11target_archE1100ELNS1_3gpuE3ELNS1_3repE0EEENS1_30default_config_static_selectorELNS0_4arch9wavefront6targetE0EEEvT1_,"axG",@progbits,_ZN7rocprim17ROCPRIM_400000_NS6detail17trampoline_kernelINS0_14default_configENS1_20scan_config_selectorIlEEZZNS1_9scan_implILNS1_25lookback_scan_determinismE0ELb0ELb0ES3_PlS8_lN6thrust23THRUST_200600_302600_NS4plusIvEElEEDaPvRmT3_T4_T5_mT6_P12ihipStream_tbENKUlT_T0_E_clISt17integral_constantIbLb1EESP_IbLb0EEEEDaSL_SM_EUlSL_E_NS1_11comp_targetILNS1_3genE9ELNS1_11target_archE1100ELNS1_3gpuE3ELNS1_3repE0EEENS1_30default_config_static_selectorELNS0_4arch9wavefront6targetE0EEEvT1_,comdat
.Lfunc_end129:
	.size	_ZN7rocprim17ROCPRIM_400000_NS6detail17trampoline_kernelINS0_14default_configENS1_20scan_config_selectorIlEEZZNS1_9scan_implILNS1_25lookback_scan_determinismE0ELb0ELb0ES3_PlS8_lN6thrust23THRUST_200600_302600_NS4plusIvEElEEDaPvRmT3_T4_T5_mT6_P12ihipStream_tbENKUlT_T0_E_clISt17integral_constantIbLb1EESP_IbLb0EEEEDaSL_SM_EUlSL_E_NS1_11comp_targetILNS1_3genE9ELNS1_11target_archE1100ELNS1_3gpuE3ELNS1_3repE0EEENS1_30default_config_static_selectorELNS0_4arch9wavefront6targetE0EEEvT1_, .Lfunc_end129-_ZN7rocprim17ROCPRIM_400000_NS6detail17trampoline_kernelINS0_14default_configENS1_20scan_config_selectorIlEEZZNS1_9scan_implILNS1_25lookback_scan_determinismE0ELb0ELb0ES3_PlS8_lN6thrust23THRUST_200600_302600_NS4plusIvEElEEDaPvRmT3_T4_T5_mT6_P12ihipStream_tbENKUlT_T0_E_clISt17integral_constantIbLb1EESP_IbLb0EEEEDaSL_SM_EUlSL_E_NS1_11comp_targetILNS1_3genE9ELNS1_11target_archE1100ELNS1_3gpuE3ELNS1_3repE0EEENS1_30default_config_static_selectorELNS0_4arch9wavefront6targetE0EEEvT1_
                                        ; -- End function
	.set _ZN7rocprim17ROCPRIM_400000_NS6detail17trampoline_kernelINS0_14default_configENS1_20scan_config_selectorIlEEZZNS1_9scan_implILNS1_25lookback_scan_determinismE0ELb0ELb0ES3_PlS8_lN6thrust23THRUST_200600_302600_NS4plusIvEElEEDaPvRmT3_T4_T5_mT6_P12ihipStream_tbENKUlT_T0_E_clISt17integral_constantIbLb1EESP_IbLb0EEEEDaSL_SM_EUlSL_E_NS1_11comp_targetILNS1_3genE9ELNS1_11target_archE1100ELNS1_3gpuE3ELNS1_3repE0EEENS1_30default_config_static_selectorELNS0_4arch9wavefront6targetE0EEEvT1_.num_vgpr, 0
	.set _ZN7rocprim17ROCPRIM_400000_NS6detail17trampoline_kernelINS0_14default_configENS1_20scan_config_selectorIlEEZZNS1_9scan_implILNS1_25lookback_scan_determinismE0ELb0ELb0ES3_PlS8_lN6thrust23THRUST_200600_302600_NS4plusIvEElEEDaPvRmT3_T4_T5_mT6_P12ihipStream_tbENKUlT_T0_E_clISt17integral_constantIbLb1EESP_IbLb0EEEEDaSL_SM_EUlSL_E_NS1_11comp_targetILNS1_3genE9ELNS1_11target_archE1100ELNS1_3gpuE3ELNS1_3repE0EEENS1_30default_config_static_selectorELNS0_4arch9wavefront6targetE0EEEvT1_.num_agpr, 0
	.set _ZN7rocprim17ROCPRIM_400000_NS6detail17trampoline_kernelINS0_14default_configENS1_20scan_config_selectorIlEEZZNS1_9scan_implILNS1_25lookback_scan_determinismE0ELb0ELb0ES3_PlS8_lN6thrust23THRUST_200600_302600_NS4plusIvEElEEDaPvRmT3_T4_T5_mT6_P12ihipStream_tbENKUlT_T0_E_clISt17integral_constantIbLb1EESP_IbLb0EEEEDaSL_SM_EUlSL_E_NS1_11comp_targetILNS1_3genE9ELNS1_11target_archE1100ELNS1_3gpuE3ELNS1_3repE0EEENS1_30default_config_static_selectorELNS0_4arch9wavefront6targetE0EEEvT1_.numbered_sgpr, 0
	.set _ZN7rocprim17ROCPRIM_400000_NS6detail17trampoline_kernelINS0_14default_configENS1_20scan_config_selectorIlEEZZNS1_9scan_implILNS1_25lookback_scan_determinismE0ELb0ELb0ES3_PlS8_lN6thrust23THRUST_200600_302600_NS4plusIvEElEEDaPvRmT3_T4_T5_mT6_P12ihipStream_tbENKUlT_T0_E_clISt17integral_constantIbLb1EESP_IbLb0EEEEDaSL_SM_EUlSL_E_NS1_11comp_targetILNS1_3genE9ELNS1_11target_archE1100ELNS1_3gpuE3ELNS1_3repE0EEENS1_30default_config_static_selectorELNS0_4arch9wavefront6targetE0EEEvT1_.num_named_barrier, 0
	.set _ZN7rocprim17ROCPRIM_400000_NS6detail17trampoline_kernelINS0_14default_configENS1_20scan_config_selectorIlEEZZNS1_9scan_implILNS1_25lookback_scan_determinismE0ELb0ELb0ES3_PlS8_lN6thrust23THRUST_200600_302600_NS4plusIvEElEEDaPvRmT3_T4_T5_mT6_P12ihipStream_tbENKUlT_T0_E_clISt17integral_constantIbLb1EESP_IbLb0EEEEDaSL_SM_EUlSL_E_NS1_11comp_targetILNS1_3genE9ELNS1_11target_archE1100ELNS1_3gpuE3ELNS1_3repE0EEENS1_30default_config_static_selectorELNS0_4arch9wavefront6targetE0EEEvT1_.private_seg_size, 0
	.set _ZN7rocprim17ROCPRIM_400000_NS6detail17trampoline_kernelINS0_14default_configENS1_20scan_config_selectorIlEEZZNS1_9scan_implILNS1_25lookback_scan_determinismE0ELb0ELb0ES3_PlS8_lN6thrust23THRUST_200600_302600_NS4plusIvEElEEDaPvRmT3_T4_T5_mT6_P12ihipStream_tbENKUlT_T0_E_clISt17integral_constantIbLb1EESP_IbLb0EEEEDaSL_SM_EUlSL_E_NS1_11comp_targetILNS1_3genE9ELNS1_11target_archE1100ELNS1_3gpuE3ELNS1_3repE0EEENS1_30default_config_static_selectorELNS0_4arch9wavefront6targetE0EEEvT1_.uses_vcc, 0
	.set _ZN7rocprim17ROCPRIM_400000_NS6detail17trampoline_kernelINS0_14default_configENS1_20scan_config_selectorIlEEZZNS1_9scan_implILNS1_25lookback_scan_determinismE0ELb0ELb0ES3_PlS8_lN6thrust23THRUST_200600_302600_NS4plusIvEElEEDaPvRmT3_T4_T5_mT6_P12ihipStream_tbENKUlT_T0_E_clISt17integral_constantIbLb1EESP_IbLb0EEEEDaSL_SM_EUlSL_E_NS1_11comp_targetILNS1_3genE9ELNS1_11target_archE1100ELNS1_3gpuE3ELNS1_3repE0EEENS1_30default_config_static_selectorELNS0_4arch9wavefront6targetE0EEEvT1_.uses_flat_scratch, 0
	.set _ZN7rocprim17ROCPRIM_400000_NS6detail17trampoline_kernelINS0_14default_configENS1_20scan_config_selectorIlEEZZNS1_9scan_implILNS1_25lookback_scan_determinismE0ELb0ELb0ES3_PlS8_lN6thrust23THRUST_200600_302600_NS4plusIvEElEEDaPvRmT3_T4_T5_mT6_P12ihipStream_tbENKUlT_T0_E_clISt17integral_constantIbLb1EESP_IbLb0EEEEDaSL_SM_EUlSL_E_NS1_11comp_targetILNS1_3genE9ELNS1_11target_archE1100ELNS1_3gpuE3ELNS1_3repE0EEENS1_30default_config_static_selectorELNS0_4arch9wavefront6targetE0EEEvT1_.has_dyn_sized_stack, 0
	.set _ZN7rocprim17ROCPRIM_400000_NS6detail17trampoline_kernelINS0_14default_configENS1_20scan_config_selectorIlEEZZNS1_9scan_implILNS1_25lookback_scan_determinismE0ELb0ELb0ES3_PlS8_lN6thrust23THRUST_200600_302600_NS4plusIvEElEEDaPvRmT3_T4_T5_mT6_P12ihipStream_tbENKUlT_T0_E_clISt17integral_constantIbLb1EESP_IbLb0EEEEDaSL_SM_EUlSL_E_NS1_11comp_targetILNS1_3genE9ELNS1_11target_archE1100ELNS1_3gpuE3ELNS1_3repE0EEENS1_30default_config_static_selectorELNS0_4arch9wavefront6targetE0EEEvT1_.has_recursion, 0
	.set _ZN7rocprim17ROCPRIM_400000_NS6detail17trampoline_kernelINS0_14default_configENS1_20scan_config_selectorIlEEZZNS1_9scan_implILNS1_25lookback_scan_determinismE0ELb0ELb0ES3_PlS8_lN6thrust23THRUST_200600_302600_NS4plusIvEElEEDaPvRmT3_T4_T5_mT6_P12ihipStream_tbENKUlT_T0_E_clISt17integral_constantIbLb1EESP_IbLb0EEEEDaSL_SM_EUlSL_E_NS1_11comp_targetILNS1_3genE9ELNS1_11target_archE1100ELNS1_3gpuE3ELNS1_3repE0EEENS1_30default_config_static_selectorELNS0_4arch9wavefront6targetE0EEEvT1_.has_indirect_call, 0
	.section	.AMDGPU.csdata,"",@progbits
; Kernel info:
; codeLenInByte = 0
; TotalNumSgprs: 0
; NumVgprs: 0
; ScratchSize: 0
; MemoryBound: 0
; FloatMode: 240
; IeeeMode: 1
; LDSByteSize: 0 bytes/workgroup (compile time only)
; SGPRBlocks: 0
; VGPRBlocks: 0
; NumSGPRsForWavesPerEU: 1
; NumVGPRsForWavesPerEU: 1
; NamedBarCnt: 0
; Occupancy: 16
; WaveLimiterHint : 0
; COMPUTE_PGM_RSRC2:SCRATCH_EN: 0
; COMPUTE_PGM_RSRC2:USER_SGPR: 2
; COMPUTE_PGM_RSRC2:TRAP_HANDLER: 0
; COMPUTE_PGM_RSRC2:TGID_X_EN: 1
; COMPUTE_PGM_RSRC2:TGID_Y_EN: 0
; COMPUTE_PGM_RSRC2:TGID_Z_EN: 0
; COMPUTE_PGM_RSRC2:TIDIG_COMP_CNT: 0
	.section	.text._ZN7rocprim17ROCPRIM_400000_NS6detail17trampoline_kernelINS0_14default_configENS1_20scan_config_selectorIlEEZZNS1_9scan_implILNS1_25lookback_scan_determinismE0ELb0ELb0ES3_PlS8_lN6thrust23THRUST_200600_302600_NS4plusIvEElEEDaPvRmT3_T4_T5_mT6_P12ihipStream_tbENKUlT_T0_E_clISt17integral_constantIbLb1EESP_IbLb0EEEEDaSL_SM_EUlSL_E_NS1_11comp_targetILNS1_3genE8ELNS1_11target_archE1030ELNS1_3gpuE2ELNS1_3repE0EEENS1_30default_config_static_selectorELNS0_4arch9wavefront6targetE0EEEvT1_,"axG",@progbits,_ZN7rocprim17ROCPRIM_400000_NS6detail17trampoline_kernelINS0_14default_configENS1_20scan_config_selectorIlEEZZNS1_9scan_implILNS1_25lookback_scan_determinismE0ELb0ELb0ES3_PlS8_lN6thrust23THRUST_200600_302600_NS4plusIvEElEEDaPvRmT3_T4_T5_mT6_P12ihipStream_tbENKUlT_T0_E_clISt17integral_constantIbLb1EESP_IbLb0EEEEDaSL_SM_EUlSL_E_NS1_11comp_targetILNS1_3genE8ELNS1_11target_archE1030ELNS1_3gpuE2ELNS1_3repE0EEENS1_30default_config_static_selectorELNS0_4arch9wavefront6targetE0EEEvT1_,comdat
	.protected	_ZN7rocprim17ROCPRIM_400000_NS6detail17trampoline_kernelINS0_14default_configENS1_20scan_config_selectorIlEEZZNS1_9scan_implILNS1_25lookback_scan_determinismE0ELb0ELb0ES3_PlS8_lN6thrust23THRUST_200600_302600_NS4plusIvEElEEDaPvRmT3_T4_T5_mT6_P12ihipStream_tbENKUlT_T0_E_clISt17integral_constantIbLb1EESP_IbLb0EEEEDaSL_SM_EUlSL_E_NS1_11comp_targetILNS1_3genE8ELNS1_11target_archE1030ELNS1_3gpuE2ELNS1_3repE0EEENS1_30default_config_static_selectorELNS0_4arch9wavefront6targetE0EEEvT1_ ; -- Begin function _ZN7rocprim17ROCPRIM_400000_NS6detail17trampoline_kernelINS0_14default_configENS1_20scan_config_selectorIlEEZZNS1_9scan_implILNS1_25lookback_scan_determinismE0ELb0ELb0ES3_PlS8_lN6thrust23THRUST_200600_302600_NS4plusIvEElEEDaPvRmT3_T4_T5_mT6_P12ihipStream_tbENKUlT_T0_E_clISt17integral_constantIbLb1EESP_IbLb0EEEEDaSL_SM_EUlSL_E_NS1_11comp_targetILNS1_3genE8ELNS1_11target_archE1030ELNS1_3gpuE2ELNS1_3repE0EEENS1_30default_config_static_selectorELNS0_4arch9wavefront6targetE0EEEvT1_
	.globl	_ZN7rocprim17ROCPRIM_400000_NS6detail17trampoline_kernelINS0_14default_configENS1_20scan_config_selectorIlEEZZNS1_9scan_implILNS1_25lookback_scan_determinismE0ELb0ELb0ES3_PlS8_lN6thrust23THRUST_200600_302600_NS4plusIvEElEEDaPvRmT3_T4_T5_mT6_P12ihipStream_tbENKUlT_T0_E_clISt17integral_constantIbLb1EESP_IbLb0EEEEDaSL_SM_EUlSL_E_NS1_11comp_targetILNS1_3genE8ELNS1_11target_archE1030ELNS1_3gpuE2ELNS1_3repE0EEENS1_30default_config_static_selectorELNS0_4arch9wavefront6targetE0EEEvT1_
	.p2align	8
	.type	_ZN7rocprim17ROCPRIM_400000_NS6detail17trampoline_kernelINS0_14default_configENS1_20scan_config_selectorIlEEZZNS1_9scan_implILNS1_25lookback_scan_determinismE0ELb0ELb0ES3_PlS8_lN6thrust23THRUST_200600_302600_NS4plusIvEElEEDaPvRmT3_T4_T5_mT6_P12ihipStream_tbENKUlT_T0_E_clISt17integral_constantIbLb1EESP_IbLb0EEEEDaSL_SM_EUlSL_E_NS1_11comp_targetILNS1_3genE8ELNS1_11target_archE1030ELNS1_3gpuE2ELNS1_3repE0EEENS1_30default_config_static_selectorELNS0_4arch9wavefront6targetE0EEEvT1_,@function
_ZN7rocprim17ROCPRIM_400000_NS6detail17trampoline_kernelINS0_14default_configENS1_20scan_config_selectorIlEEZZNS1_9scan_implILNS1_25lookback_scan_determinismE0ELb0ELb0ES3_PlS8_lN6thrust23THRUST_200600_302600_NS4plusIvEElEEDaPvRmT3_T4_T5_mT6_P12ihipStream_tbENKUlT_T0_E_clISt17integral_constantIbLb1EESP_IbLb0EEEEDaSL_SM_EUlSL_E_NS1_11comp_targetILNS1_3genE8ELNS1_11target_archE1030ELNS1_3gpuE2ELNS1_3repE0EEENS1_30default_config_static_selectorELNS0_4arch9wavefront6targetE0EEEvT1_: ; @_ZN7rocprim17ROCPRIM_400000_NS6detail17trampoline_kernelINS0_14default_configENS1_20scan_config_selectorIlEEZZNS1_9scan_implILNS1_25lookback_scan_determinismE0ELb0ELb0ES3_PlS8_lN6thrust23THRUST_200600_302600_NS4plusIvEElEEDaPvRmT3_T4_T5_mT6_P12ihipStream_tbENKUlT_T0_E_clISt17integral_constantIbLb1EESP_IbLb0EEEEDaSL_SM_EUlSL_E_NS1_11comp_targetILNS1_3genE8ELNS1_11target_archE1030ELNS1_3gpuE2ELNS1_3repE0EEENS1_30default_config_static_selectorELNS0_4arch9wavefront6targetE0EEEvT1_
; %bb.0:
	.section	.rodata,"a",@progbits
	.p2align	6, 0x0
	.amdhsa_kernel _ZN7rocprim17ROCPRIM_400000_NS6detail17trampoline_kernelINS0_14default_configENS1_20scan_config_selectorIlEEZZNS1_9scan_implILNS1_25lookback_scan_determinismE0ELb0ELb0ES3_PlS8_lN6thrust23THRUST_200600_302600_NS4plusIvEElEEDaPvRmT3_T4_T5_mT6_P12ihipStream_tbENKUlT_T0_E_clISt17integral_constantIbLb1EESP_IbLb0EEEEDaSL_SM_EUlSL_E_NS1_11comp_targetILNS1_3genE8ELNS1_11target_archE1030ELNS1_3gpuE2ELNS1_3repE0EEENS1_30default_config_static_selectorELNS0_4arch9wavefront6targetE0EEEvT1_
		.amdhsa_group_segment_fixed_size 0
		.amdhsa_private_segment_fixed_size 0
		.amdhsa_kernarg_size 104
		.amdhsa_user_sgpr_count 2
		.amdhsa_user_sgpr_dispatch_ptr 0
		.amdhsa_user_sgpr_queue_ptr 0
		.amdhsa_user_sgpr_kernarg_segment_ptr 1
		.amdhsa_user_sgpr_dispatch_id 0
		.amdhsa_user_sgpr_kernarg_preload_length 0
		.amdhsa_user_sgpr_kernarg_preload_offset 0
		.amdhsa_user_sgpr_private_segment_size 0
		.amdhsa_wavefront_size32 1
		.amdhsa_uses_dynamic_stack 0
		.amdhsa_enable_private_segment 0
		.amdhsa_system_sgpr_workgroup_id_x 1
		.amdhsa_system_sgpr_workgroup_id_y 0
		.amdhsa_system_sgpr_workgroup_id_z 0
		.amdhsa_system_sgpr_workgroup_info 0
		.amdhsa_system_vgpr_workitem_id 0
		.amdhsa_next_free_vgpr 1
		.amdhsa_next_free_sgpr 1
		.amdhsa_named_barrier_count 0
		.amdhsa_reserve_vcc 0
		.amdhsa_float_round_mode_32 0
		.amdhsa_float_round_mode_16_64 0
		.amdhsa_float_denorm_mode_32 3
		.amdhsa_float_denorm_mode_16_64 3
		.amdhsa_fp16_overflow 0
		.amdhsa_memory_ordered 1
		.amdhsa_forward_progress 1
		.amdhsa_inst_pref_size 0
		.amdhsa_round_robin_scheduling 0
		.amdhsa_exception_fp_ieee_invalid_op 0
		.amdhsa_exception_fp_denorm_src 0
		.amdhsa_exception_fp_ieee_div_zero 0
		.amdhsa_exception_fp_ieee_overflow 0
		.amdhsa_exception_fp_ieee_underflow 0
		.amdhsa_exception_fp_ieee_inexact 0
		.amdhsa_exception_int_div_zero 0
	.end_amdhsa_kernel
	.section	.text._ZN7rocprim17ROCPRIM_400000_NS6detail17trampoline_kernelINS0_14default_configENS1_20scan_config_selectorIlEEZZNS1_9scan_implILNS1_25lookback_scan_determinismE0ELb0ELb0ES3_PlS8_lN6thrust23THRUST_200600_302600_NS4plusIvEElEEDaPvRmT3_T4_T5_mT6_P12ihipStream_tbENKUlT_T0_E_clISt17integral_constantIbLb1EESP_IbLb0EEEEDaSL_SM_EUlSL_E_NS1_11comp_targetILNS1_3genE8ELNS1_11target_archE1030ELNS1_3gpuE2ELNS1_3repE0EEENS1_30default_config_static_selectorELNS0_4arch9wavefront6targetE0EEEvT1_,"axG",@progbits,_ZN7rocprim17ROCPRIM_400000_NS6detail17trampoline_kernelINS0_14default_configENS1_20scan_config_selectorIlEEZZNS1_9scan_implILNS1_25lookback_scan_determinismE0ELb0ELb0ES3_PlS8_lN6thrust23THRUST_200600_302600_NS4plusIvEElEEDaPvRmT3_T4_T5_mT6_P12ihipStream_tbENKUlT_T0_E_clISt17integral_constantIbLb1EESP_IbLb0EEEEDaSL_SM_EUlSL_E_NS1_11comp_targetILNS1_3genE8ELNS1_11target_archE1030ELNS1_3gpuE2ELNS1_3repE0EEENS1_30default_config_static_selectorELNS0_4arch9wavefront6targetE0EEEvT1_,comdat
.Lfunc_end130:
	.size	_ZN7rocprim17ROCPRIM_400000_NS6detail17trampoline_kernelINS0_14default_configENS1_20scan_config_selectorIlEEZZNS1_9scan_implILNS1_25lookback_scan_determinismE0ELb0ELb0ES3_PlS8_lN6thrust23THRUST_200600_302600_NS4plusIvEElEEDaPvRmT3_T4_T5_mT6_P12ihipStream_tbENKUlT_T0_E_clISt17integral_constantIbLb1EESP_IbLb0EEEEDaSL_SM_EUlSL_E_NS1_11comp_targetILNS1_3genE8ELNS1_11target_archE1030ELNS1_3gpuE2ELNS1_3repE0EEENS1_30default_config_static_selectorELNS0_4arch9wavefront6targetE0EEEvT1_, .Lfunc_end130-_ZN7rocprim17ROCPRIM_400000_NS6detail17trampoline_kernelINS0_14default_configENS1_20scan_config_selectorIlEEZZNS1_9scan_implILNS1_25lookback_scan_determinismE0ELb0ELb0ES3_PlS8_lN6thrust23THRUST_200600_302600_NS4plusIvEElEEDaPvRmT3_T4_T5_mT6_P12ihipStream_tbENKUlT_T0_E_clISt17integral_constantIbLb1EESP_IbLb0EEEEDaSL_SM_EUlSL_E_NS1_11comp_targetILNS1_3genE8ELNS1_11target_archE1030ELNS1_3gpuE2ELNS1_3repE0EEENS1_30default_config_static_selectorELNS0_4arch9wavefront6targetE0EEEvT1_
                                        ; -- End function
	.set _ZN7rocprim17ROCPRIM_400000_NS6detail17trampoline_kernelINS0_14default_configENS1_20scan_config_selectorIlEEZZNS1_9scan_implILNS1_25lookback_scan_determinismE0ELb0ELb0ES3_PlS8_lN6thrust23THRUST_200600_302600_NS4plusIvEElEEDaPvRmT3_T4_T5_mT6_P12ihipStream_tbENKUlT_T0_E_clISt17integral_constantIbLb1EESP_IbLb0EEEEDaSL_SM_EUlSL_E_NS1_11comp_targetILNS1_3genE8ELNS1_11target_archE1030ELNS1_3gpuE2ELNS1_3repE0EEENS1_30default_config_static_selectorELNS0_4arch9wavefront6targetE0EEEvT1_.num_vgpr, 0
	.set _ZN7rocprim17ROCPRIM_400000_NS6detail17trampoline_kernelINS0_14default_configENS1_20scan_config_selectorIlEEZZNS1_9scan_implILNS1_25lookback_scan_determinismE0ELb0ELb0ES3_PlS8_lN6thrust23THRUST_200600_302600_NS4plusIvEElEEDaPvRmT3_T4_T5_mT6_P12ihipStream_tbENKUlT_T0_E_clISt17integral_constantIbLb1EESP_IbLb0EEEEDaSL_SM_EUlSL_E_NS1_11comp_targetILNS1_3genE8ELNS1_11target_archE1030ELNS1_3gpuE2ELNS1_3repE0EEENS1_30default_config_static_selectorELNS0_4arch9wavefront6targetE0EEEvT1_.num_agpr, 0
	.set _ZN7rocprim17ROCPRIM_400000_NS6detail17trampoline_kernelINS0_14default_configENS1_20scan_config_selectorIlEEZZNS1_9scan_implILNS1_25lookback_scan_determinismE0ELb0ELb0ES3_PlS8_lN6thrust23THRUST_200600_302600_NS4plusIvEElEEDaPvRmT3_T4_T5_mT6_P12ihipStream_tbENKUlT_T0_E_clISt17integral_constantIbLb1EESP_IbLb0EEEEDaSL_SM_EUlSL_E_NS1_11comp_targetILNS1_3genE8ELNS1_11target_archE1030ELNS1_3gpuE2ELNS1_3repE0EEENS1_30default_config_static_selectorELNS0_4arch9wavefront6targetE0EEEvT1_.numbered_sgpr, 0
	.set _ZN7rocprim17ROCPRIM_400000_NS6detail17trampoline_kernelINS0_14default_configENS1_20scan_config_selectorIlEEZZNS1_9scan_implILNS1_25lookback_scan_determinismE0ELb0ELb0ES3_PlS8_lN6thrust23THRUST_200600_302600_NS4plusIvEElEEDaPvRmT3_T4_T5_mT6_P12ihipStream_tbENKUlT_T0_E_clISt17integral_constantIbLb1EESP_IbLb0EEEEDaSL_SM_EUlSL_E_NS1_11comp_targetILNS1_3genE8ELNS1_11target_archE1030ELNS1_3gpuE2ELNS1_3repE0EEENS1_30default_config_static_selectorELNS0_4arch9wavefront6targetE0EEEvT1_.num_named_barrier, 0
	.set _ZN7rocprim17ROCPRIM_400000_NS6detail17trampoline_kernelINS0_14default_configENS1_20scan_config_selectorIlEEZZNS1_9scan_implILNS1_25lookback_scan_determinismE0ELb0ELb0ES3_PlS8_lN6thrust23THRUST_200600_302600_NS4plusIvEElEEDaPvRmT3_T4_T5_mT6_P12ihipStream_tbENKUlT_T0_E_clISt17integral_constantIbLb1EESP_IbLb0EEEEDaSL_SM_EUlSL_E_NS1_11comp_targetILNS1_3genE8ELNS1_11target_archE1030ELNS1_3gpuE2ELNS1_3repE0EEENS1_30default_config_static_selectorELNS0_4arch9wavefront6targetE0EEEvT1_.private_seg_size, 0
	.set _ZN7rocprim17ROCPRIM_400000_NS6detail17trampoline_kernelINS0_14default_configENS1_20scan_config_selectorIlEEZZNS1_9scan_implILNS1_25lookback_scan_determinismE0ELb0ELb0ES3_PlS8_lN6thrust23THRUST_200600_302600_NS4plusIvEElEEDaPvRmT3_T4_T5_mT6_P12ihipStream_tbENKUlT_T0_E_clISt17integral_constantIbLb1EESP_IbLb0EEEEDaSL_SM_EUlSL_E_NS1_11comp_targetILNS1_3genE8ELNS1_11target_archE1030ELNS1_3gpuE2ELNS1_3repE0EEENS1_30default_config_static_selectorELNS0_4arch9wavefront6targetE0EEEvT1_.uses_vcc, 0
	.set _ZN7rocprim17ROCPRIM_400000_NS6detail17trampoline_kernelINS0_14default_configENS1_20scan_config_selectorIlEEZZNS1_9scan_implILNS1_25lookback_scan_determinismE0ELb0ELb0ES3_PlS8_lN6thrust23THRUST_200600_302600_NS4plusIvEElEEDaPvRmT3_T4_T5_mT6_P12ihipStream_tbENKUlT_T0_E_clISt17integral_constantIbLb1EESP_IbLb0EEEEDaSL_SM_EUlSL_E_NS1_11comp_targetILNS1_3genE8ELNS1_11target_archE1030ELNS1_3gpuE2ELNS1_3repE0EEENS1_30default_config_static_selectorELNS0_4arch9wavefront6targetE0EEEvT1_.uses_flat_scratch, 0
	.set _ZN7rocprim17ROCPRIM_400000_NS6detail17trampoline_kernelINS0_14default_configENS1_20scan_config_selectorIlEEZZNS1_9scan_implILNS1_25lookback_scan_determinismE0ELb0ELb0ES3_PlS8_lN6thrust23THRUST_200600_302600_NS4plusIvEElEEDaPvRmT3_T4_T5_mT6_P12ihipStream_tbENKUlT_T0_E_clISt17integral_constantIbLb1EESP_IbLb0EEEEDaSL_SM_EUlSL_E_NS1_11comp_targetILNS1_3genE8ELNS1_11target_archE1030ELNS1_3gpuE2ELNS1_3repE0EEENS1_30default_config_static_selectorELNS0_4arch9wavefront6targetE0EEEvT1_.has_dyn_sized_stack, 0
	.set _ZN7rocprim17ROCPRIM_400000_NS6detail17trampoline_kernelINS0_14default_configENS1_20scan_config_selectorIlEEZZNS1_9scan_implILNS1_25lookback_scan_determinismE0ELb0ELb0ES3_PlS8_lN6thrust23THRUST_200600_302600_NS4plusIvEElEEDaPvRmT3_T4_T5_mT6_P12ihipStream_tbENKUlT_T0_E_clISt17integral_constantIbLb1EESP_IbLb0EEEEDaSL_SM_EUlSL_E_NS1_11comp_targetILNS1_3genE8ELNS1_11target_archE1030ELNS1_3gpuE2ELNS1_3repE0EEENS1_30default_config_static_selectorELNS0_4arch9wavefront6targetE0EEEvT1_.has_recursion, 0
	.set _ZN7rocprim17ROCPRIM_400000_NS6detail17trampoline_kernelINS0_14default_configENS1_20scan_config_selectorIlEEZZNS1_9scan_implILNS1_25lookback_scan_determinismE0ELb0ELb0ES3_PlS8_lN6thrust23THRUST_200600_302600_NS4plusIvEElEEDaPvRmT3_T4_T5_mT6_P12ihipStream_tbENKUlT_T0_E_clISt17integral_constantIbLb1EESP_IbLb0EEEEDaSL_SM_EUlSL_E_NS1_11comp_targetILNS1_3genE8ELNS1_11target_archE1030ELNS1_3gpuE2ELNS1_3repE0EEENS1_30default_config_static_selectorELNS0_4arch9wavefront6targetE0EEEvT1_.has_indirect_call, 0
	.section	.AMDGPU.csdata,"",@progbits
; Kernel info:
; codeLenInByte = 0
; TotalNumSgprs: 0
; NumVgprs: 0
; ScratchSize: 0
; MemoryBound: 0
; FloatMode: 240
; IeeeMode: 1
; LDSByteSize: 0 bytes/workgroup (compile time only)
; SGPRBlocks: 0
; VGPRBlocks: 0
; NumSGPRsForWavesPerEU: 1
; NumVGPRsForWavesPerEU: 1
; NamedBarCnt: 0
; Occupancy: 16
; WaveLimiterHint : 0
; COMPUTE_PGM_RSRC2:SCRATCH_EN: 0
; COMPUTE_PGM_RSRC2:USER_SGPR: 2
; COMPUTE_PGM_RSRC2:TRAP_HANDLER: 0
; COMPUTE_PGM_RSRC2:TGID_X_EN: 1
; COMPUTE_PGM_RSRC2:TGID_Y_EN: 0
; COMPUTE_PGM_RSRC2:TGID_Z_EN: 0
; COMPUTE_PGM_RSRC2:TIDIG_COMP_CNT: 0
	.section	.text._ZN7rocprim17ROCPRIM_400000_NS6detail17trampoline_kernelINS0_14default_configENS1_20scan_config_selectorIlEEZZNS1_9scan_implILNS1_25lookback_scan_determinismE0ELb0ELb0ES3_PlS8_lN6thrust23THRUST_200600_302600_NS4plusIvEElEEDaPvRmT3_T4_T5_mT6_P12ihipStream_tbENKUlT_T0_E_clISt17integral_constantIbLb1EESP_IbLb0EEEEDaSL_SM_EUlSL_E0_NS1_11comp_targetILNS1_3genE0ELNS1_11target_archE4294967295ELNS1_3gpuE0ELNS1_3repE0EEENS1_30default_config_static_selectorELNS0_4arch9wavefront6targetE0EEEvT1_,"axG",@progbits,_ZN7rocprim17ROCPRIM_400000_NS6detail17trampoline_kernelINS0_14default_configENS1_20scan_config_selectorIlEEZZNS1_9scan_implILNS1_25lookback_scan_determinismE0ELb0ELb0ES3_PlS8_lN6thrust23THRUST_200600_302600_NS4plusIvEElEEDaPvRmT3_T4_T5_mT6_P12ihipStream_tbENKUlT_T0_E_clISt17integral_constantIbLb1EESP_IbLb0EEEEDaSL_SM_EUlSL_E0_NS1_11comp_targetILNS1_3genE0ELNS1_11target_archE4294967295ELNS1_3gpuE0ELNS1_3repE0EEENS1_30default_config_static_selectorELNS0_4arch9wavefront6targetE0EEEvT1_,comdat
	.protected	_ZN7rocprim17ROCPRIM_400000_NS6detail17trampoline_kernelINS0_14default_configENS1_20scan_config_selectorIlEEZZNS1_9scan_implILNS1_25lookback_scan_determinismE0ELb0ELb0ES3_PlS8_lN6thrust23THRUST_200600_302600_NS4plusIvEElEEDaPvRmT3_T4_T5_mT6_P12ihipStream_tbENKUlT_T0_E_clISt17integral_constantIbLb1EESP_IbLb0EEEEDaSL_SM_EUlSL_E0_NS1_11comp_targetILNS1_3genE0ELNS1_11target_archE4294967295ELNS1_3gpuE0ELNS1_3repE0EEENS1_30default_config_static_selectorELNS0_4arch9wavefront6targetE0EEEvT1_ ; -- Begin function _ZN7rocprim17ROCPRIM_400000_NS6detail17trampoline_kernelINS0_14default_configENS1_20scan_config_selectorIlEEZZNS1_9scan_implILNS1_25lookback_scan_determinismE0ELb0ELb0ES3_PlS8_lN6thrust23THRUST_200600_302600_NS4plusIvEElEEDaPvRmT3_T4_T5_mT6_P12ihipStream_tbENKUlT_T0_E_clISt17integral_constantIbLb1EESP_IbLb0EEEEDaSL_SM_EUlSL_E0_NS1_11comp_targetILNS1_3genE0ELNS1_11target_archE4294967295ELNS1_3gpuE0ELNS1_3repE0EEENS1_30default_config_static_selectorELNS0_4arch9wavefront6targetE0EEEvT1_
	.globl	_ZN7rocprim17ROCPRIM_400000_NS6detail17trampoline_kernelINS0_14default_configENS1_20scan_config_selectorIlEEZZNS1_9scan_implILNS1_25lookback_scan_determinismE0ELb0ELb0ES3_PlS8_lN6thrust23THRUST_200600_302600_NS4plusIvEElEEDaPvRmT3_T4_T5_mT6_P12ihipStream_tbENKUlT_T0_E_clISt17integral_constantIbLb1EESP_IbLb0EEEEDaSL_SM_EUlSL_E0_NS1_11comp_targetILNS1_3genE0ELNS1_11target_archE4294967295ELNS1_3gpuE0ELNS1_3repE0EEENS1_30default_config_static_selectorELNS0_4arch9wavefront6targetE0EEEvT1_
	.p2align	8
	.type	_ZN7rocprim17ROCPRIM_400000_NS6detail17trampoline_kernelINS0_14default_configENS1_20scan_config_selectorIlEEZZNS1_9scan_implILNS1_25lookback_scan_determinismE0ELb0ELb0ES3_PlS8_lN6thrust23THRUST_200600_302600_NS4plusIvEElEEDaPvRmT3_T4_T5_mT6_P12ihipStream_tbENKUlT_T0_E_clISt17integral_constantIbLb1EESP_IbLb0EEEEDaSL_SM_EUlSL_E0_NS1_11comp_targetILNS1_3genE0ELNS1_11target_archE4294967295ELNS1_3gpuE0ELNS1_3repE0EEENS1_30default_config_static_selectorELNS0_4arch9wavefront6targetE0EEEvT1_,@function
_ZN7rocprim17ROCPRIM_400000_NS6detail17trampoline_kernelINS0_14default_configENS1_20scan_config_selectorIlEEZZNS1_9scan_implILNS1_25lookback_scan_determinismE0ELb0ELb0ES3_PlS8_lN6thrust23THRUST_200600_302600_NS4plusIvEElEEDaPvRmT3_T4_T5_mT6_P12ihipStream_tbENKUlT_T0_E_clISt17integral_constantIbLb1EESP_IbLb0EEEEDaSL_SM_EUlSL_E0_NS1_11comp_targetILNS1_3genE0ELNS1_11target_archE4294967295ELNS1_3gpuE0ELNS1_3repE0EEENS1_30default_config_static_selectorELNS0_4arch9wavefront6targetE0EEEvT1_: ; @_ZN7rocprim17ROCPRIM_400000_NS6detail17trampoline_kernelINS0_14default_configENS1_20scan_config_selectorIlEEZZNS1_9scan_implILNS1_25lookback_scan_determinismE0ELb0ELb0ES3_PlS8_lN6thrust23THRUST_200600_302600_NS4plusIvEElEEDaPvRmT3_T4_T5_mT6_P12ihipStream_tbENKUlT_T0_E_clISt17integral_constantIbLb1EESP_IbLb0EEEEDaSL_SM_EUlSL_E0_NS1_11comp_targetILNS1_3genE0ELNS1_11target_archE4294967295ELNS1_3gpuE0ELNS1_3repE0EEENS1_30default_config_static_selectorELNS0_4arch9wavefront6targetE0EEEvT1_
; %bb.0:
	s_load_b128 s[8:11], s[0:1], 0x0
	s_wait_kmcnt 0x0
	v_cmp_gt_u32_e32 vcc_lo, s10, v0
	s_load_b64 s[12:13], s[8:9], 0x0
	s_wait_kmcnt 0x0
	v_mov_b64_e32 v[2:3], s[12:13]
	s_and_saveexec_b32 s2, vcc_lo
	s_cbranch_execz .LBB131_2
; %bb.1:
	global_load_b64 v[2:3], v0, s[8:9] scale_offset
.LBB131_2:
	s_wait_xcnt 0x0
	s_or_b32 exec_lo, exec_lo, s2
	v_or_b32_e32 v1, 0x100, v0
	v_mov_b64_e32 v[4:5], s[12:13]
	s_delay_alu instid0(VALU_DEP_2)
	v_cmp_gt_u32_e64 s2, s10, v1
	s_and_saveexec_b32 s3, s2
	s_cbranch_execz .LBB131_4
; %bb.3:
	global_load_b64 v[4:5], v0, s[8:9] offset:2048 scale_offset
.LBB131_4:
	s_wait_xcnt 0x0
	s_or_b32 exec_lo, exec_lo, s3
	v_or_b32_e32 v1, 0x200, v0
	v_mov_b64_e32 v[6:7], s[12:13]
	s_delay_alu instid0(VALU_DEP_2)
	v_cmp_gt_u32_e64 s3, s10, v1
	s_and_saveexec_b32 s4, s3
	s_cbranch_execz .LBB131_6
; %bb.5:
	global_load_b64 v[6:7], v0, s[8:9] offset:4096 scale_offset
.LBB131_6:
	;; [unrolled: 11-line block ×4, first 2 shown]
	s_wait_xcnt 0x0
	s_or_b32 exec_lo, exec_lo, s6
	v_or_b32_e32 v1, 0x500, v0
	s_delay_alu instid0(VALU_DEP_1) | instskip(SKIP_2) | instid1(SALU_CYCLE_1)
	v_cmp_gt_u32_e64 s6, s10, v1
	v_cmp_le_u32_e64 s7, s10, v1
	s_and_saveexec_b32 s10, s7
	s_xor_b32 s7, exec_lo, s10
	s_delay_alu instid0(SALU_CYCLE_1)
	s_or_saveexec_b32 s7, s7
	v_mov_b64_e32 v[12:13], s[12:13]
	s_xor_b32 exec_lo, exec_lo, s7
	s_cbranch_execz .LBB131_12
; %bb.11:
	global_load_b64 v[12:13], v0, s[8:9] offset:10240 scale_offset
.LBB131_12:
	s_wait_xcnt 0x0
	s_or_b32 exec_lo, exec_lo, s7
	v_lshlrev_b32_e32 v36, 3, v0
	s_mov_b32 s8, exec_lo
	s_wait_loadcnt 0x0
	ds_store_2addr_stride64_b64 v36, v[2:3], v[4:5] offset1:4
	ds_store_2addr_stride64_b64 v36, v[6:7], v[8:9] offset0:8 offset1:12
	ds_store_2addr_stride64_b64 v36, v[10:11], v[12:13] offset0:16 offset1:20
	v_mad_u32_u24 v1, v0, 40, v36
	s_wait_dscnt 0x0
	s_barrier_signal -1
	s_barrier_wait -1
	ds_load_b128 v[2:5], v1
	ds_load_b128 v[14:17], v1 offset:16
	ds_load_b128 v[18:21], v1 offset:32
	v_mbcnt_lo_u32_b32 v1, -1, 0
	s_wait_dscnt 0x0
	s_barrier_signal -1
	s_barrier_wait -1
	s_delay_alu instid0(VALU_DEP_1) | instskip(SKIP_1) | instid1(VALU_DEP_1)
	v_and_b32_e32 v32, 15, v1
	v_add_nc_u64_e32 v[22:23], v[4:5], v[2:3]
	v_add_nc_u64_e32 v[10:11], v[22:23], v[14:15]
	s_delay_alu instid0(VALU_DEP_1) | instskip(NEXT) | instid1(VALU_DEP_1)
	v_add_nc_u64_e32 v[12:13], v[10:11], v[16:17]
	v_add_nc_u64_e32 v[6:7], v[12:13], v[18:19]
	s_delay_alu instid0(VALU_DEP_1) | instskip(NEXT) | instid1(VALU_DEP_1)
	v_add_nc_u64_e32 v[8:9], v[6:7], v[20:21]
	v_mov_b64_e32 v[28:29], v[8:9]
	v_mov_b32_dpp v26, v8 row_shr:1 row_mask:0xf bank_mask:0xf
	v_mov_b32_dpp v31, v9 row_shr:1 row_mask:0xf bank_mask:0xf
	v_dual_mov_b32 v27, v9 :: v_dual_mov_b32 v24, v8
	v_cmpx_ne_u32_e32 0, v32
; %bb.13:
	v_mov_b32_e32 v30, 0
	s_delay_alu instid0(VALU_DEP_1) | instskip(NEXT) | instid1(VALU_DEP_1)
	v_mov_b32_e32 v27, v30
	v_add_nc_u64_e32 v[24:25], v[8:9], v[26:27]
	s_delay_alu instid0(VALU_DEP_1) | instskip(NEXT) | instid1(VALU_DEP_1)
	v_add_nc_u64_e32 v[26:27], v[30:31], v[24:25]
	v_mov_b64_e32 v[28:29], v[26:27]
; %bb.14:
	s_or_b32 exec_lo, exec_lo, s8
	v_mov_b32_dpp v26, v24 row_shr:2 row_mask:0xf bank_mask:0xf
	v_mov_b32_dpp v31, v27 row_shr:2 row_mask:0xf bank_mask:0xf
	s_mov_b32 s8, exec_lo
	v_cmpx_lt_u32_e32 1, v32
; %bb.15:
	v_mov_b32_e32 v30, 0
	s_delay_alu instid0(VALU_DEP_1) | instskip(NEXT) | instid1(VALU_DEP_1)
	v_mov_b32_e32 v27, v30
	v_add_nc_u64_e32 v[24:25], v[28:29], v[26:27]
	s_delay_alu instid0(VALU_DEP_1) | instskip(NEXT) | instid1(VALU_DEP_1)
	v_add_nc_u64_e32 v[26:27], v[30:31], v[24:25]
	v_mov_b64_e32 v[28:29], v[26:27]
; %bb.16:
	s_or_b32 exec_lo, exec_lo, s8
	v_mov_b32_dpp v26, v24 row_shr:4 row_mask:0xf bank_mask:0xf
	v_mov_b32_dpp v31, v27 row_shr:4 row_mask:0xf bank_mask:0xf
	s_mov_b32 s8, exec_lo
	v_cmpx_lt_u32_e32 3, v32
	;; [unrolled: 14-line block ×3, first 2 shown]
; %bb.19:
	v_mov_b32_e32 v30, 0
	s_delay_alu instid0(VALU_DEP_1) | instskip(NEXT) | instid1(VALU_DEP_1)
	v_mov_b32_e32 v27, v30
	v_add_nc_u64_e32 v[24:25], v[28:29], v[26:27]
	s_delay_alu instid0(VALU_DEP_1) | instskip(NEXT) | instid1(VALU_DEP_1)
	v_add_nc_u64_e32 v[28:29], v[30:31], v[24:25]
	v_mov_b32_e32 v27, v29
; %bb.20:
	s_or_b32 exec_lo, exec_lo, s8
	ds_swizzle_b32 v26, v24 offset:swizzle(BROADCAST,32,15)
	ds_swizzle_b32 v31, v27 offset:swizzle(BROADCAST,32,15)
	v_and_b32_e32 v25, 16, v1
	s_mov_b32 s8, exec_lo
	s_delay_alu instid0(VALU_DEP_1)
	v_cmpx_ne_u32_e32 0, v25
	s_cbranch_execz .LBB131_22
; %bb.21:
	v_mov_b32_e32 v30, 0
	s_delay_alu instid0(VALU_DEP_1) | instskip(SKIP_1) | instid1(VALU_DEP_1)
	v_mov_b32_e32 v27, v30
	s_wait_dscnt 0x1
	v_add_nc_u64_e32 v[24:25], v[28:29], v[26:27]
	s_wait_dscnt 0x0
	s_delay_alu instid0(VALU_DEP_1) | instskip(NEXT) | instid1(VALU_DEP_1)
	v_add_nc_u64_e32 v[26:27], v[30:31], v[24:25]
	v_mov_b64_e32 v[28:29], v[26:27]
.LBB131_22:
	s_or_b32 exec_lo, exec_lo, s8
	s_wait_dscnt 0x1
	v_dual_lshrrev_b32 v25, 5, v0 :: v_dual_bitop2_b32 v26, 31, v0 bitop3:0x54
	s_mov_b32 s8, exec_lo
	s_delay_alu instid0(VALU_DEP_1)
	v_cmpx_eq_u32_e64 v0, v26
; %bb.23:
	s_delay_alu instid0(VALU_DEP_2)
	v_lshlrev_b32_e32 v26, 3, v25
	ds_store_b64 v26, v[28:29]
; %bb.24:
	s_or_b32 exec_lo, exec_lo, s8
	s_delay_alu instid0(SALU_CYCLE_1)
	s_mov_b32 s8, exec_lo
	s_wait_dscnt 0x0
	s_barrier_signal -1
	s_barrier_wait -1
	v_cmpx_gt_u32_e32 8, v0
	s_cbranch_execz .LBB131_32
; %bb.25:
	ds_load_b64 v[28:29], v36
	v_and_b32_e32 v26, 7, v1
	s_mov_b32 s9, exec_lo
	s_wait_dscnt 0x0
	v_mov_b32_dpp v32, v28 row_shr:1 row_mask:0xf bank_mask:0xf
	v_mov_b32_dpp v35, v29 row_shr:1 row_mask:0xf bank_mask:0xf
	v_mov_b32_e32 v30, v28
	v_cmpx_ne_u32_e32 0, v26
; %bb.26:
	v_mov_b32_e32 v34, 0
	s_delay_alu instid0(VALU_DEP_1) | instskip(NEXT) | instid1(VALU_DEP_1)
	v_mov_b32_e32 v33, v34
	v_add_nc_u64_e32 v[30:31], v[28:29], v[32:33]
	s_delay_alu instid0(VALU_DEP_1)
	v_add_nc_u64_e32 v[28:29], v[34:35], v[30:31]
; %bb.27:
	s_or_b32 exec_lo, exec_lo, s9
	v_mov_b32_dpp v32, v30 row_shr:2 row_mask:0xf bank_mask:0xf
	s_delay_alu instid0(VALU_DEP_2)
	v_mov_b32_dpp v35, v29 row_shr:2 row_mask:0xf bank_mask:0xf
	s_mov_b32 s9, exec_lo
	v_cmpx_lt_u32_e32 1, v26
; %bb.28:
	v_mov_b32_e32 v34, 0
	s_delay_alu instid0(VALU_DEP_1) | instskip(NEXT) | instid1(VALU_DEP_1)
	v_mov_b32_e32 v33, v34
	v_add_nc_u64_e32 v[30:31], v[28:29], v[32:33]
	s_delay_alu instid0(VALU_DEP_1)
	v_add_nc_u64_e32 v[28:29], v[34:35], v[30:31]
; %bb.29:
	s_or_b32 exec_lo, exec_lo, s9
	v_mov_b32_dpp v30, v30 row_shr:4 row_mask:0xf bank_mask:0xf
	s_delay_alu instid0(VALU_DEP_2)
	v_mov_b32_dpp v33, v29 row_shr:4 row_mask:0xf bank_mask:0xf
	s_mov_b32 s9, exec_lo
	v_cmpx_lt_u32_e32 3, v26
; %bb.30:
	v_mov_b32_e32 v32, 0
	s_delay_alu instid0(VALU_DEP_1) | instskip(NEXT) | instid1(VALU_DEP_1)
	v_mov_b32_e32 v31, v32
	v_add_nc_u64_e32 v[28:29], v[28:29], v[30:31]
	s_delay_alu instid0(VALU_DEP_1)
	v_add_nc_u64_e32 v[28:29], v[28:29], v[32:33]
; %bb.31:
	s_or_b32 exec_lo, exec_lo, s9
	ds_store_b64 v36, v[28:29]
.LBB131_32:
	s_or_b32 exec_lo, exec_lo, s8
	s_load_b64 s[8:9], s[0:1], 0x20
	v_mul_u32_u24_e32 v30, 40, v0
	s_wait_xcnt 0x0
	s_mov_b32 s1, exec_lo
	s_wait_dscnt 0x0
	s_barrier_signal -1
	s_barrier_wait -1
                                        ; implicit-def: $vgpr28_vgpr29
	v_cmpx_lt_u32_e32 31, v0
	s_cbranch_execz .LBB131_34
; %bb.33:
	v_lshl_add_u32 v25, v25, 3, -8
	ds_load_b64 v[28:29], v25
	v_mov_b32_e32 v25, v27
	s_wait_dscnt 0x0
	s_delay_alu instid0(VALU_DEP_1) | instskip(NEXT) | instid1(VALU_DEP_1)
	v_add_nc_u64_e32 v[26:27], v[24:25], v[28:29]
	v_mov_b32_e32 v24, v26
.LBB131_34:
	s_or_b32 exec_lo, exec_lo, s1
	v_add_nc_u32_e32 v25, -1, v1
	s_mov_b32 s1, exec_lo
	s_delay_alu instid0(VALU_DEP_1) | instskip(NEXT) | instid1(VALU_DEP_1)
	v_cmp_gt_i32_e64 s0, 0, v25
	v_cndmask_b32_e64 v25, v25, v1, s0
	s_delay_alu instid0(VALU_DEP_1)
	v_lshlrev_b32_e32 v25, 2, v25
	ds_bpermute_b32 v24, v25, v24
	ds_bpermute_b32 v25, v25, v27
	v_cmpx_ne_u32_e32 0, v0
	s_cbranch_execz .LBB131_36
; %bb.35:
	v_cmp_eq_u32_e64 s0, 0, v1
	;;#ASMSTART
	;;#ASMEND
	s_wait_dscnt 0x0
	s_delay_alu instid0(VALU_DEP_1) | instskip(NEXT) | instid1(VALU_DEP_1)
	v_dual_cndmask_b32 v7, v25, v29, s0 :: v_dual_cndmask_b32 v6, v24, v28, s0
	v_add_nc_u64_e32 v[2:3], v[6:7], v[2:3]
	s_delay_alu instid0(VALU_DEP_1) | instskip(NEXT) | instid1(VALU_DEP_1)
	v_add_nc_u64_e32 v[22:23], v[2:3], v[4:5]
	v_add_nc_u64_e32 v[10:11], v[22:23], v[14:15]
	s_delay_alu instid0(VALU_DEP_1) | instskip(NEXT) | instid1(VALU_DEP_1)
	v_add_nc_u64_e32 v[12:13], v[10:11], v[16:17]
	v_add_nc_u64_e32 v[6:7], v[12:13], v[18:19]
	s_delay_alu instid0(VALU_DEP_1)
	v_add_nc_u64_e32 v[8:9], v[6:7], v[20:21]
.LBB131_36:
	s_or_b32 exec_lo, exec_lo, s1
	v_dual_mov_b32 v4, v22 :: v_dual_add_nc_u32 v1, v36, v30
	v_dual_mov_b32 v5, v23 :: v_dual_lshlrev_b32 v0, 3, v0
	s_wait_dscnt 0x0
	s_barrier_signal -1
	s_barrier_wait -1
	ds_store_b128 v1, v[2:5]
	ds_store_b128 v1, v[10:13] offset:16
	ds_store_b128 v1, v[6:9] offset:32
	s_wait_dscnt 0x0
	s_barrier_signal -1
	s_barrier_wait -1
	ds_load_2addr_stride64_b64 v[6:9], v36 offset0:4 offset1:8
	ds_load_2addr_stride64_b64 v[2:5], v36 offset0:12 offset1:16
	ds_load_b64 v[10:11], v36 offset:10240
	v_mov_b32_e32 v1, 0
	s_wait_kmcnt 0x0
	s_delay_alu instid0(VALU_DEP_1)
	v_add_nc_u64_e32 v[0:1], s[8:9], v[0:1]
	s_and_saveexec_b32 s0, vcc_lo
	s_cbranch_execnz .LBB131_43
; %bb.37:
	s_or_b32 exec_lo, exec_lo, s0
	s_and_saveexec_b32 s0, s2
	s_cbranch_execnz .LBB131_44
.LBB131_38:
	s_or_b32 exec_lo, exec_lo, s0
	s_and_saveexec_b32 s0, s3
	s_cbranch_execnz .LBB131_45
.LBB131_39:
	s_or_b32 exec_lo, exec_lo, s0
	s_and_saveexec_b32 s0, s4
	s_cbranch_execnz .LBB131_46
.LBB131_40:
	s_or_b32 exec_lo, exec_lo, s0
	s_and_saveexec_b32 s0, s5
	s_cbranch_execnz .LBB131_47
.LBB131_41:
	s_or_b32 exec_lo, exec_lo, s0
	s_and_saveexec_b32 s0, s6
	s_cbranch_execnz .LBB131_48
.LBB131_42:
	s_endpgm
.LBB131_43:
	ds_load_b64 v[12:13], v36
	s_wait_dscnt 0x0
	global_store_b64 v[0:1], v[12:13], off
	s_wait_xcnt 0x0
	s_or_b32 exec_lo, exec_lo, s0
	s_and_saveexec_b32 s0, s2
	s_cbranch_execz .LBB131_38
.LBB131_44:
	s_wait_dscnt 0x2
	global_store_b64 v[0:1], v[6:7], off offset:2048
	s_wait_xcnt 0x0
	s_or_b32 exec_lo, exec_lo, s0
	s_and_saveexec_b32 s0, s3
	s_cbranch_execz .LBB131_39
.LBB131_45:
	s_wait_dscnt 0x2
	global_store_b64 v[0:1], v[8:9], off offset:4096
	s_wait_xcnt 0x0
	s_or_b32 exec_lo, exec_lo, s0
	s_and_saveexec_b32 s0, s4
	s_cbranch_execz .LBB131_40
.LBB131_46:
	s_wait_dscnt 0x1
	global_store_b64 v[0:1], v[2:3], off offset:6144
	s_wait_xcnt 0x0
	s_or_b32 exec_lo, exec_lo, s0
	s_and_saveexec_b32 s0, s5
	s_cbranch_execz .LBB131_41
.LBB131_47:
	s_wait_dscnt 0x1
	global_store_b64 v[0:1], v[4:5], off offset:8192
	s_wait_xcnt 0x0
	s_or_b32 exec_lo, exec_lo, s0
	s_and_saveexec_b32 s0, s6
	s_cbranch_execz .LBB131_42
.LBB131_48:
	s_wait_dscnt 0x0
	global_store_b64 v[0:1], v[10:11], off offset:10240
	s_endpgm
	.section	.rodata,"a",@progbits
	.p2align	6, 0x0
	.amdhsa_kernel _ZN7rocprim17ROCPRIM_400000_NS6detail17trampoline_kernelINS0_14default_configENS1_20scan_config_selectorIlEEZZNS1_9scan_implILNS1_25lookback_scan_determinismE0ELb0ELb0ES3_PlS8_lN6thrust23THRUST_200600_302600_NS4plusIvEElEEDaPvRmT3_T4_T5_mT6_P12ihipStream_tbENKUlT_T0_E_clISt17integral_constantIbLb1EESP_IbLb0EEEEDaSL_SM_EUlSL_E0_NS1_11comp_targetILNS1_3genE0ELNS1_11target_archE4294967295ELNS1_3gpuE0ELNS1_3repE0EEENS1_30default_config_static_selectorELNS0_4arch9wavefront6targetE0EEEvT1_
		.amdhsa_group_segment_fixed_size 12288
		.amdhsa_private_segment_fixed_size 0
		.amdhsa_kernarg_size 40
		.amdhsa_user_sgpr_count 2
		.amdhsa_user_sgpr_dispatch_ptr 0
		.amdhsa_user_sgpr_queue_ptr 0
		.amdhsa_user_sgpr_kernarg_segment_ptr 1
		.amdhsa_user_sgpr_dispatch_id 0
		.amdhsa_user_sgpr_kernarg_preload_length 0
		.amdhsa_user_sgpr_kernarg_preload_offset 0
		.amdhsa_user_sgpr_private_segment_size 0
		.amdhsa_wavefront_size32 1
		.amdhsa_uses_dynamic_stack 0
		.amdhsa_enable_private_segment 0
		.amdhsa_system_sgpr_workgroup_id_x 1
		.amdhsa_system_sgpr_workgroup_id_y 0
		.amdhsa_system_sgpr_workgroup_id_z 0
		.amdhsa_system_sgpr_workgroup_info 0
		.amdhsa_system_vgpr_workitem_id 0
		.amdhsa_next_free_vgpr 37
		.amdhsa_next_free_sgpr 14
		.amdhsa_named_barrier_count 0
		.amdhsa_reserve_vcc 1
		.amdhsa_float_round_mode_32 0
		.amdhsa_float_round_mode_16_64 0
		.amdhsa_float_denorm_mode_32 3
		.amdhsa_float_denorm_mode_16_64 3
		.amdhsa_fp16_overflow 0
		.amdhsa_memory_ordered 1
		.amdhsa_forward_progress 1
		.amdhsa_inst_pref_size 13
		.amdhsa_round_robin_scheduling 0
		.amdhsa_exception_fp_ieee_invalid_op 0
		.amdhsa_exception_fp_denorm_src 0
		.amdhsa_exception_fp_ieee_div_zero 0
		.amdhsa_exception_fp_ieee_overflow 0
		.amdhsa_exception_fp_ieee_underflow 0
		.amdhsa_exception_fp_ieee_inexact 0
		.amdhsa_exception_int_div_zero 0
	.end_amdhsa_kernel
	.section	.text._ZN7rocprim17ROCPRIM_400000_NS6detail17trampoline_kernelINS0_14default_configENS1_20scan_config_selectorIlEEZZNS1_9scan_implILNS1_25lookback_scan_determinismE0ELb0ELb0ES3_PlS8_lN6thrust23THRUST_200600_302600_NS4plusIvEElEEDaPvRmT3_T4_T5_mT6_P12ihipStream_tbENKUlT_T0_E_clISt17integral_constantIbLb1EESP_IbLb0EEEEDaSL_SM_EUlSL_E0_NS1_11comp_targetILNS1_3genE0ELNS1_11target_archE4294967295ELNS1_3gpuE0ELNS1_3repE0EEENS1_30default_config_static_selectorELNS0_4arch9wavefront6targetE0EEEvT1_,"axG",@progbits,_ZN7rocprim17ROCPRIM_400000_NS6detail17trampoline_kernelINS0_14default_configENS1_20scan_config_selectorIlEEZZNS1_9scan_implILNS1_25lookback_scan_determinismE0ELb0ELb0ES3_PlS8_lN6thrust23THRUST_200600_302600_NS4plusIvEElEEDaPvRmT3_T4_T5_mT6_P12ihipStream_tbENKUlT_T0_E_clISt17integral_constantIbLb1EESP_IbLb0EEEEDaSL_SM_EUlSL_E0_NS1_11comp_targetILNS1_3genE0ELNS1_11target_archE4294967295ELNS1_3gpuE0ELNS1_3repE0EEENS1_30default_config_static_selectorELNS0_4arch9wavefront6targetE0EEEvT1_,comdat
.Lfunc_end131:
	.size	_ZN7rocprim17ROCPRIM_400000_NS6detail17trampoline_kernelINS0_14default_configENS1_20scan_config_selectorIlEEZZNS1_9scan_implILNS1_25lookback_scan_determinismE0ELb0ELb0ES3_PlS8_lN6thrust23THRUST_200600_302600_NS4plusIvEElEEDaPvRmT3_T4_T5_mT6_P12ihipStream_tbENKUlT_T0_E_clISt17integral_constantIbLb1EESP_IbLb0EEEEDaSL_SM_EUlSL_E0_NS1_11comp_targetILNS1_3genE0ELNS1_11target_archE4294967295ELNS1_3gpuE0ELNS1_3repE0EEENS1_30default_config_static_selectorELNS0_4arch9wavefront6targetE0EEEvT1_, .Lfunc_end131-_ZN7rocprim17ROCPRIM_400000_NS6detail17trampoline_kernelINS0_14default_configENS1_20scan_config_selectorIlEEZZNS1_9scan_implILNS1_25lookback_scan_determinismE0ELb0ELb0ES3_PlS8_lN6thrust23THRUST_200600_302600_NS4plusIvEElEEDaPvRmT3_T4_T5_mT6_P12ihipStream_tbENKUlT_T0_E_clISt17integral_constantIbLb1EESP_IbLb0EEEEDaSL_SM_EUlSL_E0_NS1_11comp_targetILNS1_3genE0ELNS1_11target_archE4294967295ELNS1_3gpuE0ELNS1_3repE0EEENS1_30default_config_static_selectorELNS0_4arch9wavefront6targetE0EEEvT1_
                                        ; -- End function
	.set _ZN7rocprim17ROCPRIM_400000_NS6detail17trampoline_kernelINS0_14default_configENS1_20scan_config_selectorIlEEZZNS1_9scan_implILNS1_25lookback_scan_determinismE0ELb0ELb0ES3_PlS8_lN6thrust23THRUST_200600_302600_NS4plusIvEElEEDaPvRmT3_T4_T5_mT6_P12ihipStream_tbENKUlT_T0_E_clISt17integral_constantIbLb1EESP_IbLb0EEEEDaSL_SM_EUlSL_E0_NS1_11comp_targetILNS1_3genE0ELNS1_11target_archE4294967295ELNS1_3gpuE0ELNS1_3repE0EEENS1_30default_config_static_selectorELNS0_4arch9wavefront6targetE0EEEvT1_.num_vgpr, 37
	.set _ZN7rocprim17ROCPRIM_400000_NS6detail17trampoline_kernelINS0_14default_configENS1_20scan_config_selectorIlEEZZNS1_9scan_implILNS1_25lookback_scan_determinismE0ELb0ELb0ES3_PlS8_lN6thrust23THRUST_200600_302600_NS4plusIvEElEEDaPvRmT3_T4_T5_mT6_P12ihipStream_tbENKUlT_T0_E_clISt17integral_constantIbLb1EESP_IbLb0EEEEDaSL_SM_EUlSL_E0_NS1_11comp_targetILNS1_3genE0ELNS1_11target_archE4294967295ELNS1_3gpuE0ELNS1_3repE0EEENS1_30default_config_static_selectorELNS0_4arch9wavefront6targetE0EEEvT1_.num_agpr, 0
	.set _ZN7rocprim17ROCPRIM_400000_NS6detail17trampoline_kernelINS0_14default_configENS1_20scan_config_selectorIlEEZZNS1_9scan_implILNS1_25lookback_scan_determinismE0ELb0ELb0ES3_PlS8_lN6thrust23THRUST_200600_302600_NS4plusIvEElEEDaPvRmT3_T4_T5_mT6_P12ihipStream_tbENKUlT_T0_E_clISt17integral_constantIbLb1EESP_IbLb0EEEEDaSL_SM_EUlSL_E0_NS1_11comp_targetILNS1_3genE0ELNS1_11target_archE4294967295ELNS1_3gpuE0ELNS1_3repE0EEENS1_30default_config_static_selectorELNS0_4arch9wavefront6targetE0EEEvT1_.numbered_sgpr, 14
	.set _ZN7rocprim17ROCPRIM_400000_NS6detail17trampoline_kernelINS0_14default_configENS1_20scan_config_selectorIlEEZZNS1_9scan_implILNS1_25lookback_scan_determinismE0ELb0ELb0ES3_PlS8_lN6thrust23THRUST_200600_302600_NS4plusIvEElEEDaPvRmT3_T4_T5_mT6_P12ihipStream_tbENKUlT_T0_E_clISt17integral_constantIbLb1EESP_IbLb0EEEEDaSL_SM_EUlSL_E0_NS1_11comp_targetILNS1_3genE0ELNS1_11target_archE4294967295ELNS1_3gpuE0ELNS1_3repE0EEENS1_30default_config_static_selectorELNS0_4arch9wavefront6targetE0EEEvT1_.num_named_barrier, 0
	.set _ZN7rocprim17ROCPRIM_400000_NS6detail17trampoline_kernelINS0_14default_configENS1_20scan_config_selectorIlEEZZNS1_9scan_implILNS1_25lookback_scan_determinismE0ELb0ELb0ES3_PlS8_lN6thrust23THRUST_200600_302600_NS4plusIvEElEEDaPvRmT3_T4_T5_mT6_P12ihipStream_tbENKUlT_T0_E_clISt17integral_constantIbLb1EESP_IbLb0EEEEDaSL_SM_EUlSL_E0_NS1_11comp_targetILNS1_3genE0ELNS1_11target_archE4294967295ELNS1_3gpuE0ELNS1_3repE0EEENS1_30default_config_static_selectorELNS0_4arch9wavefront6targetE0EEEvT1_.private_seg_size, 0
	.set _ZN7rocprim17ROCPRIM_400000_NS6detail17trampoline_kernelINS0_14default_configENS1_20scan_config_selectorIlEEZZNS1_9scan_implILNS1_25lookback_scan_determinismE0ELb0ELb0ES3_PlS8_lN6thrust23THRUST_200600_302600_NS4plusIvEElEEDaPvRmT3_T4_T5_mT6_P12ihipStream_tbENKUlT_T0_E_clISt17integral_constantIbLb1EESP_IbLb0EEEEDaSL_SM_EUlSL_E0_NS1_11comp_targetILNS1_3genE0ELNS1_11target_archE4294967295ELNS1_3gpuE0ELNS1_3repE0EEENS1_30default_config_static_selectorELNS0_4arch9wavefront6targetE0EEEvT1_.uses_vcc, 1
	.set _ZN7rocprim17ROCPRIM_400000_NS6detail17trampoline_kernelINS0_14default_configENS1_20scan_config_selectorIlEEZZNS1_9scan_implILNS1_25lookback_scan_determinismE0ELb0ELb0ES3_PlS8_lN6thrust23THRUST_200600_302600_NS4plusIvEElEEDaPvRmT3_T4_T5_mT6_P12ihipStream_tbENKUlT_T0_E_clISt17integral_constantIbLb1EESP_IbLb0EEEEDaSL_SM_EUlSL_E0_NS1_11comp_targetILNS1_3genE0ELNS1_11target_archE4294967295ELNS1_3gpuE0ELNS1_3repE0EEENS1_30default_config_static_selectorELNS0_4arch9wavefront6targetE0EEEvT1_.uses_flat_scratch, 0
	.set _ZN7rocprim17ROCPRIM_400000_NS6detail17trampoline_kernelINS0_14default_configENS1_20scan_config_selectorIlEEZZNS1_9scan_implILNS1_25lookback_scan_determinismE0ELb0ELb0ES3_PlS8_lN6thrust23THRUST_200600_302600_NS4plusIvEElEEDaPvRmT3_T4_T5_mT6_P12ihipStream_tbENKUlT_T0_E_clISt17integral_constantIbLb1EESP_IbLb0EEEEDaSL_SM_EUlSL_E0_NS1_11comp_targetILNS1_3genE0ELNS1_11target_archE4294967295ELNS1_3gpuE0ELNS1_3repE0EEENS1_30default_config_static_selectorELNS0_4arch9wavefront6targetE0EEEvT1_.has_dyn_sized_stack, 0
	.set _ZN7rocprim17ROCPRIM_400000_NS6detail17trampoline_kernelINS0_14default_configENS1_20scan_config_selectorIlEEZZNS1_9scan_implILNS1_25lookback_scan_determinismE0ELb0ELb0ES3_PlS8_lN6thrust23THRUST_200600_302600_NS4plusIvEElEEDaPvRmT3_T4_T5_mT6_P12ihipStream_tbENKUlT_T0_E_clISt17integral_constantIbLb1EESP_IbLb0EEEEDaSL_SM_EUlSL_E0_NS1_11comp_targetILNS1_3genE0ELNS1_11target_archE4294967295ELNS1_3gpuE0ELNS1_3repE0EEENS1_30default_config_static_selectorELNS0_4arch9wavefront6targetE0EEEvT1_.has_recursion, 0
	.set _ZN7rocprim17ROCPRIM_400000_NS6detail17trampoline_kernelINS0_14default_configENS1_20scan_config_selectorIlEEZZNS1_9scan_implILNS1_25lookback_scan_determinismE0ELb0ELb0ES3_PlS8_lN6thrust23THRUST_200600_302600_NS4plusIvEElEEDaPvRmT3_T4_T5_mT6_P12ihipStream_tbENKUlT_T0_E_clISt17integral_constantIbLb1EESP_IbLb0EEEEDaSL_SM_EUlSL_E0_NS1_11comp_targetILNS1_3genE0ELNS1_11target_archE4294967295ELNS1_3gpuE0ELNS1_3repE0EEENS1_30default_config_static_selectorELNS0_4arch9wavefront6targetE0EEEvT1_.has_indirect_call, 0
	.section	.AMDGPU.csdata,"",@progbits
; Kernel info:
; codeLenInByte = 1636
; TotalNumSgprs: 16
; NumVgprs: 37
; ScratchSize: 0
; MemoryBound: 0
; FloatMode: 240
; IeeeMode: 1
; LDSByteSize: 12288 bytes/workgroup (compile time only)
; SGPRBlocks: 0
; VGPRBlocks: 2
; NumSGPRsForWavesPerEU: 16
; NumVGPRsForWavesPerEU: 37
; NamedBarCnt: 0
; Occupancy: 16
; WaveLimiterHint : 0
; COMPUTE_PGM_RSRC2:SCRATCH_EN: 0
; COMPUTE_PGM_RSRC2:USER_SGPR: 2
; COMPUTE_PGM_RSRC2:TRAP_HANDLER: 0
; COMPUTE_PGM_RSRC2:TGID_X_EN: 1
; COMPUTE_PGM_RSRC2:TGID_Y_EN: 0
; COMPUTE_PGM_RSRC2:TGID_Z_EN: 0
; COMPUTE_PGM_RSRC2:TIDIG_COMP_CNT: 0
	.section	.text._ZN7rocprim17ROCPRIM_400000_NS6detail17trampoline_kernelINS0_14default_configENS1_20scan_config_selectorIlEEZZNS1_9scan_implILNS1_25lookback_scan_determinismE0ELb0ELb0ES3_PlS8_lN6thrust23THRUST_200600_302600_NS4plusIvEElEEDaPvRmT3_T4_T5_mT6_P12ihipStream_tbENKUlT_T0_E_clISt17integral_constantIbLb1EESP_IbLb0EEEEDaSL_SM_EUlSL_E0_NS1_11comp_targetILNS1_3genE5ELNS1_11target_archE942ELNS1_3gpuE9ELNS1_3repE0EEENS1_30default_config_static_selectorELNS0_4arch9wavefront6targetE0EEEvT1_,"axG",@progbits,_ZN7rocprim17ROCPRIM_400000_NS6detail17trampoline_kernelINS0_14default_configENS1_20scan_config_selectorIlEEZZNS1_9scan_implILNS1_25lookback_scan_determinismE0ELb0ELb0ES3_PlS8_lN6thrust23THRUST_200600_302600_NS4plusIvEElEEDaPvRmT3_T4_T5_mT6_P12ihipStream_tbENKUlT_T0_E_clISt17integral_constantIbLb1EESP_IbLb0EEEEDaSL_SM_EUlSL_E0_NS1_11comp_targetILNS1_3genE5ELNS1_11target_archE942ELNS1_3gpuE9ELNS1_3repE0EEENS1_30default_config_static_selectorELNS0_4arch9wavefront6targetE0EEEvT1_,comdat
	.protected	_ZN7rocprim17ROCPRIM_400000_NS6detail17trampoline_kernelINS0_14default_configENS1_20scan_config_selectorIlEEZZNS1_9scan_implILNS1_25lookback_scan_determinismE0ELb0ELb0ES3_PlS8_lN6thrust23THRUST_200600_302600_NS4plusIvEElEEDaPvRmT3_T4_T5_mT6_P12ihipStream_tbENKUlT_T0_E_clISt17integral_constantIbLb1EESP_IbLb0EEEEDaSL_SM_EUlSL_E0_NS1_11comp_targetILNS1_3genE5ELNS1_11target_archE942ELNS1_3gpuE9ELNS1_3repE0EEENS1_30default_config_static_selectorELNS0_4arch9wavefront6targetE0EEEvT1_ ; -- Begin function _ZN7rocprim17ROCPRIM_400000_NS6detail17trampoline_kernelINS0_14default_configENS1_20scan_config_selectorIlEEZZNS1_9scan_implILNS1_25lookback_scan_determinismE0ELb0ELb0ES3_PlS8_lN6thrust23THRUST_200600_302600_NS4plusIvEElEEDaPvRmT3_T4_T5_mT6_P12ihipStream_tbENKUlT_T0_E_clISt17integral_constantIbLb1EESP_IbLb0EEEEDaSL_SM_EUlSL_E0_NS1_11comp_targetILNS1_3genE5ELNS1_11target_archE942ELNS1_3gpuE9ELNS1_3repE0EEENS1_30default_config_static_selectorELNS0_4arch9wavefront6targetE0EEEvT1_
	.globl	_ZN7rocprim17ROCPRIM_400000_NS6detail17trampoline_kernelINS0_14default_configENS1_20scan_config_selectorIlEEZZNS1_9scan_implILNS1_25lookback_scan_determinismE0ELb0ELb0ES3_PlS8_lN6thrust23THRUST_200600_302600_NS4plusIvEElEEDaPvRmT3_T4_T5_mT6_P12ihipStream_tbENKUlT_T0_E_clISt17integral_constantIbLb1EESP_IbLb0EEEEDaSL_SM_EUlSL_E0_NS1_11comp_targetILNS1_3genE5ELNS1_11target_archE942ELNS1_3gpuE9ELNS1_3repE0EEENS1_30default_config_static_selectorELNS0_4arch9wavefront6targetE0EEEvT1_
	.p2align	8
	.type	_ZN7rocprim17ROCPRIM_400000_NS6detail17trampoline_kernelINS0_14default_configENS1_20scan_config_selectorIlEEZZNS1_9scan_implILNS1_25lookback_scan_determinismE0ELb0ELb0ES3_PlS8_lN6thrust23THRUST_200600_302600_NS4plusIvEElEEDaPvRmT3_T4_T5_mT6_P12ihipStream_tbENKUlT_T0_E_clISt17integral_constantIbLb1EESP_IbLb0EEEEDaSL_SM_EUlSL_E0_NS1_11comp_targetILNS1_3genE5ELNS1_11target_archE942ELNS1_3gpuE9ELNS1_3repE0EEENS1_30default_config_static_selectorELNS0_4arch9wavefront6targetE0EEEvT1_,@function
_ZN7rocprim17ROCPRIM_400000_NS6detail17trampoline_kernelINS0_14default_configENS1_20scan_config_selectorIlEEZZNS1_9scan_implILNS1_25lookback_scan_determinismE0ELb0ELb0ES3_PlS8_lN6thrust23THRUST_200600_302600_NS4plusIvEElEEDaPvRmT3_T4_T5_mT6_P12ihipStream_tbENKUlT_T0_E_clISt17integral_constantIbLb1EESP_IbLb0EEEEDaSL_SM_EUlSL_E0_NS1_11comp_targetILNS1_3genE5ELNS1_11target_archE942ELNS1_3gpuE9ELNS1_3repE0EEENS1_30default_config_static_selectorELNS0_4arch9wavefront6targetE0EEEvT1_: ; @_ZN7rocprim17ROCPRIM_400000_NS6detail17trampoline_kernelINS0_14default_configENS1_20scan_config_selectorIlEEZZNS1_9scan_implILNS1_25lookback_scan_determinismE0ELb0ELb0ES3_PlS8_lN6thrust23THRUST_200600_302600_NS4plusIvEElEEDaPvRmT3_T4_T5_mT6_P12ihipStream_tbENKUlT_T0_E_clISt17integral_constantIbLb1EESP_IbLb0EEEEDaSL_SM_EUlSL_E0_NS1_11comp_targetILNS1_3genE5ELNS1_11target_archE942ELNS1_3gpuE9ELNS1_3repE0EEENS1_30default_config_static_selectorELNS0_4arch9wavefront6targetE0EEEvT1_
; %bb.0:
	.section	.rodata,"a",@progbits
	.p2align	6, 0x0
	.amdhsa_kernel _ZN7rocprim17ROCPRIM_400000_NS6detail17trampoline_kernelINS0_14default_configENS1_20scan_config_selectorIlEEZZNS1_9scan_implILNS1_25lookback_scan_determinismE0ELb0ELb0ES3_PlS8_lN6thrust23THRUST_200600_302600_NS4plusIvEElEEDaPvRmT3_T4_T5_mT6_P12ihipStream_tbENKUlT_T0_E_clISt17integral_constantIbLb1EESP_IbLb0EEEEDaSL_SM_EUlSL_E0_NS1_11comp_targetILNS1_3genE5ELNS1_11target_archE942ELNS1_3gpuE9ELNS1_3repE0EEENS1_30default_config_static_selectorELNS0_4arch9wavefront6targetE0EEEvT1_
		.amdhsa_group_segment_fixed_size 0
		.amdhsa_private_segment_fixed_size 0
		.amdhsa_kernarg_size 40
		.amdhsa_user_sgpr_count 2
		.amdhsa_user_sgpr_dispatch_ptr 0
		.amdhsa_user_sgpr_queue_ptr 0
		.amdhsa_user_sgpr_kernarg_segment_ptr 1
		.amdhsa_user_sgpr_dispatch_id 0
		.amdhsa_user_sgpr_kernarg_preload_length 0
		.amdhsa_user_sgpr_kernarg_preload_offset 0
		.amdhsa_user_sgpr_private_segment_size 0
		.amdhsa_wavefront_size32 1
		.amdhsa_uses_dynamic_stack 0
		.amdhsa_enable_private_segment 0
		.amdhsa_system_sgpr_workgroup_id_x 1
		.amdhsa_system_sgpr_workgroup_id_y 0
		.amdhsa_system_sgpr_workgroup_id_z 0
		.amdhsa_system_sgpr_workgroup_info 0
		.amdhsa_system_vgpr_workitem_id 0
		.amdhsa_next_free_vgpr 1
		.amdhsa_next_free_sgpr 1
		.amdhsa_named_barrier_count 0
		.amdhsa_reserve_vcc 0
		.amdhsa_float_round_mode_32 0
		.amdhsa_float_round_mode_16_64 0
		.amdhsa_float_denorm_mode_32 3
		.amdhsa_float_denorm_mode_16_64 3
		.amdhsa_fp16_overflow 0
		.amdhsa_memory_ordered 1
		.amdhsa_forward_progress 1
		.amdhsa_inst_pref_size 0
		.amdhsa_round_robin_scheduling 0
		.amdhsa_exception_fp_ieee_invalid_op 0
		.amdhsa_exception_fp_denorm_src 0
		.amdhsa_exception_fp_ieee_div_zero 0
		.amdhsa_exception_fp_ieee_overflow 0
		.amdhsa_exception_fp_ieee_underflow 0
		.amdhsa_exception_fp_ieee_inexact 0
		.amdhsa_exception_int_div_zero 0
	.end_amdhsa_kernel
	.section	.text._ZN7rocprim17ROCPRIM_400000_NS6detail17trampoline_kernelINS0_14default_configENS1_20scan_config_selectorIlEEZZNS1_9scan_implILNS1_25lookback_scan_determinismE0ELb0ELb0ES3_PlS8_lN6thrust23THRUST_200600_302600_NS4plusIvEElEEDaPvRmT3_T4_T5_mT6_P12ihipStream_tbENKUlT_T0_E_clISt17integral_constantIbLb1EESP_IbLb0EEEEDaSL_SM_EUlSL_E0_NS1_11comp_targetILNS1_3genE5ELNS1_11target_archE942ELNS1_3gpuE9ELNS1_3repE0EEENS1_30default_config_static_selectorELNS0_4arch9wavefront6targetE0EEEvT1_,"axG",@progbits,_ZN7rocprim17ROCPRIM_400000_NS6detail17trampoline_kernelINS0_14default_configENS1_20scan_config_selectorIlEEZZNS1_9scan_implILNS1_25lookback_scan_determinismE0ELb0ELb0ES3_PlS8_lN6thrust23THRUST_200600_302600_NS4plusIvEElEEDaPvRmT3_T4_T5_mT6_P12ihipStream_tbENKUlT_T0_E_clISt17integral_constantIbLb1EESP_IbLb0EEEEDaSL_SM_EUlSL_E0_NS1_11comp_targetILNS1_3genE5ELNS1_11target_archE942ELNS1_3gpuE9ELNS1_3repE0EEENS1_30default_config_static_selectorELNS0_4arch9wavefront6targetE0EEEvT1_,comdat
.Lfunc_end132:
	.size	_ZN7rocprim17ROCPRIM_400000_NS6detail17trampoline_kernelINS0_14default_configENS1_20scan_config_selectorIlEEZZNS1_9scan_implILNS1_25lookback_scan_determinismE0ELb0ELb0ES3_PlS8_lN6thrust23THRUST_200600_302600_NS4plusIvEElEEDaPvRmT3_T4_T5_mT6_P12ihipStream_tbENKUlT_T0_E_clISt17integral_constantIbLb1EESP_IbLb0EEEEDaSL_SM_EUlSL_E0_NS1_11comp_targetILNS1_3genE5ELNS1_11target_archE942ELNS1_3gpuE9ELNS1_3repE0EEENS1_30default_config_static_selectorELNS0_4arch9wavefront6targetE0EEEvT1_, .Lfunc_end132-_ZN7rocprim17ROCPRIM_400000_NS6detail17trampoline_kernelINS0_14default_configENS1_20scan_config_selectorIlEEZZNS1_9scan_implILNS1_25lookback_scan_determinismE0ELb0ELb0ES3_PlS8_lN6thrust23THRUST_200600_302600_NS4plusIvEElEEDaPvRmT3_T4_T5_mT6_P12ihipStream_tbENKUlT_T0_E_clISt17integral_constantIbLb1EESP_IbLb0EEEEDaSL_SM_EUlSL_E0_NS1_11comp_targetILNS1_3genE5ELNS1_11target_archE942ELNS1_3gpuE9ELNS1_3repE0EEENS1_30default_config_static_selectorELNS0_4arch9wavefront6targetE0EEEvT1_
                                        ; -- End function
	.set _ZN7rocprim17ROCPRIM_400000_NS6detail17trampoline_kernelINS0_14default_configENS1_20scan_config_selectorIlEEZZNS1_9scan_implILNS1_25lookback_scan_determinismE0ELb0ELb0ES3_PlS8_lN6thrust23THRUST_200600_302600_NS4plusIvEElEEDaPvRmT3_T4_T5_mT6_P12ihipStream_tbENKUlT_T0_E_clISt17integral_constantIbLb1EESP_IbLb0EEEEDaSL_SM_EUlSL_E0_NS1_11comp_targetILNS1_3genE5ELNS1_11target_archE942ELNS1_3gpuE9ELNS1_3repE0EEENS1_30default_config_static_selectorELNS0_4arch9wavefront6targetE0EEEvT1_.num_vgpr, 0
	.set _ZN7rocprim17ROCPRIM_400000_NS6detail17trampoline_kernelINS0_14default_configENS1_20scan_config_selectorIlEEZZNS1_9scan_implILNS1_25lookback_scan_determinismE0ELb0ELb0ES3_PlS8_lN6thrust23THRUST_200600_302600_NS4plusIvEElEEDaPvRmT3_T4_T5_mT6_P12ihipStream_tbENKUlT_T0_E_clISt17integral_constantIbLb1EESP_IbLb0EEEEDaSL_SM_EUlSL_E0_NS1_11comp_targetILNS1_3genE5ELNS1_11target_archE942ELNS1_3gpuE9ELNS1_3repE0EEENS1_30default_config_static_selectorELNS0_4arch9wavefront6targetE0EEEvT1_.num_agpr, 0
	.set _ZN7rocprim17ROCPRIM_400000_NS6detail17trampoline_kernelINS0_14default_configENS1_20scan_config_selectorIlEEZZNS1_9scan_implILNS1_25lookback_scan_determinismE0ELb0ELb0ES3_PlS8_lN6thrust23THRUST_200600_302600_NS4plusIvEElEEDaPvRmT3_T4_T5_mT6_P12ihipStream_tbENKUlT_T0_E_clISt17integral_constantIbLb1EESP_IbLb0EEEEDaSL_SM_EUlSL_E0_NS1_11comp_targetILNS1_3genE5ELNS1_11target_archE942ELNS1_3gpuE9ELNS1_3repE0EEENS1_30default_config_static_selectorELNS0_4arch9wavefront6targetE0EEEvT1_.numbered_sgpr, 0
	.set _ZN7rocprim17ROCPRIM_400000_NS6detail17trampoline_kernelINS0_14default_configENS1_20scan_config_selectorIlEEZZNS1_9scan_implILNS1_25lookback_scan_determinismE0ELb0ELb0ES3_PlS8_lN6thrust23THRUST_200600_302600_NS4plusIvEElEEDaPvRmT3_T4_T5_mT6_P12ihipStream_tbENKUlT_T0_E_clISt17integral_constantIbLb1EESP_IbLb0EEEEDaSL_SM_EUlSL_E0_NS1_11comp_targetILNS1_3genE5ELNS1_11target_archE942ELNS1_3gpuE9ELNS1_3repE0EEENS1_30default_config_static_selectorELNS0_4arch9wavefront6targetE0EEEvT1_.num_named_barrier, 0
	.set _ZN7rocprim17ROCPRIM_400000_NS6detail17trampoline_kernelINS0_14default_configENS1_20scan_config_selectorIlEEZZNS1_9scan_implILNS1_25lookback_scan_determinismE0ELb0ELb0ES3_PlS8_lN6thrust23THRUST_200600_302600_NS4plusIvEElEEDaPvRmT3_T4_T5_mT6_P12ihipStream_tbENKUlT_T0_E_clISt17integral_constantIbLb1EESP_IbLb0EEEEDaSL_SM_EUlSL_E0_NS1_11comp_targetILNS1_3genE5ELNS1_11target_archE942ELNS1_3gpuE9ELNS1_3repE0EEENS1_30default_config_static_selectorELNS0_4arch9wavefront6targetE0EEEvT1_.private_seg_size, 0
	.set _ZN7rocprim17ROCPRIM_400000_NS6detail17trampoline_kernelINS0_14default_configENS1_20scan_config_selectorIlEEZZNS1_9scan_implILNS1_25lookback_scan_determinismE0ELb0ELb0ES3_PlS8_lN6thrust23THRUST_200600_302600_NS4plusIvEElEEDaPvRmT3_T4_T5_mT6_P12ihipStream_tbENKUlT_T0_E_clISt17integral_constantIbLb1EESP_IbLb0EEEEDaSL_SM_EUlSL_E0_NS1_11comp_targetILNS1_3genE5ELNS1_11target_archE942ELNS1_3gpuE9ELNS1_3repE0EEENS1_30default_config_static_selectorELNS0_4arch9wavefront6targetE0EEEvT1_.uses_vcc, 0
	.set _ZN7rocprim17ROCPRIM_400000_NS6detail17trampoline_kernelINS0_14default_configENS1_20scan_config_selectorIlEEZZNS1_9scan_implILNS1_25lookback_scan_determinismE0ELb0ELb0ES3_PlS8_lN6thrust23THRUST_200600_302600_NS4plusIvEElEEDaPvRmT3_T4_T5_mT6_P12ihipStream_tbENKUlT_T0_E_clISt17integral_constantIbLb1EESP_IbLb0EEEEDaSL_SM_EUlSL_E0_NS1_11comp_targetILNS1_3genE5ELNS1_11target_archE942ELNS1_3gpuE9ELNS1_3repE0EEENS1_30default_config_static_selectorELNS0_4arch9wavefront6targetE0EEEvT1_.uses_flat_scratch, 0
	.set _ZN7rocprim17ROCPRIM_400000_NS6detail17trampoline_kernelINS0_14default_configENS1_20scan_config_selectorIlEEZZNS1_9scan_implILNS1_25lookback_scan_determinismE0ELb0ELb0ES3_PlS8_lN6thrust23THRUST_200600_302600_NS4plusIvEElEEDaPvRmT3_T4_T5_mT6_P12ihipStream_tbENKUlT_T0_E_clISt17integral_constantIbLb1EESP_IbLb0EEEEDaSL_SM_EUlSL_E0_NS1_11comp_targetILNS1_3genE5ELNS1_11target_archE942ELNS1_3gpuE9ELNS1_3repE0EEENS1_30default_config_static_selectorELNS0_4arch9wavefront6targetE0EEEvT1_.has_dyn_sized_stack, 0
	.set _ZN7rocprim17ROCPRIM_400000_NS6detail17trampoline_kernelINS0_14default_configENS1_20scan_config_selectorIlEEZZNS1_9scan_implILNS1_25lookback_scan_determinismE0ELb0ELb0ES3_PlS8_lN6thrust23THRUST_200600_302600_NS4plusIvEElEEDaPvRmT3_T4_T5_mT6_P12ihipStream_tbENKUlT_T0_E_clISt17integral_constantIbLb1EESP_IbLb0EEEEDaSL_SM_EUlSL_E0_NS1_11comp_targetILNS1_3genE5ELNS1_11target_archE942ELNS1_3gpuE9ELNS1_3repE0EEENS1_30default_config_static_selectorELNS0_4arch9wavefront6targetE0EEEvT1_.has_recursion, 0
	.set _ZN7rocprim17ROCPRIM_400000_NS6detail17trampoline_kernelINS0_14default_configENS1_20scan_config_selectorIlEEZZNS1_9scan_implILNS1_25lookback_scan_determinismE0ELb0ELb0ES3_PlS8_lN6thrust23THRUST_200600_302600_NS4plusIvEElEEDaPvRmT3_T4_T5_mT6_P12ihipStream_tbENKUlT_T0_E_clISt17integral_constantIbLb1EESP_IbLb0EEEEDaSL_SM_EUlSL_E0_NS1_11comp_targetILNS1_3genE5ELNS1_11target_archE942ELNS1_3gpuE9ELNS1_3repE0EEENS1_30default_config_static_selectorELNS0_4arch9wavefront6targetE0EEEvT1_.has_indirect_call, 0
	.section	.AMDGPU.csdata,"",@progbits
; Kernel info:
; codeLenInByte = 0
; TotalNumSgprs: 0
; NumVgprs: 0
; ScratchSize: 0
; MemoryBound: 0
; FloatMode: 240
; IeeeMode: 1
; LDSByteSize: 0 bytes/workgroup (compile time only)
; SGPRBlocks: 0
; VGPRBlocks: 0
; NumSGPRsForWavesPerEU: 1
; NumVGPRsForWavesPerEU: 1
; NamedBarCnt: 0
; Occupancy: 16
; WaveLimiterHint : 0
; COMPUTE_PGM_RSRC2:SCRATCH_EN: 0
; COMPUTE_PGM_RSRC2:USER_SGPR: 2
; COMPUTE_PGM_RSRC2:TRAP_HANDLER: 0
; COMPUTE_PGM_RSRC2:TGID_X_EN: 1
; COMPUTE_PGM_RSRC2:TGID_Y_EN: 0
; COMPUTE_PGM_RSRC2:TGID_Z_EN: 0
; COMPUTE_PGM_RSRC2:TIDIG_COMP_CNT: 0
	.section	.text._ZN7rocprim17ROCPRIM_400000_NS6detail17trampoline_kernelINS0_14default_configENS1_20scan_config_selectorIlEEZZNS1_9scan_implILNS1_25lookback_scan_determinismE0ELb0ELb0ES3_PlS8_lN6thrust23THRUST_200600_302600_NS4plusIvEElEEDaPvRmT3_T4_T5_mT6_P12ihipStream_tbENKUlT_T0_E_clISt17integral_constantIbLb1EESP_IbLb0EEEEDaSL_SM_EUlSL_E0_NS1_11comp_targetILNS1_3genE4ELNS1_11target_archE910ELNS1_3gpuE8ELNS1_3repE0EEENS1_30default_config_static_selectorELNS0_4arch9wavefront6targetE0EEEvT1_,"axG",@progbits,_ZN7rocprim17ROCPRIM_400000_NS6detail17trampoline_kernelINS0_14default_configENS1_20scan_config_selectorIlEEZZNS1_9scan_implILNS1_25lookback_scan_determinismE0ELb0ELb0ES3_PlS8_lN6thrust23THRUST_200600_302600_NS4plusIvEElEEDaPvRmT3_T4_T5_mT6_P12ihipStream_tbENKUlT_T0_E_clISt17integral_constantIbLb1EESP_IbLb0EEEEDaSL_SM_EUlSL_E0_NS1_11comp_targetILNS1_3genE4ELNS1_11target_archE910ELNS1_3gpuE8ELNS1_3repE0EEENS1_30default_config_static_selectorELNS0_4arch9wavefront6targetE0EEEvT1_,comdat
	.protected	_ZN7rocprim17ROCPRIM_400000_NS6detail17trampoline_kernelINS0_14default_configENS1_20scan_config_selectorIlEEZZNS1_9scan_implILNS1_25lookback_scan_determinismE0ELb0ELb0ES3_PlS8_lN6thrust23THRUST_200600_302600_NS4plusIvEElEEDaPvRmT3_T4_T5_mT6_P12ihipStream_tbENKUlT_T0_E_clISt17integral_constantIbLb1EESP_IbLb0EEEEDaSL_SM_EUlSL_E0_NS1_11comp_targetILNS1_3genE4ELNS1_11target_archE910ELNS1_3gpuE8ELNS1_3repE0EEENS1_30default_config_static_selectorELNS0_4arch9wavefront6targetE0EEEvT1_ ; -- Begin function _ZN7rocprim17ROCPRIM_400000_NS6detail17trampoline_kernelINS0_14default_configENS1_20scan_config_selectorIlEEZZNS1_9scan_implILNS1_25lookback_scan_determinismE0ELb0ELb0ES3_PlS8_lN6thrust23THRUST_200600_302600_NS4plusIvEElEEDaPvRmT3_T4_T5_mT6_P12ihipStream_tbENKUlT_T0_E_clISt17integral_constantIbLb1EESP_IbLb0EEEEDaSL_SM_EUlSL_E0_NS1_11comp_targetILNS1_3genE4ELNS1_11target_archE910ELNS1_3gpuE8ELNS1_3repE0EEENS1_30default_config_static_selectorELNS0_4arch9wavefront6targetE0EEEvT1_
	.globl	_ZN7rocprim17ROCPRIM_400000_NS6detail17trampoline_kernelINS0_14default_configENS1_20scan_config_selectorIlEEZZNS1_9scan_implILNS1_25lookback_scan_determinismE0ELb0ELb0ES3_PlS8_lN6thrust23THRUST_200600_302600_NS4plusIvEElEEDaPvRmT3_T4_T5_mT6_P12ihipStream_tbENKUlT_T0_E_clISt17integral_constantIbLb1EESP_IbLb0EEEEDaSL_SM_EUlSL_E0_NS1_11comp_targetILNS1_3genE4ELNS1_11target_archE910ELNS1_3gpuE8ELNS1_3repE0EEENS1_30default_config_static_selectorELNS0_4arch9wavefront6targetE0EEEvT1_
	.p2align	8
	.type	_ZN7rocprim17ROCPRIM_400000_NS6detail17trampoline_kernelINS0_14default_configENS1_20scan_config_selectorIlEEZZNS1_9scan_implILNS1_25lookback_scan_determinismE0ELb0ELb0ES3_PlS8_lN6thrust23THRUST_200600_302600_NS4plusIvEElEEDaPvRmT3_T4_T5_mT6_P12ihipStream_tbENKUlT_T0_E_clISt17integral_constantIbLb1EESP_IbLb0EEEEDaSL_SM_EUlSL_E0_NS1_11comp_targetILNS1_3genE4ELNS1_11target_archE910ELNS1_3gpuE8ELNS1_3repE0EEENS1_30default_config_static_selectorELNS0_4arch9wavefront6targetE0EEEvT1_,@function
_ZN7rocprim17ROCPRIM_400000_NS6detail17trampoline_kernelINS0_14default_configENS1_20scan_config_selectorIlEEZZNS1_9scan_implILNS1_25lookback_scan_determinismE0ELb0ELb0ES3_PlS8_lN6thrust23THRUST_200600_302600_NS4plusIvEElEEDaPvRmT3_T4_T5_mT6_P12ihipStream_tbENKUlT_T0_E_clISt17integral_constantIbLb1EESP_IbLb0EEEEDaSL_SM_EUlSL_E0_NS1_11comp_targetILNS1_3genE4ELNS1_11target_archE910ELNS1_3gpuE8ELNS1_3repE0EEENS1_30default_config_static_selectorELNS0_4arch9wavefront6targetE0EEEvT1_: ; @_ZN7rocprim17ROCPRIM_400000_NS6detail17trampoline_kernelINS0_14default_configENS1_20scan_config_selectorIlEEZZNS1_9scan_implILNS1_25lookback_scan_determinismE0ELb0ELb0ES3_PlS8_lN6thrust23THRUST_200600_302600_NS4plusIvEElEEDaPvRmT3_T4_T5_mT6_P12ihipStream_tbENKUlT_T0_E_clISt17integral_constantIbLb1EESP_IbLb0EEEEDaSL_SM_EUlSL_E0_NS1_11comp_targetILNS1_3genE4ELNS1_11target_archE910ELNS1_3gpuE8ELNS1_3repE0EEENS1_30default_config_static_selectorELNS0_4arch9wavefront6targetE0EEEvT1_
; %bb.0:
	.section	.rodata,"a",@progbits
	.p2align	6, 0x0
	.amdhsa_kernel _ZN7rocprim17ROCPRIM_400000_NS6detail17trampoline_kernelINS0_14default_configENS1_20scan_config_selectorIlEEZZNS1_9scan_implILNS1_25lookback_scan_determinismE0ELb0ELb0ES3_PlS8_lN6thrust23THRUST_200600_302600_NS4plusIvEElEEDaPvRmT3_T4_T5_mT6_P12ihipStream_tbENKUlT_T0_E_clISt17integral_constantIbLb1EESP_IbLb0EEEEDaSL_SM_EUlSL_E0_NS1_11comp_targetILNS1_3genE4ELNS1_11target_archE910ELNS1_3gpuE8ELNS1_3repE0EEENS1_30default_config_static_selectorELNS0_4arch9wavefront6targetE0EEEvT1_
		.amdhsa_group_segment_fixed_size 0
		.amdhsa_private_segment_fixed_size 0
		.amdhsa_kernarg_size 40
		.amdhsa_user_sgpr_count 2
		.amdhsa_user_sgpr_dispatch_ptr 0
		.amdhsa_user_sgpr_queue_ptr 0
		.amdhsa_user_sgpr_kernarg_segment_ptr 1
		.amdhsa_user_sgpr_dispatch_id 0
		.amdhsa_user_sgpr_kernarg_preload_length 0
		.amdhsa_user_sgpr_kernarg_preload_offset 0
		.amdhsa_user_sgpr_private_segment_size 0
		.amdhsa_wavefront_size32 1
		.amdhsa_uses_dynamic_stack 0
		.amdhsa_enable_private_segment 0
		.amdhsa_system_sgpr_workgroup_id_x 1
		.amdhsa_system_sgpr_workgroup_id_y 0
		.amdhsa_system_sgpr_workgroup_id_z 0
		.amdhsa_system_sgpr_workgroup_info 0
		.amdhsa_system_vgpr_workitem_id 0
		.amdhsa_next_free_vgpr 1
		.amdhsa_next_free_sgpr 1
		.amdhsa_named_barrier_count 0
		.amdhsa_reserve_vcc 0
		.amdhsa_float_round_mode_32 0
		.amdhsa_float_round_mode_16_64 0
		.amdhsa_float_denorm_mode_32 3
		.amdhsa_float_denorm_mode_16_64 3
		.amdhsa_fp16_overflow 0
		.amdhsa_memory_ordered 1
		.amdhsa_forward_progress 1
		.amdhsa_inst_pref_size 0
		.amdhsa_round_robin_scheduling 0
		.amdhsa_exception_fp_ieee_invalid_op 0
		.amdhsa_exception_fp_denorm_src 0
		.amdhsa_exception_fp_ieee_div_zero 0
		.amdhsa_exception_fp_ieee_overflow 0
		.amdhsa_exception_fp_ieee_underflow 0
		.amdhsa_exception_fp_ieee_inexact 0
		.amdhsa_exception_int_div_zero 0
	.end_amdhsa_kernel
	.section	.text._ZN7rocprim17ROCPRIM_400000_NS6detail17trampoline_kernelINS0_14default_configENS1_20scan_config_selectorIlEEZZNS1_9scan_implILNS1_25lookback_scan_determinismE0ELb0ELb0ES3_PlS8_lN6thrust23THRUST_200600_302600_NS4plusIvEElEEDaPvRmT3_T4_T5_mT6_P12ihipStream_tbENKUlT_T0_E_clISt17integral_constantIbLb1EESP_IbLb0EEEEDaSL_SM_EUlSL_E0_NS1_11comp_targetILNS1_3genE4ELNS1_11target_archE910ELNS1_3gpuE8ELNS1_3repE0EEENS1_30default_config_static_selectorELNS0_4arch9wavefront6targetE0EEEvT1_,"axG",@progbits,_ZN7rocprim17ROCPRIM_400000_NS6detail17trampoline_kernelINS0_14default_configENS1_20scan_config_selectorIlEEZZNS1_9scan_implILNS1_25lookback_scan_determinismE0ELb0ELb0ES3_PlS8_lN6thrust23THRUST_200600_302600_NS4plusIvEElEEDaPvRmT3_T4_T5_mT6_P12ihipStream_tbENKUlT_T0_E_clISt17integral_constantIbLb1EESP_IbLb0EEEEDaSL_SM_EUlSL_E0_NS1_11comp_targetILNS1_3genE4ELNS1_11target_archE910ELNS1_3gpuE8ELNS1_3repE0EEENS1_30default_config_static_selectorELNS0_4arch9wavefront6targetE0EEEvT1_,comdat
.Lfunc_end133:
	.size	_ZN7rocprim17ROCPRIM_400000_NS6detail17trampoline_kernelINS0_14default_configENS1_20scan_config_selectorIlEEZZNS1_9scan_implILNS1_25lookback_scan_determinismE0ELb0ELb0ES3_PlS8_lN6thrust23THRUST_200600_302600_NS4plusIvEElEEDaPvRmT3_T4_T5_mT6_P12ihipStream_tbENKUlT_T0_E_clISt17integral_constantIbLb1EESP_IbLb0EEEEDaSL_SM_EUlSL_E0_NS1_11comp_targetILNS1_3genE4ELNS1_11target_archE910ELNS1_3gpuE8ELNS1_3repE0EEENS1_30default_config_static_selectorELNS0_4arch9wavefront6targetE0EEEvT1_, .Lfunc_end133-_ZN7rocprim17ROCPRIM_400000_NS6detail17trampoline_kernelINS0_14default_configENS1_20scan_config_selectorIlEEZZNS1_9scan_implILNS1_25lookback_scan_determinismE0ELb0ELb0ES3_PlS8_lN6thrust23THRUST_200600_302600_NS4plusIvEElEEDaPvRmT3_T4_T5_mT6_P12ihipStream_tbENKUlT_T0_E_clISt17integral_constantIbLb1EESP_IbLb0EEEEDaSL_SM_EUlSL_E0_NS1_11comp_targetILNS1_3genE4ELNS1_11target_archE910ELNS1_3gpuE8ELNS1_3repE0EEENS1_30default_config_static_selectorELNS0_4arch9wavefront6targetE0EEEvT1_
                                        ; -- End function
	.set _ZN7rocprim17ROCPRIM_400000_NS6detail17trampoline_kernelINS0_14default_configENS1_20scan_config_selectorIlEEZZNS1_9scan_implILNS1_25lookback_scan_determinismE0ELb0ELb0ES3_PlS8_lN6thrust23THRUST_200600_302600_NS4plusIvEElEEDaPvRmT3_T4_T5_mT6_P12ihipStream_tbENKUlT_T0_E_clISt17integral_constantIbLb1EESP_IbLb0EEEEDaSL_SM_EUlSL_E0_NS1_11comp_targetILNS1_3genE4ELNS1_11target_archE910ELNS1_3gpuE8ELNS1_3repE0EEENS1_30default_config_static_selectorELNS0_4arch9wavefront6targetE0EEEvT1_.num_vgpr, 0
	.set _ZN7rocprim17ROCPRIM_400000_NS6detail17trampoline_kernelINS0_14default_configENS1_20scan_config_selectorIlEEZZNS1_9scan_implILNS1_25lookback_scan_determinismE0ELb0ELb0ES3_PlS8_lN6thrust23THRUST_200600_302600_NS4plusIvEElEEDaPvRmT3_T4_T5_mT6_P12ihipStream_tbENKUlT_T0_E_clISt17integral_constantIbLb1EESP_IbLb0EEEEDaSL_SM_EUlSL_E0_NS1_11comp_targetILNS1_3genE4ELNS1_11target_archE910ELNS1_3gpuE8ELNS1_3repE0EEENS1_30default_config_static_selectorELNS0_4arch9wavefront6targetE0EEEvT1_.num_agpr, 0
	.set _ZN7rocprim17ROCPRIM_400000_NS6detail17trampoline_kernelINS0_14default_configENS1_20scan_config_selectorIlEEZZNS1_9scan_implILNS1_25lookback_scan_determinismE0ELb0ELb0ES3_PlS8_lN6thrust23THRUST_200600_302600_NS4plusIvEElEEDaPvRmT3_T4_T5_mT6_P12ihipStream_tbENKUlT_T0_E_clISt17integral_constantIbLb1EESP_IbLb0EEEEDaSL_SM_EUlSL_E0_NS1_11comp_targetILNS1_3genE4ELNS1_11target_archE910ELNS1_3gpuE8ELNS1_3repE0EEENS1_30default_config_static_selectorELNS0_4arch9wavefront6targetE0EEEvT1_.numbered_sgpr, 0
	.set _ZN7rocprim17ROCPRIM_400000_NS6detail17trampoline_kernelINS0_14default_configENS1_20scan_config_selectorIlEEZZNS1_9scan_implILNS1_25lookback_scan_determinismE0ELb0ELb0ES3_PlS8_lN6thrust23THRUST_200600_302600_NS4plusIvEElEEDaPvRmT3_T4_T5_mT6_P12ihipStream_tbENKUlT_T0_E_clISt17integral_constantIbLb1EESP_IbLb0EEEEDaSL_SM_EUlSL_E0_NS1_11comp_targetILNS1_3genE4ELNS1_11target_archE910ELNS1_3gpuE8ELNS1_3repE0EEENS1_30default_config_static_selectorELNS0_4arch9wavefront6targetE0EEEvT1_.num_named_barrier, 0
	.set _ZN7rocprim17ROCPRIM_400000_NS6detail17trampoline_kernelINS0_14default_configENS1_20scan_config_selectorIlEEZZNS1_9scan_implILNS1_25lookback_scan_determinismE0ELb0ELb0ES3_PlS8_lN6thrust23THRUST_200600_302600_NS4plusIvEElEEDaPvRmT3_T4_T5_mT6_P12ihipStream_tbENKUlT_T0_E_clISt17integral_constantIbLb1EESP_IbLb0EEEEDaSL_SM_EUlSL_E0_NS1_11comp_targetILNS1_3genE4ELNS1_11target_archE910ELNS1_3gpuE8ELNS1_3repE0EEENS1_30default_config_static_selectorELNS0_4arch9wavefront6targetE0EEEvT1_.private_seg_size, 0
	.set _ZN7rocprim17ROCPRIM_400000_NS6detail17trampoline_kernelINS0_14default_configENS1_20scan_config_selectorIlEEZZNS1_9scan_implILNS1_25lookback_scan_determinismE0ELb0ELb0ES3_PlS8_lN6thrust23THRUST_200600_302600_NS4plusIvEElEEDaPvRmT3_T4_T5_mT6_P12ihipStream_tbENKUlT_T0_E_clISt17integral_constantIbLb1EESP_IbLb0EEEEDaSL_SM_EUlSL_E0_NS1_11comp_targetILNS1_3genE4ELNS1_11target_archE910ELNS1_3gpuE8ELNS1_3repE0EEENS1_30default_config_static_selectorELNS0_4arch9wavefront6targetE0EEEvT1_.uses_vcc, 0
	.set _ZN7rocprim17ROCPRIM_400000_NS6detail17trampoline_kernelINS0_14default_configENS1_20scan_config_selectorIlEEZZNS1_9scan_implILNS1_25lookback_scan_determinismE0ELb0ELb0ES3_PlS8_lN6thrust23THRUST_200600_302600_NS4plusIvEElEEDaPvRmT3_T4_T5_mT6_P12ihipStream_tbENKUlT_T0_E_clISt17integral_constantIbLb1EESP_IbLb0EEEEDaSL_SM_EUlSL_E0_NS1_11comp_targetILNS1_3genE4ELNS1_11target_archE910ELNS1_3gpuE8ELNS1_3repE0EEENS1_30default_config_static_selectorELNS0_4arch9wavefront6targetE0EEEvT1_.uses_flat_scratch, 0
	.set _ZN7rocprim17ROCPRIM_400000_NS6detail17trampoline_kernelINS0_14default_configENS1_20scan_config_selectorIlEEZZNS1_9scan_implILNS1_25lookback_scan_determinismE0ELb0ELb0ES3_PlS8_lN6thrust23THRUST_200600_302600_NS4plusIvEElEEDaPvRmT3_T4_T5_mT6_P12ihipStream_tbENKUlT_T0_E_clISt17integral_constantIbLb1EESP_IbLb0EEEEDaSL_SM_EUlSL_E0_NS1_11comp_targetILNS1_3genE4ELNS1_11target_archE910ELNS1_3gpuE8ELNS1_3repE0EEENS1_30default_config_static_selectorELNS0_4arch9wavefront6targetE0EEEvT1_.has_dyn_sized_stack, 0
	.set _ZN7rocprim17ROCPRIM_400000_NS6detail17trampoline_kernelINS0_14default_configENS1_20scan_config_selectorIlEEZZNS1_9scan_implILNS1_25lookback_scan_determinismE0ELb0ELb0ES3_PlS8_lN6thrust23THRUST_200600_302600_NS4plusIvEElEEDaPvRmT3_T4_T5_mT6_P12ihipStream_tbENKUlT_T0_E_clISt17integral_constantIbLb1EESP_IbLb0EEEEDaSL_SM_EUlSL_E0_NS1_11comp_targetILNS1_3genE4ELNS1_11target_archE910ELNS1_3gpuE8ELNS1_3repE0EEENS1_30default_config_static_selectorELNS0_4arch9wavefront6targetE0EEEvT1_.has_recursion, 0
	.set _ZN7rocprim17ROCPRIM_400000_NS6detail17trampoline_kernelINS0_14default_configENS1_20scan_config_selectorIlEEZZNS1_9scan_implILNS1_25lookback_scan_determinismE0ELb0ELb0ES3_PlS8_lN6thrust23THRUST_200600_302600_NS4plusIvEElEEDaPvRmT3_T4_T5_mT6_P12ihipStream_tbENKUlT_T0_E_clISt17integral_constantIbLb1EESP_IbLb0EEEEDaSL_SM_EUlSL_E0_NS1_11comp_targetILNS1_3genE4ELNS1_11target_archE910ELNS1_3gpuE8ELNS1_3repE0EEENS1_30default_config_static_selectorELNS0_4arch9wavefront6targetE0EEEvT1_.has_indirect_call, 0
	.section	.AMDGPU.csdata,"",@progbits
; Kernel info:
; codeLenInByte = 0
; TotalNumSgprs: 0
; NumVgprs: 0
; ScratchSize: 0
; MemoryBound: 0
; FloatMode: 240
; IeeeMode: 1
; LDSByteSize: 0 bytes/workgroup (compile time only)
; SGPRBlocks: 0
; VGPRBlocks: 0
; NumSGPRsForWavesPerEU: 1
; NumVGPRsForWavesPerEU: 1
; NamedBarCnt: 0
; Occupancy: 16
; WaveLimiterHint : 0
; COMPUTE_PGM_RSRC2:SCRATCH_EN: 0
; COMPUTE_PGM_RSRC2:USER_SGPR: 2
; COMPUTE_PGM_RSRC2:TRAP_HANDLER: 0
; COMPUTE_PGM_RSRC2:TGID_X_EN: 1
; COMPUTE_PGM_RSRC2:TGID_Y_EN: 0
; COMPUTE_PGM_RSRC2:TGID_Z_EN: 0
; COMPUTE_PGM_RSRC2:TIDIG_COMP_CNT: 0
	.section	.text._ZN7rocprim17ROCPRIM_400000_NS6detail17trampoline_kernelINS0_14default_configENS1_20scan_config_selectorIlEEZZNS1_9scan_implILNS1_25lookback_scan_determinismE0ELb0ELb0ES3_PlS8_lN6thrust23THRUST_200600_302600_NS4plusIvEElEEDaPvRmT3_T4_T5_mT6_P12ihipStream_tbENKUlT_T0_E_clISt17integral_constantIbLb1EESP_IbLb0EEEEDaSL_SM_EUlSL_E0_NS1_11comp_targetILNS1_3genE3ELNS1_11target_archE908ELNS1_3gpuE7ELNS1_3repE0EEENS1_30default_config_static_selectorELNS0_4arch9wavefront6targetE0EEEvT1_,"axG",@progbits,_ZN7rocprim17ROCPRIM_400000_NS6detail17trampoline_kernelINS0_14default_configENS1_20scan_config_selectorIlEEZZNS1_9scan_implILNS1_25lookback_scan_determinismE0ELb0ELb0ES3_PlS8_lN6thrust23THRUST_200600_302600_NS4plusIvEElEEDaPvRmT3_T4_T5_mT6_P12ihipStream_tbENKUlT_T0_E_clISt17integral_constantIbLb1EESP_IbLb0EEEEDaSL_SM_EUlSL_E0_NS1_11comp_targetILNS1_3genE3ELNS1_11target_archE908ELNS1_3gpuE7ELNS1_3repE0EEENS1_30default_config_static_selectorELNS0_4arch9wavefront6targetE0EEEvT1_,comdat
	.protected	_ZN7rocprim17ROCPRIM_400000_NS6detail17trampoline_kernelINS0_14default_configENS1_20scan_config_selectorIlEEZZNS1_9scan_implILNS1_25lookback_scan_determinismE0ELb0ELb0ES3_PlS8_lN6thrust23THRUST_200600_302600_NS4plusIvEElEEDaPvRmT3_T4_T5_mT6_P12ihipStream_tbENKUlT_T0_E_clISt17integral_constantIbLb1EESP_IbLb0EEEEDaSL_SM_EUlSL_E0_NS1_11comp_targetILNS1_3genE3ELNS1_11target_archE908ELNS1_3gpuE7ELNS1_3repE0EEENS1_30default_config_static_selectorELNS0_4arch9wavefront6targetE0EEEvT1_ ; -- Begin function _ZN7rocprim17ROCPRIM_400000_NS6detail17trampoline_kernelINS0_14default_configENS1_20scan_config_selectorIlEEZZNS1_9scan_implILNS1_25lookback_scan_determinismE0ELb0ELb0ES3_PlS8_lN6thrust23THRUST_200600_302600_NS4plusIvEElEEDaPvRmT3_T4_T5_mT6_P12ihipStream_tbENKUlT_T0_E_clISt17integral_constantIbLb1EESP_IbLb0EEEEDaSL_SM_EUlSL_E0_NS1_11comp_targetILNS1_3genE3ELNS1_11target_archE908ELNS1_3gpuE7ELNS1_3repE0EEENS1_30default_config_static_selectorELNS0_4arch9wavefront6targetE0EEEvT1_
	.globl	_ZN7rocprim17ROCPRIM_400000_NS6detail17trampoline_kernelINS0_14default_configENS1_20scan_config_selectorIlEEZZNS1_9scan_implILNS1_25lookback_scan_determinismE0ELb0ELb0ES3_PlS8_lN6thrust23THRUST_200600_302600_NS4plusIvEElEEDaPvRmT3_T4_T5_mT6_P12ihipStream_tbENKUlT_T0_E_clISt17integral_constantIbLb1EESP_IbLb0EEEEDaSL_SM_EUlSL_E0_NS1_11comp_targetILNS1_3genE3ELNS1_11target_archE908ELNS1_3gpuE7ELNS1_3repE0EEENS1_30default_config_static_selectorELNS0_4arch9wavefront6targetE0EEEvT1_
	.p2align	8
	.type	_ZN7rocprim17ROCPRIM_400000_NS6detail17trampoline_kernelINS0_14default_configENS1_20scan_config_selectorIlEEZZNS1_9scan_implILNS1_25lookback_scan_determinismE0ELb0ELb0ES3_PlS8_lN6thrust23THRUST_200600_302600_NS4plusIvEElEEDaPvRmT3_T4_T5_mT6_P12ihipStream_tbENKUlT_T0_E_clISt17integral_constantIbLb1EESP_IbLb0EEEEDaSL_SM_EUlSL_E0_NS1_11comp_targetILNS1_3genE3ELNS1_11target_archE908ELNS1_3gpuE7ELNS1_3repE0EEENS1_30default_config_static_selectorELNS0_4arch9wavefront6targetE0EEEvT1_,@function
_ZN7rocprim17ROCPRIM_400000_NS6detail17trampoline_kernelINS0_14default_configENS1_20scan_config_selectorIlEEZZNS1_9scan_implILNS1_25lookback_scan_determinismE0ELb0ELb0ES3_PlS8_lN6thrust23THRUST_200600_302600_NS4plusIvEElEEDaPvRmT3_T4_T5_mT6_P12ihipStream_tbENKUlT_T0_E_clISt17integral_constantIbLb1EESP_IbLb0EEEEDaSL_SM_EUlSL_E0_NS1_11comp_targetILNS1_3genE3ELNS1_11target_archE908ELNS1_3gpuE7ELNS1_3repE0EEENS1_30default_config_static_selectorELNS0_4arch9wavefront6targetE0EEEvT1_: ; @_ZN7rocprim17ROCPRIM_400000_NS6detail17trampoline_kernelINS0_14default_configENS1_20scan_config_selectorIlEEZZNS1_9scan_implILNS1_25lookback_scan_determinismE0ELb0ELb0ES3_PlS8_lN6thrust23THRUST_200600_302600_NS4plusIvEElEEDaPvRmT3_T4_T5_mT6_P12ihipStream_tbENKUlT_T0_E_clISt17integral_constantIbLb1EESP_IbLb0EEEEDaSL_SM_EUlSL_E0_NS1_11comp_targetILNS1_3genE3ELNS1_11target_archE908ELNS1_3gpuE7ELNS1_3repE0EEENS1_30default_config_static_selectorELNS0_4arch9wavefront6targetE0EEEvT1_
; %bb.0:
	.section	.rodata,"a",@progbits
	.p2align	6, 0x0
	.amdhsa_kernel _ZN7rocprim17ROCPRIM_400000_NS6detail17trampoline_kernelINS0_14default_configENS1_20scan_config_selectorIlEEZZNS1_9scan_implILNS1_25lookback_scan_determinismE0ELb0ELb0ES3_PlS8_lN6thrust23THRUST_200600_302600_NS4plusIvEElEEDaPvRmT3_T4_T5_mT6_P12ihipStream_tbENKUlT_T0_E_clISt17integral_constantIbLb1EESP_IbLb0EEEEDaSL_SM_EUlSL_E0_NS1_11comp_targetILNS1_3genE3ELNS1_11target_archE908ELNS1_3gpuE7ELNS1_3repE0EEENS1_30default_config_static_selectorELNS0_4arch9wavefront6targetE0EEEvT1_
		.amdhsa_group_segment_fixed_size 0
		.amdhsa_private_segment_fixed_size 0
		.amdhsa_kernarg_size 40
		.amdhsa_user_sgpr_count 2
		.amdhsa_user_sgpr_dispatch_ptr 0
		.amdhsa_user_sgpr_queue_ptr 0
		.amdhsa_user_sgpr_kernarg_segment_ptr 1
		.amdhsa_user_sgpr_dispatch_id 0
		.amdhsa_user_sgpr_kernarg_preload_length 0
		.amdhsa_user_sgpr_kernarg_preload_offset 0
		.amdhsa_user_sgpr_private_segment_size 0
		.amdhsa_wavefront_size32 1
		.amdhsa_uses_dynamic_stack 0
		.amdhsa_enable_private_segment 0
		.amdhsa_system_sgpr_workgroup_id_x 1
		.amdhsa_system_sgpr_workgroup_id_y 0
		.amdhsa_system_sgpr_workgroup_id_z 0
		.amdhsa_system_sgpr_workgroup_info 0
		.amdhsa_system_vgpr_workitem_id 0
		.amdhsa_next_free_vgpr 1
		.amdhsa_next_free_sgpr 1
		.amdhsa_named_barrier_count 0
		.amdhsa_reserve_vcc 0
		.amdhsa_float_round_mode_32 0
		.amdhsa_float_round_mode_16_64 0
		.amdhsa_float_denorm_mode_32 3
		.amdhsa_float_denorm_mode_16_64 3
		.amdhsa_fp16_overflow 0
		.amdhsa_memory_ordered 1
		.amdhsa_forward_progress 1
		.amdhsa_inst_pref_size 0
		.amdhsa_round_robin_scheduling 0
		.amdhsa_exception_fp_ieee_invalid_op 0
		.amdhsa_exception_fp_denorm_src 0
		.amdhsa_exception_fp_ieee_div_zero 0
		.amdhsa_exception_fp_ieee_overflow 0
		.amdhsa_exception_fp_ieee_underflow 0
		.amdhsa_exception_fp_ieee_inexact 0
		.amdhsa_exception_int_div_zero 0
	.end_amdhsa_kernel
	.section	.text._ZN7rocprim17ROCPRIM_400000_NS6detail17trampoline_kernelINS0_14default_configENS1_20scan_config_selectorIlEEZZNS1_9scan_implILNS1_25lookback_scan_determinismE0ELb0ELb0ES3_PlS8_lN6thrust23THRUST_200600_302600_NS4plusIvEElEEDaPvRmT3_T4_T5_mT6_P12ihipStream_tbENKUlT_T0_E_clISt17integral_constantIbLb1EESP_IbLb0EEEEDaSL_SM_EUlSL_E0_NS1_11comp_targetILNS1_3genE3ELNS1_11target_archE908ELNS1_3gpuE7ELNS1_3repE0EEENS1_30default_config_static_selectorELNS0_4arch9wavefront6targetE0EEEvT1_,"axG",@progbits,_ZN7rocprim17ROCPRIM_400000_NS6detail17trampoline_kernelINS0_14default_configENS1_20scan_config_selectorIlEEZZNS1_9scan_implILNS1_25lookback_scan_determinismE0ELb0ELb0ES3_PlS8_lN6thrust23THRUST_200600_302600_NS4plusIvEElEEDaPvRmT3_T4_T5_mT6_P12ihipStream_tbENKUlT_T0_E_clISt17integral_constantIbLb1EESP_IbLb0EEEEDaSL_SM_EUlSL_E0_NS1_11comp_targetILNS1_3genE3ELNS1_11target_archE908ELNS1_3gpuE7ELNS1_3repE0EEENS1_30default_config_static_selectorELNS0_4arch9wavefront6targetE0EEEvT1_,comdat
.Lfunc_end134:
	.size	_ZN7rocprim17ROCPRIM_400000_NS6detail17trampoline_kernelINS0_14default_configENS1_20scan_config_selectorIlEEZZNS1_9scan_implILNS1_25lookback_scan_determinismE0ELb0ELb0ES3_PlS8_lN6thrust23THRUST_200600_302600_NS4plusIvEElEEDaPvRmT3_T4_T5_mT6_P12ihipStream_tbENKUlT_T0_E_clISt17integral_constantIbLb1EESP_IbLb0EEEEDaSL_SM_EUlSL_E0_NS1_11comp_targetILNS1_3genE3ELNS1_11target_archE908ELNS1_3gpuE7ELNS1_3repE0EEENS1_30default_config_static_selectorELNS0_4arch9wavefront6targetE0EEEvT1_, .Lfunc_end134-_ZN7rocprim17ROCPRIM_400000_NS6detail17trampoline_kernelINS0_14default_configENS1_20scan_config_selectorIlEEZZNS1_9scan_implILNS1_25lookback_scan_determinismE0ELb0ELb0ES3_PlS8_lN6thrust23THRUST_200600_302600_NS4plusIvEElEEDaPvRmT3_T4_T5_mT6_P12ihipStream_tbENKUlT_T0_E_clISt17integral_constantIbLb1EESP_IbLb0EEEEDaSL_SM_EUlSL_E0_NS1_11comp_targetILNS1_3genE3ELNS1_11target_archE908ELNS1_3gpuE7ELNS1_3repE0EEENS1_30default_config_static_selectorELNS0_4arch9wavefront6targetE0EEEvT1_
                                        ; -- End function
	.set _ZN7rocprim17ROCPRIM_400000_NS6detail17trampoline_kernelINS0_14default_configENS1_20scan_config_selectorIlEEZZNS1_9scan_implILNS1_25lookback_scan_determinismE0ELb0ELb0ES3_PlS8_lN6thrust23THRUST_200600_302600_NS4plusIvEElEEDaPvRmT3_T4_T5_mT6_P12ihipStream_tbENKUlT_T0_E_clISt17integral_constantIbLb1EESP_IbLb0EEEEDaSL_SM_EUlSL_E0_NS1_11comp_targetILNS1_3genE3ELNS1_11target_archE908ELNS1_3gpuE7ELNS1_3repE0EEENS1_30default_config_static_selectorELNS0_4arch9wavefront6targetE0EEEvT1_.num_vgpr, 0
	.set _ZN7rocprim17ROCPRIM_400000_NS6detail17trampoline_kernelINS0_14default_configENS1_20scan_config_selectorIlEEZZNS1_9scan_implILNS1_25lookback_scan_determinismE0ELb0ELb0ES3_PlS8_lN6thrust23THRUST_200600_302600_NS4plusIvEElEEDaPvRmT3_T4_T5_mT6_P12ihipStream_tbENKUlT_T0_E_clISt17integral_constantIbLb1EESP_IbLb0EEEEDaSL_SM_EUlSL_E0_NS1_11comp_targetILNS1_3genE3ELNS1_11target_archE908ELNS1_3gpuE7ELNS1_3repE0EEENS1_30default_config_static_selectorELNS0_4arch9wavefront6targetE0EEEvT1_.num_agpr, 0
	.set _ZN7rocprim17ROCPRIM_400000_NS6detail17trampoline_kernelINS0_14default_configENS1_20scan_config_selectorIlEEZZNS1_9scan_implILNS1_25lookback_scan_determinismE0ELb0ELb0ES3_PlS8_lN6thrust23THRUST_200600_302600_NS4plusIvEElEEDaPvRmT3_T4_T5_mT6_P12ihipStream_tbENKUlT_T0_E_clISt17integral_constantIbLb1EESP_IbLb0EEEEDaSL_SM_EUlSL_E0_NS1_11comp_targetILNS1_3genE3ELNS1_11target_archE908ELNS1_3gpuE7ELNS1_3repE0EEENS1_30default_config_static_selectorELNS0_4arch9wavefront6targetE0EEEvT1_.numbered_sgpr, 0
	.set _ZN7rocprim17ROCPRIM_400000_NS6detail17trampoline_kernelINS0_14default_configENS1_20scan_config_selectorIlEEZZNS1_9scan_implILNS1_25lookback_scan_determinismE0ELb0ELb0ES3_PlS8_lN6thrust23THRUST_200600_302600_NS4plusIvEElEEDaPvRmT3_T4_T5_mT6_P12ihipStream_tbENKUlT_T0_E_clISt17integral_constantIbLb1EESP_IbLb0EEEEDaSL_SM_EUlSL_E0_NS1_11comp_targetILNS1_3genE3ELNS1_11target_archE908ELNS1_3gpuE7ELNS1_3repE0EEENS1_30default_config_static_selectorELNS0_4arch9wavefront6targetE0EEEvT1_.num_named_barrier, 0
	.set _ZN7rocprim17ROCPRIM_400000_NS6detail17trampoline_kernelINS0_14default_configENS1_20scan_config_selectorIlEEZZNS1_9scan_implILNS1_25lookback_scan_determinismE0ELb0ELb0ES3_PlS8_lN6thrust23THRUST_200600_302600_NS4plusIvEElEEDaPvRmT3_T4_T5_mT6_P12ihipStream_tbENKUlT_T0_E_clISt17integral_constantIbLb1EESP_IbLb0EEEEDaSL_SM_EUlSL_E0_NS1_11comp_targetILNS1_3genE3ELNS1_11target_archE908ELNS1_3gpuE7ELNS1_3repE0EEENS1_30default_config_static_selectorELNS0_4arch9wavefront6targetE0EEEvT1_.private_seg_size, 0
	.set _ZN7rocprim17ROCPRIM_400000_NS6detail17trampoline_kernelINS0_14default_configENS1_20scan_config_selectorIlEEZZNS1_9scan_implILNS1_25lookback_scan_determinismE0ELb0ELb0ES3_PlS8_lN6thrust23THRUST_200600_302600_NS4plusIvEElEEDaPvRmT3_T4_T5_mT6_P12ihipStream_tbENKUlT_T0_E_clISt17integral_constantIbLb1EESP_IbLb0EEEEDaSL_SM_EUlSL_E0_NS1_11comp_targetILNS1_3genE3ELNS1_11target_archE908ELNS1_3gpuE7ELNS1_3repE0EEENS1_30default_config_static_selectorELNS0_4arch9wavefront6targetE0EEEvT1_.uses_vcc, 0
	.set _ZN7rocprim17ROCPRIM_400000_NS6detail17trampoline_kernelINS0_14default_configENS1_20scan_config_selectorIlEEZZNS1_9scan_implILNS1_25lookback_scan_determinismE0ELb0ELb0ES3_PlS8_lN6thrust23THRUST_200600_302600_NS4plusIvEElEEDaPvRmT3_T4_T5_mT6_P12ihipStream_tbENKUlT_T0_E_clISt17integral_constantIbLb1EESP_IbLb0EEEEDaSL_SM_EUlSL_E0_NS1_11comp_targetILNS1_3genE3ELNS1_11target_archE908ELNS1_3gpuE7ELNS1_3repE0EEENS1_30default_config_static_selectorELNS0_4arch9wavefront6targetE0EEEvT1_.uses_flat_scratch, 0
	.set _ZN7rocprim17ROCPRIM_400000_NS6detail17trampoline_kernelINS0_14default_configENS1_20scan_config_selectorIlEEZZNS1_9scan_implILNS1_25lookback_scan_determinismE0ELb0ELb0ES3_PlS8_lN6thrust23THRUST_200600_302600_NS4plusIvEElEEDaPvRmT3_T4_T5_mT6_P12ihipStream_tbENKUlT_T0_E_clISt17integral_constantIbLb1EESP_IbLb0EEEEDaSL_SM_EUlSL_E0_NS1_11comp_targetILNS1_3genE3ELNS1_11target_archE908ELNS1_3gpuE7ELNS1_3repE0EEENS1_30default_config_static_selectorELNS0_4arch9wavefront6targetE0EEEvT1_.has_dyn_sized_stack, 0
	.set _ZN7rocprim17ROCPRIM_400000_NS6detail17trampoline_kernelINS0_14default_configENS1_20scan_config_selectorIlEEZZNS1_9scan_implILNS1_25lookback_scan_determinismE0ELb0ELb0ES3_PlS8_lN6thrust23THRUST_200600_302600_NS4plusIvEElEEDaPvRmT3_T4_T5_mT6_P12ihipStream_tbENKUlT_T0_E_clISt17integral_constantIbLb1EESP_IbLb0EEEEDaSL_SM_EUlSL_E0_NS1_11comp_targetILNS1_3genE3ELNS1_11target_archE908ELNS1_3gpuE7ELNS1_3repE0EEENS1_30default_config_static_selectorELNS0_4arch9wavefront6targetE0EEEvT1_.has_recursion, 0
	.set _ZN7rocprim17ROCPRIM_400000_NS6detail17trampoline_kernelINS0_14default_configENS1_20scan_config_selectorIlEEZZNS1_9scan_implILNS1_25lookback_scan_determinismE0ELb0ELb0ES3_PlS8_lN6thrust23THRUST_200600_302600_NS4plusIvEElEEDaPvRmT3_T4_T5_mT6_P12ihipStream_tbENKUlT_T0_E_clISt17integral_constantIbLb1EESP_IbLb0EEEEDaSL_SM_EUlSL_E0_NS1_11comp_targetILNS1_3genE3ELNS1_11target_archE908ELNS1_3gpuE7ELNS1_3repE0EEENS1_30default_config_static_selectorELNS0_4arch9wavefront6targetE0EEEvT1_.has_indirect_call, 0
	.section	.AMDGPU.csdata,"",@progbits
; Kernel info:
; codeLenInByte = 0
; TotalNumSgprs: 0
; NumVgprs: 0
; ScratchSize: 0
; MemoryBound: 0
; FloatMode: 240
; IeeeMode: 1
; LDSByteSize: 0 bytes/workgroup (compile time only)
; SGPRBlocks: 0
; VGPRBlocks: 0
; NumSGPRsForWavesPerEU: 1
; NumVGPRsForWavesPerEU: 1
; NamedBarCnt: 0
; Occupancy: 16
; WaveLimiterHint : 0
; COMPUTE_PGM_RSRC2:SCRATCH_EN: 0
; COMPUTE_PGM_RSRC2:USER_SGPR: 2
; COMPUTE_PGM_RSRC2:TRAP_HANDLER: 0
; COMPUTE_PGM_RSRC2:TGID_X_EN: 1
; COMPUTE_PGM_RSRC2:TGID_Y_EN: 0
; COMPUTE_PGM_RSRC2:TGID_Z_EN: 0
; COMPUTE_PGM_RSRC2:TIDIG_COMP_CNT: 0
	.section	.text._ZN7rocprim17ROCPRIM_400000_NS6detail17trampoline_kernelINS0_14default_configENS1_20scan_config_selectorIlEEZZNS1_9scan_implILNS1_25lookback_scan_determinismE0ELb0ELb0ES3_PlS8_lN6thrust23THRUST_200600_302600_NS4plusIvEElEEDaPvRmT3_T4_T5_mT6_P12ihipStream_tbENKUlT_T0_E_clISt17integral_constantIbLb1EESP_IbLb0EEEEDaSL_SM_EUlSL_E0_NS1_11comp_targetILNS1_3genE2ELNS1_11target_archE906ELNS1_3gpuE6ELNS1_3repE0EEENS1_30default_config_static_selectorELNS0_4arch9wavefront6targetE0EEEvT1_,"axG",@progbits,_ZN7rocprim17ROCPRIM_400000_NS6detail17trampoline_kernelINS0_14default_configENS1_20scan_config_selectorIlEEZZNS1_9scan_implILNS1_25lookback_scan_determinismE0ELb0ELb0ES3_PlS8_lN6thrust23THRUST_200600_302600_NS4plusIvEElEEDaPvRmT3_T4_T5_mT6_P12ihipStream_tbENKUlT_T0_E_clISt17integral_constantIbLb1EESP_IbLb0EEEEDaSL_SM_EUlSL_E0_NS1_11comp_targetILNS1_3genE2ELNS1_11target_archE906ELNS1_3gpuE6ELNS1_3repE0EEENS1_30default_config_static_selectorELNS0_4arch9wavefront6targetE0EEEvT1_,comdat
	.protected	_ZN7rocprim17ROCPRIM_400000_NS6detail17trampoline_kernelINS0_14default_configENS1_20scan_config_selectorIlEEZZNS1_9scan_implILNS1_25lookback_scan_determinismE0ELb0ELb0ES3_PlS8_lN6thrust23THRUST_200600_302600_NS4plusIvEElEEDaPvRmT3_T4_T5_mT6_P12ihipStream_tbENKUlT_T0_E_clISt17integral_constantIbLb1EESP_IbLb0EEEEDaSL_SM_EUlSL_E0_NS1_11comp_targetILNS1_3genE2ELNS1_11target_archE906ELNS1_3gpuE6ELNS1_3repE0EEENS1_30default_config_static_selectorELNS0_4arch9wavefront6targetE0EEEvT1_ ; -- Begin function _ZN7rocprim17ROCPRIM_400000_NS6detail17trampoline_kernelINS0_14default_configENS1_20scan_config_selectorIlEEZZNS1_9scan_implILNS1_25lookback_scan_determinismE0ELb0ELb0ES3_PlS8_lN6thrust23THRUST_200600_302600_NS4plusIvEElEEDaPvRmT3_T4_T5_mT6_P12ihipStream_tbENKUlT_T0_E_clISt17integral_constantIbLb1EESP_IbLb0EEEEDaSL_SM_EUlSL_E0_NS1_11comp_targetILNS1_3genE2ELNS1_11target_archE906ELNS1_3gpuE6ELNS1_3repE0EEENS1_30default_config_static_selectorELNS0_4arch9wavefront6targetE0EEEvT1_
	.globl	_ZN7rocprim17ROCPRIM_400000_NS6detail17trampoline_kernelINS0_14default_configENS1_20scan_config_selectorIlEEZZNS1_9scan_implILNS1_25lookback_scan_determinismE0ELb0ELb0ES3_PlS8_lN6thrust23THRUST_200600_302600_NS4plusIvEElEEDaPvRmT3_T4_T5_mT6_P12ihipStream_tbENKUlT_T0_E_clISt17integral_constantIbLb1EESP_IbLb0EEEEDaSL_SM_EUlSL_E0_NS1_11comp_targetILNS1_3genE2ELNS1_11target_archE906ELNS1_3gpuE6ELNS1_3repE0EEENS1_30default_config_static_selectorELNS0_4arch9wavefront6targetE0EEEvT1_
	.p2align	8
	.type	_ZN7rocprim17ROCPRIM_400000_NS6detail17trampoline_kernelINS0_14default_configENS1_20scan_config_selectorIlEEZZNS1_9scan_implILNS1_25lookback_scan_determinismE0ELb0ELb0ES3_PlS8_lN6thrust23THRUST_200600_302600_NS4plusIvEElEEDaPvRmT3_T4_T5_mT6_P12ihipStream_tbENKUlT_T0_E_clISt17integral_constantIbLb1EESP_IbLb0EEEEDaSL_SM_EUlSL_E0_NS1_11comp_targetILNS1_3genE2ELNS1_11target_archE906ELNS1_3gpuE6ELNS1_3repE0EEENS1_30default_config_static_selectorELNS0_4arch9wavefront6targetE0EEEvT1_,@function
_ZN7rocprim17ROCPRIM_400000_NS6detail17trampoline_kernelINS0_14default_configENS1_20scan_config_selectorIlEEZZNS1_9scan_implILNS1_25lookback_scan_determinismE0ELb0ELb0ES3_PlS8_lN6thrust23THRUST_200600_302600_NS4plusIvEElEEDaPvRmT3_T4_T5_mT6_P12ihipStream_tbENKUlT_T0_E_clISt17integral_constantIbLb1EESP_IbLb0EEEEDaSL_SM_EUlSL_E0_NS1_11comp_targetILNS1_3genE2ELNS1_11target_archE906ELNS1_3gpuE6ELNS1_3repE0EEENS1_30default_config_static_selectorELNS0_4arch9wavefront6targetE0EEEvT1_: ; @_ZN7rocprim17ROCPRIM_400000_NS6detail17trampoline_kernelINS0_14default_configENS1_20scan_config_selectorIlEEZZNS1_9scan_implILNS1_25lookback_scan_determinismE0ELb0ELb0ES3_PlS8_lN6thrust23THRUST_200600_302600_NS4plusIvEElEEDaPvRmT3_T4_T5_mT6_P12ihipStream_tbENKUlT_T0_E_clISt17integral_constantIbLb1EESP_IbLb0EEEEDaSL_SM_EUlSL_E0_NS1_11comp_targetILNS1_3genE2ELNS1_11target_archE906ELNS1_3gpuE6ELNS1_3repE0EEENS1_30default_config_static_selectorELNS0_4arch9wavefront6targetE0EEEvT1_
; %bb.0:
	.section	.rodata,"a",@progbits
	.p2align	6, 0x0
	.amdhsa_kernel _ZN7rocprim17ROCPRIM_400000_NS6detail17trampoline_kernelINS0_14default_configENS1_20scan_config_selectorIlEEZZNS1_9scan_implILNS1_25lookback_scan_determinismE0ELb0ELb0ES3_PlS8_lN6thrust23THRUST_200600_302600_NS4plusIvEElEEDaPvRmT3_T4_T5_mT6_P12ihipStream_tbENKUlT_T0_E_clISt17integral_constantIbLb1EESP_IbLb0EEEEDaSL_SM_EUlSL_E0_NS1_11comp_targetILNS1_3genE2ELNS1_11target_archE906ELNS1_3gpuE6ELNS1_3repE0EEENS1_30default_config_static_selectorELNS0_4arch9wavefront6targetE0EEEvT1_
		.amdhsa_group_segment_fixed_size 0
		.amdhsa_private_segment_fixed_size 0
		.amdhsa_kernarg_size 40
		.amdhsa_user_sgpr_count 2
		.amdhsa_user_sgpr_dispatch_ptr 0
		.amdhsa_user_sgpr_queue_ptr 0
		.amdhsa_user_sgpr_kernarg_segment_ptr 1
		.amdhsa_user_sgpr_dispatch_id 0
		.amdhsa_user_sgpr_kernarg_preload_length 0
		.amdhsa_user_sgpr_kernarg_preload_offset 0
		.amdhsa_user_sgpr_private_segment_size 0
		.amdhsa_wavefront_size32 1
		.amdhsa_uses_dynamic_stack 0
		.amdhsa_enable_private_segment 0
		.amdhsa_system_sgpr_workgroup_id_x 1
		.amdhsa_system_sgpr_workgroup_id_y 0
		.amdhsa_system_sgpr_workgroup_id_z 0
		.amdhsa_system_sgpr_workgroup_info 0
		.amdhsa_system_vgpr_workitem_id 0
		.amdhsa_next_free_vgpr 1
		.amdhsa_next_free_sgpr 1
		.amdhsa_named_barrier_count 0
		.amdhsa_reserve_vcc 0
		.amdhsa_float_round_mode_32 0
		.amdhsa_float_round_mode_16_64 0
		.amdhsa_float_denorm_mode_32 3
		.amdhsa_float_denorm_mode_16_64 3
		.amdhsa_fp16_overflow 0
		.amdhsa_memory_ordered 1
		.amdhsa_forward_progress 1
		.amdhsa_inst_pref_size 0
		.amdhsa_round_robin_scheduling 0
		.amdhsa_exception_fp_ieee_invalid_op 0
		.amdhsa_exception_fp_denorm_src 0
		.amdhsa_exception_fp_ieee_div_zero 0
		.amdhsa_exception_fp_ieee_overflow 0
		.amdhsa_exception_fp_ieee_underflow 0
		.amdhsa_exception_fp_ieee_inexact 0
		.amdhsa_exception_int_div_zero 0
	.end_amdhsa_kernel
	.section	.text._ZN7rocprim17ROCPRIM_400000_NS6detail17trampoline_kernelINS0_14default_configENS1_20scan_config_selectorIlEEZZNS1_9scan_implILNS1_25lookback_scan_determinismE0ELb0ELb0ES3_PlS8_lN6thrust23THRUST_200600_302600_NS4plusIvEElEEDaPvRmT3_T4_T5_mT6_P12ihipStream_tbENKUlT_T0_E_clISt17integral_constantIbLb1EESP_IbLb0EEEEDaSL_SM_EUlSL_E0_NS1_11comp_targetILNS1_3genE2ELNS1_11target_archE906ELNS1_3gpuE6ELNS1_3repE0EEENS1_30default_config_static_selectorELNS0_4arch9wavefront6targetE0EEEvT1_,"axG",@progbits,_ZN7rocprim17ROCPRIM_400000_NS6detail17trampoline_kernelINS0_14default_configENS1_20scan_config_selectorIlEEZZNS1_9scan_implILNS1_25lookback_scan_determinismE0ELb0ELb0ES3_PlS8_lN6thrust23THRUST_200600_302600_NS4plusIvEElEEDaPvRmT3_T4_T5_mT6_P12ihipStream_tbENKUlT_T0_E_clISt17integral_constantIbLb1EESP_IbLb0EEEEDaSL_SM_EUlSL_E0_NS1_11comp_targetILNS1_3genE2ELNS1_11target_archE906ELNS1_3gpuE6ELNS1_3repE0EEENS1_30default_config_static_selectorELNS0_4arch9wavefront6targetE0EEEvT1_,comdat
.Lfunc_end135:
	.size	_ZN7rocprim17ROCPRIM_400000_NS6detail17trampoline_kernelINS0_14default_configENS1_20scan_config_selectorIlEEZZNS1_9scan_implILNS1_25lookback_scan_determinismE0ELb0ELb0ES3_PlS8_lN6thrust23THRUST_200600_302600_NS4plusIvEElEEDaPvRmT3_T4_T5_mT6_P12ihipStream_tbENKUlT_T0_E_clISt17integral_constantIbLb1EESP_IbLb0EEEEDaSL_SM_EUlSL_E0_NS1_11comp_targetILNS1_3genE2ELNS1_11target_archE906ELNS1_3gpuE6ELNS1_3repE0EEENS1_30default_config_static_selectorELNS0_4arch9wavefront6targetE0EEEvT1_, .Lfunc_end135-_ZN7rocprim17ROCPRIM_400000_NS6detail17trampoline_kernelINS0_14default_configENS1_20scan_config_selectorIlEEZZNS1_9scan_implILNS1_25lookback_scan_determinismE0ELb0ELb0ES3_PlS8_lN6thrust23THRUST_200600_302600_NS4plusIvEElEEDaPvRmT3_T4_T5_mT6_P12ihipStream_tbENKUlT_T0_E_clISt17integral_constantIbLb1EESP_IbLb0EEEEDaSL_SM_EUlSL_E0_NS1_11comp_targetILNS1_3genE2ELNS1_11target_archE906ELNS1_3gpuE6ELNS1_3repE0EEENS1_30default_config_static_selectorELNS0_4arch9wavefront6targetE0EEEvT1_
                                        ; -- End function
	.set _ZN7rocprim17ROCPRIM_400000_NS6detail17trampoline_kernelINS0_14default_configENS1_20scan_config_selectorIlEEZZNS1_9scan_implILNS1_25lookback_scan_determinismE0ELb0ELb0ES3_PlS8_lN6thrust23THRUST_200600_302600_NS4plusIvEElEEDaPvRmT3_T4_T5_mT6_P12ihipStream_tbENKUlT_T0_E_clISt17integral_constantIbLb1EESP_IbLb0EEEEDaSL_SM_EUlSL_E0_NS1_11comp_targetILNS1_3genE2ELNS1_11target_archE906ELNS1_3gpuE6ELNS1_3repE0EEENS1_30default_config_static_selectorELNS0_4arch9wavefront6targetE0EEEvT1_.num_vgpr, 0
	.set _ZN7rocprim17ROCPRIM_400000_NS6detail17trampoline_kernelINS0_14default_configENS1_20scan_config_selectorIlEEZZNS1_9scan_implILNS1_25lookback_scan_determinismE0ELb0ELb0ES3_PlS8_lN6thrust23THRUST_200600_302600_NS4plusIvEElEEDaPvRmT3_T4_T5_mT6_P12ihipStream_tbENKUlT_T0_E_clISt17integral_constantIbLb1EESP_IbLb0EEEEDaSL_SM_EUlSL_E0_NS1_11comp_targetILNS1_3genE2ELNS1_11target_archE906ELNS1_3gpuE6ELNS1_3repE0EEENS1_30default_config_static_selectorELNS0_4arch9wavefront6targetE0EEEvT1_.num_agpr, 0
	.set _ZN7rocprim17ROCPRIM_400000_NS6detail17trampoline_kernelINS0_14default_configENS1_20scan_config_selectorIlEEZZNS1_9scan_implILNS1_25lookback_scan_determinismE0ELb0ELb0ES3_PlS8_lN6thrust23THRUST_200600_302600_NS4plusIvEElEEDaPvRmT3_T4_T5_mT6_P12ihipStream_tbENKUlT_T0_E_clISt17integral_constantIbLb1EESP_IbLb0EEEEDaSL_SM_EUlSL_E0_NS1_11comp_targetILNS1_3genE2ELNS1_11target_archE906ELNS1_3gpuE6ELNS1_3repE0EEENS1_30default_config_static_selectorELNS0_4arch9wavefront6targetE0EEEvT1_.numbered_sgpr, 0
	.set _ZN7rocprim17ROCPRIM_400000_NS6detail17trampoline_kernelINS0_14default_configENS1_20scan_config_selectorIlEEZZNS1_9scan_implILNS1_25lookback_scan_determinismE0ELb0ELb0ES3_PlS8_lN6thrust23THRUST_200600_302600_NS4plusIvEElEEDaPvRmT3_T4_T5_mT6_P12ihipStream_tbENKUlT_T0_E_clISt17integral_constantIbLb1EESP_IbLb0EEEEDaSL_SM_EUlSL_E0_NS1_11comp_targetILNS1_3genE2ELNS1_11target_archE906ELNS1_3gpuE6ELNS1_3repE0EEENS1_30default_config_static_selectorELNS0_4arch9wavefront6targetE0EEEvT1_.num_named_barrier, 0
	.set _ZN7rocprim17ROCPRIM_400000_NS6detail17trampoline_kernelINS0_14default_configENS1_20scan_config_selectorIlEEZZNS1_9scan_implILNS1_25lookback_scan_determinismE0ELb0ELb0ES3_PlS8_lN6thrust23THRUST_200600_302600_NS4plusIvEElEEDaPvRmT3_T4_T5_mT6_P12ihipStream_tbENKUlT_T0_E_clISt17integral_constantIbLb1EESP_IbLb0EEEEDaSL_SM_EUlSL_E0_NS1_11comp_targetILNS1_3genE2ELNS1_11target_archE906ELNS1_3gpuE6ELNS1_3repE0EEENS1_30default_config_static_selectorELNS0_4arch9wavefront6targetE0EEEvT1_.private_seg_size, 0
	.set _ZN7rocprim17ROCPRIM_400000_NS6detail17trampoline_kernelINS0_14default_configENS1_20scan_config_selectorIlEEZZNS1_9scan_implILNS1_25lookback_scan_determinismE0ELb0ELb0ES3_PlS8_lN6thrust23THRUST_200600_302600_NS4plusIvEElEEDaPvRmT3_T4_T5_mT6_P12ihipStream_tbENKUlT_T0_E_clISt17integral_constantIbLb1EESP_IbLb0EEEEDaSL_SM_EUlSL_E0_NS1_11comp_targetILNS1_3genE2ELNS1_11target_archE906ELNS1_3gpuE6ELNS1_3repE0EEENS1_30default_config_static_selectorELNS0_4arch9wavefront6targetE0EEEvT1_.uses_vcc, 0
	.set _ZN7rocprim17ROCPRIM_400000_NS6detail17trampoline_kernelINS0_14default_configENS1_20scan_config_selectorIlEEZZNS1_9scan_implILNS1_25lookback_scan_determinismE0ELb0ELb0ES3_PlS8_lN6thrust23THRUST_200600_302600_NS4plusIvEElEEDaPvRmT3_T4_T5_mT6_P12ihipStream_tbENKUlT_T0_E_clISt17integral_constantIbLb1EESP_IbLb0EEEEDaSL_SM_EUlSL_E0_NS1_11comp_targetILNS1_3genE2ELNS1_11target_archE906ELNS1_3gpuE6ELNS1_3repE0EEENS1_30default_config_static_selectorELNS0_4arch9wavefront6targetE0EEEvT1_.uses_flat_scratch, 0
	.set _ZN7rocprim17ROCPRIM_400000_NS6detail17trampoline_kernelINS0_14default_configENS1_20scan_config_selectorIlEEZZNS1_9scan_implILNS1_25lookback_scan_determinismE0ELb0ELb0ES3_PlS8_lN6thrust23THRUST_200600_302600_NS4plusIvEElEEDaPvRmT3_T4_T5_mT6_P12ihipStream_tbENKUlT_T0_E_clISt17integral_constantIbLb1EESP_IbLb0EEEEDaSL_SM_EUlSL_E0_NS1_11comp_targetILNS1_3genE2ELNS1_11target_archE906ELNS1_3gpuE6ELNS1_3repE0EEENS1_30default_config_static_selectorELNS0_4arch9wavefront6targetE0EEEvT1_.has_dyn_sized_stack, 0
	.set _ZN7rocprim17ROCPRIM_400000_NS6detail17trampoline_kernelINS0_14default_configENS1_20scan_config_selectorIlEEZZNS1_9scan_implILNS1_25lookback_scan_determinismE0ELb0ELb0ES3_PlS8_lN6thrust23THRUST_200600_302600_NS4plusIvEElEEDaPvRmT3_T4_T5_mT6_P12ihipStream_tbENKUlT_T0_E_clISt17integral_constantIbLb1EESP_IbLb0EEEEDaSL_SM_EUlSL_E0_NS1_11comp_targetILNS1_3genE2ELNS1_11target_archE906ELNS1_3gpuE6ELNS1_3repE0EEENS1_30default_config_static_selectorELNS0_4arch9wavefront6targetE0EEEvT1_.has_recursion, 0
	.set _ZN7rocprim17ROCPRIM_400000_NS6detail17trampoline_kernelINS0_14default_configENS1_20scan_config_selectorIlEEZZNS1_9scan_implILNS1_25lookback_scan_determinismE0ELb0ELb0ES3_PlS8_lN6thrust23THRUST_200600_302600_NS4plusIvEElEEDaPvRmT3_T4_T5_mT6_P12ihipStream_tbENKUlT_T0_E_clISt17integral_constantIbLb1EESP_IbLb0EEEEDaSL_SM_EUlSL_E0_NS1_11comp_targetILNS1_3genE2ELNS1_11target_archE906ELNS1_3gpuE6ELNS1_3repE0EEENS1_30default_config_static_selectorELNS0_4arch9wavefront6targetE0EEEvT1_.has_indirect_call, 0
	.section	.AMDGPU.csdata,"",@progbits
; Kernel info:
; codeLenInByte = 0
; TotalNumSgprs: 0
; NumVgprs: 0
; ScratchSize: 0
; MemoryBound: 0
; FloatMode: 240
; IeeeMode: 1
; LDSByteSize: 0 bytes/workgroup (compile time only)
; SGPRBlocks: 0
; VGPRBlocks: 0
; NumSGPRsForWavesPerEU: 1
; NumVGPRsForWavesPerEU: 1
; NamedBarCnt: 0
; Occupancy: 16
; WaveLimiterHint : 0
; COMPUTE_PGM_RSRC2:SCRATCH_EN: 0
; COMPUTE_PGM_RSRC2:USER_SGPR: 2
; COMPUTE_PGM_RSRC2:TRAP_HANDLER: 0
; COMPUTE_PGM_RSRC2:TGID_X_EN: 1
; COMPUTE_PGM_RSRC2:TGID_Y_EN: 0
; COMPUTE_PGM_RSRC2:TGID_Z_EN: 0
; COMPUTE_PGM_RSRC2:TIDIG_COMP_CNT: 0
	.section	.text._ZN7rocprim17ROCPRIM_400000_NS6detail17trampoline_kernelINS0_14default_configENS1_20scan_config_selectorIlEEZZNS1_9scan_implILNS1_25lookback_scan_determinismE0ELb0ELb0ES3_PlS8_lN6thrust23THRUST_200600_302600_NS4plusIvEElEEDaPvRmT3_T4_T5_mT6_P12ihipStream_tbENKUlT_T0_E_clISt17integral_constantIbLb1EESP_IbLb0EEEEDaSL_SM_EUlSL_E0_NS1_11comp_targetILNS1_3genE10ELNS1_11target_archE1201ELNS1_3gpuE5ELNS1_3repE0EEENS1_30default_config_static_selectorELNS0_4arch9wavefront6targetE0EEEvT1_,"axG",@progbits,_ZN7rocprim17ROCPRIM_400000_NS6detail17trampoline_kernelINS0_14default_configENS1_20scan_config_selectorIlEEZZNS1_9scan_implILNS1_25lookback_scan_determinismE0ELb0ELb0ES3_PlS8_lN6thrust23THRUST_200600_302600_NS4plusIvEElEEDaPvRmT3_T4_T5_mT6_P12ihipStream_tbENKUlT_T0_E_clISt17integral_constantIbLb1EESP_IbLb0EEEEDaSL_SM_EUlSL_E0_NS1_11comp_targetILNS1_3genE10ELNS1_11target_archE1201ELNS1_3gpuE5ELNS1_3repE0EEENS1_30default_config_static_selectorELNS0_4arch9wavefront6targetE0EEEvT1_,comdat
	.protected	_ZN7rocprim17ROCPRIM_400000_NS6detail17trampoline_kernelINS0_14default_configENS1_20scan_config_selectorIlEEZZNS1_9scan_implILNS1_25lookback_scan_determinismE0ELb0ELb0ES3_PlS8_lN6thrust23THRUST_200600_302600_NS4plusIvEElEEDaPvRmT3_T4_T5_mT6_P12ihipStream_tbENKUlT_T0_E_clISt17integral_constantIbLb1EESP_IbLb0EEEEDaSL_SM_EUlSL_E0_NS1_11comp_targetILNS1_3genE10ELNS1_11target_archE1201ELNS1_3gpuE5ELNS1_3repE0EEENS1_30default_config_static_selectorELNS0_4arch9wavefront6targetE0EEEvT1_ ; -- Begin function _ZN7rocprim17ROCPRIM_400000_NS6detail17trampoline_kernelINS0_14default_configENS1_20scan_config_selectorIlEEZZNS1_9scan_implILNS1_25lookback_scan_determinismE0ELb0ELb0ES3_PlS8_lN6thrust23THRUST_200600_302600_NS4plusIvEElEEDaPvRmT3_T4_T5_mT6_P12ihipStream_tbENKUlT_T0_E_clISt17integral_constantIbLb1EESP_IbLb0EEEEDaSL_SM_EUlSL_E0_NS1_11comp_targetILNS1_3genE10ELNS1_11target_archE1201ELNS1_3gpuE5ELNS1_3repE0EEENS1_30default_config_static_selectorELNS0_4arch9wavefront6targetE0EEEvT1_
	.globl	_ZN7rocprim17ROCPRIM_400000_NS6detail17trampoline_kernelINS0_14default_configENS1_20scan_config_selectorIlEEZZNS1_9scan_implILNS1_25lookback_scan_determinismE0ELb0ELb0ES3_PlS8_lN6thrust23THRUST_200600_302600_NS4plusIvEElEEDaPvRmT3_T4_T5_mT6_P12ihipStream_tbENKUlT_T0_E_clISt17integral_constantIbLb1EESP_IbLb0EEEEDaSL_SM_EUlSL_E0_NS1_11comp_targetILNS1_3genE10ELNS1_11target_archE1201ELNS1_3gpuE5ELNS1_3repE0EEENS1_30default_config_static_selectorELNS0_4arch9wavefront6targetE0EEEvT1_
	.p2align	8
	.type	_ZN7rocprim17ROCPRIM_400000_NS6detail17trampoline_kernelINS0_14default_configENS1_20scan_config_selectorIlEEZZNS1_9scan_implILNS1_25lookback_scan_determinismE0ELb0ELb0ES3_PlS8_lN6thrust23THRUST_200600_302600_NS4plusIvEElEEDaPvRmT3_T4_T5_mT6_P12ihipStream_tbENKUlT_T0_E_clISt17integral_constantIbLb1EESP_IbLb0EEEEDaSL_SM_EUlSL_E0_NS1_11comp_targetILNS1_3genE10ELNS1_11target_archE1201ELNS1_3gpuE5ELNS1_3repE0EEENS1_30default_config_static_selectorELNS0_4arch9wavefront6targetE0EEEvT1_,@function
_ZN7rocprim17ROCPRIM_400000_NS6detail17trampoline_kernelINS0_14default_configENS1_20scan_config_selectorIlEEZZNS1_9scan_implILNS1_25lookback_scan_determinismE0ELb0ELb0ES3_PlS8_lN6thrust23THRUST_200600_302600_NS4plusIvEElEEDaPvRmT3_T4_T5_mT6_P12ihipStream_tbENKUlT_T0_E_clISt17integral_constantIbLb1EESP_IbLb0EEEEDaSL_SM_EUlSL_E0_NS1_11comp_targetILNS1_3genE10ELNS1_11target_archE1201ELNS1_3gpuE5ELNS1_3repE0EEENS1_30default_config_static_selectorELNS0_4arch9wavefront6targetE0EEEvT1_: ; @_ZN7rocprim17ROCPRIM_400000_NS6detail17trampoline_kernelINS0_14default_configENS1_20scan_config_selectorIlEEZZNS1_9scan_implILNS1_25lookback_scan_determinismE0ELb0ELb0ES3_PlS8_lN6thrust23THRUST_200600_302600_NS4plusIvEElEEDaPvRmT3_T4_T5_mT6_P12ihipStream_tbENKUlT_T0_E_clISt17integral_constantIbLb1EESP_IbLb0EEEEDaSL_SM_EUlSL_E0_NS1_11comp_targetILNS1_3genE10ELNS1_11target_archE1201ELNS1_3gpuE5ELNS1_3repE0EEENS1_30default_config_static_selectorELNS0_4arch9wavefront6targetE0EEEvT1_
; %bb.0:
	.section	.rodata,"a",@progbits
	.p2align	6, 0x0
	.amdhsa_kernel _ZN7rocprim17ROCPRIM_400000_NS6detail17trampoline_kernelINS0_14default_configENS1_20scan_config_selectorIlEEZZNS1_9scan_implILNS1_25lookback_scan_determinismE0ELb0ELb0ES3_PlS8_lN6thrust23THRUST_200600_302600_NS4plusIvEElEEDaPvRmT3_T4_T5_mT6_P12ihipStream_tbENKUlT_T0_E_clISt17integral_constantIbLb1EESP_IbLb0EEEEDaSL_SM_EUlSL_E0_NS1_11comp_targetILNS1_3genE10ELNS1_11target_archE1201ELNS1_3gpuE5ELNS1_3repE0EEENS1_30default_config_static_selectorELNS0_4arch9wavefront6targetE0EEEvT1_
		.amdhsa_group_segment_fixed_size 0
		.amdhsa_private_segment_fixed_size 0
		.amdhsa_kernarg_size 40
		.amdhsa_user_sgpr_count 2
		.amdhsa_user_sgpr_dispatch_ptr 0
		.amdhsa_user_sgpr_queue_ptr 0
		.amdhsa_user_sgpr_kernarg_segment_ptr 1
		.amdhsa_user_sgpr_dispatch_id 0
		.amdhsa_user_sgpr_kernarg_preload_length 0
		.amdhsa_user_sgpr_kernarg_preload_offset 0
		.amdhsa_user_sgpr_private_segment_size 0
		.amdhsa_wavefront_size32 1
		.amdhsa_uses_dynamic_stack 0
		.amdhsa_enable_private_segment 0
		.amdhsa_system_sgpr_workgroup_id_x 1
		.amdhsa_system_sgpr_workgroup_id_y 0
		.amdhsa_system_sgpr_workgroup_id_z 0
		.amdhsa_system_sgpr_workgroup_info 0
		.amdhsa_system_vgpr_workitem_id 0
		.amdhsa_next_free_vgpr 1
		.amdhsa_next_free_sgpr 1
		.amdhsa_named_barrier_count 0
		.amdhsa_reserve_vcc 0
		.amdhsa_float_round_mode_32 0
		.amdhsa_float_round_mode_16_64 0
		.amdhsa_float_denorm_mode_32 3
		.amdhsa_float_denorm_mode_16_64 3
		.amdhsa_fp16_overflow 0
		.amdhsa_memory_ordered 1
		.amdhsa_forward_progress 1
		.amdhsa_inst_pref_size 0
		.amdhsa_round_robin_scheduling 0
		.amdhsa_exception_fp_ieee_invalid_op 0
		.amdhsa_exception_fp_denorm_src 0
		.amdhsa_exception_fp_ieee_div_zero 0
		.amdhsa_exception_fp_ieee_overflow 0
		.amdhsa_exception_fp_ieee_underflow 0
		.amdhsa_exception_fp_ieee_inexact 0
		.amdhsa_exception_int_div_zero 0
	.end_amdhsa_kernel
	.section	.text._ZN7rocprim17ROCPRIM_400000_NS6detail17trampoline_kernelINS0_14default_configENS1_20scan_config_selectorIlEEZZNS1_9scan_implILNS1_25lookback_scan_determinismE0ELb0ELb0ES3_PlS8_lN6thrust23THRUST_200600_302600_NS4plusIvEElEEDaPvRmT3_T4_T5_mT6_P12ihipStream_tbENKUlT_T0_E_clISt17integral_constantIbLb1EESP_IbLb0EEEEDaSL_SM_EUlSL_E0_NS1_11comp_targetILNS1_3genE10ELNS1_11target_archE1201ELNS1_3gpuE5ELNS1_3repE0EEENS1_30default_config_static_selectorELNS0_4arch9wavefront6targetE0EEEvT1_,"axG",@progbits,_ZN7rocprim17ROCPRIM_400000_NS6detail17trampoline_kernelINS0_14default_configENS1_20scan_config_selectorIlEEZZNS1_9scan_implILNS1_25lookback_scan_determinismE0ELb0ELb0ES3_PlS8_lN6thrust23THRUST_200600_302600_NS4plusIvEElEEDaPvRmT3_T4_T5_mT6_P12ihipStream_tbENKUlT_T0_E_clISt17integral_constantIbLb1EESP_IbLb0EEEEDaSL_SM_EUlSL_E0_NS1_11comp_targetILNS1_3genE10ELNS1_11target_archE1201ELNS1_3gpuE5ELNS1_3repE0EEENS1_30default_config_static_selectorELNS0_4arch9wavefront6targetE0EEEvT1_,comdat
.Lfunc_end136:
	.size	_ZN7rocprim17ROCPRIM_400000_NS6detail17trampoline_kernelINS0_14default_configENS1_20scan_config_selectorIlEEZZNS1_9scan_implILNS1_25lookback_scan_determinismE0ELb0ELb0ES3_PlS8_lN6thrust23THRUST_200600_302600_NS4plusIvEElEEDaPvRmT3_T4_T5_mT6_P12ihipStream_tbENKUlT_T0_E_clISt17integral_constantIbLb1EESP_IbLb0EEEEDaSL_SM_EUlSL_E0_NS1_11comp_targetILNS1_3genE10ELNS1_11target_archE1201ELNS1_3gpuE5ELNS1_3repE0EEENS1_30default_config_static_selectorELNS0_4arch9wavefront6targetE0EEEvT1_, .Lfunc_end136-_ZN7rocprim17ROCPRIM_400000_NS6detail17trampoline_kernelINS0_14default_configENS1_20scan_config_selectorIlEEZZNS1_9scan_implILNS1_25lookback_scan_determinismE0ELb0ELb0ES3_PlS8_lN6thrust23THRUST_200600_302600_NS4plusIvEElEEDaPvRmT3_T4_T5_mT6_P12ihipStream_tbENKUlT_T0_E_clISt17integral_constantIbLb1EESP_IbLb0EEEEDaSL_SM_EUlSL_E0_NS1_11comp_targetILNS1_3genE10ELNS1_11target_archE1201ELNS1_3gpuE5ELNS1_3repE0EEENS1_30default_config_static_selectorELNS0_4arch9wavefront6targetE0EEEvT1_
                                        ; -- End function
	.set _ZN7rocprim17ROCPRIM_400000_NS6detail17trampoline_kernelINS0_14default_configENS1_20scan_config_selectorIlEEZZNS1_9scan_implILNS1_25lookback_scan_determinismE0ELb0ELb0ES3_PlS8_lN6thrust23THRUST_200600_302600_NS4plusIvEElEEDaPvRmT3_T4_T5_mT6_P12ihipStream_tbENKUlT_T0_E_clISt17integral_constantIbLb1EESP_IbLb0EEEEDaSL_SM_EUlSL_E0_NS1_11comp_targetILNS1_3genE10ELNS1_11target_archE1201ELNS1_3gpuE5ELNS1_3repE0EEENS1_30default_config_static_selectorELNS0_4arch9wavefront6targetE0EEEvT1_.num_vgpr, 0
	.set _ZN7rocprim17ROCPRIM_400000_NS6detail17trampoline_kernelINS0_14default_configENS1_20scan_config_selectorIlEEZZNS1_9scan_implILNS1_25lookback_scan_determinismE0ELb0ELb0ES3_PlS8_lN6thrust23THRUST_200600_302600_NS4plusIvEElEEDaPvRmT3_T4_T5_mT6_P12ihipStream_tbENKUlT_T0_E_clISt17integral_constantIbLb1EESP_IbLb0EEEEDaSL_SM_EUlSL_E0_NS1_11comp_targetILNS1_3genE10ELNS1_11target_archE1201ELNS1_3gpuE5ELNS1_3repE0EEENS1_30default_config_static_selectorELNS0_4arch9wavefront6targetE0EEEvT1_.num_agpr, 0
	.set _ZN7rocprim17ROCPRIM_400000_NS6detail17trampoline_kernelINS0_14default_configENS1_20scan_config_selectorIlEEZZNS1_9scan_implILNS1_25lookback_scan_determinismE0ELb0ELb0ES3_PlS8_lN6thrust23THRUST_200600_302600_NS4plusIvEElEEDaPvRmT3_T4_T5_mT6_P12ihipStream_tbENKUlT_T0_E_clISt17integral_constantIbLb1EESP_IbLb0EEEEDaSL_SM_EUlSL_E0_NS1_11comp_targetILNS1_3genE10ELNS1_11target_archE1201ELNS1_3gpuE5ELNS1_3repE0EEENS1_30default_config_static_selectorELNS0_4arch9wavefront6targetE0EEEvT1_.numbered_sgpr, 0
	.set _ZN7rocprim17ROCPRIM_400000_NS6detail17trampoline_kernelINS0_14default_configENS1_20scan_config_selectorIlEEZZNS1_9scan_implILNS1_25lookback_scan_determinismE0ELb0ELb0ES3_PlS8_lN6thrust23THRUST_200600_302600_NS4plusIvEElEEDaPvRmT3_T4_T5_mT6_P12ihipStream_tbENKUlT_T0_E_clISt17integral_constantIbLb1EESP_IbLb0EEEEDaSL_SM_EUlSL_E0_NS1_11comp_targetILNS1_3genE10ELNS1_11target_archE1201ELNS1_3gpuE5ELNS1_3repE0EEENS1_30default_config_static_selectorELNS0_4arch9wavefront6targetE0EEEvT1_.num_named_barrier, 0
	.set _ZN7rocprim17ROCPRIM_400000_NS6detail17trampoline_kernelINS0_14default_configENS1_20scan_config_selectorIlEEZZNS1_9scan_implILNS1_25lookback_scan_determinismE0ELb0ELb0ES3_PlS8_lN6thrust23THRUST_200600_302600_NS4plusIvEElEEDaPvRmT3_T4_T5_mT6_P12ihipStream_tbENKUlT_T0_E_clISt17integral_constantIbLb1EESP_IbLb0EEEEDaSL_SM_EUlSL_E0_NS1_11comp_targetILNS1_3genE10ELNS1_11target_archE1201ELNS1_3gpuE5ELNS1_3repE0EEENS1_30default_config_static_selectorELNS0_4arch9wavefront6targetE0EEEvT1_.private_seg_size, 0
	.set _ZN7rocprim17ROCPRIM_400000_NS6detail17trampoline_kernelINS0_14default_configENS1_20scan_config_selectorIlEEZZNS1_9scan_implILNS1_25lookback_scan_determinismE0ELb0ELb0ES3_PlS8_lN6thrust23THRUST_200600_302600_NS4plusIvEElEEDaPvRmT3_T4_T5_mT6_P12ihipStream_tbENKUlT_T0_E_clISt17integral_constantIbLb1EESP_IbLb0EEEEDaSL_SM_EUlSL_E0_NS1_11comp_targetILNS1_3genE10ELNS1_11target_archE1201ELNS1_3gpuE5ELNS1_3repE0EEENS1_30default_config_static_selectorELNS0_4arch9wavefront6targetE0EEEvT1_.uses_vcc, 0
	.set _ZN7rocprim17ROCPRIM_400000_NS6detail17trampoline_kernelINS0_14default_configENS1_20scan_config_selectorIlEEZZNS1_9scan_implILNS1_25lookback_scan_determinismE0ELb0ELb0ES3_PlS8_lN6thrust23THRUST_200600_302600_NS4plusIvEElEEDaPvRmT3_T4_T5_mT6_P12ihipStream_tbENKUlT_T0_E_clISt17integral_constantIbLb1EESP_IbLb0EEEEDaSL_SM_EUlSL_E0_NS1_11comp_targetILNS1_3genE10ELNS1_11target_archE1201ELNS1_3gpuE5ELNS1_3repE0EEENS1_30default_config_static_selectorELNS0_4arch9wavefront6targetE0EEEvT1_.uses_flat_scratch, 0
	.set _ZN7rocprim17ROCPRIM_400000_NS6detail17trampoline_kernelINS0_14default_configENS1_20scan_config_selectorIlEEZZNS1_9scan_implILNS1_25lookback_scan_determinismE0ELb0ELb0ES3_PlS8_lN6thrust23THRUST_200600_302600_NS4plusIvEElEEDaPvRmT3_T4_T5_mT6_P12ihipStream_tbENKUlT_T0_E_clISt17integral_constantIbLb1EESP_IbLb0EEEEDaSL_SM_EUlSL_E0_NS1_11comp_targetILNS1_3genE10ELNS1_11target_archE1201ELNS1_3gpuE5ELNS1_3repE0EEENS1_30default_config_static_selectorELNS0_4arch9wavefront6targetE0EEEvT1_.has_dyn_sized_stack, 0
	.set _ZN7rocprim17ROCPRIM_400000_NS6detail17trampoline_kernelINS0_14default_configENS1_20scan_config_selectorIlEEZZNS1_9scan_implILNS1_25lookback_scan_determinismE0ELb0ELb0ES3_PlS8_lN6thrust23THRUST_200600_302600_NS4plusIvEElEEDaPvRmT3_T4_T5_mT6_P12ihipStream_tbENKUlT_T0_E_clISt17integral_constantIbLb1EESP_IbLb0EEEEDaSL_SM_EUlSL_E0_NS1_11comp_targetILNS1_3genE10ELNS1_11target_archE1201ELNS1_3gpuE5ELNS1_3repE0EEENS1_30default_config_static_selectorELNS0_4arch9wavefront6targetE0EEEvT1_.has_recursion, 0
	.set _ZN7rocprim17ROCPRIM_400000_NS6detail17trampoline_kernelINS0_14default_configENS1_20scan_config_selectorIlEEZZNS1_9scan_implILNS1_25lookback_scan_determinismE0ELb0ELb0ES3_PlS8_lN6thrust23THRUST_200600_302600_NS4plusIvEElEEDaPvRmT3_T4_T5_mT6_P12ihipStream_tbENKUlT_T0_E_clISt17integral_constantIbLb1EESP_IbLb0EEEEDaSL_SM_EUlSL_E0_NS1_11comp_targetILNS1_3genE10ELNS1_11target_archE1201ELNS1_3gpuE5ELNS1_3repE0EEENS1_30default_config_static_selectorELNS0_4arch9wavefront6targetE0EEEvT1_.has_indirect_call, 0
	.section	.AMDGPU.csdata,"",@progbits
; Kernel info:
; codeLenInByte = 0
; TotalNumSgprs: 0
; NumVgprs: 0
; ScratchSize: 0
; MemoryBound: 0
; FloatMode: 240
; IeeeMode: 1
; LDSByteSize: 0 bytes/workgroup (compile time only)
; SGPRBlocks: 0
; VGPRBlocks: 0
; NumSGPRsForWavesPerEU: 1
; NumVGPRsForWavesPerEU: 1
; NamedBarCnt: 0
; Occupancy: 16
; WaveLimiterHint : 0
; COMPUTE_PGM_RSRC2:SCRATCH_EN: 0
; COMPUTE_PGM_RSRC2:USER_SGPR: 2
; COMPUTE_PGM_RSRC2:TRAP_HANDLER: 0
; COMPUTE_PGM_RSRC2:TGID_X_EN: 1
; COMPUTE_PGM_RSRC2:TGID_Y_EN: 0
; COMPUTE_PGM_RSRC2:TGID_Z_EN: 0
; COMPUTE_PGM_RSRC2:TIDIG_COMP_CNT: 0
	.section	.text._ZN7rocprim17ROCPRIM_400000_NS6detail17trampoline_kernelINS0_14default_configENS1_20scan_config_selectorIlEEZZNS1_9scan_implILNS1_25lookback_scan_determinismE0ELb0ELb0ES3_PlS8_lN6thrust23THRUST_200600_302600_NS4plusIvEElEEDaPvRmT3_T4_T5_mT6_P12ihipStream_tbENKUlT_T0_E_clISt17integral_constantIbLb1EESP_IbLb0EEEEDaSL_SM_EUlSL_E0_NS1_11comp_targetILNS1_3genE10ELNS1_11target_archE1200ELNS1_3gpuE4ELNS1_3repE0EEENS1_30default_config_static_selectorELNS0_4arch9wavefront6targetE0EEEvT1_,"axG",@progbits,_ZN7rocprim17ROCPRIM_400000_NS6detail17trampoline_kernelINS0_14default_configENS1_20scan_config_selectorIlEEZZNS1_9scan_implILNS1_25lookback_scan_determinismE0ELb0ELb0ES3_PlS8_lN6thrust23THRUST_200600_302600_NS4plusIvEElEEDaPvRmT3_T4_T5_mT6_P12ihipStream_tbENKUlT_T0_E_clISt17integral_constantIbLb1EESP_IbLb0EEEEDaSL_SM_EUlSL_E0_NS1_11comp_targetILNS1_3genE10ELNS1_11target_archE1200ELNS1_3gpuE4ELNS1_3repE0EEENS1_30default_config_static_selectorELNS0_4arch9wavefront6targetE0EEEvT1_,comdat
	.protected	_ZN7rocprim17ROCPRIM_400000_NS6detail17trampoline_kernelINS0_14default_configENS1_20scan_config_selectorIlEEZZNS1_9scan_implILNS1_25lookback_scan_determinismE0ELb0ELb0ES3_PlS8_lN6thrust23THRUST_200600_302600_NS4plusIvEElEEDaPvRmT3_T4_T5_mT6_P12ihipStream_tbENKUlT_T0_E_clISt17integral_constantIbLb1EESP_IbLb0EEEEDaSL_SM_EUlSL_E0_NS1_11comp_targetILNS1_3genE10ELNS1_11target_archE1200ELNS1_3gpuE4ELNS1_3repE0EEENS1_30default_config_static_selectorELNS0_4arch9wavefront6targetE0EEEvT1_ ; -- Begin function _ZN7rocprim17ROCPRIM_400000_NS6detail17trampoline_kernelINS0_14default_configENS1_20scan_config_selectorIlEEZZNS1_9scan_implILNS1_25lookback_scan_determinismE0ELb0ELb0ES3_PlS8_lN6thrust23THRUST_200600_302600_NS4plusIvEElEEDaPvRmT3_T4_T5_mT6_P12ihipStream_tbENKUlT_T0_E_clISt17integral_constantIbLb1EESP_IbLb0EEEEDaSL_SM_EUlSL_E0_NS1_11comp_targetILNS1_3genE10ELNS1_11target_archE1200ELNS1_3gpuE4ELNS1_3repE0EEENS1_30default_config_static_selectorELNS0_4arch9wavefront6targetE0EEEvT1_
	.globl	_ZN7rocprim17ROCPRIM_400000_NS6detail17trampoline_kernelINS0_14default_configENS1_20scan_config_selectorIlEEZZNS1_9scan_implILNS1_25lookback_scan_determinismE0ELb0ELb0ES3_PlS8_lN6thrust23THRUST_200600_302600_NS4plusIvEElEEDaPvRmT3_T4_T5_mT6_P12ihipStream_tbENKUlT_T0_E_clISt17integral_constantIbLb1EESP_IbLb0EEEEDaSL_SM_EUlSL_E0_NS1_11comp_targetILNS1_3genE10ELNS1_11target_archE1200ELNS1_3gpuE4ELNS1_3repE0EEENS1_30default_config_static_selectorELNS0_4arch9wavefront6targetE0EEEvT1_
	.p2align	8
	.type	_ZN7rocprim17ROCPRIM_400000_NS6detail17trampoline_kernelINS0_14default_configENS1_20scan_config_selectorIlEEZZNS1_9scan_implILNS1_25lookback_scan_determinismE0ELb0ELb0ES3_PlS8_lN6thrust23THRUST_200600_302600_NS4plusIvEElEEDaPvRmT3_T4_T5_mT6_P12ihipStream_tbENKUlT_T0_E_clISt17integral_constantIbLb1EESP_IbLb0EEEEDaSL_SM_EUlSL_E0_NS1_11comp_targetILNS1_3genE10ELNS1_11target_archE1200ELNS1_3gpuE4ELNS1_3repE0EEENS1_30default_config_static_selectorELNS0_4arch9wavefront6targetE0EEEvT1_,@function
_ZN7rocprim17ROCPRIM_400000_NS6detail17trampoline_kernelINS0_14default_configENS1_20scan_config_selectorIlEEZZNS1_9scan_implILNS1_25lookback_scan_determinismE0ELb0ELb0ES3_PlS8_lN6thrust23THRUST_200600_302600_NS4plusIvEElEEDaPvRmT3_T4_T5_mT6_P12ihipStream_tbENKUlT_T0_E_clISt17integral_constantIbLb1EESP_IbLb0EEEEDaSL_SM_EUlSL_E0_NS1_11comp_targetILNS1_3genE10ELNS1_11target_archE1200ELNS1_3gpuE4ELNS1_3repE0EEENS1_30default_config_static_selectorELNS0_4arch9wavefront6targetE0EEEvT1_: ; @_ZN7rocprim17ROCPRIM_400000_NS6detail17trampoline_kernelINS0_14default_configENS1_20scan_config_selectorIlEEZZNS1_9scan_implILNS1_25lookback_scan_determinismE0ELb0ELb0ES3_PlS8_lN6thrust23THRUST_200600_302600_NS4plusIvEElEEDaPvRmT3_T4_T5_mT6_P12ihipStream_tbENKUlT_T0_E_clISt17integral_constantIbLb1EESP_IbLb0EEEEDaSL_SM_EUlSL_E0_NS1_11comp_targetILNS1_3genE10ELNS1_11target_archE1200ELNS1_3gpuE4ELNS1_3repE0EEENS1_30default_config_static_selectorELNS0_4arch9wavefront6targetE0EEEvT1_
; %bb.0:
	.section	.rodata,"a",@progbits
	.p2align	6, 0x0
	.amdhsa_kernel _ZN7rocprim17ROCPRIM_400000_NS6detail17trampoline_kernelINS0_14default_configENS1_20scan_config_selectorIlEEZZNS1_9scan_implILNS1_25lookback_scan_determinismE0ELb0ELb0ES3_PlS8_lN6thrust23THRUST_200600_302600_NS4plusIvEElEEDaPvRmT3_T4_T5_mT6_P12ihipStream_tbENKUlT_T0_E_clISt17integral_constantIbLb1EESP_IbLb0EEEEDaSL_SM_EUlSL_E0_NS1_11comp_targetILNS1_3genE10ELNS1_11target_archE1200ELNS1_3gpuE4ELNS1_3repE0EEENS1_30default_config_static_selectorELNS0_4arch9wavefront6targetE0EEEvT1_
		.amdhsa_group_segment_fixed_size 0
		.amdhsa_private_segment_fixed_size 0
		.amdhsa_kernarg_size 40
		.amdhsa_user_sgpr_count 2
		.amdhsa_user_sgpr_dispatch_ptr 0
		.amdhsa_user_sgpr_queue_ptr 0
		.amdhsa_user_sgpr_kernarg_segment_ptr 1
		.amdhsa_user_sgpr_dispatch_id 0
		.amdhsa_user_sgpr_kernarg_preload_length 0
		.amdhsa_user_sgpr_kernarg_preload_offset 0
		.amdhsa_user_sgpr_private_segment_size 0
		.amdhsa_wavefront_size32 1
		.amdhsa_uses_dynamic_stack 0
		.amdhsa_enable_private_segment 0
		.amdhsa_system_sgpr_workgroup_id_x 1
		.amdhsa_system_sgpr_workgroup_id_y 0
		.amdhsa_system_sgpr_workgroup_id_z 0
		.amdhsa_system_sgpr_workgroup_info 0
		.amdhsa_system_vgpr_workitem_id 0
		.amdhsa_next_free_vgpr 1
		.amdhsa_next_free_sgpr 1
		.amdhsa_named_barrier_count 0
		.amdhsa_reserve_vcc 0
		.amdhsa_float_round_mode_32 0
		.amdhsa_float_round_mode_16_64 0
		.amdhsa_float_denorm_mode_32 3
		.amdhsa_float_denorm_mode_16_64 3
		.amdhsa_fp16_overflow 0
		.amdhsa_memory_ordered 1
		.amdhsa_forward_progress 1
		.amdhsa_inst_pref_size 0
		.amdhsa_round_robin_scheduling 0
		.amdhsa_exception_fp_ieee_invalid_op 0
		.amdhsa_exception_fp_denorm_src 0
		.amdhsa_exception_fp_ieee_div_zero 0
		.amdhsa_exception_fp_ieee_overflow 0
		.amdhsa_exception_fp_ieee_underflow 0
		.amdhsa_exception_fp_ieee_inexact 0
		.amdhsa_exception_int_div_zero 0
	.end_amdhsa_kernel
	.section	.text._ZN7rocprim17ROCPRIM_400000_NS6detail17trampoline_kernelINS0_14default_configENS1_20scan_config_selectorIlEEZZNS1_9scan_implILNS1_25lookback_scan_determinismE0ELb0ELb0ES3_PlS8_lN6thrust23THRUST_200600_302600_NS4plusIvEElEEDaPvRmT3_T4_T5_mT6_P12ihipStream_tbENKUlT_T0_E_clISt17integral_constantIbLb1EESP_IbLb0EEEEDaSL_SM_EUlSL_E0_NS1_11comp_targetILNS1_3genE10ELNS1_11target_archE1200ELNS1_3gpuE4ELNS1_3repE0EEENS1_30default_config_static_selectorELNS0_4arch9wavefront6targetE0EEEvT1_,"axG",@progbits,_ZN7rocprim17ROCPRIM_400000_NS6detail17trampoline_kernelINS0_14default_configENS1_20scan_config_selectorIlEEZZNS1_9scan_implILNS1_25lookback_scan_determinismE0ELb0ELb0ES3_PlS8_lN6thrust23THRUST_200600_302600_NS4plusIvEElEEDaPvRmT3_T4_T5_mT6_P12ihipStream_tbENKUlT_T0_E_clISt17integral_constantIbLb1EESP_IbLb0EEEEDaSL_SM_EUlSL_E0_NS1_11comp_targetILNS1_3genE10ELNS1_11target_archE1200ELNS1_3gpuE4ELNS1_3repE0EEENS1_30default_config_static_selectorELNS0_4arch9wavefront6targetE0EEEvT1_,comdat
.Lfunc_end137:
	.size	_ZN7rocprim17ROCPRIM_400000_NS6detail17trampoline_kernelINS0_14default_configENS1_20scan_config_selectorIlEEZZNS1_9scan_implILNS1_25lookback_scan_determinismE0ELb0ELb0ES3_PlS8_lN6thrust23THRUST_200600_302600_NS4plusIvEElEEDaPvRmT3_T4_T5_mT6_P12ihipStream_tbENKUlT_T0_E_clISt17integral_constantIbLb1EESP_IbLb0EEEEDaSL_SM_EUlSL_E0_NS1_11comp_targetILNS1_3genE10ELNS1_11target_archE1200ELNS1_3gpuE4ELNS1_3repE0EEENS1_30default_config_static_selectorELNS0_4arch9wavefront6targetE0EEEvT1_, .Lfunc_end137-_ZN7rocprim17ROCPRIM_400000_NS6detail17trampoline_kernelINS0_14default_configENS1_20scan_config_selectorIlEEZZNS1_9scan_implILNS1_25lookback_scan_determinismE0ELb0ELb0ES3_PlS8_lN6thrust23THRUST_200600_302600_NS4plusIvEElEEDaPvRmT3_T4_T5_mT6_P12ihipStream_tbENKUlT_T0_E_clISt17integral_constantIbLb1EESP_IbLb0EEEEDaSL_SM_EUlSL_E0_NS1_11comp_targetILNS1_3genE10ELNS1_11target_archE1200ELNS1_3gpuE4ELNS1_3repE0EEENS1_30default_config_static_selectorELNS0_4arch9wavefront6targetE0EEEvT1_
                                        ; -- End function
	.set _ZN7rocprim17ROCPRIM_400000_NS6detail17trampoline_kernelINS0_14default_configENS1_20scan_config_selectorIlEEZZNS1_9scan_implILNS1_25lookback_scan_determinismE0ELb0ELb0ES3_PlS8_lN6thrust23THRUST_200600_302600_NS4plusIvEElEEDaPvRmT3_T4_T5_mT6_P12ihipStream_tbENKUlT_T0_E_clISt17integral_constantIbLb1EESP_IbLb0EEEEDaSL_SM_EUlSL_E0_NS1_11comp_targetILNS1_3genE10ELNS1_11target_archE1200ELNS1_3gpuE4ELNS1_3repE0EEENS1_30default_config_static_selectorELNS0_4arch9wavefront6targetE0EEEvT1_.num_vgpr, 0
	.set _ZN7rocprim17ROCPRIM_400000_NS6detail17trampoline_kernelINS0_14default_configENS1_20scan_config_selectorIlEEZZNS1_9scan_implILNS1_25lookback_scan_determinismE0ELb0ELb0ES3_PlS8_lN6thrust23THRUST_200600_302600_NS4plusIvEElEEDaPvRmT3_T4_T5_mT6_P12ihipStream_tbENKUlT_T0_E_clISt17integral_constantIbLb1EESP_IbLb0EEEEDaSL_SM_EUlSL_E0_NS1_11comp_targetILNS1_3genE10ELNS1_11target_archE1200ELNS1_3gpuE4ELNS1_3repE0EEENS1_30default_config_static_selectorELNS0_4arch9wavefront6targetE0EEEvT1_.num_agpr, 0
	.set _ZN7rocprim17ROCPRIM_400000_NS6detail17trampoline_kernelINS0_14default_configENS1_20scan_config_selectorIlEEZZNS1_9scan_implILNS1_25lookback_scan_determinismE0ELb0ELb0ES3_PlS8_lN6thrust23THRUST_200600_302600_NS4plusIvEElEEDaPvRmT3_T4_T5_mT6_P12ihipStream_tbENKUlT_T0_E_clISt17integral_constantIbLb1EESP_IbLb0EEEEDaSL_SM_EUlSL_E0_NS1_11comp_targetILNS1_3genE10ELNS1_11target_archE1200ELNS1_3gpuE4ELNS1_3repE0EEENS1_30default_config_static_selectorELNS0_4arch9wavefront6targetE0EEEvT1_.numbered_sgpr, 0
	.set _ZN7rocprim17ROCPRIM_400000_NS6detail17trampoline_kernelINS0_14default_configENS1_20scan_config_selectorIlEEZZNS1_9scan_implILNS1_25lookback_scan_determinismE0ELb0ELb0ES3_PlS8_lN6thrust23THRUST_200600_302600_NS4plusIvEElEEDaPvRmT3_T4_T5_mT6_P12ihipStream_tbENKUlT_T0_E_clISt17integral_constantIbLb1EESP_IbLb0EEEEDaSL_SM_EUlSL_E0_NS1_11comp_targetILNS1_3genE10ELNS1_11target_archE1200ELNS1_3gpuE4ELNS1_3repE0EEENS1_30default_config_static_selectorELNS0_4arch9wavefront6targetE0EEEvT1_.num_named_barrier, 0
	.set _ZN7rocprim17ROCPRIM_400000_NS6detail17trampoline_kernelINS0_14default_configENS1_20scan_config_selectorIlEEZZNS1_9scan_implILNS1_25lookback_scan_determinismE0ELb0ELb0ES3_PlS8_lN6thrust23THRUST_200600_302600_NS4plusIvEElEEDaPvRmT3_T4_T5_mT6_P12ihipStream_tbENKUlT_T0_E_clISt17integral_constantIbLb1EESP_IbLb0EEEEDaSL_SM_EUlSL_E0_NS1_11comp_targetILNS1_3genE10ELNS1_11target_archE1200ELNS1_3gpuE4ELNS1_3repE0EEENS1_30default_config_static_selectorELNS0_4arch9wavefront6targetE0EEEvT1_.private_seg_size, 0
	.set _ZN7rocprim17ROCPRIM_400000_NS6detail17trampoline_kernelINS0_14default_configENS1_20scan_config_selectorIlEEZZNS1_9scan_implILNS1_25lookback_scan_determinismE0ELb0ELb0ES3_PlS8_lN6thrust23THRUST_200600_302600_NS4plusIvEElEEDaPvRmT3_T4_T5_mT6_P12ihipStream_tbENKUlT_T0_E_clISt17integral_constantIbLb1EESP_IbLb0EEEEDaSL_SM_EUlSL_E0_NS1_11comp_targetILNS1_3genE10ELNS1_11target_archE1200ELNS1_3gpuE4ELNS1_3repE0EEENS1_30default_config_static_selectorELNS0_4arch9wavefront6targetE0EEEvT1_.uses_vcc, 0
	.set _ZN7rocprim17ROCPRIM_400000_NS6detail17trampoline_kernelINS0_14default_configENS1_20scan_config_selectorIlEEZZNS1_9scan_implILNS1_25lookback_scan_determinismE0ELb0ELb0ES3_PlS8_lN6thrust23THRUST_200600_302600_NS4plusIvEElEEDaPvRmT3_T4_T5_mT6_P12ihipStream_tbENKUlT_T0_E_clISt17integral_constantIbLb1EESP_IbLb0EEEEDaSL_SM_EUlSL_E0_NS1_11comp_targetILNS1_3genE10ELNS1_11target_archE1200ELNS1_3gpuE4ELNS1_3repE0EEENS1_30default_config_static_selectorELNS0_4arch9wavefront6targetE0EEEvT1_.uses_flat_scratch, 0
	.set _ZN7rocprim17ROCPRIM_400000_NS6detail17trampoline_kernelINS0_14default_configENS1_20scan_config_selectorIlEEZZNS1_9scan_implILNS1_25lookback_scan_determinismE0ELb0ELb0ES3_PlS8_lN6thrust23THRUST_200600_302600_NS4plusIvEElEEDaPvRmT3_T4_T5_mT6_P12ihipStream_tbENKUlT_T0_E_clISt17integral_constantIbLb1EESP_IbLb0EEEEDaSL_SM_EUlSL_E0_NS1_11comp_targetILNS1_3genE10ELNS1_11target_archE1200ELNS1_3gpuE4ELNS1_3repE0EEENS1_30default_config_static_selectorELNS0_4arch9wavefront6targetE0EEEvT1_.has_dyn_sized_stack, 0
	.set _ZN7rocprim17ROCPRIM_400000_NS6detail17trampoline_kernelINS0_14default_configENS1_20scan_config_selectorIlEEZZNS1_9scan_implILNS1_25lookback_scan_determinismE0ELb0ELb0ES3_PlS8_lN6thrust23THRUST_200600_302600_NS4plusIvEElEEDaPvRmT3_T4_T5_mT6_P12ihipStream_tbENKUlT_T0_E_clISt17integral_constantIbLb1EESP_IbLb0EEEEDaSL_SM_EUlSL_E0_NS1_11comp_targetILNS1_3genE10ELNS1_11target_archE1200ELNS1_3gpuE4ELNS1_3repE0EEENS1_30default_config_static_selectorELNS0_4arch9wavefront6targetE0EEEvT1_.has_recursion, 0
	.set _ZN7rocprim17ROCPRIM_400000_NS6detail17trampoline_kernelINS0_14default_configENS1_20scan_config_selectorIlEEZZNS1_9scan_implILNS1_25lookback_scan_determinismE0ELb0ELb0ES3_PlS8_lN6thrust23THRUST_200600_302600_NS4plusIvEElEEDaPvRmT3_T4_T5_mT6_P12ihipStream_tbENKUlT_T0_E_clISt17integral_constantIbLb1EESP_IbLb0EEEEDaSL_SM_EUlSL_E0_NS1_11comp_targetILNS1_3genE10ELNS1_11target_archE1200ELNS1_3gpuE4ELNS1_3repE0EEENS1_30default_config_static_selectorELNS0_4arch9wavefront6targetE0EEEvT1_.has_indirect_call, 0
	.section	.AMDGPU.csdata,"",@progbits
; Kernel info:
; codeLenInByte = 0
; TotalNumSgprs: 0
; NumVgprs: 0
; ScratchSize: 0
; MemoryBound: 0
; FloatMode: 240
; IeeeMode: 1
; LDSByteSize: 0 bytes/workgroup (compile time only)
; SGPRBlocks: 0
; VGPRBlocks: 0
; NumSGPRsForWavesPerEU: 1
; NumVGPRsForWavesPerEU: 1
; NamedBarCnt: 0
; Occupancy: 16
; WaveLimiterHint : 0
; COMPUTE_PGM_RSRC2:SCRATCH_EN: 0
; COMPUTE_PGM_RSRC2:USER_SGPR: 2
; COMPUTE_PGM_RSRC2:TRAP_HANDLER: 0
; COMPUTE_PGM_RSRC2:TGID_X_EN: 1
; COMPUTE_PGM_RSRC2:TGID_Y_EN: 0
; COMPUTE_PGM_RSRC2:TGID_Z_EN: 0
; COMPUTE_PGM_RSRC2:TIDIG_COMP_CNT: 0
	.section	.text._ZN7rocprim17ROCPRIM_400000_NS6detail17trampoline_kernelINS0_14default_configENS1_20scan_config_selectorIlEEZZNS1_9scan_implILNS1_25lookback_scan_determinismE0ELb0ELb0ES3_PlS8_lN6thrust23THRUST_200600_302600_NS4plusIvEElEEDaPvRmT3_T4_T5_mT6_P12ihipStream_tbENKUlT_T0_E_clISt17integral_constantIbLb1EESP_IbLb0EEEEDaSL_SM_EUlSL_E0_NS1_11comp_targetILNS1_3genE9ELNS1_11target_archE1100ELNS1_3gpuE3ELNS1_3repE0EEENS1_30default_config_static_selectorELNS0_4arch9wavefront6targetE0EEEvT1_,"axG",@progbits,_ZN7rocprim17ROCPRIM_400000_NS6detail17trampoline_kernelINS0_14default_configENS1_20scan_config_selectorIlEEZZNS1_9scan_implILNS1_25lookback_scan_determinismE0ELb0ELb0ES3_PlS8_lN6thrust23THRUST_200600_302600_NS4plusIvEElEEDaPvRmT3_T4_T5_mT6_P12ihipStream_tbENKUlT_T0_E_clISt17integral_constantIbLb1EESP_IbLb0EEEEDaSL_SM_EUlSL_E0_NS1_11comp_targetILNS1_3genE9ELNS1_11target_archE1100ELNS1_3gpuE3ELNS1_3repE0EEENS1_30default_config_static_selectorELNS0_4arch9wavefront6targetE0EEEvT1_,comdat
	.protected	_ZN7rocprim17ROCPRIM_400000_NS6detail17trampoline_kernelINS0_14default_configENS1_20scan_config_selectorIlEEZZNS1_9scan_implILNS1_25lookback_scan_determinismE0ELb0ELb0ES3_PlS8_lN6thrust23THRUST_200600_302600_NS4plusIvEElEEDaPvRmT3_T4_T5_mT6_P12ihipStream_tbENKUlT_T0_E_clISt17integral_constantIbLb1EESP_IbLb0EEEEDaSL_SM_EUlSL_E0_NS1_11comp_targetILNS1_3genE9ELNS1_11target_archE1100ELNS1_3gpuE3ELNS1_3repE0EEENS1_30default_config_static_selectorELNS0_4arch9wavefront6targetE0EEEvT1_ ; -- Begin function _ZN7rocprim17ROCPRIM_400000_NS6detail17trampoline_kernelINS0_14default_configENS1_20scan_config_selectorIlEEZZNS1_9scan_implILNS1_25lookback_scan_determinismE0ELb0ELb0ES3_PlS8_lN6thrust23THRUST_200600_302600_NS4plusIvEElEEDaPvRmT3_T4_T5_mT6_P12ihipStream_tbENKUlT_T0_E_clISt17integral_constantIbLb1EESP_IbLb0EEEEDaSL_SM_EUlSL_E0_NS1_11comp_targetILNS1_3genE9ELNS1_11target_archE1100ELNS1_3gpuE3ELNS1_3repE0EEENS1_30default_config_static_selectorELNS0_4arch9wavefront6targetE0EEEvT1_
	.globl	_ZN7rocprim17ROCPRIM_400000_NS6detail17trampoline_kernelINS0_14default_configENS1_20scan_config_selectorIlEEZZNS1_9scan_implILNS1_25lookback_scan_determinismE0ELb0ELb0ES3_PlS8_lN6thrust23THRUST_200600_302600_NS4plusIvEElEEDaPvRmT3_T4_T5_mT6_P12ihipStream_tbENKUlT_T0_E_clISt17integral_constantIbLb1EESP_IbLb0EEEEDaSL_SM_EUlSL_E0_NS1_11comp_targetILNS1_3genE9ELNS1_11target_archE1100ELNS1_3gpuE3ELNS1_3repE0EEENS1_30default_config_static_selectorELNS0_4arch9wavefront6targetE0EEEvT1_
	.p2align	8
	.type	_ZN7rocprim17ROCPRIM_400000_NS6detail17trampoline_kernelINS0_14default_configENS1_20scan_config_selectorIlEEZZNS1_9scan_implILNS1_25lookback_scan_determinismE0ELb0ELb0ES3_PlS8_lN6thrust23THRUST_200600_302600_NS4plusIvEElEEDaPvRmT3_T4_T5_mT6_P12ihipStream_tbENKUlT_T0_E_clISt17integral_constantIbLb1EESP_IbLb0EEEEDaSL_SM_EUlSL_E0_NS1_11comp_targetILNS1_3genE9ELNS1_11target_archE1100ELNS1_3gpuE3ELNS1_3repE0EEENS1_30default_config_static_selectorELNS0_4arch9wavefront6targetE0EEEvT1_,@function
_ZN7rocprim17ROCPRIM_400000_NS6detail17trampoline_kernelINS0_14default_configENS1_20scan_config_selectorIlEEZZNS1_9scan_implILNS1_25lookback_scan_determinismE0ELb0ELb0ES3_PlS8_lN6thrust23THRUST_200600_302600_NS4plusIvEElEEDaPvRmT3_T4_T5_mT6_P12ihipStream_tbENKUlT_T0_E_clISt17integral_constantIbLb1EESP_IbLb0EEEEDaSL_SM_EUlSL_E0_NS1_11comp_targetILNS1_3genE9ELNS1_11target_archE1100ELNS1_3gpuE3ELNS1_3repE0EEENS1_30default_config_static_selectorELNS0_4arch9wavefront6targetE0EEEvT1_: ; @_ZN7rocprim17ROCPRIM_400000_NS6detail17trampoline_kernelINS0_14default_configENS1_20scan_config_selectorIlEEZZNS1_9scan_implILNS1_25lookback_scan_determinismE0ELb0ELb0ES3_PlS8_lN6thrust23THRUST_200600_302600_NS4plusIvEElEEDaPvRmT3_T4_T5_mT6_P12ihipStream_tbENKUlT_T0_E_clISt17integral_constantIbLb1EESP_IbLb0EEEEDaSL_SM_EUlSL_E0_NS1_11comp_targetILNS1_3genE9ELNS1_11target_archE1100ELNS1_3gpuE3ELNS1_3repE0EEENS1_30default_config_static_selectorELNS0_4arch9wavefront6targetE0EEEvT1_
; %bb.0:
	.section	.rodata,"a",@progbits
	.p2align	6, 0x0
	.amdhsa_kernel _ZN7rocprim17ROCPRIM_400000_NS6detail17trampoline_kernelINS0_14default_configENS1_20scan_config_selectorIlEEZZNS1_9scan_implILNS1_25lookback_scan_determinismE0ELb0ELb0ES3_PlS8_lN6thrust23THRUST_200600_302600_NS4plusIvEElEEDaPvRmT3_T4_T5_mT6_P12ihipStream_tbENKUlT_T0_E_clISt17integral_constantIbLb1EESP_IbLb0EEEEDaSL_SM_EUlSL_E0_NS1_11comp_targetILNS1_3genE9ELNS1_11target_archE1100ELNS1_3gpuE3ELNS1_3repE0EEENS1_30default_config_static_selectorELNS0_4arch9wavefront6targetE0EEEvT1_
		.amdhsa_group_segment_fixed_size 0
		.amdhsa_private_segment_fixed_size 0
		.amdhsa_kernarg_size 40
		.amdhsa_user_sgpr_count 2
		.amdhsa_user_sgpr_dispatch_ptr 0
		.amdhsa_user_sgpr_queue_ptr 0
		.amdhsa_user_sgpr_kernarg_segment_ptr 1
		.amdhsa_user_sgpr_dispatch_id 0
		.amdhsa_user_sgpr_kernarg_preload_length 0
		.amdhsa_user_sgpr_kernarg_preload_offset 0
		.amdhsa_user_sgpr_private_segment_size 0
		.amdhsa_wavefront_size32 1
		.amdhsa_uses_dynamic_stack 0
		.amdhsa_enable_private_segment 0
		.amdhsa_system_sgpr_workgroup_id_x 1
		.amdhsa_system_sgpr_workgroup_id_y 0
		.amdhsa_system_sgpr_workgroup_id_z 0
		.amdhsa_system_sgpr_workgroup_info 0
		.amdhsa_system_vgpr_workitem_id 0
		.amdhsa_next_free_vgpr 1
		.amdhsa_next_free_sgpr 1
		.amdhsa_named_barrier_count 0
		.amdhsa_reserve_vcc 0
		.amdhsa_float_round_mode_32 0
		.amdhsa_float_round_mode_16_64 0
		.amdhsa_float_denorm_mode_32 3
		.amdhsa_float_denorm_mode_16_64 3
		.amdhsa_fp16_overflow 0
		.amdhsa_memory_ordered 1
		.amdhsa_forward_progress 1
		.amdhsa_inst_pref_size 0
		.amdhsa_round_robin_scheduling 0
		.amdhsa_exception_fp_ieee_invalid_op 0
		.amdhsa_exception_fp_denorm_src 0
		.amdhsa_exception_fp_ieee_div_zero 0
		.amdhsa_exception_fp_ieee_overflow 0
		.amdhsa_exception_fp_ieee_underflow 0
		.amdhsa_exception_fp_ieee_inexact 0
		.amdhsa_exception_int_div_zero 0
	.end_amdhsa_kernel
	.section	.text._ZN7rocprim17ROCPRIM_400000_NS6detail17trampoline_kernelINS0_14default_configENS1_20scan_config_selectorIlEEZZNS1_9scan_implILNS1_25lookback_scan_determinismE0ELb0ELb0ES3_PlS8_lN6thrust23THRUST_200600_302600_NS4plusIvEElEEDaPvRmT3_T4_T5_mT6_P12ihipStream_tbENKUlT_T0_E_clISt17integral_constantIbLb1EESP_IbLb0EEEEDaSL_SM_EUlSL_E0_NS1_11comp_targetILNS1_3genE9ELNS1_11target_archE1100ELNS1_3gpuE3ELNS1_3repE0EEENS1_30default_config_static_selectorELNS0_4arch9wavefront6targetE0EEEvT1_,"axG",@progbits,_ZN7rocprim17ROCPRIM_400000_NS6detail17trampoline_kernelINS0_14default_configENS1_20scan_config_selectorIlEEZZNS1_9scan_implILNS1_25lookback_scan_determinismE0ELb0ELb0ES3_PlS8_lN6thrust23THRUST_200600_302600_NS4plusIvEElEEDaPvRmT3_T4_T5_mT6_P12ihipStream_tbENKUlT_T0_E_clISt17integral_constantIbLb1EESP_IbLb0EEEEDaSL_SM_EUlSL_E0_NS1_11comp_targetILNS1_3genE9ELNS1_11target_archE1100ELNS1_3gpuE3ELNS1_3repE0EEENS1_30default_config_static_selectorELNS0_4arch9wavefront6targetE0EEEvT1_,comdat
.Lfunc_end138:
	.size	_ZN7rocprim17ROCPRIM_400000_NS6detail17trampoline_kernelINS0_14default_configENS1_20scan_config_selectorIlEEZZNS1_9scan_implILNS1_25lookback_scan_determinismE0ELb0ELb0ES3_PlS8_lN6thrust23THRUST_200600_302600_NS4plusIvEElEEDaPvRmT3_T4_T5_mT6_P12ihipStream_tbENKUlT_T0_E_clISt17integral_constantIbLb1EESP_IbLb0EEEEDaSL_SM_EUlSL_E0_NS1_11comp_targetILNS1_3genE9ELNS1_11target_archE1100ELNS1_3gpuE3ELNS1_3repE0EEENS1_30default_config_static_selectorELNS0_4arch9wavefront6targetE0EEEvT1_, .Lfunc_end138-_ZN7rocprim17ROCPRIM_400000_NS6detail17trampoline_kernelINS0_14default_configENS1_20scan_config_selectorIlEEZZNS1_9scan_implILNS1_25lookback_scan_determinismE0ELb0ELb0ES3_PlS8_lN6thrust23THRUST_200600_302600_NS4plusIvEElEEDaPvRmT3_T4_T5_mT6_P12ihipStream_tbENKUlT_T0_E_clISt17integral_constantIbLb1EESP_IbLb0EEEEDaSL_SM_EUlSL_E0_NS1_11comp_targetILNS1_3genE9ELNS1_11target_archE1100ELNS1_3gpuE3ELNS1_3repE0EEENS1_30default_config_static_selectorELNS0_4arch9wavefront6targetE0EEEvT1_
                                        ; -- End function
	.set _ZN7rocprim17ROCPRIM_400000_NS6detail17trampoline_kernelINS0_14default_configENS1_20scan_config_selectorIlEEZZNS1_9scan_implILNS1_25lookback_scan_determinismE0ELb0ELb0ES3_PlS8_lN6thrust23THRUST_200600_302600_NS4plusIvEElEEDaPvRmT3_T4_T5_mT6_P12ihipStream_tbENKUlT_T0_E_clISt17integral_constantIbLb1EESP_IbLb0EEEEDaSL_SM_EUlSL_E0_NS1_11comp_targetILNS1_3genE9ELNS1_11target_archE1100ELNS1_3gpuE3ELNS1_3repE0EEENS1_30default_config_static_selectorELNS0_4arch9wavefront6targetE0EEEvT1_.num_vgpr, 0
	.set _ZN7rocprim17ROCPRIM_400000_NS6detail17trampoline_kernelINS0_14default_configENS1_20scan_config_selectorIlEEZZNS1_9scan_implILNS1_25lookback_scan_determinismE0ELb0ELb0ES3_PlS8_lN6thrust23THRUST_200600_302600_NS4plusIvEElEEDaPvRmT3_T4_T5_mT6_P12ihipStream_tbENKUlT_T0_E_clISt17integral_constantIbLb1EESP_IbLb0EEEEDaSL_SM_EUlSL_E0_NS1_11comp_targetILNS1_3genE9ELNS1_11target_archE1100ELNS1_3gpuE3ELNS1_3repE0EEENS1_30default_config_static_selectorELNS0_4arch9wavefront6targetE0EEEvT1_.num_agpr, 0
	.set _ZN7rocprim17ROCPRIM_400000_NS6detail17trampoline_kernelINS0_14default_configENS1_20scan_config_selectorIlEEZZNS1_9scan_implILNS1_25lookback_scan_determinismE0ELb0ELb0ES3_PlS8_lN6thrust23THRUST_200600_302600_NS4plusIvEElEEDaPvRmT3_T4_T5_mT6_P12ihipStream_tbENKUlT_T0_E_clISt17integral_constantIbLb1EESP_IbLb0EEEEDaSL_SM_EUlSL_E0_NS1_11comp_targetILNS1_3genE9ELNS1_11target_archE1100ELNS1_3gpuE3ELNS1_3repE0EEENS1_30default_config_static_selectorELNS0_4arch9wavefront6targetE0EEEvT1_.numbered_sgpr, 0
	.set _ZN7rocprim17ROCPRIM_400000_NS6detail17trampoline_kernelINS0_14default_configENS1_20scan_config_selectorIlEEZZNS1_9scan_implILNS1_25lookback_scan_determinismE0ELb0ELb0ES3_PlS8_lN6thrust23THRUST_200600_302600_NS4plusIvEElEEDaPvRmT3_T4_T5_mT6_P12ihipStream_tbENKUlT_T0_E_clISt17integral_constantIbLb1EESP_IbLb0EEEEDaSL_SM_EUlSL_E0_NS1_11comp_targetILNS1_3genE9ELNS1_11target_archE1100ELNS1_3gpuE3ELNS1_3repE0EEENS1_30default_config_static_selectorELNS0_4arch9wavefront6targetE0EEEvT1_.num_named_barrier, 0
	.set _ZN7rocprim17ROCPRIM_400000_NS6detail17trampoline_kernelINS0_14default_configENS1_20scan_config_selectorIlEEZZNS1_9scan_implILNS1_25lookback_scan_determinismE0ELb0ELb0ES3_PlS8_lN6thrust23THRUST_200600_302600_NS4plusIvEElEEDaPvRmT3_T4_T5_mT6_P12ihipStream_tbENKUlT_T0_E_clISt17integral_constantIbLb1EESP_IbLb0EEEEDaSL_SM_EUlSL_E0_NS1_11comp_targetILNS1_3genE9ELNS1_11target_archE1100ELNS1_3gpuE3ELNS1_3repE0EEENS1_30default_config_static_selectorELNS0_4arch9wavefront6targetE0EEEvT1_.private_seg_size, 0
	.set _ZN7rocprim17ROCPRIM_400000_NS6detail17trampoline_kernelINS0_14default_configENS1_20scan_config_selectorIlEEZZNS1_9scan_implILNS1_25lookback_scan_determinismE0ELb0ELb0ES3_PlS8_lN6thrust23THRUST_200600_302600_NS4plusIvEElEEDaPvRmT3_T4_T5_mT6_P12ihipStream_tbENKUlT_T0_E_clISt17integral_constantIbLb1EESP_IbLb0EEEEDaSL_SM_EUlSL_E0_NS1_11comp_targetILNS1_3genE9ELNS1_11target_archE1100ELNS1_3gpuE3ELNS1_3repE0EEENS1_30default_config_static_selectorELNS0_4arch9wavefront6targetE0EEEvT1_.uses_vcc, 0
	.set _ZN7rocprim17ROCPRIM_400000_NS6detail17trampoline_kernelINS0_14default_configENS1_20scan_config_selectorIlEEZZNS1_9scan_implILNS1_25lookback_scan_determinismE0ELb0ELb0ES3_PlS8_lN6thrust23THRUST_200600_302600_NS4plusIvEElEEDaPvRmT3_T4_T5_mT6_P12ihipStream_tbENKUlT_T0_E_clISt17integral_constantIbLb1EESP_IbLb0EEEEDaSL_SM_EUlSL_E0_NS1_11comp_targetILNS1_3genE9ELNS1_11target_archE1100ELNS1_3gpuE3ELNS1_3repE0EEENS1_30default_config_static_selectorELNS0_4arch9wavefront6targetE0EEEvT1_.uses_flat_scratch, 0
	.set _ZN7rocprim17ROCPRIM_400000_NS6detail17trampoline_kernelINS0_14default_configENS1_20scan_config_selectorIlEEZZNS1_9scan_implILNS1_25lookback_scan_determinismE0ELb0ELb0ES3_PlS8_lN6thrust23THRUST_200600_302600_NS4plusIvEElEEDaPvRmT3_T4_T5_mT6_P12ihipStream_tbENKUlT_T0_E_clISt17integral_constantIbLb1EESP_IbLb0EEEEDaSL_SM_EUlSL_E0_NS1_11comp_targetILNS1_3genE9ELNS1_11target_archE1100ELNS1_3gpuE3ELNS1_3repE0EEENS1_30default_config_static_selectorELNS0_4arch9wavefront6targetE0EEEvT1_.has_dyn_sized_stack, 0
	.set _ZN7rocprim17ROCPRIM_400000_NS6detail17trampoline_kernelINS0_14default_configENS1_20scan_config_selectorIlEEZZNS1_9scan_implILNS1_25lookback_scan_determinismE0ELb0ELb0ES3_PlS8_lN6thrust23THRUST_200600_302600_NS4plusIvEElEEDaPvRmT3_T4_T5_mT6_P12ihipStream_tbENKUlT_T0_E_clISt17integral_constantIbLb1EESP_IbLb0EEEEDaSL_SM_EUlSL_E0_NS1_11comp_targetILNS1_3genE9ELNS1_11target_archE1100ELNS1_3gpuE3ELNS1_3repE0EEENS1_30default_config_static_selectorELNS0_4arch9wavefront6targetE0EEEvT1_.has_recursion, 0
	.set _ZN7rocprim17ROCPRIM_400000_NS6detail17trampoline_kernelINS0_14default_configENS1_20scan_config_selectorIlEEZZNS1_9scan_implILNS1_25lookback_scan_determinismE0ELb0ELb0ES3_PlS8_lN6thrust23THRUST_200600_302600_NS4plusIvEElEEDaPvRmT3_T4_T5_mT6_P12ihipStream_tbENKUlT_T0_E_clISt17integral_constantIbLb1EESP_IbLb0EEEEDaSL_SM_EUlSL_E0_NS1_11comp_targetILNS1_3genE9ELNS1_11target_archE1100ELNS1_3gpuE3ELNS1_3repE0EEENS1_30default_config_static_selectorELNS0_4arch9wavefront6targetE0EEEvT1_.has_indirect_call, 0
	.section	.AMDGPU.csdata,"",@progbits
; Kernel info:
; codeLenInByte = 0
; TotalNumSgprs: 0
; NumVgprs: 0
; ScratchSize: 0
; MemoryBound: 0
; FloatMode: 240
; IeeeMode: 1
; LDSByteSize: 0 bytes/workgroup (compile time only)
; SGPRBlocks: 0
; VGPRBlocks: 0
; NumSGPRsForWavesPerEU: 1
; NumVGPRsForWavesPerEU: 1
; NamedBarCnt: 0
; Occupancy: 16
; WaveLimiterHint : 0
; COMPUTE_PGM_RSRC2:SCRATCH_EN: 0
; COMPUTE_PGM_RSRC2:USER_SGPR: 2
; COMPUTE_PGM_RSRC2:TRAP_HANDLER: 0
; COMPUTE_PGM_RSRC2:TGID_X_EN: 1
; COMPUTE_PGM_RSRC2:TGID_Y_EN: 0
; COMPUTE_PGM_RSRC2:TGID_Z_EN: 0
; COMPUTE_PGM_RSRC2:TIDIG_COMP_CNT: 0
	.section	.text._ZN7rocprim17ROCPRIM_400000_NS6detail17trampoline_kernelINS0_14default_configENS1_20scan_config_selectorIlEEZZNS1_9scan_implILNS1_25lookback_scan_determinismE0ELb0ELb0ES3_PlS8_lN6thrust23THRUST_200600_302600_NS4plusIvEElEEDaPvRmT3_T4_T5_mT6_P12ihipStream_tbENKUlT_T0_E_clISt17integral_constantIbLb1EESP_IbLb0EEEEDaSL_SM_EUlSL_E0_NS1_11comp_targetILNS1_3genE8ELNS1_11target_archE1030ELNS1_3gpuE2ELNS1_3repE0EEENS1_30default_config_static_selectorELNS0_4arch9wavefront6targetE0EEEvT1_,"axG",@progbits,_ZN7rocprim17ROCPRIM_400000_NS6detail17trampoline_kernelINS0_14default_configENS1_20scan_config_selectorIlEEZZNS1_9scan_implILNS1_25lookback_scan_determinismE0ELb0ELb0ES3_PlS8_lN6thrust23THRUST_200600_302600_NS4plusIvEElEEDaPvRmT3_T4_T5_mT6_P12ihipStream_tbENKUlT_T0_E_clISt17integral_constantIbLb1EESP_IbLb0EEEEDaSL_SM_EUlSL_E0_NS1_11comp_targetILNS1_3genE8ELNS1_11target_archE1030ELNS1_3gpuE2ELNS1_3repE0EEENS1_30default_config_static_selectorELNS0_4arch9wavefront6targetE0EEEvT1_,comdat
	.protected	_ZN7rocprim17ROCPRIM_400000_NS6detail17trampoline_kernelINS0_14default_configENS1_20scan_config_selectorIlEEZZNS1_9scan_implILNS1_25lookback_scan_determinismE0ELb0ELb0ES3_PlS8_lN6thrust23THRUST_200600_302600_NS4plusIvEElEEDaPvRmT3_T4_T5_mT6_P12ihipStream_tbENKUlT_T0_E_clISt17integral_constantIbLb1EESP_IbLb0EEEEDaSL_SM_EUlSL_E0_NS1_11comp_targetILNS1_3genE8ELNS1_11target_archE1030ELNS1_3gpuE2ELNS1_3repE0EEENS1_30default_config_static_selectorELNS0_4arch9wavefront6targetE0EEEvT1_ ; -- Begin function _ZN7rocprim17ROCPRIM_400000_NS6detail17trampoline_kernelINS0_14default_configENS1_20scan_config_selectorIlEEZZNS1_9scan_implILNS1_25lookback_scan_determinismE0ELb0ELb0ES3_PlS8_lN6thrust23THRUST_200600_302600_NS4plusIvEElEEDaPvRmT3_T4_T5_mT6_P12ihipStream_tbENKUlT_T0_E_clISt17integral_constantIbLb1EESP_IbLb0EEEEDaSL_SM_EUlSL_E0_NS1_11comp_targetILNS1_3genE8ELNS1_11target_archE1030ELNS1_3gpuE2ELNS1_3repE0EEENS1_30default_config_static_selectorELNS0_4arch9wavefront6targetE0EEEvT1_
	.globl	_ZN7rocprim17ROCPRIM_400000_NS6detail17trampoline_kernelINS0_14default_configENS1_20scan_config_selectorIlEEZZNS1_9scan_implILNS1_25lookback_scan_determinismE0ELb0ELb0ES3_PlS8_lN6thrust23THRUST_200600_302600_NS4plusIvEElEEDaPvRmT3_T4_T5_mT6_P12ihipStream_tbENKUlT_T0_E_clISt17integral_constantIbLb1EESP_IbLb0EEEEDaSL_SM_EUlSL_E0_NS1_11comp_targetILNS1_3genE8ELNS1_11target_archE1030ELNS1_3gpuE2ELNS1_3repE0EEENS1_30default_config_static_selectorELNS0_4arch9wavefront6targetE0EEEvT1_
	.p2align	8
	.type	_ZN7rocprim17ROCPRIM_400000_NS6detail17trampoline_kernelINS0_14default_configENS1_20scan_config_selectorIlEEZZNS1_9scan_implILNS1_25lookback_scan_determinismE0ELb0ELb0ES3_PlS8_lN6thrust23THRUST_200600_302600_NS4plusIvEElEEDaPvRmT3_T4_T5_mT6_P12ihipStream_tbENKUlT_T0_E_clISt17integral_constantIbLb1EESP_IbLb0EEEEDaSL_SM_EUlSL_E0_NS1_11comp_targetILNS1_3genE8ELNS1_11target_archE1030ELNS1_3gpuE2ELNS1_3repE0EEENS1_30default_config_static_selectorELNS0_4arch9wavefront6targetE0EEEvT1_,@function
_ZN7rocprim17ROCPRIM_400000_NS6detail17trampoline_kernelINS0_14default_configENS1_20scan_config_selectorIlEEZZNS1_9scan_implILNS1_25lookback_scan_determinismE0ELb0ELb0ES3_PlS8_lN6thrust23THRUST_200600_302600_NS4plusIvEElEEDaPvRmT3_T4_T5_mT6_P12ihipStream_tbENKUlT_T0_E_clISt17integral_constantIbLb1EESP_IbLb0EEEEDaSL_SM_EUlSL_E0_NS1_11comp_targetILNS1_3genE8ELNS1_11target_archE1030ELNS1_3gpuE2ELNS1_3repE0EEENS1_30default_config_static_selectorELNS0_4arch9wavefront6targetE0EEEvT1_: ; @_ZN7rocprim17ROCPRIM_400000_NS6detail17trampoline_kernelINS0_14default_configENS1_20scan_config_selectorIlEEZZNS1_9scan_implILNS1_25lookback_scan_determinismE0ELb0ELb0ES3_PlS8_lN6thrust23THRUST_200600_302600_NS4plusIvEElEEDaPvRmT3_T4_T5_mT6_P12ihipStream_tbENKUlT_T0_E_clISt17integral_constantIbLb1EESP_IbLb0EEEEDaSL_SM_EUlSL_E0_NS1_11comp_targetILNS1_3genE8ELNS1_11target_archE1030ELNS1_3gpuE2ELNS1_3repE0EEENS1_30default_config_static_selectorELNS0_4arch9wavefront6targetE0EEEvT1_
; %bb.0:
	.section	.rodata,"a",@progbits
	.p2align	6, 0x0
	.amdhsa_kernel _ZN7rocprim17ROCPRIM_400000_NS6detail17trampoline_kernelINS0_14default_configENS1_20scan_config_selectorIlEEZZNS1_9scan_implILNS1_25lookback_scan_determinismE0ELb0ELb0ES3_PlS8_lN6thrust23THRUST_200600_302600_NS4plusIvEElEEDaPvRmT3_T4_T5_mT6_P12ihipStream_tbENKUlT_T0_E_clISt17integral_constantIbLb1EESP_IbLb0EEEEDaSL_SM_EUlSL_E0_NS1_11comp_targetILNS1_3genE8ELNS1_11target_archE1030ELNS1_3gpuE2ELNS1_3repE0EEENS1_30default_config_static_selectorELNS0_4arch9wavefront6targetE0EEEvT1_
		.amdhsa_group_segment_fixed_size 0
		.amdhsa_private_segment_fixed_size 0
		.amdhsa_kernarg_size 40
		.amdhsa_user_sgpr_count 2
		.amdhsa_user_sgpr_dispatch_ptr 0
		.amdhsa_user_sgpr_queue_ptr 0
		.amdhsa_user_sgpr_kernarg_segment_ptr 1
		.amdhsa_user_sgpr_dispatch_id 0
		.amdhsa_user_sgpr_kernarg_preload_length 0
		.amdhsa_user_sgpr_kernarg_preload_offset 0
		.amdhsa_user_sgpr_private_segment_size 0
		.amdhsa_wavefront_size32 1
		.amdhsa_uses_dynamic_stack 0
		.amdhsa_enable_private_segment 0
		.amdhsa_system_sgpr_workgroup_id_x 1
		.amdhsa_system_sgpr_workgroup_id_y 0
		.amdhsa_system_sgpr_workgroup_id_z 0
		.amdhsa_system_sgpr_workgroup_info 0
		.amdhsa_system_vgpr_workitem_id 0
		.amdhsa_next_free_vgpr 1
		.amdhsa_next_free_sgpr 1
		.amdhsa_named_barrier_count 0
		.amdhsa_reserve_vcc 0
		.amdhsa_float_round_mode_32 0
		.amdhsa_float_round_mode_16_64 0
		.amdhsa_float_denorm_mode_32 3
		.amdhsa_float_denorm_mode_16_64 3
		.amdhsa_fp16_overflow 0
		.amdhsa_memory_ordered 1
		.amdhsa_forward_progress 1
		.amdhsa_inst_pref_size 0
		.amdhsa_round_robin_scheduling 0
		.amdhsa_exception_fp_ieee_invalid_op 0
		.amdhsa_exception_fp_denorm_src 0
		.amdhsa_exception_fp_ieee_div_zero 0
		.amdhsa_exception_fp_ieee_overflow 0
		.amdhsa_exception_fp_ieee_underflow 0
		.amdhsa_exception_fp_ieee_inexact 0
		.amdhsa_exception_int_div_zero 0
	.end_amdhsa_kernel
	.section	.text._ZN7rocprim17ROCPRIM_400000_NS6detail17trampoline_kernelINS0_14default_configENS1_20scan_config_selectorIlEEZZNS1_9scan_implILNS1_25lookback_scan_determinismE0ELb0ELb0ES3_PlS8_lN6thrust23THRUST_200600_302600_NS4plusIvEElEEDaPvRmT3_T4_T5_mT6_P12ihipStream_tbENKUlT_T0_E_clISt17integral_constantIbLb1EESP_IbLb0EEEEDaSL_SM_EUlSL_E0_NS1_11comp_targetILNS1_3genE8ELNS1_11target_archE1030ELNS1_3gpuE2ELNS1_3repE0EEENS1_30default_config_static_selectorELNS0_4arch9wavefront6targetE0EEEvT1_,"axG",@progbits,_ZN7rocprim17ROCPRIM_400000_NS6detail17trampoline_kernelINS0_14default_configENS1_20scan_config_selectorIlEEZZNS1_9scan_implILNS1_25lookback_scan_determinismE0ELb0ELb0ES3_PlS8_lN6thrust23THRUST_200600_302600_NS4plusIvEElEEDaPvRmT3_T4_T5_mT6_P12ihipStream_tbENKUlT_T0_E_clISt17integral_constantIbLb1EESP_IbLb0EEEEDaSL_SM_EUlSL_E0_NS1_11comp_targetILNS1_3genE8ELNS1_11target_archE1030ELNS1_3gpuE2ELNS1_3repE0EEENS1_30default_config_static_selectorELNS0_4arch9wavefront6targetE0EEEvT1_,comdat
.Lfunc_end139:
	.size	_ZN7rocprim17ROCPRIM_400000_NS6detail17trampoline_kernelINS0_14default_configENS1_20scan_config_selectorIlEEZZNS1_9scan_implILNS1_25lookback_scan_determinismE0ELb0ELb0ES3_PlS8_lN6thrust23THRUST_200600_302600_NS4plusIvEElEEDaPvRmT3_T4_T5_mT6_P12ihipStream_tbENKUlT_T0_E_clISt17integral_constantIbLb1EESP_IbLb0EEEEDaSL_SM_EUlSL_E0_NS1_11comp_targetILNS1_3genE8ELNS1_11target_archE1030ELNS1_3gpuE2ELNS1_3repE0EEENS1_30default_config_static_selectorELNS0_4arch9wavefront6targetE0EEEvT1_, .Lfunc_end139-_ZN7rocprim17ROCPRIM_400000_NS6detail17trampoline_kernelINS0_14default_configENS1_20scan_config_selectorIlEEZZNS1_9scan_implILNS1_25lookback_scan_determinismE0ELb0ELb0ES3_PlS8_lN6thrust23THRUST_200600_302600_NS4plusIvEElEEDaPvRmT3_T4_T5_mT6_P12ihipStream_tbENKUlT_T0_E_clISt17integral_constantIbLb1EESP_IbLb0EEEEDaSL_SM_EUlSL_E0_NS1_11comp_targetILNS1_3genE8ELNS1_11target_archE1030ELNS1_3gpuE2ELNS1_3repE0EEENS1_30default_config_static_selectorELNS0_4arch9wavefront6targetE0EEEvT1_
                                        ; -- End function
	.set _ZN7rocprim17ROCPRIM_400000_NS6detail17trampoline_kernelINS0_14default_configENS1_20scan_config_selectorIlEEZZNS1_9scan_implILNS1_25lookback_scan_determinismE0ELb0ELb0ES3_PlS8_lN6thrust23THRUST_200600_302600_NS4plusIvEElEEDaPvRmT3_T4_T5_mT6_P12ihipStream_tbENKUlT_T0_E_clISt17integral_constantIbLb1EESP_IbLb0EEEEDaSL_SM_EUlSL_E0_NS1_11comp_targetILNS1_3genE8ELNS1_11target_archE1030ELNS1_3gpuE2ELNS1_3repE0EEENS1_30default_config_static_selectorELNS0_4arch9wavefront6targetE0EEEvT1_.num_vgpr, 0
	.set _ZN7rocprim17ROCPRIM_400000_NS6detail17trampoline_kernelINS0_14default_configENS1_20scan_config_selectorIlEEZZNS1_9scan_implILNS1_25lookback_scan_determinismE0ELb0ELb0ES3_PlS8_lN6thrust23THRUST_200600_302600_NS4plusIvEElEEDaPvRmT3_T4_T5_mT6_P12ihipStream_tbENKUlT_T0_E_clISt17integral_constantIbLb1EESP_IbLb0EEEEDaSL_SM_EUlSL_E0_NS1_11comp_targetILNS1_3genE8ELNS1_11target_archE1030ELNS1_3gpuE2ELNS1_3repE0EEENS1_30default_config_static_selectorELNS0_4arch9wavefront6targetE0EEEvT1_.num_agpr, 0
	.set _ZN7rocprim17ROCPRIM_400000_NS6detail17trampoline_kernelINS0_14default_configENS1_20scan_config_selectorIlEEZZNS1_9scan_implILNS1_25lookback_scan_determinismE0ELb0ELb0ES3_PlS8_lN6thrust23THRUST_200600_302600_NS4plusIvEElEEDaPvRmT3_T4_T5_mT6_P12ihipStream_tbENKUlT_T0_E_clISt17integral_constantIbLb1EESP_IbLb0EEEEDaSL_SM_EUlSL_E0_NS1_11comp_targetILNS1_3genE8ELNS1_11target_archE1030ELNS1_3gpuE2ELNS1_3repE0EEENS1_30default_config_static_selectorELNS0_4arch9wavefront6targetE0EEEvT1_.numbered_sgpr, 0
	.set _ZN7rocprim17ROCPRIM_400000_NS6detail17trampoline_kernelINS0_14default_configENS1_20scan_config_selectorIlEEZZNS1_9scan_implILNS1_25lookback_scan_determinismE0ELb0ELb0ES3_PlS8_lN6thrust23THRUST_200600_302600_NS4plusIvEElEEDaPvRmT3_T4_T5_mT6_P12ihipStream_tbENKUlT_T0_E_clISt17integral_constantIbLb1EESP_IbLb0EEEEDaSL_SM_EUlSL_E0_NS1_11comp_targetILNS1_3genE8ELNS1_11target_archE1030ELNS1_3gpuE2ELNS1_3repE0EEENS1_30default_config_static_selectorELNS0_4arch9wavefront6targetE0EEEvT1_.num_named_barrier, 0
	.set _ZN7rocprim17ROCPRIM_400000_NS6detail17trampoline_kernelINS0_14default_configENS1_20scan_config_selectorIlEEZZNS1_9scan_implILNS1_25lookback_scan_determinismE0ELb0ELb0ES3_PlS8_lN6thrust23THRUST_200600_302600_NS4plusIvEElEEDaPvRmT3_T4_T5_mT6_P12ihipStream_tbENKUlT_T0_E_clISt17integral_constantIbLb1EESP_IbLb0EEEEDaSL_SM_EUlSL_E0_NS1_11comp_targetILNS1_3genE8ELNS1_11target_archE1030ELNS1_3gpuE2ELNS1_3repE0EEENS1_30default_config_static_selectorELNS0_4arch9wavefront6targetE0EEEvT1_.private_seg_size, 0
	.set _ZN7rocprim17ROCPRIM_400000_NS6detail17trampoline_kernelINS0_14default_configENS1_20scan_config_selectorIlEEZZNS1_9scan_implILNS1_25lookback_scan_determinismE0ELb0ELb0ES3_PlS8_lN6thrust23THRUST_200600_302600_NS4plusIvEElEEDaPvRmT3_T4_T5_mT6_P12ihipStream_tbENKUlT_T0_E_clISt17integral_constantIbLb1EESP_IbLb0EEEEDaSL_SM_EUlSL_E0_NS1_11comp_targetILNS1_3genE8ELNS1_11target_archE1030ELNS1_3gpuE2ELNS1_3repE0EEENS1_30default_config_static_selectorELNS0_4arch9wavefront6targetE0EEEvT1_.uses_vcc, 0
	.set _ZN7rocprim17ROCPRIM_400000_NS6detail17trampoline_kernelINS0_14default_configENS1_20scan_config_selectorIlEEZZNS1_9scan_implILNS1_25lookback_scan_determinismE0ELb0ELb0ES3_PlS8_lN6thrust23THRUST_200600_302600_NS4plusIvEElEEDaPvRmT3_T4_T5_mT6_P12ihipStream_tbENKUlT_T0_E_clISt17integral_constantIbLb1EESP_IbLb0EEEEDaSL_SM_EUlSL_E0_NS1_11comp_targetILNS1_3genE8ELNS1_11target_archE1030ELNS1_3gpuE2ELNS1_3repE0EEENS1_30default_config_static_selectorELNS0_4arch9wavefront6targetE0EEEvT1_.uses_flat_scratch, 0
	.set _ZN7rocprim17ROCPRIM_400000_NS6detail17trampoline_kernelINS0_14default_configENS1_20scan_config_selectorIlEEZZNS1_9scan_implILNS1_25lookback_scan_determinismE0ELb0ELb0ES3_PlS8_lN6thrust23THRUST_200600_302600_NS4plusIvEElEEDaPvRmT3_T4_T5_mT6_P12ihipStream_tbENKUlT_T0_E_clISt17integral_constantIbLb1EESP_IbLb0EEEEDaSL_SM_EUlSL_E0_NS1_11comp_targetILNS1_3genE8ELNS1_11target_archE1030ELNS1_3gpuE2ELNS1_3repE0EEENS1_30default_config_static_selectorELNS0_4arch9wavefront6targetE0EEEvT1_.has_dyn_sized_stack, 0
	.set _ZN7rocprim17ROCPRIM_400000_NS6detail17trampoline_kernelINS0_14default_configENS1_20scan_config_selectorIlEEZZNS1_9scan_implILNS1_25lookback_scan_determinismE0ELb0ELb0ES3_PlS8_lN6thrust23THRUST_200600_302600_NS4plusIvEElEEDaPvRmT3_T4_T5_mT6_P12ihipStream_tbENKUlT_T0_E_clISt17integral_constantIbLb1EESP_IbLb0EEEEDaSL_SM_EUlSL_E0_NS1_11comp_targetILNS1_3genE8ELNS1_11target_archE1030ELNS1_3gpuE2ELNS1_3repE0EEENS1_30default_config_static_selectorELNS0_4arch9wavefront6targetE0EEEvT1_.has_recursion, 0
	.set _ZN7rocprim17ROCPRIM_400000_NS6detail17trampoline_kernelINS0_14default_configENS1_20scan_config_selectorIlEEZZNS1_9scan_implILNS1_25lookback_scan_determinismE0ELb0ELb0ES3_PlS8_lN6thrust23THRUST_200600_302600_NS4plusIvEElEEDaPvRmT3_T4_T5_mT6_P12ihipStream_tbENKUlT_T0_E_clISt17integral_constantIbLb1EESP_IbLb0EEEEDaSL_SM_EUlSL_E0_NS1_11comp_targetILNS1_3genE8ELNS1_11target_archE1030ELNS1_3gpuE2ELNS1_3repE0EEENS1_30default_config_static_selectorELNS0_4arch9wavefront6targetE0EEEvT1_.has_indirect_call, 0
	.section	.AMDGPU.csdata,"",@progbits
; Kernel info:
; codeLenInByte = 0
; TotalNumSgprs: 0
; NumVgprs: 0
; ScratchSize: 0
; MemoryBound: 0
; FloatMode: 240
; IeeeMode: 1
; LDSByteSize: 0 bytes/workgroup (compile time only)
; SGPRBlocks: 0
; VGPRBlocks: 0
; NumSGPRsForWavesPerEU: 1
; NumVGPRsForWavesPerEU: 1
; NamedBarCnt: 0
; Occupancy: 16
; WaveLimiterHint : 0
; COMPUTE_PGM_RSRC2:SCRATCH_EN: 0
; COMPUTE_PGM_RSRC2:USER_SGPR: 2
; COMPUTE_PGM_RSRC2:TRAP_HANDLER: 0
; COMPUTE_PGM_RSRC2:TGID_X_EN: 1
; COMPUTE_PGM_RSRC2:TGID_Y_EN: 0
; COMPUTE_PGM_RSRC2:TGID_Z_EN: 0
; COMPUTE_PGM_RSRC2:TIDIG_COMP_CNT: 0
	.section	.text._ZN7rocprim17ROCPRIM_400000_NS6detail31init_lookback_scan_state_kernelINS1_19lookback_scan_stateIlLb0ELb1EEENS1_16block_id_wrapperIjLb1EEEEEvT_jT0_jPNS7_10value_typeE,"axG",@progbits,_ZN7rocprim17ROCPRIM_400000_NS6detail31init_lookback_scan_state_kernelINS1_19lookback_scan_stateIlLb0ELb1EEENS1_16block_id_wrapperIjLb1EEEEEvT_jT0_jPNS7_10value_typeE,comdat
	.protected	_ZN7rocprim17ROCPRIM_400000_NS6detail31init_lookback_scan_state_kernelINS1_19lookback_scan_stateIlLb0ELb1EEENS1_16block_id_wrapperIjLb1EEEEEvT_jT0_jPNS7_10value_typeE ; -- Begin function _ZN7rocprim17ROCPRIM_400000_NS6detail31init_lookback_scan_state_kernelINS1_19lookback_scan_stateIlLb0ELb1EEENS1_16block_id_wrapperIjLb1EEEEEvT_jT0_jPNS7_10value_typeE
	.globl	_ZN7rocprim17ROCPRIM_400000_NS6detail31init_lookback_scan_state_kernelINS1_19lookback_scan_stateIlLb0ELb1EEENS1_16block_id_wrapperIjLb1EEEEEvT_jT0_jPNS7_10value_typeE
	.p2align	8
	.type	_ZN7rocprim17ROCPRIM_400000_NS6detail31init_lookback_scan_state_kernelINS1_19lookback_scan_stateIlLb0ELb1EEENS1_16block_id_wrapperIjLb1EEEEEvT_jT0_jPNS7_10value_typeE,@function
_ZN7rocprim17ROCPRIM_400000_NS6detail31init_lookback_scan_state_kernelINS1_19lookback_scan_stateIlLb0ELb1EEENS1_16block_id_wrapperIjLb1EEEEEvT_jT0_jPNS7_10value_typeE: ; @_ZN7rocprim17ROCPRIM_400000_NS6detail31init_lookback_scan_state_kernelINS1_19lookback_scan_stateIlLb0ELb1EEENS1_16block_id_wrapperIjLb1EEEEEvT_jT0_jPNS7_10value_typeE
; %bb.0:
	s_clause 0x2
	s_load_b32 s7, s[0:1], 0x34
	s_load_b96 s[4:6], s[0:1], 0x0
	s_load_b64 s[2:3], s[0:1], 0x20
	s_bfe_u32 s8, ttmp6, 0x4000c
	s_and_b32 s9, ttmp6, 15
	s_add_co_i32 s8, s8, 1
	s_getreg_b32 s10, hwreg(HW_REG_IB_STS2, 6, 4)
	s_mul_i32 s8, ttmp9, s8
	s_delay_alu instid0(SALU_CYCLE_1)
	s_add_co_i32 s9, s9, s8
	s_wait_kmcnt 0x0
	s_and_b32 s7, s7, 0xffff
	s_cmp_eq_u32 s10, 0
	s_cselect_b32 s8, ttmp9, s9
	s_cmp_eq_u64 s[2:3], 0
	v_mad_u32 v8, s8, s7, v0
	s_cbranch_scc1 .LBB140_8
; %bb.1:
	s_load_b32 s8, s[0:1], 0x18
	s_wait_kmcnt 0x0
	s_cmp_lt_u32 s8, s6
	s_cselect_b32 s7, s8, 0
	s_delay_alu instid0(VALU_DEP_1) | instid1(SALU_CYCLE_1)
	v_cmp_eq_u32_e32 vcc_lo, s7, v8
	s_and_saveexec_b32 s7, vcc_lo
	s_cbranch_execz .LBB140_7
; %bb.2:
	s_add_co_i32 s8, s8, 32
	s_mov_b32 s9, 0
	v_mov_b32_e32 v5, 0
	s_lshl_b64 s[10:11], s[8:9], 4
	s_mov_b32 s8, exec_lo
	s_add_nc_u64 s[10:11], s[4:5], s[10:11]
	s_delay_alu instid0(SALU_CYCLE_1) | instskip(SKIP_2) | instid1(VALU_DEP_1)
	v_mov_b64_e32 v[0:1], s[10:11]
	;;#ASMSTART
	global_load_b128 v[0:3], v[0:1] off scope:SCOPE_DEV	
s_wait_loadcnt 0x0
	;;#ASMEND
	v_and_b32_e32 v4, 0xff, v2
	v_cmpx_eq_u64_e32 0, v[4:5]
	s_cbranch_execz .LBB140_6
; %bb.3:
	v_mov_b64_e32 v[6:7], s[10:11]
.LBB140_4:                              ; =>This Inner Loop Header: Depth=1
	;;#ASMSTART
	global_load_b128 v[0:3], v[6:7] off scope:SCOPE_DEV	
s_wait_loadcnt 0x0
	;;#ASMEND
	v_and_b32_e32 v4, 0xff, v2
	s_delay_alu instid0(VALU_DEP_1) | instskip(SKIP_1) | instid1(SALU_CYCLE_1)
	v_cmp_ne_u64_e32 vcc_lo, 0, v[4:5]
	s_or_b32 s9, vcc_lo, s9
	s_and_not1_b32 exec_lo, exec_lo, s9
	s_cbranch_execnz .LBB140_4
; %bb.5:
	s_or_b32 exec_lo, exec_lo, s9
.LBB140_6:
	s_delay_alu instid0(SALU_CYCLE_1)
	s_or_b32 exec_lo, exec_lo, s8
	v_mov_b32_e32 v2, 0
	global_store_b64 v2, v[0:1], s[2:3]
.LBB140_7:
	s_wait_xcnt 0x0
	s_or_b32 exec_lo, exec_lo, s7
.LBB140_8:
	s_delay_alu instid0(SALU_CYCLE_1) | instskip(NEXT) | instid1(VALU_DEP_1)
	s_mov_b32 s2, exec_lo
	v_cmpx_eq_u32_e32 0, v8
	s_cbranch_execz .LBB140_10
; %bb.9:
	s_load_b64 s[0:1], s[0:1], 0x10
	v_mov_b32_e32 v0, 0
	s_wait_kmcnt 0x0
	global_store_b32 v0, v0, s[0:1]
.LBB140_10:
	s_wait_xcnt 0x0
	s_or_b32 exec_lo, exec_lo, s2
	s_delay_alu instid0(SALU_CYCLE_1)
	s_mov_b32 s0, exec_lo
	v_cmpx_gt_u32_e64 s6, v8
	s_cbranch_execz .LBB140_12
; %bb.11:
	v_dual_mov_b32 v0, 0 :: v_dual_add_nc_u32 v4, 32, v8
	s_delay_alu instid0(VALU_DEP_1)
	v_dual_mov_b32 v1, v0 :: v_dual_mov_b32 v2, v0
	v_mov_b32_e32 v3, v0
	global_store_b128 v4, v[0:3], s[4:5] scale_offset
.LBB140_12:
	s_wait_xcnt 0x0
	s_or_b32 exec_lo, exec_lo, s0
	s_delay_alu instid0(SALU_CYCLE_1)
	s_mov_b32 s0, exec_lo
	v_cmpx_gt_u32_e32 32, v8
	s_cbranch_execz .LBB140_14
; %bb.13:
	v_mov_b32_e32 v0, 0
	s_delay_alu instid0(VALU_DEP_1)
	v_dual_mov_b32 v2, 0xff :: v_dual_mov_b32 v1, v0
	v_mov_b32_e32 v3, v0
	global_store_b128 v8, v[0:3], s[4:5] scale_offset
.LBB140_14:
	s_endpgm
	.section	.rodata,"a",@progbits
	.p2align	6, 0x0
	.amdhsa_kernel _ZN7rocprim17ROCPRIM_400000_NS6detail31init_lookback_scan_state_kernelINS1_19lookback_scan_stateIlLb0ELb1EEENS1_16block_id_wrapperIjLb1EEEEEvT_jT0_jPNS7_10value_typeE
		.amdhsa_group_segment_fixed_size 0
		.amdhsa_private_segment_fixed_size 0
		.amdhsa_kernarg_size 296
		.amdhsa_user_sgpr_count 2
		.amdhsa_user_sgpr_dispatch_ptr 0
		.amdhsa_user_sgpr_queue_ptr 0
		.amdhsa_user_sgpr_kernarg_segment_ptr 1
		.amdhsa_user_sgpr_dispatch_id 0
		.amdhsa_user_sgpr_kernarg_preload_length 0
		.amdhsa_user_sgpr_kernarg_preload_offset 0
		.amdhsa_user_sgpr_private_segment_size 0
		.amdhsa_wavefront_size32 1
		.amdhsa_uses_dynamic_stack 0
		.amdhsa_enable_private_segment 0
		.amdhsa_system_sgpr_workgroup_id_x 1
		.amdhsa_system_sgpr_workgroup_id_y 0
		.amdhsa_system_sgpr_workgroup_id_z 0
		.amdhsa_system_sgpr_workgroup_info 0
		.amdhsa_system_vgpr_workitem_id 0
		.amdhsa_next_free_vgpr 9
		.amdhsa_next_free_sgpr 12
		.amdhsa_named_barrier_count 0
		.amdhsa_reserve_vcc 1
		.amdhsa_float_round_mode_32 0
		.amdhsa_float_round_mode_16_64 0
		.amdhsa_float_denorm_mode_32 3
		.amdhsa_float_denorm_mode_16_64 3
		.amdhsa_fp16_overflow 0
		.amdhsa_memory_ordered 1
		.amdhsa_forward_progress 1
		.amdhsa_inst_pref_size 4
		.amdhsa_round_robin_scheduling 0
		.amdhsa_exception_fp_ieee_invalid_op 0
		.amdhsa_exception_fp_denorm_src 0
		.amdhsa_exception_fp_ieee_div_zero 0
		.amdhsa_exception_fp_ieee_overflow 0
		.amdhsa_exception_fp_ieee_underflow 0
		.amdhsa_exception_fp_ieee_inexact 0
		.amdhsa_exception_int_div_zero 0
	.end_amdhsa_kernel
	.section	.text._ZN7rocprim17ROCPRIM_400000_NS6detail31init_lookback_scan_state_kernelINS1_19lookback_scan_stateIlLb0ELb1EEENS1_16block_id_wrapperIjLb1EEEEEvT_jT0_jPNS7_10value_typeE,"axG",@progbits,_ZN7rocprim17ROCPRIM_400000_NS6detail31init_lookback_scan_state_kernelINS1_19lookback_scan_stateIlLb0ELb1EEENS1_16block_id_wrapperIjLb1EEEEEvT_jT0_jPNS7_10value_typeE,comdat
.Lfunc_end140:
	.size	_ZN7rocprim17ROCPRIM_400000_NS6detail31init_lookback_scan_state_kernelINS1_19lookback_scan_stateIlLb0ELb1EEENS1_16block_id_wrapperIjLb1EEEEEvT_jT0_jPNS7_10value_typeE, .Lfunc_end140-_ZN7rocprim17ROCPRIM_400000_NS6detail31init_lookback_scan_state_kernelINS1_19lookback_scan_stateIlLb0ELb1EEENS1_16block_id_wrapperIjLb1EEEEEvT_jT0_jPNS7_10value_typeE
                                        ; -- End function
	.set _ZN7rocprim17ROCPRIM_400000_NS6detail31init_lookback_scan_state_kernelINS1_19lookback_scan_stateIlLb0ELb1EEENS1_16block_id_wrapperIjLb1EEEEEvT_jT0_jPNS7_10value_typeE.num_vgpr, 9
	.set _ZN7rocprim17ROCPRIM_400000_NS6detail31init_lookback_scan_state_kernelINS1_19lookback_scan_stateIlLb0ELb1EEENS1_16block_id_wrapperIjLb1EEEEEvT_jT0_jPNS7_10value_typeE.num_agpr, 0
	.set _ZN7rocprim17ROCPRIM_400000_NS6detail31init_lookback_scan_state_kernelINS1_19lookback_scan_stateIlLb0ELb1EEENS1_16block_id_wrapperIjLb1EEEEEvT_jT0_jPNS7_10value_typeE.numbered_sgpr, 12
	.set _ZN7rocprim17ROCPRIM_400000_NS6detail31init_lookback_scan_state_kernelINS1_19lookback_scan_stateIlLb0ELb1EEENS1_16block_id_wrapperIjLb1EEEEEvT_jT0_jPNS7_10value_typeE.num_named_barrier, 0
	.set _ZN7rocprim17ROCPRIM_400000_NS6detail31init_lookback_scan_state_kernelINS1_19lookback_scan_stateIlLb0ELb1EEENS1_16block_id_wrapperIjLb1EEEEEvT_jT0_jPNS7_10value_typeE.private_seg_size, 0
	.set _ZN7rocprim17ROCPRIM_400000_NS6detail31init_lookback_scan_state_kernelINS1_19lookback_scan_stateIlLb0ELb1EEENS1_16block_id_wrapperIjLb1EEEEEvT_jT0_jPNS7_10value_typeE.uses_vcc, 1
	.set _ZN7rocprim17ROCPRIM_400000_NS6detail31init_lookback_scan_state_kernelINS1_19lookback_scan_stateIlLb0ELb1EEENS1_16block_id_wrapperIjLb1EEEEEvT_jT0_jPNS7_10value_typeE.uses_flat_scratch, 0
	.set _ZN7rocprim17ROCPRIM_400000_NS6detail31init_lookback_scan_state_kernelINS1_19lookback_scan_stateIlLb0ELb1EEENS1_16block_id_wrapperIjLb1EEEEEvT_jT0_jPNS7_10value_typeE.has_dyn_sized_stack, 0
	.set _ZN7rocprim17ROCPRIM_400000_NS6detail31init_lookback_scan_state_kernelINS1_19lookback_scan_stateIlLb0ELb1EEENS1_16block_id_wrapperIjLb1EEEEEvT_jT0_jPNS7_10value_typeE.has_recursion, 0
	.set _ZN7rocprim17ROCPRIM_400000_NS6detail31init_lookback_scan_state_kernelINS1_19lookback_scan_stateIlLb0ELb1EEENS1_16block_id_wrapperIjLb1EEEEEvT_jT0_jPNS7_10value_typeE.has_indirect_call, 0
	.section	.AMDGPU.csdata,"",@progbits
; Kernel info:
; codeLenInByte = 424
; TotalNumSgprs: 14
; NumVgprs: 9
; ScratchSize: 0
; MemoryBound: 0
; FloatMode: 240
; IeeeMode: 1
; LDSByteSize: 0 bytes/workgroup (compile time only)
; SGPRBlocks: 0
; VGPRBlocks: 0
; NumSGPRsForWavesPerEU: 14
; NumVGPRsForWavesPerEU: 9
; NamedBarCnt: 0
; Occupancy: 16
; WaveLimiterHint : 0
; COMPUTE_PGM_RSRC2:SCRATCH_EN: 0
; COMPUTE_PGM_RSRC2:USER_SGPR: 2
; COMPUTE_PGM_RSRC2:TRAP_HANDLER: 0
; COMPUTE_PGM_RSRC2:TGID_X_EN: 1
; COMPUTE_PGM_RSRC2:TGID_Y_EN: 0
; COMPUTE_PGM_RSRC2:TGID_Z_EN: 0
; COMPUTE_PGM_RSRC2:TIDIG_COMP_CNT: 0
	.section	.text._ZN7rocprim17ROCPRIM_400000_NS6detail17trampoline_kernelINS0_14default_configENS1_20scan_config_selectorIlEEZZNS1_9scan_implILNS1_25lookback_scan_determinismE0ELb0ELb0ES3_PlS8_lN6thrust23THRUST_200600_302600_NS4plusIvEElEEDaPvRmT3_T4_T5_mT6_P12ihipStream_tbENKUlT_T0_E_clISt17integral_constantIbLb0EESP_IbLb1EEEEDaSL_SM_EUlSL_E_NS1_11comp_targetILNS1_3genE0ELNS1_11target_archE4294967295ELNS1_3gpuE0ELNS1_3repE0EEENS1_30default_config_static_selectorELNS0_4arch9wavefront6targetE0EEEvT1_,"axG",@progbits,_ZN7rocprim17ROCPRIM_400000_NS6detail17trampoline_kernelINS0_14default_configENS1_20scan_config_selectorIlEEZZNS1_9scan_implILNS1_25lookback_scan_determinismE0ELb0ELb0ES3_PlS8_lN6thrust23THRUST_200600_302600_NS4plusIvEElEEDaPvRmT3_T4_T5_mT6_P12ihipStream_tbENKUlT_T0_E_clISt17integral_constantIbLb0EESP_IbLb1EEEEDaSL_SM_EUlSL_E_NS1_11comp_targetILNS1_3genE0ELNS1_11target_archE4294967295ELNS1_3gpuE0ELNS1_3repE0EEENS1_30default_config_static_selectorELNS0_4arch9wavefront6targetE0EEEvT1_,comdat
	.protected	_ZN7rocprim17ROCPRIM_400000_NS6detail17trampoline_kernelINS0_14default_configENS1_20scan_config_selectorIlEEZZNS1_9scan_implILNS1_25lookback_scan_determinismE0ELb0ELb0ES3_PlS8_lN6thrust23THRUST_200600_302600_NS4plusIvEElEEDaPvRmT3_T4_T5_mT6_P12ihipStream_tbENKUlT_T0_E_clISt17integral_constantIbLb0EESP_IbLb1EEEEDaSL_SM_EUlSL_E_NS1_11comp_targetILNS1_3genE0ELNS1_11target_archE4294967295ELNS1_3gpuE0ELNS1_3repE0EEENS1_30default_config_static_selectorELNS0_4arch9wavefront6targetE0EEEvT1_ ; -- Begin function _ZN7rocprim17ROCPRIM_400000_NS6detail17trampoline_kernelINS0_14default_configENS1_20scan_config_selectorIlEEZZNS1_9scan_implILNS1_25lookback_scan_determinismE0ELb0ELb0ES3_PlS8_lN6thrust23THRUST_200600_302600_NS4plusIvEElEEDaPvRmT3_T4_T5_mT6_P12ihipStream_tbENKUlT_T0_E_clISt17integral_constantIbLb0EESP_IbLb1EEEEDaSL_SM_EUlSL_E_NS1_11comp_targetILNS1_3genE0ELNS1_11target_archE4294967295ELNS1_3gpuE0ELNS1_3repE0EEENS1_30default_config_static_selectorELNS0_4arch9wavefront6targetE0EEEvT1_
	.globl	_ZN7rocprim17ROCPRIM_400000_NS6detail17trampoline_kernelINS0_14default_configENS1_20scan_config_selectorIlEEZZNS1_9scan_implILNS1_25lookback_scan_determinismE0ELb0ELb0ES3_PlS8_lN6thrust23THRUST_200600_302600_NS4plusIvEElEEDaPvRmT3_T4_T5_mT6_P12ihipStream_tbENKUlT_T0_E_clISt17integral_constantIbLb0EESP_IbLb1EEEEDaSL_SM_EUlSL_E_NS1_11comp_targetILNS1_3genE0ELNS1_11target_archE4294967295ELNS1_3gpuE0ELNS1_3repE0EEENS1_30default_config_static_selectorELNS0_4arch9wavefront6targetE0EEEvT1_
	.p2align	8
	.type	_ZN7rocprim17ROCPRIM_400000_NS6detail17trampoline_kernelINS0_14default_configENS1_20scan_config_selectorIlEEZZNS1_9scan_implILNS1_25lookback_scan_determinismE0ELb0ELb0ES3_PlS8_lN6thrust23THRUST_200600_302600_NS4plusIvEElEEDaPvRmT3_T4_T5_mT6_P12ihipStream_tbENKUlT_T0_E_clISt17integral_constantIbLb0EESP_IbLb1EEEEDaSL_SM_EUlSL_E_NS1_11comp_targetILNS1_3genE0ELNS1_11target_archE4294967295ELNS1_3gpuE0ELNS1_3repE0EEENS1_30default_config_static_selectorELNS0_4arch9wavefront6targetE0EEEvT1_,@function
_ZN7rocprim17ROCPRIM_400000_NS6detail17trampoline_kernelINS0_14default_configENS1_20scan_config_selectorIlEEZZNS1_9scan_implILNS1_25lookback_scan_determinismE0ELb0ELb0ES3_PlS8_lN6thrust23THRUST_200600_302600_NS4plusIvEElEEDaPvRmT3_T4_T5_mT6_P12ihipStream_tbENKUlT_T0_E_clISt17integral_constantIbLb0EESP_IbLb1EEEEDaSL_SM_EUlSL_E_NS1_11comp_targetILNS1_3genE0ELNS1_11target_archE4294967295ELNS1_3gpuE0ELNS1_3repE0EEENS1_30default_config_static_selectorELNS0_4arch9wavefront6targetE0EEEvT1_: ; @_ZN7rocprim17ROCPRIM_400000_NS6detail17trampoline_kernelINS0_14default_configENS1_20scan_config_selectorIlEEZZNS1_9scan_implILNS1_25lookback_scan_determinismE0ELb0ELb0ES3_PlS8_lN6thrust23THRUST_200600_302600_NS4plusIvEElEEDaPvRmT3_T4_T5_mT6_P12ihipStream_tbENKUlT_T0_E_clISt17integral_constantIbLb0EESP_IbLb1EEEEDaSL_SM_EUlSL_E_NS1_11comp_targetILNS1_3genE0ELNS1_11target_archE4294967295ELNS1_3gpuE0ELNS1_3repE0EEENS1_30default_config_static_selectorELNS0_4arch9wavefront6targetE0EEEvT1_
; %bb.0:
	s_load_b64 s[24:25], s[0:1], 0x30
	v_cmp_ne_u32_e64 s2, 0, v0
	v_cmp_eq_u32_e64 s3, 0, v0
	s_and_saveexec_b32 s4, s3
	s_cbranch_execz .LBB141_4
; %bb.1:
	s_mov_b32 s6, exec_lo
	s_mov_b32 s5, exec_lo
	v_mbcnt_lo_u32_b32 v1, s6, 0
                                        ; implicit-def: $vgpr2
	s_delay_alu instid0(VALU_DEP_1)
	v_cmpx_eq_u32_e32 0, v1
	s_cbranch_execz .LBB141_3
; %bb.2:
	s_load_b64 s[8:9], s[0:1], 0x60
	s_bcnt1_i32_b32 s6, s6
	s_delay_alu instid0(SALU_CYCLE_1)
	v_dual_mov_b32 v2, 0 :: v_dual_mov_b32 v3, s6
	s_wait_xcnt 0x0
	s_wait_kmcnt 0x0
	global_atomic_add_u32 v2, v2, v3, s[8:9] th:TH_ATOMIC_RETURN scope:SCOPE_DEV
.LBB141_3:
	s_wait_xcnt 0x0
	s_or_b32 exec_lo, exec_lo, s5
	s_wait_loadcnt 0x0
	v_readfirstlane_b32 s5, v2
	s_delay_alu instid0(VALU_DEP_1)
	v_dual_mov_b32 v2, 0 :: v_dual_add_nc_u32 v1, s5, v1
	ds_store_b32 v2, v1
.LBB141_4:
	s_or_b32 exec_lo, exec_lo, s4
	v_dual_mov_b32 v1, 0 :: v_dual_lshlrev_b32 v26, 3, v0
	s_clause 0x2
	s_load_b256 s[16:23], s[0:1], 0x0
	s_load_b32 s4, s[0:1], 0x38
	s_load_b256 s[8:15], s[0:1], 0x40
	s_wait_dscnt 0x0
	s_barrier_signal -1
	s_barrier_wait -1
	ds_load_b32 v1, v1
	s_mov_b32 s7, 0
	s_mov_b32 s27, -1
	s_wait_dscnt 0x0
	s_barrier_signal -1
	s_barrier_wait -1
	s_wait_kmcnt 0x0
	s_lshl_b64 s[18:19], s[18:19], 3
	s_add_co_i32 s0, s4, -1
	s_add_nc_u64 s[4:5], s[16:17], s[18:19]
	s_mul_i32 s6, s0, 0x600
	s_mov_b32 s17, s7
	v_readfirstlane_b32 s26, v1
	v_cmp_ne_u32_e64 s0, s0, v1
	s_mul_i32 s16, s26, 0x600
	s_and_b32 vcc_lo, exec_lo, s0
	s_lshl_b64 s[16:17], s[16:17], 3
	s_delay_alu instid0(SALU_CYCLE_1)
	s_add_nc_u64 s[4:5], s[4:5], s[16:17]
	s_cbranch_vccz .LBB141_6
; %bb.5:
	s_clause 0x5
	global_load_b64 v[2:3], v0, s[4:5] scale_offset
	global_load_b64 v[4:5], v0, s[4:5] offset:2048 scale_offset
	global_load_b64 v[6:7], v0, s[4:5] offset:4096 scale_offset
	;; [unrolled: 1-line block ×5, first 2 shown]
	s_mov_b32 s27, s7
	s_wait_loadcnt 0x4
	ds_store_2addr_stride64_b64 v26, v[2:3], v[4:5] offset1:4
	s_wait_loadcnt 0x2
	ds_store_2addr_stride64_b64 v26, v[6:7], v[8:9] offset0:8 offset1:12
	s_wait_loadcnt 0x0
	ds_store_2addr_stride64_b64 v26, v[10:11], v[12:13] offset0:16 offset1:20
	s_wait_dscnt 0x0
	s_barrier_signal -1
	s_barrier_wait -1
.LBB141_6:
	s_sub_nc_u64 s[6:7], s[22:23], s[6:7]
	s_and_not1_b32 vcc_lo, exec_lo, s27
	v_cmp_gt_u32_e64 s1, s6, v0
	s_cbranch_vccnz .LBB141_20
; %bb.7:
	v_mov_b32_e32 v1, 0
	global_load_b64 v[2:3], v1, s[4:5]
	s_wait_loadcnt 0x0
	v_dual_mov_b32 v4, v2 :: v_dual_mov_b32 v5, v3
	v_dual_mov_b32 v6, v2 :: v_dual_mov_b32 v7, v3
	v_dual_mov_b32 v8, v2 :: v_dual_mov_b32 v9, v3
	v_dual_mov_b32 v10, v2 :: v_dual_mov_b32 v11, v3
	v_mov_b64_e32 v[18:19], v[14:15]
	v_mov_b64_e32 v[16:17], v[12:13]
	s_delay_alu instid0(VALU_DEP_3)
	v_mov_b64_e32 v[14:15], v[10:11]
	v_mov_b64_e32 v[12:13], v[8:9]
	;; [unrolled: 1-line block ×6, first 2 shown]
	s_and_saveexec_b32 s22, s1
	s_cbranch_execz .LBB141_9
; %bb.8:
	global_load_b64 v[20:21], v0, s[4:5] scale_offset
	v_dual_mov_b32 v4, v2 :: v_dual_mov_b32 v5, v3
	v_dual_mov_b32 v6, v2 :: v_dual_mov_b32 v7, v3
	;; [unrolled: 1-line block ×4, first 2 shown]
	v_mov_b64_e32 v[18:19], v[14:15]
	v_mov_b64_e32 v[16:17], v[12:13]
	s_delay_alu instid0(VALU_DEP_3)
	v_mov_b64_e32 v[14:15], v[10:11]
	v_mov_b64_e32 v[12:13], v[8:9]
	;; [unrolled: 1-line block ×6, first 2 shown]
	s_wait_loadcnt 0x0
	v_mov_b64_e32 v[2:3], v[20:21]
.LBB141_9:
	s_or_b32 exec_lo, exec_lo, s22
	v_or_b32_e32 v1, 0x100, v0
	s_mov_b32 s1, exec_lo
	s_delay_alu instid0(VALU_DEP_1)
	v_cmpx_gt_u32_e64 s6, v1
	s_cbranch_execz .LBB141_11
; %bb.10:
	global_load_b64 v[6:7], v0, s[4:5] offset:2048 scale_offset
.LBB141_11:
	s_wait_xcnt 0x0
	s_or_b32 exec_lo, exec_lo, s1
	v_or_b32_e32 v1, 0x200, v0
	s_mov_b32 s1, exec_lo
	s_delay_alu instid0(VALU_DEP_1)
	v_cmpx_gt_u32_e64 s6, v1
	s_cbranch_execz .LBB141_13
; %bb.12:
	global_load_b64 v[8:9], v0, s[4:5] offset:4096 scale_offset
.LBB141_13:
	s_wait_xcnt 0x0
	;; [unrolled: 10-line block ×5, first 2 shown]
	s_or_b32 exec_lo, exec_lo, s1
	s_wait_loadcnt 0x0
	ds_store_2addr_stride64_b64 v26, v[2:3], v[6:7] offset1:4
	ds_store_2addr_stride64_b64 v26, v[8:9], v[10:11] offset0:8 offset1:12
	ds_store_2addr_stride64_b64 v26, v[12:13], v[14:15] offset0:16 offset1:20
	s_wait_dscnt 0x0
	s_barrier_signal -1
	s_barrier_wait -1
.LBB141_20:
	v_mul_u32_u24_e32 v1, 48, v0
	v_mbcnt_lo_u32_b32 v27, -1, 0
	s_cmp_lg_u32 s26, 0
	ds_load_b128 v[10:13], v1
	ds_load_b128 v[6:9], v1 offset:16
	ds_load_b128 v[2:5], v1 offset:32
	s_wait_dscnt 0x0
	s_barrier_signal -1
	s_barrier_wait -1
	s_cbranch_scc0 .LBB141_77
; %bb.21:
	v_add_nc_u64_e32 v[14:15], v[12:13], v[10:11]
	s_mov_b32 s1, exec_lo
	s_delay_alu instid0(VALU_DEP_1) | instskip(NEXT) | instid1(VALU_DEP_1)
	v_add_nc_u64_e32 v[14:15], v[14:15], v[6:7]
	v_add_nc_u64_e32 v[14:15], v[14:15], v[8:9]
	s_delay_alu instid0(VALU_DEP_1) | instskip(NEXT) | instid1(VALU_DEP_1)
	v_add_nc_u64_e32 v[14:15], v[14:15], v[2:3]
	v_add_nc_u64_e32 v[14:15], v[14:15], v[4:5]
	s_delay_alu instid0(VALU_DEP_1) | instskip(SKIP_1) | instid1(VALU_DEP_3)
	v_dual_mov_b32 v16, v14 :: v_dual_bitop2_b32 v22, 15, v27 bitop3:0x40
	v_mov_b32_dpp v18, v14 row_shr:1 row_mask:0xf bank_mask:0xf
	v_mov_b32_dpp v21, v15 row_shr:1 row_mask:0xf bank_mask:0xf
	s_delay_alu instid0(VALU_DEP_3)
	v_cmpx_ne_u32_e32 0, v22
; %bb.22:
	v_mov_b32_e32 v20, 0
	s_delay_alu instid0(VALU_DEP_1) | instskip(NEXT) | instid1(VALU_DEP_1)
	v_mov_b32_e32 v19, v20
	v_add_nc_u64_e32 v[16:17], v[14:15], v[18:19]
	s_delay_alu instid0(VALU_DEP_1)
	v_add_nc_u64_e32 v[14:15], v[20:21], v[16:17]
; %bb.23:
	s_or_b32 exec_lo, exec_lo, s1
	v_mov_b32_dpp v18, v16 row_shr:2 row_mask:0xf bank_mask:0xf
	s_delay_alu instid0(VALU_DEP_2)
	v_mov_b32_dpp v21, v15 row_shr:2 row_mask:0xf bank_mask:0xf
	s_mov_b32 s1, exec_lo
	v_cmpx_lt_u32_e32 1, v22
; %bb.24:
	v_mov_b32_e32 v20, 0
	s_delay_alu instid0(VALU_DEP_1) | instskip(NEXT) | instid1(VALU_DEP_1)
	v_mov_b32_e32 v19, v20
	v_add_nc_u64_e32 v[16:17], v[14:15], v[18:19]
	s_delay_alu instid0(VALU_DEP_1)
	v_add_nc_u64_e32 v[14:15], v[20:21], v[16:17]
; %bb.25:
	s_or_b32 exec_lo, exec_lo, s1
	v_mov_b32_dpp v18, v16 row_shr:4 row_mask:0xf bank_mask:0xf
	s_delay_alu instid0(VALU_DEP_2)
	v_mov_b32_dpp v21, v15 row_shr:4 row_mask:0xf bank_mask:0xf
	s_mov_b32 s1, exec_lo
	v_cmpx_lt_u32_e32 3, v22
	;; [unrolled: 14-line block ×3, first 2 shown]
; %bb.28:
	v_mov_b32_e32 v20, 0
	s_delay_alu instid0(VALU_DEP_1) | instskip(NEXT) | instid1(VALU_DEP_1)
	v_mov_b32_e32 v19, v20
	v_add_nc_u64_e32 v[16:17], v[14:15], v[18:19]
	s_delay_alu instid0(VALU_DEP_1)
	v_add_nc_u64_e32 v[14:15], v[20:21], v[16:17]
; %bb.29:
	s_or_b32 exec_lo, exec_lo, s1
	ds_swizzle_b32 v18, v16 offset:swizzle(BROADCAST,32,15)
	ds_swizzle_b32 v21, v15 offset:swizzle(BROADCAST,32,15)
	v_and_b32_e32 v17, 16, v27
	s_mov_b32 s1, exec_lo
	s_delay_alu instid0(VALU_DEP_1)
	v_cmpx_ne_u32_e32 0, v17
	s_cbranch_execz .LBB141_31
; %bb.30:
	v_mov_b32_e32 v20, 0
	s_delay_alu instid0(VALU_DEP_1) | instskip(SKIP_1) | instid1(VALU_DEP_1)
	v_mov_b32_e32 v19, v20
	s_wait_dscnt 0x1
	v_add_nc_u64_e32 v[16:17], v[14:15], v[18:19]
	s_wait_dscnt 0x0
	s_delay_alu instid0(VALU_DEP_1)
	v_add_nc_u64_e32 v[14:15], v[20:21], v[16:17]
.LBB141_31:
	s_or_b32 exec_lo, exec_lo, s1
	s_wait_dscnt 0x1
	v_dual_lshrrev_b32 v17, 5, v0 :: v_dual_bitop2_b32 v18, 31, v0 bitop3:0x54
	s_mov_b32 s1, exec_lo
	s_delay_alu instid0(VALU_DEP_1)
	v_cmpx_eq_u32_e64 v0, v18
; %bb.32:
	s_delay_alu instid0(VALU_DEP_2)
	v_lshlrev_b32_e32 v18, 3, v17
	ds_store_b64 v18, v[14:15]
; %bb.33:
	s_or_b32 exec_lo, exec_lo, s1
	s_delay_alu instid0(SALU_CYCLE_1)
	s_mov_b32 s1, exec_lo
	s_wait_dscnt 0x0
	s_barrier_signal -1
	s_barrier_wait -1
	v_cmpx_gt_u32_e32 8, v0
	s_cbranch_execz .LBB141_41
; %bb.34:
	ds_load_b64 v[18:19], v26
	v_and_b32_e32 v14, 7, v27
	s_mov_b32 s4, exec_lo
	s_wait_dscnt 0x0
	v_mov_b32_dpp v22, v18 row_shr:1 row_mask:0xf bank_mask:0xf
	v_mov_b32_dpp v25, v19 row_shr:1 row_mask:0xf bank_mask:0xf
	v_mov_b32_e32 v20, v18
	v_cmpx_ne_u32_e32 0, v14
; %bb.35:
	v_mov_b32_e32 v24, 0
	s_delay_alu instid0(VALU_DEP_1) | instskip(NEXT) | instid1(VALU_DEP_1)
	v_mov_b32_e32 v23, v24
	v_add_nc_u64_e32 v[20:21], v[18:19], v[22:23]
	s_delay_alu instid0(VALU_DEP_1)
	v_add_nc_u64_e32 v[18:19], v[24:25], v[20:21]
; %bb.36:
	s_or_b32 exec_lo, exec_lo, s4
	v_mov_b32_dpp v22, v20 row_shr:2 row_mask:0xf bank_mask:0xf
	s_delay_alu instid0(VALU_DEP_2)
	v_mov_b32_dpp v25, v19 row_shr:2 row_mask:0xf bank_mask:0xf
	s_mov_b32 s4, exec_lo
	v_cmpx_lt_u32_e32 1, v14
; %bb.37:
	v_mov_b32_e32 v24, 0
	s_delay_alu instid0(VALU_DEP_1) | instskip(NEXT) | instid1(VALU_DEP_1)
	v_mov_b32_e32 v23, v24
	v_add_nc_u64_e32 v[20:21], v[18:19], v[22:23]
	s_delay_alu instid0(VALU_DEP_1)
	v_add_nc_u64_e32 v[18:19], v[24:25], v[20:21]
; %bb.38:
	s_or_b32 exec_lo, exec_lo, s4
	v_mov_b32_dpp v20, v20 row_shr:4 row_mask:0xf bank_mask:0xf
	s_delay_alu instid0(VALU_DEP_2)
	v_mov_b32_dpp v23, v19 row_shr:4 row_mask:0xf bank_mask:0xf
	s_mov_b32 s4, exec_lo
	v_cmpx_lt_u32_e32 3, v14
; %bb.39:
	v_mov_b32_e32 v22, 0
	s_delay_alu instid0(VALU_DEP_1) | instskip(NEXT) | instid1(VALU_DEP_1)
	v_mov_b32_e32 v21, v22
	v_add_nc_u64_e32 v[18:19], v[18:19], v[20:21]
	s_delay_alu instid0(VALU_DEP_1)
	v_add_nc_u64_e32 v[18:19], v[18:19], v[22:23]
; %bb.40:
	s_or_b32 exec_lo, exec_lo, s4
	ds_store_b64 v26, v[18:19]
.LBB141_41:
	s_or_b32 exec_lo, exec_lo, s1
	s_delay_alu instid0(SALU_CYCLE_1)
	s_mov_b32 s4, exec_lo
	v_cmp_gt_u32_e32 vcc_lo, 32, v0
	s_wait_dscnt 0x0
	s_barrier_signal -1
	s_barrier_wait -1
                                        ; implicit-def: $vgpr20_vgpr21
	v_cmpx_lt_u32_e32 31, v0
	s_cbranch_execz .LBB141_43
; %bb.42:
	v_lshl_add_u32 v14, v17, 3, -8
	v_mov_b32_e32 v17, v15
	ds_load_b64 v[20:21], v14
	s_wait_dscnt 0x0
	v_add_nc_u64_e32 v[14:15], v[16:17], v[20:21]
	s_delay_alu instid0(VALU_DEP_1)
	v_mov_b32_e32 v16, v14
.LBB141_43:
	s_or_b32 exec_lo, exec_lo, s4
	v_sub_co_u32 v14, s1, v27, 1
	s_delay_alu instid0(VALU_DEP_1) | instskip(NEXT) | instid1(VALU_DEP_1)
	v_cmp_gt_i32_e64 s4, 0, v14
	v_cndmask_b32_e64 v14, v14, v27, s4
	s_delay_alu instid0(VALU_DEP_1)
	v_lshlrev_b32_e32 v14, 2, v14
	ds_bpermute_b32 v34, v14, v16
	ds_bpermute_b32 v35, v14, v15
	s_and_saveexec_b32 s4, vcc_lo
	s_cbranch_execz .LBB141_82
; %bb.44:
	v_mov_b32_e32 v17, 0
	ds_load_b64 v[14:15], v17 offset:56
	s_and_saveexec_b32 s5, s1
	s_cbranch_execz .LBB141_46
; %bb.45:
	s_add_co_i32 s22, s26, 32
	s_mov_b32 s23, 0
	v_mov_b32_e32 v16, 1
	s_lshl_b64 s[22:23], s[22:23], 4
	s_delay_alu instid0(SALU_CYCLE_1) | instskip(NEXT) | instid1(SALU_CYCLE_1)
	s_add_nc_u64 s[22:23], s[24:25], s[22:23]
	v_mov_b64_e32 v[18:19], s[22:23]
	s_wait_dscnt 0x0
	;;#ASMSTART
	global_store_b128 v[18:19], v[14:17] off scope:SCOPE_DEV	
s_wait_storecnt 0x0
	;;#ASMEND
.LBB141_46:
	s_or_b32 exec_lo, exec_lo, s5
	v_xad_u32 v22, v27, -1, s26
	s_mov_b32 s22, 0
	s_mov_b32 s5, exec_lo
	s_delay_alu instid0(VALU_DEP_1) | instskip(NEXT) | instid1(VALU_DEP_1)
	v_add_nc_u32_e32 v16, 32, v22
	v_lshl_add_u64 v[24:25], v[16:17], 4, s[24:25]
	;;#ASMSTART
	global_load_b128 v[16:19], v[24:25] off scope:SCOPE_DEV	
s_wait_loadcnt 0x0
	;;#ASMEND
	v_and_b32_e32 v19, 0xff, v18
	s_delay_alu instid0(VALU_DEP_1)
	v_cmpx_eq_u16_e32 0, v19
	s_cbranch_execz .LBB141_49
.LBB141_47:                             ; =>This Inner Loop Header: Depth=1
	;;#ASMSTART
	global_load_b128 v[16:19], v[24:25] off scope:SCOPE_DEV	
s_wait_loadcnt 0x0
	;;#ASMEND
	v_and_b32_e32 v19, 0xff, v18
	s_delay_alu instid0(VALU_DEP_1) | instskip(SKIP_1) | instid1(SALU_CYCLE_1)
	v_cmp_ne_u16_e32 vcc_lo, 0, v19
	s_or_b32 s22, vcc_lo, s22
	s_and_not1_b32 exec_lo, exec_lo, s22
	s_cbranch_execnz .LBB141_47
; %bb.48:
	s_or_b32 exec_lo, exec_lo, s22
.LBB141_49:
	s_delay_alu instid0(SALU_CYCLE_1)
	s_or_b32 exec_lo, exec_lo, s5
	v_cmp_ne_u32_e32 vcc_lo, 31, v27
	v_and_b32_e32 v23, 0xff, v18
	v_lshlrev_b32_e64 v37, v27, -1
	s_mov_b32 s5, exec_lo
	v_mov_b32_e32 v24, v16
	v_add_co_ci_u32_e64 v19, null, 0, v27, vcc_lo
	v_cmp_eq_u16_e32 vcc_lo, 2, v23
	s_delay_alu instid0(VALU_DEP_2) | instskip(SKIP_4) | instid1(VALU_DEP_1)
	v_lshlrev_b32_e32 v36, 2, v19
	v_and_or_b32 v19, vcc_lo, v37, 0x80000000
	ds_bpermute_b32 v28, v36, v16
	ds_bpermute_b32 v31, v36, v17
	v_ctz_i32_b32_e32 v19, v19
	v_cmpx_lt_u32_e64 v27, v19
	s_cbranch_execz .LBB141_51
; %bb.50:
	v_mov_b32_e32 v30, 0
	s_delay_alu instid0(VALU_DEP_1) | instskip(SKIP_1) | instid1(VALU_DEP_1)
	v_mov_b32_e32 v29, v30
	s_wait_dscnt 0x1
	v_add_nc_u64_e32 v[24:25], v[16:17], v[28:29]
	s_wait_dscnt 0x0
	s_delay_alu instid0(VALU_DEP_1)
	v_add_nc_u64_e32 v[16:17], v[30:31], v[24:25]
.LBB141_51:
	s_or_b32 exec_lo, exec_lo, s5
	v_cmp_gt_u32_e32 vcc_lo, 30, v27
	v_add_nc_u32_e32 v39, 2, v27
	s_mov_b32 s5, exec_lo
	v_cndmask_b32_e64 v23, 0, 2, vcc_lo
	s_delay_alu instid0(VALU_DEP_1)
	v_add_lshl_u32 v38, v23, v27, 2
	s_wait_dscnt 0x1
	ds_bpermute_b32 v28, v38, v24
	s_wait_dscnt 0x1
	ds_bpermute_b32 v31, v38, v17
	v_cmpx_le_u32_e64 v39, v19
	s_cbranch_execz .LBB141_53
; %bb.52:
	v_mov_b32_e32 v30, 0
	s_delay_alu instid0(VALU_DEP_1) | instskip(SKIP_1) | instid1(VALU_DEP_1)
	v_mov_b32_e32 v29, v30
	s_wait_dscnt 0x1
	v_add_nc_u64_e32 v[24:25], v[16:17], v[28:29]
	s_wait_dscnt 0x0
	s_delay_alu instid0(VALU_DEP_1)
	v_add_nc_u64_e32 v[16:17], v[30:31], v[24:25]
.LBB141_53:
	s_or_b32 exec_lo, exec_lo, s5
	v_cmp_gt_u32_e32 vcc_lo, 28, v27
	v_add_nc_u32_e32 v41, 4, v27
	s_mov_b32 s5, exec_lo
	v_cndmask_b32_e64 v23, 0, 4, vcc_lo
	s_delay_alu instid0(VALU_DEP_1)
	v_add_lshl_u32 v40, v23, v27, 2
	s_wait_dscnt 0x1
	ds_bpermute_b32 v28, v40, v24
	s_wait_dscnt 0x1
	ds_bpermute_b32 v31, v40, v17
	v_cmpx_le_u32_e64 v41, v19
	;; [unrolled: 23-line block ×3, first 2 shown]
	s_cbranch_execz .LBB141_57
; %bb.56:
	v_mov_b32_e32 v30, 0
	s_delay_alu instid0(VALU_DEP_1) | instskip(SKIP_1) | instid1(VALU_DEP_1)
	v_mov_b32_e32 v29, v30
	s_wait_dscnt 0x1
	v_add_nc_u64_e32 v[24:25], v[16:17], v[28:29]
	s_wait_dscnt 0x0
	s_delay_alu instid0(VALU_DEP_1)
	v_add_nc_u64_e32 v[16:17], v[30:31], v[24:25]
.LBB141_57:
	s_or_b32 exec_lo, exec_lo, s5
	v_lshl_or_b32 v44, v27, 2, 64
	v_add_nc_u32_e32 v45, 16, v27
	s_mov_b32 s5, exec_lo
	ds_bpermute_b32 v24, v44, v24
	ds_bpermute_b32 v29, v44, v17
	v_cmpx_le_u32_e64 v45, v19
	s_cbranch_execz .LBB141_59
; %bb.58:
	s_wait_dscnt 0x3
	v_mov_b32_e32 v28, 0
	s_delay_alu instid0(VALU_DEP_1) | instskip(SKIP_1) | instid1(VALU_DEP_1)
	v_mov_b32_e32 v25, v28
	s_wait_dscnt 0x1
	v_add_nc_u64_e32 v[16:17], v[16:17], v[24:25]
	s_wait_dscnt 0x0
	s_delay_alu instid0(VALU_DEP_1)
	v_add_nc_u64_e32 v[16:17], v[16:17], v[28:29]
.LBB141_59:
	s_or_b32 exec_lo, exec_lo, s5
	v_mov_b32_e32 v23, 0
	s_branch .LBB141_62
.LBB141_60:                             ;   in Loop: Header=BB141_62 Depth=1
	s_or_b32 exec_lo, exec_lo, s5
	s_delay_alu instid0(VALU_DEP_1)
	v_add_nc_u64_e32 v[16:17], v[16:17], v[24:25]
	v_subrev_nc_u32_e32 v22, 32, v22
	s_mov_b32 s5, 0
.LBB141_61:                             ;   in Loop: Header=BB141_62 Depth=1
	s_delay_alu instid0(SALU_CYCLE_1)
	s_and_b32 vcc_lo, exec_lo, s5
	s_cbranch_vccnz .LBB141_78
.LBB141_62:                             ; =>This Loop Header: Depth=1
                                        ;     Child Loop BB141_65 Depth 2
	v_and_b32_e32 v18, 0xff, v18
	s_wait_dscnt 0x1
	s_delay_alu instid0(VALU_DEP_3) | instskip(SKIP_1) | instid1(VALU_DEP_2)
	v_mov_b64_e32 v[24:25], v[16:17]
	s_mov_b32 s5, -1
	v_cmp_ne_u16_e32 vcc_lo, 2, v18
                                        ; implicit-def: $vgpr16_vgpr17
	s_cmp_lg_u32 vcc_lo, exec_lo
	s_cbranch_scc1 .LBB141_61
; %bb.63:                               ;   in Loop: Header=BB141_62 Depth=1
	s_wait_dscnt 0x0
	v_lshl_add_u64 v[28:29], v[22:23], 4, s[24:25]
	;;#ASMSTART
	global_load_b128 v[16:19], v[28:29] off scope:SCOPE_DEV	
s_wait_loadcnt 0x0
	;;#ASMEND
	v_and_b32_e32 v19, 0xff, v18
	s_mov_b32 s5, exec_lo
	s_delay_alu instid0(VALU_DEP_1)
	v_cmpx_eq_u16_e32 0, v19
	s_cbranch_execz .LBB141_67
; %bb.64:                               ;   in Loop: Header=BB141_62 Depth=1
	s_mov_b32 s22, 0
.LBB141_65:                             ;   Parent Loop BB141_62 Depth=1
                                        ; =>  This Inner Loop Header: Depth=2
	;;#ASMSTART
	global_load_b128 v[16:19], v[28:29] off scope:SCOPE_DEV	
s_wait_loadcnt 0x0
	;;#ASMEND
	v_and_b32_e32 v19, 0xff, v18
	s_delay_alu instid0(VALU_DEP_1) | instskip(SKIP_1) | instid1(SALU_CYCLE_1)
	v_cmp_ne_u16_e32 vcc_lo, 0, v19
	s_or_b32 s22, vcc_lo, s22
	s_and_not1_b32 exec_lo, exec_lo, s22
	s_cbranch_execnz .LBB141_65
; %bb.66:                               ;   in Loop: Header=BB141_62 Depth=1
	s_or_b32 exec_lo, exec_lo, s22
.LBB141_67:                             ;   in Loop: Header=BB141_62 Depth=1
	s_delay_alu instid0(SALU_CYCLE_1)
	s_or_b32 exec_lo, exec_lo, s5
	v_and_b32_e32 v19, 0xff, v18
	ds_bpermute_b32 v30, v36, v16
	ds_bpermute_b32 v33, v36, v17
	v_mov_b32_e32 v28, v16
	s_mov_b32 s5, exec_lo
	v_cmp_eq_u16_e32 vcc_lo, 2, v19
	v_and_or_b32 v19, vcc_lo, v37, 0x80000000
	s_delay_alu instid0(VALU_DEP_1) | instskip(NEXT) | instid1(VALU_DEP_1)
	v_ctz_i32_b32_e32 v19, v19
	v_cmpx_lt_u32_e64 v27, v19
	s_cbranch_execz .LBB141_69
; %bb.68:                               ;   in Loop: Header=BB141_62 Depth=1
	v_dual_mov_b32 v31, v23 :: v_dual_mov_b32 v32, v23
	s_wait_dscnt 0x1
	s_delay_alu instid0(VALU_DEP_1) | instskip(SKIP_1) | instid1(VALU_DEP_1)
	v_add_nc_u64_e32 v[28:29], v[16:17], v[30:31]
	s_wait_dscnt 0x0
	v_add_nc_u64_e32 v[16:17], v[32:33], v[28:29]
.LBB141_69:                             ;   in Loop: Header=BB141_62 Depth=1
	s_or_b32 exec_lo, exec_lo, s5
	ds_bpermute_b32 v32, v38, v28
	ds_bpermute_b32 v31, v38, v17
	s_mov_b32 s5, exec_lo
	v_cmpx_le_u32_e64 v39, v19
	s_cbranch_execz .LBB141_71
; %bb.70:                               ;   in Loop: Header=BB141_62 Depth=1
	s_wait_dscnt 0x2
	v_dual_mov_b32 v33, v23 :: v_dual_mov_b32 v30, v23
	s_wait_dscnt 0x1
	s_delay_alu instid0(VALU_DEP_1) | instskip(SKIP_1) | instid1(VALU_DEP_1)
	v_add_nc_u64_e32 v[28:29], v[16:17], v[32:33]
	s_wait_dscnt 0x0
	v_add_nc_u64_e32 v[16:17], v[30:31], v[28:29]
.LBB141_71:                             ;   in Loop: Header=BB141_62 Depth=1
	s_or_b32 exec_lo, exec_lo, s5
	s_wait_dscnt 0x1
	ds_bpermute_b32 v32, v40, v28
	s_wait_dscnt 0x1
	ds_bpermute_b32 v31, v40, v17
	s_mov_b32 s5, exec_lo
	v_cmpx_le_u32_e64 v41, v19
	s_cbranch_execz .LBB141_73
; %bb.72:                               ;   in Loop: Header=BB141_62 Depth=1
	v_dual_mov_b32 v33, v23 :: v_dual_mov_b32 v30, v23
	s_wait_dscnt 0x1
	s_delay_alu instid0(VALU_DEP_1) | instskip(SKIP_1) | instid1(VALU_DEP_1)
	v_add_nc_u64_e32 v[28:29], v[16:17], v[32:33]
	s_wait_dscnt 0x0
	v_add_nc_u64_e32 v[16:17], v[30:31], v[28:29]
.LBB141_73:                             ;   in Loop: Header=BB141_62 Depth=1
	s_or_b32 exec_lo, exec_lo, s5
	s_wait_dscnt 0x1
	ds_bpermute_b32 v32, v42, v28
	s_wait_dscnt 0x1
	ds_bpermute_b32 v31, v42, v17
	s_mov_b32 s5, exec_lo
	v_cmpx_le_u32_e64 v43, v19
	s_cbranch_execz .LBB141_75
; %bb.74:                               ;   in Loop: Header=BB141_62 Depth=1
	v_dual_mov_b32 v33, v23 :: v_dual_mov_b32 v30, v23
	s_wait_dscnt 0x1
	s_delay_alu instid0(VALU_DEP_1) | instskip(SKIP_1) | instid1(VALU_DEP_1)
	v_add_nc_u64_e32 v[28:29], v[16:17], v[32:33]
	s_wait_dscnt 0x0
	v_add_nc_u64_e32 v[16:17], v[30:31], v[28:29]
.LBB141_75:                             ;   in Loop: Header=BB141_62 Depth=1
	s_or_b32 exec_lo, exec_lo, s5
	ds_bpermute_b32 v30, v44, v28
	ds_bpermute_b32 v29, v44, v17
	s_mov_b32 s5, exec_lo
	v_cmpx_le_u32_e64 v45, v19
	s_cbranch_execz .LBB141_60
; %bb.76:                               ;   in Loop: Header=BB141_62 Depth=1
	s_wait_dscnt 0x2
	v_dual_mov_b32 v31, v23 :: v_dual_mov_b32 v28, v23
	s_wait_dscnt 0x1
	s_delay_alu instid0(VALU_DEP_1) | instskip(SKIP_1) | instid1(VALU_DEP_1)
	v_add_nc_u64_e32 v[16:17], v[16:17], v[30:31]
	s_wait_dscnt 0x0
	v_add_nc_u64_e32 v[16:17], v[16:17], v[28:29]
	s_branch .LBB141_60
.LBB141_77:
                                        ; implicit-def: $vgpr20_vgpr21
                                        ; implicit-def: $vgpr24_vgpr25
                                        ; implicit-def: $vgpr16_vgpr17
	s_cbranch_execnz .LBB141_83
	s_branch .LBB141_112
.LBB141_78:
	s_and_saveexec_b32 s5, s1
	s_cbranch_execz .LBB141_80
; %bb.79:
	s_add_co_i32 s22, s26, 32
	s_mov_b32 s23, 0
	v_add_nc_u64_e32 v[14:15], v[24:25], v[14:15]
	s_lshl_b64 s[22:23], s[22:23], 4
	v_dual_mov_b32 v16, 2 :: v_dual_mov_b32 v17, 0
	s_add_nc_u64 s[22:23], s[24:25], s[22:23]
	s_delay_alu instid0(SALU_CYCLE_1)
	v_mov_b64_e32 v[18:19], s[22:23]
	;;#ASMSTART
	global_store_b128 v[18:19], v[14:17] off scope:SCOPE_DEV	
s_wait_storecnt 0x0
	;;#ASMEND
.LBB141_80:
	s_or_b32 exec_lo, exec_lo, s5
	s_delay_alu instid0(SALU_CYCLE_1)
	s_and_b32 exec_lo, exec_lo, s3
; %bb.81:
	v_mov_b32_e32 v14, 0
	ds_store_b64 v14, v[24:25] offset:56
.LBB141_82:
	s_or_b32 exec_lo, exec_lo, s4
	s_wait_dscnt 0x0
	v_dual_mov_b32 v14, 0 :: v_dual_cndmask_b32 v16, v35, v21, s1
	s_barrier_signal -1
	s_barrier_wait -1
	ds_load_b64 v[14:15], v14 offset:56
	v_cndmask_b32_e64 v18, v34, v20, s1
	v_cndmask_b32_e64 v17, v16, 0, s3
	s_delay_alu instid0(VALU_DEP_2) | instskip(NEXT) | instid1(VALU_DEP_1)
	v_cndmask_b32_e64 v16, v18, 0, s3
	v_add_nc_u64_e32 v[16:17], v[16:17], v[10:11]
	s_wait_dscnt 0x0
	s_delay_alu instid0(VALU_DEP_1) | instskip(NEXT) | instid1(VALU_DEP_1)
	v_add_nc_u64_e32 v[14:15], v[16:17], v[14:15]
	v_add_nc_u64_e32 v[16:17], v[14:15], v[12:13]
	s_delay_alu instid0(VALU_DEP_1) | instskip(NEXT) | instid1(VALU_DEP_1)
	v_add_nc_u64_e32 v[22:23], v[16:17], v[6:7]
	v_add_nc_u64_e32 v[24:25], v[22:23], v[8:9]
	;; [unrolled: 3-line block ×3, first 2 shown]
	s_branch .LBB141_112
.LBB141_83:
	v_mov_b64_e32 v[14:15], v[10:11]
	s_cmp_lg_u64 s[12:13], 0
	s_cselect_b32 s1, -1, 0
	s_delay_alu instid0(SALU_CYCLE_1) | instskip(NEXT) | instid1(SALU_CYCLE_1)
	s_and_b32 s3, s3, s1
	s_and_saveexec_b32 s1, s3
	s_cbranch_execz .LBB141_85
; %bb.84:
	v_mov_b32_e32 v14, 0
	global_load_b64 v[14:15], v14, s[8:9]
	s_wait_loadcnt 0x0
	v_add_nc_u64_e32 v[14:15], v[14:15], v[10:11]
.LBB141_85:
	s_or_b32 exec_lo, exec_lo, s1
	s_delay_alu instid0(VALU_DEP_1) | instskip(SKIP_1) | instid1(VALU_DEP_1)
	v_add_nc_u64_e32 v[16:17], v[12:13], v[14:15]
	s_mov_b32 s1, exec_lo
	v_add_nc_u64_e32 v[22:23], v[16:17], v[6:7]
	s_delay_alu instid0(VALU_DEP_1) | instskip(NEXT) | instid1(VALU_DEP_1)
	v_add_nc_u64_e32 v[24:25], v[22:23], v[8:9]
	v_add_nc_u64_e32 v[18:19], v[24:25], v[2:3]
	s_delay_alu instid0(VALU_DEP_1) | instskip(NEXT) | instid1(VALU_DEP_1)
	v_add_nc_u64_e32 v[20:21], v[18:19], v[4:5]
	v_dual_mov_b32 v29, v21 :: v_dual_bitop2_b32 v34, 15, v27 bitop3:0x40
	s_delay_alu instid0(VALU_DEP_2)
	v_mov_b64_e32 v[30:31], v[20:21]
	v_mov_b32_dpp v28, v20 row_shr:1 row_mask:0xf bank_mask:0xf
	v_mov_b32_dpp v33, v21 row_shr:1 row_mask:0xf bank_mask:0xf
	v_mov_b32_e32 v10, v20
	v_cmpx_ne_u32_e32 0, v34
; %bb.86:
	v_mov_b32_e32 v32, 0
	s_delay_alu instid0(VALU_DEP_1) | instskip(NEXT) | instid1(VALU_DEP_1)
	v_mov_b32_e32 v29, v32
	v_add_nc_u64_e32 v[10:11], v[20:21], v[28:29]
	s_delay_alu instid0(VALU_DEP_1) | instskip(NEXT) | instid1(VALU_DEP_1)
	v_add_nc_u64_e32 v[28:29], v[10:11], v[32:33]
	v_mov_b64_e32 v[30:31], v[28:29]
; %bb.87:
	s_or_b32 exec_lo, exec_lo, s1
	v_mov_b32_dpp v28, v10 row_shr:2 row_mask:0xf bank_mask:0xf
	v_mov_b32_dpp v33, v29 row_shr:2 row_mask:0xf bank_mask:0xf
	s_mov_b32 s1, exec_lo
	v_cmpx_lt_u32_e32 1, v34
; %bb.88:
	v_mov_b32_e32 v32, 0
	s_delay_alu instid0(VALU_DEP_1) | instskip(NEXT) | instid1(VALU_DEP_1)
	v_mov_b32_e32 v29, v32
	v_add_nc_u64_e32 v[10:11], v[30:31], v[28:29]
	s_delay_alu instid0(VALU_DEP_1) | instskip(NEXT) | instid1(VALU_DEP_1)
	v_add_nc_u64_e32 v[28:29], v[32:33], v[10:11]
	v_mov_b64_e32 v[30:31], v[28:29]
; %bb.89:
	s_or_b32 exec_lo, exec_lo, s1
	v_mov_b32_dpp v28, v10 row_shr:4 row_mask:0xf bank_mask:0xf
	v_mov_b32_dpp v33, v29 row_shr:4 row_mask:0xf bank_mask:0xf
	s_mov_b32 s1, exec_lo
	v_cmpx_lt_u32_e32 3, v34
	;; [unrolled: 14-line block ×3, first 2 shown]
; %bb.92:
	v_mov_b32_e32 v32, 0
	s_delay_alu instid0(VALU_DEP_1) | instskip(NEXT) | instid1(VALU_DEP_1)
	v_mov_b32_e32 v29, v32
	v_add_nc_u64_e32 v[10:11], v[30:31], v[28:29]
	s_delay_alu instid0(VALU_DEP_1) | instskip(NEXT) | instid1(VALU_DEP_1)
	v_add_nc_u64_e32 v[30:31], v[32:33], v[10:11]
	v_mov_b32_e32 v29, v31
; %bb.93:
	s_or_b32 exec_lo, exec_lo, s1
	ds_swizzle_b32 v28, v10 offset:swizzle(BROADCAST,32,15)
	ds_swizzle_b32 v33, v29 offset:swizzle(BROADCAST,32,15)
	v_and_b32_e32 v11, 16, v27
	s_mov_b32 s1, exec_lo
	s_delay_alu instid0(VALU_DEP_1)
	v_cmpx_ne_u32_e32 0, v11
	s_cbranch_execz .LBB141_95
; %bb.94:
	v_mov_b32_e32 v32, 0
	s_delay_alu instid0(VALU_DEP_1) | instskip(SKIP_1) | instid1(VALU_DEP_1)
	v_mov_b32_e32 v29, v32
	s_wait_dscnt 0x1
	v_add_nc_u64_e32 v[10:11], v[30:31], v[28:29]
	s_wait_dscnt 0x0
	s_delay_alu instid0(VALU_DEP_1) | instskip(NEXT) | instid1(VALU_DEP_1)
	v_add_nc_u64_e32 v[28:29], v[32:33], v[10:11]
	v_mov_b64_e32 v[30:31], v[28:29]
.LBB141_95:
	s_or_b32 exec_lo, exec_lo, s1
	s_wait_dscnt 0x1
	v_dual_lshrrev_b32 v11, 5, v0 :: v_dual_bitop2_b32 v28, 31, v0 bitop3:0x54
	s_mov_b32 s1, exec_lo
	s_delay_alu instid0(VALU_DEP_1)
	v_cmpx_eq_u32_e64 v0, v28
; %bb.96:
	s_delay_alu instid0(VALU_DEP_2)
	v_lshlrev_b32_e32 v28, 3, v11
	ds_store_b64 v28, v[30:31]
; %bb.97:
	s_or_b32 exec_lo, exec_lo, s1
	s_delay_alu instid0(SALU_CYCLE_1)
	s_mov_b32 s1, exec_lo
	s_wait_dscnt 0x0
	s_barrier_signal -1
	s_barrier_wait -1
	v_cmpx_gt_u32_e32 8, v0
	s_cbranch_execz .LBB141_105
; %bb.98:
	v_mad_i32_i24 v28, 0xffffffd8, v0, v1
	s_mov_b32 s3, exec_lo
	ds_load_b64 v[30:31], v28
	s_wait_dscnt 0x0
	v_dual_mov_b32 v32, v30 :: v_dual_bitop2_b32 v28, 7, v27 bitop3:0x40
	v_mov_b32_dpp v34, v30 row_shr:1 row_mask:0xf bank_mask:0xf
	v_mov_b32_dpp v37, v31 row_shr:1 row_mask:0xf bank_mask:0xf
	s_delay_alu instid0(VALU_DEP_3)
	v_cmpx_ne_u32_e32 0, v28
; %bb.99:
	v_mov_b32_e32 v36, 0
	s_delay_alu instid0(VALU_DEP_1) | instskip(NEXT) | instid1(VALU_DEP_1)
	v_mov_b32_e32 v35, v36
	v_add_nc_u64_e32 v[32:33], v[30:31], v[34:35]
	s_delay_alu instid0(VALU_DEP_1)
	v_add_nc_u64_e32 v[30:31], v[36:37], v[32:33]
; %bb.100:
	s_or_b32 exec_lo, exec_lo, s3
	v_mov_b32_dpp v34, v32 row_shr:2 row_mask:0xf bank_mask:0xf
	s_delay_alu instid0(VALU_DEP_2)
	v_mov_b32_dpp v37, v31 row_shr:2 row_mask:0xf bank_mask:0xf
	s_mov_b32 s3, exec_lo
	v_cmpx_lt_u32_e32 1, v28
; %bb.101:
	v_mov_b32_e32 v36, 0
	s_delay_alu instid0(VALU_DEP_1) | instskip(NEXT) | instid1(VALU_DEP_1)
	v_mov_b32_e32 v35, v36
	v_add_nc_u64_e32 v[32:33], v[30:31], v[34:35]
	s_delay_alu instid0(VALU_DEP_1)
	v_add_nc_u64_e32 v[30:31], v[36:37], v[32:33]
; %bb.102:
	s_or_b32 exec_lo, exec_lo, s3
	v_mul_i32_i24_e32 v36, 0xffffffd8, v0
	v_mov_b32_dpp v32, v32 row_shr:4 row_mask:0xf bank_mask:0xf
	s_delay_alu instid0(VALU_DEP_3)
	v_mov_b32_dpp v35, v31 row_shr:4 row_mask:0xf bank_mask:0xf
	s_mov_b32 s3, exec_lo
	v_cmpx_lt_u32_e32 3, v28
; %bb.103:
	v_mov_b32_e32 v34, 0
	s_delay_alu instid0(VALU_DEP_1) | instskip(NEXT) | instid1(VALU_DEP_1)
	v_mov_b32_e32 v33, v34
	v_add_nc_u64_e32 v[30:31], v[30:31], v[32:33]
	s_delay_alu instid0(VALU_DEP_1)
	v_add_nc_u64_e32 v[30:31], v[30:31], v[34:35]
; %bb.104:
	s_or_b32 exec_lo, exec_lo, s3
	v_add_nc_u32_e32 v28, v1, v36
	ds_store_b64 v28, v[30:31]
.LBB141_105:
	s_or_b32 exec_lo, exec_lo, s1
	s_delay_alu instid0(SALU_CYCLE_1)
	s_mov_b32 s1, exec_lo
	s_wait_dscnt 0x0
	s_barrier_signal -1
	s_barrier_wait -1
                                        ; implicit-def: $vgpr30_vgpr31
	v_cmpx_lt_u32_e32 31, v0
	s_cbranch_execz .LBB141_107
; %bb.106:
	v_lshl_add_u32 v11, v11, 3, -8
	ds_load_b64 v[30:31], v11
	v_mov_b32_e32 v11, v29
	s_wait_dscnt 0x0
	s_delay_alu instid0(VALU_DEP_1) | instskip(NEXT) | instid1(VALU_DEP_1)
	v_add_nc_u64_e32 v[28:29], v[10:11], v[30:31]
	v_mov_b32_e32 v10, v28
.LBB141_107:
	s_or_b32 exec_lo, exec_lo, s1
	v_add_nc_u32_e32 v11, -1, v27
	s_delay_alu instid0(VALU_DEP_1) | instskip(SKIP_1) | instid1(VALU_DEP_1)
	v_cmp_gt_i32_e32 vcc_lo, 0, v11
	v_cndmask_b32_e32 v11, v11, v27, vcc_lo
	v_lshlrev_b32_e32 v11, 2, v11
	ds_bpermute_b32 v10, v11, v10
	ds_bpermute_b32 v11, v11, v29
	s_and_saveexec_b32 s1, s2
	s_cbranch_execz .LBB141_109
; %bb.108:
	v_cmp_eq_u32_e32 vcc_lo, 0, v27
	;;#ASMSTART
	;;#ASMEND
	s_wait_dscnt 0x0
	v_dual_cndmask_b32 v11, v11, v31 :: v_dual_cndmask_b32 v10, v10, v30
	s_delay_alu instid0(VALU_DEP_1) | instskip(NEXT) | instid1(VALU_DEP_1)
	v_add_nc_u64_e32 v[14:15], v[10:11], v[14:15]
	v_add_nc_u64_e32 v[16:17], v[14:15], v[12:13]
	s_delay_alu instid0(VALU_DEP_1) | instskip(NEXT) | instid1(VALU_DEP_1)
	v_add_nc_u64_e32 v[22:23], v[16:17], v[6:7]
	v_add_nc_u64_e32 v[24:25], v[22:23], v[8:9]
	s_delay_alu instid0(VALU_DEP_1) | instskip(NEXT) | instid1(VALU_DEP_1)
	v_add_nc_u64_e32 v[18:19], v[24:25], v[2:3]
	v_add_nc_u64_e32 v[20:21], v[18:19], v[4:5]
.LBB141_109:
	s_or_b32 exec_lo, exec_lo, s1
	s_delay_alu instid0(SALU_CYCLE_1)
	s_mov_b32 s1, exec_lo
	v_cmpx_eq_u32_e32 0xff, v0
	s_cbranch_execz .LBB141_111
; %bb.110:
	s_add_nc_u64 s[2:3], s[24:25], 0x200
	v_dual_mov_b32 v4, 2 :: v_dual_mov_b32 v5, 0
	v_dual_mov_b32 v2, v20 :: v_dual_mov_b32 v3, v21
	v_mov_b64_e32 v[6:7], s[2:3]
	;;#ASMSTART
	global_store_b128 v[6:7], v[2:5] off scope:SCOPE_DEV	
s_wait_storecnt 0x0
	;;#ASMEND
.LBB141_111:
	s_or_b32 exec_lo, exec_lo, s1
.LBB141_112:
	s_add_nc_u64 s[2:3], s[20:21], s[18:19]
	s_and_b32 vcc_lo, exec_lo, s0
	s_add_nc_u64 s[2:3], s[2:3], s[16:17]
	s_mov_b32 s0, -1
	s_wait_dscnt 0x0
	s_barrier_signal -1
	s_barrier_wait -1
	s_cbranch_vccz .LBB141_114
; %bb.113:
	ds_store_b128 v1, v[14:17]
	ds_store_b128 v1, v[22:25] offset:16
	ds_store_b128 v1, v[18:21] offset:32
	s_wait_dscnt 0x0
	s_barrier_signal -1
	s_barrier_wait -1
	ds_load_2addr_stride64_b64 v[2:5], v26 offset1:4
	ds_load_2addr_stride64_b64 v[6:9], v26 offset0:8 offset1:12
	ds_load_2addr_stride64_b64 v[10:13], v26 offset0:16 offset1:20
	s_mov_b32 s0, 0
	s_wait_dscnt 0x2
	s_clause 0x1
	global_store_b64 v0, v[2:3], s[2:3] scale_offset
	global_store_b64 v0, v[4:5], s[2:3] offset:2048 scale_offset
	s_wait_dscnt 0x1
	s_clause 0x1
	global_store_b64 v0, v[6:7], s[2:3] offset:4096 scale_offset
	global_store_b64 v0, v[8:9], s[2:3] offset:6144 scale_offset
	s_wait_dscnt 0x0
	s_clause 0x1
	global_store_b64 v0, v[10:11], s[2:3] offset:8192 scale_offset
	global_store_b64 v0, v[12:13], s[2:3] offset:10240 scale_offset
.LBB141_114:
	s_and_not1_b32 vcc_lo, exec_lo, s0
	s_cbranch_vccnz .LBB141_147
; %bb.115:
	ds_store_b128 v1, v[14:17]
	ds_store_b128 v1, v[22:25] offset:16
	ds_store_b128 v1, v[18:21] offset:32
	s_wait_storecnt_dscnt 0x0
	s_barrier_signal -1
	s_barrier_wait -1
	s_wait_xcnt 0x4
	ds_load_2addr_stride64_b64 v[2:5], v26 offset1:4
	s_wait_xcnt 0x2
	ds_load_2addr_stride64_b64 v[6:9], v26 offset0:8 offset1:12
	s_wait_xcnt 0x0
	ds_load_2addr_stride64_b64 v[10:13], v26 offset0:16 offset1:20
	v_mov_b32_e32 v27, 0
	s_mov_b32 s0, exec_lo
	s_delay_alu instid0(VALU_DEP_1)
	v_add_nc_u64_e32 v[14:15], s[2:3], v[26:27]
	v_cmpx_gt_u32_e64 s6, v0
	s_cbranch_execz .LBB141_117
; %bb.116:
	s_wait_dscnt 0x2
	global_store_b64 v[14:15], v[2:3], off
.LBB141_117:
	s_wait_xcnt 0x0
	s_or_b32 exec_lo, exec_lo, s0
	v_or_b32_e32 v1, 0x100, v0
	s_mov_b32 s0, exec_lo
	s_delay_alu instid0(VALU_DEP_1)
	v_cmpx_gt_u32_e64 s6, v1
	s_cbranch_execz .LBB141_119
; %bb.118:
	s_wait_dscnt 0x2
	global_store_b64 v[14:15], v[4:5], off offset:2048
.LBB141_119:
	s_wait_xcnt 0x0
	s_or_b32 exec_lo, exec_lo, s0
	v_or_b32_e32 v1, 0x200, v0
	s_mov_b32 s0, exec_lo
	s_delay_alu instid0(VALU_DEP_1)
	v_cmpx_gt_u32_e64 s6, v1
	s_cbranch_execz .LBB141_121
; %bb.120:
	s_wait_dscnt 0x1
	global_store_b64 v[14:15], v[6:7], off offset:4096
.LBB141_121:
	;; [unrolled: 11-line block ×5, first 2 shown]
	s_wait_xcnt 0x0
	s_or_b32 exec_lo, exec_lo, s0
	v_cmp_lt_u64_e64 s0, s[14:15], 2
	s_and_b32 vcc_lo, exec_lo, s0
	s_cbranch_vccnz .LBB141_147
; %bb.128:
	s_add_nc_u64 s[0:1], s[6:7], -1
	s_mov_b64 s[4:5], 0xffffffff
	s_mov_b64 s[6:7], 0xaaaaaaab
	s_and_b64 s[4:5], s[0:1], s[4:5]
	s_mov_b32 s3, 0
	s_mov_b32 s2, s1
	s_mul_u64 s[8:9], s[4:5], s[6:7]
	s_mul_u64 s[6:7], s[2:3], s[6:7]
	s_mov_b32 s8, s9
	s_mov_b32 s9, s3
	s_mov_b64 s[12:13], 0xaaaaaaaa
	s_add_nc_u64 s[6:7], s[6:7], s[8:9]
	s_mul_u64 s[4:5], s[4:5], s[12:13]
	s_mov_b32 s8, s7
	s_mov_b32 s7, s3
	v_mov_b32_e32 v1, v27
	s_add_nc_u64 s[4:5], s[4:5], s[6:7]
	s_delay_alu instid0(SALU_CYCLE_1) | instskip(SKIP_3) | instid1(SALU_CYCLE_1)
	s_mov_b32 s4, s5
	s_mov_b32 s5, s3
	s_mul_u64 s[2:3], s[2:3], s[12:13]
	s_add_nc_u64 s[4:5], s[8:9], s[4:5]
	s_add_nc_u64 s[2:3], s[2:3], s[4:5]
	s_delay_alu instid0(SALU_CYCLE_1) | instskip(NEXT) | instid1(SALU_CYCLE_1)
	s_lshr_b64 s[2:3], s[2:3], 2
	v_cmp_eq_u64_e32 vcc_lo, s[2:3], v[0:1]
	s_and_saveexec_b32 s2, vcc_lo
	s_cbranch_execz .LBB141_147
; %bb.129:
	v_mul_hi_u32_u24_e32 v1, 6, v0
	v_mul_u32_u24_e32 v0, 6, v0
	s_delay_alu instid0(VALU_DEP_1) | instskip(SKIP_1) | instid1(VALU_DEP_1)
	v_sub_nc_u64_e32 v[0:1], s[0:1], v[0:1]
	s_mov_b32 s0, exec_lo
	v_cmpx_lt_i64_e32 2, v[0:1]
	s_xor_b32 s0, exec_lo, s0
	s_cbranch_execz .LBB141_139
; %bb.130:
	s_mov_b32 s1, exec_lo
	v_cmpx_lt_i64_e32 3, v[0:1]
	s_xor_b32 s1, exec_lo, s1
	s_cbranch_execz .LBB141_136
; %bb.131:
	;; [unrolled: 5-line block ×3, first 2 shown]
	v_mov_b32_e32 v0, 0
	s_wait_dscnt 0x0
	global_store_b64 v0, v[12:13], s[10:11]
                                        ; implicit-def: $vgpr10_vgpr11_vgpr12_vgpr13
.LBB141_133:
	s_wait_xcnt 0x0
	s_and_not1_saveexec_b32 s2, s2
	s_cbranch_execz .LBB141_135
; %bb.134:
	v_mov_b32_e32 v0, 0
	s_wait_dscnt 0x0
	global_store_b64 v0, v[10:11], s[10:11]
.LBB141_135:
	s_wait_xcnt 0x0
	s_or_b32 exec_lo, exec_lo, s2
                                        ; implicit-def: $vgpr6_vgpr7_vgpr8_vgpr9
.LBB141_136:
	s_and_not1_saveexec_b32 s1, s1
	s_cbranch_execz .LBB141_138
; %bb.137:
	v_mov_b32_e32 v0, 0
	s_wait_dscnt 0x1
	global_store_b64 v0, v[8:9], s[10:11]
.LBB141_138:
	s_wait_xcnt 0x0
	s_or_b32 exec_lo, exec_lo, s1
                                        ; implicit-def: $vgpr0_vgpr1
                                        ; implicit-def: $vgpr6_vgpr7_vgpr8_vgpr9
                                        ; implicit-def: $vgpr2_vgpr3_vgpr4_vgpr5
.LBB141_139:
	s_and_not1_saveexec_b32 s0, s0
	s_cbranch_execz .LBB141_147
; %bb.140:
	s_mov_b32 s0, exec_lo
	v_cmpx_lt_i64_e32 1, v[0:1]
	s_xor_b32 s0, exec_lo, s0
	s_cbranch_execz .LBB141_142
; %bb.141:
	v_mov_b32_e32 v0, 0
                                        ; implicit-def: $vgpr2_vgpr3_vgpr4_vgpr5
	s_wait_dscnt 0x1
	global_store_b64 v0, v[6:7], s[10:11]
                                        ; implicit-def: $vgpr0_vgpr1
.LBB141_142:
	s_wait_xcnt 0x0
	s_and_not1_saveexec_b32 s0, s0
	s_cbranch_execz .LBB141_147
; %bb.143:
	s_mov_b32 s0, exec_lo
	v_cmpx_ne_u64_e32 1, v[0:1]
	s_xor_b32 s0, exec_lo, s0
	s_cbranch_execz .LBB141_145
; %bb.144:
	v_mov_b32_e32 v0, 0
	s_wait_dscnt 0x2
	global_store_b64 v0, v[2:3], s[10:11]
                                        ; implicit-def: $vgpr2_vgpr3_vgpr4_vgpr5
.LBB141_145:
	s_wait_xcnt 0x0
	s_and_not1_saveexec_b32 s0, s0
	s_cbranch_execz .LBB141_147
; %bb.146:
	v_mov_b32_e32 v0, 0
	s_wait_dscnt 0x2
	global_store_b64 v0, v[4:5], s[10:11]
.LBB141_147:
	s_endpgm
	.section	.rodata,"a",@progbits
	.p2align	6, 0x0
	.amdhsa_kernel _ZN7rocprim17ROCPRIM_400000_NS6detail17trampoline_kernelINS0_14default_configENS1_20scan_config_selectorIlEEZZNS1_9scan_implILNS1_25lookback_scan_determinismE0ELb0ELb0ES3_PlS8_lN6thrust23THRUST_200600_302600_NS4plusIvEElEEDaPvRmT3_T4_T5_mT6_P12ihipStream_tbENKUlT_T0_E_clISt17integral_constantIbLb0EESP_IbLb1EEEEDaSL_SM_EUlSL_E_NS1_11comp_targetILNS1_3genE0ELNS1_11target_archE4294967295ELNS1_3gpuE0ELNS1_3repE0EEENS1_30default_config_static_selectorELNS0_4arch9wavefront6targetE0EEEvT1_
		.amdhsa_group_segment_fixed_size 12288
		.amdhsa_private_segment_fixed_size 0
		.amdhsa_kernarg_size 104
		.amdhsa_user_sgpr_count 2
		.amdhsa_user_sgpr_dispatch_ptr 0
		.amdhsa_user_sgpr_queue_ptr 0
		.amdhsa_user_sgpr_kernarg_segment_ptr 1
		.amdhsa_user_sgpr_dispatch_id 0
		.amdhsa_user_sgpr_kernarg_preload_length 0
		.amdhsa_user_sgpr_kernarg_preload_offset 0
		.amdhsa_user_sgpr_private_segment_size 0
		.amdhsa_wavefront_size32 1
		.amdhsa_uses_dynamic_stack 0
		.amdhsa_enable_private_segment 0
		.amdhsa_system_sgpr_workgroup_id_x 1
		.amdhsa_system_sgpr_workgroup_id_y 0
		.amdhsa_system_sgpr_workgroup_id_z 0
		.amdhsa_system_sgpr_workgroup_info 0
		.amdhsa_system_vgpr_workitem_id 0
		.amdhsa_next_free_vgpr 46
		.amdhsa_next_free_sgpr 28
		.amdhsa_named_barrier_count 0
		.amdhsa_reserve_vcc 1
		.amdhsa_float_round_mode_32 0
		.amdhsa_float_round_mode_16_64 0
		.amdhsa_float_denorm_mode_32 3
		.amdhsa_float_denorm_mode_16_64 3
		.amdhsa_fp16_overflow 0
		.amdhsa_memory_ordered 1
		.amdhsa_forward_progress 1
		.amdhsa_inst_pref_size 40
		.amdhsa_round_robin_scheduling 0
		.amdhsa_exception_fp_ieee_invalid_op 0
		.amdhsa_exception_fp_denorm_src 0
		.amdhsa_exception_fp_ieee_div_zero 0
		.amdhsa_exception_fp_ieee_overflow 0
		.amdhsa_exception_fp_ieee_underflow 0
		.amdhsa_exception_fp_ieee_inexact 0
		.amdhsa_exception_int_div_zero 0
	.end_amdhsa_kernel
	.section	.text._ZN7rocprim17ROCPRIM_400000_NS6detail17trampoline_kernelINS0_14default_configENS1_20scan_config_selectorIlEEZZNS1_9scan_implILNS1_25lookback_scan_determinismE0ELb0ELb0ES3_PlS8_lN6thrust23THRUST_200600_302600_NS4plusIvEElEEDaPvRmT3_T4_T5_mT6_P12ihipStream_tbENKUlT_T0_E_clISt17integral_constantIbLb0EESP_IbLb1EEEEDaSL_SM_EUlSL_E_NS1_11comp_targetILNS1_3genE0ELNS1_11target_archE4294967295ELNS1_3gpuE0ELNS1_3repE0EEENS1_30default_config_static_selectorELNS0_4arch9wavefront6targetE0EEEvT1_,"axG",@progbits,_ZN7rocprim17ROCPRIM_400000_NS6detail17trampoline_kernelINS0_14default_configENS1_20scan_config_selectorIlEEZZNS1_9scan_implILNS1_25lookback_scan_determinismE0ELb0ELb0ES3_PlS8_lN6thrust23THRUST_200600_302600_NS4plusIvEElEEDaPvRmT3_T4_T5_mT6_P12ihipStream_tbENKUlT_T0_E_clISt17integral_constantIbLb0EESP_IbLb1EEEEDaSL_SM_EUlSL_E_NS1_11comp_targetILNS1_3genE0ELNS1_11target_archE4294967295ELNS1_3gpuE0ELNS1_3repE0EEENS1_30default_config_static_selectorELNS0_4arch9wavefront6targetE0EEEvT1_,comdat
.Lfunc_end141:
	.size	_ZN7rocprim17ROCPRIM_400000_NS6detail17trampoline_kernelINS0_14default_configENS1_20scan_config_selectorIlEEZZNS1_9scan_implILNS1_25lookback_scan_determinismE0ELb0ELb0ES3_PlS8_lN6thrust23THRUST_200600_302600_NS4plusIvEElEEDaPvRmT3_T4_T5_mT6_P12ihipStream_tbENKUlT_T0_E_clISt17integral_constantIbLb0EESP_IbLb1EEEEDaSL_SM_EUlSL_E_NS1_11comp_targetILNS1_3genE0ELNS1_11target_archE4294967295ELNS1_3gpuE0ELNS1_3repE0EEENS1_30default_config_static_selectorELNS0_4arch9wavefront6targetE0EEEvT1_, .Lfunc_end141-_ZN7rocprim17ROCPRIM_400000_NS6detail17trampoline_kernelINS0_14default_configENS1_20scan_config_selectorIlEEZZNS1_9scan_implILNS1_25lookback_scan_determinismE0ELb0ELb0ES3_PlS8_lN6thrust23THRUST_200600_302600_NS4plusIvEElEEDaPvRmT3_T4_T5_mT6_P12ihipStream_tbENKUlT_T0_E_clISt17integral_constantIbLb0EESP_IbLb1EEEEDaSL_SM_EUlSL_E_NS1_11comp_targetILNS1_3genE0ELNS1_11target_archE4294967295ELNS1_3gpuE0ELNS1_3repE0EEENS1_30default_config_static_selectorELNS0_4arch9wavefront6targetE0EEEvT1_
                                        ; -- End function
	.set _ZN7rocprim17ROCPRIM_400000_NS6detail17trampoline_kernelINS0_14default_configENS1_20scan_config_selectorIlEEZZNS1_9scan_implILNS1_25lookback_scan_determinismE0ELb0ELb0ES3_PlS8_lN6thrust23THRUST_200600_302600_NS4plusIvEElEEDaPvRmT3_T4_T5_mT6_P12ihipStream_tbENKUlT_T0_E_clISt17integral_constantIbLb0EESP_IbLb1EEEEDaSL_SM_EUlSL_E_NS1_11comp_targetILNS1_3genE0ELNS1_11target_archE4294967295ELNS1_3gpuE0ELNS1_3repE0EEENS1_30default_config_static_selectorELNS0_4arch9wavefront6targetE0EEEvT1_.num_vgpr, 46
	.set _ZN7rocprim17ROCPRIM_400000_NS6detail17trampoline_kernelINS0_14default_configENS1_20scan_config_selectorIlEEZZNS1_9scan_implILNS1_25lookback_scan_determinismE0ELb0ELb0ES3_PlS8_lN6thrust23THRUST_200600_302600_NS4plusIvEElEEDaPvRmT3_T4_T5_mT6_P12ihipStream_tbENKUlT_T0_E_clISt17integral_constantIbLb0EESP_IbLb1EEEEDaSL_SM_EUlSL_E_NS1_11comp_targetILNS1_3genE0ELNS1_11target_archE4294967295ELNS1_3gpuE0ELNS1_3repE0EEENS1_30default_config_static_selectorELNS0_4arch9wavefront6targetE0EEEvT1_.num_agpr, 0
	.set _ZN7rocprim17ROCPRIM_400000_NS6detail17trampoline_kernelINS0_14default_configENS1_20scan_config_selectorIlEEZZNS1_9scan_implILNS1_25lookback_scan_determinismE0ELb0ELb0ES3_PlS8_lN6thrust23THRUST_200600_302600_NS4plusIvEElEEDaPvRmT3_T4_T5_mT6_P12ihipStream_tbENKUlT_T0_E_clISt17integral_constantIbLb0EESP_IbLb1EEEEDaSL_SM_EUlSL_E_NS1_11comp_targetILNS1_3genE0ELNS1_11target_archE4294967295ELNS1_3gpuE0ELNS1_3repE0EEENS1_30default_config_static_selectorELNS0_4arch9wavefront6targetE0EEEvT1_.numbered_sgpr, 28
	.set _ZN7rocprim17ROCPRIM_400000_NS6detail17trampoline_kernelINS0_14default_configENS1_20scan_config_selectorIlEEZZNS1_9scan_implILNS1_25lookback_scan_determinismE0ELb0ELb0ES3_PlS8_lN6thrust23THRUST_200600_302600_NS4plusIvEElEEDaPvRmT3_T4_T5_mT6_P12ihipStream_tbENKUlT_T0_E_clISt17integral_constantIbLb0EESP_IbLb1EEEEDaSL_SM_EUlSL_E_NS1_11comp_targetILNS1_3genE0ELNS1_11target_archE4294967295ELNS1_3gpuE0ELNS1_3repE0EEENS1_30default_config_static_selectorELNS0_4arch9wavefront6targetE0EEEvT1_.num_named_barrier, 0
	.set _ZN7rocprim17ROCPRIM_400000_NS6detail17trampoline_kernelINS0_14default_configENS1_20scan_config_selectorIlEEZZNS1_9scan_implILNS1_25lookback_scan_determinismE0ELb0ELb0ES3_PlS8_lN6thrust23THRUST_200600_302600_NS4plusIvEElEEDaPvRmT3_T4_T5_mT6_P12ihipStream_tbENKUlT_T0_E_clISt17integral_constantIbLb0EESP_IbLb1EEEEDaSL_SM_EUlSL_E_NS1_11comp_targetILNS1_3genE0ELNS1_11target_archE4294967295ELNS1_3gpuE0ELNS1_3repE0EEENS1_30default_config_static_selectorELNS0_4arch9wavefront6targetE0EEEvT1_.private_seg_size, 0
	.set _ZN7rocprim17ROCPRIM_400000_NS6detail17trampoline_kernelINS0_14default_configENS1_20scan_config_selectorIlEEZZNS1_9scan_implILNS1_25lookback_scan_determinismE0ELb0ELb0ES3_PlS8_lN6thrust23THRUST_200600_302600_NS4plusIvEElEEDaPvRmT3_T4_T5_mT6_P12ihipStream_tbENKUlT_T0_E_clISt17integral_constantIbLb0EESP_IbLb1EEEEDaSL_SM_EUlSL_E_NS1_11comp_targetILNS1_3genE0ELNS1_11target_archE4294967295ELNS1_3gpuE0ELNS1_3repE0EEENS1_30default_config_static_selectorELNS0_4arch9wavefront6targetE0EEEvT1_.uses_vcc, 1
	.set _ZN7rocprim17ROCPRIM_400000_NS6detail17trampoline_kernelINS0_14default_configENS1_20scan_config_selectorIlEEZZNS1_9scan_implILNS1_25lookback_scan_determinismE0ELb0ELb0ES3_PlS8_lN6thrust23THRUST_200600_302600_NS4plusIvEElEEDaPvRmT3_T4_T5_mT6_P12ihipStream_tbENKUlT_T0_E_clISt17integral_constantIbLb0EESP_IbLb1EEEEDaSL_SM_EUlSL_E_NS1_11comp_targetILNS1_3genE0ELNS1_11target_archE4294967295ELNS1_3gpuE0ELNS1_3repE0EEENS1_30default_config_static_selectorELNS0_4arch9wavefront6targetE0EEEvT1_.uses_flat_scratch, 0
	.set _ZN7rocprim17ROCPRIM_400000_NS6detail17trampoline_kernelINS0_14default_configENS1_20scan_config_selectorIlEEZZNS1_9scan_implILNS1_25lookback_scan_determinismE0ELb0ELb0ES3_PlS8_lN6thrust23THRUST_200600_302600_NS4plusIvEElEEDaPvRmT3_T4_T5_mT6_P12ihipStream_tbENKUlT_T0_E_clISt17integral_constantIbLb0EESP_IbLb1EEEEDaSL_SM_EUlSL_E_NS1_11comp_targetILNS1_3genE0ELNS1_11target_archE4294967295ELNS1_3gpuE0ELNS1_3repE0EEENS1_30default_config_static_selectorELNS0_4arch9wavefront6targetE0EEEvT1_.has_dyn_sized_stack, 0
	.set _ZN7rocprim17ROCPRIM_400000_NS6detail17trampoline_kernelINS0_14default_configENS1_20scan_config_selectorIlEEZZNS1_9scan_implILNS1_25lookback_scan_determinismE0ELb0ELb0ES3_PlS8_lN6thrust23THRUST_200600_302600_NS4plusIvEElEEDaPvRmT3_T4_T5_mT6_P12ihipStream_tbENKUlT_T0_E_clISt17integral_constantIbLb0EESP_IbLb1EEEEDaSL_SM_EUlSL_E_NS1_11comp_targetILNS1_3genE0ELNS1_11target_archE4294967295ELNS1_3gpuE0ELNS1_3repE0EEENS1_30default_config_static_selectorELNS0_4arch9wavefront6targetE0EEEvT1_.has_recursion, 0
	.set _ZN7rocprim17ROCPRIM_400000_NS6detail17trampoline_kernelINS0_14default_configENS1_20scan_config_selectorIlEEZZNS1_9scan_implILNS1_25lookback_scan_determinismE0ELb0ELb0ES3_PlS8_lN6thrust23THRUST_200600_302600_NS4plusIvEElEEDaPvRmT3_T4_T5_mT6_P12ihipStream_tbENKUlT_T0_E_clISt17integral_constantIbLb0EESP_IbLb1EEEEDaSL_SM_EUlSL_E_NS1_11comp_targetILNS1_3genE0ELNS1_11target_archE4294967295ELNS1_3gpuE0ELNS1_3repE0EEENS1_30default_config_static_selectorELNS0_4arch9wavefront6targetE0EEEvT1_.has_indirect_call, 0
	.section	.AMDGPU.csdata,"",@progbits
; Kernel info:
; codeLenInByte = 5056
; TotalNumSgprs: 30
; NumVgprs: 46
; ScratchSize: 0
; MemoryBound: 0
; FloatMode: 240
; IeeeMode: 1
; LDSByteSize: 12288 bytes/workgroup (compile time only)
; SGPRBlocks: 0
; VGPRBlocks: 2
; NumSGPRsForWavesPerEU: 30
; NumVGPRsForWavesPerEU: 46
; NamedBarCnt: 0
; Occupancy: 16
; WaveLimiterHint : 1
; COMPUTE_PGM_RSRC2:SCRATCH_EN: 0
; COMPUTE_PGM_RSRC2:USER_SGPR: 2
; COMPUTE_PGM_RSRC2:TRAP_HANDLER: 0
; COMPUTE_PGM_RSRC2:TGID_X_EN: 1
; COMPUTE_PGM_RSRC2:TGID_Y_EN: 0
; COMPUTE_PGM_RSRC2:TGID_Z_EN: 0
; COMPUTE_PGM_RSRC2:TIDIG_COMP_CNT: 0
	.section	.text._ZN7rocprim17ROCPRIM_400000_NS6detail17trampoline_kernelINS0_14default_configENS1_20scan_config_selectorIlEEZZNS1_9scan_implILNS1_25lookback_scan_determinismE0ELb0ELb0ES3_PlS8_lN6thrust23THRUST_200600_302600_NS4plusIvEElEEDaPvRmT3_T4_T5_mT6_P12ihipStream_tbENKUlT_T0_E_clISt17integral_constantIbLb0EESP_IbLb1EEEEDaSL_SM_EUlSL_E_NS1_11comp_targetILNS1_3genE5ELNS1_11target_archE942ELNS1_3gpuE9ELNS1_3repE0EEENS1_30default_config_static_selectorELNS0_4arch9wavefront6targetE0EEEvT1_,"axG",@progbits,_ZN7rocprim17ROCPRIM_400000_NS6detail17trampoline_kernelINS0_14default_configENS1_20scan_config_selectorIlEEZZNS1_9scan_implILNS1_25lookback_scan_determinismE0ELb0ELb0ES3_PlS8_lN6thrust23THRUST_200600_302600_NS4plusIvEElEEDaPvRmT3_T4_T5_mT6_P12ihipStream_tbENKUlT_T0_E_clISt17integral_constantIbLb0EESP_IbLb1EEEEDaSL_SM_EUlSL_E_NS1_11comp_targetILNS1_3genE5ELNS1_11target_archE942ELNS1_3gpuE9ELNS1_3repE0EEENS1_30default_config_static_selectorELNS0_4arch9wavefront6targetE0EEEvT1_,comdat
	.protected	_ZN7rocprim17ROCPRIM_400000_NS6detail17trampoline_kernelINS0_14default_configENS1_20scan_config_selectorIlEEZZNS1_9scan_implILNS1_25lookback_scan_determinismE0ELb0ELb0ES3_PlS8_lN6thrust23THRUST_200600_302600_NS4plusIvEElEEDaPvRmT3_T4_T5_mT6_P12ihipStream_tbENKUlT_T0_E_clISt17integral_constantIbLb0EESP_IbLb1EEEEDaSL_SM_EUlSL_E_NS1_11comp_targetILNS1_3genE5ELNS1_11target_archE942ELNS1_3gpuE9ELNS1_3repE0EEENS1_30default_config_static_selectorELNS0_4arch9wavefront6targetE0EEEvT1_ ; -- Begin function _ZN7rocprim17ROCPRIM_400000_NS6detail17trampoline_kernelINS0_14default_configENS1_20scan_config_selectorIlEEZZNS1_9scan_implILNS1_25lookback_scan_determinismE0ELb0ELb0ES3_PlS8_lN6thrust23THRUST_200600_302600_NS4plusIvEElEEDaPvRmT3_T4_T5_mT6_P12ihipStream_tbENKUlT_T0_E_clISt17integral_constantIbLb0EESP_IbLb1EEEEDaSL_SM_EUlSL_E_NS1_11comp_targetILNS1_3genE5ELNS1_11target_archE942ELNS1_3gpuE9ELNS1_3repE0EEENS1_30default_config_static_selectorELNS0_4arch9wavefront6targetE0EEEvT1_
	.globl	_ZN7rocprim17ROCPRIM_400000_NS6detail17trampoline_kernelINS0_14default_configENS1_20scan_config_selectorIlEEZZNS1_9scan_implILNS1_25lookback_scan_determinismE0ELb0ELb0ES3_PlS8_lN6thrust23THRUST_200600_302600_NS4plusIvEElEEDaPvRmT3_T4_T5_mT6_P12ihipStream_tbENKUlT_T0_E_clISt17integral_constantIbLb0EESP_IbLb1EEEEDaSL_SM_EUlSL_E_NS1_11comp_targetILNS1_3genE5ELNS1_11target_archE942ELNS1_3gpuE9ELNS1_3repE0EEENS1_30default_config_static_selectorELNS0_4arch9wavefront6targetE0EEEvT1_
	.p2align	8
	.type	_ZN7rocprim17ROCPRIM_400000_NS6detail17trampoline_kernelINS0_14default_configENS1_20scan_config_selectorIlEEZZNS1_9scan_implILNS1_25lookback_scan_determinismE0ELb0ELb0ES3_PlS8_lN6thrust23THRUST_200600_302600_NS4plusIvEElEEDaPvRmT3_T4_T5_mT6_P12ihipStream_tbENKUlT_T0_E_clISt17integral_constantIbLb0EESP_IbLb1EEEEDaSL_SM_EUlSL_E_NS1_11comp_targetILNS1_3genE5ELNS1_11target_archE942ELNS1_3gpuE9ELNS1_3repE0EEENS1_30default_config_static_selectorELNS0_4arch9wavefront6targetE0EEEvT1_,@function
_ZN7rocprim17ROCPRIM_400000_NS6detail17trampoline_kernelINS0_14default_configENS1_20scan_config_selectorIlEEZZNS1_9scan_implILNS1_25lookback_scan_determinismE0ELb0ELb0ES3_PlS8_lN6thrust23THRUST_200600_302600_NS4plusIvEElEEDaPvRmT3_T4_T5_mT6_P12ihipStream_tbENKUlT_T0_E_clISt17integral_constantIbLb0EESP_IbLb1EEEEDaSL_SM_EUlSL_E_NS1_11comp_targetILNS1_3genE5ELNS1_11target_archE942ELNS1_3gpuE9ELNS1_3repE0EEENS1_30default_config_static_selectorELNS0_4arch9wavefront6targetE0EEEvT1_: ; @_ZN7rocprim17ROCPRIM_400000_NS6detail17trampoline_kernelINS0_14default_configENS1_20scan_config_selectorIlEEZZNS1_9scan_implILNS1_25lookback_scan_determinismE0ELb0ELb0ES3_PlS8_lN6thrust23THRUST_200600_302600_NS4plusIvEElEEDaPvRmT3_T4_T5_mT6_P12ihipStream_tbENKUlT_T0_E_clISt17integral_constantIbLb0EESP_IbLb1EEEEDaSL_SM_EUlSL_E_NS1_11comp_targetILNS1_3genE5ELNS1_11target_archE942ELNS1_3gpuE9ELNS1_3repE0EEENS1_30default_config_static_selectorELNS0_4arch9wavefront6targetE0EEEvT1_
; %bb.0:
	.section	.rodata,"a",@progbits
	.p2align	6, 0x0
	.amdhsa_kernel _ZN7rocprim17ROCPRIM_400000_NS6detail17trampoline_kernelINS0_14default_configENS1_20scan_config_selectorIlEEZZNS1_9scan_implILNS1_25lookback_scan_determinismE0ELb0ELb0ES3_PlS8_lN6thrust23THRUST_200600_302600_NS4plusIvEElEEDaPvRmT3_T4_T5_mT6_P12ihipStream_tbENKUlT_T0_E_clISt17integral_constantIbLb0EESP_IbLb1EEEEDaSL_SM_EUlSL_E_NS1_11comp_targetILNS1_3genE5ELNS1_11target_archE942ELNS1_3gpuE9ELNS1_3repE0EEENS1_30default_config_static_selectorELNS0_4arch9wavefront6targetE0EEEvT1_
		.amdhsa_group_segment_fixed_size 0
		.amdhsa_private_segment_fixed_size 0
		.amdhsa_kernarg_size 104
		.amdhsa_user_sgpr_count 2
		.amdhsa_user_sgpr_dispatch_ptr 0
		.amdhsa_user_sgpr_queue_ptr 0
		.amdhsa_user_sgpr_kernarg_segment_ptr 1
		.amdhsa_user_sgpr_dispatch_id 0
		.amdhsa_user_sgpr_kernarg_preload_length 0
		.amdhsa_user_sgpr_kernarg_preload_offset 0
		.amdhsa_user_sgpr_private_segment_size 0
		.amdhsa_wavefront_size32 1
		.amdhsa_uses_dynamic_stack 0
		.amdhsa_enable_private_segment 0
		.amdhsa_system_sgpr_workgroup_id_x 1
		.amdhsa_system_sgpr_workgroup_id_y 0
		.amdhsa_system_sgpr_workgroup_id_z 0
		.amdhsa_system_sgpr_workgroup_info 0
		.amdhsa_system_vgpr_workitem_id 0
		.amdhsa_next_free_vgpr 1
		.amdhsa_next_free_sgpr 1
		.amdhsa_named_barrier_count 0
		.amdhsa_reserve_vcc 0
		.amdhsa_float_round_mode_32 0
		.amdhsa_float_round_mode_16_64 0
		.amdhsa_float_denorm_mode_32 3
		.amdhsa_float_denorm_mode_16_64 3
		.amdhsa_fp16_overflow 0
		.amdhsa_memory_ordered 1
		.amdhsa_forward_progress 1
		.amdhsa_inst_pref_size 0
		.amdhsa_round_robin_scheduling 0
		.amdhsa_exception_fp_ieee_invalid_op 0
		.amdhsa_exception_fp_denorm_src 0
		.amdhsa_exception_fp_ieee_div_zero 0
		.amdhsa_exception_fp_ieee_overflow 0
		.amdhsa_exception_fp_ieee_underflow 0
		.amdhsa_exception_fp_ieee_inexact 0
		.amdhsa_exception_int_div_zero 0
	.end_amdhsa_kernel
	.section	.text._ZN7rocprim17ROCPRIM_400000_NS6detail17trampoline_kernelINS0_14default_configENS1_20scan_config_selectorIlEEZZNS1_9scan_implILNS1_25lookback_scan_determinismE0ELb0ELb0ES3_PlS8_lN6thrust23THRUST_200600_302600_NS4plusIvEElEEDaPvRmT3_T4_T5_mT6_P12ihipStream_tbENKUlT_T0_E_clISt17integral_constantIbLb0EESP_IbLb1EEEEDaSL_SM_EUlSL_E_NS1_11comp_targetILNS1_3genE5ELNS1_11target_archE942ELNS1_3gpuE9ELNS1_3repE0EEENS1_30default_config_static_selectorELNS0_4arch9wavefront6targetE0EEEvT1_,"axG",@progbits,_ZN7rocprim17ROCPRIM_400000_NS6detail17trampoline_kernelINS0_14default_configENS1_20scan_config_selectorIlEEZZNS1_9scan_implILNS1_25lookback_scan_determinismE0ELb0ELb0ES3_PlS8_lN6thrust23THRUST_200600_302600_NS4plusIvEElEEDaPvRmT3_T4_T5_mT6_P12ihipStream_tbENKUlT_T0_E_clISt17integral_constantIbLb0EESP_IbLb1EEEEDaSL_SM_EUlSL_E_NS1_11comp_targetILNS1_3genE5ELNS1_11target_archE942ELNS1_3gpuE9ELNS1_3repE0EEENS1_30default_config_static_selectorELNS0_4arch9wavefront6targetE0EEEvT1_,comdat
.Lfunc_end142:
	.size	_ZN7rocprim17ROCPRIM_400000_NS6detail17trampoline_kernelINS0_14default_configENS1_20scan_config_selectorIlEEZZNS1_9scan_implILNS1_25lookback_scan_determinismE0ELb0ELb0ES3_PlS8_lN6thrust23THRUST_200600_302600_NS4plusIvEElEEDaPvRmT3_T4_T5_mT6_P12ihipStream_tbENKUlT_T0_E_clISt17integral_constantIbLb0EESP_IbLb1EEEEDaSL_SM_EUlSL_E_NS1_11comp_targetILNS1_3genE5ELNS1_11target_archE942ELNS1_3gpuE9ELNS1_3repE0EEENS1_30default_config_static_selectorELNS0_4arch9wavefront6targetE0EEEvT1_, .Lfunc_end142-_ZN7rocprim17ROCPRIM_400000_NS6detail17trampoline_kernelINS0_14default_configENS1_20scan_config_selectorIlEEZZNS1_9scan_implILNS1_25lookback_scan_determinismE0ELb0ELb0ES3_PlS8_lN6thrust23THRUST_200600_302600_NS4plusIvEElEEDaPvRmT3_T4_T5_mT6_P12ihipStream_tbENKUlT_T0_E_clISt17integral_constantIbLb0EESP_IbLb1EEEEDaSL_SM_EUlSL_E_NS1_11comp_targetILNS1_3genE5ELNS1_11target_archE942ELNS1_3gpuE9ELNS1_3repE0EEENS1_30default_config_static_selectorELNS0_4arch9wavefront6targetE0EEEvT1_
                                        ; -- End function
	.set _ZN7rocprim17ROCPRIM_400000_NS6detail17trampoline_kernelINS0_14default_configENS1_20scan_config_selectorIlEEZZNS1_9scan_implILNS1_25lookback_scan_determinismE0ELb0ELb0ES3_PlS8_lN6thrust23THRUST_200600_302600_NS4plusIvEElEEDaPvRmT3_T4_T5_mT6_P12ihipStream_tbENKUlT_T0_E_clISt17integral_constantIbLb0EESP_IbLb1EEEEDaSL_SM_EUlSL_E_NS1_11comp_targetILNS1_3genE5ELNS1_11target_archE942ELNS1_3gpuE9ELNS1_3repE0EEENS1_30default_config_static_selectorELNS0_4arch9wavefront6targetE0EEEvT1_.num_vgpr, 0
	.set _ZN7rocprim17ROCPRIM_400000_NS6detail17trampoline_kernelINS0_14default_configENS1_20scan_config_selectorIlEEZZNS1_9scan_implILNS1_25lookback_scan_determinismE0ELb0ELb0ES3_PlS8_lN6thrust23THRUST_200600_302600_NS4plusIvEElEEDaPvRmT3_T4_T5_mT6_P12ihipStream_tbENKUlT_T0_E_clISt17integral_constantIbLb0EESP_IbLb1EEEEDaSL_SM_EUlSL_E_NS1_11comp_targetILNS1_3genE5ELNS1_11target_archE942ELNS1_3gpuE9ELNS1_3repE0EEENS1_30default_config_static_selectorELNS0_4arch9wavefront6targetE0EEEvT1_.num_agpr, 0
	.set _ZN7rocprim17ROCPRIM_400000_NS6detail17trampoline_kernelINS0_14default_configENS1_20scan_config_selectorIlEEZZNS1_9scan_implILNS1_25lookback_scan_determinismE0ELb0ELb0ES3_PlS8_lN6thrust23THRUST_200600_302600_NS4plusIvEElEEDaPvRmT3_T4_T5_mT6_P12ihipStream_tbENKUlT_T0_E_clISt17integral_constantIbLb0EESP_IbLb1EEEEDaSL_SM_EUlSL_E_NS1_11comp_targetILNS1_3genE5ELNS1_11target_archE942ELNS1_3gpuE9ELNS1_3repE0EEENS1_30default_config_static_selectorELNS0_4arch9wavefront6targetE0EEEvT1_.numbered_sgpr, 0
	.set _ZN7rocprim17ROCPRIM_400000_NS6detail17trampoline_kernelINS0_14default_configENS1_20scan_config_selectorIlEEZZNS1_9scan_implILNS1_25lookback_scan_determinismE0ELb0ELb0ES3_PlS8_lN6thrust23THRUST_200600_302600_NS4plusIvEElEEDaPvRmT3_T4_T5_mT6_P12ihipStream_tbENKUlT_T0_E_clISt17integral_constantIbLb0EESP_IbLb1EEEEDaSL_SM_EUlSL_E_NS1_11comp_targetILNS1_3genE5ELNS1_11target_archE942ELNS1_3gpuE9ELNS1_3repE0EEENS1_30default_config_static_selectorELNS0_4arch9wavefront6targetE0EEEvT1_.num_named_barrier, 0
	.set _ZN7rocprim17ROCPRIM_400000_NS6detail17trampoline_kernelINS0_14default_configENS1_20scan_config_selectorIlEEZZNS1_9scan_implILNS1_25lookback_scan_determinismE0ELb0ELb0ES3_PlS8_lN6thrust23THRUST_200600_302600_NS4plusIvEElEEDaPvRmT3_T4_T5_mT6_P12ihipStream_tbENKUlT_T0_E_clISt17integral_constantIbLb0EESP_IbLb1EEEEDaSL_SM_EUlSL_E_NS1_11comp_targetILNS1_3genE5ELNS1_11target_archE942ELNS1_3gpuE9ELNS1_3repE0EEENS1_30default_config_static_selectorELNS0_4arch9wavefront6targetE0EEEvT1_.private_seg_size, 0
	.set _ZN7rocprim17ROCPRIM_400000_NS6detail17trampoline_kernelINS0_14default_configENS1_20scan_config_selectorIlEEZZNS1_9scan_implILNS1_25lookback_scan_determinismE0ELb0ELb0ES3_PlS8_lN6thrust23THRUST_200600_302600_NS4plusIvEElEEDaPvRmT3_T4_T5_mT6_P12ihipStream_tbENKUlT_T0_E_clISt17integral_constantIbLb0EESP_IbLb1EEEEDaSL_SM_EUlSL_E_NS1_11comp_targetILNS1_3genE5ELNS1_11target_archE942ELNS1_3gpuE9ELNS1_3repE0EEENS1_30default_config_static_selectorELNS0_4arch9wavefront6targetE0EEEvT1_.uses_vcc, 0
	.set _ZN7rocprim17ROCPRIM_400000_NS6detail17trampoline_kernelINS0_14default_configENS1_20scan_config_selectorIlEEZZNS1_9scan_implILNS1_25lookback_scan_determinismE0ELb0ELb0ES3_PlS8_lN6thrust23THRUST_200600_302600_NS4plusIvEElEEDaPvRmT3_T4_T5_mT6_P12ihipStream_tbENKUlT_T0_E_clISt17integral_constantIbLb0EESP_IbLb1EEEEDaSL_SM_EUlSL_E_NS1_11comp_targetILNS1_3genE5ELNS1_11target_archE942ELNS1_3gpuE9ELNS1_3repE0EEENS1_30default_config_static_selectorELNS0_4arch9wavefront6targetE0EEEvT1_.uses_flat_scratch, 0
	.set _ZN7rocprim17ROCPRIM_400000_NS6detail17trampoline_kernelINS0_14default_configENS1_20scan_config_selectorIlEEZZNS1_9scan_implILNS1_25lookback_scan_determinismE0ELb0ELb0ES3_PlS8_lN6thrust23THRUST_200600_302600_NS4plusIvEElEEDaPvRmT3_T4_T5_mT6_P12ihipStream_tbENKUlT_T0_E_clISt17integral_constantIbLb0EESP_IbLb1EEEEDaSL_SM_EUlSL_E_NS1_11comp_targetILNS1_3genE5ELNS1_11target_archE942ELNS1_3gpuE9ELNS1_3repE0EEENS1_30default_config_static_selectorELNS0_4arch9wavefront6targetE0EEEvT1_.has_dyn_sized_stack, 0
	.set _ZN7rocprim17ROCPRIM_400000_NS6detail17trampoline_kernelINS0_14default_configENS1_20scan_config_selectorIlEEZZNS1_9scan_implILNS1_25lookback_scan_determinismE0ELb0ELb0ES3_PlS8_lN6thrust23THRUST_200600_302600_NS4plusIvEElEEDaPvRmT3_T4_T5_mT6_P12ihipStream_tbENKUlT_T0_E_clISt17integral_constantIbLb0EESP_IbLb1EEEEDaSL_SM_EUlSL_E_NS1_11comp_targetILNS1_3genE5ELNS1_11target_archE942ELNS1_3gpuE9ELNS1_3repE0EEENS1_30default_config_static_selectorELNS0_4arch9wavefront6targetE0EEEvT1_.has_recursion, 0
	.set _ZN7rocprim17ROCPRIM_400000_NS6detail17trampoline_kernelINS0_14default_configENS1_20scan_config_selectorIlEEZZNS1_9scan_implILNS1_25lookback_scan_determinismE0ELb0ELb0ES3_PlS8_lN6thrust23THRUST_200600_302600_NS4plusIvEElEEDaPvRmT3_T4_T5_mT6_P12ihipStream_tbENKUlT_T0_E_clISt17integral_constantIbLb0EESP_IbLb1EEEEDaSL_SM_EUlSL_E_NS1_11comp_targetILNS1_3genE5ELNS1_11target_archE942ELNS1_3gpuE9ELNS1_3repE0EEENS1_30default_config_static_selectorELNS0_4arch9wavefront6targetE0EEEvT1_.has_indirect_call, 0
	.section	.AMDGPU.csdata,"",@progbits
; Kernel info:
; codeLenInByte = 0
; TotalNumSgprs: 0
; NumVgprs: 0
; ScratchSize: 0
; MemoryBound: 0
; FloatMode: 240
; IeeeMode: 1
; LDSByteSize: 0 bytes/workgroup (compile time only)
; SGPRBlocks: 0
; VGPRBlocks: 0
; NumSGPRsForWavesPerEU: 1
; NumVGPRsForWavesPerEU: 1
; NamedBarCnt: 0
; Occupancy: 16
; WaveLimiterHint : 0
; COMPUTE_PGM_RSRC2:SCRATCH_EN: 0
; COMPUTE_PGM_RSRC2:USER_SGPR: 2
; COMPUTE_PGM_RSRC2:TRAP_HANDLER: 0
; COMPUTE_PGM_RSRC2:TGID_X_EN: 1
; COMPUTE_PGM_RSRC2:TGID_Y_EN: 0
; COMPUTE_PGM_RSRC2:TGID_Z_EN: 0
; COMPUTE_PGM_RSRC2:TIDIG_COMP_CNT: 0
	.section	.text._ZN7rocprim17ROCPRIM_400000_NS6detail17trampoline_kernelINS0_14default_configENS1_20scan_config_selectorIlEEZZNS1_9scan_implILNS1_25lookback_scan_determinismE0ELb0ELb0ES3_PlS8_lN6thrust23THRUST_200600_302600_NS4plusIvEElEEDaPvRmT3_T4_T5_mT6_P12ihipStream_tbENKUlT_T0_E_clISt17integral_constantIbLb0EESP_IbLb1EEEEDaSL_SM_EUlSL_E_NS1_11comp_targetILNS1_3genE4ELNS1_11target_archE910ELNS1_3gpuE8ELNS1_3repE0EEENS1_30default_config_static_selectorELNS0_4arch9wavefront6targetE0EEEvT1_,"axG",@progbits,_ZN7rocprim17ROCPRIM_400000_NS6detail17trampoline_kernelINS0_14default_configENS1_20scan_config_selectorIlEEZZNS1_9scan_implILNS1_25lookback_scan_determinismE0ELb0ELb0ES3_PlS8_lN6thrust23THRUST_200600_302600_NS4plusIvEElEEDaPvRmT3_T4_T5_mT6_P12ihipStream_tbENKUlT_T0_E_clISt17integral_constantIbLb0EESP_IbLb1EEEEDaSL_SM_EUlSL_E_NS1_11comp_targetILNS1_3genE4ELNS1_11target_archE910ELNS1_3gpuE8ELNS1_3repE0EEENS1_30default_config_static_selectorELNS0_4arch9wavefront6targetE0EEEvT1_,comdat
	.protected	_ZN7rocprim17ROCPRIM_400000_NS6detail17trampoline_kernelINS0_14default_configENS1_20scan_config_selectorIlEEZZNS1_9scan_implILNS1_25lookback_scan_determinismE0ELb0ELb0ES3_PlS8_lN6thrust23THRUST_200600_302600_NS4plusIvEElEEDaPvRmT3_T4_T5_mT6_P12ihipStream_tbENKUlT_T0_E_clISt17integral_constantIbLb0EESP_IbLb1EEEEDaSL_SM_EUlSL_E_NS1_11comp_targetILNS1_3genE4ELNS1_11target_archE910ELNS1_3gpuE8ELNS1_3repE0EEENS1_30default_config_static_selectorELNS0_4arch9wavefront6targetE0EEEvT1_ ; -- Begin function _ZN7rocprim17ROCPRIM_400000_NS6detail17trampoline_kernelINS0_14default_configENS1_20scan_config_selectorIlEEZZNS1_9scan_implILNS1_25lookback_scan_determinismE0ELb0ELb0ES3_PlS8_lN6thrust23THRUST_200600_302600_NS4plusIvEElEEDaPvRmT3_T4_T5_mT6_P12ihipStream_tbENKUlT_T0_E_clISt17integral_constantIbLb0EESP_IbLb1EEEEDaSL_SM_EUlSL_E_NS1_11comp_targetILNS1_3genE4ELNS1_11target_archE910ELNS1_3gpuE8ELNS1_3repE0EEENS1_30default_config_static_selectorELNS0_4arch9wavefront6targetE0EEEvT1_
	.globl	_ZN7rocprim17ROCPRIM_400000_NS6detail17trampoline_kernelINS0_14default_configENS1_20scan_config_selectorIlEEZZNS1_9scan_implILNS1_25lookback_scan_determinismE0ELb0ELb0ES3_PlS8_lN6thrust23THRUST_200600_302600_NS4plusIvEElEEDaPvRmT3_T4_T5_mT6_P12ihipStream_tbENKUlT_T0_E_clISt17integral_constantIbLb0EESP_IbLb1EEEEDaSL_SM_EUlSL_E_NS1_11comp_targetILNS1_3genE4ELNS1_11target_archE910ELNS1_3gpuE8ELNS1_3repE0EEENS1_30default_config_static_selectorELNS0_4arch9wavefront6targetE0EEEvT1_
	.p2align	8
	.type	_ZN7rocprim17ROCPRIM_400000_NS6detail17trampoline_kernelINS0_14default_configENS1_20scan_config_selectorIlEEZZNS1_9scan_implILNS1_25lookback_scan_determinismE0ELb0ELb0ES3_PlS8_lN6thrust23THRUST_200600_302600_NS4plusIvEElEEDaPvRmT3_T4_T5_mT6_P12ihipStream_tbENKUlT_T0_E_clISt17integral_constantIbLb0EESP_IbLb1EEEEDaSL_SM_EUlSL_E_NS1_11comp_targetILNS1_3genE4ELNS1_11target_archE910ELNS1_3gpuE8ELNS1_3repE0EEENS1_30default_config_static_selectorELNS0_4arch9wavefront6targetE0EEEvT1_,@function
_ZN7rocprim17ROCPRIM_400000_NS6detail17trampoline_kernelINS0_14default_configENS1_20scan_config_selectorIlEEZZNS1_9scan_implILNS1_25lookback_scan_determinismE0ELb0ELb0ES3_PlS8_lN6thrust23THRUST_200600_302600_NS4plusIvEElEEDaPvRmT3_T4_T5_mT6_P12ihipStream_tbENKUlT_T0_E_clISt17integral_constantIbLb0EESP_IbLb1EEEEDaSL_SM_EUlSL_E_NS1_11comp_targetILNS1_3genE4ELNS1_11target_archE910ELNS1_3gpuE8ELNS1_3repE0EEENS1_30default_config_static_selectorELNS0_4arch9wavefront6targetE0EEEvT1_: ; @_ZN7rocprim17ROCPRIM_400000_NS6detail17trampoline_kernelINS0_14default_configENS1_20scan_config_selectorIlEEZZNS1_9scan_implILNS1_25lookback_scan_determinismE0ELb0ELb0ES3_PlS8_lN6thrust23THRUST_200600_302600_NS4plusIvEElEEDaPvRmT3_T4_T5_mT6_P12ihipStream_tbENKUlT_T0_E_clISt17integral_constantIbLb0EESP_IbLb1EEEEDaSL_SM_EUlSL_E_NS1_11comp_targetILNS1_3genE4ELNS1_11target_archE910ELNS1_3gpuE8ELNS1_3repE0EEENS1_30default_config_static_selectorELNS0_4arch9wavefront6targetE0EEEvT1_
; %bb.0:
	.section	.rodata,"a",@progbits
	.p2align	6, 0x0
	.amdhsa_kernel _ZN7rocprim17ROCPRIM_400000_NS6detail17trampoline_kernelINS0_14default_configENS1_20scan_config_selectorIlEEZZNS1_9scan_implILNS1_25lookback_scan_determinismE0ELb0ELb0ES3_PlS8_lN6thrust23THRUST_200600_302600_NS4plusIvEElEEDaPvRmT3_T4_T5_mT6_P12ihipStream_tbENKUlT_T0_E_clISt17integral_constantIbLb0EESP_IbLb1EEEEDaSL_SM_EUlSL_E_NS1_11comp_targetILNS1_3genE4ELNS1_11target_archE910ELNS1_3gpuE8ELNS1_3repE0EEENS1_30default_config_static_selectorELNS0_4arch9wavefront6targetE0EEEvT1_
		.amdhsa_group_segment_fixed_size 0
		.amdhsa_private_segment_fixed_size 0
		.amdhsa_kernarg_size 104
		.amdhsa_user_sgpr_count 2
		.amdhsa_user_sgpr_dispatch_ptr 0
		.amdhsa_user_sgpr_queue_ptr 0
		.amdhsa_user_sgpr_kernarg_segment_ptr 1
		.amdhsa_user_sgpr_dispatch_id 0
		.amdhsa_user_sgpr_kernarg_preload_length 0
		.amdhsa_user_sgpr_kernarg_preload_offset 0
		.amdhsa_user_sgpr_private_segment_size 0
		.amdhsa_wavefront_size32 1
		.amdhsa_uses_dynamic_stack 0
		.amdhsa_enable_private_segment 0
		.amdhsa_system_sgpr_workgroup_id_x 1
		.amdhsa_system_sgpr_workgroup_id_y 0
		.amdhsa_system_sgpr_workgroup_id_z 0
		.amdhsa_system_sgpr_workgroup_info 0
		.amdhsa_system_vgpr_workitem_id 0
		.amdhsa_next_free_vgpr 1
		.amdhsa_next_free_sgpr 1
		.amdhsa_named_barrier_count 0
		.amdhsa_reserve_vcc 0
		.amdhsa_float_round_mode_32 0
		.amdhsa_float_round_mode_16_64 0
		.amdhsa_float_denorm_mode_32 3
		.amdhsa_float_denorm_mode_16_64 3
		.amdhsa_fp16_overflow 0
		.amdhsa_memory_ordered 1
		.amdhsa_forward_progress 1
		.amdhsa_inst_pref_size 0
		.amdhsa_round_robin_scheduling 0
		.amdhsa_exception_fp_ieee_invalid_op 0
		.amdhsa_exception_fp_denorm_src 0
		.amdhsa_exception_fp_ieee_div_zero 0
		.amdhsa_exception_fp_ieee_overflow 0
		.amdhsa_exception_fp_ieee_underflow 0
		.amdhsa_exception_fp_ieee_inexact 0
		.amdhsa_exception_int_div_zero 0
	.end_amdhsa_kernel
	.section	.text._ZN7rocprim17ROCPRIM_400000_NS6detail17trampoline_kernelINS0_14default_configENS1_20scan_config_selectorIlEEZZNS1_9scan_implILNS1_25lookback_scan_determinismE0ELb0ELb0ES3_PlS8_lN6thrust23THRUST_200600_302600_NS4plusIvEElEEDaPvRmT3_T4_T5_mT6_P12ihipStream_tbENKUlT_T0_E_clISt17integral_constantIbLb0EESP_IbLb1EEEEDaSL_SM_EUlSL_E_NS1_11comp_targetILNS1_3genE4ELNS1_11target_archE910ELNS1_3gpuE8ELNS1_3repE0EEENS1_30default_config_static_selectorELNS0_4arch9wavefront6targetE0EEEvT1_,"axG",@progbits,_ZN7rocprim17ROCPRIM_400000_NS6detail17trampoline_kernelINS0_14default_configENS1_20scan_config_selectorIlEEZZNS1_9scan_implILNS1_25lookback_scan_determinismE0ELb0ELb0ES3_PlS8_lN6thrust23THRUST_200600_302600_NS4plusIvEElEEDaPvRmT3_T4_T5_mT6_P12ihipStream_tbENKUlT_T0_E_clISt17integral_constantIbLb0EESP_IbLb1EEEEDaSL_SM_EUlSL_E_NS1_11comp_targetILNS1_3genE4ELNS1_11target_archE910ELNS1_3gpuE8ELNS1_3repE0EEENS1_30default_config_static_selectorELNS0_4arch9wavefront6targetE0EEEvT1_,comdat
.Lfunc_end143:
	.size	_ZN7rocprim17ROCPRIM_400000_NS6detail17trampoline_kernelINS0_14default_configENS1_20scan_config_selectorIlEEZZNS1_9scan_implILNS1_25lookback_scan_determinismE0ELb0ELb0ES3_PlS8_lN6thrust23THRUST_200600_302600_NS4plusIvEElEEDaPvRmT3_T4_T5_mT6_P12ihipStream_tbENKUlT_T0_E_clISt17integral_constantIbLb0EESP_IbLb1EEEEDaSL_SM_EUlSL_E_NS1_11comp_targetILNS1_3genE4ELNS1_11target_archE910ELNS1_3gpuE8ELNS1_3repE0EEENS1_30default_config_static_selectorELNS0_4arch9wavefront6targetE0EEEvT1_, .Lfunc_end143-_ZN7rocprim17ROCPRIM_400000_NS6detail17trampoline_kernelINS0_14default_configENS1_20scan_config_selectorIlEEZZNS1_9scan_implILNS1_25lookback_scan_determinismE0ELb0ELb0ES3_PlS8_lN6thrust23THRUST_200600_302600_NS4plusIvEElEEDaPvRmT3_T4_T5_mT6_P12ihipStream_tbENKUlT_T0_E_clISt17integral_constantIbLb0EESP_IbLb1EEEEDaSL_SM_EUlSL_E_NS1_11comp_targetILNS1_3genE4ELNS1_11target_archE910ELNS1_3gpuE8ELNS1_3repE0EEENS1_30default_config_static_selectorELNS0_4arch9wavefront6targetE0EEEvT1_
                                        ; -- End function
	.set _ZN7rocprim17ROCPRIM_400000_NS6detail17trampoline_kernelINS0_14default_configENS1_20scan_config_selectorIlEEZZNS1_9scan_implILNS1_25lookback_scan_determinismE0ELb0ELb0ES3_PlS8_lN6thrust23THRUST_200600_302600_NS4plusIvEElEEDaPvRmT3_T4_T5_mT6_P12ihipStream_tbENKUlT_T0_E_clISt17integral_constantIbLb0EESP_IbLb1EEEEDaSL_SM_EUlSL_E_NS1_11comp_targetILNS1_3genE4ELNS1_11target_archE910ELNS1_3gpuE8ELNS1_3repE0EEENS1_30default_config_static_selectorELNS0_4arch9wavefront6targetE0EEEvT1_.num_vgpr, 0
	.set _ZN7rocprim17ROCPRIM_400000_NS6detail17trampoline_kernelINS0_14default_configENS1_20scan_config_selectorIlEEZZNS1_9scan_implILNS1_25lookback_scan_determinismE0ELb0ELb0ES3_PlS8_lN6thrust23THRUST_200600_302600_NS4plusIvEElEEDaPvRmT3_T4_T5_mT6_P12ihipStream_tbENKUlT_T0_E_clISt17integral_constantIbLb0EESP_IbLb1EEEEDaSL_SM_EUlSL_E_NS1_11comp_targetILNS1_3genE4ELNS1_11target_archE910ELNS1_3gpuE8ELNS1_3repE0EEENS1_30default_config_static_selectorELNS0_4arch9wavefront6targetE0EEEvT1_.num_agpr, 0
	.set _ZN7rocprim17ROCPRIM_400000_NS6detail17trampoline_kernelINS0_14default_configENS1_20scan_config_selectorIlEEZZNS1_9scan_implILNS1_25lookback_scan_determinismE0ELb0ELb0ES3_PlS8_lN6thrust23THRUST_200600_302600_NS4plusIvEElEEDaPvRmT3_T4_T5_mT6_P12ihipStream_tbENKUlT_T0_E_clISt17integral_constantIbLb0EESP_IbLb1EEEEDaSL_SM_EUlSL_E_NS1_11comp_targetILNS1_3genE4ELNS1_11target_archE910ELNS1_3gpuE8ELNS1_3repE0EEENS1_30default_config_static_selectorELNS0_4arch9wavefront6targetE0EEEvT1_.numbered_sgpr, 0
	.set _ZN7rocprim17ROCPRIM_400000_NS6detail17trampoline_kernelINS0_14default_configENS1_20scan_config_selectorIlEEZZNS1_9scan_implILNS1_25lookback_scan_determinismE0ELb0ELb0ES3_PlS8_lN6thrust23THRUST_200600_302600_NS4plusIvEElEEDaPvRmT3_T4_T5_mT6_P12ihipStream_tbENKUlT_T0_E_clISt17integral_constantIbLb0EESP_IbLb1EEEEDaSL_SM_EUlSL_E_NS1_11comp_targetILNS1_3genE4ELNS1_11target_archE910ELNS1_3gpuE8ELNS1_3repE0EEENS1_30default_config_static_selectorELNS0_4arch9wavefront6targetE0EEEvT1_.num_named_barrier, 0
	.set _ZN7rocprim17ROCPRIM_400000_NS6detail17trampoline_kernelINS0_14default_configENS1_20scan_config_selectorIlEEZZNS1_9scan_implILNS1_25lookback_scan_determinismE0ELb0ELb0ES3_PlS8_lN6thrust23THRUST_200600_302600_NS4plusIvEElEEDaPvRmT3_T4_T5_mT6_P12ihipStream_tbENKUlT_T0_E_clISt17integral_constantIbLb0EESP_IbLb1EEEEDaSL_SM_EUlSL_E_NS1_11comp_targetILNS1_3genE4ELNS1_11target_archE910ELNS1_3gpuE8ELNS1_3repE0EEENS1_30default_config_static_selectorELNS0_4arch9wavefront6targetE0EEEvT1_.private_seg_size, 0
	.set _ZN7rocprim17ROCPRIM_400000_NS6detail17trampoline_kernelINS0_14default_configENS1_20scan_config_selectorIlEEZZNS1_9scan_implILNS1_25lookback_scan_determinismE0ELb0ELb0ES3_PlS8_lN6thrust23THRUST_200600_302600_NS4plusIvEElEEDaPvRmT3_T4_T5_mT6_P12ihipStream_tbENKUlT_T0_E_clISt17integral_constantIbLb0EESP_IbLb1EEEEDaSL_SM_EUlSL_E_NS1_11comp_targetILNS1_3genE4ELNS1_11target_archE910ELNS1_3gpuE8ELNS1_3repE0EEENS1_30default_config_static_selectorELNS0_4arch9wavefront6targetE0EEEvT1_.uses_vcc, 0
	.set _ZN7rocprim17ROCPRIM_400000_NS6detail17trampoline_kernelINS0_14default_configENS1_20scan_config_selectorIlEEZZNS1_9scan_implILNS1_25lookback_scan_determinismE0ELb0ELb0ES3_PlS8_lN6thrust23THRUST_200600_302600_NS4plusIvEElEEDaPvRmT3_T4_T5_mT6_P12ihipStream_tbENKUlT_T0_E_clISt17integral_constantIbLb0EESP_IbLb1EEEEDaSL_SM_EUlSL_E_NS1_11comp_targetILNS1_3genE4ELNS1_11target_archE910ELNS1_3gpuE8ELNS1_3repE0EEENS1_30default_config_static_selectorELNS0_4arch9wavefront6targetE0EEEvT1_.uses_flat_scratch, 0
	.set _ZN7rocprim17ROCPRIM_400000_NS6detail17trampoline_kernelINS0_14default_configENS1_20scan_config_selectorIlEEZZNS1_9scan_implILNS1_25lookback_scan_determinismE0ELb0ELb0ES3_PlS8_lN6thrust23THRUST_200600_302600_NS4plusIvEElEEDaPvRmT3_T4_T5_mT6_P12ihipStream_tbENKUlT_T0_E_clISt17integral_constantIbLb0EESP_IbLb1EEEEDaSL_SM_EUlSL_E_NS1_11comp_targetILNS1_3genE4ELNS1_11target_archE910ELNS1_3gpuE8ELNS1_3repE0EEENS1_30default_config_static_selectorELNS0_4arch9wavefront6targetE0EEEvT1_.has_dyn_sized_stack, 0
	.set _ZN7rocprim17ROCPRIM_400000_NS6detail17trampoline_kernelINS0_14default_configENS1_20scan_config_selectorIlEEZZNS1_9scan_implILNS1_25lookback_scan_determinismE0ELb0ELb0ES3_PlS8_lN6thrust23THRUST_200600_302600_NS4plusIvEElEEDaPvRmT3_T4_T5_mT6_P12ihipStream_tbENKUlT_T0_E_clISt17integral_constantIbLb0EESP_IbLb1EEEEDaSL_SM_EUlSL_E_NS1_11comp_targetILNS1_3genE4ELNS1_11target_archE910ELNS1_3gpuE8ELNS1_3repE0EEENS1_30default_config_static_selectorELNS0_4arch9wavefront6targetE0EEEvT1_.has_recursion, 0
	.set _ZN7rocprim17ROCPRIM_400000_NS6detail17trampoline_kernelINS0_14default_configENS1_20scan_config_selectorIlEEZZNS1_9scan_implILNS1_25lookback_scan_determinismE0ELb0ELb0ES3_PlS8_lN6thrust23THRUST_200600_302600_NS4plusIvEElEEDaPvRmT3_T4_T5_mT6_P12ihipStream_tbENKUlT_T0_E_clISt17integral_constantIbLb0EESP_IbLb1EEEEDaSL_SM_EUlSL_E_NS1_11comp_targetILNS1_3genE4ELNS1_11target_archE910ELNS1_3gpuE8ELNS1_3repE0EEENS1_30default_config_static_selectorELNS0_4arch9wavefront6targetE0EEEvT1_.has_indirect_call, 0
	.section	.AMDGPU.csdata,"",@progbits
; Kernel info:
; codeLenInByte = 0
; TotalNumSgprs: 0
; NumVgprs: 0
; ScratchSize: 0
; MemoryBound: 0
; FloatMode: 240
; IeeeMode: 1
; LDSByteSize: 0 bytes/workgroup (compile time only)
; SGPRBlocks: 0
; VGPRBlocks: 0
; NumSGPRsForWavesPerEU: 1
; NumVGPRsForWavesPerEU: 1
; NamedBarCnt: 0
; Occupancy: 16
; WaveLimiterHint : 0
; COMPUTE_PGM_RSRC2:SCRATCH_EN: 0
; COMPUTE_PGM_RSRC2:USER_SGPR: 2
; COMPUTE_PGM_RSRC2:TRAP_HANDLER: 0
; COMPUTE_PGM_RSRC2:TGID_X_EN: 1
; COMPUTE_PGM_RSRC2:TGID_Y_EN: 0
; COMPUTE_PGM_RSRC2:TGID_Z_EN: 0
; COMPUTE_PGM_RSRC2:TIDIG_COMP_CNT: 0
	.section	.text._ZN7rocprim17ROCPRIM_400000_NS6detail17trampoline_kernelINS0_14default_configENS1_20scan_config_selectorIlEEZZNS1_9scan_implILNS1_25lookback_scan_determinismE0ELb0ELb0ES3_PlS8_lN6thrust23THRUST_200600_302600_NS4plusIvEElEEDaPvRmT3_T4_T5_mT6_P12ihipStream_tbENKUlT_T0_E_clISt17integral_constantIbLb0EESP_IbLb1EEEEDaSL_SM_EUlSL_E_NS1_11comp_targetILNS1_3genE3ELNS1_11target_archE908ELNS1_3gpuE7ELNS1_3repE0EEENS1_30default_config_static_selectorELNS0_4arch9wavefront6targetE0EEEvT1_,"axG",@progbits,_ZN7rocprim17ROCPRIM_400000_NS6detail17trampoline_kernelINS0_14default_configENS1_20scan_config_selectorIlEEZZNS1_9scan_implILNS1_25lookback_scan_determinismE0ELb0ELb0ES3_PlS8_lN6thrust23THRUST_200600_302600_NS4plusIvEElEEDaPvRmT3_T4_T5_mT6_P12ihipStream_tbENKUlT_T0_E_clISt17integral_constantIbLb0EESP_IbLb1EEEEDaSL_SM_EUlSL_E_NS1_11comp_targetILNS1_3genE3ELNS1_11target_archE908ELNS1_3gpuE7ELNS1_3repE0EEENS1_30default_config_static_selectorELNS0_4arch9wavefront6targetE0EEEvT1_,comdat
	.protected	_ZN7rocprim17ROCPRIM_400000_NS6detail17trampoline_kernelINS0_14default_configENS1_20scan_config_selectorIlEEZZNS1_9scan_implILNS1_25lookback_scan_determinismE0ELb0ELb0ES3_PlS8_lN6thrust23THRUST_200600_302600_NS4plusIvEElEEDaPvRmT3_T4_T5_mT6_P12ihipStream_tbENKUlT_T0_E_clISt17integral_constantIbLb0EESP_IbLb1EEEEDaSL_SM_EUlSL_E_NS1_11comp_targetILNS1_3genE3ELNS1_11target_archE908ELNS1_3gpuE7ELNS1_3repE0EEENS1_30default_config_static_selectorELNS0_4arch9wavefront6targetE0EEEvT1_ ; -- Begin function _ZN7rocprim17ROCPRIM_400000_NS6detail17trampoline_kernelINS0_14default_configENS1_20scan_config_selectorIlEEZZNS1_9scan_implILNS1_25lookback_scan_determinismE0ELb0ELb0ES3_PlS8_lN6thrust23THRUST_200600_302600_NS4plusIvEElEEDaPvRmT3_T4_T5_mT6_P12ihipStream_tbENKUlT_T0_E_clISt17integral_constantIbLb0EESP_IbLb1EEEEDaSL_SM_EUlSL_E_NS1_11comp_targetILNS1_3genE3ELNS1_11target_archE908ELNS1_3gpuE7ELNS1_3repE0EEENS1_30default_config_static_selectorELNS0_4arch9wavefront6targetE0EEEvT1_
	.globl	_ZN7rocprim17ROCPRIM_400000_NS6detail17trampoline_kernelINS0_14default_configENS1_20scan_config_selectorIlEEZZNS1_9scan_implILNS1_25lookback_scan_determinismE0ELb0ELb0ES3_PlS8_lN6thrust23THRUST_200600_302600_NS4plusIvEElEEDaPvRmT3_T4_T5_mT6_P12ihipStream_tbENKUlT_T0_E_clISt17integral_constantIbLb0EESP_IbLb1EEEEDaSL_SM_EUlSL_E_NS1_11comp_targetILNS1_3genE3ELNS1_11target_archE908ELNS1_3gpuE7ELNS1_3repE0EEENS1_30default_config_static_selectorELNS0_4arch9wavefront6targetE0EEEvT1_
	.p2align	8
	.type	_ZN7rocprim17ROCPRIM_400000_NS6detail17trampoline_kernelINS0_14default_configENS1_20scan_config_selectorIlEEZZNS1_9scan_implILNS1_25lookback_scan_determinismE0ELb0ELb0ES3_PlS8_lN6thrust23THRUST_200600_302600_NS4plusIvEElEEDaPvRmT3_T4_T5_mT6_P12ihipStream_tbENKUlT_T0_E_clISt17integral_constantIbLb0EESP_IbLb1EEEEDaSL_SM_EUlSL_E_NS1_11comp_targetILNS1_3genE3ELNS1_11target_archE908ELNS1_3gpuE7ELNS1_3repE0EEENS1_30default_config_static_selectorELNS0_4arch9wavefront6targetE0EEEvT1_,@function
_ZN7rocprim17ROCPRIM_400000_NS6detail17trampoline_kernelINS0_14default_configENS1_20scan_config_selectorIlEEZZNS1_9scan_implILNS1_25lookback_scan_determinismE0ELb0ELb0ES3_PlS8_lN6thrust23THRUST_200600_302600_NS4plusIvEElEEDaPvRmT3_T4_T5_mT6_P12ihipStream_tbENKUlT_T0_E_clISt17integral_constantIbLb0EESP_IbLb1EEEEDaSL_SM_EUlSL_E_NS1_11comp_targetILNS1_3genE3ELNS1_11target_archE908ELNS1_3gpuE7ELNS1_3repE0EEENS1_30default_config_static_selectorELNS0_4arch9wavefront6targetE0EEEvT1_: ; @_ZN7rocprim17ROCPRIM_400000_NS6detail17trampoline_kernelINS0_14default_configENS1_20scan_config_selectorIlEEZZNS1_9scan_implILNS1_25lookback_scan_determinismE0ELb0ELb0ES3_PlS8_lN6thrust23THRUST_200600_302600_NS4plusIvEElEEDaPvRmT3_T4_T5_mT6_P12ihipStream_tbENKUlT_T0_E_clISt17integral_constantIbLb0EESP_IbLb1EEEEDaSL_SM_EUlSL_E_NS1_11comp_targetILNS1_3genE3ELNS1_11target_archE908ELNS1_3gpuE7ELNS1_3repE0EEENS1_30default_config_static_selectorELNS0_4arch9wavefront6targetE0EEEvT1_
; %bb.0:
	.section	.rodata,"a",@progbits
	.p2align	6, 0x0
	.amdhsa_kernel _ZN7rocprim17ROCPRIM_400000_NS6detail17trampoline_kernelINS0_14default_configENS1_20scan_config_selectorIlEEZZNS1_9scan_implILNS1_25lookback_scan_determinismE0ELb0ELb0ES3_PlS8_lN6thrust23THRUST_200600_302600_NS4plusIvEElEEDaPvRmT3_T4_T5_mT6_P12ihipStream_tbENKUlT_T0_E_clISt17integral_constantIbLb0EESP_IbLb1EEEEDaSL_SM_EUlSL_E_NS1_11comp_targetILNS1_3genE3ELNS1_11target_archE908ELNS1_3gpuE7ELNS1_3repE0EEENS1_30default_config_static_selectorELNS0_4arch9wavefront6targetE0EEEvT1_
		.amdhsa_group_segment_fixed_size 0
		.amdhsa_private_segment_fixed_size 0
		.amdhsa_kernarg_size 104
		.amdhsa_user_sgpr_count 2
		.amdhsa_user_sgpr_dispatch_ptr 0
		.amdhsa_user_sgpr_queue_ptr 0
		.amdhsa_user_sgpr_kernarg_segment_ptr 1
		.amdhsa_user_sgpr_dispatch_id 0
		.amdhsa_user_sgpr_kernarg_preload_length 0
		.amdhsa_user_sgpr_kernarg_preload_offset 0
		.amdhsa_user_sgpr_private_segment_size 0
		.amdhsa_wavefront_size32 1
		.amdhsa_uses_dynamic_stack 0
		.amdhsa_enable_private_segment 0
		.amdhsa_system_sgpr_workgroup_id_x 1
		.amdhsa_system_sgpr_workgroup_id_y 0
		.amdhsa_system_sgpr_workgroup_id_z 0
		.amdhsa_system_sgpr_workgroup_info 0
		.amdhsa_system_vgpr_workitem_id 0
		.amdhsa_next_free_vgpr 1
		.amdhsa_next_free_sgpr 1
		.amdhsa_named_barrier_count 0
		.amdhsa_reserve_vcc 0
		.amdhsa_float_round_mode_32 0
		.amdhsa_float_round_mode_16_64 0
		.amdhsa_float_denorm_mode_32 3
		.amdhsa_float_denorm_mode_16_64 3
		.amdhsa_fp16_overflow 0
		.amdhsa_memory_ordered 1
		.amdhsa_forward_progress 1
		.amdhsa_inst_pref_size 0
		.amdhsa_round_robin_scheduling 0
		.amdhsa_exception_fp_ieee_invalid_op 0
		.amdhsa_exception_fp_denorm_src 0
		.amdhsa_exception_fp_ieee_div_zero 0
		.amdhsa_exception_fp_ieee_overflow 0
		.amdhsa_exception_fp_ieee_underflow 0
		.amdhsa_exception_fp_ieee_inexact 0
		.amdhsa_exception_int_div_zero 0
	.end_amdhsa_kernel
	.section	.text._ZN7rocprim17ROCPRIM_400000_NS6detail17trampoline_kernelINS0_14default_configENS1_20scan_config_selectorIlEEZZNS1_9scan_implILNS1_25lookback_scan_determinismE0ELb0ELb0ES3_PlS8_lN6thrust23THRUST_200600_302600_NS4plusIvEElEEDaPvRmT3_T4_T5_mT6_P12ihipStream_tbENKUlT_T0_E_clISt17integral_constantIbLb0EESP_IbLb1EEEEDaSL_SM_EUlSL_E_NS1_11comp_targetILNS1_3genE3ELNS1_11target_archE908ELNS1_3gpuE7ELNS1_3repE0EEENS1_30default_config_static_selectorELNS0_4arch9wavefront6targetE0EEEvT1_,"axG",@progbits,_ZN7rocprim17ROCPRIM_400000_NS6detail17trampoline_kernelINS0_14default_configENS1_20scan_config_selectorIlEEZZNS1_9scan_implILNS1_25lookback_scan_determinismE0ELb0ELb0ES3_PlS8_lN6thrust23THRUST_200600_302600_NS4plusIvEElEEDaPvRmT3_T4_T5_mT6_P12ihipStream_tbENKUlT_T0_E_clISt17integral_constantIbLb0EESP_IbLb1EEEEDaSL_SM_EUlSL_E_NS1_11comp_targetILNS1_3genE3ELNS1_11target_archE908ELNS1_3gpuE7ELNS1_3repE0EEENS1_30default_config_static_selectorELNS0_4arch9wavefront6targetE0EEEvT1_,comdat
.Lfunc_end144:
	.size	_ZN7rocprim17ROCPRIM_400000_NS6detail17trampoline_kernelINS0_14default_configENS1_20scan_config_selectorIlEEZZNS1_9scan_implILNS1_25lookback_scan_determinismE0ELb0ELb0ES3_PlS8_lN6thrust23THRUST_200600_302600_NS4plusIvEElEEDaPvRmT3_T4_T5_mT6_P12ihipStream_tbENKUlT_T0_E_clISt17integral_constantIbLb0EESP_IbLb1EEEEDaSL_SM_EUlSL_E_NS1_11comp_targetILNS1_3genE3ELNS1_11target_archE908ELNS1_3gpuE7ELNS1_3repE0EEENS1_30default_config_static_selectorELNS0_4arch9wavefront6targetE0EEEvT1_, .Lfunc_end144-_ZN7rocprim17ROCPRIM_400000_NS6detail17trampoline_kernelINS0_14default_configENS1_20scan_config_selectorIlEEZZNS1_9scan_implILNS1_25lookback_scan_determinismE0ELb0ELb0ES3_PlS8_lN6thrust23THRUST_200600_302600_NS4plusIvEElEEDaPvRmT3_T4_T5_mT6_P12ihipStream_tbENKUlT_T0_E_clISt17integral_constantIbLb0EESP_IbLb1EEEEDaSL_SM_EUlSL_E_NS1_11comp_targetILNS1_3genE3ELNS1_11target_archE908ELNS1_3gpuE7ELNS1_3repE0EEENS1_30default_config_static_selectorELNS0_4arch9wavefront6targetE0EEEvT1_
                                        ; -- End function
	.set _ZN7rocprim17ROCPRIM_400000_NS6detail17trampoline_kernelINS0_14default_configENS1_20scan_config_selectorIlEEZZNS1_9scan_implILNS1_25lookback_scan_determinismE0ELb0ELb0ES3_PlS8_lN6thrust23THRUST_200600_302600_NS4plusIvEElEEDaPvRmT3_T4_T5_mT6_P12ihipStream_tbENKUlT_T0_E_clISt17integral_constantIbLb0EESP_IbLb1EEEEDaSL_SM_EUlSL_E_NS1_11comp_targetILNS1_3genE3ELNS1_11target_archE908ELNS1_3gpuE7ELNS1_3repE0EEENS1_30default_config_static_selectorELNS0_4arch9wavefront6targetE0EEEvT1_.num_vgpr, 0
	.set _ZN7rocprim17ROCPRIM_400000_NS6detail17trampoline_kernelINS0_14default_configENS1_20scan_config_selectorIlEEZZNS1_9scan_implILNS1_25lookback_scan_determinismE0ELb0ELb0ES3_PlS8_lN6thrust23THRUST_200600_302600_NS4plusIvEElEEDaPvRmT3_T4_T5_mT6_P12ihipStream_tbENKUlT_T0_E_clISt17integral_constantIbLb0EESP_IbLb1EEEEDaSL_SM_EUlSL_E_NS1_11comp_targetILNS1_3genE3ELNS1_11target_archE908ELNS1_3gpuE7ELNS1_3repE0EEENS1_30default_config_static_selectorELNS0_4arch9wavefront6targetE0EEEvT1_.num_agpr, 0
	.set _ZN7rocprim17ROCPRIM_400000_NS6detail17trampoline_kernelINS0_14default_configENS1_20scan_config_selectorIlEEZZNS1_9scan_implILNS1_25lookback_scan_determinismE0ELb0ELb0ES3_PlS8_lN6thrust23THRUST_200600_302600_NS4plusIvEElEEDaPvRmT3_T4_T5_mT6_P12ihipStream_tbENKUlT_T0_E_clISt17integral_constantIbLb0EESP_IbLb1EEEEDaSL_SM_EUlSL_E_NS1_11comp_targetILNS1_3genE3ELNS1_11target_archE908ELNS1_3gpuE7ELNS1_3repE0EEENS1_30default_config_static_selectorELNS0_4arch9wavefront6targetE0EEEvT1_.numbered_sgpr, 0
	.set _ZN7rocprim17ROCPRIM_400000_NS6detail17trampoline_kernelINS0_14default_configENS1_20scan_config_selectorIlEEZZNS1_9scan_implILNS1_25lookback_scan_determinismE0ELb0ELb0ES3_PlS8_lN6thrust23THRUST_200600_302600_NS4plusIvEElEEDaPvRmT3_T4_T5_mT6_P12ihipStream_tbENKUlT_T0_E_clISt17integral_constantIbLb0EESP_IbLb1EEEEDaSL_SM_EUlSL_E_NS1_11comp_targetILNS1_3genE3ELNS1_11target_archE908ELNS1_3gpuE7ELNS1_3repE0EEENS1_30default_config_static_selectorELNS0_4arch9wavefront6targetE0EEEvT1_.num_named_barrier, 0
	.set _ZN7rocprim17ROCPRIM_400000_NS6detail17trampoline_kernelINS0_14default_configENS1_20scan_config_selectorIlEEZZNS1_9scan_implILNS1_25lookback_scan_determinismE0ELb0ELb0ES3_PlS8_lN6thrust23THRUST_200600_302600_NS4plusIvEElEEDaPvRmT3_T4_T5_mT6_P12ihipStream_tbENKUlT_T0_E_clISt17integral_constantIbLb0EESP_IbLb1EEEEDaSL_SM_EUlSL_E_NS1_11comp_targetILNS1_3genE3ELNS1_11target_archE908ELNS1_3gpuE7ELNS1_3repE0EEENS1_30default_config_static_selectorELNS0_4arch9wavefront6targetE0EEEvT1_.private_seg_size, 0
	.set _ZN7rocprim17ROCPRIM_400000_NS6detail17trampoline_kernelINS0_14default_configENS1_20scan_config_selectorIlEEZZNS1_9scan_implILNS1_25lookback_scan_determinismE0ELb0ELb0ES3_PlS8_lN6thrust23THRUST_200600_302600_NS4plusIvEElEEDaPvRmT3_T4_T5_mT6_P12ihipStream_tbENKUlT_T0_E_clISt17integral_constantIbLb0EESP_IbLb1EEEEDaSL_SM_EUlSL_E_NS1_11comp_targetILNS1_3genE3ELNS1_11target_archE908ELNS1_3gpuE7ELNS1_3repE0EEENS1_30default_config_static_selectorELNS0_4arch9wavefront6targetE0EEEvT1_.uses_vcc, 0
	.set _ZN7rocprim17ROCPRIM_400000_NS6detail17trampoline_kernelINS0_14default_configENS1_20scan_config_selectorIlEEZZNS1_9scan_implILNS1_25lookback_scan_determinismE0ELb0ELb0ES3_PlS8_lN6thrust23THRUST_200600_302600_NS4plusIvEElEEDaPvRmT3_T4_T5_mT6_P12ihipStream_tbENKUlT_T0_E_clISt17integral_constantIbLb0EESP_IbLb1EEEEDaSL_SM_EUlSL_E_NS1_11comp_targetILNS1_3genE3ELNS1_11target_archE908ELNS1_3gpuE7ELNS1_3repE0EEENS1_30default_config_static_selectorELNS0_4arch9wavefront6targetE0EEEvT1_.uses_flat_scratch, 0
	.set _ZN7rocprim17ROCPRIM_400000_NS6detail17trampoline_kernelINS0_14default_configENS1_20scan_config_selectorIlEEZZNS1_9scan_implILNS1_25lookback_scan_determinismE0ELb0ELb0ES3_PlS8_lN6thrust23THRUST_200600_302600_NS4plusIvEElEEDaPvRmT3_T4_T5_mT6_P12ihipStream_tbENKUlT_T0_E_clISt17integral_constantIbLb0EESP_IbLb1EEEEDaSL_SM_EUlSL_E_NS1_11comp_targetILNS1_3genE3ELNS1_11target_archE908ELNS1_3gpuE7ELNS1_3repE0EEENS1_30default_config_static_selectorELNS0_4arch9wavefront6targetE0EEEvT1_.has_dyn_sized_stack, 0
	.set _ZN7rocprim17ROCPRIM_400000_NS6detail17trampoline_kernelINS0_14default_configENS1_20scan_config_selectorIlEEZZNS1_9scan_implILNS1_25lookback_scan_determinismE0ELb0ELb0ES3_PlS8_lN6thrust23THRUST_200600_302600_NS4plusIvEElEEDaPvRmT3_T4_T5_mT6_P12ihipStream_tbENKUlT_T0_E_clISt17integral_constantIbLb0EESP_IbLb1EEEEDaSL_SM_EUlSL_E_NS1_11comp_targetILNS1_3genE3ELNS1_11target_archE908ELNS1_3gpuE7ELNS1_3repE0EEENS1_30default_config_static_selectorELNS0_4arch9wavefront6targetE0EEEvT1_.has_recursion, 0
	.set _ZN7rocprim17ROCPRIM_400000_NS6detail17trampoline_kernelINS0_14default_configENS1_20scan_config_selectorIlEEZZNS1_9scan_implILNS1_25lookback_scan_determinismE0ELb0ELb0ES3_PlS8_lN6thrust23THRUST_200600_302600_NS4plusIvEElEEDaPvRmT3_T4_T5_mT6_P12ihipStream_tbENKUlT_T0_E_clISt17integral_constantIbLb0EESP_IbLb1EEEEDaSL_SM_EUlSL_E_NS1_11comp_targetILNS1_3genE3ELNS1_11target_archE908ELNS1_3gpuE7ELNS1_3repE0EEENS1_30default_config_static_selectorELNS0_4arch9wavefront6targetE0EEEvT1_.has_indirect_call, 0
	.section	.AMDGPU.csdata,"",@progbits
; Kernel info:
; codeLenInByte = 0
; TotalNumSgprs: 0
; NumVgprs: 0
; ScratchSize: 0
; MemoryBound: 0
; FloatMode: 240
; IeeeMode: 1
; LDSByteSize: 0 bytes/workgroup (compile time only)
; SGPRBlocks: 0
; VGPRBlocks: 0
; NumSGPRsForWavesPerEU: 1
; NumVGPRsForWavesPerEU: 1
; NamedBarCnt: 0
; Occupancy: 16
; WaveLimiterHint : 0
; COMPUTE_PGM_RSRC2:SCRATCH_EN: 0
; COMPUTE_PGM_RSRC2:USER_SGPR: 2
; COMPUTE_PGM_RSRC2:TRAP_HANDLER: 0
; COMPUTE_PGM_RSRC2:TGID_X_EN: 1
; COMPUTE_PGM_RSRC2:TGID_Y_EN: 0
; COMPUTE_PGM_RSRC2:TGID_Z_EN: 0
; COMPUTE_PGM_RSRC2:TIDIG_COMP_CNT: 0
	.section	.text._ZN7rocprim17ROCPRIM_400000_NS6detail17trampoline_kernelINS0_14default_configENS1_20scan_config_selectorIlEEZZNS1_9scan_implILNS1_25lookback_scan_determinismE0ELb0ELb0ES3_PlS8_lN6thrust23THRUST_200600_302600_NS4plusIvEElEEDaPvRmT3_T4_T5_mT6_P12ihipStream_tbENKUlT_T0_E_clISt17integral_constantIbLb0EESP_IbLb1EEEEDaSL_SM_EUlSL_E_NS1_11comp_targetILNS1_3genE2ELNS1_11target_archE906ELNS1_3gpuE6ELNS1_3repE0EEENS1_30default_config_static_selectorELNS0_4arch9wavefront6targetE0EEEvT1_,"axG",@progbits,_ZN7rocprim17ROCPRIM_400000_NS6detail17trampoline_kernelINS0_14default_configENS1_20scan_config_selectorIlEEZZNS1_9scan_implILNS1_25lookback_scan_determinismE0ELb0ELb0ES3_PlS8_lN6thrust23THRUST_200600_302600_NS4plusIvEElEEDaPvRmT3_T4_T5_mT6_P12ihipStream_tbENKUlT_T0_E_clISt17integral_constantIbLb0EESP_IbLb1EEEEDaSL_SM_EUlSL_E_NS1_11comp_targetILNS1_3genE2ELNS1_11target_archE906ELNS1_3gpuE6ELNS1_3repE0EEENS1_30default_config_static_selectorELNS0_4arch9wavefront6targetE0EEEvT1_,comdat
	.protected	_ZN7rocprim17ROCPRIM_400000_NS6detail17trampoline_kernelINS0_14default_configENS1_20scan_config_selectorIlEEZZNS1_9scan_implILNS1_25lookback_scan_determinismE0ELb0ELb0ES3_PlS8_lN6thrust23THRUST_200600_302600_NS4plusIvEElEEDaPvRmT3_T4_T5_mT6_P12ihipStream_tbENKUlT_T0_E_clISt17integral_constantIbLb0EESP_IbLb1EEEEDaSL_SM_EUlSL_E_NS1_11comp_targetILNS1_3genE2ELNS1_11target_archE906ELNS1_3gpuE6ELNS1_3repE0EEENS1_30default_config_static_selectorELNS0_4arch9wavefront6targetE0EEEvT1_ ; -- Begin function _ZN7rocprim17ROCPRIM_400000_NS6detail17trampoline_kernelINS0_14default_configENS1_20scan_config_selectorIlEEZZNS1_9scan_implILNS1_25lookback_scan_determinismE0ELb0ELb0ES3_PlS8_lN6thrust23THRUST_200600_302600_NS4plusIvEElEEDaPvRmT3_T4_T5_mT6_P12ihipStream_tbENKUlT_T0_E_clISt17integral_constantIbLb0EESP_IbLb1EEEEDaSL_SM_EUlSL_E_NS1_11comp_targetILNS1_3genE2ELNS1_11target_archE906ELNS1_3gpuE6ELNS1_3repE0EEENS1_30default_config_static_selectorELNS0_4arch9wavefront6targetE0EEEvT1_
	.globl	_ZN7rocprim17ROCPRIM_400000_NS6detail17trampoline_kernelINS0_14default_configENS1_20scan_config_selectorIlEEZZNS1_9scan_implILNS1_25lookback_scan_determinismE0ELb0ELb0ES3_PlS8_lN6thrust23THRUST_200600_302600_NS4plusIvEElEEDaPvRmT3_T4_T5_mT6_P12ihipStream_tbENKUlT_T0_E_clISt17integral_constantIbLb0EESP_IbLb1EEEEDaSL_SM_EUlSL_E_NS1_11comp_targetILNS1_3genE2ELNS1_11target_archE906ELNS1_3gpuE6ELNS1_3repE0EEENS1_30default_config_static_selectorELNS0_4arch9wavefront6targetE0EEEvT1_
	.p2align	8
	.type	_ZN7rocprim17ROCPRIM_400000_NS6detail17trampoline_kernelINS0_14default_configENS1_20scan_config_selectorIlEEZZNS1_9scan_implILNS1_25lookback_scan_determinismE0ELb0ELb0ES3_PlS8_lN6thrust23THRUST_200600_302600_NS4plusIvEElEEDaPvRmT3_T4_T5_mT6_P12ihipStream_tbENKUlT_T0_E_clISt17integral_constantIbLb0EESP_IbLb1EEEEDaSL_SM_EUlSL_E_NS1_11comp_targetILNS1_3genE2ELNS1_11target_archE906ELNS1_3gpuE6ELNS1_3repE0EEENS1_30default_config_static_selectorELNS0_4arch9wavefront6targetE0EEEvT1_,@function
_ZN7rocprim17ROCPRIM_400000_NS6detail17trampoline_kernelINS0_14default_configENS1_20scan_config_selectorIlEEZZNS1_9scan_implILNS1_25lookback_scan_determinismE0ELb0ELb0ES3_PlS8_lN6thrust23THRUST_200600_302600_NS4plusIvEElEEDaPvRmT3_T4_T5_mT6_P12ihipStream_tbENKUlT_T0_E_clISt17integral_constantIbLb0EESP_IbLb1EEEEDaSL_SM_EUlSL_E_NS1_11comp_targetILNS1_3genE2ELNS1_11target_archE906ELNS1_3gpuE6ELNS1_3repE0EEENS1_30default_config_static_selectorELNS0_4arch9wavefront6targetE0EEEvT1_: ; @_ZN7rocprim17ROCPRIM_400000_NS6detail17trampoline_kernelINS0_14default_configENS1_20scan_config_selectorIlEEZZNS1_9scan_implILNS1_25lookback_scan_determinismE0ELb0ELb0ES3_PlS8_lN6thrust23THRUST_200600_302600_NS4plusIvEElEEDaPvRmT3_T4_T5_mT6_P12ihipStream_tbENKUlT_T0_E_clISt17integral_constantIbLb0EESP_IbLb1EEEEDaSL_SM_EUlSL_E_NS1_11comp_targetILNS1_3genE2ELNS1_11target_archE906ELNS1_3gpuE6ELNS1_3repE0EEENS1_30default_config_static_selectorELNS0_4arch9wavefront6targetE0EEEvT1_
; %bb.0:
	.section	.rodata,"a",@progbits
	.p2align	6, 0x0
	.amdhsa_kernel _ZN7rocprim17ROCPRIM_400000_NS6detail17trampoline_kernelINS0_14default_configENS1_20scan_config_selectorIlEEZZNS1_9scan_implILNS1_25lookback_scan_determinismE0ELb0ELb0ES3_PlS8_lN6thrust23THRUST_200600_302600_NS4plusIvEElEEDaPvRmT3_T4_T5_mT6_P12ihipStream_tbENKUlT_T0_E_clISt17integral_constantIbLb0EESP_IbLb1EEEEDaSL_SM_EUlSL_E_NS1_11comp_targetILNS1_3genE2ELNS1_11target_archE906ELNS1_3gpuE6ELNS1_3repE0EEENS1_30default_config_static_selectorELNS0_4arch9wavefront6targetE0EEEvT1_
		.amdhsa_group_segment_fixed_size 0
		.amdhsa_private_segment_fixed_size 0
		.amdhsa_kernarg_size 104
		.amdhsa_user_sgpr_count 2
		.amdhsa_user_sgpr_dispatch_ptr 0
		.amdhsa_user_sgpr_queue_ptr 0
		.amdhsa_user_sgpr_kernarg_segment_ptr 1
		.amdhsa_user_sgpr_dispatch_id 0
		.amdhsa_user_sgpr_kernarg_preload_length 0
		.amdhsa_user_sgpr_kernarg_preload_offset 0
		.amdhsa_user_sgpr_private_segment_size 0
		.amdhsa_wavefront_size32 1
		.amdhsa_uses_dynamic_stack 0
		.amdhsa_enable_private_segment 0
		.amdhsa_system_sgpr_workgroup_id_x 1
		.amdhsa_system_sgpr_workgroup_id_y 0
		.amdhsa_system_sgpr_workgroup_id_z 0
		.amdhsa_system_sgpr_workgroup_info 0
		.amdhsa_system_vgpr_workitem_id 0
		.amdhsa_next_free_vgpr 1
		.amdhsa_next_free_sgpr 1
		.amdhsa_named_barrier_count 0
		.amdhsa_reserve_vcc 0
		.amdhsa_float_round_mode_32 0
		.amdhsa_float_round_mode_16_64 0
		.amdhsa_float_denorm_mode_32 3
		.amdhsa_float_denorm_mode_16_64 3
		.amdhsa_fp16_overflow 0
		.amdhsa_memory_ordered 1
		.amdhsa_forward_progress 1
		.amdhsa_inst_pref_size 0
		.amdhsa_round_robin_scheduling 0
		.amdhsa_exception_fp_ieee_invalid_op 0
		.amdhsa_exception_fp_denorm_src 0
		.amdhsa_exception_fp_ieee_div_zero 0
		.amdhsa_exception_fp_ieee_overflow 0
		.amdhsa_exception_fp_ieee_underflow 0
		.amdhsa_exception_fp_ieee_inexact 0
		.amdhsa_exception_int_div_zero 0
	.end_amdhsa_kernel
	.section	.text._ZN7rocprim17ROCPRIM_400000_NS6detail17trampoline_kernelINS0_14default_configENS1_20scan_config_selectorIlEEZZNS1_9scan_implILNS1_25lookback_scan_determinismE0ELb0ELb0ES3_PlS8_lN6thrust23THRUST_200600_302600_NS4plusIvEElEEDaPvRmT3_T4_T5_mT6_P12ihipStream_tbENKUlT_T0_E_clISt17integral_constantIbLb0EESP_IbLb1EEEEDaSL_SM_EUlSL_E_NS1_11comp_targetILNS1_3genE2ELNS1_11target_archE906ELNS1_3gpuE6ELNS1_3repE0EEENS1_30default_config_static_selectorELNS0_4arch9wavefront6targetE0EEEvT1_,"axG",@progbits,_ZN7rocprim17ROCPRIM_400000_NS6detail17trampoline_kernelINS0_14default_configENS1_20scan_config_selectorIlEEZZNS1_9scan_implILNS1_25lookback_scan_determinismE0ELb0ELb0ES3_PlS8_lN6thrust23THRUST_200600_302600_NS4plusIvEElEEDaPvRmT3_T4_T5_mT6_P12ihipStream_tbENKUlT_T0_E_clISt17integral_constantIbLb0EESP_IbLb1EEEEDaSL_SM_EUlSL_E_NS1_11comp_targetILNS1_3genE2ELNS1_11target_archE906ELNS1_3gpuE6ELNS1_3repE0EEENS1_30default_config_static_selectorELNS0_4arch9wavefront6targetE0EEEvT1_,comdat
.Lfunc_end145:
	.size	_ZN7rocprim17ROCPRIM_400000_NS6detail17trampoline_kernelINS0_14default_configENS1_20scan_config_selectorIlEEZZNS1_9scan_implILNS1_25lookback_scan_determinismE0ELb0ELb0ES3_PlS8_lN6thrust23THRUST_200600_302600_NS4plusIvEElEEDaPvRmT3_T4_T5_mT6_P12ihipStream_tbENKUlT_T0_E_clISt17integral_constantIbLb0EESP_IbLb1EEEEDaSL_SM_EUlSL_E_NS1_11comp_targetILNS1_3genE2ELNS1_11target_archE906ELNS1_3gpuE6ELNS1_3repE0EEENS1_30default_config_static_selectorELNS0_4arch9wavefront6targetE0EEEvT1_, .Lfunc_end145-_ZN7rocprim17ROCPRIM_400000_NS6detail17trampoline_kernelINS0_14default_configENS1_20scan_config_selectorIlEEZZNS1_9scan_implILNS1_25lookback_scan_determinismE0ELb0ELb0ES3_PlS8_lN6thrust23THRUST_200600_302600_NS4plusIvEElEEDaPvRmT3_T4_T5_mT6_P12ihipStream_tbENKUlT_T0_E_clISt17integral_constantIbLb0EESP_IbLb1EEEEDaSL_SM_EUlSL_E_NS1_11comp_targetILNS1_3genE2ELNS1_11target_archE906ELNS1_3gpuE6ELNS1_3repE0EEENS1_30default_config_static_selectorELNS0_4arch9wavefront6targetE0EEEvT1_
                                        ; -- End function
	.set _ZN7rocprim17ROCPRIM_400000_NS6detail17trampoline_kernelINS0_14default_configENS1_20scan_config_selectorIlEEZZNS1_9scan_implILNS1_25lookback_scan_determinismE0ELb0ELb0ES3_PlS8_lN6thrust23THRUST_200600_302600_NS4plusIvEElEEDaPvRmT3_T4_T5_mT6_P12ihipStream_tbENKUlT_T0_E_clISt17integral_constantIbLb0EESP_IbLb1EEEEDaSL_SM_EUlSL_E_NS1_11comp_targetILNS1_3genE2ELNS1_11target_archE906ELNS1_3gpuE6ELNS1_3repE0EEENS1_30default_config_static_selectorELNS0_4arch9wavefront6targetE0EEEvT1_.num_vgpr, 0
	.set _ZN7rocprim17ROCPRIM_400000_NS6detail17trampoline_kernelINS0_14default_configENS1_20scan_config_selectorIlEEZZNS1_9scan_implILNS1_25lookback_scan_determinismE0ELb0ELb0ES3_PlS8_lN6thrust23THRUST_200600_302600_NS4plusIvEElEEDaPvRmT3_T4_T5_mT6_P12ihipStream_tbENKUlT_T0_E_clISt17integral_constantIbLb0EESP_IbLb1EEEEDaSL_SM_EUlSL_E_NS1_11comp_targetILNS1_3genE2ELNS1_11target_archE906ELNS1_3gpuE6ELNS1_3repE0EEENS1_30default_config_static_selectorELNS0_4arch9wavefront6targetE0EEEvT1_.num_agpr, 0
	.set _ZN7rocprim17ROCPRIM_400000_NS6detail17trampoline_kernelINS0_14default_configENS1_20scan_config_selectorIlEEZZNS1_9scan_implILNS1_25lookback_scan_determinismE0ELb0ELb0ES3_PlS8_lN6thrust23THRUST_200600_302600_NS4plusIvEElEEDaPvRmT3_T4_T5_mT6_P12ihipStream_tbENKUlT_T0_E_clISt17integral_constantIbLb0EESP_IbLb1EEEEDaSL_SM_EUlSL_E_NS1_11comp_targetILNS1_3genE2ELNS1_11target_archE906ELNS1_3gpuE6ELNS1_3repE0EEENS1_30default_config_static_selectorELNS0_4arch9wavefront6targetE0EEEvT1_.numbered_sgpr, 0
	.set _ZN7rocprim17ROCPRIM_400000_NS6detail17trampoline_kernelINS0_14default_configENS1_20scan_config_selectorIlEEZZNS1_9scan_implILNS1_25lookback_scan_determinismE0ELb0ELb0ES3_PlS8_lN6thrust23THRUST_200600_302600_NS4plusIvEElEEDaPvRmT3_T4_T5_mT6_P12ihipStream_tbENKUlT_T0_E_clISt17integral_constantIbLb0EESP_IbLb1EEEEDaSL_SM_EUlSL_E_NS1_11comp_targetILNS1_3genE2ELNS1_11target_archE906ELNS1_3gpuE6ELNS1_3repE0EEENS1_30default_config_static_selectorELNS0_4arch9wavefront6targetE0EEEvT1_.num_named_barrier, 0
	.set _ZN7rocprim17ROCPRIM_400000_NS6detail17trampoline_kernelINS0_14default_configENS1_20scan_config_selectorIlEEZZNS1_9scan_implILNS1_25lookback_scan_determinismE0ELb0ELb0ES3_PlS8_lN6thrust23THRUST_200600_302600_NS4plusIvEElEEDaPvRmT3_T4_T5_mT6_P12ihipStream_tbENKUlT_T0_E_clISt17integral_constantIbLb0EESP_IbLb1EEEEDaSL_SM_EUlSL_E_NS1_11comp_targetILNS1_3genE2ELNS1_11target_archE906ELNS1_3gpuE6ELNS1_3repE0EEENS1_30default_config_static_selectorELNS0_4arch9wavefront6targetE0EEEvT1_.private_seg_size, 0
	.set _ZN7rocprim17ROCPRIM_400000_NS6detail17trampoline_kernelINS0_14default_configENS1_20scan_config_selectorIlEEZZNS1_9scan_implILNS1_25lookback_scan_determinismE0ELb0ELb0ES3_PlS8_lN6thrust23THRUST_200600_302600_NS4plusIvEElEEDaPvRmT3_T4_T5_mT6_P12ihipStream_tbENKUlT_T0_E_clISt17integral_constantIbLb0EESP_IbLb1EEEEDaSL_SM_EUlSL_E_NS1_11comp_targetILNS1_3genE2ELNS1_11target_archE906ELNS1_3gpuE6ELNS1_3repE0EEENS1_30default_config_static_selectorELNS0_4arch9wavefront6targetE0EEEvT1_.uses_vcc, 0
	.set _ZN7rocprim17ROCPRIM_400000_NS6detail17trampoline_kernelINS0_14default_configENS1_20scan_config_selectorIlEEZZNS1_9scan_implILNS1_25lookback_scan_determinismE0ELb0ELb0ES3_PlS8_lN6thrust23THRUST_200600_302600_NS4plusIvEElEEDaPvRmT3_T4_T5_mT6_P12ihipStream_tbENKUlT_T0_E_clISt17integral_constantIbLb0EESP_IbLb1EEEEDaSL_SM_EUlSL_E_NS1_11comp_targetILNS1_3genE2ELNS1_11target_archE906ELNS1_3gpuE6ELNS1_3repE0EEENS1_30default_config_static_selectorELNS0_4arch9wavefront6targetE0EEEvT1_.uses_flat_scratch, 0
	.set _ZN7rocprim17ROCPRIM_400000_NS6detail17trampoline_kernelINS0_14default_configENS1_20scan_config_selectorIlEEZZNS1_9scan_implILNS1_25lookback_scan_determinismE0ELb0ELb0ES3_PlS8_lN6thrust23THRUST_200600_302600_NS4plusIvEElEEDaPvRmT3_T4_T5_mT6_P12ihipStream_tbENKUlT_T0_E_clISt17integral_constantIbLb0EESP_IbLb1EEEEDaSL_SM_EUlSL_E_NS1_11comp_targetILNS1_3genE2ELNS1_11target_archE906ELNS1_3gpuE6ELNS1_3repE0EEENS1_30default_config_static_selectorELNS0_4arch9wavefront6targetE0EEEvT1_.has_dyn_sized_stack, 0
	.set _ZN7rocprim17ROCPRIM_400000_NS6detail17trampoline_kernelINS0_14default_configENS1_20scan_config_selectorIlEEZZNS1_9scan_implILNS1_25lookback_scan_determinismE0ELb0ELb0ES3_PlS8_lN6thrust23THRUST_200600_302600_NS4plusIvEElEEDaPvRmT3_T4_T5_mT6_P12ihipStream_tbENKUlT_T0_E_clISt17integral_constantIbLb0EESP_IbLb1EEEEDaSL_SM_EUlSL_E_NS1_11comp_targetILNS1_3genE2ELNS1_11target_archE906ELNS1_3gpuE6ELNS1_3repE0EEENS1_30default_config_static_selectorELNS0_4arch9wavefront6targetE0EEEvT1_.has_recursion, 0
	.set _ZN7rocprim17ROCPRIM_400000_NS6detail17trampoline_kernelINS0_14default_configENS1_20scan_config_selectorIlEEZZNS1_9scan_implILNS1_25lookback_scan_determinismE0ELb0ELb0ES3_PlS8_lN6thrust23THRUST_200600_302600_NS4plusIvEElEEDaPvRmT3_T4_T5_mT6_P12ihipStream_tbENKUlT_T0_E_clISt17integral_constantIbLb0EESP_IbLb1EEEEDaSL_SM_EUlSL_E_NS1_11comp_targetILNS1_3genE2ELNS1_11target_archE906ELNS1_3gpuE6ELNS1_3repE0EEENS1_30default_config_static_selectorELNS0_4arch9wavefront6targetE0EEEvT1_.has_indirect_call, 0
	.section	.AMDGPU.csdata,"",@progbits
; Kernel info:
; codeLenInByte = 0
; TotalNumSgprs: 0
; NumVgprs: 0
; ScratchSize: 0
; MemoryBound: 0
; FloatMode: 240
; IeeeMode: 1
; LDSByteSize: 0 bytes/workgroup (compile time only)
; SGPRBlocks: 0
; VGPRBlocks: 0
; NumSGPRsForWavesPerEU: 1
; NumVGPRsForWavesPerEU: 1
; NamedBarCnt: 0
; Occupancy: 16
; WaveLimiterHint : 0
; COMPUTE_PGM_RSRC2:SCRATCH_EN: 0
; COMPUTE_PGM_RSRC2:USER_SGPR: 2
; COMPUTE_PGM_RSRC2:TRAP_HANDLER: 0
; COMPUTE_PGM_RSRC2:TGID_X_EN: 1
; COMPUTE_PGM_RSRC2:TGID_Y_EN: 0
; COMPUTE_PGM_RSRC2:TGID_Z_EN: 0
; COMPUTE_PGM_RSRC2:TIDIG_COMP_CNT: 0
	.section	.text._ZN7rocprim17ROCPRIM_400000_NS6detail17trampoline_kernelINS0_14default_configENS1_20scan_config_selectorIlEEZZNS1_9scan_implILNS1_25lookback_scan_determinismE0ELb0ELb0ES3_PlS8_lN6thrust23THRUST_200600_302600_NS4plusIvEElEEDaPvRmT3_T4_T5_mT6_P12ihipStream_tbENKUlT_T0_E_clISt17integral_constantIbLb0EESP_IbLb1EEEEDaSL_SM_EUlSL_E_NS1_11comp_targetILNS1_3genE10ELNS1_11target_archE1201ELNS1_3gpuE5ELNS1_3repE0EEENS1_30default_config_static_selectorELNS0_4arch9wavefront6targetE0EEEvT1_,"axG",@progbits,_ZN7rocprim17ROCPRIM_400000_NS6detail17trampoline_kernelINS0_14default_configENS1_20scan_config_selectorIlEEZZNS1_9scan_implILNS1_25lookback_scan_determinismE0ELb0ELb0ES3_PlS8_lN6thrust23THRUST_200600_302600_NS4plusIvEElEEDaPvRmT3_T4_T5_mT6_P12ihipStream_tbENKUlT_T0_E_clISt17integral_constantIbLb0EESP_IbLb1EEEEDaSL_SM_EUlSL_E_NS1_11comp_targetILNS1_3genE10ELNS1_11target_archE1201ELNS1_3gpuE5ELNS1_3repE0EEENS1_30default_config_static_selectorELNS0_4arch9wavefront6targetE0EEEvT1_,comdat
	.protected	_ZN7rocprim17ROCPRIM_400000_NS6detail17trampoline_kernelINS0_14default_configENS1_20scan_config_selectorIlEEZZNS1_9scan_implILNS1_25lookback_scan_determinismE0ELb0ELb0ES3_PlS8_lN6thrust23THRUST_200600_302600_NS4plusIvEElEEDaPvRmT3_T4_T5_mT6_P12ihipStream_tbENKUlT_T0_E_clISt17integral_constantIbLb0EESP_IbLb1EEEEDaSL_SM_EUlSL_E_NS1_11comp_targetILNS1_3genE10ELNS1_11target_archE1201ELNS1_3gpuE5ELNS1_3repE0EEENS1_30default_config_static_selectorELNS0_4arch9wavefront6targetE0EEEvT1_ ; -- Begin function _ZN7rocprim17ROCPRIM_400000_NS6detail17trampoline_kernelINS0_14default_configENS1_20scan_config_selectorIlEEZZNS1_9scan_implILNS1_25lookback_scan_determinismE0ELb0ELb0ES3_PlS8_lN6thrust23THRUST_200600_302600_NS4plusIvEElEEDaPvRmT3_T4_T5_mT6_P12ihipStream_tbENKUlT_T0_E_clISt17integral_constantIbLb0EESP_IbLb1EEEEDaSL_SM_EUlSL_E_NS1_11comp_targetILNS1_3genE10ELNS1_11target_archE1201ELNS1_3gpuE5ELNS1_3repE0EEENS1_30default_config_static_selectorELNS0_4arch9wavefront6targetE0EEEvT1_
	.globl	_ZN7rocprim17ROCPRIM_400000_NS6detail17trampoline_kernelINS0_14default_configENS1_20scan_config_selectorIlEEZZNS1_9scan_implILNS1_25lookback_scan_determinismE0ELb0ELb0ES3_PlS8_lN6thrust23THRUST_200600_302600_NS4plusIvEElEEDaPvRmT3_T4_T5_mT6_P12ihipStream_tbENKUlT_T0_E_clISt17integral_constantIbLb0EESP_IbLb1EEEEDaSL_SM_EUlSL_E_NS1_11comp_targetILNS1_3genE10ELNS1_11target_archE1201ELNS1_3gpuE5ELNS1_3repE0EEENS1_30default_config_static_selectorELNS0_4arch9wavefront6targetE0EEEvT1_
	.p2align	8
	.type	_ZN7rocprim17ROCPRIM_400000_NS6detail17trampoline_kernelINS0_14default_configENS1_20scan_config_selectorIlEEZZNS1_9scan_implILNS1_25lookback_scan_determinismE0ELb0ELb0ES3_PlS8_lN6thrust23THRUST_200600_302600_NS4plusIvEElEEDaPvRmT3_T4_T5_mT6_P12ihipStream_tbENKUlT_T0_E_clISt17integral_constantIbLb0EESP_IbLb1EEEEDaSL_SM_EUlSL_E_NS1_11comp_targetILNS1_3genE10ELNS1_11target_archE1201ELNS1_3gpuE5ELNS1_3repE0EEENS1_30default_config_static_selectorELNS0_4arch9wavefront6targetE0EEEvT1_,@function
_ZN7rocprim17ROCPRIM_400000_NS6detail17trampoline_kernelINS0_14default_configENS1_20scan_config_selectorIlEEZZNS1_9scan_implILNS1_25lookback_scan_determinismE0ELb0ELb0ES3_PlS8_lN6thrust23THRUST_200600_302600_NS4plusIvEElEEDaPvRmT3_T4_T5_mT6_P12ihipStream_tbENKUlT_T0_E_clISt17integral_constantIbLb0EESP_IbLb1EEEEDaSL_SM_EUlSL_E_NS1_11comp_targetILNS1_3genE10ELNS1_11target_archE1201ELNS1_3gpuE5ELNS1_3repE0EEENS1_30default_config_static_selectorELNS0_4arch9wavefront6targetE0EEEvT1_: ; @_ZN7rocprim17ROCPRIM_400000_NS6detail17trampoline_kernelINS0_14default_configENS1_20scan_config_selectorIlEEZZNS1_9scan_implILNS1_25lookback_scan_determinismE0ELb0ELb0ES3_PlS8_lN6thrust23THRUST_200600_302600_NS4plusIvEElEEDaPvRmT3_T4_T5_mT6_P12ihipStream_tbENKUlT_T0_E_clISt17integral_constantIbLb0EESP_IbLb1EEEEDaSL_SM_EUlSL_E_NS1_11comp_targetILNS1_3genE10ELNS1_11target_archE1201ELNS1_3gpuE5ELNS1_3repE0EEENS1_30default_config_static_selectorELNS0_4arch9wavefront6targetE0EEEvT1_
; %bb.0:
	.section	.rodata,"a",@progbits
	.p2align	6, 0x0
	.amdhsa_kernel _ZN7rocprim17ROCPRIM_400000_NS6detail17trampoline_kernelINS0_14default_configENS1_20scan_config_selectorIlEEZZNS1_9scan_implILNS1_25lookback_scan_determinismE0ELb0ELb0ES3_PlS8_lN6thrust23THRUST_200600_302600_NS4plusIvEElEEDaPvRmT3_T4_T5_mT6_P12ihipStream_tbENKUlT_T0_E_clISt17integral_constantIbLb0EESP_IbLb1EEEEDaSL_SM_EUlSL_E_NS1_11comp_targetILNS1_3genE10ELNS1_11target_archE1201ELNS1_3gpuE5ELNS1_3repE0EEENS1_30default_config_static_selectorELNS0_4arch9wavefront6targetE0EEEvT1_
		.amdhsa_group_segment_fixed_size 0
		.amdhsa_private_segment_fixed_size 0
		.amdhsa_kernarg_size 104
		.amdhsa_user_sgpr_count 2
		.amdhsa_user_sgpr_dispatch_ptr 0
		.amdhsa_user_sgpr_queue_ptr 0
		.amdhsa_user_sgpr_kernarg_segment_ptr 1
		.amdhsa_user_sgpr_dispatch_id 0
		.amdhsa_user_sgpr_kernarg_preload_length 0
		.amdhsa_user_sgpr_kernarg_preload_offset 0
		.amdhsa_user_sgpr_private_segment_size 0
		.amdhsa_wavefront_size32 1
		.amdhsa_uses_dynamic_stack 0
		.amdhsa_enable_private_segment 0
		.amdhsa_system_sgpr_workgroup_id_x 1
		.amdhsa_system_sgpr_workgroup_id_y 0
		.amdhsa_system_sgpr_workgroup_id_z 0
		.amdhsa_system_sgpr_workgroup_info 0
		.amdhsa_system_vgpr_workitem_id 0
		.amdhsa_next_free_vgpr 1
		.amdhsa_next_free_sgpr 1
		.amdhsa_named_barrier_count 0
		.amdhsa_reserve_vcc 0
		.amdhsa_float_round_mode_32 0
		.amdhsa_float_round_mode_16_64 0
		.amdhsa_float_denorm_mode_32 3
		.amdhsa_float_denorm_mode_16_64 3
		.amdhsa_fp16_overflow 0
		.amdhsa_memory_ordered 1
		.amdhsa_forward_progress 1
		.amdhsa_inst_pref_size 0
		.amdhsa_round_robin_scheduling 0
		.amdhsa_exception_fp_ieee_invalid_op 0
		.amdhsa_exception_fp_denorm_src 0
		.amdhsa_exception_fp_ieee_div_zero 0
		.amdhsa_exception_fp_ieee_overflow 0
		.amdhsa_exception_fp_ieee_underflow 0
		.amdhsa_exception_fp_ieee_inexact 0
		.amdhsa_exception_int_div_zero 0
	.end_amdhsa_kernel
	.section	.text._ZN7rocprim17ROCPRIM_400000_NS6detail17trampoline_kernelINS0_14default_configENS1_20scan_config_selectorIlEEZZNS1_9scan_implILNS1_25lookback_scan_determinismE0ELb0ELb0ES3_PlS8_lN6thrust23THRUST_200600_302600_NS4plusIvEElEEDaPvRmT3_T4_T5_mT6_P12ihipStream_tbENKUlT_T0_E_clISt17integral_constantIbLb0EESP_IbLb1EEEEDaSL_SM_EUlSL_E_NS1_11comp_targetILNS1_3genE10ELNS1_11target_archE1201ELNS1_3gpuE5ELNS1_3repE0EEENS1_30default_config_static_selectorELNS0_4arch9wavefront6targetE0EEEvT1_,"axG",@progbits,_ZN7rocprim17ROCPRIM_400000_NS6detail17trampoline_kernelINS0_14default_configENS1_20scan_config_selectorIlEEZZNS1_9scan_implILNS1_25lookback_scan_determinismE0ELb0ELb0ES3_PlS8_lN6thrust23THRUST_200600_302600_NS4plusIvEElEEDaPvRmT3_T4_T5_mT6_P12ihipStream_tbENKUlT_T0_E_clISt17integral_constantIbLb0EESP_IbLb1EEEEDaSL_SM_EUlSL_E_NS1_11comp_targetILNS1_3genE10ELNS1_11target_archE1201ELNS1_3gpuE5ELNS1_3repE0EEENS1_30default_config_static_selectorELNS0_4arch9wavefront6targetE0EEEvT1_,comdat
.Lfunc_end146:
	.size	_ZN7rocprim17ROCPRIM_400000_NS6detail17trampoline_kernelINS0_14default_configENS1_20scan_config_selectorIlEEZZNS1_9scan_implILNS1_25lookback_scan_determinismE0ELb0ELb0ES3_PlS8_lN6thrust23THRUST_200600_302600_NS4plusIvEElEEDaPvRmT3_T4_T5_mT6_P12ihipStream_tbENKUlT_T0_E_clISt17integral_constantIbLb0EESP_IbLb1EEEEDaSL_SM_EUlSL_E_NS1_11comp_targetILNS1_3genE10ELNS1_11target_archE1201ELNS1_3gpuE5ELNS1_3repE0EEENS1_30default_config_static_selectorELNS0_4arch9wavefront6targetE0EEEvT1_, .Lfunc_end146-_ZN7rocprim17ROCPRIM_400000_NS6detail17trampoline_kernelINS0_14default_configENS1_20scan_config_selectorIlEEZZNS1_9scan_implILNS1_25lookback_scan_determinismE0ELb0ELb0ES3_PlS8_lN6thrust23THRUST_200600_302600_NS4plusIvEElEEDaPvRmT3_T4_T5_mT6_P12ihipStream_tbENKUlT_T0_E_clISt17integral_constantIbLb0EESP_IbLb1EEEEDaSL_SM_EUlSL_E_NS1_11comp_targetILNS1_3genE10ELNS1_11target_archE1201ELNS1_3gpuE5ELNS1_3repE0EEENS1_30default_config_static_selectorELNS0_4arch9wavefront6targetE0EEEvT1_
                                        ; -- End function
	.set _ZN7rocprim17ROCPRIM_400000_NS6detail17trampoline_kernelINS0_14default_configENS1_20scan_config_selectorIlEEZZNS1_9scan_implILNS1_25lookback_scan_determinismE0ELb0ELb0ES3_PlS8_lN6thrust23THRUST_200600_302600_NS4plusIvEElEEDaPvRmT3_T4_T5_mT6_P12ihipStream_tbENKUlT_T0_E_clISt17integral_constantIbLb0EESP_IbLb1EEEEDaSL_SM_EUlSL_E_NS1_11comp_targetILNS1_3genE10ELNS1_11target_archE1201ELNS1_3gpuE5ELNS1_3repE0EEENS1_30default_config_static_selectorELNS0_4arch9wavefront6targetE0EEEvT1_.num_vgpr, 0
	.set _ZN7rocprim17ROCPRIM_400000_NS6detail17trampoline_kernelINS0_14default_configENS1_20scan_config_selectorIlEEZZNS1_9scan_implILNS1_25lookback_scan_determinismE0ELb0ELb0ES3_PlS8_lN6thrust23THRUST_200600_302600_NS4plusIvEElEEDaPvRmT3_T4_T5_mT6_P12ihipStream_tbENKUlT_T0_E_clISt17integral_constantIbLb0EESP_IbLb1EEEEDaSL_SM_EUlSL_E_NS1_11comp_targetILNS1_3genE10ELNS1_11target_archE1201ELNS1_3gpuE5ELNS1_3repE0EEENS1_30default_config_static_selectorELNS0_4arch9wavefront6targetE0EEEvT1_.num_agpr, 0
	.set _ZN7rocprim17ROCPRIM_400000_NS6detail17trampoline_kernelINS0_14default_configENS1_20scan_config_selectorIlEEZZNS1_9scan_implILNS1_25lookback_scan_determinismE0ELb0ELb0ES3_PlS8_lN6thrust23THRUST_200600_302600_NS4plusIvEElEEDaPvRmT3_T4_T5_mT6_P12ihipStream_tbENKUlT_T0_E_clISt17integral_constantIbLb0EESP_IbLb1EEEEDaSL_SM_EUlSL_E_NS1_11comp_targetILNS1_3genE10ELNS1_11target_archE1201ELNS1_3gpuE5ELNS1_3repE0EEENS1_30default_config_static_selectorELNS0_4arch9wavefront6targetE0EEEvT1_.numbered_sgpr, 0
	.set _ZN7rocprim17ROCPRIM_400000_NS6detail17trampoline_kernelINS0_14default_configENS1_20scan_config_selectorIlEEZZNS1_9scan_implILNS1_25lookback_scan_determinismE0ELb0ELb0ES3_PlS8_lN6thrust23THRUST_200600_302600_NS4plusIvEElEEDaPvRmT3_T4_T5_mT6_P12ihipStream_tbENKUlT_T0_E_clISt17integral_constantIbLb0EESP_IbLb1EEEEDaSL_SM_EUlSL_E_NS1_11comp_targetILNS1_3genE10ELNS1_11target_archE1201ELNS1_3gpuE5ELNS1_3repE0EEENS1_30default_config_static_selectorELNS0_4arch9wavefront6targetE0EEEvT1_.num_named_barrier, 0
	.set _ZN7rocprim17ROCPRIM_400000_NS6detail17trampoline_kernelINS0_14default_configENS1_20scan_config_selectorIlEEZZNS1_9scan_implILNS1_25lookback_scan_determinismE0ELb0ELb0ES3_PlS8_lN6thrust23THRUST_200600_302600_NS4plusIvEElEEDaPvRmT3_T4_T5_mT6_P12ihipStream_tbENKUlT_T0_E_clISt17integral_constantIbLb0EESP_IbLb1EEEEDaSL_SM_EUlSL_E_NS1_11comp_targetILNS1_3genE10ELNS1_11target_archE1201ELNS1_3gpuE5ELNS1_3repE0EEENS1_30default_config_static_selectorELNS0_4arch9wavefront6targetE0EEEvT1_.private_seg_size, 0
	.set _ZN7rocprim17ROCPRIM_400000_NS6detail17trampoline_kernelINS0_14default_configENS1_20scan_config_selectorIlEEZZNS1_9scan_implILNS1_25lookback_scan_determinismE0ELb0ELb0ES3_PlS8_lN6thrust23THRUST_200600_302600_NS4plusIvEElEEDaPvRmT3_T4_T5_mT6_P12ihipStream_tbENKUlT_T0_E_clISt17integral_constantIbLb0EESP_IbLb1EEEEDaSL_SM_EUlSL_E_NS1_11comp_targetILNS1_3genE10ELNS1_11target_archE1201ELNS1_3gpuE5ELNS1_3repE0EEENS1_30default_config_static_selectorELNS0_4arch9wavefront6targetE0EEEvT1_.uses_vcc, 0
	.set _ZN7rocprim17ROCPRIM_400000_NS6detail17trampoline_kernelINS0_14default_configENS1_20scan_config_selectorIlEEZZNS1_9scan_implILNS1_25lookback_scan_determinismE0ELb0ELb0ES3_PlS8_lN6thrust23THRUST_200600_302600_NS4plusIvEElEEDaPvRmT3_T4_T5_mT6_P12ihipStream_tbENKUlT_T0_E_clISt17integral_constantIbLb0EESP_IbLb1EEEEDaSL_SM_EUlSL_E_NS1_11comp_targetILNS1_3genE10ELNS1_11target_archE1201ELNS1_3gpuE5ELNS1_3repE0EEENS1_30default_config_static_selectorELNS0_4arch9wavefront6targetE0EEEvT1_.uses_flat_scratch, 0
	.set _ZN7rocprim17ROCPRIM_400000_NS6detail17trampoline_kernelINS0_14default_configENS1_20scan_config_selectorIlEEZZNS1_9scan_implILNS1_25lookback_scan_determinismE0ELb0ELb0ES3_PlS8_lN6thrust23THRUST_200600_302600_NS4plusIvEElEEDaPvRmT3_T4_T5_mT6_P12ihipStream_tbENKUlT_T0_E_clISt17integral_constantIbLb0EESP_IbLb1EEEEDaSL_SM_EUlSL_E_NS1_11comp_targetILNS1_3genE10ELNS1_11target_archE1201ELNS1_3gpuE5ELNS1_3repE0EEENS1_30default_config_static_selectorELNS0_4arch9wavefront6targetE0EEEvT1_.has_dyn_sized_stack, 0
	.set _ZN7rocprim17ROCPRIM_400000_NS6detail17trampoline_kernelINS0_14default_configENS1_20scan_config_selectorIlEEZZNS1_9scan_implILNS1_25lookback_scan_determinismE0ELb0ELb0ES3_PlS8_lN6thrust23THRUST_200600_302600_NS4plusIvEElEEDaPvRmT3_T4_T5_mT6_P12ihipStream_tbENKUlT_T0_E_clISt17integral_constantIbLb0EESP_IbLb1EEEEDaSL_SM_EUlSL_E_NS1_11comp_targetILNS1_3genE10ELNS1_11target_archE1201ELNS1_3gpuE5ELNS1_3repE0EEENS1_30default_config_static_selectorELNS0_4arch9wavefront6targetE0EEEvT1_.has_recursion, 0
	.set _ZN7rocprim17ROCPRIM_400000_NS6detail17trampoline_kernelINS0_14default_configENS1_20scan_config_selectorIlEEZZNS1_9scan_implILNS1_25lookback_scan_determinismE0ELb0ELb0ES3_PlS8_lN6thrust23THRUST_200600_302600_NS4plusIvEElEEDaPvRmT3_T4_T5_mT6_P12ihipStream_tbENKUlT_T0_E_clISt17integral_constantIbLb0EESP_IbLb1EEEEDaSL_SM_EUlSL_E_NS1_11comp_targetILNS1_3genE10ELNS1_11target_archE1201ELNS1_3gpuE5ELNS1_3repE0EEENS1_30default_config_static_selectorELNS0_4arch9wavefront6targetE0EEEvT1_.has_indirect_call, 0
	.section	.AMDGPU.csdata,"",@progbits
; Kernel info:
; codeLenInByte = 0
; TotalNumSgprs: 0
; NumVgprs: 0
; ScratchSize: 0
; MemoryBound: 0
; FloatMode: 240
; IeeeMode: 1
; LDSByteSize: 0 bytes/workgroup (compile time only)
; SGPRBlocks: 0
; VGPRBlocks: 0
; NumSGPRsForWavesPerEU: 1
; NumVGPRsForWavesPerEU: 1
; NamedBarCnt: 0
; Occupancy: 16
; WaveLimiterHint : 0
; COMPUTE_PGM_RSRC2:SCRATCH_EN: 0
; COMPUTE_PGM_RSRC2:USER_SGPR: 2
; COMPUTE_PGM_RSRC2:TRAP_HANDLER: 0
; COMPUTE_PGM_RSRC2:TGID_X_EN: 1
; COMPUTE_PGM_RSRC2:TGID_Y_EN: 0
; COMPUTE_PGM_RSRC2:TGID_Z_EN: 0
; COMPUTE_PGM_RSRC2:TIDIG_COMP_CNT: 0
	.section	.text._ZN7rocprim17ROCPRIM_400000_NS6detail17trampoline_kernelINS0_14default_configENS1_20scan_config_selectorIlEEZZNS1_9scan_implILNS1_25lookback_scan_determinismE0ELb0ELb0ES3_PlS8_lN6thrust23THRUST_200600_302600_NS4plusIvEElEEDaPvRmT3_T4_T5_mT6_P12ihipStream_tbENKUlT_T0_E_clISt17integral_constantIbLb0EESP_IbLb1EEEEDaSL_SM_EUlSL_E_NS1_11comp_targetILNS1_3genE10ELNS1_11target_archE1200ELNS1_3gpuE4ELNS1_3repE0EEENS1_30default_config_static_selectorELNS0_4arch9wavefront6targetE0EEEvT1_,"axG",@progbits,_ZN7rocprim17ROCPRIM_400000_NS6detail17trampoline_kernelINS0_14default_configENS1_20scan_config_selectorIlEEZZNS1_9scan_implILNS1_25lookback_scan_determinismE0ELb0ELb0ES3_PlS8_lN6thrust23THRUST_200600_302600_NS4plusIvEElEEDaPvRmT3_T4_T5_mT6_P12ihipStream_tbENKUlT_T0_E_clISt17integral_constantIbLb0EESP_IbLb1EEEEDaSL_SM_EUlSL_E_NS1_11comp_targetILNS1_3genE10ELNS1_11target_archE1200ELNS1_3gpuE4ELNS1_3repE0EEENS1_30default_config_static_selectorELNS0_4arch9wavefront6targetE0EEEvT1_,comdat
	.protected	_ZN7rocprim17ROCPRIM_400000_NS6detail17trampoline_kernelINS0_14default_configENS1_20scan_config_selectorIlEEZZNS1_9scan_implILNS1_25lookback_scan_determinismE0ELb0ELb0ES3_PlS8_lN6thrust23THRUST_200600_302600_NS4plusIvEElEEDaPvRmT3_T4_T5_mT6_P12ihipStream_tbENKUlT_T0_E_clISt17integral_constantIbLb0EESP_IbLb1EEEEDaSL_SM_EUlSL_E_NS1_11comp_targetILNS1_3genE10ELNS1_11target_archE1200ELNS1_3gpuE4ELNS1_3repE0EEENS1_30default_config_static_selectorELNS0_4arch9wavefront6targetE0EEEvT1_ ; -- Begin function _ZN7rocprim17ROCPRIM_400000_NS6detail17trampoline_kernelINS0_14default_configENS1_20scan_config_selectorIlEEZZNS1_9scan_implILNS1_25lookback_scan_determinismE0ELb0ELb0ES3_PlS8_lN6thrust23THRUST_200600_302600_NS4plusIvEElEEDaPvRmT3_T4_T5_mT6_P12ihipStream_tbENKUlT_T0_E_clISt17integral_constantIbLb0EESP_IbLb1EEEEDaSL_SM_EUlSL_E_NS1_11comp_targetILNS1_3genE10ELNS1_11target_archE1200ELNS1_3gpuE4ELNS1_3repE0EEENS1_30default_config_static_selectorELNS0_4arch9wavefront6targetE0EEEvT1_
	.globl	_ZN7rocprim17ROCPRIM_400000_NS6detail17trampoline_kernelINS0_14default_configENS1_20scan_config_selectorIlEEZZNS1_9scan_implILNS1_25lookback_scan_determinismE0ELb0ELb0ES3_PlS8_lN6thrust23THRUST_200600_302600_NS4plusIvEElEEDaPvRmT3_T4_T5_mT6_P12ihipStream_tbENKUlT_T0_E_clISt17integral_constantIbLb0EESP_IbLb1EEEEDaSL_SM_EUlSL_E_NS1_11comp_targetILNS1_3genE10ELNS1_11target_archE1200ELNS1_3gpuE4ELNS1_3repE0EEENS1_30default_config_static_selectorELNS0_4arch9wavefront6targetE0EEEvT1_
	.p2align	8
	.type	_ZN7rocprim17ROCPRIM_400000_NS6detail17trampoline_kernelINS0_14default_configENS1_20scan_config_selectorIlEEZZNS1_9scan_implILNS1_25lookback_scan_determinismE0ELb0ELb0ES3_PlS8_lN6thrust23THRUST_200600_302600_NS4plusIvEElEEDaPvRmT3_T4_T5_mT6_P12ihipStream_tbENKUlT_T0_E_clISt17integral_constantIbLb0EESP_IbLb1EEEEDaSL_SM_EUlSL_E_NS1_11comp_targetILNS1_3genE10ELNS1_11target_archE1200ELNS1_3gpuE4ELNS1_3repE0EEENS1_30default_config_static_selectorELNS0_4arch9wavefront6targetE0EEEvT1_,@function
_ZN7rocprim17ROCPRIM_400000_NS6detail17trampoline_kernelINS0_14default_configENS1_20scan_config_selectorIlEEZZNS1_9scan_implILNS1_25lookback_scan_determinismE0ELb0ELb0ES3_PlS8_lN6thrust23THRUST_200600_302600_NS4plusIvEElEEDaPvRmT3_T4_T5_mT6_P12ihipStream_tbENKUlT_T0_E_clISt17integral_constantIbLb0EESP_IbLb1EEEEDaSL_SM_EUlSL_E_NS1_11comp_targetILNS1_3genE10ELNS1_11target_archE1200ELNS1_3gpuE4ELNS1_3repE0EEENS1_30default_config_static_selectorELNS0_4arch9wavefront6targetE0EEEvT1_: ; @_ZN7rocprim17ROCPRIM_400000_NS6detail17trampoline_kernelINS0_14default_configENS1_20scan_config_selectorIlEEZZNS1_9scan_implILNS1_25lookback_scan_determinismE0ELb0ELb0ES3_PlS8_lN6thrust23THRUST_200600_302600_NS4plusIvEElEEDaPvRmT3_T4_T5_mT6_P12ihipStream_tbENKUlT_T0_E_clISt17integral_constantIbLb0EESP_IbLb1EEEEDaSL_SM_EUlSL_E_NS1_11comp_targetILNS1_3genE10ELNS1_11target_archE1200ELNS1_3gpuE4ELNS1_3repE0EEENS1_30default_config_static_selectorELNS0_4arch9wavefront6targetE0EEEvT1_
; %bb.0:
	.section	.rodata,"a",@progbits
	.p2align	6, 0x0
	.amdhsa_kernel _ZN7rocprim17ROCPRIM_400000_NS6detail17trampoline_kernelINS0_14default_configENS1_20scan_config_selectorIlEEZZNS1_9scan_implILNS1_25lookback_scan_determinismE0ELb0ELb0ES3_PlS8_lN6thrust23THRUST_200600_302600_NS4plusIvEElEEDaPvRmT3_T4_T5_mT6_P12ihipStream_tbENKUlT_T0_E_clISt17integral_constantIbLb0EESP_IbLb1EEEEDaSL_SM_EUlSL_E_NS1_11comp_targetILNS1_3genE10ELNS1_11target_archE1200ELNS1_3gpuE4ELNS1_3repE0EEENS1_30default_config_static_selectorELNS0_4arch9wavefront6targetE0EEEvT1_
		.amdhsa_group_segment_fixed_size 0
		.amdhsa_private_segment_fixed_size 0
		.amdhsa_kernarg_size 104
		.amdhsa_user_sgpr_count 2
		.amdhsa_user_sgpr_dispatch_ptr 0
		.amdhsa_user_sgpr_queue_ptr 0
		.amdhsa_user_sgpr_kernarg_segment_ptr 1
		.amdhsa_user_sgpr_dispatch_id 0
		.amdhsa_user_sgpr_kernarg_preload_length 0
		.amdhsa_user_sgpr_kernarg_preload_offset 0
		.amdhsa_user_sgpr_private_segment_size 0
		.amdhsa_wavefront_size32 1
		.amdhsa_uses_dynamic_stack 0
		.amdhsa_enable_private_segment 0
		.amdhsa_system_sgpr_workgroup_id_x 1
		.amdhsa_system_sgpr_workgroup_id_y 0
		.amdhsa_system_sgpr_workgroup_id_z 0
		.amdhsa_system_sgpr_workgroup_info 0
		.amdhsa_system_vgpr_workitem_id 0
		.amdhsa_next_free_vgpr 1
		.amdhsa_next_free_sgpr 1
		.amdhsa_named_barrier_count 0
		.amdhsa_reserve_vcc 0
		.amdhsa_float_round_mode_32 0
		.amdhsa_float_round_mode_16_64 0
		.amdhsa_float_denorm_mode_32 3
		.amdhsa_float_denorm_mode_16_64 3
		.amdhsa_fp16_overflow 0
		.amdhsa_memory_ordered 1
		.amdhsa_forward_progress 1
		.amdhsa_inst_pref_size 0
		.amdhsa_round_robin_scheduling 0
		.amdhsa_exception_fp_ieee_invalid_op 0
		.amdhsa_exception_fp_denorm_src 0
		.amdhsa_exception_fp_ieee_div_zero 0
		.amdhsa_exception_fp_ieee_overflow 0
		.amdhsa_exception_fp_ieee_underflow 0
		.amdhsa_exception_fp_ieee_inexact 0
		.amdhsa_exception_int_div_zero 0
	.end_amdhsa_kernel
	.section	.text._ZN7rocprim17ROCPRIM_400000_NS6detail17trampoline_kernelINS0_14default_configENS1_20scan_config_selectorIlEEZZNS1_9scan_implILNS1_25lookback_scan_determinismE0ELb0ELb0ES3_PlS8_lN6thrust23THRUST_200600_302600_NS4plusIvEElEEDaPvRmT3_T4_T5_mT6_P12ihipStream_tbENKUlT_T0_E_clISt17integral_constantIbLb0EESP_IbLb1EEEEDaSL_SM_EUlSL_E_NS1_11comp_targetILNS1_3genE10ELNS1_11target_archE1200ELNS1_3gpuE4ELNS1_3repE0EEENS1_30default_config_static_selectorELNS0_4arch9wavefront6targetE0EEEvT1_,"axG",@progbits,_ZN7rocprim17ROCPRIM_400000_NS6detail17trampoline_kernelINS0_14default_configENS1_20scan_config_selectorIlEEZZNS1_9scan_implILNS1_25lookback_scan_determinismE0ELb0ELb0ES3_PlS8_lN6thrust23THRUST_200600_302600_NS4plusIvEElEEDaPvRmT3_T4_T5_mT6_P12ihipStream_tbENKUlT_T0_E_clISt17integral_constantIbLb0EESP_IbLb1EEEEDaSL_SM_EUlSL_E_NS1_11comp_targetILNS1_3genE10ELNS1_11target_archE1200ELNS1_3gpuE4ELNS1_3repE0EEENS1_30default_config_static_selectorELNS0_4arch9wavefront6targetE0EEEvT1_,comdat
.Lfunc_end147:
	.size	_ZN7rocprim17ROCPRIM_400000_NS6detail17trampoline_kernelINS0_14default_configENS1_20scan_config_selectorIlEEZZNS1_9scan_implILNS1_25lookback_scan_determinismE0ELb0ELb0ES3_PlS8_lN6thrust23THRUST_200600_302600_NS4plusIvEElEEDaPvRmT3_T4_T5_mT6_P12ihipStream_tbENKUlT_T0_E_clISt17integral_constantIbLb0EESP_IbLb1EEEEDaSL_SM_EUlSL_E_NS1_11comp_targetILNS1_3genE10ELNS1_11target_archE1200ELNS1_3gpuE4ELNS1_3repE0EEENS1_30default_config_static_selectorELNS0_4arch9wavefront6targetE0EEEvT1_, .Lfunc_end147-_ZN7rocprim17ROCPRIM_400000_NS6detail17trampoline_kernelINS0_14default_configENS1_20scan_config_selectorIlEEZZNS1_9scan_implILNS1_25lookback_scan_determinismE0ELb0ELb0ES3_PlS8_lN6thrust23THRUST_200600_302600_NS4plusIvEElEEDaPvRmT3_T4_T5_mT6_P12ihipStream_tbENKUlT_T0_E_clISt17integral_constantIbLb0EESP_IbLb1EEEEDaSL_SM_EUlSL_E_NS1_11comp_targetILNS1_3genE10ELNS1_11target_archE1200ELNS1_3gpuE4ELNS1_3repE0EEENS1_30default_config_static_selectorELNS0_4arch9wavefront6targetE0EEEvT1_
                                        ; -- End function
	.set _ZN7rocprim17ROCPRIM_400000_NS6detail17trampoline_kernelINS0_14default_configENS1_20scan_config_selectorIlEEZZNS1_9scan_implILNS1_25lookback_scan_determinismE0ELb0ELb0ES3_PlS8_lN6thrust23THRUST_200600_302600_NS4plusIvEElEEDaPvRmT3_T4_T5_mT6_P12ihipStream_tbENKUlT_T0_E_clISt17integral_constantIbLb0EESP_IbLb1EEEEDaSL_SM_EUlSL_E_NS1_11comp_targetILNS1_3genE10ELNS1_11target_archE1200ELNS1_3gpuE4ELNS1_3repE0EEENS1_30default_config_static_selectorELNS0_4arch9wavefront6targetE0EEEvT1_.num_vgpr, 0
	.set _ZN7rocprim17ROCPRIM_400000_NS6detail17trampoline_kernelINS0_14default_configENS1_20scan_config_selectorIlEEZZNS1_9scan_implILNS1_25lookback_scan_determinismE0ELb0ELb0ES3_PlS8_lN6thrust23THRUST_200600_302600_NS4plusIvEElEEDaPvRmT3_T4_T5_mT6_P12ihipStream_tbENKUlT_T0_E_clISt17integral_constantIbLb0EESP_IbLb1EEEEDaSL_SM_EUlSL_E_NS1_11comp_targetILNS1_3genE10ELNS1_11target_archE1200ELNS1_3gpuE4ELNS1_3repE0EEENS1_30default_config_static_selectorELNS0_4arch9wavefront6targetE0EEEvT1_.num_agpr, 0
	.set _ZN7rocprim17ROCPRIM_400000_NS6detail17trampoline_kernelINS0_14default_configENS1_20scan_config_selectorIlEEZZNS1_9scan_implILNS1_25lookback_scan_determinismE0ELb0ELb0ES3_PlS8_lN6thrust23THRUST_200600_302600_NS4plusIvEElEEDaPvRmT3_T4_T5_mT6_P12ihipStream_tbENKUlT_T0_E_clISt17integral_constantIbLb0EESP_IbLb1EEEEDaSL_SM_EUlSL_E_NS1_11comp_targetILNS1_3genE10ELNS1_11target_archE1200ELNS1_3gpuE4ELNS1_3repE0EEENS1_30default_config_static_selectorELNS0_4arch9wavefront6targetE0EEEvT1_.numbered_sgpr, 0
	.set _ZN7rocprim17ROCPRIM_400000_NS6detail17trampoline_kernelINS0_14default_configENS1_20scan_config_selectorIlEEZZNS1_9scan_implILNS1_25lookback_scan_determinismE0ELb0ELb0ES3_PlS8_lN6thrust23THRUST_200600_302600_NS4plusIvEElEEDaPvRmT3_T4_T5_mT6_P12ihipStream_tbENKUlT_T0_E_clISt17integral_constantIbLb0EESP_IbLb1EEEEDaSL_SM_EUlSL_E_NS1_11comp_targetILNS1_3genE10ELNS1_11target_archE1200ELNS1_3gpuE4ELNS1_3repE0EEENS1_30default_config_static_selectorELNS0_4arch9wavefront6targetE0EEEvT1_.num_named_barrier, 0
	.set _ZN7rocprim17ROCPRIM_400000_NS6detail17trampoline_kernelINS0_14default_configENS1_20scan_config_selectorIlEEZZNS1_9scan_implILNS1_25lookback_scan_determinismE0ELb0ELb0ES3_PlS8_lN6thrust23THRUST_200600_302600_NS4plusIvEElEEDaPvRmT3_T4_T5_mT6_P12ihipStream_tbENKUlT_T0_E_clISt17integral_constantIbLb0EESP_IbLb1EEEEDaSL_SM_EUlSL_E_NS1_11comp_targetILNS1_3genE10ELNS1_11target_archE1200ELNS1_3gpuE4ELNS1_3repE0EEENS1_30default_config_static_selectorELNS0_4arch9wavefront6targetE0EEEvT1_.private_seg_size, 0
	.set _ZN7rocprim17ROCPRIM_400000_NS6detail17trampoline_kernelINS0_14default_configENS1_20scan_config_selectorIlEEZZNS1_9scan_implILNS1_25lookback_scan_determinismE0ELb0ELb0ES3_PlS8_lN6thrust23THRUST_200600_302600_NS4plusIvEElEEDaPvRmT3_T4_T5_mT6_P12ihipStream_tbENKUlT_T0_E_clISt17integral_constantIbLb0EESP_IbLb1EEEEDaSL_SM_EUlSL_E_NS1_11comp_targetILNS1_3genE10ELNS1_11target_archE1200ELNS1_3gpuE4ELNS1_3repE0EEENS1_30default_config_static_selectorELNS0_4arch9wavefront6targetE0EEEvT1_.uses_vcc, 0
	.set _ZN7rocprim17ROCPRIM_400000_NS6detail17trampoline_kernelINS0_14default_configENS1_20scan_config_selectorIlEEZZNS1_9scan_implILNS1_25lookback_scan_determinismE0ELb0ELb0ES3_PlS8_lN6thrust23THRUST_200600_302600_NS4plusIvEElEEDaPvRmT3_T4_T5_mT6_P12ihipStream_tbENKUlT_T0_E_clISt17integral_constantIbLb0EESP_IbLb1EEEEDaSL_SM_EUlSL_E_NS1_11comp_targetILNS1_3genE10ELNS1_11target_archE1200ELNS1_3gpuE4ELNS1_3repE0EEENS1_30default_config_static_selectorELNS0_4arch9wavefront6targetE0EEEvT1_.uses_flat_scratch, 0
	.set _ZN7rocprim17ROCPRIM_400000_NS6detail17trampoline_kernelINS0_14default_configENS1_20scan_config_selectorIlEEZZNS1_9scan_implILNS1_25lookback_scan_determinismE0ELb0ELb0ES3_PlS8_lN6thrust23THRUST_200600_302600_NS4plusIvEElEEDaPvRmT3_T4_T5_mT6_P12ihipStream_tbENKUlT_T0_E_clISt17integral_constantIbLb0EESP_IbLb1EEEEDaSL_SM_EUlSL_E_NS1_11comp_targetILNS1_3genE10ELNS1_11target_archE1200ELNS1_3gpuE4ELNS1_3repE0EEENS1_30default_config_static_selectorELNS0_4arch9wavefront6targetE0EEEvT1_.has_dyn_sized_stack, 0
	.set _ZN7rocprim17ROCPRIM_400000_NS6detail17trampoline_kernelINS0_14default_configENS1_20scan_config_selectorIlEEZZNS1_9scan_implILNS1_25lookback_scan_determinismE0ELb0ELb0ES3_PlS8_lN6thrust23THRUST_200600_302600_NS4plusIvEElEEDaPvRmT3_T4_T5_mT6_P12ihipStream_tbENKUlT_T0_E_clISt17integral_constantIbLb0EESP_IbLb1EEEEDaSL_SM_EUlSL_E_NS1_11comp_targetILNS1_3genE10ELNS1_11target_archE1200ELNS1_3gpuE4ELNS1_3repE0EEENS1_30default_config_static_selectorELNS0_4arch9wavefront6targetE0EEEvT1_.has_recursion, 0
	.set _ZN7rocprim17ROCPRIM_400000_NS6detail17trampoline_kernelINS0_14default_configENS1_20scan_config_selectorIlEEZZNS1_9scan_implILNS1_25lookback_scan_determinismE0ELb0ELb0ES3_PlS8_lN6thrust23THRUST_200600_302600_NS4plusIvEElEEDaPvRmT3_T4_T5_mT6_P12ihipStream_tbENKUlT_T0_E_clISt17integral_constantIbLb0EESP_IbLb1EEEEDaSL_SM_EUlSL_E_NS1_11comp_targetILNS1_3genE10ELNS1_11target_archE1200ELNS1_3gpuE4ELNS1_3repE0EEENS1_30default_config_static_selectorELNS0_4arch9wavefront6targetE0EEEvT1_.has_indirect_call, 0
	.section	.AMDGPU.csdata,"",@progbits
; Kernel info:
; codeLenInByte = 0
; TotalNumSgprs: 0
; NumVgprs: 0
; ScratchSize: 0
; MemoryBound: 0
; FloatMode: 240
; IeeeMode: 1
; LDSByteSize: 0 bytes/workgroup (compile time only)
; SGPRBlocks: 0
; VGPRBlocks: 0
; NumSGPRsForWavesPerEU: 1
; NumVGPRsForWavesPerEU: 1
; NamedBarCnt: 0
; Occupancy: 16
; WaveLimiterHint : 0
; COMPUTE_PGM_RSRC2:SCRATCH_EN: 0
; COMPUTE_PGM_RSRC2:USER_SGPR: 2
; COMPUTE_PGM_RSRC2:TRAP_HANDLER: 0
; COMPUTE_PGM_RSRC2:TGID_X_EN: 1
; COMPUTE_PGM_RSRC2:TGID_Y_EN: 0
; COMPUTE_PGM_RSRC2:TGID_Z_EN: 0
; COMPUTE_PGM_RSRC2:TIDIG_COMP_CNT: 0
	.section	.text._ZN7rocprim17ROCPRIM_400000_NS6detail17trampoline_kernelINS0_14default_configENS1_20scan_config_selectorIlEEZZNS1_9scan_implILNS1_25lookback_scan_determinismE0ELb0ELb0ES3_PlS8_lN6thrust23THRUST_200600_302600_NS4plusIvEElEEDaPvRmT3_T4_T5_mT6_P12ihipStream_tbENKUlT_T0_E_clISt17integral_constantIbLb0EESP_IbLb1EEEEDaSL_SM_EUlSL_E_NS1_11comp_targetILNS1_3genE9ELNS1_11target_archE1100ELNS1_3gpuE3ELNS1_3repE0EEENS1_30default_config_static_selectorELNS0_4arch9wavefront6targetE0EEEvT1_,"axG",@progbits,_ZN7rocprim17ROCPRIM_400000_NS6detail17trampoline_kernelINS0_14default_configENS1_20scan_config_selectorIlEEZZNS1_9scan_implILNS1_25lookback_scan_determinismE0ELb0ELb0ES3_PlS8_lN6thrust23THRUST_200600_302600_NS4plusIvEElEEDaPvRmT3_T4_T5_mT6_P12ihipStream_tbENKUlT_T0_E_clISt17integral_constantIbLb0EESP_IbLb1EEEEDaSL_SM_EUlSL_E_NS1_11comp_targetILNS1_3genE9ELNS1_11target_archE1100ELNS1_3gpuE3ELNS1_3repE0EEENS1_30default_config_static_selectorELNS0_4arch9wavefront6targetE0EEEvT1_,comdat
	.protected	_ZN7rocprim17ROCPRIM_400000_NS6detail17trampoline_kernelINS0_14default_configENS1_20scan_config_selectorIlEEZZNS1_9scan_implILNS1_25lookback_scan_determinismE0ELb0ELb0ES3_PlS8_lN6thrust23THRUST_200600_302600_NS4plusIvEElEEDaPvRmT3_T4_T5_mT6_P12ihipStream_tbENKUlT_T0_E_clISt17integral_constantIbLb0EESP_IbLb1EEEEDaSL_SM_EUlSL_E_NS1_11comp_targetILNS1_3genE9ELNS1_11target_archE1100ELNS1_3gpuE3ELNS1_3repE0EEENS1_30default_config_static_selectorELNS0_4arch9wavefront6targetE0EEEvT1_ ; -- Begin function _ZN7rocprim17ROCPRIM_400000_NS6detail17trampoline_kernelINS0_14default_configENS1_20scan_config_selectorIlEEZZNS1_9scan_implILNS1_25lookback_scan_determinismE0ELb0ELb0ES3_PlS8_lN6thrust23THRUST_200600_302600_NS4plusIvEElEEDaPvRmT3_T4_T5_mT6_P12ihipStream_tbENKUlT_T0_E_clISt17integral_constantIbLb0EESP_IbLb1EEEEDaSL_SM_EUlSL_E_NS1_11comp_targetILNS1_3genE9ELNS1_11target_archE1100ELNS1_3gpuE3ELNS1_3repE0EEENS1_30default_config_static_selectorELNS0_4arch9wavefront6targetE0EEEvT1_
	.globl	_ZN7rocprim17ROCPRIM_400000_NS6detail17trampoline_kernelINS0_14default_configENS1_20scan_config_selectorIlEEZZNS1_9scan_implILNS1_25lookback_scan_determinismE0ELb0ELb0ES3_PlS8_lN6thrust23THRUST_200600_302600_NS4plusIvEElEEDaPvRmT3_T4_T5_mT6_P12ihipStream_tbENKUlT_T0_E_clISt17integral_constantIbLb0EESP_IbLb1EEEEDaSL_SM_EUlSL_E_NS1_11comp_targetILNS1_3genE9ELNS1_11target_archE1100ELNS1_3gpuE3ELNS1_3repE0EEENS1_30default_config_static_selectorELNS0_4arch9wavefront6targetE0EEEvT1_
	.p2align	8
	.type	_ZN7rocprim17ROCPRIM_400000_NS6detail17trampoline_kernelINS0_14default_configENS1_20scan_config_selectorIlEEZZNS1_9scan_implILNS1_25lookback_scan_determinismE0ELb0ELb0ES3_PlS8_lN6thrust23THRUST_200600_302600_NS4plusIvEElEEDaPvRmT3_T4_T5_mT6_P12ihipStream_tbENKUlT_T0_E_clISt17integral_constantIbLb0EESP_IbLb1EEEEDaSL_SM_EUlSL_E_NS1_11comp_targetILNS1_3genE9ELNS1_11target_archE1100ELNS1_3gpuE3ELNS1_3repE0EEENS1_30default_config_static_selectorELNS0_4arch9wavefront6targetE0EEEvT1_,@function
_ZN7rocprim17ROCPRIM_400000_NS6detail17trampoline_kernelINS0_14default_configENS1_20scan_config_selectorIlEEZZNS1_9scan_implILNS1_25lookback_scan_determinismE0ELb0ELb0ES3_PlS8_lN6thrust23THRUST_200600_302600_NS4plusIvEElEEDaPvRmT3_T4_T5_mT6_P12ihipStream_tbENKUlT_T0_E_clISt17integral_constantIbLb0EESP_IbLb1EEEEDaSL_SM_EUlSL_E_NS1_11comp_targetILNS1_3genE9ELNS1_11target_archE1100ELNS1_3gpuE3ELNS1_3repE0EEENS1_30default_config_static_selectorELNS0_4arch9wavefront6targetE0EEEvT1_: ; @_ZN7rocprim17ROCPRIM_400000_NS6detail17trampoline_kernelINS0_14default_configENS1_20scan_config_selectorIlEEZZNS1_9scan_implILNS1_25lookback_scan_determinismE0ELb0ELb0ES3_PlS8_lN6thrust23THRUST_200600_302600_NS4plusIvEElEEDaPvRmT3_T4_T5_mT6_P12ihipStream_tbENKUlT_T0_E_clISt17integral_constantIbLb0EESP_IbLb1EEEEDaSL_SM_EUlSL_E_NS1_11comp_targetILNS1_3genE9ELNS1_11target_archE1100ELNS1_3gpuE3ELNS1_3repE0EEENS1_30default_config_static_selectorELNS0_4arch9wavefront6targetE0EEEvT1_
; %bb.0:
	.section	.rodata,"a",@progbits
	.p2align	6, 0x0
	.amdhsa_kernel _ZN7rocprim17ROCPRIM_400000_NS6detail17trampoline_kernelINS0_14default_configENS1_20scan_config_selectorIlEEZZNS1_9scan_implILNS1_25lookback_scan_determinismE0ELb0ELb0ES3_PlS8_lN6thrust23THRUST_200600_302600_NS4plusIvEElEEDaPvRmT3_T4_T5_mT6_P12ihipStream_tbENKUlT_T0_E_clISt17integral_constantIbLb0EESP_IbLb1EEEEDaSL_SM_EUlSL_E_NS1_11comp_targetILNS1_3genE9ELNS1_11target_archE1100ELNS1_3gpuE3ELNS1_3repE0EEENS1_30default_config_static_selectorELNS0_4arch9wavefront6targetE0EEEvT1_
		.amdhsa_group_segment_fixed_size 0
		.amdhsa_private_segment_fixed_size 0
		.amdhsa_kernarg_size 104
		.amdhsa_user_sgpr_count 2
		.amdhsa_user_sgpr_dispatch_ptr 0
		.amdhsa_user_sgpr_queue_ptr 0
		.amdhsa_user_sgpr_kernarg_segment_ptr 1
		.amdhsa_user_sgpr_dispatch_id 0
		.amdhsa_user_sgpr_kernarg_preload_length 0
		.amdhsa_user_sgpr_kernarg_preload_offset 0
		.amdhsa_user_sgpr_private_segment_size 0
		.amdhsa_wavefront_size32 1
		.amdhsa_uses_dynamic_stack 0
		.amdhsa_enable_private_segment 0
		.amdhsa_system_sgpr_workgroup_id_x 1
		.amdhsa_system_sgpr_workgroup_id_y 0
		.amdhsa_system_sgpr_workgroup_id_z 0
		.amdhsa_system_sgpr_workgroup_info 0
		.amdhsa_system_vgpr_workitem_id 0
		.amdhsa_next_free_vgpr 1
		.amdhsa_next_free_sgpr 1
		.amdhsa_named_barrier_count 0
		.amdhsa_reserve_vcc 0
		.amdhsa_float_round_mode_32 0
		.amdhsa_float_round_mode_16_64 0
		.amdhsa_float_denorm_mode_32 3
		.amdhsa_float_denorm_mode_16_64 3
		.amdhsa_fp16_overflow 0
		.amdhsa_memory_ordered 1
		.amdhsa_forward_progress 1
		.amdhsa_inst_pref_size 0
		.amdhsa_round_robin_scheduling 0
		.amdhsa_exception_fp_ieee_invalid_op 0
		.amdhsa_exception_fp_denorm_src 0
		.amdhsa_exception_fp_ieee_div_zero 0
		.amdhsa_exception_fp_ieee_overflow 0
		.amdhsa_exception_fp_ieee_underflow 0
		.amdhsa_exception_fp_ieee_inexact 0
		.amdhsa_exception_int_div_zero 0
	.end_amdhsa_kernel
	.section	.text._ZN7rocprim17ROCPRIM_400000_NS6detail17trampoline_kernelINS0_14default_configENS1_20scan_config_selectorIlEEZZNS1_9scan_implILNS1_25lookback_scan_determinismE0ELb0ELb0ES3_PlS8_lN6thrust23THRUST_200600_302600_NS4plusIvEElEEDaPvRmT3_T4_T5_mT6_P12ihipStream_tbENKUlT_T0_E_clISt17integral_constantIbLb0EESP_IbLb1EEEEDaSL_SM_EUlSL_E_NS1_11comp_targetILNS1_3genE9ELNS1_11target_archE1100ELNS1_3gpuE3ELNS1_3repE0EEENS1_30default_config_static_selectorELNS0_4arch9wavefront6targetE0EEEvT1_,"axG",@progbits,_ZN7rocprim17ROCPRIM_400000_NS6detail17trampoline_kernelINS0_14default_configENS1_20scan_config_selectorIlEEZZNS1_9scan_implILNS1_25lookback_scan_determinismE0ELb0ELb0ES3_PlS8_lN6thrust23THRUST_200600_302600_NS4plusIvEElEEDaPvRmT3_T4_T5_mT6_P12ihipStream_tbENKUlT_T0_E_clISt17integral_constantIbLb0EESP_IbLb1EEEEDaSL_SM_EUlSL_E_NS1_11comp_targetILNS1_3genE9ELNS1_11target_archE1100ELNS1_3gpuE3ELNS1_3repE0EEENS1_30default_config_static_selectorELNS0_4arch9wavefront6targetE0EEEvT1_,comdat
.Lfunc_end148:
	.size	_ZN7rocprim17ROCPRIM_400000_NS6detail17trampoline_kernelINS0_14default_configENS1_20scan_config_selectorIlEEZZNS1_9scan_implILNS1_25lookback_scan_determinismE0ELb0ELb0ES3_PlS8_lN6thrust23THRUST_200600_302600_NS4plusIvEElEEDaPvRmT3_T4_T5_mT6_P12ihipStream_tbENKUlT_T0_E_clISt17integral_constantIbLb0EESP_IbLb1EEEEDaSL_SM_EUlSL_E_NS1_11comp_targetILNS1_3genE9ELNS1_11target_archE1100ELNS1_3gpuE3ELNS1_3repE0EEENS1_30default_config_static_selectorELNS0_4arch9wavefront6targetE0EEEvT1_, .Lfunc_end148-_ZN7rocprim17ROCPRIM_400000_NS6detail17trampoline_kernelINS0_14default_configENS1_20scan_config_selectorIlEEZZNS1_9scan_implILNS1_25lookback_scan_determinismE0ELb0ELb0ES3_PlS8_lN6thrust23THRUST_200600_302600_NS4plusIvEElEEDaPvRmT3_T4_T5_mT6_P12ihipStream_tbENKUlT_T0_E_clISt17integral_constantIbLb0EESP_IbLb1EEEEDaSL_SM_EUlSL_E_NS1_11comp_targetILNS1_3genE9ELNS1_11target_archE1100ELNS1_3gpuE3ELNS1_3repE0EEENS1_30default_config_static_selectorELNS0_4arch9wavefront6targetE0EEEvT1_
                                        ; -- End function
	.set _ZN7rocprim17ROCPRIM_400000_NS6detail17trampoline_kernelINS0_14default_configENS1_20scan_config_selectorIlEEZZNS1_9scan_implILNS1_25lookback_scan_determinismE0ELb0ELb0ES3_PlS8_lN6thrust23THRUST_200600_302600_NS4plusIvEElEEDaPvRmT3_T4_T5_mT6_P12ihipStream_tbENKUlT_T0_E_clISt17integral_constantIbLb0EESP_IbLb1EEEEDaSL_SM_EUlSL_E_NS1_11comp_targetILNS1_3genE9ELNS1_11target_archE1100ELNS1_3gpuE3ELNS1_3repE0EEENS1_30default_config_static_selectorELNS0_4arch9wavefront6targetE0EEEvT1_.num_vgpr, 0
	.set _ZN7rocprim17ROCPRIM_400000_NS6detail17trampoline_kernelINS0_14default_configENS1_20scan_config_selectorIlEEZZNS1_9scan_implILNS1_25lookback_scan_determinismE0ELb0ELb0ES3_PlS8_lN6thrust23THRUST_200600_302600_NS4plusIvEElEEDaPvRmT3_T4_T5_mT6_P12ihipStream_tbENKUlT_T0_E_clISt17integral_constantIbLb0EESP_IbLb1EEEEDaSL_SM_EUlSL_E_NS1_11comp_targetILNS1_3genE9ELNS1_11target_archE1100ELNS1_3gpuE3ELNS1_3repE0EEENS1_30default_config_static_selectorELNS0_4arch9wavefront6targetE0EEEvT1_.num_agpr, 0
	.set _ZN7rocprim17ROCPRIM_400000_NS6detail17trampoline_kernelINS0_14default_configENS1_20scan_config_selectorIlEEZZNS1_9scan_implILNS1_25lookback_scan_determinismE0ELb0ELb0ES3_PlS8_lN6thrust23THRUST_200600_302600_NS4plusIvEElEEDaPvRmT3_T4_T5_mT6_P12ihipStream_tbENKUlT_T0_E_clISt17integral_constantIbLb0EESP_IbLb1EEEEDaSL_SM_EUlSL_E_NS1_11comp_targetILNS1_3genE9ELNS1_11target_archE1100ELNS1_3gpuE3ELNS1_3repE0EEENS1_30default_config_static_selectorELNS0_4arch9wavefront6targetE0EEEvT1_.numbered_sgpr, 0
	.set _ZN7rocprim17ROCPRIM_400000_NS6detail17trampoline_kernelINS0_14default_configENS1_20scan_config_selectorIlEEZZNS1_9scan_implILNS1_25lookback_scan_determinismE0ELb0ELb0ES3_PlS8_lN6thrust23THRUST_200600_302600_NS4plusIvEElEEDaPvRmT3_T4_T5_mT6_P12ihipStream_tbENKUlT_T0_E_clISt17integral_constantIbLb0EESP_IbLb1EEEEDaSL_SM_EUlSL_E_NS1_11comp_targetILNS1_3genE9ELNS1_11target_archE1100ELNS1_3gpuE3ELNS1_3repE0EEENS1_30default_config_static_selectorELNS0_4arch9wavefront6targetE0EEEvT1_.num_named_barrier, 0
	.set _ZN7rocprim17ROCPRIM_400000_NS6detail17trampoline_kernelINS0_14default_configENS1_20scan_config_selectorIlEEZZNS1_9scan_implILNS1_25lookback_scan_determinismE0ELb0ELb0ES3_PlS8_lN6thrust23THRUST_200600_302600_NS4plusIvEElEEDaPvRmT3_T4_T5_mT6_P12ihipStream_tbENKUlT_T0_E_clISt17integral_constantIbLb0EESP_IbLb1EEEEDaSL_SM_EUlSL_E_NS1_11comp_targetILNS1_3genE9ELNS1_11target_archE1100ELNS1_3gpuE3ELNS1_3repE0EEENS1_30default_config_static_selectorELNS0_4arch9wavefront6targetE0EEEvT1_.private_seg_size, 0
	.set _ZN7rocprim17ROCPRIM_400000_NS6detail17trampoline_kernelINS0_14default_configENS1_20scan_config_selectorIlEEZZNS1_9scan_implILNS1_25lookback_scan_determinismE0ELb0ELb0ES3_PlS8_lN6thrust23THRUST_200600_302600_NS4plusIvEElEEDaPvRmT3_T4_T5_mT6_P12ihipStream_tbENKUlT_T0_E_clISt17integral_constantIbLb0EESP_IbLb1EEEEDaSL_SM_EUlSL_E_NS1_11comp_targetILNS1_3genE9ELNS1_11target_archE1100ELNS1_3gpuE3ELNS1_3repE0EEENS1_30default_config_static_selectorELNS0_4arch9wavefront6targetE0EEEvT1_.uses_vcc, 0
	.set _ZN7rocprim17ROCPRIM_400000_NS6detail17trampoline_kernelINS0_14default_configENS1_20scan_config_selectorIlEEZZNS1_9scan_implILNS1_25lookback_scan_determinismE0ELb0ELb0ES3_PlS8_lN6thrust23THRUST_200600_302600_NS4plusIvEElEEDaPvRmT3_T4_T5_mT6_P12ihipStream_tbENKUlT_T0_E_clISt17integral_constantIbLb0EESP_IbLb1EEEEDaSL_SM_EUlSL_E_NS1_11comp_targetILNS1_3genE9ELNS1_11target_archE1100ELNS1_3gpuE3ELNS1_3repE0EEENS1_30default_config_static_selectorELNS0_4arch9wavefront6targetE0EEEvT1_.uses_flat_scratch, 0
	.set _ZN7rocprim17ROCPRIM_400000_NS6detail17trampoline_kernelINS0_14default_configENS1_20scan_config_selectorIlEEZZNS1_9scan_implILNS1_25lookback_scan_determinismE0ELb0ELb0ES3_PlS8_lN6thrust23THRUST_200600_302600_NS4plusIvEElEEDaPvRmT3_T4_T5_mT6_P12ihipStream_tbENKUlT_T0_E_clISt17integral_constantIbLb0EESP_IbLb1EEEEDaSL_SM_EUlSL_E_NS1_11comp_targetILNS1_3genE9ELNS1_11target_archE1100ELNS1_3gpuE3ELNS1_3repE0EEENS1_30default_config_static_selectorELNS0_4arch9wavefront6targetE0EEEvT1_.has_dyn_sized_stack, 0
	.set _ZN7rocprim17ROCPRIM_400000_NS6detail17trampoline_kernelINS0_14default_configENS1_20scan_config_selectorIlEEZZNS1_9scan_implILNS1_25lookback_scan_determinismE0ELb0ELb0ES3_PlS8_lN6thrust23THRUST_200600_302600_NS4plusIvEElEEDaPvRmT3_T4_T5_mT6_P12ihipStream_tbENKUlT_T0_E_clISt17integral_constantIbLb0EESP_IbLb1EEEEDaSL_SM_EUlSL_E_NS1_11comp_targetILNS1_3genE9ELNS1_11target_archE1100ELNS1_3gpuE3ELNS1_3repE0EEENS1_30default_config_static_selectorELNS0_4arch9wavefront6targetE0EEEvT1_.has_recursion, 0
	.set _ZN7rocprim17ROCPRIM_400000_NS6detail17trampoline_kernelINS0_14default_configENS1_20scan_config_selectorIlEEZZNS1_9scan_implILNS1_25lookback_scan_determinismE0ELb0ELb0ES3_PlS8_lN6thrust23THRUST_200600_302600_NS4plusIvEElEEDaPvRmT3_T4_T5_mT6_P12ihipStream_tbENKUlT_T0_E_clISt17integral_constantIbLb0EESP_IbLb1EEEEDaSL_SM_EUlSL_E_NS1_11comp_targetILNS1_3genE9ELNS1_11target_archE1100ELNS1_3gpuE3ELNS1_3repE0EEENS1_30default_config_static_selectorELNS0_4arch9wavefront6targetE0EEEvT1_.has_indirect_call, 0
	.section	.AMDGPU.csdata,"",@progbits
; Kernel info:
; codeLenInByte = 0
; TotalNumSgprs: 0
; NumVgprs: 0
; ScratchSize: 0
; MemoryBound: 0
; FloatMode: 240
; IeeeMode: 1
; LDSByteSize: 0 bytes/workgroup (compile time only)
; SGPRBlocks: 0
; VGPRBlocks: 0
; NumSGPRsForWavesPerEU: 1
; NumVGPRsForWavesPerEU: 1
; NamedBarCnt: 0
; Occupancy: 16
; WaveLimiterHint : 0
; COMPUTE_PGM_RSRC2:SCRATCH_EN: 0
; COMPUTE_PGM_RSRC2:USER_SGPR: 2
; COMPUTE_PGM_RSRC2:TRAP_HANDLER: 0
; COMPUTE_PGM_RSRC2:TGID_X_EN: 1
; COMPUTE_PGM_RSRC2:TGID_Y_EN: 0
; COMPUTE_PGM_RSRC2:TGID_Z_EN: 0
; COMPUTE_PGM_RSRC2:TIDIG_COMP_CNT: 0
	.section	.text._ZN7rocprim17ROCPRIM_400000_NS6detail17trampoline_kernelINS0_14default_configENS1_20scan_config_selectorIlEEZZNS1_9scan_implILNS1_25lookback_scan_determinismE0ELb0ELb0ES3_PlS8_lN6thrust23THRUST_200600_302600_NS4plusIvEElEEDaPvRmT3_T4_T5_mT6_P12ihipStream_tbENKUlT_T0_E_clISt17integral_constantIbLb0EESP_IbLb1EEEEDaSL_SM_EUlSL_E_NS1_11comp_targetILNS1_3genE8ELNS1_11target_archE1030ELNS1_3gpuE2ELNS1_3repE0EEENS1_30default_config_static_selectorELNS0_4arch9wavefront6targetE0EEEvT1_,"axG",@progbits,_ZN7rocprim17ROCPRIM_400000_NS6detail17trampoline_kernelINS0_14default_configENS1_20scan_config_selectorIlEEZZNS1_9scan_implILNS1_25lookback_scan_determinismE0ELb0ELb0ES3_PlS8_lN6thrust23THRUST_200600_302600_NS4plusIvEElEEDaPvRmT3_T4_T5_mT6_P12ihipStream_tbENKUlT_T0_E_clISt17integral_constantIbLb0EESP_IbLb1EEEEDaSL_SM_EUlSL_E_NS1_11comp_targetILNS1_3genE8ELNS1_11target_archE1030ELNS1_3gpuE2ELNS1_3repE0EEENS1_30default_config_static_selectorELNS0_4arch9wavefront6targetE0EEEvT1_,comdat
	.protected	_ZN7rocprim17ROCPRIM_400000_NS6detail17trampoline_kernelINS0_14default_configENS1_20scan_config_selectorIlEEZZNS1_9scan_implILNS1_25lookback_scan_determinismE0ELb0ELb0ES3_PlS8_lN6thrust23THRUST_200600_302600_NS4plusIvEElEEDaPvRmT3_T4_T5_mT6_P12ihipStream_tbENKUlT_T0_E_clISt17integral_constantIbLb0EESP_IbLb1EEEEDaSL_SM_EUlSL_E_NS1_11comp_targetILNS1_3genE8ELNS1_11target_archE1030ELNS1_3gpuE2ELNS1_3repE0EEENS1_30default_config_static_selectorELNS0_4arch9wavefront6targetE0EEEvT1_ ; -- Begin function _ZN7rocprim17ROCPRIM_400000_NS6detail17trampoline_kernelINS0_14default_configENS1_20scan_config_selectorIlEEZZNS1_9scan_implILNS1_25lookback_scan_determinismE0ELb0ELb0ES3_PlS8_lN6thrust23THRUST_200600_302600_NS4plusIvEElEEDaPvRmT3_T4_T5_mT6_P12ihipStream_tbENKUlT_T0_E_clISt17integral_constantIbLb0EESP_IbLb1EEEEDaSL_SM_EUlSL_E_NS1_11comp_targetILNS1_3genE8ELNS1_11target_archE1030ELNS1_3gpuE2ELNS1_3repE0EEENS1_30default_config_static_selectorELNS0_4arch9wavefront6targetE0EEEvT1_
	.globl	_ZN7rocprim17ROCPRIM_400000_NS6detail17trampoline_kernelINS0_14default_configENS1_20scan_config_selectorIlEEZZNS1_9scan_implILNS1_25lookback_scan_determinismE0ELb0ELb0ES3_PlS8_lN6thrust23THRUST_200600_302600_NS4plusIvEElEEDaPvRmT3_T4_T5_mT6_P12ihipStream_tbENKUlT_T0_E_clISt17integral_constantIbLb0EESP_IbLb1EEEEDaSL_SM_EUlSL_E_NS1_11comp_targetILNS1_3genE8ELNS1_11target_archE1030ELNS1_3gpuE2ELNS1_3repE0EEENS1_30default_config_static_selectorELNS0_4arch9wavefront6targetE0EEEvT1_
	.p2align	8
	.type	_ZN7rocprim17ROCPRIM_400000_NS6detail17trampoline_kernelINS0_14default_configENS1_20scan_config_selectorIlEEZZNS1_9scan_implILNS1_25lookback_scan_determinismE0ELb0ELb0ES3_PlS8_lN6thrust23THRUST_200600_302600_NS4plusIvEElEEDaPvRmT3_T4_T5_mT6_P12ihipStream_tbENKUlT_T0_E_clISt17integral_constantIbLb0EESP_IbLb1EEEEDaSL_SM_EUlSL_E_NS1_11comp_targetILNS1_3genE8ELNS1_11target_archE1030ELNS1_3gpuE2ELNS1_3repE0EEENS1_30default_config_static_selectorELNS0_4arch9wavefront6targetE0EEEvT1_,@function
_ZN7rocprim17ROCPRIM_400000_NS6detail17trampoline_kernelINS0_14default_configENS1_20scan_config_selectorIlEEZZNS1_9scan_implILNS1_25lookback_scan_determinismE0ELb0ELb0ES3_PlS8_lN6thrust23THRUST_200600_302600_NS4plusIvEElEEDaPvRmT3_T4_T5_mT6_P12ihipStream_tbENKUlT_T0_E_clISt17integral_constantIbLb0EESP_IbLb1EEEEDaSL_SM_EUlSL_E_NS1_11comp_targetILNS1_3genE8ELNS1_11target_archE1030ELNS1_3gpuE2ELNS1_3repE0EEENS1_30default_config_static_selectorELNS0_4arch9wavefront6targetE0EEEvT1_: ; @_ZN7rocprim17ROCPRIM_400000_NS6detail17trampoline_kernelINS0_14default_configENS1_20scan_config_selectorIlEEZZNS1_9scan_implILNS1_25lookback_scan_determinismE0ELb0ELb0ES3_PlS8_lN6thrust23THRUST_200600_302600_NS4plusIvEElEEDaPvRmT3_T4_T5_mT6_P12ihipStream_tbENKUlT_T0_E_clISt17integral_constantIbLb0EESP_IbLb1EEEEDaSL_SM_EUlSL_E_NS1_11comp_targetILNS1_3genE8ELNS1_11target_archE1030ELNS1_3gpuE2ELNS1_3repE0EEENS1_30default_config_static_selectorELNS0_4arch9wavefront6targetE0EEEvT1_
; %bb.0:
	.section	.rodata,"a",@progbits
	.p2align	6, 0x0
	.amdhsa_kernel _ZN7rocprim17ROCPRIM_400000_NS6detail17trampoline_kernelINS0_14default_configENS1_20scan_config_selectorIlEEZZNS1_9scan_implILNS1_25lookback_scan_determinismE0ELb0ELb0ES3_PlS8_lN6thrust23THRUST_200600_302600_NS4plusIvEElEEDaPvRmT3_T4_T5_mT6_P12ihipStream_tbENKUlT_T0_E_clISt17integral_constantIbLb0EESP_IbLb1EEEEDaSL_SM_EUlSL_E_NS1_11comp_targetILNS1_3genE8ELNS1_11target_archE1030ELNS1_3gpuE2ELNS1_3repE0EEENS1_30default_config_static_selectorELNS0_4arch9wavefront6targetE0EEEvT1_
		.amdhsa_group_segment_fixed_size 0
		.amdhsa_private_segment_fixed_size 0
		.amdhsa_kernarg_size 104
		.amdhsa_user_sgpr_count 2
		.amdhsa_user_sgpr_dispatch_ptr 0
		.amdhsa_user_sgpr_queue_ptr 0
		.amdhsa_user_sgpr_kernarg_segment_ptr 1
		.amdhsa_user_sgpr_dispatch_id 0
		.amdhsa_user_sgpr_kernarg_preload_length 0
		.amdhsa_user_sgpr_kernarg_preload_offset 0
		.amdhsa_user_sgpr_private_segment_size 0
		.amdhsa_wavefront_size32 1
		.amdhsa_uses_dynamic_stack 0
		.amdhsa_enable_private_segment 0
		.amdhsa_system_sgpr_workgroup_id_x 1
		.amdhsa_system_sgpr_workgroup_id_y 0
		.amdhsa_system_sgpr_workgroup_id_z 0
		.amdhsa_system_sgpr_workgroup_info 0
		.amdhsa_system_vgpr_workitem_id 0
		.amdhsa_next_free_vgpr 1
		.amdhsa_next_free_sgpr 1
		.amdhsa_named_barrier_count 0
		.amdhsa_reserve_vcc 0
		.amdhsa_float_round_mode_32 0
		.amdhsa_float_round_mode_16_64 0
		.amdhsa_float_denorm_mode_32 3
		.amdhsa_float_denorm_mode_16_64 3
		.amdhsa_fp16_overflow 0
		.amdhsa_memory_ordered 1
		.amdhsa_forward_progress 1
		.amdhsa_inst_pref_size 0
		.amdhsa_round_robin_scheduling 0
		.amdhsa_exception_fp_ieee_invalid_op 0
		.amdhsa_exception_fp_denorm_src 0
		.amdhsa_exception_fp_ieee_div_zero 0
		.amdhsa_exception_fp_ieee_overflow 0
		.amdhsa_exception_fp_ieee_underflow 0
		.amdhsa_exception_fp_ieee_inexact 0
		.amdhsa_exception_int_div_zero 0
	.end_amdhsa_kernel
	.section	.text._ZN7rocprim17ROCPRIM_400000_NS6detail17trampoline_kernelINS0_14default_configENS1_20scan_config_selectorIlEEZZNS1_9scan_implILNS1_25lookback_scan_determinismE0ELb0ELb0ES3_PlS8_lN6thrust23THRUST_200600_302600_NS4plusIvEElEEDaPvRmT3_T4_T5_mT6_P12ihipStream_tbENKUlT_T0_E_clISt17integral_constantIbLb0EESP_IbLb1EEEEDaSL_SM_EUlSL_E_NS1_11comp_targetILNS1_3genE8ELNS1_11target_archE1030ELNS1_3gpuE2ELNS1_3repE0EEENS1_30default_config_static_selectorELNS0_4arch9wavefront6targetE0EEEvT1_,"axG",@progbits,_ZN7rocprim17ROCPRIM_400000_NS6detail17trampoline_kernelINS0_14default_configENS1_20scan_config_selectorIlEEZZNS1_9scan_implILNS1_25lookback_scan_determinismE0ELb0ELb0ES3_PlS8_lN6thrust23THRUST_200600_302600_NS4plusIvEElEEDaPvRmT3_T4_T5_mT6_P12ihipStream_tbENKUlT_T0_E_clISt17integral_constantIbLb0EESP_IbLb1EEEEDaSL_SM_EUlSL_E_NS1_11comp_targetILNS1_3genE8ELNS1_11target_archE1030ELNS1_3gpuE2ELNS1_3repE0EEENS1_30default_config_static_selectorELNS0_4arch9wavefront6targetE0EEEvT1_,comdat
.Lfunc_end149:
	.size	_ZN7rocprim17ROCPRIM_400000_NS6detail17trampoline_kernelINS0_14default_configENS1_20scan_config_selectorIlEEZZNS1_9scan_implILNS1_25lookback_scan_determinismE0ELb0ELb0ES3_PlS8_lN6thrust23THRUST_200600_302600_NS4plusIvEElEEDaPvRmT3_T4_T5_mT6_P12ihipStream_tbENKUlT_T0_E_clISt17integral_constantIbLb0EESP_IbLb1EEEEDaSL_SM_EUlSL_E_NS1_11comp_targetILNS1_3genE8ELNS1_11target_archE1030ELNS1_3gpuE2ELNS1_3repE0EEENS1_30default_config_static_selectorELNS0_4arch9wavefront6targetE0EEEvT1_, .Lfunc_end149-_ZN7rocprim17ROCPRIM_400000_NS6detail17trampoline_kernelINS0_14default_configENS1_20scan_config_selectorIlEEZZNS1_9scan_implILNS1_25lookback_scan_determinismE0ELb0ELb0ES3_PlS8_lN6thrust23THRUST_200600_302600_NS4plusIvEElEEDaPvRmT3_T4_T5_mT6_P12ihipStream_tbENKUlT_T0_E_clISt17integral_constantIbLb0EESP_IbLb1EEEEDaSL_SM_EUlSL_E_NS1_11comp_targetILNS1_3genE8ELNS1_11target_archE1030ELNS1_3gpuE2ELNS1_3repE0EEENS1_30default_config_static_selectorELNS0_4arch9wavefront6targetE0EEEvT1_
                                        ; -- End function
	.set _ZN7rocprim17ROCPRIM_400000_NS6detail17trampoline_kernelINS0_14default_configENS1_20scan_config_selectorIlEEZZNS1_9scan_implILNS1_25lookback_scan_determinismE0ELb0ELb0ES3_PlS8_lN6thrust23THRUST_200600_302600_NS4plusIvEElEEDaPvRmT3_T4_T5_mT6_P12ihipStream_tbENKUlT_T0_E_clISt17integral_constantIbLb0EESP_IbLb1EEEEDaSL_SM_EUlSL_E_NS1_11comp_targetILNS1_3genE8ELNS1_11target_archE1030ELNS1_3gpuE2ELNS1_3repE0EEENS1_30default_config_static_selectorELNS0_4arch9wavefront6targetE0EEEvT1_.num_vgpr, 0
	.set _ZN7rocprim17ROCPRIM_400000_NS6detail17trampoline_kernelINS0_14default_configENS1_20scan_config_selectorIlEEZZNS1_9scan_implILNS1_25lookback_scan_determinismE0ELb0ELb0ES3_PlS8_lN6thrust23THRUST_200600_302600_NS4plusIvEElEEDaPvRmT3_T4_T5_mT6_P12ihipStream_tbENKUlT_T0_E_clISt17integral_constantIbLb0EESP_IbLb1EEEEDaSL_SM_EUlSL_E_NS1_11comp_targetILNS1_3genE8ELNS1_11target_archE1030ELNS1_3gpuE2ELNS1_3repE0EEENS1_30default_config_static_selectorELNS0_4arch9wavefront6targetE0EEEvT1_.num_agpr, 0
	.set _ZN7rocprim17ROCPRIM_400000_NS6detail17trampoline_kernelINS0_14default_configENS1_20scan_config_selectorIlEEZZNS1_9scan_implILNS1_25lookback_scan_determinismE0ELb0ELb0ES3_PlS8_lN6thrust23THRUST_200600_302600_NS4plusIvEElEEDaPvRmT3_T4_T5_mT6_P12ihipStream_tbENKUlT_T0_E_clISt17integral_constantIbLb0EESP_IbLb1EEEEDaSL_SM_EUlSL_E_NS1_11comp_targetILNS1_3genE8ELNS1_11target_archE1030ELNS1_3gpuE2ELNS1_3repE0EEENS1_30default_config_static_selectorELNS0_4arch9wavefront6targetE0EEEvT1_.numbered_sgpr, 0
	.set _ZN7rocprim17ROCPRIM_400000_NS6detail17trampoline_kernelINS0_14default_configENS1_20scan_config_selectorIlEEZZNS1_9scan_implILNS1_25lookback_scan_determinismE0ELb0ELb0ES3_PlS8_lN6thrust23THRUST_200600_302600_NS4plusIvEElEEDaPvRmT3_T4_T5_mT6_P12ihipStream_tbENKUlT_T0_E_clISt17integral_constantIbLb0EESP_IbLb1EEEEDaSL_SM_EUlSL_E_NS1_11comp_targetILNS1_3genE8ELNS1_11target_archE1030ELNS1_3gpuE2ELNS1_3repE0EEENS1_30default_config_static_selectorELNS0_4arch9wavefront6targetE0EEEvT1_.num_named_barrier, 0
	.set _ZN7rocprim17ROCPRIM_400000_NS6detail17trampoline_kernelINS0_14default_configENS1_20scan_config_selectorIlEEZZNS1_9scan_implILNS1_25lookback_scan_determinismE0ELb0ELb0ES3_PlS8_lN6thrust23THRUST_200600_302600_NS4plusIvEElEEDaPvRmT3_T4_T5_mT6_P12ihipStream_tbENKUlT_T0_E_clISt17integral_constantIbLb0EESP_IbLb1EEEEDaSL_SM_EUlSL_E_NS1_11comp_targetILNS1_3genE8ELNS1_11target_archE1030ELNS1_3gpuE2ELNS1_3repE0EEENS1_30default_config_static_selectorELNS0_4arch9wavefront6targetE0EEEvT1_.private_seg_size, 0
	.set _ZN7rocprim17ROCPRIM_400000_NS6detail17trampoline_kernelINS0_14default_configENS1_20scan_config_selectorIlEEZZNS1_9scan_implILNS1_25lookback_scan_determinismE0ELb0ELb0ES3_PlS8_lN6thrust23THRUST_200600_302600_NS4plusIvEElEEDaPvRmT3_T4_T5_mT6_P12ihipStream_tbENKUlT_T0_E_clISt17integral_constantIbLb0EESP_IbLb1EEEEDaSL_SM_EUlSL_E_NS1_11comp_targetILNS1_3genE8ELNS1_11target_archE1030ELNS1_3gpuE2ELNS1_3repE0EEENS1_30default_config_static_selectorELNS0_4arch9wavefront6targetE0EEEvT1_.uses_vcc, 0
	.set _ZN7rocprim17ROCPRIM_400000_NS6detail17trampoline_kernelINS0_14default_configENS1_20scan_config_selectorIlEEZZNS1_9scan_implILNS1_25lookback_scan_determinismE0ELb0ELb0ES3_PlS8_lN6thrust23THRUST_200600_302600_NS4plusIvEElEEDaPvRmT3_T4_T5_mT6_P12ihipStream_tbENKUlT_T0_E_clISt17integral_constantIbLb0EESP_IbLb1EEEEDaSL_SM_EUlSL_E_NS1_11comp_targetILNS1_3genE8ELNS1_11target_archE1030ELNS1_3gpuE2ELNS1_3repE0EEENS1_30default_config_static_selectorELNS0_4arch9wavefront6targetE0EEEvT1_.uses_flat_scratch, 0
	.set _ZN7rocprim17ROCPRIM_400000_NS6detail17trampoline_kernelINS0_14default_configENS1_20scan_config_selectorIlEEZZNS1_9scan_implILNS1_25lookback_scan_determinismE0ELb0ELb0ES3_PlS8_lN6thrust23THRUST_200600_302600_NS4plusIvEElEEDaPvRmT3_T4_T5_mT6_P12ihipStream_tbENKUlT_T0_E_clISt17integral_constantIbLb0EESP_IbLb1EEEEDaSL_SM_EUlSL_E_NS1_11comp_targetILNS1_3genE8ELNS1_11target_archE1030ELNS1_3gpuE2ELNS1_3repE0EEENS1_30default_config_static_selectorELNS0_4arch9wavefront6targetE0EEEvT1_.has_dyn_sized_stack, 0
	.set _ZN7rocprim17ROCPRIM_400000_NS6detail17trampoline_kernelINS0_14default_configENS1_20scan_config_selectorIlEEZZNS1_9scan_implILNS1_25lookback_scan_determinismE0ELb0ELb0ES3_PlS8_lN6thrust23THRUST_200600_302600_NS4plusIvEElEEDaPvRmT3_T4_T5_mT6_P12ihipStream_tbENKUlT_T0_E_clISt17integral_constantIbLb0EESP_IbLb1EEEEDaSL_SM_EUlSL_E_NS1_11comp_targetILNS1_3genE8ELNS1_11target_archE1030ELNS1_3gpuE2ELNS1_3repE0EEENS1_30default_config_static_selectorELNS0_4arch9wavefront6targetE0EEEvT1_.has_recursion, 0
	.set _ZN7rocprim17ROCPRIM_400000_NS6detail17trampoline_kernelINS0_14default_configENS1_20scan_config_selectorIlEEZZNS1_9scan_implILNS1_25lookback_scan_determinismE0ELb0ELb0ES3_PlS8_lN6thrust23THRUST_200600_302600_NS4plusIvEElEEDaPvRmT3_T4_T5_mT6_P12ihipStream_tbENKUlT_T0_E_clISt17integral_constantIbLb0EESP_IbLb1EEEEDaSL_SM_EUlSL_E_NS1_11comp_targetILNS1_3genE8ELNS1_11target_archE1030ELNS1_3gpuE2ELNS1_3repE0EEENS1_30default_config_static_selectorELNS0_4arch9wavefront6targetE0EEEvT1_.has_indirect_call, 0
	.section	.AMDGPU.csdata,"",@progbits
; Kernel info:
; codeLenInByte = 0
; TotalNumSgprs: 0
; NumVgprs: 0
; ScratchSize: 0
; MemoryBound: 0
; FloatMode: 240
; IeeeMode: 1
; LDSByteSize: 0 bytes/workgroup (compile time only)
; SGPRBlocks: 0
; VGPRBlocks: 0
; NumSGPRsForWavesPerEU: 1
; NumVGPRsForWavesPerEU: 1
; NamedBarCnt: 0
; Occupancy: 16
; WaveLimiterHint : 0
; COMPUTE_PGM_RSRC2:SCRATCH_EN: 0
; COMPUTE_PGM_RSRC2:USER_SGPR: 2
; COMPUTE_PGM_RSRC2:TRAP_HANDLER: 0
; COMPUTE_PGM_RSRC2:TGID_X_EN: 1
; COMPUTE_PGM_RSRC2:TGID_Y_EN: 0
; COMPUTE_PGM_RSRC2:TGID_Z_EN: 0
; COMPUTE_PGM_RSRC2:TIDIG_COMP_CNT: 0
	.section	.text._ZN7rocprim17ROCPRIM_400000_NS6detail17trampoline_kernelINS0_14default_configENS1_20scan_config_selectorIlEEZZNS1_9scan_implILNS1_25lookback_scan_determinismE0ELb0ELb0ES3_PlS8_lN6thrust23THRUST_200600_302600_NS4plusIvEElEEDaPvRmT3_T4_T5_mT6_P12ihipStream_tbENKUlT_T0_E_clISt17integral_constantIbLb0EESP_IbLb1EEEEDaSL_SM_EUlSL_E0_NS1_11comp_targetILNS1_3genE0ELNS1_11target_archE4294967295ELNS1_3gpuE0ELNS1_3repE0EEENS1_30default_config_static_selectorELNS0_4arch9wavefront6targetE0EEEvT1_,"axG",@progbits,_ZN7rocprim17ROCPRIM_400000_NS6detail17trampoline_kernelINS0_14default_configENS1_20scan_config_selectorIlEEZZNS1_9scan_implILNS1_25lookback_scan_determinismE0ELb0ELb0ES3_PlS8_lN6thrust23THRUST_200600_302600_NS4plusIvEElEEDaPvRmT3_T4_T5_mT6_P12ihipStream_tbENKUlT_T0_E_clISt17integral_constantIbLb0EESP_IbLb1EEEEDaSL_SM_EUlSL_E0_NS1_11comp_targetILNS1_3genE0ELNS1_11target_archE4294967295ELNS1_3gpuE0ELNS1_3repE0EEENS1_30default_config_static_selectorELNS0_4arch9wavefront6targetE0EEEvT1_,comdat
	.protected	_ZN7rocprim17ROCPRIM_400000_NS6detail17trampoline_kernelINS0_14default_configENS1_20scan_config_selectorIlEEZZNS1_9scan_implILNS1_25lookback_scan_determinismE0ELb0ELb0ES3_PlS8_lN6thrust23THRUST_200600_302600_NS4plusIvEElEEDaPvRmT3_T4_T5_mT6_P12ihipStream_tbENKUlT_T0_E_clISt17integral_constantIbLb0EESP_IbLb1EEEEDaSL_SM_EUlSL_E0_NS1_11comp_targetILNS1_3genE0ELNS1_11target_archE4294967295ELNS1_3gpuE0ELNS1_3repE0EEENS1_30default_config_static_selectorELNS0_4arch9wavefront6targetE0EEEvT1_ ; -- Begin function _ZN7rocprim17ROCPRIM_400000_NS6detail17trampoline_kernelINS0_14default_configENS1_20scan_config_selectorIlEEZZNS1_9scan_implILNS1_25lookback_scan_determinismE0ELb0ELb0ES3_PlS8_lN6thrust23THRUST_200600_302600_NS4plusIvEElEEDaPvRmT3_T4_T5_mT6_P12ihipStream_tbENKUlT_T0_E_clISt17integral_constantIbLb0EESP_IbLb1EEEEDaSL_SM_EUlSL_E0_NS1_11comp_targetILNS1_3genE0ELNS1_11target_archE4294967295ELNS1_3gpuE0ELNS1_3repE0EEENS1_30default_config_static_selectorELNS0_4arch9wavefront6targetE0EEEvT1_
	.globl	_ZN7rocprim17ROCPRIM_400000_NS6detail17trampoline_kernelINS0_14default_configENS1_20scan_config_selectorIlEEZZNS1_9scan_implILNS1_25lookback_scan_determinismE0ELb0ELb0ES3_PlS8_lN6thrust23THRUST_200600_302600_NS4plusIvEElEEDaPvRmT3_T4_T5_mT6_P12ihipStream_tbENKUlT_T0_E_clISt17integral_constantIbLb0EESP_IbLb1EEEEDaSL_SM_EUlSL_E0_NS1_11comp_targetILNS1_3genE0ELNS1_11target_archE4294967295ELNS1_3gpuE0ELNS1_3repE0EEENS1_30default_config_static_selectorELNS0_4arch9wavefront6targetE0EEEvT1_
	.p2align	8
	.type	_ZN7rocprim17ROCPRIM_400000_NS6detail17trampoline_kernelINS0_14default_configENS1_20scan_config_selectorIlEEZZNS1_9scan_implILNS1_25lookback_scan_determinismE0ELb0ELb0ES3_PlS8_lN6thrust23THRUST_200600_302600_NS4plusIvEElEEDaPvRmT3_T4_T5_mT6_P12ihipStream_tbENKUlT_T0_E_clISt17integral_constantIbLb0EESP_IbLb1EEEEDaSL_SM_EUlSL_E0_NS1_11comp_targetILNS1_3genE0ELNS1_11target_archE4294967295ELNS1_3gpuE0ELNS1_3repE0EEENS1_30default_config_static_selectorELNS0_4arch9wavefront6targetE0EEEvT1_,@function
_ZN7rocprim17ROCPRIM_400000_NS6detail17trampoline_kernelINS0_14default_configENS1_20scan_config_selectorIlEEZZNS1_9scan_implILNS1_25lookback_scan_determinismE0ELb0ELb0ES3_PlS8_lN6thrust23THRUST_200600_302600_NS4plusIvEElEEDaPvRmT3_T4_T5_mT6_P12ihipStream_tbENKUlT_T0_E_clISt17integral_constantIbLb0EESP_IbLb1EEEEDaSL_SM_EUlSL_E0_NS1_11comp_targetILNS1_3genE0ELNS1_11target_archE4294967295ELNS1_3gpuE0ELNS1_3repE0EEENS1_30default_config_static_selectorELNS0_4arch9wavefront6targetE0EEEvT1_: ; @_ZN7rocprim17ROCPRIM_400000_NS6detail17trampoline_kernelINS0_14default_configENS1_20scan_config_selectorIlEEZZNS1_9scan_implILNS1_25lookback_scan_determinismE0ELb0ELb0ES3_PlS8_lN6thrust23THRUST_200600_302600_NS4plusIvEElEEDaPvRmT3_T4_T5_mT6_P12ihipStream_tbENKUlT_T0_E_clISt17integral_constantIbLb0EESP_IbLb1EEEEDaSL_SM_EUlSL_E0_NS1_11comp_targetILNS1_3genE0ELNS1_11target_archE4294967295ELNS1_3gpuE0ELNS1_3repE0EEENS1_30default_config_static_selectorELNS0_4arch9wavefront6targetE0EEEvT1_
; %bb.0:
	s_load_b128 s[8:11], s[0:1], 0x0
	s_wait_kmcnt 0x0
	v_cmp_gt_u32_e32 vcc_lo, s10, v0
	s_load_b64 s[12:13], s[8:9], 0x0
	s_wait_kmcnt 0x0
	v_mov_b64_e32 v[2:3], s[12:13]
	s_and_saveexec_b32 s2, vcc_lo
	s_cbranch_execz .LBB150_2
; %bb.1:
	global_load_b64 v[2:3], v0, s[8:9] scale_offset
.LBB150_2:
	s_wait_xcnt 0x0
	s_or_b32 exec_lo, exec_lo, s2
	v_or_b32_e32 v1, 0x100, v0
	v_mov_b64_e32 v[4:5], s[12:13]
	s_delay_alu instid0(VALU_DEP_2)
	v_cmp_gt_u32_e64 s2, s10, v1
	s_and_saveexec_b32 s3, s2
	s_cbranch_execz .LBB150_4
; %bb.3:
	global_load_b64 v[4:5], v0, s[8:9] offset:2048 scale_offset
.LBB150_4:
	s_wait_xcnt 0x0
	s_or_b32 exec_lo, exec_lo, s3
	v_or_b32_e32 v1, 0x200, v0
	v_mov_b64_e32 v[6:7], s[12:13]
	s_delay_alu instid0(VALU_DEP_2)
	v_cmp_gt_u32_e64 s3, s10, v1
	s_and_saveexec_b32 s4, s3
	s_cbranch_execz .LBB150_6
; %bb.5:
	global_load_b64 v[6:7], v0, s[8:9] offset:4096 scale_offset
.LBB150_6:
	;; [unrolled: 11-line block ×4, first 2 shown]
	s_wait_xcnt 0x0
	s_or_b32 exec_lo, exec_lo, s6
	v_or_b32_e32 v1, 0x500, v0
	s_delay_alu instid0(VALU_DEP_1) | instskip(SKIP_2) | instid1(SALU_CYCLE_1)
	v_cmp_gt_u32_e64 s6, s10, v1
	v_cmp_le_u32_e64 s7, s10, v1
	s_and_saveexec_b32 s10, s7
	s_xor_b32 s7, exec_lo, s10
	s_delay_alu instid0(SALU_CYCLE_1)
	s_or_saveexec_b32 s7, s7
	v_mov_b64_e32 v[12:13], s[12:13]
	s_xor_b32 exec_lo, exec_lo, s7
	s_cbranch_execz .LBB150_12
; %bb.11:
	global_load_b64 v[12:13], v0, s[8:9] offset:10240 scale_offset
.LBB150_12:
	s_wait_xcnt 0x0
	s_or_b32 exec_lo, exec_lo, s7
	v_lshlrev_b32_e32 v36, 3, v0
	s_mov_b32 s8, exec_lo
	s_wait_loadcnt 0x0
	ds_store_2addr_stride64_b64 v36, v[2:3], v[4:5] offset1:4
	ds_store_2addr_stride64_b64 v36, v[6:7], v[8:9] offset0:8 offset1:12
	ds_store_2addr_stride64_b64 v36, v[10:11], v[12:13] offset0:16 offset1:20
	v_mad_u32_u24 v1, v0, 40, v36
	s_wait_dscnt 0x0
	s_barrier_signal -1
	s_barrier_wait -1
	ds_load_b128 v[2:5], v1
	ds_load_b128 v[14:17], v1 offset:16
	ds_load_b128 v[18:21], v1 offset:32
	v_mbcnt_lo_u32_b32 v1, -1, 0
	s_wait_dscnt 0x0
	s_barrier_signal -1
	s_barrier_wait -1
	s_delay_alu instid0(VALU_DEP_1) | instskip(SKIP_1) | instid1(VALU_DEP_1)
	v_and_b32_e32 v32, 15, v1
	v_add_nc_u64_e32 v[22:23], v[4:5], v[2:3]
	v_add_nc_u64_e32 v[10:11], v[22:23], v[14:15]
	s_delay_alu instid0(VALU_DEP_1) | instskip(NEXT) | instid1(VALU_DEP_1)
	v_add_nc_u64_e32 v[12:13], v[10:11], v[16:17]
	v_add_nc_u64_e32 v[6:7], v[12:13], v[18:19]
	s_delay_alu instid0(VALU_DEP_1) | instskip(NEXT) | instid1(VALU_DEP_1)
	v_add_nc_u64_e32 v[8:9], v[6:7], v[20:21]
	v_mov_b64_e32 v[28:29], v[8:9]
	v_mov_b32_dpp v26, v8 row_shr:1 row_mask:0xf bank_mask:0xf
	v_mov_b32_dpp v31, v9 row_shr:1 row_mask:0xf bank_mask:0xf
	v_dual_mov_b32 v27, v9 :: v_dual_mov_b32 v24, v8
	v_cmpx_ne_u32_e32 0, v32
; %bb.13:
	v_mov_b32_e32 v30, 0
	s_delay_alu instid0(VALU_DEP_1) | instskip(NEXT) | instid1(VALU_DEP_1)
	v_mov_b32_e32 v27, v30
	v_add_nc_u64_e32 v[24:25], v[8:9], v[26:27]
	s_delay_alu instid0(VALU_DEP_1) | instskip(NEXT) | instid1(VALU_DEP_1)
	v_add_nc_u64_e32 v[26:27], v[30:31], v[24:25]
	v_mov_b64_e32 v[28:29], v[26:27]
; %bb.14:
	s_or_b32 exec_lo, exec_lo, s8
	v_mov_b32_dpp v26, v24 row_shr:2 row_mask:0xf bank_mask:0xf
	v_mov_b32_dpp v31, v27 row_shr:2 row_mask:0xf bank_mask:0xf
	s_mov_b32 s8, exec_lo
	v_cmpx_lt_u32_e32 1, v32
; %bb.15:
	v_mov_b32_e32 v30, 0
	s_delay_alu instid0(VALU_DEP_1) | instskip(NEXT) | instid1(VALU_DEP_1)
	v_mov_b32_e32 v27, v30
	v_add_nc_u64_e32 v[24:25], v[28:29], v[26:27]
	s_delay_alu instid0(VALU_DEP_1) | instskip(NEXT) | instid1(VALU_DEP_1)
	v_add_nc_u64_e32 v[26:27], v[30:31], v[24:25]
	v_mov_b64_e32 v[28:29], v[26:27]
; %bb.16:
	s_or_b32 exec_lo, exec_lo, s8
	v_mov_b32_dpp v26, v24 row_shr:4 row_mask:0xf bank_mask:0xf
	v_mov_b32_dpp v31, v27 row_shr:4 row_mask:0xf bank_mask:0xf
	s_mov_b32 s8, exec_lo
	v_cmpx_lt_u32_e32 3, v32
	;; [unrolled: 14-line block ×3, first 2 shown]
; %bb.19:
	v_mov_b32_e32 v30, 0
	s_delay_alu instid0(VALU_DEP_1) | instskip(NEXT) | instid1(VALU_DEP_1)
	v_mov_b32_e32 v27, v30
	v_add_nc_u64_e32 v[24:25], v[28:29], v[26:27]
	s_delay_alu instid0(VALU_DEP_1) | instskip(NEXT) | instid1(VALU_DEP_1)
	v_add_nc_u64_e32 v[28:29], v[30:31], v[24:25]
	v_mov_b32_e32 v27, v29
; %bb.20:
	s_or_b32 exec_lo, exec_lo, s8
	ds_swizzle_b32 v26, v24 offset:swizzle(BROADCAST,32,15)
	ds_swizzle_b32 v31, v27 offset:swizzle(BROADCAST,32,15)
	v_and_b32_e32 v25, 16, v1
	s_mov_b32 s8, exec_lo
	s_delay_alu instid0(VALU_DEP_1)
	v_cmpx_ne_u32_e32 0, v25
	s_cbranch_execz .LBB150_22
; %bb.21:
	v_mov_b32_e32 v30, 0
	s_delay_alu instid0(VALU_DEP_1) | instskip(SKIP_1) | instid1(VALU_DEP_1)
	v_mov_b32_e32 v27, v30
	s_wait_dscnt 0x1
	v_add_nc_u64_e32 v[24:25], v[28:29], v[26:27]
	s_wait_dscnt 0x0
	s_delay_alu instid0(VALU_DEP_1) | instskip(NEXT) | instid1(VALU_DEP_1)
	v_add_nc_u64_e32 v[26:27], v[30:31], v[24:25]
	v_mov_b64_e32 v[28:29], v[26:27]
.LBB150_22:
	s_or_b32 exec_lo, exec_lo, s8
	s_wait_dscnt 0x1
	v_dual_lshrrev_b32 v25, 5, v0 :: v_dual_bitop2_b32 v26, 31, v0 bitop3:0x54
	s_mov_b32 s8, exec_lo
	s_delay_alu instid0(VALU_DEP_1)
	v_cmpx_eq_u32_e64 v0, v26
; %bb.23:
	s_delay_alu instid0(VALU_DEP_2)
	v_lshlrev_b32_e32 v26, 3, v25
	ds_store_b64 v26, v[28:29]
; %bb.24:
	s_or_b32 exec_lo, exec_lo, s8
	s_delay_alu instid0(SALU_CYCLE_1)
	s_mov_b32 s8, exec_lo
	s_wait_dscnt 0x0
	s_barrier_signal -1
	s_barrier_wait -1
	v_cmpx_gt_u32_e32 8, v0
	s_cbranch_execz .LBB150_32
; %bb.25:
	ds_load_b64 v[28:29], v36
	v_and_b32_e32 v26, 7, v1
	s_mov_b32 s9, exec_lo
	s_wait_dscnt 0x0
	v_mov_b32_dpp v32, v28 row_shr:1 row_mask:0xf bank_mask:0xf
	v_mov_b32_dpp v35, v29 row_shr:1 row_mask:0xf bank_mask:0xf
	v_mov_b32_e32 v30, v28
	v_cmpx_ne_u32_e32 0, v26
; %bb.26:
	v_mov_b32_e32 v34, 0
	s_delay_alu instid0(VALU_DEP_1) | instskip(NEXT) | instid1(VALU_DEP_1)
	v_mov_b32_e32 v33, v34
	v_add_nc_u64_e32 v[30:31], v[28:29], v[32:33]
	s_delay_alu instid0(VALU_DEP_1)
	v_add_nc_u64_e32 v[28:29], v[34:35], v[30:31]
; %bb.27:
	s_or_b32 exec_lo, exec_lo, s9
	v_mov_b32_dpp v32, v30 row_shr:2 row_mask:0xf bank_mask:0xf
	s_delay_alu instid0(VALU_DEP_2)
	v_mov_b32_dpp v35, v29 row_shr:2 row_mask:0xf bank_mask:0xf
	s_mov_b32 s9, exec_lo
	v_cmpx_lt_u32_e32 1, v26
; %bb.28:
	v_mov_b32_e32 v34, 0
	s_delay_alu instid0(VALU_DEP_1) | instskip(NEXT) | instid1(VALU_DEP_1)
	v_mov_b32_e32 v33, v34
	v_add_nc_u64_e32 v[30:31], v[28:29], v[32:33]
	s_delay_alu instid0(VALU_DEP_1)
	v_add_nc_u64_e32 v[28:29], v[34:35], v[30:31]
; %bb.29:
	s_or_b32 exec_lo, exec_lo, s9
	v_mov_b32_dpp v30, v30 row_shr:4 row_mask:0xf bank_mask:0xf
	s_delay_alu instid0(VALU_DEP_2)
	v_mov_b32_dpp v33, v29 row_shr:4 row_mask:0xf bank_mask:0xf
	s_mov_b32 s9, exec_lo
	v_cmpx_lt_u32_e32 3, v26
; %bb.30:
	v_mov_b32_e32 v32, 0
	s_delay_alu instid0(VALU_DEP_1) | instskip(NEXT) | instid1(VALU_DEP_1)
	v_mov_b32_e32 v31, v32
	v_add_nc_u64_e32 v[28:29], v[28:29], v[30:31]
	s_delay_alu instid0(VALU_DEP_1)
	v_add_nc_u64_e32 v[28:29], v[28:29], v[32:33]
; %bb.31:
	s_or_b32 exec_lo, exec_lo, s9
	ds_store_b64 v36, v[28:29]
.LBB150_32:
	s_or_b32 exec_lo, exec_lo, s8
	s_load_b64 s[8:9], s[0:1], 0x20
	v_mul_u32_u24_e32 v30, 40, v0
	s_wait_xcnt 0x0
	s_mov_b32 s1, exec_lo
	s_wait_dscnt 0x0
	s_barrier_signal -1
	s_barrier_wait -1
                                        ; implicit-def: $vgpr28_vgpr29
	v_cmpx_lt_u32_e32 31, v0
	s_cbranch_execz .LBB150_34
; %bb.33:
	v_lshl_add_u32 v25, v25, 3, -8
	ds_load_b64 v[28:29], v25
	v_mov_b32_e32 v25, v27
	s_wait_dscnt 0x0
	s_delay_alu instid0(VALU_DEP_1) | instskip(NEXT) | instid1(VALU_DEP_1)
	v_add_nc_u64_e32 v[26:27], v[24:25], v[28:29]
	v_mov_b32_e32 v24, v26
.LBB150_34:
	s_or_b32 exec_lo, exec_lo, s1
	v_add_nc_u32_e32 v25, -1, v1
	s_mov_b32 s1, exec_lo
	s_delay_alu instid0(VALU_DEP_1) | instskip(NEXT) | instid1(VALU_DEP_1)
	v_cmp_gt_i32_e64 s0, 0, v25
	v_cndmask_b32_e64 v25, v25, v1, s0
	s_delay_alu instid0(VALU_DEP_1)
	v_lshlrev_b32_e32 v25, 2, v25
	ds_bpermute_b32 v24, v25, v24
	ds_bpermute_b32 v25, v25, v27
	v_cmpx_ne_u32_e32 0, v0
	s_cbranch_execz .LBB150_36
; %bb.35:
	v_cmp_eq_u32_e64 s0, 0, v1
	;;#ASMSTART
	;;#ASMEND
	s_wait_dscnt 0x0
	s_delay_alu instid0(VALU_DEP_1) | instskip(NEXT) | instid1(VALU_DEP_1)
	v_dual_cndmask_b32 v7, v25, v29, s0 :: v_dual_cndmask_b32 v6, v24, v28, s0
	v_add_nc_u64_e32 v[2:3], v[6:7], v[2:3]
	s_delay_alu instid0(VALU_DEP_1) | instskip(NEXT) | instid1(VALU_DEP_1)
	v_add_nc_u64_e32 v[22:23], v[2:3], v[4:5]
	v_add_nc_u64_e32 v[10:11], v[22:23], v[14:15]
	s_delay_alu instid0(VALU_DEP_1) | instskip(NEXT) | instid1(VALU_DEP_1)
	v_add_nc_u64_e32 v[12:13], v[10:11], v[16:17]
	v_add_nc_u64_e32 v[6:7], v[12:13], v[18:19]
	s_delay_alu instid0(VALU_DEP_1)
	v_add_nc_u64_e32 v[8:9], v[6:7], v[20:21]
.LBB150_36:
	s_or_b32 exec_lo, exec_lo, s1
	v_dual_mov_b32 v4, v22 :: v_dual_add_nc_u32 v1, v36, v30
	v_dual_mov_b32 v5, v23 :: v_dual_lshlrev_b32 v0, 3, v0
	s_wait_dscnt 0x0
	s_barrier_signal -1
	s_barrier_wait -1
	ds_store_b128 v1, v[2:5]
	ds_store_b128 v1, v[10:13] offset:16
	ds_store_b128 v1, v[6:9] offset:32
	s_wait_dscnt 0x0
	s_barrier_signal -1
	s_barrier_wait -1
	ds_load_2addr_stride64_b64 v[6:9], v36 offset0:4 offset1:8
	ds_load_2addr_stride64_b64 v[2:5], v36 offset0:12 offset1:16
	ds_load_b64 v[10:11], v36 offset:10240
	v_mov_b32_e32 v1, 0
	s_wait_kmcnt 0x0
	s_delay_alu instid0(VALU_DEP_1)
	v_add_nc_u64_e32 v[0:1], s[8:9], v[0:1]
	s_and_saveexec_b32 s0, vcc_lo
	s_cbranch_execnz .LBB150_43
; %bb.37:
	s_or_b32 exec_lo, exec_lo, s0
	s_and_saveexec_b32 s0, s2
	s_cbranch_execnz .LBB150_44
.LBB150_38:
	s_or_b32 exec_lo, exec_lo, s0
	s_and_saveexec_b32 s0, s3
	s_cbranch_execnz .LBB150_45
.LBB150_39:
	s_or_b32 exec_lo, exec_lo, s0
	s_and_saveexec_b32 s0, s4
	s_cbranch_execnz .LBB150_46
.LBB150_40:
	s_or_b32 exec_lo, exec_lo, s0
	s_and_saveexec_b32 s0, s5
	s_cbranch_execnz .LBB150_47
.LBB150_41:
	s_or_b32 exec_lo, exec_lo, s0
	s_and_saveexec_b32 s0, s6
	s_cbranch_execnz .LBB150_48
.LBB150_42:
	s_endpgm
.LBB150_43:
	ds_load_b64 v[12:13], v36
	s_wait_dscnt 0x0
	global_store_b64 v[0:1], v[12:13], off
	s_wait_xcnt 0x0
	s_or_b32 exec_lo, exec_lo, s0
	s_and_saveexec_b32 s0, s2
	s_cbranch_execz .LBB150_38
.LBB150_44:
	s_wait_dscnt 0x2
	global_store_b64 v[0:1], v[6:7], off offset:2048
	s_wait_xcnt 0x0
	s_or_b32 exec_lo, exec_lo, s0
	s_and_saveexec_b32 s0, s3
	s_cbranch_execz .LBB150_39
.LBB150_45:
	s_wait_dscnt 0x2
	global_store_b64 v[0:1], v[8:9], off offset:4096
	s_wait_xcnt 0x0
	s_or_b32 exec_lo, exec_lo, s0
	s_and_saveexec_b32 s0, s4
	s_cbranch_execz .LBB150_40
.LBB150_46:
	s_wait_dscnt 0x1
	global_store_b64 v[0:1], v[2:3], off offset:6144
	s_wait_xcnt 0x0
	s_or_b32 exec_lo, exec_lo, s0
	s_and_saveexec_b32 s0, s5
	s_cbranch_execz .LBB150_41
.LBB150_47:
	s_wait_dscnt 0x1
	global_store_b64 v[0:1], v[4:5], off offset:8192
	s_wait_xcnt 0x0
	s_or_b32 exec_lo, exec_lo, s0
	s_and_saveexec_b32 s0, s6
	s_cbranch_execz .LBB150_42
.LBB150_48:
	s_wait_dscnt 0x0
	global_store_b64 v[0:1], v[10:11], off offset:10240
	s_endpgm
	.section	.rodata,"a",@progbits
	.p2align	6, 0x0
	.amdhsa_kernel _ZN7rocprim17ROCPRIM_400000_NS6detail17trampoline_kernelINS0_14default_configENS1_20scan_config_selectorIlEEZZNS1_9scan_implILNS1_25lookback_scan_determinismE0ELb0ELb0ES3_PlS8_lN6thrust23THRUST_200600_302600_NS4plusIvEElEEDaPvRmT3_T4_T5_mT6_P12ihipStream_tbENKUlT_T0_E_clISt17integral_constantIbLb0EESP_IbLb1EEEEDaSL_SM_EUlSL_E0_NS1_11comp_targetILNS1_3genE0ELNS1_11target_archE4294967295ELNS1_3gpuE0ELNS1_3repE0EEENS1_30default_config_static_selectorELNS0_4arch9wavefront6targetE0EEEvT1_
		.amdhsa_group_segment_fixed_size 12288
		.amdhsa_private_segment_fixed_size 0
		.amdhsa_kernarg_size 40
		.amdhsa_user_sgpr_count 2
		.amdhsa_user_sgpr_dispatch_ptr 0
		.amdhsa_user_sgpr_queue_ptr 0
		.amdhsa_user_sgpr_kernarg_segment_ptr 1
		.amdhsa_user_sgpr_dispatch_id 0
		.amdhsa_user_sgpr_kernarg_preload_length 0
		.amdhsa_user_sgpr_kernarg_preload_offset 0
		.amdhsa_user_sgpr_private_segment_size 0
		.amdhsa_wavefront_size32 1
		.amdhsa_uses_dynamic_stack 0
		.amdhsa_enable_private_segment 0
		.amdhsa_system_sgpr_workgroup_id_x 1
		.amdhsa_system_sgpr_workgroup_id_y 0
		.amdhsa_system_sgpr_workgroup_id_z 0
		.amdhsa_system_sgpr_workgroup_info 0
		.amdhsa_system_vgpr_workitem_id 0
		.amdhsa_next_free_vgpr 37
		.amdhsa_next_free_sgpr 14
		.amdhsa_named_barrier_count 0
		.amdhsa_reserve_vcc 1
		.amdhsa_float_round_mode_32 0
		.amdhsa_float_round_mode_16_64 0
		.amdhsa_float_denorm_mode_32 3
		.amdhsa_float_denorm_mode_16_64 3
		.amdhsa_fp16_overflow 0
		.amdhsa_memory_ordered 1
		.amdhsa_forward_progress 1
		.amdhsa_inst_pref_size 13
		.amdhsa_round_robin_scheduling 0
		.amdhsa_exception_fp_ieee_invalid_op 0
		.amdhsa_exception_fp_denorm_src 0
		.amdhsa_exception_fp_ieee_div_zero 0
		.amdhsa_exception_fp_ieee_overflow 0
		.amdhsa_exception_fp_ieee_underflow 0
		.amdhsa_exception_fp_ieee_inexact 0
		.amdhsa_exception_int_div_zero 0
	.end_amdhsa_kernel
	.section	.text._ZN7rocprim17ROCPRIM_400000_NS6detail17trampoline_kernelINS0_14default_configENS1_20scan_config_selectorIlEEZZNS1_9scan_implILNS1_25lookback_scan_determinismE0ELb0ELb0ES3_PlS8_lN6thrust23THRUST_200600_302600_NS4plusIvEElEEDaPvRmT3_T4_T5_mT6_P12ihipStream_tbENKUlT_T0_E_clISt17integral_constantIbLb0EESP_IbLb1EEEEDaSL_SM_EUlSL_E0_NS1_11comp_targetILNS1_3genE0ELNS1_11target_archE4294967295ELNS1_3gpuE0ELNS1_3repE0EEENS1_30default_config_static_selectorELNS0_4arch9wavefront6targetE0EEEvT1_,"axG",@progbits,_ZN7rocprim17ROCPRIM_400000_NS6detail17trampoline_kernelINS0_14default_configENS1_20scan_config_selectorIlEEZZNS1_9scan_implILNS1_25lookback_scan_determinismE0ELb0ELb0ES3_PlS8_lN6thrust23THRUST_200600_302600_NS4plusIvEElEEDaPvRmT3_T4_T5_mT6_P12ihipStream_tbENKUlT_T0_E_clISt17integral_constantIbLb0EESP_IbLb1EEEEDaSL_SM_EUlSL_E0_NS1_11comp_targetILNS1_3genE0ELNS1_11target_archE4294967295ELNS1_3gpuE0ELNS1_3repE0EEENS1_30default_config_static_selectorELNS0_4arch9wavefront6targetE0EEEvT1_,comdat
.Lfunc_end150:
	.size	_ZN7rocprim17ROCPRIM_400000_NS6detail17trampoline_kernelINS0_14default_configENS1_20scan_config_selectorIlEEZZNS1_9scan_implILNS1_25lookback_scan_determinismE0ELb0ELb0ES3_PlS8_lN6thrust23THRUST_200600_302600_NS4plusIvEElEEDaPvRmT3_T4_T5_mT6_P12ihipStream_tbENKUlT_T0_E_clISt17integral_constantIbLb0EESP_IbLb1EEEEDaSL_SM_EUlSL_E0_NS1_11comp_targetILNS1_3genE0ELNS1_11target_archE4294967295ELNS1_3gpuE0ELNS1_3repE0EEENS1_30default_config_static_selectorELNS0_4arch9wavefront6targetE0EEEvT1_, .Lfunc_end150-_ZN7rocprim17ROCPRIM_400000_NS6detail17trampoline_kernelINS0_14default_configENS1_20scan_config_selectorIlEEZZNS1_9scan_implILNS1_25lookback_scan_determinismE0ELb0ELb0ES3_PlS8_lN6thrust23THRUST_200600_302600_NS4plusIvEElEEDaPvRmT3_T4_T5_mT6_P12ihipStream_tbENKUlT_T0_E_clISt17integral_constantIbLb0EESP_IbLb1EEEEDaSL_SM_EUlSL_E0_NS1_11comp_targetILNS1_3genE0ELNS1_11target_archE4294967295ELNS1_3gpuE0ELNS1_3repE0EEENS1_30default_config_static_selectorELNS0_4arch9wavefront6targetE0EEEvT1_
                                        ; -- End function
	.set _ZN7rocprim17ROCPRIM_400000_NS6detail17trampoline_kernelINS0_14default_configENS1_20scan_config_selectorIlEEZZNS1_9scan_implILNS1_25lookback_scan_determinismE0ELb0ELb0ES3_PlS8_lN6thrust23THRUST_200600_302600_NS4plusIvEElEEDaPvRmT3_T4_T5_mT6_P12ihipStream_tbENKUlT_T0_E_clISt17integral_constantIbLb0EESP_IbLb1EEEEDaSL_SM_EUlSL_E0_NS1_11comp_targetILNS1_3genE0ELNS1_11target_archE4294967295ELNS1_3gpuE0ELNS1_3repE0EEENS1_30default_config_static_selectorELNS0_4arch9wavefront6targetE0EEEvT1_.num_vgpr, 37
	.set _ZN7rocprim17ROCPRIM_400000_NS6detail17trampoline_kernelINS0_14default_configENS1_20scan_config_selectorIlEEZZNS1_9scan_implILNS1_25lookback_scan_determinismE0ELb0ELb0ES3_PlS8_lN6thrust23THRUST_200600_302600_NS4plusIvEElEEDaPvRmT3_T4_T5_mT6_P12ihipStream_tbENKUlT_T0_E_clISt17integral_constantIbLb0EESP_IbLb1EEEEDaSL_SM_EUlSL_E0_NS1_11comp_targetILNS1_3genE0ELNS1_11target_archE4294967295ELNS1_3gpuE0ELNS1_3repE0EEENS1_30default_config_static_selectorELNS0_4arch9wavefront6targetE0EEEvT1_.num_agpr, 0
	.set _ZN7rocprim17ROCPRIM_400000_NS6detail17trampoline_kernelINS0_14default_configENS1_20scan_config_selectorIlEEZZNS1_9scan_implILNS1_25lookback_scan_determinismE0ELb0ELb0ES3_PlS8_lN6thrust23THRUST_200600_302600_NS4plusIvEElEEDaPvRmT3_T4_T5_mT6_P12ihipStream_tbENKUlT_T0_E_clISt17integral_constantIbLb0EESP_IbLb1EEEEDaSL_SM_EUlSL_E0_NS1_11comp_targetILNS1_3genE0ELNS1_11target_archE4294967295ELNS1_3gpuE0ELNS1_3repE0EEENS1_30default_config_static_selectorELNS0_4arch9wavefront6targetE0EEEvT1_.numbered_sgpr, 14
	.set _ZN7rocprim17ROCPRIM_400000_NS6detail17trampoline_kernelINS0_14default_configENS1_20scan_config_selectorIlEEZZNS1_9scan_implILNS1_25lookback_scan_determinismE0ELb0ELb0ES3_PlS8_lN6thrust23THRUST_200600_302600_NS4plusIvEElEEDaPvRmT3_T4_T5_mT6_P12ihipStream_tbENKUlT_T0_E_clISt17integral_constantIbLb0EESP_IbLb1EEEEDaSL_SM_EUlSL_E0_NS1_11comp_targetILNS1_3genE0ELNS1_11target_archE4294967295ELNS1_3gpuE0ELNS1_3repE0EEENS1_30default_config_static_selectorELNS0_4arch9wavefront6targetE0EEEvT1_.num_named_barrier, 0
	.set _ZN7rocprim17ROCPRIM_400000_NS6detail17trampoline_kernelINS0_14default_configENS1_20scan_config_selectorIlEEZZNS1_9scan_implILNS1_25lookback_scan_determinismE0ELb0ELb0ES3_PlS8_lN6thrust23THRUST_200600_302600_NS4plusIvEElEEDaPvRmT3_T4_T5_mT6_P12ihipStream_tbENKUlT_T0_E_clISt17integral_constantIbLb0EESP_IbLb1EEEEDaSL_SM_EUlSL_E0_NS1_11comp_targetILNS1_3genE0ELNS1_11target_archE4294967295ELNS1_3gpuE0ELNS1_3repE0EEENS1_30default_config_static_selectorELNS0_4arch9wavefront6targetE0EEEvT1_.private_seg_size, 0
	.set _ZN7rocprim17ROCPRIM_400000_NS6detail17trampoline_kernelINS0_14default_configENS1_20scan_config_selectorIlEEZZNS1_9scan_implILNS1_25lookback_scan_determinismE0ELb0ELb0ES3_PlS8_lN6thrust23THRUST_200600_302600_NS4plusIvEElEEDaPvRmT3_T4_T5_mT6_P12ihipStream_tbENKUlT_T0_E_clISt17integral_constantIbLb0EESP_IbLb1EEEEDaSL_SM_EUlSL_E0_NS1_11comp_targetILNS1_3genE0ELNS1_11target_archE4294967295ELNS1_3gpuE0ELNS1_3repE0EEENS1_30default_config_static_selectorELNS0_4arch9wavefront6targetE0EEEvT1_.uses_vcc, 1
	.set _ZN7rocprim17ROCPRIM_400000_NS6detail17trampoline_kernelINS0_14default_configENS1_20scan_config_selectorIlEEZZNS1_9scan_implILNS1_25lookback_scan_determinismE0ELb0ELb0ES3_PlS8_lN6thrust23THRUST_200600_302600_NS4plusIvEElEEDaPvRmT3_T4_T5_mT6_P12ihipStream_tbENKUlT_T0_E_clISt17integral_constantIbLb0EESP_IbLb1EEEEDaSL_SM_EUlSL_E0_NS1_11comp_targetILNS1_3genE0ELNS1_11target_archE4294967295ELNS1_3gpuE0ELNS1_3repE0EEENS1_30default_config_static_selectorELNS0_4arch9wavefront6targetE0EEEvT1_.uses_flat_scratch, 0
	.set _ZN7rocprim17ROCPRIM_400000_NS6detail17trampoline_kernelINS0_14default_configENS1_20scan_config_selectorIlEEZZNS1_9scan_implILNS1_25lookback_scan_determinismE0ELb0ELb0ES3_PlS8_lN6thrust23THRUST_200600_302600_NS4plusIvEElEEDaPvRmT3_T4_T5_mT6_P12ihipStream_tbENKUlT_T0_E_clISt17integral_constantIbLb0EESP_IbLb1EEEEDaSL_SM_EUlSL_E0_NS1_11comp_targetILNS1_3genE0ELNS1_11target_archE4294967295ELNS1_3gpuE0ELNS1_3repE0EEENS1_30default_config_static_selectorELNS0_4arch9wavefront6targetE0EEEvT1_.has_dyn_sized_stack, 0
	.set _ZN7rocprim17ROCPRIM_400000_NS6detail17trampoline_kernelINS0_14default_configENS1_20scan_config_selectorIlEEZZNS1_9scan_implILNS1_25lookback_scan_determinismE0ELb0ELb0ES3_PlS8_lN6thrust23THRUST_200600_302600_NS4plusIvEElEEDaPvRmT3_T4_T5_mT6_P12ihipStream_tbENKUlT_T0_E_clISt17integral_constantIbLb0EESP_IbLb1EEEEDaSL_SM_EUlSL_E0_NS1_11comp_targetILNS1_3genE0ELNS1_11target_archE4294967295ELNS1_3gpuE0ELNS1_3repE0EEENS1_30default_config_static_selectorELNS0_4arch9wavefront6targetE0EEEvT1_.has_recursion, 0
	.set _ZN7rocprim17ROCPRIM_400000_NS6detail17trampoline_kernelINS0_14default_configENS1_20scan_config_selectorIlEEZZNS1_9scan_implILNS1_25lookback_scan_determinismE0ELb0ELb0ES3_PlS8_lN6thrust23THRUST_200600_302600_NS4plusIvEElEEDaPvRmT3_T4_T5_mT6_P12ihipStream_tbENKUlT_T0_E_clISt17integral_constantIbLb0EESP_IbLb1EEEEDaSL_SM_EUlSL_E0_NS1_11comp_targetILNS1_3genE0ELNS1_11target_archE4294967295ELNS1_3gpuE0ELNS1_3repE0EEENS1_30default_config_static_selectorELNS0_4arch9wavefront6targetE0EEEvT1_.has_indirect_call, 0
	.section	.AMDGPU.csdata,"",@progbits
; Kernel info:
; codeLenInByte = 1636
; TotalNumSgprs: 16
; NumVgprs: 37
; ScratchSize: 0
; MemoryBound: 0
; FloatMode: 240
; IeeeMode: 1
; LDSByteSize: 12288 bytes/workgroup (compile time only)
; SGPRBlocks: 0
; VGPRBlocks: 2
; NumSGPRsForWavesPerEU: 16
; NumVGPRsForWavesPerEU: 37
; NamedBarCnt: 0
; Occupancy: 16
; WaveLimiterHint : 0
; COMPUTE_PGM_RSRC2:SCRATCH_EN: 0
; COMPUTE_PGM_RSRC2:USER_SGPR: 2
; COMPUTE_PGM_RSRC2:TRAP_HANDLER: 0
; COMPUTE_PGM_RSRC2:TGID_X_EN: 1
; COMPUTE_PGM_RSRC2:TGID_Y_EN: 0
; COMPUTE_PGM_RSRC2:TGID_Z_EN: 0
; COMPUTE_PGM_RSRC2:TIDIG_COMP_CNT: 0
	.section	.text._ZN7rocprim17ROCPRIM_400000_NS6detail17trampoline_kernelINS0_14default_configENS1_20scan_config_selectorIlEEZZNS1_9scan_implILNS1_25lookback_scan_determinismE0ELb0ELb0ES3_PlS8_lN6thrust23THRUST_200600_302600_NS4plusIvEElEEDaPvRmT3_T4_T5_mT6_P12ihipStream_tbENKUlT_T0_E_clISt17integral_constantIbLb0EESP_IbLb1EEEEDaSL_SM_EUlSL_E0_NS1_11comp_targetILNS1_3genE5ELNS1_11target_archE942ELNS1_3gpuE9ELNS1_3repE0EEENS1_30default_config_static_selectorELNS0_4arch9wavefront6targetE0EEEvT1_,"axG",@progbits,_ZN7rocprim17ROCPRIM_400000_NS6detail17trampoline_kernelINS0_14default_configENS1_20scan_config_selectorIlEEZZNS1_9scan_implILNS1_25lookback_scan_determinismE0ELb0ELb0ES3_PlS8_lN6thrust23THRUST_200600_302600_NS4plusIvEElEEDaPvRmT3_T4_T5_mT6_P12ihipStream_tbENKUlT_T0_E_clISt17integral_constantIbLb0EESP_IbLb1EEEEDaSL_SM_EUlSL_E0_NS1_11comp_targetILNS1_3genE5ELNS1_11target_archE942ELNS1_3gpuE9ELNS1_3repE0EEENS1_30default_config_static_selectorELNS0_4arch9wavefront6targetE0EEEvT1_,comdat
	.protected	_ZN7rocprim17ROCPRIM_400000_NS6detail17trampoline_kernelINS0_14default_configENS1_20scan_config_selectorIlEEZZNS1_9scan_implILNS1_25lookback_scan_determinismE0ELb0ELb0ES3_PlS8_lN6thrust23THRUST_200600_302600_NS4plusIvEElEEDaPvRmT3_T4_T5_mT6_P12ihipStream_tbENKUlT_T0_E_clISt17integral_constantIbLb0EESP_IbLb1EEEEDaSL_SM_EUlSL_E0_NS1_11comp_targetILNS1_3genE5ELNS1_11target_archE942ELNS1_3gpuE9ELNS1_3repE0EEENS1_30default_config_static_selectorELNS0_4arch9wavefront6targetE0EEEvT1_ ; -- Begin function _ZN7rocprim17ROCPRIM_400000_NS6detail17trampoline_kernelINS0_14default_configENS1_20scan_config_selectorIlEEZZNS1_9scan_implILNS1_25lookback_scan_determinismE0ELb0ELb0ES3_PlS8_lN6thrust23THRUST_200600_302600_NS4plusIvEElEEDaPvRmT3_T4_T5_mT6_P12ihipStream_tbENKUlT_T0_E_clISt17integral_constantIbLb0EESP_IbLb1EEEEDaSL_SM_EUlSL_E0_NS1_11comp_targetILNS1_3genE5ELNS1_11target_archE942ELNS1_3gpuE9ELNS1_3repE0EEENS1_30default_config_static_selectorELNS0_4arch9wavefront6targetE0EEEvT1_
	.globl	_ZN7rocprim17ROCPRIM_400000_NS6detail17trampoline_kernelINS0_14default_configENS1_20scan_config_selectorIlEEZZNS1_9scan_implILNS1_25lookback_scan_determinismE0ELb0ELb0ES3_PlS8_lN6thrust23THRUST_200600_302600_NS4plusIvEElEEDaPvRmT3_T4_T5_mT6_P12ihipStream_tbENKUlT_T0_E_clISt17integral_constantIbLb0EESP_IbLb1EEEEDaSL_SM_EUlSL_E0_NS1_11comp_targetILNS1_3genE5ELNS1_11target_archE942ELNS1_3gpuE9ELNS1_3repE0EEENS1_30default_config_static_selectorELNS0_4arch9wavefront6targetE0EEEvT1_
	.p2align	8
	.type	_ZN7rocprim17ROCPRIM_400000_NS6detail17trampoline_kernelINS0_14default_configENS1_20scan_config_selectorIlEEZZNS1_9scan_implILNS1_25lookback_scan_determinismE0ELb0ELb0ES3_PlS8_lN6thrust23THRUST_200600_302600_NS4plusIvEElEEDaPvRmT3_T4_T5_mT6_P12ihipStream_tbENKUlT_T0_E_clISt17integral_constantIbLb0EESP_IbLb1EEEEDaSL_SM_EUlSL_E0_NS1_11comp_targetILNS1_3genE5ELNS1_11target_archE942ELNS1_3gpuE9ELNS1_3repE0EEENS1_30default_config_static_selectorELNS0_4arch9wavefront6targetE0EEEvT1_,@function
_ZN7rocprim17ROCPRIM_400000_NS6detail17trampoline_kernelINS0_14default_configENS1_20scan_config_selectorIlEEZZNS1_9scan_implILNS1_25lookback_scan_determinismE0ELb0ELb0ES3_PlS8_lN6thrust23THRUST_200600_302600_NS4plusIvEElEEDaPvRmT3_T4_T5_mT6_P12ihipStream_tbENKUlT_T0_E_clISt17integral_constantIbLb0EESP_IbLb1EEEEDaSL_SM_EUlSL_E0_NS1_11comp_targetILNS1_3genE5ELNS1_11target_archE942ELNS1_3gpuE9ELNS1_3repE0EEENS1_30default_config_static_selectorELNS0_4arch9wavefront6targetE0EEEvT1_: ; @_ZN7rocprim17ROCPRIM_400000_NS6detail17trampoline_kernelINS0_14default_configENS1_20scan_config_selectorIlEEZZNS1_9scan_implILNS1_25lookback_scan_determinismE0ELb0ELb0ES3_PlS8_lN6thrust23THRUST_200600_302600_NS4plusIvEElEEDaPvRmT3_T4_T5_mT6_P12ihipStream_tbENKUlT_T0_E_clISt17integral_constantIbLb0EESP_IbLb1EEEEDaSL_SM_EUlSL_E0_NS1_11comp_targetILNS1_3genE5ELNS1_11target_archE942ELNS1_3gpuE9ELNS1_3repE0EEENS1_30default_config_static_selectorELNS0_4arch9wavefront6targetE0EEEvT1_
; %bb.0:
	.section	.rodata,"a",@progbits
	.p2align	6, 0x0
	.amdhsa_kernel _ZN7rocprim17ROCPRIM_400000_NS6detail17trampoline_kernelINS0_14default_configENS1_20scan_config_selectorIlEEZZNS1_9scan_implILNS1_25lookback_scan_determinismE0ELb0ELb0ES3_PlS8_lN6thrust23THRUST_200600_302600_NS4plusIvEElEEDaPvRmT3_T4_T5_mT6_P12ihipStream_tbENKUlT_T0_E_clISt17integral_constantIbLb0EESP_IbLb1EEEEDaSL_SM_EUlSL_E0_NS1_11comp_targetILNS1_3genE5ELNS1_11target_archE942ELNS1_3gpuE9ELNS1_3repE0EEENS1_30default_config_static_selectorELNS0_4arch9wavefront6targetE0EEEvT1_
		.amdhsa_group_segment_fixed_size 0
		.amdhsa_private_segment_fixed_size 0
		.amdhsa_kernarg_size 40
		.amdhsa_user_sgpr_count 2
		.amdhsa_user_sgpr_dispatch_ptr 0
		.amdhsa_user_sgpr_queue_ptr 0
		.amdhsa_user_sgpr_kernarg_segment_ptr 1
		.amdhsa_user_sgpr_dispatch_id 0
		.amdhsa_user_sgpr_kernarg_preload_length 0
		.amdhsa_user_sgpr_kernarg_preload_offset 0
		.amdhsa_user_sgpr_private_segment_size 0
		.amdhsa_wavefront_size32 1
		.amdhsa_uses_dynamic_stack 0
		.amdhsa_enable_private_segment 0
		.amdhsa_system_sgpr_workgroup_id_x 1
		.amdhsa_system_sgpr_workgroup_id_y 0
		.amdhsa_system_sgpr_workgroup_id_z 0
		.amdhsa_system_sgpr_workgroup_info 0
		.amdhsa_system_vgpr_workitem_id 0
		.amdhsa_next_free_vgpr 1
		.amdhsa_next_free_sgpr 1
		.amdhsa_named_barrier_count 0
		.amdhsa_reserve_vcc 0
		.amdhsa_float_round_mode_32 0
		.amdhsa_float_round_mode_16_64 0
		.amdhsa_float_denorm_mode_32 3
		.amdhsa_float_denorm_mode_16_64 3
		.amdhsa_fp16_overflow 0
		.amdhsa_memory_ordered 1
		.amdhsa_forward_progress 1
		.amdhsa_inst_pref_size 0
		.amdhsa_round_robin_scheduling 0
		.amdhsa_exception_fp_ieee_invalid_op 0
		.amdhsa_exception_fp_denorm_src 0
		.amdhsa_exception_fp_ieee_div_zero 0
		.amdhsa_exception_fp_ieee_overflow 0
		.amdhsa_exception_fp_ieee_underflow 0
		.amdhsa_exception_fp_ieee_inexact 0
		.amdhsa_exception_int_div_zero 0
	.end_amdhsa_kernel
	.section	.text._ZN7rocprim17ROCPRIM_400000_NS6detail17trampoline_kernelINS0_14default_configENS1_20scan_config_selectorIlEEZZNS1_9scan_implILNS1_25lookback_scan_determinismE0ELb0ELb0ES3_PlS8_lN6thrust23THRUST_200600_302600_NS4plusIvEElEEDaPvRmT3_T4_T5_mT6_P12ihipStream_tbENKUlT_T0_E_clISt17integral_constantIbLb0EESP_IbLb1EEEEDaSL_SM_EUlSL_E0_NS1_11comp_targetILNS1_3genE5ELNS1_11target_archE942ELNS1_3gpuE9ELNS1_3repE0EEENS1_30default_config_static_selectorELNS0_4arch9wavefront6targetE0EEEvT1_,"axG",@progbits,_ZN7rocprim17ROCPRIM_400000_NS6detail17trampoline_kernelINS0_14default_configENS1_20scan_config_selectorIlEEZZNS1_9scan_implILNS1_25lookback_scan_determinismE0ELb0ELb0ES3_PlS8_lN6thrust23THRUST_200600_302600_NS4plusIvEElEEDaPvRmT3_T4_T5_mT6_P12ihipStream_tbENKUlT_T0_E_clISt17integral_constantIbLb0EESP_IbLb1EEEEDaSL_SM_EUlSL_E0_NS1_11comp_targetILNS1_3genE5ELNS1_11target_archE942ELNS1_3gpuE9ELNS1_3repE0EEENS1_30default_config_static_selectorELNS0_4arch9wavefront6targetE0EEEvT1_,comdat
.Lfunc_end151:
	.size	_ZN7rocprim17ROCPRIM_400000_NS6detail17trampoline_kernelINS0_14default_configENS1_20scan_config_selectorIlEEZZNS1_9scan_implILNS1_25lookback_scan_determinismE0ELb0ELb0ES3_PlS8_lN6thrust23THRUST_200600_302600_NS4plusIvEElEEDaPvRmT3_T4_T5_mT6_P12ihipStream_tbENKUlT_T0_E_clISt17integral_constantIbLb0EESP_IbLb1EEEEDaSL_SM_EUlSL_E0_NS1_11comp_targetILNS1_3genE5ELNS1_11target_archE942ELNS1_3gpuE9ELNS1_3repE0EEENS1_30default_config_static_selectorELNS0_4arch9wavefront6targetE0EEEvT1_, .Lfunc_end151-_ZN7rocprim17ROCPRIM_400000_NS6detail17trampoline_kernelINS0_14default_configENS1_20scan_config_selectorIlEEZZNS1_9scan_implILNS1_25lookback_scan_determinismE0ELb0ELb0ES3_PlS8_lN6thrust23THRUST_200600_302600_NS4plusIvEElEEDaPvRmT3_T4_T5_mT6_P12ihipStream_tbENKUlT_T0_E_clISt17integral_constantIbLb0EESP_IbLb1EEEEDaSL_SM_EUlSL_E0_NS1_11comp_targetILNS1_3genE5ELNS1_11target_archE942ELNS1_3gpuE9ELNS1_3repE0EEENS1_30default_config_static_selectorELNS0_4arch9wavefront6targetE0EEEvT1_
                                        ; -- End function
	.set _ZN7rocprim17ROCPRIM_400000_NS6detail17trampoline_kernelINS0_14default_configENS1_20scan_config_selectorIlEEZZNS1_9scan_implILNS1_25lookback_scan_determinismE0ELb0ELb0ES3_PlS8_lN6thrust23THRUST_200600_302600_NS4plusIvEElEEDaPvRmT3_T4_T5_mT6_P12ihipStream_tbENKUlT_T0_E_clISt17integral_constantIbLb0EESP_IbLb1EEEEDaSL_SM_EUlSL_E0_NS1_11comp_targetILNS1_3genE5ELNS1_11target_archE942ELNS1_3gpuE9ELNS1_3repE0EEENS1_30default_config_static_selectorELNS0_4arch9wavefront6targetE0EEEvT1_.num_vgpr, 0
	.set _ZN7rocprim17ROCPRIM_400000_NS6detail17trampoline_kernelINS0_14default_configENS1_20scan_config_selectorIlEEZZNS1_9scan_implILNS1_25lookback_scan_determinismE0ELb0ELb0ES3_PlS8_lN6thrust23THRUST_200600_302600_NS4plusIvEElEEDaPvRmT3_T4_T5_mT6_P12ihipStream_tbENKUlT_T0_E_clISt17integral_constantIbLb0EESP_IbLb1EEEEDaSL_SM_EUlSL_E0_NS1_11comp_targetILNS1_3genE5ELNS1_11target_archE942ELNS1_3gpuE9ELNS1_3repE0EEENS1_30default_config_static_selectorELNS0_4arch9wavefront6targetE0EEEvT1_.num_agpr, 0
	.set _ZN7rocprim17ROCPRIM_400000_NS6detail17trampoline_kernelINS0_14default_configENS1_20scan_config_selectorIlEEZZNS1_9scan_implILNS1_25lookback_scan_determinismE0ELb0ELb0ES3_PlS8_lN6thrust23THRUST_200600_302600_NS4plusIvEElEEDaPvRmT3_T4_T5_mT6_P12ihipStream_tbENKUlT_T0_E_clISt17integral_constantIbLb0EESP_IbLb1EEEEDaSL_SM_EUlSL_E0_NS1_11comp_targetILNS1_3genE5ELNS1_11target_archE942ELNS1_3gpuE9ELNS1_3repE0EEENS1_30default_config_static_selectorELNS0_4arch9wavefront6targetE0EEEvT1_.numbered_sgpr, 0
	.set _ZN7rocprim17ROCPRIM_400000_NS6detail17trampoline_kernelINS0_14default_configENS1_20scan_config_selectorIlEEZZNS1_9scan_implILNS1_25lookback_scan_determinismE0ELb0ELb0ES3_PlS8_lN6thrust23THRUST_200600_302600_NS4plusIvEElEEDaPvRmT3_T4_T5_mT6_P12ihipStream_tbENKUlT_T0_E_clISt17integral_constantIbLb0EESP_IbLb1EEEEDaSL_SM_EUlSL_E0_NS1_11comp_targetILNS1_3genE5ELNS1_11target_archE942ELNS1_3gpuE9ELNS1_3repE0EEENS1_30default_config_static_selectorELNS0_4arch9wavefront6targetE0EEEvT1_.num_named_barrier, 0
	.set _ZN7rocprim17ROCPRIM_400000_NS6detail17trampoline_kernelINS0_14default_configENS1_20scan_config_selectorIlEEZZNS1_9scan_implILNS1_25lookback_scan_determinismE0ELb0ELb0ES3_PlS8_lN6thrust23THRUST_200600_302600_NS4plusIvEElEEDaPvRmT3_T4_T5_mT6_P12ihipStream_tbENKUlT_T0_E_clISt17integral_constantIbLb0EESP_IbLb1EEEEDaSL_SM_EUlSL_E0_NS1_11comp_targetILNS1_3genE5ELNS1_11target_archE942ELNS1_3gpuE9ELNS1_3repE0EEENS1_30default_config_static_selectorELNS0_4arch9wavefront6targetE0EEEvT1_.private_seg_size, 0
	.set _ZN7rocprim17ROCPRIM_400000_NS6detail17trampoline_kernelINS0_14default_configENS1_20scan_config_selectorIlEEZZNS1_9scan_implILNS1_25lookback_scan_determinismE0ELb0ELb0ES3_PlS8_lN6thrust23THRUST_200600_302600_NS4plusIvEElEEDaPvRmT3_T4_T5_mT6_P12ihipStream_tbENKUlT_T0_E_clISt17integral_constantIbLb0EESP_IbLb1EEEEDaSL_SM_EUlSL_E0_NS1_11comp_targetILNS1_3genE5ELNS1_11target_archE942ELNS1_3gpuE9ELNS1_3repE0EEENS1_30default_config_static_selectorELNS0_4arch9wavefront6targetE0EEEvT1_.uses_vcc, 0
	.set _ZN7rocprim17ROCPRIM_400000_NS6detail17trampoline_kernelINS0_14default_configENS1_20scan_config_selectorIlEEZZNS1_9scan_implILNS1_25lookback_scan_determinismE0ELb0ELb0ES3_PlS8_lN6thrust23THRUST_200600_302600_NS4plusIvEElEEDaPvRmT3_T4_T5_mT6_P12ihipStream_tbENKUlT_T0_E_clISt17integral_constantIbLb0EESP_IbLb1EEEEDaSL_SM_EUlSL_E0_NS1_11comp_targetILNS1_3genE5ELNS1_11target_archE942ELNS1_3gpuE9ELNS1_3repE0EEENS1_30default_config_static_selectorELNS0_4arch9wavefront6targetE0EEEvT1_.uses_flat_scratch, 0
	.set _ZN7rocprim17ROCPRIM_400000_NS6detail17trampoline_kernelINS0_14default_configENS1_20scan_config_selectorIlEEZZNS1_9scan_implILNS1_25lookback_scan_determinismE0ELb0ELb0ES3_PlS8_lN6thrust23THRUST_200600_302600_NS4plusIvEElEEDaPvRmT3_T4_T5_mT6_P12ihipStream_tbENKUlT_T0_E_clISt17integral_constantIbLb0EESP_IbLb1EEEEDaSL_SM_EUlSL_E0_NS1_11comp_targetILNS1_3genE5ELNS1_11target_archE942ELNS1_3gpuE9ELNS1_3repE0EEENS1_30default_config_static_selectorELNS0_4arch9wavefront6targetE0EEEvT1_.has_dyn_sized_stack, 0
	.set _ZN7rocprim17ROCPRIM_400000_NS6detail17trampoline_kernelINS0_14default_configENS1_20scan_config_selectorIlEEZZNS1_9scan_implILNS1_25lookback_scan_determinismE0ELb0ELb0ES3_PlS8_lN6thrust23THRUST_200600_302600_NS4plusIvEElEEDaPvRmT3_T4_T5_mT6_P12ihipStream_tbENKUlT_T0_E_clISt17integral_constantIbLb0EESP_IbLb1EEEEDaSL_SM_EUlSL_E0_NS1_11comp_targetILNS1_3genE5ELNS1_11target_archE942ELNS1_3gpuE9ELNS1_3repE0EEENS1_30default_config_static_selectorELNS0_4arch9wavefront6targetE0EEEvT1_.has_recursion, 0
	.set _ZN7rocprim17ROCPRIM_400000_NS6detail17trampoline_kernelINS0_14default_configENS1_20scan_config_selectorIlEEZZNS1_9scan_implILNS1_25lookback_scan_determinismE0ELb0ELb0ES3_PlS8_lN6thrust23THRUST_200600_302600_NS4plusIvEElEEDaPvRmT3_T4_T5_mT6_P12ihipStream_tbENKUlT_T0_E_clISt17integral_constantIbLb0EESP_IbLb1EEEEDaSL_SM_EUlSL_E0_NS1_11comp_targetILNS1_3genE5ELNS1_11target_archE942ELNS1_3gpuE9ELNS1_3repE0EEENS1_30default_config_static_selectorELNS0_4arch9wavefront6targetE0EEEvT1_.has_indirect_call, 0
	.section	.AMDGPU.csdata,"",@progbits
; Kernel info:
; codeLenInByte = 0
; TotalNumSgprs: 0
; NumVgprs: 0
; ScratchSize: 0
; MemoryBound: 0
; FloatMode: 240
; IeeeMode: 1
; LDSByteSize: 0 bytes/workgroup (compile time only)
; SGPRBlocks: 0
; VGPRBlocks: 0
; NumSGPRsForWavesPerEU: 1
; NumVGPRsForWavesPerEU: 1
; NamedBarCnt: 0
; Occupancy: 16
; WaveLimiterHint : 0
; COMPUTE_PGM_RSRC2:SCRATCH_EN: 0
; COMPUTE_PGM_RSRC2:USER_SGPR: 2
; COMPUTE_PGM_RSRC2:TRAP_HANDLER: 0
; COMPUTE_PGM_RSRC2:TGID_X_EN: 1
; COMPUTE_PGM_RSRC2:TGID_Y_EN: 0
; COMPUTE_PGM_RSRC2:TGID_Z_EN: 0
; COMPUTE_PGM_RSRC2:TIDIG_COMP_CNT: 0
	.section	.text._ZN7rocprim17ROCPRIM_400000_NS6detail17trampoline_kernelINS0_14default_configENS1_20scan_config_selectorIlEEZZNS1_9scan_implILNS1_25lookback_scan_determinismE0ELb0ELb0ES3_PlS8_lN6thrust23THRUST_200600_302600_NS4plusIvEElEEDaPvRmT3_T4_T5_mT6_P12ihipStream_tbENKUlT_T0_E_clISt17integral_constantIbLb0EESP_IbLb1EEEEDaSL_SM_EUlSL_E0_NS1_11comp_targetILNS1_3genE4ELNS1_11target_archE910ELNS1_3gpuE8ELNS1_3repE0EEENS1_30default_config_static_selectorELNS0_4arch9wavefront6targetE0EEEvT1_,"axG",@progbits,_ZN7rocprim17ROCPRIM_400000_NS6detail17trampoline_kernelINS0_14default_configENS1_20scan_config_selectorIlEEZZNS1_9scan_implILNS1_25lookback_scan_determinismE0ELb0ELb0ES3_PlS8_lN6thrust23THRUST_200600_302600_NS4plusIvEElEEDaPvRmT3_T4_T5_mT6_P12ihipStream_tbENKUlT_T0_E_clISt17integral_constantIbLb0EESP_IbLb1EEEEDaSL_SM_EUlSL_E0_NS1_11comp_targetILNS1_3genE4ELNS1_11target_archE910ELNS1_3gpuE8ELNS1_3repE0EEENS1_30default_config_static_selectorELNS0_4arch9wavefront6targetE0EEEvT1_,comdat
	.protected	_ZN7rocprim17ROCPRIM_400000_NS6detail17trampoline_kernelINS0_14default_configENS1_20scan_config_selectorIlEEZZNS1_9scan_implILNS1_25lookback_scan_determinismE0ELb0ELb0ES3_PlS8_lN6thrust23THRUST_200600_302600_NS4plusIvEElEEDaPvRmT3_T4_T5_mT6_P12ihipStream_tbENKUlT_T0_E_clISt17integral_constantIbLb0EESP_IbLb1EEEEDaSL_SM_EUlSL_E0_NS1_11comp_targetILNS1_3genE4ELNS1_11target_archE910ELNS1_3gpuE8ELNS1_3repE0EEENS1_30default_config_static_selectorELNS0_4arch9wavefront6targetE0EEEvT1_ ; -- Begin function _ZN7rocprim17ROCPRIM_400000_NS6detail17trampoline_kernelINS0_14default_configENS1_20scan_config_selectorIlEEZZNS1_9scan_implILNS1_25lookback_scan_determinismE0ELb0ELb0ES3_PlS8_lN6thrust23THRUST_200600_302600_NS4plusIvEElEEDaPvRmT3_T4_T5_mT6_P12ihipStream_tbENKUlT_T0_E_clISt17integral_constantIbLb0EESP_IbLb1EEEEDaSL_SM_EUlSL_E0_NS1_11comp_targetILNS1_3genE4ELNS1_11target_archE910ELNS1_3gpuE8ELNS1_3repE0EEENS1_30default_config_static_selectorELNS0_4arch9wavefront6targetE0EEEvT1_
	.globl	_ZN7rocprim17ROCPRIM_400000_NS6detail17trampoline_kernelINS0_14default_configENS1_20scan_config_selectorIlEEZZNS1_9scan_implILNS1_25lookback_scan_determinismE0ELb0ELb0ES3_PlS8_lN6thrust23THRUST_200600_302600_NS4plusIvEElEEDaPvRmT3_T4_T5_mT6_P12ihipStream_tbENKUlT_T0_E_clISt17integral_constantIbLb0EESP_IbLb1EEEEDaSL_SM_EUlSL_E0_NS1_11comp_targetILNS1_3genE4ELNS1_11target_archE910ELNS1_3gpuE8ELNS1_3repE0EEENS1_30default_config_static_selectorELNS0_4arch9wavefront6targetE0EEEvT1_
	.p2align	8
	.type	_ZN7rocprim17ROCPRIM_400000_NS6detail17trampoline_kernelINS0_14default_configENS1_20scan_config_selectorIlEEZZNS1_9scan_implILNS1_25lookback_scan_determinismE0ELb0ELb0ES3_PlS8_lN6thrust23THRUST_200600_302600_NS4plusIvEElEEDaPvRmT3_T4_T5_mT6_P12ihipStream_tbENKUlT_T0_E_clISt17integral_constantIbLb0EESP_IbLb1EEEEDaSL_SM_EUlSL_E0_NS1_11comp_targetILNS1_3genE4ELNS1_11target_archE910ELNS1_3gpuE8ELNS1_3repE0EEENS1_30default_config_static_selectorELNS0_4arch9wavefront6targetE0EEEvT1_,@function
_ZN7rocprim17ROCPRIM_400000_NS6detail17trampoline_kernelINS0_14default_configENS1_20scan_config_selectorIlEEZZNS1_9scan_implILNS1_25lookback_scan_determinismE0ELb0ELb0ES3_PlS8_lN6thrust23THRUST_200600_302600_NS4plusIvEElEEDaPvRmT3_T4_T5_mT6_P12ihipStream_tbENKUlT_T0_E_clISt17integral_constantIbLb0EESP_IbLb1EEEEDaSL_SM_EUlSL_E0_NS1_11comp_targetILNS1_3genE4ELNS1_11target_archE910ELNS1_3gpuE8ELNS1_3repE0EEENS1_30default_config_static_selectorELNS0_4arch9wavefront6targetE0EEEvT1_: ; @_ZN7rocprim17ROCPRIM_400000_NS6detail17trampoline_kernelINS0_14default_configENS1_20scan_config_selectorIlEEZZNS1_9scan_implILNS1_25lookback_scan_determinismE0ELb0ELb0ES3_PlS8_lN6thrust23THRUST_200600_302600_NS4plusIvEElEEDaPvRmT3_T4_T5_mT6_P12ihipStream_tbENKUlT_T0_E_clISt17integral_constantIbLb0EESP_IbLb1EEEEDaSL_SM_EUlSL_E0_NS1_11comp_targetILNS1_3genE4ELNS1_11target_archE910ELNS1_3gpuE8ELNS1_3repE0EEENS1_30default_config_static_selectorELNS0_4arch9wavefront6targetE0EEEvT1_
; %bb.0:
	.section	.rodata,"a",@progbits
	.p2align	6, 0x0
	.amdhsa_kernel _ZN7rocprim17ROCPRIM_400000_NS6detail17trampoline_kernelINS0_14default_configENS1_20scan_config_selectorIlEEZZNS1_9scan_implILNS1_25lookback_scan_determinismE0ELb0ELb0ES3_PlS8_lN6thrust23THRUST_200600_302600_NS4plusIvEElEEDaPvRmT3_T4_T5_mT6_P12ihipStream_tbENKUlT_T0_E_clISt17integral_constantIbLb0EESP_IbLb1EEEEDaSL_SM_EUlSL_E0_NS1_11comp_targetILNS1_3genE4ELNS1_11target_archE910ELNS1_3gpuE8ELNS1_3repE0EEENS1_30default_config_static_selectorELNS0_4arch9wavefront6targetE0EEEvT1_
		.amdhsa_group_segment_fixed_size 0
		.amdhsa_private_segment_fixed_size 0
		.amdhsa_kernarg_size 40
		.amdhsa_user_sgpr_count 2
		.amdhsa_user_sgpr_dispatch_ptr 0
		.amdhsa_user_sgpr_queue_ptr 0
		.amdhsa_user_sgpr_kernarg_segment_ptr 1
		.amdhsa_user_sgpr_dispatch_id 0
		.amdhsa_user_sgpr_kernarg_preload_length 0
		.amdhsa_user_sgpr_kernarg_preload_offset 0
		.amdhsa_user_sgpr_private_segment_size 0
		.amdhsa_wavefront_size32 1
		.amdhsa_uses_dynamic_stack 0
		.amdhsa_enable_private_segment 0
		.amdhsa_system_sgpr_workgroup_id_x 1
		.amdhsa_system_sgpr_workgroup_id_y 0
		.amdhsa_system_sgpr_workgroup_id_z 0
		.amdhsa_system_sgpr_workgroup_info 0
		.amdhsa_system_vgpr_workitem_id 0
		.amdhsa_next_free_vgpr 1
		.amdhsa_next_free_sgpr 1
		.amdhsa_named_barrier_count 0
		.amdhsa_reserve_vcc 0
		.amdhsa_float_round_mode_32 0
		.amdhsa_float_round_mode_16_64 0
		.amdhsa_float_denorm_mode_32 3
		.amdhsa_float_denorm_mode_16_64 3
		.amdhsa_fp16_overflow 0
		.amdhsa_memory_ordered 1
		.amdhsa_forward_progress 1
		.amdhsa_inst_pref_size 0
		.amdhsa_round_robin_scheduling 0
		.amdhsa_exception_fp_ieee_invalid_op 0
		.amdhsa_exception_fp_denorm_src 0
		.amdhsa_exception_fp_ieee_div_zero 0
		.amdhsa_exception_fp_ieee_overflow 0
		.amdhsa_exception_fp_ieee_underflow 0
		.amdhsa_exception_fp_ieee_inexact 0
		.amdhsa_exception_int_div_zero 0
	.end_amdhsa_kernel
	.section	.text._ZN7rocprim17ROCPRIM_400000_NS6detail17trampoline_kernelINS0_14default_configENS1_20scan_config_selectorIlEEZZNS1_9scan_implILNS1_25lookback_scan_determinismE0ELb0ELb0ES3_PlS8_lN6thrust23THRUST_200600_302600_NS4plusIvEElEEDaPvRmT3_T4_T5_mT6_P12ihipStream_tbENKUlT_T0_E_clISt17integral_constantIbLb0EESP_IbLb1EEEEDaSL_SM_EUlSL_E0_NS1_11comp_targetILNS1_3genE4ELNS1_11target_archE910ELNS1_3gpuE8ELNS1_3repE0EEENS1_30default_config_static_selectorELNS0_4arch9wavefront6targetE0EEEvT1_,"axG",@progbits,_ZN7rocprim17ROCPRIM_400000_NS6detail17trampoline_kernelINS0_14default_configENS1_20scan_config_selectorIlEEZZNS1_9scan_implILNS1_25lookback_scan_determinismE0ELb0ELb0ES3_PlS8_lN6thrust23THRUST_200600_302600_NS4plusIvEElEEDaPvRmT3_T4_T5_mT6_P12ihipStream_tbENKUlT_T0_E_clISt17integral_constantIbLb0EESP_IbLb1EEEEDaSL_SM_EUlSL_E0_NS1_11comp_targetILNS1_3genE4ELNS1_11target_archE910ELNS1_3gpuE8ELNS1_3repE0EEENS1_30default_config_static_selectorELNS0_4arch9wavefront6targetE0EEEvT1_,comdat
.Lfunc_end152:
	.size	_ZN7rocprim17ROCPRIM_400000_NS6detail17trampoline_kernelINS0_14default_configENS1_20scan_config_selectorIlEEZZNS1_9scan_implILNS1_25lookback_scan_determinismE0ELb0ELb0ES3_PlS8_lN6thrust23THRUST_200600_302600_NS4plusIvEElEEDaPvRmT3_T4_T5_mT6_P12ihipStream_tbENKUlT_T0_E_clISt17integral_constantIbLb0EESP_IbLb1EEEEDaSL_SM_EUlSL_E0_NS1_11comp_targetILNS1_3genE4ELNS1_11target_archE910ELNS1_3gpuE8ELNS1_3repE0EEENS1_30default_config_static_selectorELNS0_4arch9wavefront6targetE0EEEvT1_, .Lfunc_end152-_ZN7rocprim17ROCPRIM_400000_NS6detail17trampoline_kernelINS0_14default_configENS1_20scan_config_selectorIlEEZZNS1_9scan_implILNS1_25lookback_scan_determinismE0ELb0ELb0ES3_PlS8_lN6thrust23THRUST_200600_302600_NS4plusIvEElEEDaPvRmT3_T4_T5_mT6_P12ihipStream_tbENKUlT_T0_E_clISt17integral_constantIbLb0EESP_IbLb1EEEEDaSL_SM_EUlSL_E0_NS1_11comp_targetILNS1_3genE4ELNS1_11target_archE910ELNS1_3gpuE8ELNS1_3repE0EEENS1_30default_config_static_selectorELNS0_4arch9wavefront6targetE0EEEvT1_
                                        ; -- End function
	.set _ZN7rocprim17ROCPRIM_400000_NS6detail17trampoline_kernelINS0_14default_configENS1_20scan_config_selectorIlEEZZNS1_9scan_implILNS1_25lookback_scan_determinismE0ELb0ELb0ES3_PlS8_lN6thrust23THRUST_200600_302600_NS4plusIvEElEEDaPvRmT3_T4_T5_mT6_P12ihipStream_tbENKUlT_T0_E_clISt17integral_constantIbLb0EESP_IbLb1EEEEDaSL_SM_EUlSL_E0_NS1_11comp_targetILNS1_3genE4ELNS1_11target_archE910ELNS1_3gpuE8ELNS1_3repE0EEENS1_30default_config_static_selectorELNS0_4arch9wavefront6targetE0EEEvT1_.num_vgpr, 0
	.set _ZN7rocprim17ROCPRIM_400000_NS6detail17trampoline_kernelINS0_14default_configENS1_20scan_config_selectorIlEEZZNS1_9scan_implILNS1_25lookback_scan_determinismE0ELb0ELb0ES3_PlS8_lN6thrust23THRUST_200600_302600_NS4plusIvEElEEDaPvRmT3_T4_T5_mT6_P12ihipStream_tbENKUlT_T0_E_clISt17integral_constantIbLb0EESP_IbLb1EEEEDaSL_SM_EUlSL_E0_NS1_11comp_targetILNS1_3genE4ELNS1_11target_archE910ELNS1_3gpuE8ELNS1_3repE0EEENS1_30default_config_static_selectorELNS0_4arch9wavefront6targetE0EEEvT1_.num_agpr, 0
	.set _ZN7rocprim17ROCPRIM_400000_NS6detail17trampoline_kernelINS0_14default_configENS1_20scan_config_selectorIlEEZZNS1_9scan_implILNS1_25lookback_scan_determinismE0ELb0ELb0ES3_PlS8_lN6thrust23THRUST_200600_302600_NS4plusIvEElEEDaPvRmT3_T4_T5_mT6_P12ihipStream_tbENKUlT_T0_E_clISt17integral_constantIbLb0EESP_IbLb1EEEEDaSL_SM_EUlSL_E0_NS1_11comp_targetILNS1_3genE4ELNS1_11target_archE910ELNS1_3gpuE8ELNS1_3repE0EEENS1_30default_config_static_selectorELNS0_4arch9wavefront6targetE0EEEvT1_.numbered_sgpr, 0
	.set _ZN7rocprim17ROCPRIM_400000_NS6detail17trampoline_kernelINS0_14default_configENS1_20scan_config_selectorIlEEZZNS1_9scan_implILNS1_25lookback_scan_determinismE0ELb0ELb0ES3_PlS8_lN6thrust23THRUST_200600_302600_NS4plusIvEElEEDaPvRmT3_T4_T5_mT6_P12ihipStream_tbENKUlT_T0_E_clISt17integral_constantIbLb0EESP_IbLb1EEEEDaSL_SM_EUlSL_E0_NS1_11comp_targetILNS1_3genE4ELNS1_11target_archE910ELNS1_3gpuE8ELNS1_3repE0EEENS1_30default_config_static_selectorELNS0_4arch9wavefront6targetE0EEEvT1_.num_named_barrier, 0
	.set _ZN7rocprim17ROCPRIM_400000_NS6detail17trampoline_kernelINS0_14default_configENS1_20scan_config_selectorIlEEZZNS1_9scan_implILNS1_25lookback_scan_determinismE0ELb0ELb0ES3_PlS8_lN6thrust23THRUST_200600_302600_NS4plusIvEElEEDaPvRmT3_T4_T5_mT6_P12ihipStream_tbENKUlT_T0_E_clISt17integral_constantIbLb0EESP_IbLb1EEEEDaSL_SM_EUlSL_E0_NS1_11comp_targetILNS1_3genE4ELNS1_11target_archE910ELNS1_3gpuE8ELNS1_3repE0EEENS1_30default_config_static_selectorELNS0_4arch9wavefront6targetE0EEEvT1_.private_seg_size, 0
	.set _ZN7rocprim17ROCPRIM_400000_NS6detail17trampoline_kernelINS0_14default_configENS1_20scan_config_selectorIlEEZZNS1_9scan_implILNS1_25lookback_scan_determinismE0ELb0ELb0ES3_PlS8_lN6thrust23THRUST_200600_302600_NS4plusIvEElEEDaPvRmT3_T4_T5_mT6_P12ihipStream_tbENKUlT_T0_E_clISt17integral_constantIbLb0EESP_IbLb1EEEEDaSL_SM_EUlSL_E0_NS1_11comp_targetILNS1_3genE4ELNS1_11target_archE910ELNS1_3gpuE8ELNS1_3repE0EEENS1_30default_config_static_selectorELNS0_4arch9wavefront6targetE0EEEvT1_.uses_vcc, 0
	.set _ZN7rocprim17ROCPRIM_400000_NS6detail17trampoline_kernelINS0_14default_configENS1_20scan_config_selectorIlEEZZNS1_9scan_implILNS1_25lookback_scan_determinismE0ELb0ELb0ES3_PlS8_lN6thrust23THRUST_200600_302600_NS4plusIvEElEEDaPvRmT3_T4_T5_mT6_P12ihipStream_tbENKUlT_T0_E_clISt17integral_constantIbLb0EESP_IbLb1EEEEDaSL_SM_EUlSL_E0_NS1_11comp_targetILNS1_3genE4ELNS1_11target_archE910ELNS1_3gpuE8ELNS1_3repE0EEENS1_30default_config_static_selectorELNS0_4arch9wavefront6targetE0EEEvT1_.uses_flat_scratch, 0
	.set _ZN7rocprim17ROCPRIM_400000_NS6detail17trampoline_kernelINS0_14default_configENS1_20scan_config_selectorIlEEZZNS1_9scan_implILNS1_25lookback_scan_determinismE0ELb0ELb0ES3_PlS8_lN6thrust23THRUST_200600_302600_NS4plusIvEElEEDaPvRmT3_T4_T5_mT6_P12ihipStream_tbENKUlT_T0_E_clISt17integral_constantIbLb0EESP_IbLb1EEEEDaSL_SM_EUlSL_E0_NS1_11comp_targetILNS1_3genE4ELNS1_11target_archE910ELNS1_3gpuE8ELNS1_3repE0EEENS1_30default_config_static_selectorELNS0_4arch9wavefront6targetE0EEEvT1_.has_dyn_sized_stack, 0
	.set _ZN7rocprim17ROCPRIM_400000_NS6detail17trampoline_kernelINS0_14default_configENS1_20scan_config_selectorIlEEZZNS1_9scan_implILNS1_25lookback_scan_determinismE0ELb0ELb0ES3_PlS8_lN6thrust23THRUST_200600_302600_NS4plusIvEElEEDaPvRmT3_T4_T5_mT6_P12ihipStream_tbENKUlT_T0_E_clISt17integral_constantIbLb0EESP_IbLb1EEEEDaSL_SM_EUlSL_E0_NS1_11comp_targetILNS1_3genE4ELNS1_11target_archE910ELNS1_3gpuE8ELNS1_3repE0EEENS1_30default_config_static_selectorELNS0_4arch9wavefront6targetE0EEEvT1_.has_recursion, 0
	.set _ZN7rocprim17ROCPRIM_400000_NS6detail17trampoline_kernelINS0_14default_configENS1_20scan_config_selectorIlEEZZNS1_9scan_implILNS1_25lookback_scan_determinismE0ELb0ELb0ES3_PlS8_lN6thrust23THRUST_200600_302600_NS4plusIvEElEEDaPvRmT3_T4_T5_mT6_P12ihipStream_tbENKUlT_T0_E_clISt17integral_constantIbLb0EESP_IbLb1EEEEDaSL_SM_EUlSL_E0_NS1_11comp_targetILNS1_3genE4ELNS1_11target_archE910ELNS1_3gpuE8ELNS1_3repE0EEENS1_30default_config_static_selectorELNS0_4arch9wavefront6targetE0EEEvT1_.has_indirect_call, 0
	.section	.AMDGPU.csdata,"",@progbits
; Kernel info:
; codeLenInByte = 0
; TotalNumSgprs: 0
; NumVgprs: 0
; ScratchSize: 0
; MemoryBound: 0
; FloatMode: 240
; IeeeMode: 1
; LDSByteSize: 0 bytes/workgroup (compile time only)
; SGPRBlocks: 0
; VGPRBlocks: 0
; NumSGPRsForWavesPerEU: 1
; NumVGPRsForWavesPerEU: 1
; NamedBarCnt: 0
; Occupancy: 16
; WaveLimiterHint : 0
; COMPUTE_PGM_RSRC2:SCRATCH_EN: 0
; COMPUTE_PGM_RSRC2:USER_SGPR: 2
; COMPUTE_PGM_RSRC2:TRAP_HANDLER: 0
; COMPUTE_PGM_RSRC2:TGID_X_EN: 1
; COMPUTE_PGM_RSRC2:TGID_Y_EN: 0
; COMPUTE_PGM_RSRC2:TGID_Z_EN: 0
; COMPUTE_PGM_RSRC2:TIDIG_COMP_CNT: 0
	.section	.text._ZN7rocprim17ROCPRIM_400000_NS6detail17trampoline_kernelINS0_14default_configENS1_20scan_config_selectorIlEEZZNS1_9scan_implILNS1_25lookback_scan_determinismE0ELb0ELb0ES3_PlS8_lN6thrust23THRUST_200600_302600_NS4plusIvEElEEDaPvRmT3_T4_T5_mT6_P12ihipStream_tbENKUlT_T0_E_clISt17integral_constantIbLb0EESP_IbLb1EEEEDaSL_SM_EUlSL_E0_NS1_11comp_targetILNS1_3genE3ELNS1_11target_archE908ELNS1_3gpuE7ELNS1_3repE0EEENS1_30default_config_static_selectorELNS0_4arch9wavefront6targetE0EEEvT1_,"axG",@progbits,_ZN7rocprim17ROCPRIM_400000_NS6detail17trampoline_kernelINS0_14default_configENS1_20scan_config_selectorIlEEZZNS1_9scan_implILNS1_25lookback_scan_determinismE0ELb0ELb0ES3_PlS8_lN6thrust23THRUST_200600_302600_NS4plusIvEElEEDaPvRmT3_T4_T5_mT6_P12ihipStream_tbENKUlT_T0_E_clISt17integral_constantIbLb0EESP_IbLb1EEEEDaSL_SM_EUlSL_E0_NS1_11comp_targetILNS1_3genE3ELNS1_11target_archE908ELNS1_3gpuE7ELNS1_3repE0EEENS1_30default_config_static_selectorELNS0_4arch9wavefront6targetE0EEEvT1_,comdat
	.protected	_ZN7rocprim17ROCPRIM_400000_NS6detail17trampoline_kernelINS0_14default_configENS1_20scan_config_selectorIlEEZZNS1_9scan_implILNS1_25lookback_scan_determinismE0ELb0ELb0ES3_PlS8_lN6thrust23THRUST_200600_302600_NS4plusIvEElEEDaPvRmT3_T4_T5_mT6_P12ihipStream_tbENKUlT_T0_E_clISt17integral_constantIbLb0EESP_IbLb1EEEEDaSL_SM_EUlSL_E0_NS1_11comp_targetILNS1_3genE3ELNS1_11target_archE908ELNS1_3gpuE7ELNS1_3repE0EEENS1_30default_config_static_selectorELNS0_4arch9wavefront6targetE0EEEvT1_ ; -- Begin function _ZN7rocprim17ROCPRIM_400000_NS6detail17trampoline_kernelINS0_14default_configENS1_20scan_config_selectorIlEEZZNS1_9scan_implILNS1_25lookback_scan_determinismE0ELb0ELb0ES3_PlS8_lN6thrust23THRUST_200600_302600_NS4plusIvEElEEDaPvRmT3_T4_T5_mT6_P12ihipStream_tbENKUlT_T0_E_clISt17integral_constantIbLb0EESP_IbLb1EEEEDaSL_SM_EUlSL_E0_NS1_11comp_targetILNS1_3genE3ELNS1_11target_archE908ELNS1_3gpuE7ELNS1_3repE0EEENS1_30default_config_static_selectorELNS0_4arch9wavefront6targetE0EEEvT1_
	.globl	_ZN7rocprim17ROCPRIM_400000_NS6detail17trampoline_kernelINS0_14default_configENS1_20scan_config_selectorIlEEZZNS1_9scan_implILNS1_25lookback_scan_determinismE0ELb0ELb0ES3_PlS8_lN6thrust23THRUST_200600_302600_NS4plusIvEElEEDaPvRmT3_T4_T5_mT6_P12ihipStream_tbENKUlT_T0_E_clISt17integral_constantIbLb0EESP_IbLb1EEEEDaSL_SM_EUlSL_E0_NS1_11comp_targetILNS1_3genE3ELNS1_11target_archE908ELNS1_3gpuE7ELNS1_3repE0EEENS1_30default_config_static_selectorELNS0_4arch9wavefront6targetE0EEEvT1_
	.p2align	8
	.type	_ZN7rocprim17ROCPRIM_400000_NS6detail17trampoline_kernelINS0_14default_configENS1_20scan_config_selectorIlEEZZNS1_9scan_implILNS1_25lookback_scan_determinismE0ELb0ELb0ES3_PlS8_lN6thrust23THRUST_200600_302600_NS4plusIvEElEEDaPvRmT3_T4_T5_mT6_P12ihipStream_tbENKUlT_T0_E_clISt17integral_constantIbLb0EESP_IbLb1EEEEDaSL_SM_EUlSL_E0_NS1_11comp_targetILNS1_3genE3ELNS1_11target_archE908ELNS1_3gpuE7ELNS1_3repE0EEENS1_30default_config_static_selectorELNS0_4arch9wavefront6targetE0EEEvT1_,@function
_ZN7rocprim17ROCPRIM_400000_NS6detail17trampoline_kernelINS0_14default_configENS1_20scan_config_selectorIlEEZZNS1_9scan_implILNS1_25lookback_scan_determinismE0ELb0ELb0ES3_PlS8_lN6thrust23THRUST_200600_302600_NS4plusIvEElEEDaPvRmT3_T4_T5_mT6_P12ihipStream_tbENKUlT_T0_E_clISt17integral_constantIbLb0EESP_IbLb1EEEEDaSL_SM_EUlSL_E0_NS1_11comp_targetILNS1_3genE3ELNS1_11target_archE908ELNS1_3gpuE7ELNS1_3repE0EEENS1_30default_config_static_selectorELNS0_4arch9wavefront6targetE0EEEvT1_: ; @_ZN7rocprim17ROCPRIM_400000_NS6detail17trampoline_kernelINS0_14default_configENS1_20scan_config_selectorIlEEZZNS1_9scan_implILNS1_25lookback_scan_determinismE0ELb0ELb0ES3_PlS8_lN6thrust23THRUST_200600_302600_NS4plusIvEElEEDaPvRmT3_T4_T5_mT6_P12ihipStream_tbENKUlT_T0_E_clISt17integral_constantIbLb0EESP_IbLb1EEEEDaSL_SM_EUlSL_E0_NS1_11comp_targetILNS1_3genE3ELNS1_11target_archE908ELNS1_3gpuE7ELNS1_3repE0EEENS1_30default_config_static_selectorELNS0_4arch9wavefront6targetE0EEEvT1_
; %bb.0:
	.section	.rodata,"a",@progbits
	.p2align	6, 0x0
	.amdhsa_kernel _ZN7rocprim17ROCPRIM_400000_NS6detail17trampoline_kernelINS0_14default_configENS1_20scan_config_selectorIlEEZZNS1_9scan_implILNS1_25lookback_scan_determinismE0ELb0ELb0ES3_PlS8_lN6thrust23THRUST_200600_302600_NS4plusIvEElEEDaPvRmT3_T4_T5_mT6_P12ihipStream_tbENKUlT_T0_E_clISt17integral_constantIbLb0EESP_IbLb1EEEEDaSL_SM_EUlSL_E0_NS1_11comp_targetILNS1_3genE3ELNS1_11target_archE908ELNS1_3gpuE7ELNS1_3repE0EEENS1_30default_config_static_selectorELNS0_4arch9wavefront6targetE0EEEvT1_
		.amdhsa_group_segment_fixed_size 0
		.amdhsa_private_segment_fixed_size 0
		.amdhsa_kernarg_size 40
		.amdhsa_user_sgpr_count 2
		.amdhsa_user_sgpr_dispatch_ptr 0
		.amdhsa_user_sgpr_queue_ptr 0
		.amdhsa_user_sgpr_kernarg_segment_ptr 1
		.amdhsa_user_sgpr_dispatch_id 0
		.amdhsa_user_sgpr_kernarg_preload_length 0
		.amdhsa_user_sgpr_kernarg_preload_offset 0
		.amdhsa_user_sgpr_private_segment_size 0
		.amdhsa_wavefront_size32 1
		.amdhsa_uses_dynamic_stack 0
		.amdhsa_enable_private_segment 0
		.amdhsa_system_sgpr_workgroup_id_x 1
		.amdhsa_system_sgpr_workgroup_id_y 0
		.amdhsa_system_sgpr_workgroup_id_z 0
		.amdhsa_system_sgpr_workgroup_info 0
		.amdhsa_system_vgpr_workitem_id 0
		.amdhsa_next_free_vgpr 1
		.amdhsa_next_free_sgpr 1
		.amdhsa_named_barrier_count 0
		.amdhsa_reserve_vcc 0
		.amdhsa_float_round_mode_32 0
		.amdhsa_float_round_mode_16_64 0
		.amdhsa_float_denorm_mode_32 3
		.amdhsa_float_denorm_mode_16_64 3
		.amdhsa_fp16_overflow 0
		.amdhsa_memory_ordered 1
		.amdhsa_forward_progress 1
		.amdhsa_inst_pref_size 0
		.amdhsa_round_robin_scheduling 0
		.amdhsa_exception_fp_ieee_invalid_op 0
		.amdhsa_exception_fp_denorm_src 0
		.amdhsa_exception_fp_ieee_div_zero 0
		.amdhsa_exception_fp_ieee_overflow 0
		.amdhsa_exception_fp_ieee_underflow 0
		.amdhsa_exception_fp_ieee_inexact 0
		.amdhsa_exception_int_div_zero 0
	.end_amdhsa_kernel
	.section	.text._ZN7rocprim17ROCPRIM_400000_NS6detail17trampoline_kernelINS0_14default_configENS1_20scan_config_selectorIlEEZZNS1_9scan_implILNS1_25lookback_scan_determinismE0ELb0ELb0ES3_PlS8_lN6thrust23THRUST_200600_302600_NS4plusIvEElEEDaPvRmT3_T4_T5_mT6_P12ihipStream_tbENKUlT_T0_E_clISt17integral_constantIbLb0EESP_IbLb1EEEEDaSL_SM_EUlSL_E0_NS1_11comp_targetILNS1_3genE3ELNS1_11target_archE908ELNS1_3gpuE7ELNS1_3repE0EEENS1_30default_config_static_selectorELNS0_4arch9wavefront6targetE0EEEvT1_,"axG",@progbits,_ZN7rocprim17ROCPRIM_400000_NS6detail17trampoline_kernelINS0_14default_configENS1_20scan_config_selectorIlEEZZNS1_9scan_implILNS1_25lookback_scan_determinismE0ELb0ELb0ES3_PlS8_lN6thrust23THRUST_200600_302600_NS4plusIvEElEEDaPvRmT3_T4_T5_mT6_P12ihipStream_tbENKUlT_T0_E_clISt17integral_constantIbLb0EESP_IbLb1EEEEDaSL_SM_EUlSL_E0_NS1_11comp_targetILNS1_3genE3ELNS1_11target_archE908ELNS1_3gpuE7ELNS1_3repE0EEENS1_30default_config_static_selectorELNS0_4arch9wavefront6targetE0EEEvT1_,comdat
.Lfunc_end153:
	.size	_ZN7rocprim17ROCPRIM_400000_NS6detail17trampoline_kernelINS0_14default_configENS1_20scan_config_selectorIlEEZZNS1_9scan_implILNS1_25lookback_scan_determinismE0ELb0ELb0ES3_PlS8_lN6thrust23THRUST_200600_302600_NS4plusIvEElEEDaPvRmT3_T4_T5_mT6_P12ihipStream_tbENKUlT_T0_E_clISt17integral_constantIbLb0EESP_IbLb1EEEEDaSL_SM_EUlSL_E0_NS1_11comp_targetILNS1_3genE3ELNS1_11target_archE908ELNS1_3gpuE7ELNS1_3repE0EEENS1_30default_config_static_selectorELNS0_4arch9wavefront6targetE0EEEvT1_, .Lfunc_end153-_ZN7rocprim17ROCPRIM_400000_NS6detail17trampoline_kernelINS0_14default_configENS1_20scan_config_selectorIlEEZZNS1_9scan_implILNS1_25lookback_scan_determinismE0ELb0ELb0ES3_PlS8_lN6thrust23THRUST_200600_302600_NS4plusIvEElEEDaPvRmT3_T4_T5_mT6_P12ihipStream_tbENKUlT_T0_E_clISt17integral_constantIbLb0EESP_IbLb1EEEEDaSL_SM_EUlSL_E0_NS1_11comp_targetILNS1_3genE3ELNS1_11target_archE908ELNS1_3gpuE7ELNS1_3repE0EEENS1_30default_config_static_selectorELNS0_4arch9wavefront6targetE0EEEvT1_
                                        ; -- End function
	.set _ZN7rocprim17ROCPRIM_400000_NS6detail17trampoline_kernelINS0_14default_configENS1_20scan_config_selectorIlEEZZNS1_9scan_implILNS1_25lookback_scan_determinismE0ELb0ELb0ES3_PlS8_lN6thrust23THRUST_200600_302600_NS4plusIvEElEEDaPvRmT3_T4_T5_mT6_P12ihipStream_tbENKUlT_T0_E_clISt17integral_constantIbLb0EESP_IbLb1EEEEDaSL_SM_EUlSL_E0_NS1_11comp_targetILNS1_3genE3ELNS1_11target_archE908ELNS1_3gpuE7ELNS1_3repE0EEENS1_30default_config_static_selectorELNS0_4arch9wavefront6targetE0EEEvT1_.num_vgpr, 0
	.set _ZN7rocprim17ROCPRIM_400000_NS6detail17trampoline_kernelINS0_14default_configENS1_20scan_config_selectorIlEEZZNS1_9scan_implILNS1_25lookback_scan_determinismE0ELb0ELb0ES3_PlS8_lN6thrust23THRUST_200600_302600_NS4plusIvEElEEDaPvRmT3_T4_T5_mT6_P12ihipStream_tbENKUlT_T0_E_clISt17integral_constantIbLb0EESP_IbLb1EEEEDaSL_SM_EUlSL_E0_NS1_11comp_targetILNS1_3genE3ELNS1_11target_archE908ELNS1_3gpuE7ELNS1_3repE0EEENS1_30default_config_static_selectorELNS0_4arch9wavefront6targetE0EEEvT1_.num_agpr, 0
	.set _ZN7rocprim17ROCPRIM_400000_NS6detail17trampoline_kernelINS0_14default_configENS1_20scan_config_selectorIlEEZZNS1_9scan_implILNS1_25lookback_scan_determinismE0ELb0ELb0ES3_PlS8_lN6thrust23THRUST_200600_302600_NS4plusIvEElEEDaPvRmT3_T4_T5_mT6_P12ihipStream_tbENKUlT_T0_E_clISt17integral_constantIbLb0EESP_IbLb1EEEEDaSL_SM_EUlSL_E0_NS1_11comp_targetILNS1_3genE3ELNS1_11target_archE908ELNS1_3gpuE7ELNS1_3repE0EEENS1_30default_config_static_selectorELNS0_4arch9wavefront6targetE0EEEvT1_.numbered_sgpr, 0
	.set _ZN7rocprim17ROCPRIM_400000_NS6detail17trampoline_kernelINS0_14default_configENS1_20scan_config_selectorIlEEZZNS1_9scan_implILNS1_25lookback_scan_determinismE0ELb0ELb0ES3_PlS8_lN6thrust23THRUST_200600_302600_NS4plusIvEElEEDaPvRmT3_T4_T5_mT6_P12ihipStream_tbENKUlT_T0_E_clISt17integral_constantIbLb0EESP_IbLb1EEEEDaSL_SM_EUlSL_E0_NS1_11comp_targetILNS1_3genE3ELNS1_11target_archE908ELNS1_3gpuE7ELNS1_3repE0EEENS1_30default_config_static_selectorELNS0_4arch9wavefront6targetE0EEEvT1_.num_named_barrier, 0
	.set _ZN7rocprim17ROCPRIM_400000_NS6detail17trampoline_kernelINS0_14default_configENS1_20scan_config_selectorIlEEZZNS1_9scan_implILNS1_25lookback_scan_determinismE0ELb0ELb0ES3_PlS8_lN6thrust23THRUST_200600_302600_NS4plusIvEElEEDaPvRmT3_T4_T5_mT6_P12ihipStream_tbENKUlT_T0_E_clISt17integral_constantIbLb0EESP_IbLb1EEEEDaSL_SM_EUlSL_E0_NS1_11comp_targetILNS1_3genE3ELNS1_11target_archE908ELNS1_3gpuE7ELNS1_3repE0EEENS1_30default_config_static_selectorELNS0_4arch9wavefront6targetE0EEEvT1_.private_seg_size, 0
	.set _ZN7rocprim17ROCPRIM_400000_NS6detail17trampoline_kernelINS0_14default_configENS1_20scan_config_selectorIlEEZZNS1_9scan_implILNS1_25lookback_scan_determinismE0ELb0ELb0ES3_PlS8_lN6thrust23THRUST_200600_302600_NS4plusIvEElEEDaPvRmT3_T4_T5_mT6_P12ihipStream_tbENKUlT_T0_E_clISt17integral_constantIbLb0EESP_IbLb1EEEEDaSL_SM_EUlSL_E0_NS1_11comp_targetILNS1_3genE3ELNS1_11target_archE908ELNS1_3gpuE7ELNS1_3repE0EEENS1_30default_config_static_selectorELNS0_4arch9wavefront6targetE0EEEvT1_.uses_vcc, 0
	.set _ZN7rocprim17ROCPRIM_400000_NS6detail17trampoline_kernelINS0_14default_configENS1_20scan_config_selectorIlEEZZNS1_9scan_implILNS1_25lookback_scan_determinismE0ELb0ELb0ES3_PlS8_lN6thrust23THRUST_200600_302600_NS4plusIvEElEEDaPvRmT3_T4_T5_mT6_P12ihipStream_tbENKUlT_T0_E_clISt17integral_constantIbLb0EESP_IbLb1EEEEDaSL_SM_EUlSL_E0_NS1_11comp_targetILNS1_3genE3ELNS1_11target_archE908ELNS1_3gpuE7ELNS1_3repE0EEENS1_30default_config_static_selectorELNS0_4arch9wavefront6targetE0EEEvT1_.uses_flat_scratch, 0
	.set _ZN7rocprim17ROCPRIM_400000_NS6detail17trampoline_kernelINS0_14default_configENS1_20scan_config_selectorIlEEZZNS1_9scan_implILNS1_25lookback_scan_determinismE0ELb0ELb0ES3_PlS8_lN6thrust23THRUST_200600_302600_NS4plusIvEElEEDaPvRmT3_T4_T5_mT6_P12ihipStream_tbENKUlT_T0_E_clISt17integral_constantIbLb0EESP_IbLb1EEEEDaSL_SM_EUlSL_E0_NS1_11comp_targetILNS1_3genE3ELNS1_11target_archE908ELNS1_3gpuE7ELNS1_3repE0EEENS1_30default_config_static_selectorELNS0_4arch9wavefront6targetE0EEEvT1_.has_dyn_sized_stack, 0
	.set _ZN7rocprim17ROCPRIM_400000_NS6detail17trampoline_kernelINS0_14default_configENS1_20scan_config_selectorIlEEZZNS1_9scan_implILNS1_25lookback_scan_determinismE0ELb0ELb0ES3_PlS8_lN6thrust23THRUST_200600_302600_NS4plusIvEElEEDaPvRmT3_T4_T5_mT6_P12ihipStream_tbENKUlT_T0_E_clISt17integral_constantIbLb0EESP_IbLb1EEEEDaSL_SM_EUlSL_E0_NS1_11comp_targetILNS1_3genE3ELNS1_11target_archE908ELNS1_3gpuE7ELNS1_3repE0EEENS1_30default_config_static_selectorELNS0_4arch9wavefront6targetE0EEEvT1_.has_recursion, 0
	.set _ZN7rocprim17ROCPRIM_400000_NS6detail17trampoline_kernelINS0_14default_configENS1_20scan_config_selectorIlEEZZNS1_9scan_implILNS1_25lookback_scan_determinismE0ELb0ELb0ES3_PlS8_lN6thrust23THRUST_200600_302600_NS4plusIvEElEEDaPvRmT3_T4_T5_mT6_P12ihipStream_tbENKUlT_T0_E_clISt17integral_constantIbLb0EESP_IbLb1EEEEDaSL_SM_EUlSL_E0_NS1_11comp_targetILNS1_3genE3ELNS1_11target_archE908ELNS1_3gpuE7ELNS1_3repE0EEENS1_30default_config_static_selectorELNS0_4arch9wavefront6targetE0EEEvT1_.has_indirect_call, 0
	.section	.AMDGPU.csdata,"",@progbits
; Kernel info:
; codeLenInByte = 0
; TotalNumSgprs: 0
; NumVgprs: 0
; ScratchSize: 0
; MemoryBound: 0
; FloatMode: 240
; IeeeMode: 1
; LDSByteSize: 0 bytes/workgroup (compile time only)
; SGPRBlocks: 0
; VGPRBlocks: 0
; NumSGPRsForWavesPerEU: 1
; NumVGPRsForWavesPerEU: 1
; NamedBarCnt: 0
; Occupancy: 16
; WaveLimiterHint : 0
; COMPUTE_PGM_RSRC2:SCRATCH_EN: 0
; COMPUTE_PGM_RSRC2:USER_SGPR: 2
; COMPUTE_PGM_RSRC2:TRAP_HANDLER: 0
; COMPUTE_PGM_RSRC2:TGID_X_EN: 1
; COMPUTE_PGM_RSRC2:TGID_Y_EN: 0
; COMPUTE_PGM_RSRC2:TGID_Z_EN: 0
; COMPUTE_PGM_RSRC2:TIDIG_COMP_CNT: 0
	.section	.text._ZN7rocprim17ROCPRIM_400000_NS6detail17trampoline_kernelINS0_14default_configENS1_20scan_config_selectorIlEEZZNS1_9scan_implILNS1_25lookback_scan_determinismE0ELb0ELb0ES3_PlS8_lN6thrust23THRUST_200600_302600_NS4plusIvEElEEDaPvRmT3_T4_T5_mT6_P12ihipStream_tbENKUlT_T0_E_clISt17integral_constantIbLb0EESP_IbLb1EEEEDaSL_SM_EUlSL_E0_NS1_11comp_targetILNS1_3genE2ELNS1_11target_archE906ELNS1_3gpuE6ELNS1_3repE0EEENS1_30default_config_static_selectorELNS0_4arch9wavefront6targetE0EEEvT1_,"axG",@progbits,_ZN7rocprim17ROCPRIM_400000_NS6detail17trampoline_kernelINS0_14default_configENS1_20scan_config_selectorIlEEZZNS1_9scan_implILNS1_25lookback_scan_determinismE0ELb0ELb0ES3_PlS8_lN6thrust23THRUST_200600_302600_NS4plusIvEElEEDaPvRmT3_T4_T5_mT6_P12ihipStream_tbENKUlT_T0_E_clISt17integral_constantIbLb0EESP_IbLb1EEEEDaSL_SM_EUlSL_E0_NS1_11comp_targetILNS1_3genE2ELNS1_11target_archE906ELNS1_3gpuE6ELNS1_3repE0EEENS1_30default_config_static_selectorELNS0_4arch9wavefront6targetE0EEEvT1_,comdat
	.protected	_ZN7rocprim17ROCPRIM_400000_NS6detail17trampoline_kernelINS0_14default_configENS1_20scan_config_selectorIlEEZZNS1_9scan_implILNS1_25lookback_scan_determinismE0ELb0ELb0ES3_PlS8_lN6thrust23THRUST_200600_302600_NS4plusIvEElEEDaPvRmT3_T4_T5_mT6_P12ihipStream_tbENKUlT_T0_E_clISt17integral_constantIbLb0EESP_IbLb1EEEEDaSL_SM_EUlSL_E0_NS1_11comp_targetILNS1_3genE2ELNS1_11target_archE906ELNS1_3gpuE6ELNS1_3repE0EEENS1_30default_config_static_selectorELNS0_4arch9wavefront6targetE0EEEvT1_ ; -- Begin function _ZN7rocprim17ROCPRIM_400000_NS6detail17trampoline_kernelINS0_14default_configENS1_20scan_config_selectorIlEEZZNS1_9scan_implILNS1_25lookback_scan_determinismE0ELb0ELb0ES3_PlS8_lN6thrust23THRUST_200600_302600_NS4plusIvEElEEDaPvRmT3_T4_T5_mT6_P12ihipStream_tbENKUlT_T0_E_clISt17integral_constantIbLb0EESP_IbLb1EEEEDaSL_SM_EUlSL_E0_NS1_11comp_targetILNS1_3genE2ELNS1_11target_archE906ELNS1_3gpuE6ELNS1_3repE0EEENS1_30default_config_static_selectorELNS0_4arch9wavefront6targetE0EEEvT1_
	.globl	_ZN7rocprim17ROCPRIM_400000_NS6detail17trampoline_kernelINS0_14default_configENS1_20scan_config_selectorIlEEZZNS1_9scan_implILNS1_25lookback_scan_determinismE0ELb0ELb0ES3_PlS8_lN6thrust23THRUST_200600_302600_NS4plusIvEElEEDaPvRmT3_T4_T5_mT6_P12ihipStream_tbENKUlT_T0_E_clISt17integral_constantIbLb0EESP_IbLb1EEEEDaSL_SM_EUlSL_E0_NS1_11comp_targetILNS1_3genE2ELNS1_11target_archE906ELNS1_3gpuE6ELNS1_3repE0EEENS1_30default_config_static_selectorELNS0_4arch9wavefront6targetE0EEEvT1_
	.p2align	8
	.type	_ZN7rocprim17ROCPRIM_400000_NS6detail17trampoline_kernelINS0_14default_configENS1_20scan_config_selectorIlEEZZNS1_9scan_implILNS1_25lookback_scan_determinismE0ELb0ELb0ES3_PlS8_lN6thrust23THRUST_200600_302600_NS4plusIvEElEEDaPvRmT3_T4_T5_mT6_P12ihipStream_tbENKUlT_T0_E_clISt17integral_constantIbLb0EESP_IbLb1EEEEDaSL_SM_EUlSL_E0_NS1_11comp_targetILNS1_3genE2ELNS1_11target_archE906ELNS1_3gpuE6ELNS1_3repE0EEENS1_30default_config_static_selectorELNS0_4arch9wavefront6targetE0EEEvT1_,@function
_ZN7rocprim17ROCPRIM_400000_NS6detail17trampoline_kernelINS0_14default_configENS1_20scan_config_selectorIlEEZZNS1_9scan_implILNS1_25lookback_scan_determinismE0ELb0ELb0ES3_PlS8_lN6thrust23THRUST_200600_302600_NS4plusIvEElEEDaPvRmT3_T4_T5_mT6_P12ihipStream_tbENKUlT_T0_E_clISt17integral_constantIbLb0EESP_IbLb1EEEEDaSL_SM_EUlSL_E0_NS1_11comp_targetILNS1_3genE2ELNS1_11target_archE906ELNS1_3gpuE6ELNS1_3repE0EEENS1_30default_config_static_selectorELNS0_4arch9wavefront6targetE0EEEvT1_: ; @_ZN7rocprim17ROCPRIM_400000_NS6detail17trampoline_kernelINS0_14default_configENS1_20scan_config_selectorIlEEZZNS1_9scan_implILNS1_25lookback_scan_determinismE0ELb0ELb0ES3_PlS8_lN6thrust23THRUST_200600_302600_NS4plusIvEElEEDaPvRmT3_T4_T5_mT6_P12ihipStream_tbENKUlT_T0_E_clISt17integral_constantIbLb0EESP_IbLb1EEEEDaSL_SM_EUlSL_E0_NS1_11comp_targetILNS1_3genE2ELNS1_11target_archE906ELNS1_3gpuE6ELNS1_3repE0EEENS1_30default_config_static_selectorELNS0_4arch9wavefront6targetE0EEEvT1_
; %bb.0:
	.section	.rodata,"a",@progbits
	.p2align	6, 0x0
	.amdhsa_kernel _ZN7rocprim17ROCPRIM_400000_NS6detail17trampoline_kernelINS0_14default_configENS1_20scan_config_selectorIlEEZZNS1_9scan_implILNS1_25lookback_scan_determinismE0ELb0ELb0ES3_PlS8_lN6thrust23THRUST_200600_302600_NS4plusIvEElEEDaPvRmT3_T4_T5_mT6_P12ihipStream_tbENKUlT_T0_E_clISt17integral_constantIbLb0EESP_IbLb1EEEEDaSL_SM_EUlSL_E0_NS1_11comp_targetILNS1_3genE2ELNS1_11target_archE906ELNS1_3gpuE6ELNS1_3repE0EEENS1_30default_config_static_selectorELNS0_4arch9wavefront6targetE0EEEvT1_
		.amdhsa_group_segment_fixed_size 0
		.amdhsa_private_segment_fixed_size 0
		.amdhsa_kernarg_size 40
		.amdhsa_user_sgpr_count 2
		.amdhsa_user_sgpr_dispatch_ptr 0
		.amdhsa_user_sgpr_queue_ptr 0
		.amdhsa_user_sgpr_kernarg_segment_ptr 1
		.amdhsa_user_sgpr_dispatch_id 0
		.amdhsa_user_sgpr_kernarg_preload_length 0
		.amdhsa_user_sgpr_kernarg_preload_offset 0
		.amdhsa_user_sgpr_private_segment_size 0
		.amdhsa_wavefront_size32 1
		.amdhsa_uses_dynamic_stack 0
		.amdhsa_enable_private_segment 0
		.amdhsa_system_sgpr_workgroup_id_x 1
		.amdhsa_system_sgpr_workgroup_id_y 0
		.amdhsa_system_sgpr_workgroup_id_z 0
		.amdhsa_system_sgpr_workgroup_info 0
		.amdhsa_system_vgpr_workitem_id 0
		.amdhsa_next_free_vgpr 1
		.amdhsa_next_free_sgpr 1
		.amdhsa_named_barrier_count 0
		.amdhsa_reserve_vcc 0
		.amdhsa_float_round_mode_32 0
		.amdhsa_float_round_mode_16_64 0
		.amdhsa_float_denorm_mode_32 3
		.amdhsa_float_denorm_mode_16_64 3
		.amdhsa_fp16_overflow 0
		.amdhsa_memory_ordered 1
		.amdhsa_forward_progress 1
		.amdhsa_inst_pref_size 0
		.amdhsa_round_robin_scheduling 0
		.amdhsa_exception_fp_ieee_invalid_op 0
		.amdhsa_exception_fp_denorm_src 0
		.amdhsa_exception_fp_ieee_div_zero 0
		.amdhsa_exception_fp_ieee_overflow 0
		.amdhsa_exception_fp_ieee_underflow 0
		.amdhsa_exception_fp_ieee_inexact 0
		.amdhsa_exception_int_div_zero 0
	.end_amdhsa_kernel
	.section	.text._ZN7rocprim17ROCPRIM_400000_NS6detail17trampoline_kernelINS0_14default_configENS1_20scan_config_selectorIlEEZZNS1_9scan_implILNS1_25lookback_scan_determinismE0ELb0ELb0ES3_PlS8_lN6thrust23THRUST_200600_302600_NS4plusIvEElEEDaPvRmT3_T4_T5_mT6_P12ihipStream_tbENKUlT_T0_E_clISt17integral_constantIbLb0EESP_IbLb1EEEEDaSL_SM_EUlSL_E0_NS1_11comp_targetILNS1_3genE2ELNS1_11target_archE906ELNS1_3gpuE6ELNS1_3repE0EEENS1_30default_config_static_selectorELNS0_4arch9wavefront6targetE0EEEvT1_,"axG",@progbits,_ZN7rocprim17ROCPRIM_400000_NS6detail17trampoline_kernelINS0_14default_configENS1_20scan_config_selectorIlEEZZNS1_9scan_implILNS1_25lookback_scan_determinismE0ELb0ELb0ES3_PlS8_lN6thrust23THRUST_200600_302600_NS4plusIvEElEEDaPvRmT3_T4_T5_mT6_P12ihipStream_tbENKUlT_T0_E_clISt17integral_constantIbLb0EESP_IbLb1EEEEDaSL_SM_EUlSL_E0_NS1_11comp_targetILNS1_3genE2ELNS1_11target_archE906ELNS1_3gpuE6ELNS1_3repE0EEENS1_30default_config_static_selectorELNS0_4arch9wavefront6targetE0EEEvT1_,comdat
.Lfunc_end154:
	.size	_ZN7rocprim17ROCPRIM_400000_NS6detail17trampoline_kernelINS0_14default_configENS1_20scan_config_selectorIlEEZZNS1_9scan_implILNS1_25lookback_scan_determinismE0ELb0ELb0ES3_PlS8_lN6thrust23THRUST_200600_302600_NS4plusIvEElEEDaPvRmT3_T4_T5_mT6_P12ihipStream_tbENKUlT_T0_E_clISt17integral_constantIbLb0EESP_IbLb1EEEEDaSL_SM_EUlSL_E0_NS1_11comp_targetILNS1_3genE2ELNS1_11target_archE906ELNS1_3gpuE6ELNS1_3repE0EEENS1_30default_config_static_selectorELNS0_4arch9wavefront6targetE0EEEvT1_, .Lfunc_end154-_ZN7rocprim17ROCPRIM_400000_NS6detail17trampoline_kernelINS0_14default_configENS1_20scan_config_selectorIlEEZZNS1_9scan_implILNS1_25lookback_scan_determinismE0ELb0ELb0ES3_PlS8_lN6thrust23THRUST_200600_302600_NS4plusIvEElEEDaPvRmT3_T4_T5_mT6_P12ihipStream_tbENKUlT_T0_E_clISt17integral_constantIbLb0EESP_IbLb1EEEEDaSL_SM_EUlSL_E0_NS1_11comp_targetILNS1_3genE2ELNS1_11target_archE906ELNS1_3gpuE6ELNS1_3repE0EEENS1_30default_config_static_selectorELNS0_4arch9wavefront6targetE0EEEvT1_
                                        ; -- End function
	.set _ZN7rocprim17ROCPRIM_400000_NS6detail17trampoline_kernelINS0_14default_configENS1_20scan_config_selectorIlEEZZNS1_9scan_implILNS1_25lookback_scan_determinismE0ELb0ELb0ES3_PlS8_lN6thrust23THRUST_200600_302600_NS4plusIvEElEEDaPvRmT3_T4_T5_mT6_P12ihipStream_tbENKUlT_T0_E_clISt17integral_constantIbLb0EESP_IbLb1EEEEDaSL_SM_EUlSL_E0_NS1_11comp_targetILNS1_3genE2ELNS1_11target_archE906ELNS1_3gpuE6ELNS1_3repE0EEENS1_30default_config_static_selectorELNS0_4arch9wavefront6targetE0EEEvT1_.num_vgpr, 0
	.set _ZN7rocprim17ROCPRIM_400000_NS6detail17trampoline_kernelINS0_14default_configENS1_20scan_config_selectorIlEEZZNS1_9scan_implILNS1_25lookback_scan_determinismE0ELb0ELb0ES3_PlS8_lN6thrust23THRUST_200600_302600_NS4plusIvEElEEDaPvRmT3_T4_T5_mT6_P12ihipStream_tbENKUlT_T0_E_clISt17integral_constantIbLb0EESP_IbLb1EEEEDaSL_SM_EUlSL_E0_NS1_11comp_targetILNS1_3genE2ELNS1_11target_archE906ELNS1_3gpuE6ELNS1_3repE0EEENS1_30default_config_static_selectorELNS0_4arch9wavefront6targetE0EEEvT1_.num_agpr, 0
	.set _ZN7rocprim17ROCPRIM_400000_NS6detail17trampoline_kernelINS0_14default_configENS1_20scan_config_selectorIlEEZZNS1_9scan_implILNS1_25lookback_scan_determinismE0ELb0ELb0ES3_PlS8_lN6thrust23THRUST_200600_302600_NS4plusIvEElEEDaPvRmT3_T4_T5_mT6_P12ihipStream_tbENKUlT_T0_E_clISt17integral_constantIbLb0EESP_IbLb1EEEEDaSL_SM_EUlSL_E0_NS1_11comp_targetILNS1_3genE2ELNS1_11target_archE906ELNS1_3gpuE6ELNS1_3repE0EEENS1_30default_config_static_selectorELNS0_4arch9wavefront6targetE0EEEvT1_.numbered_sgpr, 0
	.set _ZN7rocprim17ROCPRIM_400000_NS6detail17trampoline_kernelINS0_14default_configENS1_20scan_config_selectorIlEEZZNS1_9scan_implILNS1_25lookback_scan_determinismE0ELb0ELb0ES3_PlS8_lN6thrust23THRUST_200600_302600_NS4plusIvEElEEDaPvRmT3_T4_T5_mT6_P12ihipStream_tbENKUlT_T0_E_clISt17integral_constantIbLb0EESP_IbLb1EEEEDaSL_SM_EUlSL_E0_NS1_11comp_targetILNS1_3genE2ELNS1_11target_archE906ELNS1_3gpuE6ELNS1_3repE0EEENS1_30default_config_static_selectorELNS0_4arch9wavefront6targetE0EEEvT1_.num_named_barrier, 0
	.set _ZN7rocprim17ROCPRIM_400000_NS6detail17trampoline_kernelINS0_14default_configENS1_20scan_config_selectorIlEEZZNS1_9scan_implILNS1_25lookback_scan_determinismE0ELb0ELb0ES3_PlS8_lN6thrust23THRUST_200600_302600_NS4plusIvEElEEDaPvRmT3_T4_T5_mT6_P12ihipStream_tbENKUlT_T0_E_clISt17integral_constantIbLb0EESP_IbLb1EEEEDaSL_SM_EUlSL_E0_NS1_11comp_targetILNS1_3genE2ELNS1_11target_archE906ELNS1_3gpuE6ELNS1_3repE0EEENS1_30default_config_static_selectorELNS0_4arch9wavefront6targetE0EEEvT1_.private_seg_size, 0
	.set _ZN7rocprim17ROCPRIM_400000_NS6detail17trampoline_kernelINS0_14default_configENS1_20scan_config_selectorIlEEZZNS1_9scan_implILNS1_25lookback_scan_determinismE0ELb0ELb0ES3_PlS8_lN6thrust23THRUST_200600_302600_NS4plusIvEElEEDaPvRmT3_T4_T5_mT6_P12ihipStream_tbENKUlT_T0_E_clISt17integral_constantIbLb0EESP_IbLb1EEEEDaSL_SM_EUlSL_E0_NS1_11comp_targetILNS1_3genE2ELNS1_11target_archE906ELNS1_3gpuE6ELNS1_3repE0EEENS1_30default_config_static_selectorELNS0_4arch9wavefront6targetE0EEEvT1_.uses_vcc, 0
	.set _ZN7rocprim17ROCPRIM_400000_NS6detail17trampoline_kernelINS0_14default_configENS1_20scan_config_selectorIlEEZZNS1_9scan_implILNS1_25lookback_scan_determinismE0ELb0ELb0ES3_PlS8_lN6thrust23THRUST_200600_302600_NS4plusIvEElEEDaPvRmT3_T4_T5_mT6_P12ihipStream_tbENKUlT_T0_E_clISt17integral_constantIbLb0EESP_IbLb1EEEEDaSL_SM_EUlSL_E0_NS1_11comp_targetILNS1_3genE2ELNS1_11target_archE906ELNS1_3gpuE6ELNS1_3repE0EEENS1_30default_config_static_selectorELNS0_4arch9wavefront6targetE0EEEvT1_.uses_flat_scratch, 0
	.set _ZN7rocprim17ROCPRIM_400000_NS6detail17trampoline_kernelINS0_14default_configENS1_20scan_config_selectorIlEEZZNS1_9scan_implILNS1_25lookback_scan_determinismE0ELb0ELb0ES3_PlS8_lN6thrust23THRUST_200600_302600_NS4plusIvEElEEDaPvRmT3_T4_T5_mT6_P12ihipStream_tbENKUlT_T0_E_clISt17integral_constantIbLb0EESP_IbLb1EEEEDaSL_SM_EUlSL_E0_NS1_11comp_targetILNS1_3genE2ELNS1_11target_archE906ELNS1_3gpuE6ELNS1_3repE0EEENS1_30default_config_static_selectorELNS0_4arch9wavefront6targetE0EEEvT1_.has_dyn_sized_stack, 0
	.set _ZN7rocprim17ROCPRIM_400000_NS6detail17trampoline_kernelINS0_14default_configENS1_20scan_config_selectorIlEEZZNS1_9scan_implILNS1_25lookback_scan_determinismE0ELb0ELb0ES3_PlS8_lN6thrust23THRUST_200600_302600_NS4plusIvEElEEDaPvRmT3_T4_T5_mT6_P12ihipStream_tbENKUlT_T0_E_clISt17integral_constantIbLb0EESP_IbLb1EEEEDaSL_SM_EUlSL_E0_NS1_11comp_targetILNS1_3genE2ELNS1_11target_archE906ELNS1_3gpuE6ELNS1_3repE0EEENS1_30default_config_static_selectorELNS0_4arch9wavefront6targetE0EEEvT1_.has_recursion, 0
	.set _ZN7rocprim17ROCPRIM_400000_NS6detail17trampoline_kernelINS0_14default_configENS1_20scan_config_selectorIlEEZZNS1_9scan_implILNS1_25lookback_scan_determinismE0ELb0ELb0ES3_PlS8_lN6thrust23THRUST_200600_302600_NS4plusIvEElEEDaPvRmT3_T4_T5_mT6_P12ihipStream_tbENKUlT_T0_E_clISt17integral_constantIbLb0EESP_IbLb1EEEEDaSL_SM_EUlSL_E0_NS1_11comp_targetILNS1_3genE2ELNS1_11target_archE906ELNS1_3gpuE6ELNS1_3repE0EEENS1_30default_config_static_selectorELNS0_4arch9wavefront6targetE0EEEvT1_.has_indirect_call, 0
	.section	.AMDGPU.csdata,"",@progbits
; Kernel info:
; codeLenInByte = 0
; TotalNumSgprs: 0
; NumVgprs: 0
; ScratchSize: 0
; MemoryBound: 0
; FloatMode: 240
; IeeeMode: 1
; LDSByteSize: 0 bytes/workgroup (compile time only)
; SGPRBlocks: 0
; VGPRBlocks: 0
; NumSGPRsForWavesPerEU: 1
; NumVGPRsForWavesPerEU: 1
; NamedBarCnt: 0
; Occupancy: 16
; WaveLimiterHint : 0
; COMPUTE_PGM_RSRC2:SCRATCH_EN: 0
; COMPUTE_PGM_RSRC2:USER_SGPR: 2
; COMPUTE_PGM_RSRC2:TRAP_HANDLER: 0
; COMPUTE_PGM_RSRC2:TGID_X_EN: 1
; COMPUTE_PGM_RSRC2:TGID_Y_EN: 0
; COMPUTE_PGM_RSRC2:TGID_Z_EN: 0
; COMPUTE_PGM_RSRC2:TIDIG_COMP_CNT: 0
	.section	.text._ZN7rocprim17ROCPRIM_400000_NS6detail17trampoline_kernelINS0_14default_configENS1_20scan_config_selectorIlEEZZNS1_9scan_implILNS1_25lookback_scan_determinismE0ELb0ELb0ES3_PlS8_lN6thrust23THRUST_200600_302600_NS4plusIvEElEEDaPvRmT3_T4_T5_mT6_P12ihipStream_tbENKUlT_T0_E_clISt17integral_constantIbLb0EESP_IbLb1EEEEDaSL_SM_EUlSL_E0_NS1_11comp_targetILNS1_3genE10ELNS1_11target_archE1201ELNS1_3gpuE5ELNS1_3repE0EEENS1_30default_config_static_selectorELNS0_4arch9wavefront6targetE0EEEvT1_,"axG",@progbits,_ZN7rocprim17ROCPRIM_400000_NS6detail17trampoline_kernelINS0_14default_configENS1_20scan_config_selectorIlEEZZNS1_9scan_implILNS1_25lookback_scan_determinismE0ELb0ELb0ES3_PlS8_lN6thrust23THRUST_200600_302600_NS4plusIvEElEEDaPvRmT3_T4_T5_mT6_P12ihipStream_tbENKUlT_T0_E_clISt17integral_constantIbLb0EESP_IbLb1EEEEDaSL_SM_EUlSL_E0_NS1_11comp_targetILNS1_3genE10ELNS1_11target_archE1201ELNS1_3gpuE5ELNS1_3repE0EEENS1_30default_config_static_selectorELNS0_4arch9wavefront6targetE0EEEvT1_,comdat
	.protected	_ZN7rocprim17ROCPRIM_400000_NS6detail17trampoline_kernelINS0_14default_configENS1_20scan_config_selectorIlEEZZNS1_9scan_implILNS1_25lookback_scan_determinismE0ELb0ELb0ES3_PlS8_lN6thrust23THRUST_200600_302600_NS4plusIvEElEEDaPvRmT3_T4_T5_mT6_P12ihipStream_tbENKUlT_T0_E_clISt17integral_constantIbLb0EESP_IbLb1EEEEDaSL_SM_EUlSL_E0_NS1_11comp_targetILNS1_3genE10ELNS1_11target_archE1201ELNS1_3gpuE5ELNS1_3repE0EEENS1_30default_config_static_selectorELNS0_4arch9wavefront6targetE0EEEvT1_ ; -- Begin function _ZN7rocprim17ROCPRIM_400000_NS6detail17trampoline_kernelINS0_14default_configENS1_20scan_config_selectorIlEEZZNS1_9scan_implILNS1_25lookback_scan_determinismE0ELb0ELb0ES3_PlS8_lN6thrust23THRUST_200600_302600_NS4plusIvEElEEDaPvRmT3_T4_T5_mT6_P12ihipStream_tbENKUlT_T0_E_clISt17integral_constantIbLb0EESP_IbLb1EEEEDaSL_SM_EUlSL_E0_NS1_11comp_targetILNS1_3genE10ELNS1_11target_archE1201ELNS1_3gpuE5ELNS1_3repE0EEENS1_30default_config_static_selectorELNS0_4arch9wavefront6targetE0EEEvT1_
	.globl	_ZN7rocprim17ROCPRIM_400000_NS6detail17trampoline_kernelINS0_14default_configENS1_20scan_config_selectorIlEEZZNS1_9scan_implILNS1_25lookback_scan_determinismE0ELb0ELb0ES3_PlS8_lN6thrust23THRUST_200600_302600_NS4plusIvEElEEDaPvRmT3_T4_T5_mT6_P12ihipStream_tbENKUlT_T0_E_clISt17integral_constantIbLb0EESP_IbLb1EEEEDaSL_SM_EUlSL_E0_NS1_11comp_targetILNS1_3genE10ELNS1_11target_archE1201ELNS1_3gpuE5ELNS1_3repE0EEENS1_30default_config_static_selectorELNS0_4arch9wavefront6targetE0EEEvT1_
	.p2align	8
	.type	_ZN7rocprim17ROCPRIM_400000_NS6detail17trampoline_kernelINS0_14default_configENS1_20scan_config_selectorIlEEZZNS1_9scan_implILNS1_25lookback_scan_determinismE0ELb0ELb0ES3_PlS8_lN6thrust23THRUST_200600_302600_NS4plusIvEElEEDaPvRmT3_T4_T5_mT6_P12ihipStream_tbENKUlT_T0_E_clISt17integral_constantIbLb0EESP_IbLb1EEEEDaSL_SM_EUlSL_E0_NS1_11comp_targetILNS1_3genE10ELNS1_11target_archE1201ELNS1_3gpuE5ELNS1_3repE0EEENS1_30default_config_static_selectorELNS0_4arch9wavefront6targetE0EEEvT1_,@function
_ZN7rocprim17ROCPRIM_400000_NS6detail17trampoline_kernelINS0_14default_configENS1_20scan_config_selectorIlEEZZNS1_9scan_implILNS1_25lookback_scan_determinismE0ELb0ELb0ES3_PlS8_lN6thrust23THRUST_200600_302600_NS4plusIvEElEEDaPvRmT3_T4_T5_mT6_P12ihipStream_tbENKUlT_T0_E_clISt17integral_constantIbLb0EESP_IbLb1EEEEDaSL_SM_EUlSL_E0_NS1_11comp_targetILNS1_3genE10ELNS1_11target_archE1201ELNS1_3gpuE5ELNS1_3repE0EEENS1_30default_config_static_selectorELNS0_4arch9wavefront6targetE0EEEvT1_: ; @_ZN7rocprim17ROCPRIM_400000_NS6detail17trampoline_kernelINS0_14default_configENS1_20scan_config_selectorIlEEZZNS1_9scan_implILNS1_25lookback_scan_determinismE0ELb0ELb0ES3_PlS8_lN6thrust23THRUST_200600_302600_NS4plusIvEElEEDaPvRmT3_T4_T5_mT6_P12ihipStream_tbENKUlT_T0_E_clISt17integral_constantIbLb0EESP_IbLb1EEEEDaSL_SM_EUlSL_E0_NS1_11comp_targetILNS1_3genE10ELNS1_11target_archE1201ELNS1_3gpuE5ELNS1_3repE0EEENS1_30default_config_static_selectorELNS0_4arch9wavefront6targetE0EEEvT1_
; %bb.0:
	.section	.rodata,"a",@progbits
	.p2align	6, 0x0
	.amdhsa_kernel _ZN7rocprim17ROCPRIM_400000_NS6detail17trampoline_kernelINS0_14default_configENS1_20scan_config_selectorIlEEZZNS1_9scan_implILNS1_25lookback_scan_determinismE0ELb0ELb0ES3_PlS8_lN6thrust23THRUST_200600_302600_NS4plusIvEElEEDaPvRmT3_T4_T5_mT6_P12ihipStream_tbENKUlT_T0_E_clISt17integral_constantIbLb0EESP_IbLb1EEEEDaSL_SM_EUlSL_E0_NS1_11comp_targetILNS1_3genE10ELNS1_11target_archE1201ELNS1_3gpuE5ELNS1_3repE0EEENS1_30default_config_static_selectorELNS0_4arch9wavefront6targetE0EEEvT1_
		.amdhsa_group_segment_fixed_size 0
		.amdhsa_private_segment_fixed_size 0
		.amdhsa_kernarg_size 40
		.amdhsa_user_sgpr_count 2
		.amdhsa_user_sgpr_dispatch_ptr 0
		.amdhsa_user_sgpr_queue_ptr 0
		.amdhsa_user_sgpr_kernarg_segment_ptr 1
		.amdhsa_user_sgpr_dispatch_id 0
		.amdhsa_user_sgpr_kernarg_preload_length 0
		.amdhsa_user_sgpr_kernarg_preload_offset 0
		.amdhsa_user_sgpr_private_segment_size 0
		.amdhsa_wavefront_size32 1
		.amdhsa_uses_dynamic_stack 0
		.amdhsa_enable_private_segment 0
		.amdhsa_system_sgpr_workgroup_id_x 1
		.amdhsa_system_sgpr_workgroup_id_y 0
		.amdhsa_system_sgpr_workgroup_id_z 0
		.amdhsa_system_sgpr_workgroup_info 0
		.amdhsa_system_vgpr_workitem_id 0
		.amdhsa_next_free_vgpr 1
		.amdhsa_next_free_sgpr 1
		.amdhsa_named_barrier_count 0
		.amdhsa_reserve_vcc 0
		.amdhsa_float_round_mode_32 0
		.amdhsa_float_round_mode_16_64 0
		.amdhsa_float_denorm_mode_32 3
		.amdhsa_float_denorm_mode_16_64 3
		.amdhsa_fp16_overflow 0
		.amdhsa_memory_ordered 1
		.amdhsa_forward_progress 1
		.amdhsa_inst_pref_size 0
		.amdhsa_round_robin_scheduling 0
		.amdhsa_exception_fp_ieee_invalid_op 0
		.amdhsa_exception_fp_denorm_src 0
		.amdhsa_exception_fp_ieee_div_zero 0
		.amdhsa_exception_fp_ieee_overflow 0
		.amdhsa_exception_fp_ieee_underflow 0
		.amdhsa_exception_fp_ieee_inexact 0
		.amdhsa_exception_int_div_zero 0
	.end_amdhsa_kernel
	.section	.text._ZN7rocprim17ROCPRIM_400000_NS6detail17trampoline_kernelINS0_14default_configENS1_20scan_config_selectorIlEEZZNS1_9scan_implILNS1_25lookback_scan_determinismE0ELb0ELb0ES3_PlS8_lN6thrust23THRUST_200600_302600_NS4plusIvEElEEDaPvRmT3_T4_T5_mT6_P12ihipStream_tbENKUlT_T0_E_clISt17integral_constantIbLb0EESP_IbLb1EEEEDaSL_SM_EUlSL_E0_NS1_11comp_targetILNS1_3genE10ELNS1_11target_archE1201ELNS1_3gpuE5ELNS1_3repE0EEENS1_30default_config_static_selectorELNS0_4arch9wavefront6targetE0EEEvT1_,"axG",@progbits,_ZN7rocprim17ROCPRIM_400000_NS6detail17trampoline_kernelINS0_14default_configENS1_20scan_config_selectorIlEEZZNS1_9scan_implILNS1_25lookback_scan_determinismE0ELb0ELb0ES3_PlS8_lN6thrust23THRUST_200600_302600_NS4plusIvEElEEDaPvRmT3_T4_T5_mT6_P12ihipStream_tbENKUlT_T0_E_clISt17integral_constantIbLb0EESP_IbLb1EEEEDaSL_SM_EUlSL_E0_NS1_11comp_targetILNS1_3genE10ELNS1_11target_archE1201ELNS1_3gpuE5ELNS1_3repE0EEENS1_30default_config_static_selectorELNS0_4arch9wavefront6targetE0EEEvT1_,comdat
.Lfunc_end155:
	.size	_ZN7rocprim17ROCPRIM_400000_NS6detail17trampoline_kernelINS0_14default_configENS1_20scan_config_selectorIlEEZZNS1_9scan_implILNS1_25lookback_scan_determinismE0ELb0ELb0ES3_PlS8_lN6thrust23THRUST_200600_302600_NS4plusIvEElEEDaPvRmT3_T4_T5_mT6_P12ihipStream_tbENKUlT_T0_E_clISt17integral_constantIbLb0EESP_IbLb1EEEEDaSL_SM_EUlSL_E0_NS1_11comp_targetILNS1_3genE10ELNS1_11target_archE1201ELNS1_3gpuE5ELNS1_3repE0EEENS1_30default_config_static_selectorELNS0_4arch9wavefront6targetE0EEEvT1_, .Lfunc_end155-_ZN7rocprim17ROCPRIM_400000_NS6detail17trampoline_kernelINS0_14default_configENS1_20scan_config_selectorIlEEZZNS1_9scan_implILNS1_25lookback_scan_determinismE0ELb0ELb0ES3_PlS8_lN6thrust23THRUST_200600_302600_NS4plusIvEElEEDaPvRmT3_T4_T5_mT6_P12ihipStream_tbENKUlT_T0_E_clISt17integral_constantIbLb0EESP_IbLb1EEEEDaSL_SM_EUlSL_E0_NS1_11comp_targetILNS1_3genE10ELNS1_11target_archE1201ELNS1_3gpuE5ELNS1_3repE0EEENS1_30default_config_static_selectorELNS0_4arch9wavefront6targetE0EEEvT1_
                                        ; -- End function
	.set _ZN7rocprim17ROCPRIM_400000_NS6detail17trampoline_kernelINS0_14default_configENS1_20scan_config_selectorIlEEZZNS1_9scan_implILNS1_25lookback_scan_determinismE0ELb0ELb0ES3_PlS8_lN6thrust23THRUST_200600_302600_NS4plusIvEElEEDaPvRmT3_T4_T5_mT6_P12ihipStream_tbENKUlT_T0_E_clISt17integral_constantIbLb0EESP_IbLb1EEEEDaSL_SM_EUlSL_E0_NS1_11comp_targetILNS1_3genE10ELNS1_11target_archE1201ELNS1_3gpuE5ELNS1_3repE0EEENS1_30default_config_static_selectorELNS0_4arch9wavefront6targetE0EEEvT1_.num_vgpr, 0
	.set _ZN7rocprim17ROCPRIM_400000_NS6detail17trampoline_kernelINS0_14default_configENS1_20scan_config_selectorIlEEZZNS1_9scan_implILNS1_25lookback_scan_determinismE0ELb0ELb0ES3_PlS8_lN6thrust23THRUST_200600_302600_NS4plusIvEElEEDaPvRmT3_T4_T5_mT6_P12ihipStream_tbENKUlT_T0_E_clISt17integral_constantIbLb0EESP_IbLb1EEEEDaSL_SM_EUlSL_E0_NS1_11comp_targetILNS1_3genE10ELNS1_11target_archE1201ELNS1_3gpuE5ELNS1_3repE0EEENS1_30default_config_static_selectorELNS0_4arch9wavefront6targetE0EEEvT1_.num_agpr, 0
	.set _ZN7rocprim17ROCPRIM_400000_NS6detail17trampoline_kernelINS0_14default_configENS1_20scan_config_selectorIlEEZZNS1_9scan_implILNS1_25lookback_scan_determinismE0ELb0ELb0ES3_PlS8_lN6thrust23THRUST_200600_302600_NS4plusIvEElEEDaPvRmT3_T4_T5_mT6_P12ihipStream_tbENKUlT_T0_E_clISt17integral_constantIbLb0EESP_IbLb1EEEEDaSL_SM_EUlSL_E0_NS1_11comp_targetILNS1_3genE10ELNS1_11target_archE1201ELNS1_3gpuE5ELNS1_3repE0EEENS1_30default_config_static_selectorELNS0_4arch9wavefront6targetE0EEEvT1_.numbered_sgpr, 0
	.set _ZN7rocprim17ROCPRIM_400000_NS6detail17trampoline_kernelINS0_14default_configENS1_20scan_config_selectorIlEEZZNS1_9scan_implILNS1_25lookback_scan_determinismE0ELb0ELb0ES3_PlS8_lN6thrust23THRUST_200600_302600_NS4plusIvEElEEDaPvRmT3_T4_T5_mT6_P12ihipStream_tbENKUlT_T0_E_clISt17integral_constantIbLb0EESP_IbLb1EEEEDaSL_SM_EUlSL_E0_NS1_11comp_targetILNS1_3genE10ELNS1_11target_archE1201ELNS1_3gpuE5ELNS1_3repE0EEENS1_30default_config_static_selectorELNS0_4arch9wavefront6targetE0EEEvT1_.num_named_barrier, 0
	.set _ZN7rocprim17ROCPRIM_400000_NS6detail17trampoline_kernelINS0_14default_configENS1_20scan_config_selectorIlEEZZNS1_9scan_implILNS1_25lookback_scan_determinismE0ELb0ELb0ES3_PlS8_lN6thrust23THRUST_200600_302600_NS4plusIvEElEEDaPvRmT3_T4_T5_mT6_P12ihipStream_tbENKUlT_T0_E_clISt17integral_constantIbLb0EESP_IbLb1EEEEDaSL_SM_EUlSL_E0_NS1_11comp_targetILNS1_3genE10ELNS1_11target_archE1201ELNS1_3gpuE5ELNS1_3repE0EEENS1_30default_config_static_selectorELNS0_4arch9wavefront6targetE0EEEvT1_.private_seg_size, 0
	.set _ZN7rocprim17ROCPRIM_400000_NS6detail17trampoline_kernelINS0_14default_configENS1_20scan_config_selectorIlEEZZNS1_9scan_implILNS1_25lookback_scan_determinismE0ELb0ELb0ES3_PlS8_lN6thrust23THRUST_200600_302600_NS4plusIvEElEEDaPvRmT3_T4_T5_mT6_P12ihipStream_tbENKUlT_T0_E_clISt17integral_constantIbLb0EESP_IbLb1EEEEDaSL_SM_EUlSL_E0_NS1_11comp_targetILNS1_3genE10ELNS1_11target_archE1201ELNS1_3gpuE5ELNS1_3repE0EEENS1_30default_config_static_selectorELNS0_4arch9wavefront6targetE0EEEvT1_.uses_vcc, 0
	.set _ZN7rocprim17ROCPRIM_400000_NS6detail17trampoline_kernelINS0_14default_configENS1_20scan_config_selectorIlEEZZNS1_9scan_implILNS1_25lookback_scan_determinismE0ELb0ELb0ES3_PlS8_lN6thrust23THRUST_200600_302600_NS4plusIvEElEEDaPvRmT3_T4_T5_mT6_P12ihipStream_tbENKUlT_T0_E_clISt17integral_constantIbLb0EESP_IbLb1EEEEDaSL_SM_EUlSL_E0_NS1_11comp_targetILNS1_3genE10ELNS1_11target_archE1201ELNS1_3gpuE5ELNS1_3repE0EEENS1_30default_config_static_selectorELNS0_4arch9wavefront6targetE0EEEvT1_.uses_flat_scratch, 0
	.set _ZN7rocprim17ROCPRIM_400000_NS6detail17trampoline_kernelINS0_14default_configENS1_20scan_config_selectorIlEEZZNS1_9scan_implILNS1_25lookback_scan_determinismE0ELb0ELb0ES3_PlS8_lN6thrust23THRUST_200600_302600_NS4plusIvEElEEDaPvRmT3_T4_T5_mT6_P12ihipStream_tbENKUlT_T0_E_clISt17integral_constantIbLb0EESP_IbLb1EEEEDaSL_SM_EUlSL_E0_NS1_11comp_targetILNS1_3genE10ELNS1_11target_archE1201ELNS1_3gpuE5ELNS1_3repE0EEENS1_30default_config_static_selectorELNS0_4arch9wavefront6targetE0EEEvT1_.has_dyn_sized_stack, 0
	.set _ZN7rocprim17ROCPRIM_400000_NS6detail17trampoline_kernelINS0_14default_configENS1_20scan_config_selectorIlEEZZNS1_9scan_implILNS1_25lookback_scan_determinismE0ELb0ELb0ES3_PlS8_lN6thrust23THRUST_200600_302600_NS4plusIvEElEEDaPvRmT3_T4_T5_mT6_P12ihipStream_tbENKUlT_T0_E_clISt17integral_constantIbLb0EESP_IbLb1EEEEDaSL_SM_EUlSL_E0_NS1_11comp_targetILNS1_3genE10ELNS1_11target_archE1201ELNS1_3gpuE5ELNS1_3repE0EEENS1_30default_config_static_selectorELNS0_4arch9wavefront6targetE0EEEvT1_.has_recursion, 0
	.set _ZN7rocprim17ROCPRIM_400000_NS6detail17trampoline_kernelINS0_14default_configENS1_20scan_config_selectorIlEEZZNS1_9scan_implILNS1_25lookback_scan_determinismE0ELb0ELb0ES3_PlS8_lN6thrust23THRUST_200600_302600_NS4plusIvEElEEDaPvRmT3_T4_T5_mT6_P12ihipStream_tbENKUlT_T0_E_clISt17integral_constantIbLb0EESP_IbLb1EEEEDaSL_SM_EUlSL_E0_NS1_11comp_targetILNS1_3genE10ELNS1_11target_archE1201ELNS1_3gpuE5ELNS1_3repE0EEENS1_30default_config_static_selectorELNS0_4arch9wavefront6targetE0EEEvT1_.has_indirect_call, 0
	.section	.AMDGPU.csdata,"",@progbits
; Kernel info:
; codeLenInByte = 0
; TotalNumSgprs: 0
; NumVgprs: 0
; ScratchSize: 0
; MemoryBound: 0
; FloatMode: 240
; IeeeMode: 1
; LDSByteSize: 0 bytes/workgroup (compile time only)
; SGPRBlocks: 0
; VGPRBlocks: 0
; NumSGPRsForWavesPerEU: 1
; NumVGPRsForWavesPerEU: 1
; NamedBarCnt: 0
; Occupancy: 16
; WaveLimiterHint : 0
; COMPUTE_PGM_RSRC2:SCRATCH_EN: 0
; COMPUTE_PGM_RSRC2:USER_SGPR: 2
; COMPUTE_PGM_RSRC2:TRAP_HANDLER: 0
; COMPUTE_PGM_RSRC2:TGID_X_EN: 1
; COMPUTE_PGM_RSRC2:TGID_Y_EN: 0
; COMPUTE_PGM_RSRC2:TGID_Z_EN: 0
; COMPUTE_PGM_RSRC2:TIDIG_COMP_CNT: 0
	.section	.text._ZN7rocprim17ROCPRIM_400000_NS6detail17trampoline_kernelINS0_14default_configENS1_20scan_config_selectorIlEEZZNS1_9scan_implILNS1_25lookback_scan_determinismE0ELb0ELb0ES3_PlS8_lN6thrust23THRUST_200600_302600_NS4plusIvEElEEDaPvRmT3_T4_T5_mT6_P12ihipStream_tbENKUlT_T0_E_clISt17integral_constantIbLb0EESP_IbLb1EEEEDaSL_SM_EUlSL_E0_NS1_11comp_targetILNS1_3genE10ELNS1_11target_archE1200ELNS1_3gpuE4ELNS1_3repE0EEENS1_30default_config_static_selectorELNS0_4arch9wavefront6targetE0EEEvT1_,"axG",@progbits,_ZN7rocprim17ROCPRIM_400000_NS6detail17trampoline_kernelINS0_14default_configENS1_20scan_config_selectorIlEEZZNS1_9scan_implILNS1_25lookback_scan_determinismE0ELb0ELb0ES3_PlS8_lN6thrust23THRUST_200600_302600_NS4plusIvEElEEDaPvRmT3_T4_T5_mT6_P12ihipStream_tbENKUlT_T0_E_clISt17integral_constantIbLb0EESP_IbLb1EEEEDaSL_SM_EUlSL_E0_NS1_11comp_targetILNS1_3genE10ELNS1_11target_archE1200ELNS1_3gpuE4ELNS1_3repE0EEENS1_30default_config_static_selectorELNS0_4arch9wavefront6targetE0EEEvT1_,comdat
	.protected	_ZN7rocprim17ROCPRIM_400000_NS6detail17trampoline_kernelINS0_14default_configENS1_20scan_config_selectorIlEEZZNS1_9scan_implILNS1_25lookback_scan_determinismE0ELb0ELb0ES3_PlS8_lN6thrust23THRUST_200600_302600_NS4plusIvEElEEDaPvRmT3_T4_T5_mT6_P12ihipStream_tbENKUlT_T0_E_clISt17integral_constantIbLb0EESP_IbLb1EEEEDaSL_SM_EUlSL_E0_NS1_11comp_targetILNS1_3genE10ELNS1_11target_archE1200ELNS1_3gpuE4ELNS1_3repE0EEENS1_30default_config_static_selectorELNS0_4arch9wavefront6targetE0EEEvT1_ ; -- Begin function _ZN7rocprim17ROCPRIM_400000_NS6detail17trampoline_kernelINS0_14default_configENS1_20scan_config_selectorIlEEZZNS1_9scan_implILNS1_25lookback_scan_determinismE0ELb0ELb0ES3_PlS8_lN6thrust23THRUST_200600_302600_NS4plusIvEElEEDaPvRmT3_T4_T5_mT6_P12ihipStream_tbENKUlT_T0_E_clISt17integral_constantIbLb0EESP_IbLb1EEEEDaSL_SM_EUlSL_E0_NS1_11comp_targetILNS1_3genE10ELNS1_11target_archE1200ELNS1_3gpuE4ELNS1_3repE0EEENS1_30default_config_static_selectorELNS0_4arch9wavefront6targetE0EEEvT1_
	.globl	_ZN7rocprim17ROCPRIM_400000_NS6detail17trampoline_kernelINS0_14default_configENS1_20scan_config_selectorIlEEZZNS1_9scan_implILNS1_25lookback_scan_determinismE0ELb0ELb0ES3_PlS8_lN6thrust23THRUST_200600_302600_NS4plusIvEElEEDaPvRmT3_T4_T5_mT6_P12ihipStream_tbENKUlT_T0_E_clISt17integral_constantIbLb0EESP_IbLb1EEEEDaSL_SM_EUlSL_E0_NS1_11comp_targetILNS1_3genE10ELNS1_11target_archE1200ELNS1_3gpuE4ELNS1_3repE0EEENS1_30default_config_static_selectorELNS0_4arch9wavefront6targetE0EEEvT1_
	.p2align	8
	.type	_ZN7rocprim17ROCPRIM_400000_NS6detail17trampoline_kernelINS0_14default_configENS1_20scan_config_selectorIlEEZZNS1_9scan_implILNS1_25lookback_scan_determinismE0ELb0ELb0ES3_PlS8_lN6thrust23THRUST_200600_302600_NS4plusIvEElEEDaPvRmT3_T4_T5_mT6_P12ihipStream_tbENKUlT_T0_E_clISt17integral_constantIbLb0EESP_IbLb1EEEEDaSL_SM_EUlSL_E0_NS1_11comp_targetILNS1_3genE10ELNS1_11target_archE1200ELNS1_3gpuE4ELNS1_3repE0EEENS1_30default_config_static_selectorELNS0_4arch9wavefront6targetE0EEEvT1_,@function
_ZN7rocprim17ROCPRIM_400000_NS6detail17trampoline_kernelINS0_14default_configENS1_20scan_config_selectorIlEEZZNS1_9scan_implILNS1_25lookback_scan_determinismE0ELb0ELb0ES3_PlS8_lN6thrust23THRUST_200600_302600_NS4plusIvEElEEDaPvRmT3_T4_T5_mT6_P12ihipStream_tbENKUlT_T0_E_clISt17integral_constantIbLb0EESP_IbLb1EEEEDaSL_SM_EUlSL_E0_NS1_11comp_targetILNS1_3genE10ELNS1_11target_archE1200ELNS1_3gpuE4ELNS1_3repE0EEENS1_30default_config_static_selectorELNS0_4arch9wavefront6targetE0EEEvT1_: ; @_ZN7rocprim17ROCPRIM_400000_NS6detail17trampoline_kernelINS0_14default_configENS1_20scan_config_selectorIlEEZZNS1_9scan_implILNS1_25lookback_scan_determinismE0ELb0ELb0ES3_PlS8_lN6thrust23THRUST_200600_302600_NS4plusIvEElEEDaPvRmT3_T4_T5_mT6_P12ihipStream_tbENKUlT_T0_E_clISt17integral_constantIbLb0EESP_IbLb1EEEEDaSL_SM_EUlSL_E0_NS1_11comp_targetILNS1_3genE10ELNS1_11target_archE1200ELNS1_3gpuE4ELNS1_3repE0EEENS1_30default_config_static_selectorELNS0_4arch9wavefront6targetE0EEEvT1_
; %bb.0:
	.section	.rodata,"a",@progbits
	.p2align	6, 0x0
	.amdhsa_kernel _ZN7rocprim17ROCPRIM_400000_NS6detail17trampoline_kernelINS0_14default_configENS1_20scan_config_selectorIlEEZZNS1_9scan_implILNS1_25lookback_scan_determinismE0ELb0ELb0ES3_PlS8_lN6thrust23THRUST_200600_302600_NS4plusIvEElEEDaPvRmT3_T4_T5_mT6_P12ihipStream_tbENKUlT_T0_E_clISt17integral_constantIbLb0EESP_IbLb1EEEEDaSL_SM_EUlSL_E0_NS1_11comp_targetILNS1_3genE10ELNS1_11target_archE1200ELNS1_3gpuE4ELNS1_3repE0EEENS1_30default_config_static_selectorELNS0_4arch9wavefront6targetE0EEEvT1_
		.amdhsa_group_segment_fixed_size 0
		.amdhsa_private_segment_fixed_size 0
		.amdhsa_kernarg_size 40
		.amdhsa_user_sgpr_count 2
		.amdhsa_user_sgpr_dispatch_ptr 0
		.amdhsa_user_sgpr_queue_ptr 0
		.amdhsa_user_sgpr_kernarg_segment_ptr 1
		.amdhsa_user_sgpr_dispatch_id 0
		.amdhsa_user_sgpr_kernarg_preload_length 0
		.amdhsa_user_sgpr_kernarg_preload_offset 0
		.amdhsa_user_sgpr_private_segment_size 0
		.amdhsa_wavefront_size32 1
		.amdhsa_uses_dynamic_stack 0
		.amdhsa_enable_private_segment 0
		.amdhsa_system_sgpr_workgroup_id_x 1
		.amdhsa_system_sgpr_workgroup_id_y 0
		.amdhsa_system_sgpr_workgroup_id_z 0
		.amdhsa_system_sgpr_workgroup_info 0
		.amdhsa_system_vgpr_workitem_id 0
		.amdhsa_next_free_vgpr 1
		.amdhsa_next_free_sgpr 1
		.amdhsa_named_barrier_count 0
		.amdhsa_reserve_vcc 0
		.amdhsa_float_round_mode_32 0
		.amdhsa_float_round_mode_16_64 0
		.amdhsa_float_denorm_mode_32 3
		.amdhsa_float_denorm_mode_16_64 3
		.amdhsa_fp16_overflow 0
		.amdhsa_memory_ordered 1
		.amdhsa_forward_progress 1
		.amdhsa_inst_pref_size 0
		.amdhsa_round_robin_scheduling 0
		.amdhsa_exception_fp_ieee_invalid_op 0
		.amdhsa_exception_fp_denorm_src 0
		.amdhsa_exception_fp_ieee_div_zero 0
		.amdhsa_exception_fp_ieee_overflow 0
		.amdhsa_exception_fp_ieee_underflow 0
		.amdhsa_exception_fp_ieee_inexact 0
		.amdhsa_exception_int_div_zero 0
	.end_amdhsa_kernel
	.section	.text._ZN7rocprim17ROCPRIM_400000_NS6detail17trampoline_kernelINS0_14default_configENS1_20scan_config_selectorIlEEZZNS1_9scan_implILNS1_25lookback_scan_determinismE0ELb0ELb0ES3_PlS8_lN6thrust23THRUST_200600_302600_NS4plusIvEElEEDaPvRmT3_T4_T5_mT6_P12ihipStream_tbENKUlT_T0_E_clISt17integral_constantIbLb0EESP_IbLb1EEEEDaSL_SM_EUlSL_E0_NS1_11comp_targetILNS1_3genE10ELNS1_11target_archE1200ELNS1_3gpuE4ELNS1_3repE0EEENS1_30default_config_static_selectorELNS0_4arch9wavefront6targetE0EEEvT1_,"axG",@progbits,_ZN7rocprim17ROCPRIM_400000_NS6detail17trampoline_kernelINS0_14default_configENS1_20scan_config_selectorIlEEZZNS1_9scan_implILNS1_25lookback_scan_determinismE0ELb0ELb0ES3_PlS8_lN6thrust23THRUST_200600_302600_NS4plusIvEElEEDaPvRmT3_T4_T5_mT6_P12ihipStream_tbENKUlT_T0_E_clISt17integral_constantIbLb0EESP_IbLb1EEEEDaSL_SM_EUlSL_E0_NS1_11comp_targetILNS1_3genE10ELNS1_11target_archE1200ELNS1_3gpuE4ELNS1_3repE0EEENS1_30default_config_static_selectorELNS0_4arch9wavefront6targetE0EEEvT1_,comdat
.Lfunc_end156:
	.size	_ZN7rocprim17ROCPRIM_400000_NS6detail17trampoline_kernelINS0_14default_configENS1_20scan_config_selectorIlEEZZNS1_9scan_implILNS1_25lookback_scan_determinismE0ELb0ELb0ES3_PlS8_lN6thrust23THRUST_200600_302600_NS4plusIvEElEEDaPvRmT3_T4_T5_mT6_P12ihipStream_tbENKUlT_T0_E_clISt17integral_constantIbLb0EESP_IbLb1EEEEDaSL_SM_EUlSL_E0_NS1_11comp_targetILNS1_3genE10ELNS1_11target_archE1200ELNS1_3gpuE4ELNS1_3repE0EEENS1_30default_config_static_selectorELNS0_4arch9wavefront6targetE0EEEvT1_, .Lfunc_end156-_ZN7rocprim17ROCPRIM_400000_NS6detail17trampoline_kernelINS0_14default_configENS1_20scan_config_selectorIlEEZZNS1_9scan_implILNS1_25lookback_scan_determinismE0ELb0ELb0ES3_PlS8_lN6thrust23THRUST_200600_302600_NS4plusIvEElEEDaPvRmT3_T4_T5_mT6_P12ihipStream_tbENKUlT_T0_E_clISt17integral_constantIbLb0EESP_IbLb1EEEEDaSL_SM_EUlSL_E0_NS1_11comp_targetILNS1_3genE10ELNS1_11target_archE1200ELNS1_3gpuE4ELNS1_3repE0EEENS1_30default_config_static_selectorELNS0_4arch9wavefront6targetE0EEEvT1_
                                        ; -- End function
	.set _ZN7rocprim17ROCPRIM_400000_NS6detail17trampoline_kernelINS0_14default_configENS1_20scan_config_selectorIlEEZZNS1_9scan_implILNS1_25lookback_scan_determinismE0ELb0ELb0ES3_PlS8_lN6thrust23THRUST_200600_302600_NS4plusIvEElEEDaPvRmT3_T4_T5_mT6_P12ihipStream_tbENKUlT_T0_E_clISt17integral_constantIbLb0EESP_IbLb1EEEEDaSL_SM_EUlSL_E0_NS1_11comp_targetILNS1_3genE10ELNS1_11target_archE1200ELNS1_3gpuE4ELNS1_3repE0EEENS1_30default_config_static_selectorELNS0_4arch9wavefront6targetE0EEEvT1_.num_vgpr, 0
	.set _ZN7rocprim17ROCPRIM_400000_NS6detail17trampoline_kernelINS0_14default_configENS1_20scan_config_selectorIlEEZZNS1_9scan_implILNS1_25lookback_scan_determinismE0ELb0ELb0ES3_PlS8_lN6thrust23THRUST_200600_302600_NS4plusIvEElEEDaPvRmT3_T4_T5_mT6_P12ihipStream_tbENKUlT_T0_E_clISt17integral_constantIbLb0EESP_IbLb1EEEEDaSL_SM_EUlSL_E0_NS1_11comp_targetILNS1_3genE10ELNS1_11target_archE1200ELNS1_3gpuE4ELNS1_3repE0EEENS1_30default_config_static_selectorELNS0_4arch9wavefront6targetE0EEEvT1_.num_agpr, 0
	.set _ZN7rocprim17ROCPRIM_400000_NS6detail17trampoline_kernelINS0_14default_configENS1_20scan_config_selectorIlEEZZNS1_9scan_implILNS1_25lookback_scan_determinismE0ELb0ELb0ES3_PlS8_lN6thrust23THRUST_200600_302600_NS4plusIvEElEEDaPvRmT3_T4_T5_mT6_P12ihipStream_tbENKUlT_T0_E_clISt17integral_constantIbLb0EESP_IbLb1EEEEDaSL_SM_EUlSL_E0_NS1_11comp_targetILNS1_3genE10ELNS1_11target_archE1200ELNS1_3gpuE4ELNS1_3repE0EEENS1_30default_config_static_selectorELNS0_4arch9wavefront6targetE0EEEvT1_.numbered_sgpr, 0
	.set _ZN7rocprim17ROCPRIM_400000_NS6detail17trampoline_kernelINS0_14default_configENS1_20scan_config_selectorIlEEZZNS1_9scan_implILNS1_25lookback_scan_determinismE0ELb0ELb0ES3_PlS8_lN6thrust23THRUST_200600_302600_NS4plusIvEElEEDaPvRmT3_T4_T5_mT6_P12ihipStream_tbENKUlT_T0_E_clISt17integral_constantIbLb0EESP_IbLb1EEEEDaSL_SM_EUlSL_E0_NS1_11comp_targetILNS1_3genE10ELNS1_11target_archE1200ELNS1_3gpuE4ELNS1_3repE0EEENS1_30default_config_static_selectorELNS0_4arch9wavefront6targetE0EEEvT1_.num_named_barrier, 0
	.set _ZN7rocprim17ROCPRIM_400000_NS6detail17trampoline_kernelINS0_14default_configENS1_20scan_config_selectorIlEEZZNS1_9scan_implILNS1_25lookback_scan_determinismE0ELb0ELb0ES3_PlS8_lN6thrust23THRUST_200600_302600_NS4plusIvEElEEDaPvRmT3_T4_T5_mT6_P12ihipStream_tbENKUlT_T0_E_clISt17integral_constantIbLb0EESP_IbLb1EEEEDaSL_SM_EUlSL_E0_NS1_11comp_targetILNS1_3genE10ELNS1_11target_archE1200ELNS1_3gpuE4ELNS1_3repE0EEENS1_30default_config_static_selectorELNS0_4arch9wavefront6targetE0EEEvT1_.private_seg_size, 0
	.set _ZN7rocprim17ROCPRIM_400000_NS6detail17trampoline_kernelINS0_14default_configENS1_20scan_config_selectorIlEEZZNS1_9scan_implILNS1_25lookback_scan_determinismE0ELb0ELb0ES3_PlS8_lN6thrust23THRUST_200600_302600_NS4plusIvEElEEDaPvRmT3_T4_T5_mT6_P12ihipStream_tbENKUlT_T0_E_clISt17integral_constantIbLb0EESP_IbLb1EEEEDaSL_SM_EUlSL_E0_NS1_11comp_targetILNS1_3genE10ELNS1_11target_archE1200ELNS1_3gpuE4ELNS1_3repE0EEENS1_30default_config_static_selectorELNS0_4arch9wavefront6targetE0EEEvT1_.uses_vcc, 0
	.set _ZN7rocprim17ROCPRIM_400000_NS6detail17trampoline_kernelINS0_14default_configENS1_20scan_config_selectorIlEEZZNS1_9scan_implILNS1_25lookback_scan_determinismE0ELb0ELb0ES3_PlS8_lN6thrust23THRUST_200600_302600_NS4plusIvEElEEDaPvRmT3_T4_T5_mT6_P12ihipStream_tbENKUlT_T0_E_clISt17integral_constantIbLb0EESP_IbLb1EEEEDaSL_SM_EUlSL_E0_NS1_11comp_targetILNS1_3genE10ELNS1_11target_archE1200ELNS1_3gpuE4ELNS1_3repE0EEENS1_30default_config_static_selectorELNS0_4arch9wavefront6targetE0EEEvT1_.uses_flat_scratch, 0
	.set _ZN7rocprim17ROCPRIM_400000_NS6detail17trampoline_kernelINS0_14default_configENS1_20scan_config_selectorIlEEZZNS1_9scan_implILNS1_25lookback_scan_determinismE0ELb0ELb0ES3_PlS8_lN6thrust23THRUST_200600_302600_NS4plusIvEElEEDaPvRmT3_T4_T5_mT6_P12ihipStream_tbENKUlT_T0_E_clISt17integral_constantIbLb0EESP_IbLb1EEEEDaSL_SM_EUlSL_E0_NS1_11comp_targetILNS1_3genE10ELNS1_11target_archE1200ELNS1_3gpuE4ELNS1_3repE0EEENS1_30default_config_static_selectorELNS0_4arch9wavefront6targetE0EEEvT1_.has_dyn_sized_stack, 0
	.set _ZN7rocprim17ROCPRIM_400000_NS6detail17trampoline_kernelINS0_14default_configENS1_20scan_config_selectorIlEEZZNS1_9scan_implILNS1_25lookback_scan_determinismE0ELb0ELb0ES3_PlS8_lN6thrust23THRUST_200600_302600_NS4plusIvEElEEDaPvRmT3_T4_T5_mT6_P12ihipStream_tbENKUlT_T0_E_clISt17integral_constantIbLb0EESP_IbLb1EEEEDaSL_SM_EUlSL_E0_NS1_11comp_targetILNS1_3genE10ELNS1_11target_archE1200ELNS1_3gpuE4ELNS1_3repE0EEENS1_30default_config_static_selectorELNS0_4arch9wavefront6targetE0EEEvT1_.has_recursion, 0
	.set _ZN7rocprim17ROCPRIM_400000_NS6detail17trampoline_kernelINS0_14default_configENS1_20scan_config_selectorIlEEZZNS1_9scan_implILNS1_25lookback_scan_determinismE0ELb0ELb0ES3_PlS8_lN6thrust23THRUST_200600_302600_NS4plusIvEElEEDaPvRmT3_T4_T5_mT6_P12ihipStream_tbENKUlT_T0_E_clISt17integral_constantIbLb0EESP_IbLb1EEEEDaSL_SM_EUlSL_E0_NS1_11comp_targetILNS1_3genE10ELNS1_11target_archE1200ELNS1_3gpuE4ELNS1_3repE0EEENS1_30default_config_static_selectorELNS0_4arch9wavefront6targetE0EEEvT1_.has_indirect_call, 0
	.section	.AMDGPU.csdata,"",@progbits
; Kernel info:
; codeLenInByte = 0
; TotalNumSgprs: 0
; NumVgprs: 0
; ScratchSize: 0
; MemoryBound: 0
; FloatMode: 240
; IeeeMode: 1
; LDSByteSize: 0 bytes/workgroup (compile time only)
; SGPRBlocks: 0
; VGPRBlocks: 0
; NumSGPRsForWavesPerEU: 1
; NumVGPRsForWavesPerEU: 1
; NamedBarCnt: 0
; Occupancy: 16
; WaveLimiterHint : 0
; COMPUTE_PGM_RSRC2:SCRATCH_EN: 0
; COMPUTE_PGM_RSRC2:USER_SGPR: 2
; COMPUTE_PGM_RSRC2:TRAP_HANDLER: 0
; COMPUTE_PGM_RSRC2:TGID_X_EN: 1
; COMPUTE_PGM_RSRC2:TGID_Y_EN: 0
; COMPUTE_PGM_RSRC2:TGID_Z_EN: 0
; COMPUTE_PGM_RSRC2:TIDIG_COMP_CNT: 0
	.section	.text._ZN7rocprim17ROCPRIM_400000_NS6detail17trampoline_kernelINS0_14default_configENS1_20scan_config_selectorIlEEZZNS1_9scan_implILNS1_25lookback_scan_determinismE0ELb0ELb0ES3_PlS8_lN6thrust23THRUST_200600_302600_NS4plusIvEElEEDaPvRmT3_T4_T5_mT6_P12ihipStream_tbENKUlT_T0_E_clISt17integral_constantIbLb0EESP_IbLb1EEEEDaSL_SM_EUlSL_E0_NS1_11comp_targetILNS1_3genE9ELNS1_11target_archE1100ELNS1_3gpuE3ELNS1_3repE0EEENS1_30default_config_static_selectorELNS0_4arch9wavefront6targetE0EEEvT1_,"axG",@progbits,_ZN7rocprim17ROCPRIM_400000_NS6detail17trampoline_kernelINS0_14default_configENS1_20scan_config_selectorIlEEZZNS1_9scan_implILNS1_25lookback_scan_determinismE0ELb0ELb0ES3_PlS8_lN6thrust23THRUST_200600_302600_NS4plusIvEElEEDaPvRmT3_T4_T5_mT6_P12ihipStream_tbENKUlT_T0_E_clISt17integral_constantIbLb0EESP_IbLb1EEEEDaSL_SM_EUlSL_E0_NS1_11comp_targetILNS1_3genE9ELNS1_11target_archE1100ELNS1_3gpuE3ELNS1_3repE0EEENS1_30default_config_static_selectorELNS0_4arch9wavefront6targetE0EEEvT1_,comdat
	.protected	_ZN7rocprim17ROCPRIM_400000_NS6detail17trampoline_kernelINS0_14default_configENS1_20scan_config_selectorIlEEZZNS1_9scan_implILNS1_25lookback_scan_determinismE0ELb0ELb0ES3_PlS8_lN6thrust23THRUST_200600_302600_NS4plusIvEElEEDaPvRmT3_T4_T5_mT6_P12ihipStream_tbENKUlT_T0_E_clISt17integral_constantIbLb0EESP_IbLb1EEEEDaSL_SM_EUlSL_E0_NS1_11comp_targetILNS1_3genE9ELNS1_11target_archE1100ELNS1_3gpuE3ELNS1_3repE0EEENS1_30default_config_static_selectorELNS0_4arch9wavefront6targetE0EEEvT1_ ; -- Begin function _ZN7rocprim17ROCPRIM_400000_NS6detail17trampoline_kernelINS0_14default_configENS1_20scan_config_selectorIlEEZZNS1_9scan_implILNS1_25lookback_scan_determinismE0ELb0ELb0ES3_PlS8_lN6thrust23THRUST_200600_302600_NS4plusIvEElEEDaPvRmT3_T4_T5_mT6_P12ihipStream_tbENKUlT_T0_E_clISt17integral_constantIbLb0EESP_IbLb1EEEEDaSL_SM_EUlSL_E0_NS1_11comp_targetILNS1_3genE9ELNS1_11target_archE1100ELNS1_3gpuE3ELNS1_3repE0EEENS1_30default_config_static_selectorELNS0_4arch9wavefront6targetE0EEEvT1_
	.globl	_ZN7rocprim17ROCPRIM_400000_NS6detail17trampoline_kernelINS0_14default_configENS1_20scan_config_selectorIlEEZZNS1_9scan_implILNS1_25lookback_scan_determinismE0ELb0ELb0ES3_PlS8_lN6thrust23THRUST_200600_302600_NS4plusIvEElEEDaPvRmT3_T4_T5_mT6_P12ihipStream_tbENKUlT_T0_E_clISt17integral_constantIbLb0EESP_IbLb1EEEEDaSL_SM_EUlSL_E0_NS1_11comp_targetILNS1_3genE9ELNS1_11target_archE1100ELNS1_3gpuE3ELNS1_3repE0EEENS1_30default_config_static_selectorELNS0_4arch9wavefront6targetE0EEEvT1_
	.p2align	8
	.type	_ZN7rocprim17ROCPRIM_400000_NS6detail17trampoline_kernelINS0_14default_configENS1_20scan_config_selectorIlEEZZNS1_9scan_implILNS1_25lookback_scan_determinismE0ELb0ELb0ES3_PlS8_lN6thrust23THRUST_200600_302600_NS4plusIvEElEEDaPvRmT3_T4_T5_mT6_P12ihipStream_tbENKUlT_T0_E_clISt17integral_constantIbLb0EESP_IbLb1EEEEDaSL_SM_EUlSL_E0_NS1_11comp_targetILNS1_3genE9ELNS1_11target_archE1100ELNS1_3gpuE3ELNS1_3repE0EEENS1_30default_config_static_selectorELNS0_4arch9wavefront6targetE0EEEvT1_,@function
_ZN7rocprim17ROCPRIM_400000_NS6detail17trampoline_kernelINS0_14default_configENS1_20scan_config_selectorIlEEZZNS1_9scan_implILNS1_25lookback_scan_determinismE0ELb0ELb0ES3_PlS8_lN6thrust23THRUST_200600_302600_NS4plusIvEElEEDaPvRmT3_T4_T5_mT6_P12ihipStream_tbENKUlT_T0_E_clISt17integral_constantIbLb0EESP_IbLb1EEEEDaSL_SM_EUlSL_E0_NS1_11comp_targetILNS1_3genE9ELNS1_11target_archE1100ELNS1_3gpuE3ELNS1_3repE0EEENS1_30default_config_static_selectorELNS0_4arch9wavefront6targetE0EEEvT1_: ; @_ZN7rocprim17ROCPRIM_400000_NS6detail17trampoline_kernelINS0_14default_configENS1_20scan_config_selectorIlEEZZNS1_9scan_implILNS1_25lookback_scan_determinismE0ELb0ELb0ES3_PlS8_lN6thrust23THRUST_200600_302600_NS4plusIvEElEEDaPvRmT3_T4_T5_mT6_P12ihipStream_tbENKUlT_T0_E_clISt17integral_constantIbLb0EESP_IbLb1EEEEDaSL_SM_EUlSL_E0_NS1_11comp_targetILNS1_3genE9ELNS1_11target_archE1100ELNS1_3gpuE3ELNS1_3repE0EEENS1_30default_config_static_selectorELNS0_4arch9wavefront6targetE0EEEvT1_
; %bb.0:
	.section	.rodata,"a",@progbits
	.p2align	6, 0x0
	.amdhsa_kernel _ZN7rocprim17ROCPRIM_400000_NS6detail17trampoline_kernelINS0_14default_configENS1_20scan_config_selectorIlEEZZNS1_9scan_implILNS1_25lookback_scan_determinismE0ELb0ELb0ES3_PlS8_lN6thrust23THRUST_200600_302600_NS4plusIvEElEEDaPvRmT3_T4_T5_mT6_P12ihipStream_tbENKUlT_T0_E_clISt17integral_constantIbLb0EESP_IbLb1EEEEDaSL_SM_EUlSL_E0_NS1_11comp_targetILNS1_3genE9ELNS1_11target_archE1100ELNS1_3gpuE3ELNS1_3repE0EEENS1_30default_config_static_selectorELNS0_4arch9wavefront6targetE0EEEvT1_
		.amdhsa_group_segment_fixed_size 0
		.amdhsa_private_segment_fixed_size 0
		.amdhsa_kernarg_size 40
		.amdhsa_user_sgpr_count 2
		.amdhsa_user_sgpr_dispatch_ptr 0
		.amdhsa_user_sgpr_queue_ptr 0
		.amdhsa_user_sgpr_kernarg_segment_ptr 1
		.amdhsa_user_sgpr_dispatch_id 0
		.amdhsa_user_sgpr_kernarg_preload_length 0
		.amdhsa_user_sgpr_kernarg_preload_offset 0
		.amdhsa_user_sgpr_private_segment_size 0
		.amdhsa_wavefront_size32 1
		.amdhsa_uses_dynamic_stack 0
		.amdhsa_enable_private_segment 0
		.amdhsa_system_sgpr_workgroup_id_x 1
		.amdhsa_system_sgpr_workgroup_id_y 0
		.amdhsa_system_sgpr_workgroup_id_z 0
		.amdhsa_system_sgpr_workgroup_info 0
		.amdhsa_system_vgpr_workitem_id 0
		.amdhsa_next_free_vgpr 1
		.amdhsa_next_free_sgpr 1
		.amdhsa_named_barrier_count 0
		.amdhsa_reserve_vcc 0
		.amdhsa_float_round_mode_32 0
		.amdhsa_float_round_mode_16_64 0
		.amdhsa_float_denorm_mode_32 3
		.amdhsa_float_denorm_mode_16_64 3
		.amdhsa_fp16_overflow 0
		.amdhsa_memory_ordered 1
		.amdhsa_forward_progress 1
		.amdhsa_inst_pref_size 0
		.amdhsa_round_robin_scheduling 0
		.amdhsa_exception_fp_ieee_invalid_op 0
		.amdhsa_exception_fp_denorm_src 0
		.amdhsa_exception_fp_ieee_div_zero 0
		.amdhsa_exception_fp_ieee_overflow 0
		.amdhsa_exception_fp_ieee_underflow 0
		.amdhsa_exception_fp_ieee_inexact 0
		.amdhsa_exception_int_div_zero 0
	.end_amdhsa_kernel
	.section	.text._ZN7rocprim17ROCPRIM_400000_NS6detail17trampoline_kernelINS0_14default_configENS1_20scan_config_selectorIlEEZZNS1_9scan_implILNS1_25lookback_scan_determinismE0ELb0ELb0ES3_PlS8_lN6thrust23THRUST_200600_302600_NS4plusIvEElEEDaPvRmT3_T4_T5_mT6_P12ihipStream_tbENKUlT_T0_E_clISt17integral_constantIbLb0EESP_IbLb1EEEEDaSL_SM_EUlSL_E0_NS1_11comp_targetILNS1_3genE9ELNS1_11target_archE1100ELNS1_3gpuE3ELNS1_3repE0EEENS1_30default_config_static_selectorELNS0_4arch9wavefront6targetE0EEEvT1_,"axG",@progbits,_ZN7rocprim17ROCPRIM_400000_NS6detail17trampoline_kernelINS0_14default_configENS1_20scan_config_selectorIlEEZZNS1_9scan_implILNS1_25lookback_scan_determinismE0ELb0ELb0ES3_PlS8_lN6thrust23THRUST_200600_302600_NS4plusIvEElEEDaPvRmT3_T4_T5_mT6_P12ihipStream_tbENKUlT_T0_E_clISt17integral_constantIbLb0EESP_IbLb1EEEEDaSL_SM_EUlSL_E0_NS1_11comp_targetILNS1_3genE9ELNS1_11target_archE1100ELNS1_3gpuE3ELNS1_3repE0EEENS1_30default_config_static_selectorELNS0_4arch9wavefront6targetE0EEEvT1_,comdat
.Lfunc_end157:
	.size	_ZN7rocprim17ROCPRIM_400000_NS6detail17trampoline_kernelINS0_14default_configENS1_20scan_config_selectorIlEEZZNS1_9scan_implILNS1_25lookback_scan_determinismE0ELb0ELb0ES3_PlS8_lN6thrust23THRUST_200600_302600_NS4plusIvEElEEDaPvRmT3_T4_T5_mT6_P12ihipStream_tbENKUlT_T0_E_clISt17integral_constantIbLb0EESP_IbLb1EEEEDaSL_SM_EUlSL_E0_NS1_11comp_targetILNS1_3genE9ELNS1_11target_archE1100ELNS1_3gpuE3ELNS1_3repE0EEENS1_30default_config_static_selectorELNS0_4arch9wavefront6targetE0EEEvT1_, .Lfunc_end157-_ZN7rocprim17ROCPRIM_400000_NS6detail17trampoline_kernelINS0_14default_configENS1_20scan_config_selectorIlEEZZNS1_9scan_implILNS1_25lookback_scan_determinismE0ELb0ELb0ES3_PlS8_lN6thrust23THRUST_200600_302600_NS4plusIvEElEEDaPvRmT3_T4_T5_mT6_P12ihipStream_tbENKUlT_T0_E_clISt17integral_constantIbLb0EESP_IbLb1EEEEDaSL_SM_EUlSL_E0_NS1_11comp_targetILNS1_3genE9ELNS1_11target_archE1100ELNS1_3gpuE3ELNS1_3repE0EEENS1_30default_config_static_selectorELNS0_4arch9wavefront6targetE0EEEvT1_
                                        ; -- End function
	.set _ZN7rocprim17ROCPRIM_400000_NS6detail17trampoline_kernelINS0_14default_configENS1_20scan_config_selectorIlEEZZNS1_9scan_implILNS1_25lookback_scan_determinismE0ELb0ELb0ES3_PlS8_lN6thrust23THRUST_200600_302600_NS4plusIvEElEEDaPvRmT3_T4_T5_mT6_P12ihipStream_tbENKUlT_T0_E_clISt17integral_constantIbLb0EESP_IbLb1EEEEDaSL_SM_EUlSL_E0_NS1_11comp_targetILNS1_3genE9ELNS1_11target_archE1100ELNS1_3gpuE3ELNS1_3repE0EEENS1_30default_config_static_selectorELNS0_4arch9wavefront6targetE0EEEvT1_.num_vgpr, 0
	.set _ZN7rocprim17ROCPRIM_400000_NS6detail17trampoline_kernelINS0_14default_configENS1_20scan_config_selectorIlEEZZNS1_9scan_implILNS1_25lookback_scan_determinismE0ELb0ELb0ES3_PlS8_lN6thrust23THRUST_200600_302600_NS4plusIvEElEEDaPvRmT3_T4_T5_mT6_P12ihipStream_tbENKUlT_T0_E_clISt17integral_constantIbLb0EESP_IbLb1EEEEDaSL_SM_EUlSL_E0_NS1_11comp_targetILNS1_3genE9ELNS1_11target_archE1100ELNS1_3gpuE3ELNS1_3repE0EEENS1_30default_config_static_selectorELNS0_4arch9wavefront6targetE0EEEvT1_.num_agpr, 0
	.set _ZN7rocprim17ROCPRIM_400000_NS6detail17trampoline_kernelINS0_14default_configENS1_20scan_config_selectorIlEEZZNS1_9scan_implILNS1_25lookback_scan_determinismE0ELb0ELb0ES3_PlS8_lN6thrust23THRUST_200600_302600_NS4plusIvEElEEDaPvRmT3_T4_T5_mT6_P12ihipStream_tbENKUlT_T0_E_clISt17integral_constantIbLb0EESP_IbLb1EEEEDaSL_SM_EUlSL_E0_NS1_11comp_targetILNS1_3genE9ELNS1_11target_archE1100ELNS1_3gpuE3ELNS1_3repE0EEENS1_30default_config_static_selectorELNS0_4arch9wavefront6targetE0EEEvT1_.numbered_sgpr, 0
	.set _ZN7rocprim17ROCPRIM_400000_NS6detail17trampoline_kernelINS0_14default_configENS1_20scan_config_selectorIlEEZZNS1_9scan_implILNS1_25lookback_scan_determinismE0ELb0ELb0ES3_PlS8_lN6thrust23THRUST_200600_302600_NS4plusIvEElEEDaPvRmT3_T4_T5_mT6_P12ihipStream_tbENKUlT_T0_E_clISt17integral_constantIbLb0EESP_IbLb1EEEEDaSL_SM_EUlSL_E0_NS1_11comp_targetILNS1_3genE9ELNS1_11target_archE1100ELNS1_3gpuE3ELNS1_3repE0EEENS1_30default_config_static_selectorELNS0_4arch9wavefront6targetE0EEEvT1_.num_named_barrier, 0
	.set _ZN7rocprim17ROCPRIM_400000_NS6detail17trampoline_kernelINS0_14default_configENS1_20scan_config_selectorIlEEZZNS1_9scan_implILNS1_25lookback_scan_determinismE0ELb0ELb0ES3_PlS8_lN6thrust23THRUST_200600_302600_NS4plusIvEElEEDaPvRmT3_T4_T5_mT6_P12ihipStream_tbENKUlT_T0_E_clISt17integral_constantIbLb0EESP_IbLb1EEEEDaSL_SM_EUlSL_E0_NS1_11comp_targetILNS1_3genE9ELNS1_11target_archE1100ELNS1_3gpuE3ELNS1_3repE0EEENS1_30default_config_static_selectorELNS0_4arch9wavefront6targetE0EEEvT1_.private_seg_size, 0
	.set _ZN7rocprim17ROCPRIM_400000_NS6detail17trampoline_kernelINS0_14default_configENS1_20scan_config_selectorIlEEZZNS1_9scan_implILNS1_25lookback_scan_determinismE0ELb0ELb0ES3_PlS8_lN6thrust23THRUST_200600_302600_NS4plusIvEElEEDaPvRmT3_T4_T5_mT6_P12ihipStream_tbENKUlT_T0_E_clISt17integral_constantIbLb0EESP_IbLb1EEEEDaSL_SM_EUlSL_E0_NS1_11comp_targetILNS1_3genE9ELNS1_11target_archE1100ELNS1_3gpuE3ELNS1_3repE0EEENS1_30default_config_static_selectorELNS0_4arch9wavefront6targetE0EEEvT1_.uses_vcc, 0
	.set _ZN7rocprim17ROCPRIM_400000_NS6detail17trampoline_kernelINS0_14default_configENS1_20scan_config_selectorIlEEZZNS1_9scan_implILNS1_25lookback_scan_determinismE0ELb0ELb0ES3_PlS8_lN6thrust23THRUST_200600_302600_NS4plusIvEElEEDaPvRmT3_T4_T5_mT6_P12ihipStream_tbENKUlT_T0_E_clISt17integral_constantIbLb0EESP_IbLb1EEEEDaSL_SM_EUlSL_E0_NS1_11comp_targetILNS1_3genE9ELNS1_11target_archE1100ELNS1_3gpuE3ELNS1_3repE0EEENS1_30default_config_static_selectorELNS0_4arch9wavefront6targetE0EEEvT1_.uses_flat_scratch, 0
	.set _ZN7rocprim17ROCPRIM_400000_NS6detail17trampoline_kernelINS0_14default_configENS1_20scan_config_selectorIlEEZZNS1_9scan_implILNS1_25lookback_scan_determinismE0ELb0ELb0ES3_PlS8_lN6thrust23THRUST_200600_302600_NS4plusIvEElEEDaPvRmT3_T4_T5_mT6_P12ihipStream_tbENKUlT_T0_E_clISt17integral_constantIbLb0EESP_IbLb1EEEEDaSL_SM_EUlSL_E0_NS1_11comp_targetILNS1_3genE9ELNS1_11target_archE1100ELNS1_3gpuE3ELNS1_3repE0EEENS1_30default_config_static_selectorELNS0_4arch9wavefront6targetE0EEEvT1_.has_dyn_sized_stack, 0
	.set _ZN7rocprim17ROCPRIM_400000_NS6detail17trampoline_kernelINS0_14default_configENS1_20scan_config_selectorIlEEZZNS1_9scan_implILNS1_25lookback_scan_determinismE0ELb0ELb0ES3_PlS8_lN6thrust23THRUST_200600_302600_NS4plusIvEElEEDaPvRmT3_T4_T5_mT6_P12ihipStream_tbENKUlT_T0_E_clISt17integral_constantIbLb0EESP_IbLb1EEEEDaSL_SM_EUlSL_E0_NS1_11comp_targetILNS1_3genE9ELNS1_11target_archE1100ELNS1_3gpuE3ELNS1_3repE0EEENS1_30default_config_static_selectorELNS0_4arch9wavefront6targetE0EEEvT1_.has_recursion, 0
	.set _ZN7rocprim17ROCPRIM_400000_NS6detail17trampoline_kernelINS0_14default_configENS1_20scan_config_selectorIlEEZZNS1_9scan_implILNS1_25lookback_scan_determinismE0ELb0ELb0ES3_PlS8_lN6thrust23THRUST_200600_302600_NS4plusIvEElEEDaPvRmT3_T4_T5_mT6_P12ihipStream_tbENKUlT_T0_E_clISt17integral_constantIbLb0EESP_IbLb1EEEEDaSL_SM_EUlSL_E0_NS1_11comp_targetILNS1_3genE9ELNS1_11target_archE1100ELNS1_3gpuE3ELNS1_3repE0EEENS1_30default_config_static_selectorELNS0_4arch9wavefront6targetE0EEEvT1_.has_indirect_call, 0
	.section	.AMDGPU.csdata,"",@progbits
; Kernel info:
; codeLenInByte = 0
; TotalNumSgprs: 0
; NumVgprs: 0
; ScratchSize: 0
; MemoryBound: 0
; FloatMode: 240
; IeeeMode: 1
; LDSByteSize: 0 bytes/workgroup (compile time only)
; SGPRBlocks: 0
; VGPRBlocks: 0
; NumSGPRsForWavesPerEU: 1
; NumVGPRsForWavesPerEU: 1
; NamedBarCnt: 0
; Occupancy: 16
; WaveLimiterHint : 0
; COMPUTE_PGM_RSRC2:SCRATCH_EN: 0
; COMPUTE_PGM_RSRC2:USER_SGPR: 2
; COMPUTE_PGM_RSRC2:TRAP_HANDLER: 0
; COMPUTE_PGM_RSRC2:TGID_X_EN: 1
; COMPUTE_PGM_RSRC2:TGID_Y_EN: 0
; COMPUTE_PGM_RSRC2:TGID_Z_EN: 0
; COMPUTE_PGM_RSRC2:TIDIG_COMP_CNT: 0
	.section	.text._ZN7rocprim17ROCPRIM_400000_NS6detail17trampoline_kernelINS0_14default_configENS1_20scan_config_selectorIlEEZZNS1_9scan_implILNS1_25lookback_scan_determinismE0ELb0ELb0ES3_PlS8_lN6thrust23THRUST_200600_302600_NS4plusIvEElEEDaPvRmT3_T4_T5_mT6_P12ihipStream_tbENKUlT_T0_E_clISt17integral_constantIbLb0EESP_IbLb1EEEEDaSL_SM_EUlSL_E0_NS1_11comp_targetILNS1_3genE8ELNS1_11target_archE1030ELNS1_3gpuE2ELNS1_3repE0EEENS1_30default_config_static_selectorELNS0_4arch9wavefront6targetE0EEEvT1_,"axG",@progbits,_ZN7rocprim17ROCPRIM_400000_NS6detail17trampoline_kernelINS0_14default_configENS1_20scan_config_selectorIlEEZZNS1_9scan_implILNS1_25lookback_scan_determinismE0ELb0ELb0ES3_PlS8_lN6thrust23THRUST_200600_302600_NS4plusIvEElEEDaPvRmT3_T4_T5_mT6_P12ihipStream_tbENKUlT_T0_E_clISt17integral_constantIbLb0EESP_IbLb1EEEEDaSL_SM_EUlSL_E0_NS1_11comp_targetILNS1_3genE8ELNS1_11target_archE1030ELNS1_3gpuE2ELNS1_3repE0EEENS1_30default_config_static_selectorELNS0_4arch9wavefront6targetE0EEEvT1_,comdat
	.protected	_ZN7rocprim17ROCPRIM_400000_NS6detail17trampoline_kernelINS0_14default_configENS1_20scan_config_selectorIlEEZZNS1_9scan_implILNS1_25lookback_scan_determinismE0ELb0ELb0ES3_PlS8_lN6thrust23THRUST_200600_302600_NS4plusIvEElEEDaPvRmT3_T4_T5_mT6_P12ihipStream_tbENKUlT_T0_E_clISt17integral_constantIbLb0EESP_IbLb1EEEEDaSL_SM_EUlSL_E0_NS1_11comp_targetILNS1_3genE8ELNS1_11target_archE1030ELNS1_3gpuE2ELNS1_3repE0EEENS1_30default_config_static_selectorELNS0_4arch9wavefront6targetE0EEEvT1_ ; -- Begin function _ZN7rocprim17ROCPRIM_400000_NS6detail17trampoline_kernelINS0_14default_configENS1_20scan_config_selectorIlEEZZNS1_9scan_implILNS1_25lookback_scan_determinismE0ELb0ELb0ES3_PlS8_lN6thrust23THRUST_200600_302600_NS4plusIvEElEEDaPvRmT3_T4_T5_mT6_P12ihipStream_tbENKUlT_T0_E_clISt17integral_constantIbLb0EESP_IbLb1EEEEDaSL_SM_EUlSL_E0_NS1_11comp_targetILNS1_3genE8ELNS1_11target_archE1030ELNS1_3gpuE2ELNS1_3repE0EEENS1_30default_config_static_selectorELNS0_4arch9wavefront6targetE0EEEvT1_
	.globl	_ZN7rocprim17ROCPRIM_400000_NS6detail17trampoline_kernelINS0_14default_configENS1_20scan_config_selectorIlEEZZNS1_9scan_implILNS1_25lookback_scan_determinismE0ELb0ELb0ES3_PlS8_lN6thrust23THRUST_200600_302600_NS4plusIvEElEEDaPvRmT3_T4_T5_mT6_P12ihipStream_tbENKUlT_T0_E_clISt17integral_constantIbLb0EESP_IbLb1EEEEDaSL_SM_EUlSL_E0_NS1_11comp_targetILNS1_3genE8ELNS1_11target_archE1030ELNS1_3gpuE2ELNS1_3repE0EEENS1_30default_config_static_selectorELNS0_4arch9wavefront6targetE0EEEvT1_
	.p2align	8
	.type	_ZN7rocprim17ROCPRIM_400000_NS6detail17trampoline_kernelINS0_14default_configENS1_20scan_config_selectorIlEEZZNS1_9scan_implILNS1_25lookback_scan_determinismE0ELb0ELb0ES3_PlS8_lN6thrust23THRUST_200600_302600_NS4plusIvEElEEDaPvRmT3_T4_T5_mT6_P12ihipStream_tbENKUlT_T0_E_clISt17integral_constantIbLb0EESP_IbLb1EEEEDaSL_SM_EUlSL_E0_NS1_11comp_targetILNS1_3genE8ELNS1_11target_archE1030ELNS1_3gpuE2ELNS1_3repE0EEENS1_30default_config_static_selectorELNS0_4arch9wavefront6targetE0EEEvT1_,@function
_ZN7rocprim17ROCPRIM_400000_NS6detail17trampoline_kernelINS0_14default_configENS1_20scan_config_selectorIlEEZZNS1_9scan_implILNS1_25lookback_scan_determinismE0ELb0ELb0ES3_PlS8_lN6thrust23THRUST_200600_302600_NS4plusIvEElEEDaPvRmT3_T4_T5_mT6_P12ihipStream_tbENKUlT_T0_E_clISt17integral_constantIbLb0EESP_IbLb1EEEEDaSL_SM_EUlSL_E0_NS1_11comp_targetILNS1_3genE8ELNS1_11target_archE1030ELNS1_3gpuE2ELNS1_3repE0EEENS1_30default_config_static_selectorELNS0_4arch9wavefront6targetE0EEEvT1_: ; @_ZN7rocprim17ROCPRIM_400000_NS6detail17trampoline_kernelINS0_14default_configENS1_20scan_config_selectorIlEEZZNS1_9scan_implILNS1_25lookback_scan_determinismE0ELb0ELb0ES3_PlS8_lN6thrust23THRUST_200600_302600_NS4plusIvEElEEDaPvRmT3_T4_T5_mT6_P12ihipStream_tbENKUlT_T0_E_clISt17integral_constantIbLb0EESP_IbLb1EEEEDaSL_SM_EUlSL_E0_NS1_11comp_targetILNS1_3genE8ELNS1_11target_archE1030ELNS1_3gpuE2ELNS1_3repE0EEENS1_30default_config_static_selectorELNS0_4arch9wavefront6targetE0EEEvT1_
; %bb.0:
	.section	.rodata,"a",@progbits
	.p2align	6, 0x0
	.amdhsa_kernel _ZN7rocprim17ROCPRIM_400000_NS6detail17trampoline_kernelINS0_14default_configENS1_20scan_config_selectorIlEEZZNS1_9scan_implILNS1_25lookback_scan_determinismE0ELb0ELb0ES3_PlS8_lN6thrust23THRUST_200600_302600_NS4plusIvEElEEDaPvRmT3_T4_T5_mT6_P12ihipStream_tbENKUlT_T0_E_clISt17integral_constantIbLb0EESP_IbLb1EEEEDaSL_SM_EUlSL_E0_NS1_11comp_targetILNS1_3genE8ELNS1_11target_archE1030ELNS1_3gpuE2ELNS1_3repE0EEENS1_30default_config_static_selectorELNS0_4arch9wavefront6targetE0EEEvT1_
		.amdhsa_group_segment_fixed_size 0
		.amdhsa_private_segment_fixed_size 0
		.amdhsa_kernarg_size 40
		.amdhsa_user_sgpr_count 2
		.amdhsa_user_sgpr_dispatch_ptr 0
		.amdhsa_user_sgpr_queue_ptr 0
		.amdhsa_user_sgpr_kernarg_segment_ptr 1
		.amdhsa_user_sgpr_dispatch_id 0
		.amdhsa_user_sgpr_kernarg_preload_length 0
		.amdhsa_user_sgpr_kernarg_preload_offset 0
		.amdhsa_user_sgpr_private_segment_size 0
		.amdhsa_wavefront_size32 1
		.amdhsa_uses_dynamic_stack 0
		.amdhsa_enable_private_segment 0
		.amdhsa_system_sgpr_workgroup_id_x 1
		.amdhsa_system_sgpr_workgroup_id_y 0
		.amdhsa_system_sgpr_workgroup_id_z 0
		.amdhsa_system_sgpr_workgroup_info 0
		.amdhsa_system_vgpr_workitem_id 0
		.amdhsa_next_free_vgpr 1
		.amdhsa_next_free_sgpr 1
		.amdhsa_named_barrier_count 0
		.amdhsa_reserve_vcc 0
		.amdhsa_float_round_mode_32 0
		.amdhsa_float_round_mode_16_64 0
		.amdhsa_float_denorm_mode_32 3
		.amdhsa_float_denorm_mode_16_64 3
		.amdhsa_fp16_overflow 0
		.amdhsa_memory_ordered 1
		.amdhsa_forward_progress 1
		.amdhsa_inst_pref_size 0
		.amdhsa_round_robin_scheduling 0
		.amdhsa_exception_fp_ieee_invalid_op 0
		.amdhsa_exception_fp_denorm_src 0
		.amdhsa_exception_fp_ieee_div_zero 0
		.amdhsa_exception_fp_ieee_overflow 0
		.amdhsa_exception_fp_ieee_underflow 0
		.amdhsa_exception_fp_ieee_inexact 0
		.amdhsa_exception_int_div_zero 0
	.end_amdhsa_kernel
	.section	.text._ZN7rocprim17ROCPRIM_400000_NS6detail17trampoline_kernelINS0_14default_configENS1_20scan_config_selectorIlEEZZNS1_9scan_implILNS1_25lookback_scan_determinismE0ELb0ELb0ES3_PlS8_lN6thrust23THRUST_200600_302600_NS4plusIvEElEEDaPvRmT3_T4_T5_mT6_P12ihipStream_tbENKUlT_T0_E_clISt17integral_constantIbLb0EESP_IbLb1EEEEDaSL_SM_EUlSL_E0_NS1_11comp_targetILNS1_3genE8ELNS1_11target_archE1030ELNS1_3gpuE2ELNS1_3repE0EEENS1_30default_config_static_selectorELNS0_4arch9wavefront6targetE0EEEvT1_,"axG",@progbits,_ZN7rocprim17ROCPRIM_400000_NS6detail17trampoline_kernelINS0_14default_configENS1_20scan_config_selectorIlEEZZNS1_9scan_implILNS1_25lookback_scan_determinismE0ELb0ELb0ES3_PlS8_lN6thrust23THRUST_200600_302600_NS4plusIvEElEEDaPvRmT3_T4_T5_mT6_P12ihipStream_tbENKUlT_T0_E_clISt17integral_constantIbLb0EESP_IbLb1EEEEDaSL_SM_EUlSL_E0_NS1_11comp_targetILNS1_3genE8ELNS1_11target_archE1030ELNS1_3gpuE2ELNS1_3repE0EEENS1_30default_config_static_selectorELNS0_4arch9wavefront6targetE0EEEvT1_,comdat
.Lfunc_end158:
	.size	_ZN7rocprim17ROCPRIM_400000_NS6detail17trampoline_kernelINS0_14default_configENS1_20scan_config_selectorIlEEZZNS1_9scan_implILNS1_25lookback_scan_determinismE0ELb0ELb0ES3_PlS8_lN6thrust23THRUST_200600_302600_NS4plusIvEElEEDaPvRmT3_T4_T5_mT6_P12ihipStream_tbENKUlT_T0_E_clISt17integral_constantIbLb0EESP_IbLb1EEEEDaSL_SM_EUlSL_E0_NS1_11comp_targetILNS1_3genE8ELNS1_11target_archE1030ELNS1_3gpuE2ELNS1_3repE0EEENS1_30default_config_static_selectorELNS0_4arch9wavefront6targetE0EEEvT1_, .Lfunc_end158-_ZN7rocprim17ROCPRIM_400000_NS6detail17trampoline_kernelINS0_14default_configENS1_20scan_config_selectorIlEEZZNS1_9scan_implILNS1_25lookback_scan_determinismE0ELb0ELb0ES3_PlS8_lN6thrust23THRUST_200600_302600_NS4plusIvEElEEDaPvRmT3_T4_T5_mT6_P12ihipStream_tbENKUlT_T0_E_clISt17integral_constantIbLb0EESP_IbLb1EEEEDaSL_SM_EUlSL_E0_NS1_11comp_targetILNS1_3genE8ELNS1_11target_archE1030ELNS1_3gpuE2ELNS1_3repE0EEENS1_30default_config_static_selectorELNS0_4arch9wavefront6targetE0EEEvT1_
                                        ; -- End function
	.set _ZN7rocprim17ROCPRIM_400000_NS6detail17trampoline_kernelINS0_14default_configENS1_20scan_config_selectorIlEEZZNS1_9scan_implILNS1_25lookback_scan_determinismE0ELb0ELb0ES3_PlS8_lN6thrust23THRUST_200600_302600_NS4plusIvEElEEDaPvRmT3_T4_T5_mT6_P12ihipStream_tbENKUlT_T0_E_clISt17integral_constantIbLb0EESP_IbLb1EEEEDaSL_SM_EUlSL_E0_NS1_11comp_targetILNS1_3genE8ELNS1_11target_archE1030ELNS1_3gpuE2ELNS1_3repE0EEENS1_30default_config_static_selectorELNS0_4arch9wavefront6targetE0EEEvT1_.num_vgpr, 0
	.set _ZN7rocprim17ROCPRIM_400000_NS6detail17trampoline_kernelINS0_14default_configENS1_20scan_config_selectorIlEEZZNS1_9scan_implILNS1_25lookback_scan_determinismE0ELb0ELb0ES3_PlS8_lN6thrust23THRUST_200600_302600_NS4plusIvEElEEDaPvRmT3_T4_T5_mT6_P12ihipStream_tbENKUlT_T0_E_clISt17integral_constantIbLb0EESP_IbLb1EEEEDaSL_SM_EUlSL_E0_NS1_11comp_targetILNS1_3genE8ELNS1_11target_archE1030ELNS1_3gpuE2ELNS1_3repE0EEENS1_30default_config_static_selectorELNS0_4arch9wavefront6targetE0EEEvT1_.num_agpr, 0
	.set _ZN7rocprim17ROCPRIM_400000_NS6detail17trampoline_kernelINS0_14default_configENS1_20scan_config_selectorIlEEZZNS1_9scan_implILNS1_25lookback_scan_determinismE0ELb0ELb0ES3_PlS8_lN6thrust23THRUST_200600_302600_NS4plusIvEElEEDaPvRmT3_T4_T5_mT6_P12ihipStream_tbENKUlT_T0_E_clISt17integral_constantIbLb0EESP_IbLb1EEEEDaSL_SM_EUlSL_E0_NS1_11comp_targetILNS1_3genE8ELNS1_11target_archE1030ELNS1_3gpuE2ELNS1_3repE0EEENS1_30default_config_static_selectorELNS0_4arch9wavefront6targetE0EEEvT1_.numbered_sgpr, 0
	.set _ZN7rocprim17ROCPRIM_400000_NS6detail17trampoline_kernelINS0_14default_configENS1_20scan_config_selectorIlEEZZNS1_9scan_implILNS1_25lookback_scan_determinismE0ELb0ELb0ES3_PlS8_lN6thrust23THRUST_200600_302600_NS4plusIvEElEEDaPvRmT3_T4_T5_mT6_P12ihipStream_tbENKUlT_T0_E_clISt17integral_constantIbLb0EESP_IbLb1EEEEDaSL_SM_EUlSL_E0_NS1_11comp_targetILNS1_3genE8ELNS1_11target_archE1030ELNS1_3gpuE2ELNS1_3repE0EEENS1_30default_config_static_selectorELNS0_4arch9wavefront6targetE0EEEvT1_.num_named_barrier, 0
	.set _ZN7rocprim17ROCPRIM_400000_NS6detail17trampoline_kernelINS0_14default_configENS1_20scan_config_selectorIlEEZZNS1_9scan_implILNS1_25lookback_scan_determinismE0ELb0ELb0ES3_PlS8_lN6thrust23THRUST_200600_302600_NS4plusIvEElEEDaPvRmT3_T4_T5_mT6_P12ihipStream_tbENKUlT_T0_E_clISt17integral_constantIbLb0EESP_IbLb1EEEEDaSL_SM_EUlSL_E0_NS1_11comp_targetILNS1_3genE8ELNS1_11target_archE1030ELNS1_3gpuE2ELNS1_3repE0EEENS1_30default_config_static_selectorELNS0_4arch9wavefront6targetE0EEEvT1_.private_seg_size, 0
	.set _ZN7rocprim17ROCPRIM_400000_NS6detail17trampoline_kernelINS0_14default_configENS1_20scan_config_selectorIlEEZZNS1_9scan_implILNS1_25lookback_scan_determinismE0ELb0ELb0ES3_PlS8_lN6thrust23THRUST_200600_302600_NS4plusIvEElEEDaPvRmT3_T4_T5_mT6_P12ihipStream_tbENKUlT_T0_E_clISt17integral_constantIbLb0EESP_IbLb1EEEEDaSL_SM_EUlSL_E0_NS1_11comp_targetILNS1_3genE8ELNS1_11target_archE1030ELNS1_3gpuE2ELNS1_3repE0EEENS1_30default_config_static_selectorELNS0_4arch9wavefront6targetE0EEEvT1_.uses_vcc, 0
	.set _ZN7rocprim17ROCPRIM_400000_NS6detail17trampoline_kernelINS0_14default_configENS1_20scan_config_selectorIlEEZZNS1_9scan_implILNS1_25lookback_scan_determinismE0ELb0ELb0ES3_PlS8_lN6thrust23THRUST_200600_302600_NS4plusIvEElEEDaPvRmT3_T4_T5_mT6_P12ihipStream_tbENKUlT_T0_E_clISt17integral_constantIbLb0EESP_IbLb1EEEEDaSL_SM_EUlSL_E0_NS1_11comp_targetILNS1_3genE8ELNS1_11target_archE1030ELNS1_3gpuE2ELNS1_3repE0EEENS1_30default_config_static_selectorELNS0_4arch9wavefront6targetE0EEEvT1_.uses_flat_scratch, 0
	.set _ZN7rocprim17ROCPRIM_400000_NS6detail17trampoline_kernelINS0_14default_configENS1_20scan_config_selectorIlEEZZNS1_9scan_implILNS1_25lookback_scan_determinismE0ELb0ELb0ES3_PlS8_lN6thrust23THRUST_200600_302600_NS4plusIvEElEEDaPvRmT3_T4_T5_mT6_P12ihipStream_tbENKUlT_T0_E_clISt17integral_constantIbLb0EESP_IbLb1EEEEDaSL_SM_EUlSL_E0_NS1_11comp_targetILNS1_3genE8ELNS1_11target_archE1030ELNS1_3gpuE2ELNS1_3repE0EEENS1_30default_config_static_selectorELNS0_4arch9wavefront6targetE0EEEvT1_.has_dyn_sized_stack, 0
	.set _ZN7rocprim17ROCPRIM_400000_NS6detail17trampoline_kernelINS0_14default_configENS1_20scan_config_selectorIlEEZZNS1_9scan_implILNS1_25lookback_scan_determinismE0ELb0ELb0ES3_PlS8_lN6thrust23THRUST_200600_302600_NS4plusIvEElEEDaPvRmT3_T4_T5_mT6_P12ihipStream_tbENKUlT_T0_E_clISt17integral_constantIbLb0EESP_IbLb1EEEEDaSL_SM_EUlSL_E0_NS1_11comp_targetILNS1_3genE8ELNS1_11target_archE1030ELNS1_3gpuE2ELNS1_3repE0EEENS1_30default_config_static_selectorELNS0_4arch9wavefront6targetE0EEEvT1_.has_recursion, 0
	.set _ZN7rocprim17ROCPRIM_400000_NS6detail17trampoline_kernelINS0_14default_configENS1_20scan_config_selectorIlEEZZNS1_9scan_implILNS1_25lookback_scan_determinismE0ELb0ELb0ES3_PlS8_lN6thrust23THRUST_200600_302600_NS4plusIvEElEEDaPvRmT3_T4_T5_mT6_P12ihipStream_tbENKUlT_T0_E_clISt17integral_constantIbLb0EESP_IbLb1EEEEDaSL_SM_EUlSL_E0_NS1_11comp_targetILNS1_3genE8ELNS1_11target_archE1030ELNS1_3gpuE2ELNS1_3repE0EEENS1_30default_config_static_selectorELNS0_4arch9wavefront6targetE0EEEvT1_.has_indirect_call, 0
	.section	.AMDGPU.csdata,"",@progbits
; Kernel info:
; codeLenInByte = 0
; TotalNumSgprs: 0
; NumVgprs: 0
; ScratchSize: 0
; MemoryBound: 0
; FloatMode: 240
; IeeeMode: 1
; LDSByteSize: 0 bytes/workgroup (compile time only)
; SGPRBlocks: 0
; VGPRBlocks: 0
; NumSGPRsForWavesPerEU: 1
; NumVGPRsForWavesPerEU: 1
; NamedBarCnt: 0
; Occupancy: 16
; WaveLimiterHint : 0
; COMPUTE_PGM_RSRC2:SCRATCH_EN: 0
; COMPUTE_PGM_RSRC2:USER_SGPR: 2
; COMPUTE_PGM_RSRC2:TRAP_HANDLER: 0
; COMPUTE_PGM_RSRC2:TGID_X_EN: 1
; COMPUTE_PGM_RSRC2:TGID_Y_EN: 0
; COMPUTE_PGM_RSRC2:TGID_Z_EN: 0
; COMPUTE_PGM_RSRC2:TIDIG_COMP_CNT: 0
	.section	.text._ZN6thrust23THRUST_200600_302600_NS11hip_rocprim14__parallel_for6kernelILj256ENS1_11__transform17unary_transform_fIPlNS0_20permutation_iteratorIS6_PKlEENS4_14no_stencil_tagENS1_8identityENS4_21always_true_predicateEEElLj1EEEvT0_T1_SG_,"axG",@progbits,_ZN6thrust23THRUST_200600_302600_NS11hip_rocprim14__parallel_for6kernelILj256ENS1_11__transform17unary_transform_fIPlNS0_20permutation_iteratorIS6_PKlEENS4_14no_stencil_tagENS1_8identityENS4_21always_true_predicateEEElLj1EEEvT0_T1_SG_,comdat
	.protected	_ZN6thrust23THRUST_200600_302600_NS11hip_rocprim14__parallel_for6kernelILj256ENS1_11__transform17unary_transform_fIPlNS0_20permutation_iteratorIS6_PKlEENS4_14no_stencil_tagENS1_8identityENS4_21always_true_predicateEEElLj1EEEvT0_T1_SG_ ; -- Begin function _ZN6thrust23THRUST_200600_302600_NS11hip_rocprim14__parallel_for6kernelILj256ENS1_11__transform17unary_transform_fIPlNS0_20permutation_iteratorIS6_PKlEENS4_14no_stencil_tagENS1_8identityENS4_21always_true_predicateEEElLj1EEEvT0_T1_SG_
	.globl	_ZN6thrust23THRUST_200600_302600_NS11hip_rocprim14__parallel_for6kernelILj256ENS1_11__transform17unary_transform_fIPlNS0_20permutation_iteratorIS6_PKlEENS4_14no_stencil_tagENS1_8identityENS4_21always_true_predicateEEElLj1EEEvT0_T1_SG_
	.p2align	8
	.type	_ZN6thrust23THRUST_200600_302600_NS11hip_rocprim14__parallel_for6kernelILj256ENS1_11__transform17unary_transform_fIPlNS0_20permutation_iteratorIS6_PKlEENS4_14no_stencil_tagENS1_8identityENS4_21always_true_predicateEEElLj1EEEvT0_T1_SG_,@function
_ZN6thrust23THRUST_200600_302600_NS11hip_rocprim14__parallel_for6kernelILj256ENS1_11__transform17unary_transform_fIPlNS0_20permutation_iteratorIS6_PKlEENS4_14no_stencil_tagENS1_8identityENS4_21always_true_predicateEEElLj1EEEvT0_T1_SG_: ; @_ZN6thrust23THRUST_200600_302600_NS11hip_rocprim14__parallel_for6kernelILj256ENS1_11__transform17unary_transform_fIPlNS0_20permutation_iteratorIS6_PKlEENS4_14no_stencil_tagENS1_8identityENS4_21always_true_predicateEEElLj1EEEvT0_T1_SG_
; %bb.0:
	s_load_b128 s[4:7], s[0:1], 0x20
	s_bfe_u32 s2, ttmp6, 0x4000c
	s_and_b32 s3, ttmp6, 15
	s_add_co_i32 s2, s2, 1
	s_getreg_b32 s8, hwreg(HW_REG_IB_STS2, 6, 4)
	s_mul_i32 s2, ttmp9, s2
	s_delay_alu instid0(SALU_CYCLE_1)
	s_add_co_i32 s3, s3, s2
	s_cmp_eq_u32 s8, 0
	s_cselect_b32 s2, ttmp9, s3
	s_mov_b32 s3, 0
	s_lshl_b32 s2, s2, 8
	s_wait_kmcnt 0x0
	s_add_nc_u64 s[2:3], s[6:7], s[2:3]
	s_delay_alu instid0(SALU_CYCLE_1) | instskip(NEXT) | instid1(SALU_CYCLE_1)
	s_sub_nc_u64 s[4:5], s[4:5], s[2:3]
	v_min_i64 v[2:3], 0x100, s[4:5]
	s_delay_alu instid0(VALU_DEP_1) | instskip(NEXT) | instid1(VALU_DEP_1)
	v_readfirstlane_b32 s4, v2
	v_cmp_gt_u32_e32 vcc_lo, s4, v0
	s_cmp_eq_u32 s4, 0x100
	s_cselect_b32 s4, -1, 0
	s_delay_alu instid0(SALU_CYCLE_1) | instskip(NEXT) | instid1(SALU_CYCLE_1)
	s_or_b32 s4, s4, vcc_lo
	s_and_saveexec_b32 s5, s4
	s_cbranch_execz .LBB159_2
; %bb.1:
	s_load_b128 s[4:7], s[0:1], 0x0
	v_mov_b32_e32 v1, 0
	s_wait_xcnt 0x0
	s_load_b64 s[0:1], s[0:1], 0x10
	s_delay_alu instid0(VALU_DEP_1) | instskip(NEXT) | instid1(VALU_DEP_1)
	v_add_nc_u64_e32 v[0:1], s[2:3], v[0:1]
	v_lshlrev_b64_e32 v[0:1], 3, v[0:1]
	s_wait_kmcnt 0x0
	s_delay_alu instid0(VALU_DEP_1)
	v_add_nc_u64_e32 v[2:3], s[6:7], v[0:1]
	v_add_nc_u64_e32 v[0:1], s[4:5], v[0:1]
	global_load_b64 v[4:5], v[2:3], off
	global_load_b64 v[6:7], v[0:1], off
	s_wait_loadcnt 0x1
	s_wait_xcnt 0x0
	v_lshl_add_u64 v[0:1], v[4:5], 3, s[0:1]
	s_wait_loadcnt 0x0
	global_store_b64 v[0:1], v[6:7], off
.LBB159_2:
	s_endpgm
	.section	.rodata,"a",@progbits
	.p2align	6, 0x0
	.amdhsa_kernel _ZN6thrust23THRUST_200600_302600_NS11hip_rocprim14__parallel_for6kernelILj256ENS1_11__transform17unary_transform_fIPlNS0_20permutation_iteratorIS6_PKlEENS4_14no_stencil_tagENS1_8identityENS4_21always_true_predicateEEElLj1EEEvT0_T1_SG_
		.amdhsa_group_segment_fixed_size 0
		.amdhsa_private_segment_fixed_size 0
		.amdhsa_kernarg_size 48
		.amdhsa_user_sgpr_count 2
		.amdhsa_user_sgpr_dispatch_ptr 0
		.amdhsa_user_sgpr_queue_ptr 0
		.amdhsa_user_sgpr_kernarg_segment_ptr 1
		.amdhsa_user_sgpr_dispatch_id 0
		.amdhsa_user_sgpr_kernarg_preload_length 0
		.amdhsa_user_sgpr_kernarg_preload_offset 0
		.amdhsa_user_sgpr_private_segment_size 0
		.amdhsa_wavefront_size32 1
		.amdhsa_uses_dynamic_stack 0
		.amdhsa_enable_private_segment 0
		.amdhsa_system_sgpr_workgroup_id_x 1
		.amdhsa_system_sgpr_workgroup_id_y 0
		.amdhsa_system_sgpr_workgroup_id_z 0
		.amdhsa_system_sgpr_workgroup_info 0
		.amdhsa_system_vgpr_workitem_id 0
		.amdhsa_next_free_vgpr 8
		.amdhsa_next_free_sgpr 9
		.amdhsa_named_barrier_count 0
		.amdhsa_reserve_vcc 1
		.amdhsa_float_round_mode_32 0
		.amdhsa_float_round_mode_16_64 0
		.amdhsa_float_denorm_mode_32 3
		.amdhsa_float_denorm_mode_16_64 3
		.amdhsa_fp16_overflow 0
		.amdhsa_memory_ordered 1
		.amdhsa_forward_progress 1
		.amdhsa_inst_pref_size 2
		.amdhsa_round_robin_scheduling 0
		.amdhsa_exception_fp_ieee_invalid_op 0
		.amdhsa_exception_fp_denorm_src 0
		.amdhsa_exception_fp_ieee_div_zero 0
		.amdhsa_exception_fp_ieee_overflow 0
		.amdhsa_exception_fp_ieee_underflow 0
		.amdhsa_exception_fp_ieee_inexact 0
		.amdhsa_exception_int_div_zero 0
	.end_amdhsa_kernel
	.section	.text._ZN6thrust23THRUST_200600_302600_NS11hip_rocprim14__parallel_for6kernelILj256ENS1_11__transform17unary_transform_fIPlNS0_20permutation_iteratorIS6_PKlEENS4_14no_stencil_tagENS1_8identityENS4_21always_true_predicateEEElLj1EEEvT0_T1_SG_,"axG",@progbits,_ZN6thrust23THRUST_200600_302600_NS11hip_rocprim14__parallel_for6kernelILj256ENS1_11__transform17unary_transform_fIPlNS0_20permutation_iteratorIS6_PKlEENS4_14no_stencil_tagENS1_8identityENS4_21always_true_predicateEEElLj1EEEvT0_T1_SG_,comdat
.Lfunc_end159:
	.size	_ZN6thrust23THRUST_200600_302600_NS11hip_rocprim14__parallel_for6kernelILj256ENS1_11__transform17unary_transform_fIPlNS0_20permutation_iteratorIS6_PKlEENS4_14no_stencil_tagENS1_8identityENS4_21always_true_predicateEEElLj1EEEvT0_T1_SG_, .Lfunc_end159-_ZN6thrust23THRUST_200600_302600_NS11hip_rocprim14__parallel_for6kernelILj256ENS1_11__transform17unary_transform_fIPlNS0_20permutation_iteratorIS6_PKlEENS4_14no_stencil_tagENS1_8identityENS4_21always_true_predicateEEElLj1EEEvT0_T1_SG_
                                        ; -- End function
	.set _ZN6thrust23THRUST_200600_302600_NS11hip_rocprim14__parallel_for6kernelILj256ENS1_11__transform17unary_transform_fIPlNS0_20permutation_iteratorIS6_PKlEENS4_14no_stencil_tagENS1_8identityENS4_21always_true_predicateEEElLj1EEEvT0_T1_SG_.num_vgpr, 8
	.set _ZN6thrust23THRUST_200600_302600_NS11hip_rocprim14__parallel_for6kernelILj256ENS1_11__transform17unary_transform_fIPlNS0_20permutation_iteratorIS6_PKlEENS4_14no_stencil_tagENS1_8identityENS4_21always_true_predicateEEElLj1EEEvT0_T1_SG_.num_agpr, 0
	.set _ZN6thrust23THRUST_200600_302600_NS11hip_rocprim14__parallel_for6kernelILj256ENS1_11__transform17unary_transform_fIPlNS0_20permutation_iteratorIS6_PKlEENS4_14no_stencil_tagENS1_8identityENS4_21always_true_predicateEEElLj1EEEvT0_T1_SG_.numbered_sgpr, 9
	.set _ZN6thrust23THRUST_200600_302600_NS11hip_rocprim14__parallel_for6kernelILj256ENS1_11__transform17unary_transform_fIPlNS0_20permutation_iteratorIS6_PKlEENS4_14no_stencil_tagENS1_8identityENS4_21always_true_predicateEEElLj1EEEvT0_T1_SG_.num_named_barrier, 0
	.set _ZN6thrust23THRUST_200600_302600_NS11hip_rocprim14__parallel_for6kernelILj256ENS1_11__transform17unary_transform_fIPlNS0_20permutation_iteratorIS6_PKlEENS4_14no_stencil_tagENS1_8identityENS4_21always_true_predicateEEElLj1EEEvT0_T1_SG_.private_seg_size, 0
	.set _ZN6thrust23THRUST_200600_302600_NS11hip_rocprim14__parallel_for6kernelILj256ENS1_11__transform17unary_transform_fIPlNS0_20permutation_iteratorIS6_PKlEENS4_14no_stencil_tagENS1_8identityENS4_21always_true_predicateEEElLj1EEEvT0_T1_SG_.uses_vcc, 1
	.set _ZN6thrust23THRUST_200600_302600_NS11hip_rocprim14__parallel_for6kernelILj256ENS1_11__transform17unary_transform_fIPlNS0_20permutation_iteratorIS6_PKlEENS4_14no_stencil_tagENS1_8identityENS4_21always_true_predicateEEElLj1EEEvT0_T1_SG_.uses_flat_scratch, 0
	.set _ZN6thrust23THRUST_200600_302600_NS11hip_rocprim14__parallel_for6kernelILj256ENS1_11__transform17unary_transform_fIPlNS0_20permutation_iteratorIS6_PKlEENS4_14no_stencil_tagENS1_8identityENS4_21always_true_predicateEEElLj1EEEvT0_T1_SG_.has_dyn_sized_stack, 0
	.set _ZN6thrust23THRUST_200600_302600_NS11hip_rocprim14__parallel_for6kernelILj256ENS1_11__transform17unary_transform_fIPlNS0_20permutation_iteratorIS6_PKlEENS4_14no_stencil_tagENS1_8identityENS4_21always_true_predicateEEElLj1EEEvT0_T1_SG_.has_recursion, 0
	.set _ZN6thrust23THRUST_200600_302600_NS11hip_rocprim14__parallel_for6kernelILj256ENS1_11__transform17unary_transform_fIPlNS0_20permutation_iteratorIS6_PKlEENS4_14no_stencil_tagENS1_8identityENS4_21always_true_predicateEEElLj1EEEvT0_T1_SG_.has_indirect_call, 0
	.section	.AMDGPU.csdata,"",@progbits
; Kernel info:
; codeLenInByte = 236
; TotalNumSgprs: 11
; NumVgprs: 8
; ScratchSize: 0
; MemoryBound: 0
; FloatMode: 240
; IeeeMode: 1
; LDSByteSize: 0 bytes/workgroup (compile time only)
; SGPRBlocks: 0
; VGPRBlocks: 0
; NumSGPRsForWavesPerEU: 11
; NumVGPRsForWavesPerEU: 8
; NamedBarCnt: 0
; Occupancy: 16
; WaveLimiterHint : 1
; COMPUTE_PGM_RSRC2:SCRATCH_EN: 0
; COMPUTE_PGM_RSRC2:USER_SGPR: 2
; COMPUTE_PGM_RSRC2:TRAP_HANDLER: 0
; COMPUTE_PGM_RSRC2:TGID_X_EN: 1
; COMPUTE_PGM_RSRC2:TGID_Y_EN: 0
; COMPUTE_PGM_RSRC2:TGID_Z_EN: 0
; COMPUTE_PGM_RSRC2:TIDIG_COMP_CNT: 0
	.section	.text._ZN7rocprim17ROCPRIM_400000_NS6detail31init_lookback_scan_state_kernelINS1_19lookback_scan_stateIjLb0ELb1EEENS1_16block_id_wrapperIjLb0EEEEEvT_jT0_jPNS7_10value_typeE,"axG",@progbits,_ZN7rocprim17ROCPRIM_400000_NS6detail31init_lookback_scan_state_kernelINS1_19lookback_scan_stateIjLb0ELb1EEENS1_16block_id_wrapperIjLb0EEEEEvT_jT0_jPNS7_10value_typeE,comdat
	.protected	_ZN7rocprim17ROCPRIM_400000_NS6detail31init_lookback_scan_state_kernelINS1_19lookback_scan_stateIjLb0ELb1EEENS1_16block_id_wrapperIjLb0EEEEEvT_jT0_jPNS7_10value_typeE ; -- Begin function _ZN7rocprim17ROCPRIM_400000_NS6detail31init_lookback_scan_state_kernelINS1_19lookback_scan_stateIjLb0ELb1EEENS1_16block_id_wrapperIjLb0EEEEEvT_jT0_jPNS7_10value_typeE
	.globl	_ZN7rocprim17ROCPRIM_400000_NS6detail31init_lookback_scan_state_kernelINS1_19lookback_scan_stateIjLb0ELb1EEENS1_16block_id_wrapperIjLb0EEEEEvT_jT0_jPNS7_10value_typeE
	.p2align	8
	.type	_ZN7rocprim17ROCPRIM_400000_NS6detail31init_lookback_scan_state_kernelINS1_19lookback_scan_stateIjLb0ELb1EEENS1_16block_id_wrapperIjLb0EEEEEvT_jT0_jPNS7_10value_typeE,@function
_ZN7rocprim17ROCPRIM_400000_NS6detail31init_lookback_scan_state_kernelINS1_19lookback_scan_stateIjLb0ELb1EEENS1_16block_id_wrapperIjLb0EEEEEvT_jT0_jPNS7_10value_typeE: ; @_ZN7rocprim17ROCPRIM_400000_NS6detail31init_lookback_scan_state_kernelINS1_19lookback_scan_stateIjLb0ELb1EEENS1_16block_id_wrapperIjLb0EEEEEvT_jT0_jPNS7_10value_typeE
; %bb.0:
	s_clause 0x2
	s_load_b32 s7, s[0:1], 0x2c
	s_load_b96 s[4:6], s[0:1], 0x0
	s_load_b64 s[2:3], s[0:1], 0x18
	s_bfe_u32 s8, ttmp6, 0x4000c
	s_and_b32 s9, ttmp6, 15
	s_add_co_i32 s8, s8, 1
	s_getreg_b32 s10, hwreg(HW_REG_IB_STS2, 6, 4)
	s_mul_i32 s8, ttmp9, s8
	s_delay_alu instid0(SALU_CYCLE_1)
	s_add_co_i32 s9, s9, s8
	s_wait_kmcnt 0x0
	s_and_b32 s7, s7, 0xffff
	s_cmp_eq_u32 s10, 0
	s_cselect_b32 s8, ttmp9, s9
	s_cmp_eq_u64 s[2:3], 0
	v_mad_u32 v4, s8, s7, v0
	s_cbranch_scc1 .LBB160_7
; %bb.1:
	s_load_b32 s0, s[0:1], 0x10
	s_mov_b32 s7, exec_lo
	s_wait_kmcnt 0x0
	s_cmp_lt_u32 s0, s6
	s_cselect_b32 s1, s0, 0
	s_delay_alu instid0(VALU_DEP_1) | instid1(SALU_CYCLE_1)
	v_cmpx_eq_u32_e64 s1, v4
	s_cbranch_execz .LBB160_6
; %bb.2:
	s_add_co_i32 s0, s0, 32
	s_delay_alu instid0(SALU_CYCLE_1) | instskip(SKIP_3) | instid1(VALU_DEP_1)
	v_dual_mov_b32 v2, 0 :: v_dual_mov_b32 v0, s0
	global_load_b64 v[0:1], v0, s[4:5] scale_offset scope:SCOPE_DEV
	s_wait_loadcnt 0x0
	v_and_b32_e32 v3, 0xff, v1
	v_cmp_ne_u64_e32 vcc_lo, 0, v[2:3]
	s_cbranch_vccnz .LBB160_5
; %bb.3:
	s_mov_b32 s1, 0
	s_delay_alu instid0(SALU_CYCLE_1) | instskip(NEXT) | instid1(SALU_CYCLE_1)
	s_lshl_b64 s[0:1], s[0:1], 3
	s_add_nc_u64 s[0:1], s[4:5], s[0:1]
.LBB160_4:                              ; =>This Inner Loop Header: Depth=1
	global_load_b64 v[0:1], v2, s[0:1] scope:SCOPE_DEV
	s_wait_loadcnt 0x0
	v_and_b32_e32 v3, 0xff, v1
	s_delay_alu instid0(VALU_DEP_1)
	v_cmp_eq_u64_e32 vcc_lo, 0, v[2:3]
	s_cbranch_vccnz .LBB160_4
.LBB160_5:
	v_mov_b32_e32 v1, 0
	global_store_b32 v1, v0, s[2:3]
.LBB160_6:
	s_wait_xcnt 0x0
	s_or_b32 exec_lo, exec_lo, s7
.LBB160_7:
	s_delay_alu instid0(SALU_CYCLE_1) | instskip(NEXT) | instid1(VALU_DEP_1)
	s_mov_b32 s0, exec_lo
	v_cmpx_gt_u32_e64 s6, v4
	s_cbranch_execz .LBB160_9
; %bb.8:
	v_mov_b64_e32 v[0:1], 0
	v_add_nc_u32_e32 v2, 32, v4
	global_store_b64 v2, v[0:1], s[4:5] scale_offset
.LBB160_9:
	s_wait_xcnt 0x0
	s_or_b32 exec_lo, exec_lo, s0
	s_delay_alu instid0(SALU_CYCLE_1)
	s_mov_b32 s0, exec_lo
	v_cmpx_gt_u32_e32 32, v4
	s_cbranch_execz .LBB160_11
; %bb.10:
	v_mov_b64_e32 v[0:1], 0xff00000000
	global_store_b64 v4, v[0:1], s[4:5] scale_offset
.LBB160_11:
	s_endpgm
	.section	.rodata,"a",@progbits
	.p2align	6, 0x0
	.amdhsa_kernel _ZN7rocprim17ROCPRIM_400000_NS6detail31init_lookback_scan_state_kernelINS1_19lookback_scan_stateIjLb0ELb1EEENS1_16block_id_wrapperIjLb0EEEEEvT_jT0_jPNS7_10value_typeE
		.amdhsa_group_segment_fixed_size 0
		.amdhsa_private_segment_fixed_size 0
		.amdhsa_kernarg_size 288
		.amdhsa_user_sgpr_count 2
		.amdhsa_user_sgpr_dispatch_ptr 0
		.amdhsa_user_sgpr_queue_ptr 0
		.amdhsa_user_sgpr_kernarg_segment_ptr 1
		.amdhsa_user_sgpr_dispatch_id 0
		.amdhsa_user_sgpr_kernarg_preload_length 0
		.amdhsa_user_sgpr_kernarg_preload_offset 0
		.amdhsa_user_sgpr_private_segment_size 0
		.amdhsa_wavefront_size32 1
		.amdhsa_uses_dynamic_stack 0
		.amdhsa_enable_private_segment 0
		.amdhsa_system_sgpr_workgroup_id_x 1
		.amdhsa_system_sgpr_workgroup_id_y 0
		.amdhsa_system_sgpr_workgroup_id_z 0
		.amdhsa_system_sgpr_workgroup_info 0
		.amdhsa_system_vgpr_workitem_id 0
		.amdhsa_next_free_vgpr 5
		.amdhsa_next_free_sgpr 11
		.amdhsa_named_barrier_count 0
		.amdhsa_reserve_vcc 1
		.amdhsa_float_round_mode_32 0
		.amdhsa_float_round_mode_16_64 0
		.amdhsa_float_denorm_mode_32 3
		.amdhsa_float_denorm_mode_16_64 3
		.amdhsa_fp16_overflow 0
		.amdhsa_memory_ordered 1
		.amdhsa_forward_progress 1
		.amdhsa_inst_pref_size 3
		.amdhsa_round_robin_scheduling 0
		.amdhsa_exception_fp_ieee_invalid_op 0
		.amdhsa_exception_fp_denorm_src 0
		.amdhsa_exception_fp_ieee_div_zero 0
		.amdhsa_exception_fp_ieee_overflow 0
		.amdhsa_exception_fp_ieee_underflow 0
		.amdhsa_exception_fp_ieee_inexact 0
		.amdhsa_exception_int_div_zero 0
	.end_amdhsa_kernel
	.section	.text._ZN7rocprim17ROCPRIM_400000_NS6detail31init_lookback_scan_state_kernelINS1_19lookback_scan_stateIjLb0ELb1EEENS1_16block_id_wrapperIjLb0EEEEEvT_jT0_jPNS7_10value_typeE,"axG",@progbits,_ZN7rocprim17ROCPRIM_400000_NS6detail31init_lookback_scan_state_kernelINS1_19lookback_scan_stateIjLb0ELb1EEENS1_16block_id_wrapperIjLb0EEEEEvT_jT0_jPNS7_10value_typeE,comdat
.Lfunc_end160:
	.size	_ZN7rocprim17ROCPRIM_400000_NS6detail31init_lookback_scan_state_kernelINS1_19lookback_scan_stateIjLb0ELb1EEENS1_16block_id_wrapperIjLb0EEEEEvT_jT0_jPNS7_10value_typeE, .Lfunc_end160-_ZN7rocprim17ROCPRIM_400000_NS6detail31init_lookback_scan_state_kernelINS1_19lookback_scan_stateIjLb0ELb1EEENS1_16block_id_wrapperIjLb0EEEEEvT_jT0_jPNS7_10value_typeE
                                        ; -- End function
	.set _ZN7rocprim17ROCPRIM_400000_NS6detail31init_lookback_scan_state_kernelINS1_19lookback_scan_stateIjLb0ELb1EEENS1_16block_id_wrapperIjLb0EEEEEvT_jT0_jPNS7_10value_typeE.num_vgpr, 5
	.set _ZN7rocprim17ROCPRIM_400000_NS6detail31init_lookback_scan_state_kernelINS1_19lookback_scan_stateIjLb0ELb1EEENS1_16block_id_wrapperIjLb0EEEEEvT_jT0_jPNS7_10value_typeE.num_agpr, 0
	.set _ZN7rocprim17ROCPRIM_400000_NS6detail31init_lookback_scan_state_kernelINS1_19lookback_scan_stateIjLb0ELb1EEENS1_16block_id_wrapperIjLb0EEEEEvT_jT0_jPNS7_10value_typeE.numbered_sgpr, 11
	.set _ZN7rocprim17ROCPRIM_400000_NS6detail31init_lookback_scan_state_kernelINS1_19lookback_scan_stateIjLb0ELb1EEENS1_16block_id_wrapperIjLb0EEEEEvT_jT0_jPNS7_10value_typeE.num_named_barrier, 0
	.set _ZN7rocprim17ROCPRIM_400000_NS6detail31init_lookback_scan_state_kernelINS1_19lookback_scan_stateIjLb0ELb1EEENS1_16block_id_wrapperIjLb0EEEEEvT_jT0_jPNS7_10value_typeE.private_seg_size, 0
	.set _ZN7rocprim17ROCPRIM_400000_NS6detail31init_lookback_scan_state_kernelINS1_19lookback_scan_stateIjLb0ELb1EEENS1_16block_id_wrapperIjLb0EEEEEvT_jT0_jPNS7_10value_typeE.uses_vcc, 1
	.set _ZN7rocprim17ROCPRIM_400000_NS6detail31init_lookback_scan_state_kernelINS1_19lookback_scan_stateIjLb0ELb1EEENS1_16block_id_wrapperIjLb0EEEEEvT_jT0_jPNS7_10value_typeE.uses_flat_scratch, 0
	.set _ZN7rocprim17ROCPRIM_400000_NS6detail31init_lookback_scan_state_kernelINS1_19lookback_scan_stateIjLb0ELb1EEENS1_16block_id_wrapperIjLb0EEEEEvT_jT0_jPNS7_10value_typeE.has_dyn_sized_stack, 0
	.set _ZN7rocprim17ROCPRIM_400000_NS6detail31init_lookback_scan_state_kernelINS1_19lookback_scan_stateIjLb0ELb1EEENS1_16block_id_wrapperIjLb0EEEEEvT_jT0_jPNS7_10value_typeE.has_recursion, 0
	.set _ZN7rocprim17ROCPRIM_400000_NS6detail31init_lookback_scan_state_kernelINS1_19lookback_scan_stateIjLb0ELb1EEENS1_16block_id_wrapperIjLb0EEEEEvT_jT0_jPNS7_10value_typeE.has_indirect_call, 0
	.section	.AMDGPU.csdata,"",@progbits
; Kernel info:
; codeLenInByte = 356
; TotalNumSgprs: 13
; NumVgprs: 5
; ScratchSize: 0
; MemoryBound: 0
; FloatMode: 240
; IeeeMode: 1
; LDSByteSize: 0 bytes/workgroup (compile time only)
; SGPRBlocks: 0
; VGPRBlocks: 0
; NumSGPRsForWavesPerEU: 13
; NumVGPRsForWavesPerEU: 5
; NamedBarCnt: 0
; Occupancy: 16
; WaveLimiterHint : 0
; COMPUTE_PGM_RSRC2:SCRATCH_EN: 0
; COMPUTE_PGM_RSRC2:USER_SGPR: 2
; COMPUTE_PGM_RSRC2:TRAP_HANDLER: 0
; COMPUTE_PGM_RSRC2:TGID_X_EN: 1
; COMPUTE_PGM_RSRC2:TGID_Y_EN: 0
; COMPUTE_PGM_RSRC2:TGID_Z_EN: 0
; COMPUTE_PGM_RSRC2:TIDIG_COMP_CNT: 0
	.section	.text._ZN7rocprim17ROCPRIM_400000_NS6detail17trampoline_kernelINS0_14default_configENS1_25partition_config_selectorILNS1_17partition_subalgoE8ElNS0_10empty_typeEbEEZZNS1_14partition_implILS5_8ELb0ES3_jPlPS6_PKS6_NS0_5tupleIJS9_S6_EEENSD_IJSA_SA_EEENS0_18inequality_wrapperIZN2at6native12_GLOBAL__N_124unique_dim_cuda_templateIhEESt5tupleIJNSH_6TensorESM_SM_EERKSM_lbbbEUlllE0_EEPmJS6_EEE10hipError_tPvRmT3_T4_T5_T6_T7_T9_mT8_P12ihipStream_tbDpT10_ENKUlT_T0_E_clISt17integral_constantIbLb0EES1C_EEDaS17_S18_EUlS17_E_NS1_11comp_targetILNS1_3genE0ELNS1_11target_archE4294967295ELNS1_3gpuE0ELNS1_3repE0EEENS1_30default_config_static_selectorELNS0_4arch9wavefront6targetE0EEEvT1_,"axG",@progbits,_ZN7rocprim17ROCPRIM_400000_NS6detail17trampoline_kernelINS0_14default_configENS1_25partition_config_selectorILNS1_17partition_subalgoE8ElNS0_10empty_typeEbEEZZNS1_14partition_implILS5_8ELb0ES3_jPlPS6_PKS6_NS0_5tupleIJS9_S6_EEENSD_IJSA_SA_EEENS0_18inequality_wrapperIZN2at6native12_GLOBAL__N_124unique_dim_cuda_templateIhEESt5tupleIJNSH_6TensorESM_SM_EERKSM_lbbbEUlllE0_EEPmJS6_EEE10hipError_tPvRmT3_T4_T5_T6_T7_T9_mT8_P12ihipStream_tbDpT10_ENKUlT_T0_E_clISt17integral_constantIbLb0EES1C_EEDaS17_S18_EUlS17_E_NS1_11comp_targetILNS1_3genE0ELNS1_11target_archE4294967295ELNS1_3gpuE0ELNS1_3repE0EEENS1_30default_config_static_selectorELNS0_4arch9wavefront6targetE0EEEvT1_,comdat
	.globl	_ZN7rocprim17ROCPRIM_400000_NS6detail17trampoline_kernelINS0_14default_configENS1_25partition_config_selectorILNS1_17partition_subalgoE8ElNS0_10empty_typeEbEEZZNS1_14partition_implILS5_8ELb0ES3_jPlPS6_PKS6_NS0_5tupleIJS9_S6_EEENSD_IJSA_SA_EEENS0_18inequality_wrapperIZN2at6native12_GLOBAL__N_124unique_dim_cuda_templateIhEESt5tupleIJNSH_6TensorESM_SM_EERKSM_lbbbEUlllE0_EEPmJS6_EEE10hipError_tPvRmT3_T4_T5_T6_T7_T9_mT8_P12ihipStream_tbDpT10_ENKUlT_T0_E_clISt17integral_constantIbLb0EES1C_EEDaS17_S18_EUlS17_E_NS1_11comp_targetILNS1_3genE0ELNS1_11target_archE4294967295ELNS1_3gpuE0ELNS1_3repE0EEENS1_30default_config_static_selectorELNS0_4arch9wavefront6targetE0EEEvT1_ ; -- Begin function _ZN7rocprim17ROCPRIM_400000_NS6detail17trampoline_kernelINS0_14default_configENS1_25partition_config_selectorILNS1_17partition_subalgoE8ElNS0_10empty_typeEbEEZZNS1_14partition_implILS5_8ELb0ES3_jPlPS6_PKS6_NS0_5tupleIJS9_S6_EEENSD_IJSA_SA_EEENS0_18inequality_wrapperIZN2at6native12_GLOBAL__N_124unique_dim_cuda_templateIhEESt5tupleIJNSH_6TensorESM_SM_EERKSM_lbbbEUlllE0_EEPmJS6_EEE10hipError_tPvRmT3_T4_T5_T6_T7_T9_mT8_P12ihipStream_tbDpT10_ENKUlT_T0_E_clISt17integral_constantIbLb0EES1C_EEDaS17_S18_EUlS17_E_NS1_11comp_targetILNS1_3genE0ELNS1_11target_archE4294967295ELNS1_3gpuE0ELNS1_3repE0EEENS1_30default_config_static_selectorELNS0_4arch9wavefront6targetE0EEEvT1_
	.p2align	8
	.type	_ZN7rocprim17ROCPRIM_400000_NS6detail17trampoline_kernelINS0_14default_configENS1_25partition_config_selectorILNS1_17partition_subalgoE8ElNS0_10empty_typeEbEEZZNS1_14partition_implILS5_8ELb0ES3_jPlPS6_PKS6_NS0_5tupleIJS9_S6_EEENSD_IJSA_SA_EEENS0_18inequality_wrapperIZN2at6native12_GLOBAL__N_124unique_dim_cuda_templateIhEESt5tupleIJNSH_6TensorESM_SM_EERKSM_lbbbEUlllE0_EEPmJS6_EEE10hipError_tPvRmT3_T4_T5_T6_T7_T9_mT8_P12ihipStream_tbDpT10_ENKUlT_T0_E_clISt17integral_constantIbLb0EES1C_EEDaS17_S18_EUlS17_E_NS1_11comp_targetILNS1_3genE0ELNS1_11target_archE4294967295ELNS1_3gpuE0ELNS1_3repE0EEENS1_30default_config_static_selectorELNS0_4arch9wavefront6targetE0EEEvT1_,@function
_ZN7rocprim17ROCPRIM_400000_NS6detail17trampoline_kernelINS0_14default_configENS1_25partition_config_selectorILNS1_17partition_subalgoE8ElNS0_10empty_typeEbEEZZNS1_14partition_implILS5_8ELb0ES3_jPlPS6_PKS6_NS0_5tupleIJS9_S6_EEENSD_IJSA_SA_EEENS0_18inequality_wrapperIZN2at6native12_GLOBAL__N_124unique_dim_cuda_templateIhEESt5tupleIJNSH_6TensorESM_SM_EERKSM_lbbbEUlllE0_EEPmJS6_EEE10hipError_tPvRmT3_T4_T5_T6_T7_T9_mT8_P12ihipStream_tbDpT10_ENKUlT_T0_E_clISt17integral_constantIbLb0EES1C_EEDaS17_S18_EUlS17_E_NS1_11comp_targetILNS1_3genE0ELNS1_11target_archE4294967295ELNS1_3gpuE0ELNS1_3repE0EEENS1_30default_config_static_selectorELNS0_4arch9wavefront6targetE0EEEvT1_: ; @_ZN7rocprim17ROCPRIM_400000_NS6detail17trampoline_kernelINS0_14default_configENS1_25partition_config_selectorILNS1_17partition_subalgoE8ElNS0_10empty_typeEbEEZZNS1_14partition_implILS5_8ELb0ES3_jPlPS6_PKS6_NS0_5tupleIJS9_S6_EEENSD_IJSA_SA_EEENS0_18inequality_wrapperIZN2at6native12_GLOBAL__N_124unique_dim_cuda_templateIhEESt5tupleIJNSH_6TensorESM_SM_EERKSM_lbbbEUlllE0_EEPmJS6_EEE10hipError_tPvRmT3_T4_T5_T6_T7_T9_mT8_P12ihipStream_tbDpT10_ENKUlT_T0_E_clISt17integral_constantIbLb0EES1C_EEDaS17_S18_EUlS17_E_NS1_11comp_targetILNS1_3genE0ELNS1_11target_archE4294967295ELNS1_3gpuE0ELNS1_3repE0EEENS1_30default_config_static_selectorELNS0_4arch9wavefront6targetE0EEEvT1_
; %bb.0:
	s_clause 0x3
	s_load_b128 s[4:7], s[0:1], 0x8
	s_load_b256 s[12:19], s[0:1], 0x40
	s_load_b32 s24, s[0:1], 0x70
	s_load_b128 s[8:11], s[0:1], 0x60
	s_bfe_u32 s20, ttmp6, 0x4000c
	s_and_b32 s2, ttmp6, 15
	s_add_co_i32 s20, s20, 1
	s_mov_b32 s3, 0
	s_mul_i32 s20, ttmp9, s20
	s_getreg_b32 s22, hwreg(HW_REG_IB_STS2, 6, 4)
	s_add_co_i32 s20, s2, s20
	s_mov_b32 s25, s3
	v_dual_mov_b32 v1, v0 :: v_dual_lshlrev_b32 v18, 3, v0
	s_mov_b32 s21, -1
	s_wait_kmcnt 0x0
	s_lshl_b64 s[26:27], s[6:7], 3
	s_load_b64 s[14:15], s[14:15], 0x0
	s_mul_i32 s2, s24, 0xe00
	s_cmp_eq_u32 s22, 0
	s_add_nc_u64 s[22:23], s[6:7], s[2:3]
	s_cselect_b32 s20, ttmp9, s20
	s_add_co_i32 s2, s2, s6
	v_cmp_le_u64_e64 s17, s[16:17], s[22:23]
	s_add_co_i32 s24, s24, -1
	s_sub_co_i32 s23, s16, s2
	s_cmp_eq_u32 s20, s24
	s_mul_i32 s24, s20, 0xe00
	s_cselect_b32 s16, -1, 0
	s_add_nc_u64 s[2:3], s[4:5], s[26:27]
	s_and_b32 s22, s16, s17
	s_lshl_b64 s[4:5], s[24:25], 3
	s_xor_b32 s17, s22, -1
	s_add_nc_u64 s[2:3], s[2:3], s[4:5]
	s_and_b32 vcc_lo, exec_lo, s17
	s_cbranch_vccz .LBB161_2
; %bb.1:
	s_clause 0x6
	global_load_b64 v[2:3], v0, s[2:3] scale_offset
	global_load_b64 v[4:5], v0, s[2:3] offset:4096 scale_offset
	global_load_b64 v[6:7], v0, s[2:3] offset:8192 scale_offset
	;; [unrolled: 1-line block ×6, first 2 shown]
	v_lshlrev_b32_e32 v16, 3, v0
	s_mov_b32 s21, 0
	s_wait_loadcnt 0x5
	ds_store_2addr_stride64_b64 v16, v[2:3], v[4:5] offset1:8
	s_wait_loadcnt 0x3
	ds_store_2addr_stride64_b64 v16, v[6:7], v[8:9] offset0:16 offset1:24
	s_wait_loadcnt 0x1
	ds_store_2addr_stride64_b64 v16, v[10:11], v[12:13] offset0:32 offset1:40
	s_wait_loadcnt 0x0
	ds_store_b64 v16, v[14:15] offset:24576
	s_wait_dscnt 0x0
	s_barrier_signal -1
	s_barrier_wait -1
.LBB161_2:
	s_and_not1_b32 vcc_lo, exec_lo, s21
	s_add_co_i32 s21, s23, 0xe00
	s_cbranch_vccnz .LBB161_18
; %bb.3:
	v_mov_b32_e32 v2, 0
	s_mov_b32 s4, exec_lo
	s_delay_alu instid0(VALU_DEP_1)
	v_dual_mov_b32 v3, v2 :: v_dual_mov_b32 v4, v2
	v_dual_mov_b32 v5, v2 :: v_dual_mov_b32 v6, v2
	;; [unrolled: 1-line block ×6, first 2 shown]
	v_mov_b32_e32 v15, v2
	v_cmpx_gt_u32_e64 s21, v0
	s_cbranch_execz .LBB161_5
; %bb.4:
	global_load_b64 v[4:5], v0, s[2:3] scale_offset
	v_dual_mov_b32 v6, v2 :: v_dual_mov_b32 v7, v2
	v_dual_mov_b32 v8, v2 :: v_dual_mov_b32 v9, v2
	;; [unrolled: 1-line block ×6, first 2 shown]
	s_wait_loadcnt 0x0
	v_mov_b64_e32 v[2:3], v[4:5]
	v_mov_b64_e32 v[4:5], v[6:7]
	;; [unrolled: 1-line block ×8, first 2 shown]
.LBB161_5:
	s_or_b32 exec_lo, exec_lo, s4
	v_or_b32_e32 v16, 0x200, v0
	s_mov_b32 s4, exec_lo
	s_delay_alu instid0(VALU_DEP_1)
	v_cmpx_gt_u32_e64 s21, v16
	s_cbranch_execz .LBB161_7
; %bb.6:
	global_load_b64 v[4:5], v0, s[2:3] offset:4096 scale_offset
.LBB161_7:
	s_wait_xcnt 0x0
	s_or_b32 exec_lo, exec_lo, s4
	v_or_b32_e32 v16, 0x400, v0
	s_mov_b32 s4, exec_lo
	s_delay_alu instid0(VALU_DEP_1)
	v_cmpx_gt_u32_e64 s21, v16
	s_cbranch_execz .LBB161_9
; %bb.8:
	global_load_b64 v[6:7], v0, s[2:3] offset:8192 scale_offset
.LBB161_9:
	s_wait_xcnt 0x0
	;; [unrolled: 10-line block ×6, first 2 shown]
	s_or_b32 exec_lo, exec_lo, s4
	v_lshlrev_b32_e32 v16, 3, v0
	s_wait_loadcnt 0x0
	ds_store_2addr_stride64_b64 v16, v[2:3], v[4:5] offset1:8
	ds_store_2addr_stride64_b64 v16, v[6:7], v[8:9] offset0:16 offset1:24
	ds_store_2addr_stride64_b64 v16, v[10:11], v[12:13] offset0:32 offset1:40
	ds_store_b64 v16, v[14:15] offset:24576
	s_wait_dscnt 0x0
	s_barrier_signal -1
	s_barrier_wait -1
.LBB161_18:
	v_mul_u32_u24_e32 v19, 7, v0
	s_cmp_lg_u32 s20, 0
	v_cmp_gt_i64_e64 s24, s[18:19], 0
	s_cselect_b32 s23, -1, 0
	v_lshlrev_b32_e32 v26, 3, v19
	s_cmp_lg_u64 s[6:7], 0
	s_mov_b32 s6, 0
	s_cselect_b32 s4, -1, 0
	ds_load_2addr_b64 v[10:13], v26 offset1:1
	ds_load_2addr_b64 v[6:9], v26 offset0:2 offset1:3
	ds_load_2addr_b64 v[2:5], v26 offset0:4 offset1:5
	ds_load_b64 v[14:15], v26 offset:48
	s_or_b32 s4, s23, s4
	s_wait_dscnt 0x0
	s_and_b32 vcc_lo, exec_lo, s4
	s_barrier_signal -1
	s_barrier_wait -1
	s_cbranch_vccz .LBB161_34
; %bb.19:
	s_add_nc_u64 s[2:3], s[2:3], -8
	v_cndmask_b32_e64 v27, 0, 1, s24
	s_load_b64 s[4:5], s[2:3], 0x0
	v_lshlrev_b32_e32 v28, 3, v0
	s_and_b32 vcc_lo, exec_lo, s17
	s_wait_xcnt 0x0
	v_cmp_ne_u32_e64 s2, 1, v27
	ds_store_b64 v28, v[14:15]
	s_cbranch_vccz .LBB161_36
; %bb.20:
	s_and_b32 vcc_lo, exec_lo, s2
	s_cbranch_vccnz .LBB161_37
; %bb.21:
	v_mad_nc_u64_u32 v[16:17], v4, s18, s[8:9]
	v_mad_nc_u64_u32 v[20:21], v14, s18, s[8:9]
	s_add_nc_u64 s[6:7], s[18:19], -1
	s_mov_b32 s26, 0
	s_mov_b64 s[2:3], s[6:7]
                                        ; implicit-def: $sgpr25
	s_delay_alu instid0(VALU_DEP_2) | instskip(NEXT) | instid1(VALU_DEP_2)
	v_mad_u32 v17, v5, s18, v17
	v_mad_u32 v21, v15, s18, v21
	s_delay_alu instid0(VALU_DEP_2) | instskip(NEXT) | instid1(VALU_DEP_2)
	v_mad_u32 v17, v4, s19, v17
	v_mad_u32 v21, v14, s19, v21
	s_delay_alu instid0(VALU_DEP_2)
	v_mov_b64_e32 v[22:23], v[16:17]
.LBB161_22:                             ; =>This Inner Loop Header: Depth=1
	global_load_u8 v24, v[22:23], off
	global_load_u8 v25, v[20:21], off
	s_cmp_eq_u64 s[2:3], 0
	s_add_nc_u64 s[28:29], s[2:3], -1
	s_cselect_b32 s3, -1, 0
	s_wait_xcnt 0x1
	v_add_nc_u64_e32 v[22:23], 1, v[22:23]
	s_wait_xcnt 0x0
	v_add_nc_u64_e32 v[20:21], 1, v[20:21]
	s_wait_loadcnt 0x0
	v_cmp_ne_u16_e32 vcc_lo, v24, v25
	v_cmp_eq_u16_e64 s2, v24, v25
	s_or_b32 s3, vcc_lo, s3
	s_delay_alu instid0(SALU_CYCLE_1) | instskip(NEXT) | instid1(SALU_CYCLE_1)
	s_and_b32 s3, exec_lo, s3
	s_or_b32 s26, s3, s26
	s_and_not1_b32 s25, s25, exec_lo
	s_and_b32 s27, s2, exec_lo
	s_mov_b64 s[2:3], s[28:29]
	s_or_b32 s25, s25, s27
	s_and_not1_b32 exec_lo, exec_lo, s26
	s_cbranch_execnz .LBB161_22
; %bb.23:
	s_or_b32 exec_lo, exec_lo, s26
	v_mad_nc_u64_u32 v[20:21], v2, s18, s[8:9]
	s_mov_b32 s27, 0
	s_mov_b64 s[2:3], s[6:7]
                                        ; implicit-def: $sgpr26
	s_delay_alu instid0(VALU_DEP_1) | instskip(NEXT) | instid1(VALU_DEP_1)
	v_mad_u32 v21, v3, s18, v21
	v_mad_u32 v21, v2, s19, v21
	s_delay_alu instid0(VALU_DEP_1)
	v_mov_b64_e32 v[22:23], v[20:21]
.LBB161_24:                             ; =>This Inner Loop Header: Depth=1
	global_load_u8 v24, v[22:23], off
	global_load_u8 v25, v[16:17], off
	s_cmp_eq_u64 s[2:3], 0
	s_add_nc_u64 s[28:29], s[2:3], -1
	s_cselect_b32 s3, -1, 0
	s_wait_xcnt 0x1
	v_add_nc_u64_e32 v[22:23], 1, v[22:23]
	s_wait_xcnt 0x0
	v_add_nc_u64_e32 v[16:17], 1, v[16:17]
	s_wait_loadcnt 0x0
	v_cmp_ne_u16_e32 vcc_lo, v24, v25
	v_cmp_eq_u16_e64 s2, v24, v25
	s_or_b32 s3, vcc_lo, s3
	s_delay_alu instid0(SALU_CYCLE_1) | instskip(NEXT) | instid1(SALU_CYCLE_1)
	s_and_b32 s3, exec_lo, s3
	s_or_b32 s27, s3, s27
	s_and_not1_b32 s26, s26, exec_lo
	s_and_b32 s30, s2, exec_lo
	s_mov_b64 s[2:3], s[28:29]
	s_or_b32 s26, s26, s30
	s_and_not1_b32 exec_lo, exec_lo, s27
	s_cbranch_execnz .LBB161_24
; %bb.25:
	s_or_b32 exec_lo, exec_lo, s27
	v_mad_nc_u64_u32 v[16:17], v8, s18, s[8:9]
	s_mov_b32 s28, 0
	s_mov_b64 s[2:3], s[6:7]
                                        ; implicit-def: $sgpr27
	s_delay_alu instid0(VALU_DEP_1) | instskip(NEXT) | instid1(VALU_DEP_1)
	v_mad_u32 v17, v9, s18, v17
	v_mad_u32 v17, v8, s19, v17
	s_delay_alu instid0(VALU_DEP_1)
	v_mov_b64_e32 v[22:23], v[16:17]
.LBB161_26:                             ; =>This Inner Loop Header: Depth=1
	global_load_u8 v24, v[22:23], off
	global_load_u8 v25, v[20:21], off
	s_cmp_eq_u64 s[2:3], 0
	s_add_nc_u64 s[30:31], s[2:3], -1
	s_cselect_b32 s3, -1, 0
	s_wait_xcnt 0x1
	v_add_nc_u64_e32 v[22:23], 1, v[22:23]
	s_wait_xcnt 0x0
	v_add_nc_u64_e32 v[20:21], 1, v[20:21]
	s_wait_loadcnt 0x0
	v_cmp_ne_u16_e32 vcc_lo, v24, v25
	v_cmp_eq_u16_e64 s2, v24, v25
	s_or_b32 s3, vcc_lo, s3
	s_delay_alu instid0(SALU_CYCLE_1) | instskip(NEXT) | instid1(SALU_CYCLE_1)
	s_and_b32 s3, exec_lo, s3
	s_or_b32 s28, s3, s28
	s_and_not1_b32 s27, s27, exec_lo
	s_and_b32 s29, s2, exec_lo
	s_mov_b64 s[2:3], s[30:31]
	s_or_b32 s27, s27, s29
	s_and_not1_b32 exec_lo, exec_lo, s28
	s_cbranch_execnz .LBB161_26
; %bb.27:
	s_or_b32 exec_lo, exec_lo, s28
	v_mad_nc_u64_u32 v[20:21], v6, s18, s[8:9]
	s_mov_b32 s29, 0
	s_mov_b64 s[2:3], s[6:7]
                                        ; implicit-def: $sgpr28
	s_delay_alu instid0(VALU_DEP_1) | instskip(NEXT) | instid1(VALU_DEP_1)
	v_mad_u32 v21, v7, s18, v21
	v_mad_u32 v21, v6, s19, v21
	s_delay_alu instid0(VALU_DEP_1)
	v_mov_b64_e32 v[22:23], v[20:21]
.LBB161_28:                             ; =>This Inner Loop Header: Depth=1
	global_load_u8 v24, v[22:23], off
	global_load_u8 v25, v[16:17], off
	s_cmp_eq_u64 s[2:3], 0
	s_add_nc_u64 s[30:31], s[2:3], -1
	s_cselect_b32 s3, -1, 0
	s_wait_xcnt 0x1
	v_add_nc_u64_e32 v[22:23], 1, v[22:23]
	s_wait_xcnt 0x0
	v_add_nc_u64_e32 v[16:17], 1, v[16:17]
	s_wait_loadcnt 0x0
	v_cmp_ne_u16_e32 vcc_lo, v24, v25
	v_cmp_eq_u16_e64 s2, v24, v25
	s_or_b32 s3, vcc_lo, s3
	s_delay_alu instid0(SALU_CYCLE_1) | instskip(NEXT) | instid1(SALU_CYCLE_1)
	s_and_b32 s3, exec_lo, s3
	s_or_b32 s29, s3, s29
	s_and_not1_b32 s28, s28, exec_lo
	s_and_b32 s33, s2, exec_lo
	s_mov_b64 s[2:3], s[30:31]
	s_or_b32 s28, s28, s33
	s_and_not1_b32 exec_lo, exec_lo, s29
	s_cbranch_execnz .LBB161_28
; %bb.29:
	s_or_b32 exec_lo, exec_lo, s29
	v_mad_nc_u64_u32 v[16:17], v12, s18, s[8:9]
	s_mov_b32 s30, 0
	s_mov_b64 s[2:3], s[6:7]
                                        ; implicit-def: $sgpr29
	s_delay_alu instid0(VALU_DEP_1) | instskip(NEXT) | instid1(VALU_DEP_1)
	v_mad_u32 v17, v13, s18, v17
	v_mad_u32 v17, v12, s19, v17
	s_delay_alu instid0(VALU_DEP_1)
	v_mov_b64_e32 v[22:23], v[16:17]
.LBB161_30:                             ; =>This Inner Loop Header: Depth=1
	global_load_u8 v24, v[22:23], off
	global_load_u8 v25, v[20:21], off
	s_cmp_eq_u64 s[2:3], 0
	s_add_nc_u64 s[34:35], s[2:3], -1
	s_cselect_b32 s3, -1, 0
	s_wait_xcnt 0x1
	v_add_nc_u64_e32 v[22:23], 1, v[22:23]
	s_wait_xcnt 0x0
	v_add_nc_u64_e32 v[20:21], 1, v[20:21]
	s_wait_loadcnt 0x0
	v_cmp_ne_u16_e32 vcc_lo, v24, v25
	v_cmp_eq_u16_e64 s2, v24, v25
	s_or_b32 s3, vcc_lo, s3
	s_delay_alu instid0(SALU_CYCLE_1) | instskip(NEXT) | instid1(SALU_CYCLE_1)
	s_and_b32 s3, exec_lo, s3
	s_or_b32 s30, s3, s30
	s_and_not1_b32 s29, s29, exec_lo
	s_and_b32 s31, s2, exec_lo
	s_mov_b64 s[2:3], s[34:35]
	s_or_b32 s29, s29, s31
	s_and_not1_b32 exec_lo, exec_lo, s30
	s_cbranch_execnz .LBB161_30
; %bb.31:
	s_or_b32 exec_lo, exec_lo, s30
	v_mad_nc_u64_u32 v[20:21], v10, s18, s[8:9]
	s_mov_b32 s30, 0
                                        ; implicit-def: $sgpr3
	s_delay_alu instid0(VALU_DEP_1) | instskip(NEXT) | instid1(VALU_DEP_1)
	v_mad_u32 v21, v11, s18, v21
	v_mad_u32 v21, v10, s19, v21
.LBB161_32:                             ; =>This Inner Loop Header: Depth=1
	global_load_u8 v22, v[20:21], off
	global_load_u8 v23, v[16:17], off
	s_cmp_eq_u64 s[6:7], 0
	s_add_nc_u64 s[34:35], s[6:7], -1
	s_cselect_b32 s6, -1, 0
	s_wait_xcnt 0x1
	v_add_nc_u64_e32 v[20:21], 1, v[20:21]
	s_wait_xcnt 0x0
	v_add_nc_u64_e32 v[16:17], 1, v[16:17]
	s_wait_loadcnt 0x0
	v_cmp_ne_u16_e32 vcc_lo, v22, v23
	v_cmp_eq_u16_e64 s2, v22, v23
	s_or_b32 s6, vcc_lo, s6
	s_delay_alu instid0(SALU_CYCLE_1) | instskip(NEXT) | instid1(SALU_CYCLE_1)
	s_and_b32 s6, exec_lo, s6
	s_or_b32 s30, s6, s30
	s_and_not1_b32 s3, s3, exec_lo
	s_and_b32 s2, s2, exec_lo
	s_mov_b64 s[6:7], s[34:35]
	s_or_b32 s3, s3, s2
	s_and_not1_b32 exec_lo, exec_lo, s30
	s_cbranch_execnz .LBB161_32
; %bb.33:
	s_or_b32 exec_lo, exec_lo, s30
	s_xor_b32 s2, s28, -1
	s_xor_b32 s3, s3, -1
	v_cndmask_b32_e64 v16, 0, 1, s2
	s_xor_b32 s2, s29, -1
	s_delay_alu instid0(SALU_CYCLE_1) | instskip(SKIP_1) | instid1(VALU_DEP_2)
	v_cndmask_b32_e64 v17, 0, 1, s2
	s_xor_b32 s2, s26, -1
	v_lshlrev_b16 v16, 8, v16
	v_cndmask_b32_e64 v31, 0, 1, s2
	s_xor_b32 s2, s25, -1
	s_delay_alu instid0(SALU_CYCLE_1) | instskip(NEXT) | instid1(VALU_DEP_3)
	v_cndmask_b32_e64 v30, 0, 1, s2
	v_lshrrev_b32_e32 v16, 8, v16
	s_xor_b32 s2, s27, -1
	s_delay_alu instid0(VALU_DEP_1) | instskip(NEXT) | instid1(VALU_DEP_1)
	v_and_b32_e32 v16, 1, v16
	v_lshlrev_b16 v16, 8, v16
	s_delay_alu instid0(VALU_DEP_1) | instskip(SKIP_1) | instid1(VALU_DEP_2)
	v_or_b32_e32 v16, v17, v16
	v_cndmask_b32_e64 v17, 0, 1, s2
	v_lshlrev_b32_e32 v16, 16, v16
	s_branch .LBB161_38
.LBB161_34:
                                        ; implicit-def: $sgpr2
                                        ; implicit-def: $vgpr30
                                        ; implicit-def: $vgpr31
                                        ; implicit-def: $vgpr17
                                        ; implicit-def: $vgpr21
	s_branch .LBB161_91
.LBB161_35:
                                        ; implicit-def: $vgpr33
                                        ; implicit-def: $vgpr32
                                        ; implicit-def: $vgpr20
	s_branch .LBB161_160
.LBB161_36:
                                        ; implicit-def: $sgpr2
                                        ; implicit-def: $vgpr30
                                        ; implicit-def: $vgpr31
                                        ; implicit-def: $vgpr17
                                        ; implicit-def: $vgpr21
	s_cbranch_execnz .LBB161_45
	s_branch .LBB161_90
.LBB161_37:
	v_dual_mov_b32 v16, 0 :: v_dual_mov_b32 v30, 0
	v_dual_mov_b32 v31, 0 :: v_dual_mov_b32 v17, 0
	s_mov_b32 s3, 0
.LBB161_38:
	s_wait_kmcnt 0x0
	v_mov_b64_e32 v[24:25], s[4:5]
	s_mov_b32 s2, 0
	s_mov_b32 s6, exec_lo
	s_wait_dscnt 0x0
	s_barrier_signal -1
	s_barrier_wait -1
	v_cmpx_ne_u32_e32 0, v0
; %bb.39:
	v_add_nc_u32_e32 v20, -8, v28
	ds_load_b64 v[24:25], v20
; %bb.40:
	s_or_b32 exec_lo, exec_lo, s6
	v_cndmask_b32_e64 v20, 0, 1, s3
	v_lshrrev_b32_e32 v21, 16, v16
	s_and_not1_b32 vcc_lo, exec_lo, s24
	s_delay_alu instid0(VALU_DEP_2) | instskip(NEXT) | instid1(VALU_DEP_1)
	v_lshlrev_b16 v20, 8, v20
	v_bitop3_b16 v20, v16, v20, 0xff bitop3:0xec
	s_delay_alu instid0(VALU_DEP_3) | instskip(NEXT) | instid1(VALU_DEP_2)
	v_perm_b32 v16, v21, v16, 0xc0c0304
	v_and_b32_e32 v29, 0xffff, v20
	s_cbranch_vccnz .LBB161_44
; %bb.41:
	s_wait_dscnt 0x0
	v_mad_nc_u64_u32 v[20:21], v24, s18, s[8:9]
	v_mad_nc_u64_u32 v[22:23], v10, s18, s[8:9]
	s_add_nc_u64 s[2:3], s[18:19], -1
	s_mov_b32 s6, 0
                                        ; implicit-def: $sgpr7
	s_delay_alu instid0(VALU_DEP_2) | instskip(NEXT) | instid1(VALU_DEP_2)
	v_mad_u32 v21, v25, s18, v21
	v_mad_u32 v23, v11, s18, v23
	s_delay_alu instid0(VALU_DEP_2) | instskip(NEXT) | instid1(VALU_DEP_2)
	v_mad_u32 v21, v24, s19, v21
	v_mad_u32 v23, v10, s19, v23
.LBB161_42:                             ; =>This Inner Loop Header: Depth=1
	global_load_u8 v24, v[20:21], off
	global_load_u8 v25, v[22:23], off
	s_cmp_eq_u64 s[2:3], 0
	s_add_nc_u64 s[26:27], s[2:3], -1
	s_cselect_b32 s3, -1, 0
	s_wait_xcnt 0x1
	v_add_nc_u64_e32 v[20:21], 1, v[20:21]
	s_wait_xcnt 0x0
	v_add_nc_u64_e32 v[22:23], 1, v[22:23]
	s_wait_loadcnt 0x0
	v_cmp_ne_u16_e32 vcc_lo, v24, v25
	v_cmp_eq_u16_e64 s2, v24, v25
	s_or_b32 s3, vcc_lo, s3
	s_delay_alu instid0(SALU_CYCLE_1) | instskip(NEXT) | instid1(SALU_CYCLE_1)
	s_and_b32 s3, exec_lo, s3
	s_or_b32 s6, s3, s6
	s_and_not1_b32 s7, s7, exec_lo
	s_and_b32 s25, s2, exec_lo
	s_mov_b64 s[2:3], s[26:27]
	s_or_b32 s7, s7, s25
	s_and_not1_b32 exec_lo, exec_lo, s6
	s_cbranch_execnz .LBB161_42
; %bb.43:
	s_or_b32 exec_lo, exec_lo, s6
	s_xor_b32 s2, s7, -1
.LBB161_44:
	s_delay_alu instid0(VALU_DEP_1)
	v_lshl_or_b32 v21, v16, 16, v29
	s_branch .LBB161_90
.LBB161_45:
	v_add_nc_u32_e32 v16, 6, v19
	s_mov_b32 s7, 0
	s_mov_b32 s6, 0
	s_mov_b32 s25, exec_lo
	s_delay_alu instid0(VALU_DEP_1)
	v_cmpx_gt_u32_e64 s21, v16
	s_cbranch_execz .LBB161_51
; %bb.46:
	s_and_not1_b32 vcc_lo, exec_lo, s24
	s_mov_b32 s2, 0
	s_cbranch_vccnz .LBB161_50
; %bb.47:
	v_mad_nc_u64_u32 v[16:17], v4, s18, s[8:9]
	v_mad_nc_u64_u32 v[20:21], v14, s18, s[8:9]
	s_add_nc_u64 s[2:3], s[18:19], -1
                                        ; implicit-def: $sgpr24
	s_delay_alu instid0(VALU_DEP_2) | instskip(NEXT) | instid1(VALU_DEP_2)
	v_mad_u32 v17, v5, s18, v17
	v_mad_u32 v21, v15, s18, v21
	s_delay_alu instid0(VALU_DEP_2) | instskip(NEXT) | instid1(VALU_DEP_2)
	v_mad_u32 v17, v4, s19, v17
	v_mad_u32 v21, v14, s19, v21
.LBB161_48:                             ; =>This Inner Loop Header: Depth=1
	global_load_u8 v22, v[16:17], off
	global_load_u8 v23, v[20:21], off
	s_cmp_eq_u64 s[2:3], 0
	s_add_nc_u64 s[26:27], s[2:3], -1
	s_cselect_b32 s3, -1, 0
	s_wait_xcnt 0x1
	v_add_nc_u64_e32 v[16:17], 1, v[16:17]
	s_wait_xcnt 0x0
	v_add_nc_u64_e32 v[20:21], 1, v[20:21]
	s_wait_loadcnt 0x0
	v_cmp_ne_u16_e32 vcc_lo, v22, v23
	v_cmp_eq_u16_e64 s2, v22, v23
	s_or_b32 s3, vcc_lo, s3
	s_delay_alu instid0(SALU_CYCLE_1) | instskip(NEXT) | instid1(SALU_CYCLE_1)
	s_and_b32 s3, exec_lo, s3
	s_or_b32 s6, s3, s6
	s_and_not1_b32 s24, s24, exec_lo
	s_and_b32 s28, s2, exec_lo
	s_mov_b64 s[2:3], s[26:27]
	s_or_b32 s24, s24, s28
	s_and_not1_b32 exec_lo, exec_lo, s6
	s_cbranch_execnz .LBB161_48
; %bb.49:
	s_or_b32 exec_lo, exec_lo, s6
	s_xor_b32 s2, s24, -1
.LBB161_50:
	s_delay_alu instid0(SALU_CYCLE_1)
	s_and_b32 s6, s2, exec_lo
.LBB161_51:
	s_or_b32 exec_lo, exec_lo, s25
	v_add_nc_u32_e32 v16, 5, v19
	s_mov_b32 s24, exec_lo
	s_delay_alu instid0(VALU_DEP_1)
	v_cmpx_gt_u32_e64 s21, v16
	s_cbranch_execz .LBB161_57
; %bb.52:
	v_cmp_ne_u32_e32 vcc_lo, 1, v27
	s_mov_b32 s2, 0
	s_cbranch_vccnz .LBB161_56
; %bb.53:
	v_mad_nc_u64_u32 v[16:17], v2, s18, s[8:9]
	v_mad_nc_u64_u32 v[20:21], v4, s18, s[8:9]
	s_add_nc_u64 s[2:3], s[18:19], -1
	s_mov_b32 s7, 0
                                        ; implicit-def: $sgpr25
	s_delay_alu instid0(VALU_DEP_2) | instskip(NEXT) | instid1(VALU_DEP_2)
	v_mad_u32 v17, v3, s18, v17
	v_mad_u32 v21, v5, s18, v21
	s_delay_alu instid0(VALU_DEP_2) | instskip(NEXT) | instid1(VALU_DEP_2)
	v_mad_u32 v17, v2, s19, v17
	v_mad_u32 v21, v4, s19, v21
.LBB161_54:                             ; =>This Inner Loop Header: Depth=1
	global_load_u8 v22, v[16:17], off
	global_load_u8 v23, v[20:21], off
	s_cmp_eq_u64 s[2:3], 0
	s_add_nc_u64 s[26:27], s[2:3], -1
	s_cselect_b32 s3, -1, 0
	s_wait_xcnt 0x1
	v_add_nc_u64_e32 v[16:17], 1, v[16:17]
	s_wait_xcnt 0x0
	v_add_nc_u64_e32 v[20:21], 1, v[20:21]
	s_wait_loadcnt 0x0
	v_cmp_ne_u16_e32 vcc_lo, v22, v23
	v_cmp_eq_u16_e64 s2, v22, v23
	s_or_b32 s3, vcc_lo, s3
	s_delay_alu instid0(SALU_CYCLE_1) | instskip(NEXT) | instid1(SALU_CYCLE_1)
	s_and_b32 s3, exec_lo, s3
	s_or_b32 s7, s3, s7
	s_and_not1_b32 s25, s25, exec_lo
	s_and_b32 s28, s2, exec_lo
	s_mov_b64 s[2:3], s[26:27]
	s_or_b32 s25, s25, s28
	s_and_not1_b32 exec_lo, exec_lo, s7
	s_cbranch_execnz .LBB161_54
; %bb.55:
	s_or_b32 exec_lo, exec_lo, s7
	s_xor_b32 s2, s25, -1
.LBB161_56:
	s_delay_alu instid0(SALU_CYCLE_1)
	s_and_b32 s7, s2, exec_lo
.LBB161_57:
	s_or_b32 exec_lo, exec_lo, s24
	v_add_nc_u32_e32 v16, 4, v19
	s_mov_b32 s25, 0
	s_mov_b32 s24, 0
	s_mov_b32 s26, exec_lo
	s_delay_alu instid0(VALU_DEP_1)
	v_cmpx_gt_u32_e64 s21, v16
	s_cbranch_execz .LBB161_63
; %bb.58:
	v_cmp_ne_u32_e32 vcc_lo, 1, v27
	s_mov_b32 s2, 0
	s_cbranch_vccnz .LBB161_62
; %bb.59:
	v_mad_nc_u64_u32 v[16:17], v8, s18, s[8:9]
	v_mad_nc_u64_u32 v[20:21], v2, s18, s[8:9]
	s_add_nc_u64 s[2:3], s[18:19], -1
                                        ; implicit-def: $sgpr27
	s_delay_alu instid0(VALU_DEP_2) | instskip(NEXT) | instid1(VALU_DEP_2)
	v_mad_u32 v17, v9, s18, v17
	v_mad_u32 v21, v3, s18, v21
	s_delay_alu instid0(VALU_DEP_2) | instskip(NEXT) | instid1(VALU_DEP_2)
	v_mad_u32 v17, v8, s19, v17
	v_mad_u32 v21, v2, s19, v21
.LBB161_60:                             ; =>This Inner Loop Header: Depth=1
	global_load_u8 v22, v[16:17], off
	global_load_u8 v23, v[20:21], off
	s_cmp_eq_u64 s[2:3], 0
	s_add_nc_u64 s[28:29], s[2:3], -1
	s_cselect_b32 s3, -1, 0
	s_wait_xcnt 0x1
	v_add_nc_u64_e32 v[16:17], 1, v[16:17]
	s_wait_xcnt 0x0
	v_add_nc_u64_e32 v[20:21], 1, v[20:21]
	s_wait_loadcnt 0x0
	v_cmp_ne_u16_e32 vcc_lo, v22, v23
	v_cmp_eq_u16_e64 s2, v22, v23
	s_or_b32 s3, vcc_lo, s3
	s_delay_alu instid0(SALU_CYCLE_1) | instskip(NEXT) | instid1(SALU_CYCLE_1)
	s_and_b32 s3, exec_lo, s3
	s_or_b32 s24, s3, s24
	s_and_not1_b32 s27, s27, exec_lo
	s_and_b32 s30, s2, exec_lo
	s_mov_b64 s[2:3], s[28:29]
	s_or_b32 s27, s27, s30
	s_and_not1_b32 exec_lo, exec_lo, s24
	s_cbranch_execnz .LBB161_60
; %bb.61:
	s_or_b32 exec_lo, exec_lo, s24
	s_xor_b32 s2, s27, -1
.LBB161_62:
	s_delay_alu instid0(SALU_CYCLE_1)
	s_and_b32 s24, s2, exec_lo
.LBB161_63:
	s_or_b32 exec_lo, exec_lo, s26
	v_add_nc_u32_e32 v16, 3, v19
	s_mov_b32 s26, exec_lo
	s_delay_alu instid0(VALU_DEP_1)
	v_cmpx_gt_u32_e64 s21, v16
	s_cbranch_execz .LBB161_69
; %bb.64:
	v_cmp_ne_u32_e32 vcc_lo, 1, v27
	s_mov_b32 s2, 0
	s_cbranch_vccnz .LBB161_68
; %bb.65:
	v_mad_nc_u64_u32 v[16:17], v6, s18, s[8:9]
	v_mad_nc_u64_u32 v[20:21], v8, s18, s[8:9]
	s_add_nc_u64 s[2:3], s[18:19], -1
	s_mov_b32 s25, 0
                                        ; implicit-def: $sgpr27
	s_delay_alu instid0(VALU_DEP_2) | instskip(NEXT) | instid1(VALU_DEP_2)
	v_mad_u32 v17, v7, s18, v17
	v_mad_u32 v21, v9, s18, v21
	s_delay_alu instid0(VALU_DEP_2) | instskip(NEXT) | instid1(VALU_DEP_2)
	v_mad_u32 v17, v6, s19, v17
	v_mad_u32 v21, v8, s19, v21
.LBB161_66:                             ; =>This Inner Loop Header: Depth=1
	global_load_u8 v22, v[16:17], off
	global_load_u8 v23, v[20:21], off
	s_cmp_eq_u64 s[2:3], 0
	s_add_nc_u64 s[28:29], s[2:3], -1
	s_cselect_b32 s3, -1, 0
	s_wait_xcnt 0x1
	v_add_nc_u64_e32 v[16:17], 1, v[16:17]
	s_wait_xcnt 0x0
	v_add_nc_u64_e32 v[20:21], 1, v[20:21]
	s_wait_loadcnt 0x0
	v_cmp_ne_u16_e32 vcc_lo, v22, v23
	v_cmp_eq_u16_e64 s2, v22, v23
	s_or_b32 s3, vcc_lo, s3
	s_delay_alu instid0(SALU_CYCLE_1) | instskip(NEXT) | instid1(SALU_CYCLE_1)
	s_and_b32 s3, exec_lo, s3
	s_or_b32 s25, s3, s25
	s_and_not1_b32 s27, s27, exec_lo
	s_and_b32 s30, s2, exec_lo
	s_mov_b64 s[2:3], s[28:29]
	s_or_b32 s27, s27, s30
	s_and_not1_b32 exec_lo, exec_lo, s25
	s_cbranch_execnz .LBB161_66
; %bb.67:
	s_or_b32 exec_lo, exec_lo, s25
	s_xor_b32 s2, s27, -1
.LBB161_68:
	s_delay_alu instid0(SALU_CYCLE_1)
	s_and_b32 s25, s2, exec_lo
.LBB161_69:
	s_or_b32 exec_lo, exec_lo, s26
	v_add_nc_u32_e32 v16, 2, v19
	s_mov_b32 s26, 0
	s_mov_b32 s27, 0
	s_mov_b32 s28, exec_lo
	s_delay_alu instid0(VALU_DEP_1)
	v_cmpx_gt_u32_e64 s21, v16
	s_cbranch_execz .LBB161_75
; %bb.70:
	v_cmp_ne_u32_e32 vcc_lo, 1, v27
	s_mov_b32 s2, 0
	s_cbranch_vccnz .LBB161_74
; %bb.71:
	v_mad_nc_u64_u32 v[16:17], v12, s18, s[8:9]
	v_mad_nc_u64_u32 v[20:21], v6, s18, s[8:9]
	s_add_nc_u64 s[2:3], s[18:19], -1
                                        ; implicit-def: $sgpr29
	s_delay_alu instid0(VALU_DEP_2) | instskip(NEXT) | instid1(VALU_DEP_2)
	v_mad_u32 v17, v13, s18, v17
	v_mad_u32 v21, v7, s18, v21
	s_delay_alu instid0(VALU_DEP_2) | instskip(NEXT) | instid1(VALU_DEP_2)
	v_mad_u32 v17, v12, s19, v17
	v_mad_u32 v21, v6, s19, v21
.LBB161_72:                             ; =>This Inner Loop Header: Depth=1
	global_load_u8 v22, v[16:17], off
	global_load_u8 v23, v[20:21], off
	s_cmp_eq_u64 s[2:3], 0
	s_add_nc_u64 s[30:31], s[2:3], -1
	s_cselect_b32 s3, -1, 0
	s_wait_xcnt 0x1
	v_add_nc_u64_e32 v[16:17], 1, v[16:17]
	s_wait_xcnt 0x0
	v_add_nc_u64_e32 v[20:21], 1, v[20:21]
	s_wait_loadcnt 0x0
	v_cmp_ne_u16_e32 vcc_lo, v22, v23
	v_cmp_eq_u16_e64 s2, v22, v23
	s_or_b32 s3, vcc_lo, s3
	s_delay_alu instid0(SALU_CYCLE_1) | instskip(NEXT) | instid1(SALU_CYCLE_1)
	s_and_b32 s3, exec_lo, s3
	s_or_b32 s27, s3, s27
	s_and_not1_b32 s29, s29, exec_lo
	s_and_b32 s33, s2, exec_lo
	s_mov_b64 s[2:3], s[30:31]
	s_or_b32 s29, s29, s33
	s_and_not1_b32 exec_lo, exec_lo, s27
	s_cbranch_execnz .LBB161_72
; %bb.73:
	s_or_b32 exec_lo, exec_lo, s27
	s_xor_b32 s2, s29, -1
.LBB161_74:
	s_delay_alu instid0(SALU_CYCLE_1)
	s_and_b32 s27, s2, exec_lo
.LBB161_75:
	s_or_b32 exec_lo, exec_lo, s28
	v_add_nc_u32_e32 v16, 1, v19
	s_mov_b32 s28, exec_lo
	s_delay_alu instid0(VALU_DEP_1)
	v_cmpx_gt_u32_e64 s21, v16
	s_cbranch_execz .LBB161_81
; %bb.76:
	v_cmp_ne_u32_e32 vcc_lo, 1, v27
	s_mov_b32 s2, 0
	s_cbranch_vccnz .LBB161_80
; %bb.77:
	v_mad_nc_u64_u32 v[16:17], v10, s18, s[8:9]
	v_mad_nc_u64_u32 v[20:21], v12, s18, s[8:9]
	s_add_nc_u64 s[2:3], s[18:19], -1
	s_mov_b32 s26, 0
                                        ; implicit-def: $sgpr29
	s_delay_alu instid0(VALU_DEP_2) | instskip(NEXT) | instid1(VALU_DEP_2)
	v_mad_u32 v17, v11, s18, v17
	v_mad_u32 v21, v13, s18, v21
	s_delay_alu instid0(VALU_DEP_2) | instskip(NEXT) | instid1(VALU_DEP_2)
	v_mad_u32 v17, v10, s19, v17
	v_mad_u32 v21, v12, s19, v21
.LBB161_78:                             ; =>This Inner Loop Header: Depth=1
	global_load_u8 v22, v[16:17], off
	global_load_u8 v23, v[20:21], off
	s_cmp_eq_u64 s[2:3], 0
	s_add_nc_u64 s[30:31], s[2:3], -1
	s_cselect_b32 s3, -1, 0
	s_wait_xcnt 0x1
	v_add_nc_u64_e32 v[16:17], 1, v[16:17]
	s_wait_xcnt 0x0
	v_add_nc_u64_e32 v[20:21], 1, v[20:21]
	s_wait_loadcnt 0x0
	v_cmp_ne_u16_e32 vcc_lo, v22, v23
	v_cmp_eq_u16_e64 s2, v22, v23
	s_or_b32 s3, vcc_lo, s3
	s_delay_alu instid0(SALU_CYCLE_1) | instskip(NEXT) | instid1(SALU_CYCLE_1)
	s_and_b32 s3, exec_lo, s3
	s_or_b32 s26, s3, s26
	s_and_not1_b32 s29, s29, exec_lo
	s_and_b32 s33, s2, exec_lo
	s_mov_b64 s[2:3], s[30:31]
	s_or_b32 s29, s29, s33
	s_and_not1_b32 exec_lo, exec_lo, s26
	s_cbranch_execnz .LBB161_78
; %bb.79:
	s_or_b32 exec_lo, exec_lo, s26
	s_xor_b32 s2, s29, -1
.LBB161_80:
	s_delay_alu instid0(SALU_CYCLE_1)
	s_and_b32 s26, s2, exec_lo
.LBB161_81:
	s_or_b32 exec_lo, exec_lo, s28
	s_wait_kmcnt 0x0
	v_mov_b64_e32 v[20:21], s[4:5]
	s_mov_b32 s2, 0
	s_mov_b32 s3, exec_lo
	s_wait_dscnt 0x0
	s_barrier_signal -1
	s_barrier_wait -1
	v_cmpx_ne_u32_e32 0, v0
; %bb.82:
	v_add_nc_u32_e32 v16, -8, v28
	ds_load_b64 v[20:21], v16
; %bb.83:
	s_or_b32 exec_lo, exec_lo, s3
	v_cndmask_b32_e64 v16, 0, 1, s25
	v_cndmask_b32_e64 v17, 0, 1, s27
	;; [unrolled: 1-line block ×3, first 2 shown]
	s_mov_b32 s4, exec_lo
	s_delay_alu instid0(VALU_DEP_3) | instskip(NEXT) | instid1(VALU_DEP_2)
	v_lshlrev_b16 v16, 8, v16
	v_lshlrev_b16 v22, 8, v22
	s_delay_alu instid0(VALU_DEP_2) | instskip(NEXT) | instid1(VALU_DEP_2)
	v_or_b32_e32 v16, v17, v16
	v_and_b32_e32 v24, 0xffff, v22
	s_delay_alu instid0(VALU_DEP_2)
	v_lshlrev_b32_e32 v25, 16, v16
	v_cmpx_gt_u32_e64 s21, v19
	s_cbranch_execz .LBB161_89
; %bb.84:
	v_cmp_ne_u32_e32 vcc_lo, 1, v27
	s_cbranch_vccnz .LBB161_88
; %bb.85:
	s_wait_dscnt 0x0
	v_mad_nc_u64_u32 v[16:17], v20, s18, s[8:9]
	v_mad_nc_u64_u32 v[22:23], v10, s18, s[8:9]
	s_add_nc_u64 s[2:3], s[18:19], -1
	s_mov_b32 s5, 0
                                        ; implicit-def: $sgpr25
	s_delay_alu instid0(VALU_DEP_2) | instskip(NEXT) | instid1(VALU_DEP_2)
	v_mad_u32 v17, v21, s18, v17
	v_mad_u32 v21, v11, s18, v23
	s_delay_alu instid0(VALU_DEP_2) | instskip(NEXT) | instid1(VALU_DEP_2)
	v_mad_u32 v17, v20, s19, v17
	v_mad_u32 v23, v10, s19, v21
.LBB161_86:                             ; =>This Inner Loop Header: Depth=1
	global_load_u8 v20, v[16:17], off
	global_load_u8 v21, v[22:23], off
	s_cmp_eq_u64 s[2:3], 0
	s_add_nc_u64 s[26:27], s[2:3], -1
	s_cselect_b32 s3, -1, 0
	s_wait_xcnt 0x1
	v_add_nc_u64_e32 v[16:17], 1, v[16:17]
	s_wait_xcnt 0x0
	v_add_nc_u64_e32 v[22:23], 1, v[22:23]
	s_wait_loadcnt 0x0
	v_cmp_ne_u16_e32 vcc_lo, v20, v21
	v_cmp_eq_u16_e64 s2, v20, v21
	s_or_b32 s3, vcc_lo, s3
	s_delay_alu instid0(SALU_CYCLE_1) | instskip(NEXT) | instid1(SALU_CYCLE_1)
	s_and_b32 s3, exec_lo, s3
	s_or_b32 s5, s3, s5
	s_and_not1_b32 s25, s25, exec_lo
	s_and_b32 s28, s2, exec_lo
	s_mov_b64 s[2:3], s[26:27]
	s_or_b32 s25, s25, s28
	s_and_not1_b32 exec_lo, exec_lo, s5
	s_cbranch_execnz .LBB161_86
; %bb.87:
	s_or_b32 exec_lo, exec_lo, s5
	s_xor_b32 s2, s25, -1
.LBB161_88:
	s_delay_alu instid0(SALU_CYCLE_1)
	s_and_b32 s2, s2, exec_lo
.LBB161_89:
	s_or_b32 exec_lo, exec_lo, s4
	v_cndmask_b32_e64 v17, 0, 1, s24
	v_cndmask_b32_e64 v31, 0, 1, s7
	;; [unrolled: 1-line block ×3, first 2 shown]
	s_wait_dscnt 0x0
	v_or_b32_e32 v21, v24, v25
.LBB161_90:
	s_mov_b32 s6, -1
	s_cbranch_execnz .LBB161_35
.LBB161_91:
	v_cmp_gt_i64_e64 s7, s[18:19], 0
	v_mad_i32_i24 v26, 0xffffffd0, v0, v26
	s_and_b32 vcc_lo, exec_lo, s17
	ds_store_b64 v26, v[14:15]
	s_cbranch_vccz .LBB161_106
; %bb.92:
	s_and_not1_b32 vcc_lo, exec_lo, s7
	s_cbranch_vccnz .LBB161_107
; %bb.93:
	v_mad_nc_u64_u32 v[16:17], v4, s18, s[8:9]
	v_mad_nc_u64_u32 v[20:21], v14, s18, s[8:9]
	s_wait_kmcnt 0x0
	s_add_nc_u64 s[4:5], s[18:19], -1
	s_mov_b32 s25, 0
	s_mov_b64 s[2:3], s[4:5]
                                        ; implicit-def: $sgpr24
	s_delay_alu instid0(VALU_DEP_2) | instskip(NEXT) | instid1(VALU_DEP_2)
	v_mad_u32 v17, v5, s18, v17
	v_mad_u32 v21, v15, s18, v21
	s_delay_alu instid0(VALU_DEP_2) | instskip(NEXT) | instid1(VALU_DEP_2)
	v_mad_u32 v17, v4, s19, v17
	v_mad_u32 v21, v14, s19, v21
	s_delay_alu instid0(VALU_DEP_2)
	v_mov_b64_e32 v[22:23], v[16:17]
.LBB161_94:                             ; =>This Inner Loop Header: Depth=1
	s_wait_dscnt 0x1
	global_load_u8 v24, v[22:23], off
	global_load_u8 v25, v[20:21], off
	s_cmp_eq_u64 s[2:3], 0
	s_add_nc_u64 s[26:27], s[2:3], -1
	s_cselect_b32 s3, -1, 0
	s_wait_xcnt 0x1
	v_add_nc_u64_e32 v[22:23], 1, v[22:23]
	s_wait_xcnt 0x0
	v_add_nc_u64_e32 v[20:21], 1, v[20:21]
	s_wait_loadcnt 0x0
	v_cmp_ne_u16_e32 vcc_lo, v24, v25
	v_cmp_eq_u16_e64 s2, v24, v25
	s_or_b32 s3, vcc_lo, s3
	s_delay_alu instid0(SALU_CYCLE_1) | instskip(NEXT) | instid1(SALU_CYCLE_1)
	s_and_b32 s3, exec_lo, s3
	s_or_b32 s25, s3, s25
	s_and_not1_b32 s24, s24, exec_lo
	s_and_b32 s28, s2, exec_lo
	s_mov_b64 s[2:3], s[26:27]
	s_or_b32 s24, s24, s28
	s_and_not1_b32 exec_lo, exec_lo, s25
	s_cbranch_execnz .LBB161_94
; %bb.95:
	s_or_b32 exec_lo, exec_lo, s25
	v_mad_nc_u64_u32 v[20:21], v2, s18, s[8:9]
	s_mov_b32 s26, 0
	s_mov_b64 s[2:3], s[4:5]
                                        ; implicit-def: $sgpr25
	s_delay_alu instid0(VALU_DEP_1) | instskip(NEXT) | instid1(VALU_DEP_1)
	v_mad_u32 v21, v3, s18, v21
	v_mad_u32 v21, v2, s19, v21
	s_delay_alu instid0(VALU_DEP_1)
	v_mov_b64_e32 v[22:23], v[20:21]
.LBB161_96:                             ; =>This Inner Loop Header: Depth=1
	global_load_u8 v24, v[22:23], off
	global_load_u8 v25, v[16:17], off
	s_cmp_eq_u64 s[2:3], 0
	s_add_nc_u64 s[28:29], s[2:3], -1
	s_cselect_b32 s3, -1, 0
	s_wait_xcnt 0x1
	v_add_nc_u64_e32 v[22:23], 1, v[22:23]
	s_wait_xcnt 0x0
	v_add_nc_u64_e32 v[16:17], 1, v[16:17]
	s_wait_loadcnt 0x0
	v_cmp_ne_u16_e32 vcc_lo, v24, v25
	v_cmp_eq_u16_e64 s2, v24, v25
	s_or_b32 s3, vcc_lo, s3
	s_delay_alu instid0(SALU_CYCLE_1) | instskip(NEXT) | instid1(SALU_CYCLE_1)
	s_and_b32 s3, exec_lo, s3
	s_or_b32 s26, s3, s26
	s_and_not1_b32 s25, s25, exec_lo
	s_and_b32 s27, s2, exec_lo
	s_mov_b64 s[2:3], s[28:29]
	s_or_b32 s25, s25, s27
	s_and_not1_b32 exec_lo, exec_lo, s26
	s_cbranch_execnz .LBB161_96
; %bb.97:
	s_or_b32 exec_lo, exec_lo, s26
	v_mad_nc_u64_u32 v[16:17], v8, s18, s[8:9]
	s_mov_b32 s27, 0
	s_mov_b64 s[2:3], s[4:5]
                                        ; implicit-def: $sgpr26
	s_delay_alu instid0(VALU_DEP_1) | instskip(NEXT) | instid1(VALU_DEP_1)
	v_mad_u32 v17, v9, s18, v17
	v_mad_u32 v17, v8, s19, v17
	s_delay_alu instid0(VALU_DEP_1)
	v_mov_b64_e32 v[22:23], v[16:17]
.LBB161_98:                             ; =>This Inner Loop Header: Depth=1
	global_load_u8 v24, v[22:23], off
	global_load_u8 v25, v[20:21], off
	s_cmp_eq_u64 s[2:3], 0
	s_add_nc_u64 s[28:29], s[2:3], -1
	s_cselect_b32 s3, -1, 0
	s_wait_xcnt 0x1
	v_add_nc_u64_e32 v[22:23], 1, v[22:23]
	s_wait_xcnt 0x0
	v_add_nc_u64_e32 v[20:21], 1, v[20:21]
	s_wait_loadcnt 0x0
	v_cmp_ne_u16_e32 vcc_lo, v24, v25
	v_cmp_eq_u16_e64 s2, v24, v25
	s_or_b32 s3, vcc_lo, s3
	s_delay_alu instid0(SALU_CYCLE_1) | instskip(NEXT) | instid1(SALU_CYCLE_1)
	s_and_b32 s3, exec_lo, s3
	s_or_b32 s27, s3, s27
	s_and_not1_b32 s26, s26, exec_lo
	s_and_b32 s30, s2, exec_lo
	s_mov_b64 s[2:3], s[28:29]
	s_or_b32 s26, s26, s30
	s_and_not1_b32 exec_lo, exec_lo, s27
	s_cbranch_execnz .LBB161_98
; %bb.99:
	s_or_b32 exec_lo, exec_lo, s27
	v_mad_nc_u64_u32 v[20:21], v6, s18, s[8:9]
	s_mov_b32 s28, 0
	s_mov_b64 s[2:3], s[4:5]
                                        ; implicit-def: $sgpr27
	s_delay_alu instid0(VALU_DEP_1) | instskip(NEXT) | instid1(VALU_DEP_1)
	v_mad_u32 v21, v7, s18, v21
	v_mad_u32 v21, v6, s19, v21
	s_delay_alu instid0(VALU_DEP_1)
	v_mov_b64_e32 v[22:23], v[20:21]
.LBB161_100:                            ; =>This Inner Loop Header: Depth=1
	global_load_u8 v24, v[22:23], off
	global_load_u8 v25, v[16:17], off
	s_cmp_eq_u64 s[2:3], 0
	s_add_nc_u64 s[30:31], s[2:3], -1
	s_cselect_b32 s3, -1, 0
	s_wait_xcnt 0x1
	v_add_nc_u64_e32 v[22:23], 1, v[22:23]
	s_wait_xcnt 0x0
	v_add_nc_u64_e32 v[16:17], 1, v[16:17]
	s_wait_loadcnt 0x0
	v_cmp_ne_u16_e32 vcc_lo, v24, v25
	v_cmp_eq_u16_e64 s2, v24, v25
	s_or_b32 s3, vcc_lo, s3
	s_delay_alu instid0(SALU_CYCLE_1) | instskip(NEXT) | instid1(SALU_CYCLE_1)
	s_and_b32 s3, exec_lo, s3
	s_or_b32 s28, s3, s28
	s_and_not1_b32 s27, s27, exec_lo
	s_and_b32 s29, s2, exec_lo
	s_mov_b64 s[2:3], s[30:31]
	s_or_b32 s27, s27, s29
	s_and_not1_b32 exec_lo, exec_lo, s28
	s_cbranch_execnz .LBB161_100
; %bb.101:
	s_or_b32 exec_lo, exec_lo, s28
	v_mad_nc_u64_u32 v[16:17], v12, s18, s[8:9]
	s_mov_b32 s29, 0
	s_mov_b64 s[2:3], s[4:5]
                                        ; implicit-def: $sgpr28
	s_delay_alu instid0(VALU_DEP_1) | instskip(NEXT) | instid1(VALU_DEP_1)
	v_mad_u32 v17, v13, s18, v17
	v_mad_u32 v17, v12, s19, v17
	s_delay_alu instid0(VALU_DEP_1)
	v_mov_b64_e32 v[22:23], v[16:17]
.LBB161_102:                            ; =>This Inner Loop Header: Depth=1
	global_load_u8 v24, v[22:23], off
	global_load_u8 v25, v[20:21], off
	s_cmp_eq_u64 s[2:3], 0
	s_add_nc_u64 s[30:31], s[2:3], -1
	s_cselect_b32 s3, -1, 0
	s_wait_xcnt 0x1
	v_add_nc_u64_e32 v[22:23], 1, v[22:23]
	s_wait_xcnt 0x0
	v_add_nc_u64_e32 v[20:21], 1, v[20:21]
	s_wait_loadcnt 0x0
	v_cmp_ne_u16_e32 vcc_lo, v24, v25
	v_cmp_eq_u16_e64 s2, v24, v25
	s_or_b32 s3, vcc_lo, s3
	s_delay_alu instid0(SALU_CYCLE_1) | instskip(NEXT) | instid1(SALU_CYCLE_1)
	s_and_b32 s3, exec_lo, s3
	s_or_b32 s29, s3, s29
	s_and_not1_b32 s28, s28, exec_lo
	s_and_b32 s33, s2, exec_lo
	s_mov_b64 s[2:3], s[30:31]
	s_or_b32 s28, s28, s33
	s_and_not1_b32 exec_lo, exec_lo, s29
	s_cbranch_execnz .LBB161_102
; %bb.103:
	s_or_b32 exec_lo, exec_lo, s29
	v_mad_nc_u64_u32 v[20:21], v10, s18, s[8:9]
	s_mov_b32 s29, 0
                                        ; implicit-def: $sgpr3
	s_delay_alu instid0(VALU_DEP_1) | instskip(NEXT) | instid1(VALU_DEP_1)
	v_mad_u32 v21, v11, s18, v21
	v_mad_u32 v21, v10, s19, v21
.LBB161_104:                            ; =>This Inner Loop Header: Depth=1
	global_load_u8 v22, v[20:21], off
	global_load_u8 v23, v[16:17], off
	s_cmp_eq_u64 s[4:5], 0
	s_add_nc_u64 s[30:31], s[4:5], -1
	s_cselect_b32 s4, -1, 0
	s_wait_xcnt 0x1
	v_add_nc_u64_e32 v[20:21], 1, v[20:21]
	s_wait_xcnt 0x0
	v_add_nc_u64_e32 v[16:17], 1, v[16:17]
	s_wait_loadcnt 0x0
	v_cmp_ne_u16_e32 vcc_lo, v22, v23
	v_cmp_eq_u16_e64 s2, v22, v23
	s_or_b32 s4, vcc_lo, s4
	s_delay_alu instid0(SALU_CYCLE_1) | instskip(NEXT) | instid1(SALU_CYCLE_1)
	s_and_b32 s4, exec_lo, s4
	s_or_b32 s29, s4, s29
	s_and_not1_b32 s3, s3, exec_lo
	s_and_b32 s2, s2, exec_lo
	s_mov_b64 s[4:5], s[30:31]
	s_or_b32 s3, s3, s2
	s_and_not1_b32 exec_lo, exec_lo, s29
	s_cbranch_execnz .LBB161_104
; %bb.105:
	s_or_b32 exec_lo, exec_lo, s29
	s_xor_b32 s2, s27, -1
	s_delay_alu instid0(SALU_CYCLE_1) | instskip(SKIP_1) | instid1(SALU_CYCLE_1)
	v_cndmask_b32_e64 v16, 0, 1, s2
	s_xor_b32 s2, s28, -1
	v_cndmask_b32_e64 v17, 0, 1, s2
	s_xor_b32 s2, s25, -1
	s_delay_alu instid0(VALU_DEP_2) | instskip(SKIP_2) | instid1(SALU_CYCLE_1)
	v_lshlrev_b16 v16, 8, v16
	v_cndmask_b32_e64 v31, 0, 1, s2
	s_xor_b32 s2, s24, -1
	v_cndmask_b32_e64 v30, 0, 1, s2
	s_delay_alu instid0(VALU_DEP_3) | instskip(SKIP_1) | instid1(VALU_DEP_1)
	v_lshrrev_b32_e32 v16, 8, v16
	s_xor_b32 s2, s26, -1
	v_and_b32_e32 v16, 1, v16
	s_delay_alu instid0(VALU_DEP_1) | instskip(NEXT) | instid1(VALU_DEP_1)
	v_lshlrev_b16 v16, 8, v16
	v_or_b32_e32 v16, v17, v16
	v_cndmask_b32_e64 v17, 0, 1, s2
	s_xor_b32 s2, s3, -1
	s_delay_alu instid0(VALU_DEP_2)
	v_lshlrev_b32_e32 v16, 16, v16
	s_branch .LBB161_108
.LBB161_106:
	s_wait_kmcnt 0x0
                                        ; implicit-def: $sgpr2
                                        ; implicit-def: $vgpr30
                                        ; implicit-def: $vgpr31
                                        ; implicit-def: $vgpr17
                                        ; implicit-def: $vgpr21
                                        ; implicit-def: $vgpr33
                                        ; implicit-def: $vgpr32
                                        ; implicit-def: $vgpr20
	s_cbranch_execnz .LBB161_115
	s_branch .LBB161_160
.LBB161_107:
	v_dual_mov_b32 v16, 0 :: v_dual_mov_b32 v30, 0
	v_dual_mov_b32 v31, 0 :: v_dual_mov_b32 v17, 0
	s_mov_b32 s2, 0
.LBB161_108:
	s_delay_alu instid0(VALU_DEP_1)
	v_dual_lshrrev_b32 v32, 16, v16 :: v_dual_lshrrev_b32 v20, 24, v16
	v_cndmask_b32_e64 v33, 0, 1, s2
	v_mov_b32_e32 v16, 1
	s_wait_kmcnt 0x0
	s_mov_b32 s4, 0
	s_wait_dscnt 0x0
	s_barrier_signal -1
	s_barrier_wait -1
                                        ; implicit-def: $sgpr2
                                        ; implicit-def: $vgpr21
	s_mov_b32 s3, exec_lo
	v_cmpx_ne_u32_e32 0, v0
	s_xor_b32 s5, exec_lo, s3
	s_cbranch_execz .LBB161_114
; %bb.109:
	v_lshlrev_b16 v21, 8, v20
	v_lshlrev_b16 v22, 8, v33
	s_and_not1_b32 vcc_lo, exec_lo, s7
	s_mov_b32 s2, 0
	s_delay_alu instid0(VALU_DEP_2) | instskip(NEXT) | instid1(VALU_DEP_1)
	v_bitop3_b16 v21, v32, v21, 0xff bitop3:0xec
	v_dual_lshlrev_b32 v21, 16, v21 :: v_dual_bitop2_b32 v22, 1, v22 bitop3:0x54
	s_delay_alu instid0(VALU_DEP_1) | instskip(NEXT) | instid1(VALU_DEP_1)
	v_and_b32_e32 v22, 0xffff, v22
	v_or_b32_e32 v21, v22, v21
	s_cbranch_vccnz .LBB161_113
; %bb.110:
	v_add_nc_u32_e32 v22, -8, v26
	v_mad_nc_u64_u32 v[24:25], v10, s18, s[8:9]
	s_add_nc_u64 s[2:3], s[18:19], -1
	s_mov_b32 s24, 0
                                        ; implicit-def: $sgpr25
	ds_load_b64 v[28:29], v22
	v_mad_u32 v25, v11, s18, v25
	s_delay_alu instid0(VALU_DEP_1) | instskip(SKIP_2) | instid1(VALU_DEP_1)
	v_mad_u32 v25, v10, s19, v25
	s_wait_dscnt 0x0
	v_mad_nc_u64_u32 v[22:23], v28, s18, s[8:9]
	v_mad_u32 v23, v29, s18, v23
	s_delay_alu instid0(VALU_DEP_1)
	v_mad_u32 v23, v28, s19, v23
.LBB161_111:                            ; =>This Inner Loop Header: Depth=1
	global_load_u8 v27, v[22:23], off
	global_load_u8 v28, v[24:25], off
	s_cmp_eq_u64 s[2:3], 0
	s_add_nc_u64 s[26:27], s[2:3], -1
	s_cselect_b32 s3, -1, 0
	s_wait_xcnt 0x1
	v_add_nc_u64_e32 v[22:23], 1, v[22:23]
	s_wait_xcnt 0x0
	v_add_nc_u64_e32 v[24:25], 1, v[24:25]
	s_wait_loadcnt 0x0
	v_cmp_ne_u16_e32 vcc_lo, v27, v28
	v_cmp_eq_u16_e64 s2, v27, v28
	s_or_b32 s3, vcc_lo, s3
	s_delay_alu instid0(SALU_CYCLE_1) | instskip(NEXT) | instid1(SALU_CYCLE_1)
	s_and_b32 s3, exec_lo, s3
	s_or_b32 s24, s3, s24
	s_and_not1_b32 s25, s25, exec_lo
	s_and_b32 s28, s2, exec_lo
	s_mov_b64 s[2:3], s[26:27]
	s_or_b32 s25, s25, s28
	s_and_not1_b32 exec_lo, exec_lo, s24
	s_cbranch_execnz .LBB161_111
; %bb.112:
	s_or_b32 exec_lo, exec_lo, s24
	s_xor_b32 s2, s25, -1
.LBB161_113:
	s_delay_alu instid0(VALU_DEP_1)
	v_perm_b32 v21, v21, v21, 0x3020104
	s_or_b32 s6, s6, exec_lo
.LBB161_114:
	s_or_b32 exec_lo, exec_lo, s5
	s_delay_alu instid0(SALU_CYCLE_1)
	s_and_b32 vcc_lo, exec_lo, s4
	s_cbranch_vccz .LBB161_160
.LBB161_115:
	v_add_nc_u32_e32 v16, 6, v19
	s_mov_b32 s5, 0
	s_mov_b32 s4, 0
	s_mov_b32 s24, exec_lo
	s_delay_alu instid0(VALU_DEP_1)
	v_cmpx_gt_u32_e64 s21, v16
	s_cbranch_execz .LBB161_121
; %bb.116:
	s_and_not1_b32 vcc_lo, exec_lo, s7
	s_mov_b32 s2, 0
	s_cbranch_vccnz .LBB161_120
; %bb.117:
	v_mad_nc_u64_u32 v[16:17], v4, s18, s[8:9]
	v_mad_nc_u64_u32 v[20:21], v14, s18, s[8:9]
	s_add_nc_u64 s[2:3], s[18:19], -1
                                        ; implicit-def: $sgpr25
	s_delay_alu instid0(VALU_DEP_2) | instskip(NEXT) | instid1(VALU_DEP_2)
	v_mad_u32 v17, v5, s18, v17
	v_mad_u32 v21, v15, s18, v21
	s_delay_alu instid0(VALU_DEP_2) | instskip(NEXT) | instid1(VALU_DEP_2)
	v_mad_u32 v17, v4, s19, v17
	v_mad_u32 v21, v14, s19, v21
.LBB161_118:                            ; =>This Inner Loop Header: Depth=1
	global_load_u8 v22, v[16:17], off
	global_load_u8 v23, v[20:21], off
	s_cmp_eq_u64 s[2:3], 0
	s_add_nc_u64 s[26:27], s[2:3], -1
	s_cselect_b32 s3, -1, 0
	s_wait_xcnt 0x1
	v_add_nc_u64_e32 v[16:17], 1, v[16:17]
	s_wait_xcnt 0x0
	v_add_nc_u64_e32 v[20:21], 1, v[20:21]
	s_wait_loadcnt 0x0
	v_cmp_ne_u16_e32 vcc_lo, v22, v23
	v_cmp_eq_u16_e64 s2, v22, v23
	s_or_b32 s3, vcc_lo, s3
	s_delay_alu instid0(SALU_CYCLE_1) | instskip(NEXT) | instid1(SALU_CYCLE_1)
	s_and_b32 s3, exec_lo, s3
	s_or_b32 s4, s3, s4
	s_and_not1_b32 s25, s25, exec_lo
	s_and_b32 s28, s2, exec_lo
	s_mov_b64 s[2:3], s[26:27]
	s_or_b32 s25, s25, s28
	s_and_not1_b32 exec_lo, exec_lo, s4
	s_cbranch_execnz .LBB161_118
; %bb.119:
	s_or_b32 exec_lo, exec_lo, s4
	s_xor_b32 s2, s25, -1
.LBB161_120:
	s_delay_alu instid0(SALU_CYCLE_1)
	s_and_b32 s4, s2, exec_lo
.LBB161_121:
	s_or_b32 exec_lo, exec_lo, s24
	v_add_nc_u32_e32 v16, 5, v19
	s_mov_b32 s24, exec_lo
	s_delay_alu instid0(VALU_DEP_1)
	v_cmpx_gt_u32_e64 s21, v16
	s_cbranch_execz .LBB161_127
; %bb.122:
	s_and_not1_b32 vcc_lo, exec_lo, s7
	s_mov_b32 s2, 0
	s_cbranch_vccnz .LBB161_126
; %bb.123:
	v_mad_nc_u64_u32 v[16:17], v2, s18, s[8:9]
	v_mad_nc_u64_u32 v[20:21], v4, s18, s[8:9]
	s_add_nc_u64 s[2:3], s[18:19], -1
	s_mov_b32 s5, 0
                                        ; implicit-def: $sgpr25
	s_delay_alu instid0(VALU_DEP_2) | instskip(NEXT) | instid1(VALU_DEP_2)
	v_mad_u32 v17, v3, s18, v17
	v_mad_u32 v21, v5, s18, v21
	s_delay_alu instid0(VALU_DEP_2) | instskip(NEXT) | instid1(VALU_DEP_2)
	v_mad_u32 v17, v2, s19, v17
	v_mad_u32 v21, v4, s19, v21
.LBB161_124:                            ; =>This Inner Loop Header: Depth=1
	global_load_u8 v22, v[16:17], off
	global_load_u8 v23, v[20:21], off
	s_cmp_eq_u64 s[2:3], 0
	s_add_nc_u64 s[26:27], s[2:3], -1
	s_cselect_b32 s3, -1, 0
	s_wait_xcnt 0x1
	v_add_nc_u64_e32 v[16:17], 1, v[16:17]
	s_wait_xcnt 0x0
	v_add_nc_u64_e32 v[20:21], 1, v[20:21]
	s_wait_loadcnt 0x0
	v_cmp_ne_u16_e32 vcc_lo, v22, v23
	v_cmp_eq_u16_e64 s2, v22, v23
	s_or_b32 s3, vcc_lo, s3
	s_delay_alu instid0(SALU_CYCLE_1) | instskip(NEXT) | instid1(SALU_CYCLE_1)
	s_and_b32 s3, exec_lo, s3
	s_or_b32 s5, s3, s5
	s_and_not1_b32 s25, s25, exec_lo
	s_and_b32 s28, s2, exec_lo
	s_mov_b64 s[2:3], s[26:27]
	s_or_b32 s25, s25, s28
	s_and_not1_b32 exec_lo, exec_lo, s5
	s_cbranch_execnz .LBB161_124
; %bb.125:
	s_or_b32 exec_lo, exec_lo, s5
	s_xor_b32 s2, s25, -1
.LBB161_126:
	s_delay_alu instid0(SALU_CYCLE_1)
	s_and_b32 s5, s2, exec_lo
.LBB161_127:
	s_or_b32 exec_lo, exec_lo, s24
	v_add_nc_u32_e32 v16, 4, v19
	s_mov_b32 s24, 0
	s_mov_b32 s25, 0
	s_mov_b32 s26, exec_lo
	s_delay_alu instid0(VALU_DEP_1)
	v_cmpx_gt_u32_e64 s21, v16
	s_cbranch_execz .LBB161_133
; %bb.128:
	s_and_not1_b32 vcc_lo, exec_lo, s7
	s_mov_b32 s2, 0
	s_cbranch_vccnz .LBB161_132
; %bb.129:
	v_mad_nc_u64_u32 v[16:17], v8, s18, s[8:9]
	v_mad_nc_u64_u32 v[20:21], v2, s18, s[8:9]
	s_add_nc_u64 s[2:3], s[18:19], -1
                                        ; implicit-def: $sgpr27
	s_delay_alu instid0(VALU_DEP_2) | instskip(NEXT) | instid1(VALU_DEP_2)
	v_mad_u32 v17, v9, s18, v17
	v_mad_u32 v21, v3, s18, v21
	s_delay_alu instid0(VALU_DEP_2) | instskip(NEXT) | instid1(VALU_DEP_2)
	v_mad_u32 v17, v8, s19, v17
	v_mad_u32 v21, v2, s19, v21
.LBB161_130:                            ; =>This Inner Loop Header: Depth=1
	global_load_u8 v22, v[16:17], off
	global_load_u8 v23, v[20:21], off
	s_cmp_eq_u64 s[2:3], 0
	s_add_nc_u64 s[28:29], s[2:3], -1
	s_cselect_b32 s3, -1, 0
	s_wait_xcnt 0x1
	v_add_nc_u64_e32 v[16:17], 1, v[16:17]
	s_wait_xcnt 0x0
	v_add_nc_u64_e32 v[20:21], 1, v[20:21]
	s_wait_loadcnt 0x0
	v_cmp_ne_u16_e32 vcc_lo, v22, v23
	v_cmp_eq_u16_e64 s2, v22, v23
	s_or_b32 s3, vcc_lo, s3
	s_delay_alu instid0(SALU_CYCLE_1) | instskip(NEXT) | instid1(SALU_CYCLE_1)
	s_and_b32 s3, exec_lo, s3
	s_or_b32 s25, s3, s25
	s_and_not1_b32 s27, s27, exec_lo
	s_and_b32 s30, s2, exec_lo
	s_mov_b64 s[2:3], s[28:29]
	s_or_b32 s27, s27, s30
	s_and_not1_b32 exec_lo, exec_lo, s25
	s_cbranch_execnz .LBB161_130
; %bb.131:
	s_or_b32 exec_lo, exec_lo, s25
	s_xor_b32 s2, s27, -1
.LBB161_132:
	s_delay_alu instid0(SALU_CYCLE_1)
	s_and_b32 s25, s2, exec_lo
.LBB161_133:
	s_or_b32 exec_lo, exec_lo, s26
	v_add_nc_u32_e32 v16, 3, v19
	s_mov_b32 s26, exec_lo
	s_delay_alu instid0(VALU_DEP_1)
	v_cmpx_gt_u32_e64 s21, v16
	s_cbranch_execz .LBB161_139
; %bb.134:
	s_and_not1_b32 vcc_lo, exec_lo, s7
	s_mov_b32 s2, 0
	s_cbranch_vccnz .LBB161_138
; %bb.135:
	v_mad_nc_u64_u32 v[16:17], v6, s18, s[8:9]
	v_mad_nc_u64_u32 v[20:21], v8, s18, s[8:9]
	s_add_nc_u64 s[2:3], s[18:19], -1
	s_mov_b32 s24, 0
                                        ; implicit-def: $sgpr27
	s_delay_alu instid0(VALU_DEP_2) | instskip(NEXT) | instid1(VALU_DEP_2)
	v_mad_u32 v17, v7, s18, v17
	v_mad_u32 v21, v9, s18, v21
	s_delay_alu instid0(VALU_DEP_2) | instskip(NEXT) | instid1(VALU_DEP_2)
	v_mad_u32 v17, v6, s19, v17
	v_mad_u32 v21, v8, s19, v21
.LBB161_136:                            ; =>This Inner Loop Header: Depth=1
	global_load_u8 v22, v[16:17], off
	global_load_u8 v23, v[20:21], off
	s_cmp_eq_u64 s[2:3], 0
	s_add_nc_u64 s[28:29], s[2:3], -1
	s_cselect_b32 s3, -1, 0
	s_wait_xcnt 0x1
	v_add_nc_u64_e32 v[16:17], 1, v[16:17]
	s_wait_xcnt 0x0
	v_add_nc_u64_e32 v[20:21], 1, v[20:21]
	s_wait_loadcnt 0x0
	v_cmp_ne_u16_e32 vcc_lo, v22, v23
	v_cmp_eq_u16_e64 s2, v22, v23
	s_or_b32 s3, vcc_lo, s3
	s_delay_alu instid0(SALU_CYCLE_1) | instskip(NEXT) | instid1(SALU_CYCLE_1)
	s_and_b32 s3, exec_lo, s3
	s_or_b32 s24, s3, s24
	s_and_not1_b32 s27, s27, exec_lo
	s_and_b32 s30, s2, exec_lo
	s_mov_b64 s[2:3], s[28:29]
	s_or_b32 s27, s27, s30
	s_and_not1_b32 exec_lo, exec_lo, s24
	s_cbranch_execnz .LBB161_136
; %bb.137:
	s_or_b32 exec_lo, exec_lo, s24
	s_xor_b32 s2, s27, -1
.LBB161_138:
	s_delay_alu instid0(SALU_CYCLE_1)
	s_and_b32 s24, s2, exec_lo
.LBB161_139:
	s_or_b32 exec_lo, exec_lo, s26
	v_add_nc_u32_e32 v16, 2, v19
	s_mov_b32 s26, 0
	s_mov_b32 s27, 0
	s_mov_b32 s28, exec_lo
	s_delay_alu instid0(VALU_DEP_1)
	v_cmpx_gt_u32_e64 s21, v16
	s_cbranch_execz .LBB161_145
; %bb.140:
	s_and_not1_b32 vcc_lo, exec_lo, s7
	s_mov_b32 s2, 0
	s_cbranch_vccnz .LBB161_144
; %bb.141:
	v_mad_nc_u64_u32 v[16:17], v12, s18, s[8:9]
	v_mad_nc_u64_u32 v[20:21], v6, s18, s[8:9]
	s_add_nc_u64 s[2:3], s[18:19], -1
                                        ; implicit-def: $sgpr29
	s_delay_alu instid0(VALU_DEP_2) | instskip(NEXT) | instid1(VALU_DEP_2)
	v_mad_u32 v17, v13, s18, v17
	v_mad_u32 v21, v7, s18, v21
	s_delay_alu instid0(VALU_DEP_2) | instskip(NEXT) | instid1(VALU_DEP_2)
	v_mad_u32 v17, v12, s19, v17
	v_mad_u32 v21, v6, s19, v21
.LBB161_142:                            ; =>This Inner Loop Header: Depth=1
	global_load_u8 v22, v[16:17], off
	global_load_u8 v23, v[20:21], off
	s_cmp_eq_u64 s[2:3], 0
	s_add_nc_u64 s[30:31], s[2:3], -1
	s_cselect_b32 s3, -1, 0
	s_wait_xcnt 0x1
	v_add_nc_u64_e32 v[16:17], 1, v[16:17]
	s_wait_xcnt 0x0
	v_add_nc_u64_e32 v[20:21], 1, v[20:21]
	s_wait_loadcnt 0x0
	v_cmp_ne_u16_e32 vcc_lo, v22, v23
	v_cmp_eq_u16_e64 s2, v22, v23
	s_or_b32 s3, vcc_lo, s3
	s_delay_alu instid0(SALU_CYCLE_1) | instskip(NEXT) | instid1(SALU_CYCLE_1)
	s_and_b32 s3, exec_lo, s3
	s_or_b32 s27, s3, s27
	s_and_not1_b32 s29, s29, exec_lo
	s_and_b32 s33, s2, exec_lo
	s_mov_b64 s[2:3], s[30:31]
	s_or_b32 s29, s29, s33
	s_and_not1_b32 exec_lo, exec_lo, s27
	s_cbranch_execnz .LBB161_142
; %bb.143:
	s_or_b32 exec_lo, exec_lo, s27
	s_xor_b32 s2, s29, -1
.LBB161_144:
	s_delay_alu instid0(SALU_CYCLE_1)
	s_and_b32 s27, s2, exec_lo
.LBB161_145:
	s_or_b32 exec_lo, exec_lo, s28
	v_add_nc_u32_e32 v16, 1, v19
	s_mov_b32 s28, exec_lo
	s_delay_alu instid0(VALU_DEP_1)
	v_cmpx_gt_u32_e64 s21, v16
	s_cbranch_execz .LBB161_151
; %bb.146:
	s_and_not1_b32 vcc_lo, exec_lo, s7
	s_mov_b32 s2, 0
	s_cbranch_vccnz .LBB161_150
; %bb.147:
	v_mad_nc_u64_u32 v[16:17], v10, s18, s[8:9]
	v_mad_nc_u64_u32 v[20:21], v12, s18, s[8:9]
	s_add_nc_u64 s[2:3], s[18:19], -1
	s_mov_b32 s26, 0
                                        ; implicit-def: $sgpr29
	s_delay_alu instid0(VALU_DEP_2) | instskip(NEXT) | instid1(VALU_DEP_2)
	v_mad_u32 v17, v11, s18, v17
	v_mad_u32 v21, v13, s18, v21
	s_delay_alu instid0(VALU_DEP_2) | instskip(NEXT) | instid1(VALU_DEP_2)
	v_mad_u32 v17, v10, s19, v17
	v_mad_u32 v21, v12, s19, v21
.LBB161_148:                            ; =>This Inner Loop Header: Depth=1
	global_load_u8 v22, v[16:17], off
	global_load_u8 v23, v[20:21], off
	s_cmp_eq_u64 s[2:3], 0
	s_add_nc_u64 s[30:31], s[2:3], -1
	s_cselect_b32 s3, -1, 0
	s_wait_xcnt 0x1
	v_add_nc_u64_e32 v[16:17], 1, v[16:17]
	s_wait_xcnt 0x0
	v_add_nc_u64_e32 v[20:21], 1, v[20:21]
	s_wait_loadcnt 0x0
	v_cmp_ne_u16_e32 vcc_lo, v22, v23
	v_cmp_eq_u16_e64 s2, v22, v23
	s_or_b32 s3, vcc_lo, s3
	s_delay_alu instid0(SALU_CYCLE_1) | instskip(NEXT) | instid1(SALU_CYCLE_1)
	s_and_b32 s3, exec_lo, s3
	s_or_b32 s26, s3, s26
	s_and_not1_b32 s29, s29, exec_lo
	s_and_b32 s33, s2, exec_lo
	s_mov_b64 s[2:3], s[30:31]
	s_or_b32 s29, s29, s33
	s_and_not1_b32 exec_lo, exec_lo, s26
	s_cbranch_execnz .LBB161_148
; %bb.149:
	s_or_b32 exec_lo, exec_lo, s26
	s_xor_b32 s2, s29, -1
.LBB161_150:
	s_delay_alu instid0(SALU_CYCLE_1)
	s_and_b32 s26, s2, exec_lo
.LBB161_151:
	s_or_b32 exec_lo, exec_lo, s28
	v_cndmask_b32_e64 v17, 0, 1, s25
	v_cndmask_b32_e64 v31, 0, 1, s5
	v_cndmask_b32_e64 v30, 0, 1, s4
	v_cndmask_b32_e64 v32, 0, 1, s27
	v_cndmask_b32_e64 v20, 0, 1, s24
	v_cndmask_b32_e64 v33, 0, 1, s26
	v_mov_b32_e32 v16, 1
	s_mov_b32 s2, 0
	s_mov_b32 s4, exec_lo
	s_wait_dscnt 0x0
	s_barrier_signal -1
	s_barrier_wait -1
                                        ; implicit-def: $vgpr21
	v_cmpx_ne_u32_e32 0, v0
	s_cbranch_execz .LBB161_159
; %bb.152:
	v_lshlrev_b16 v21, 8, v33
	v_lshlrev_b16 v22, 8, v20
	s_mov_b32 s5, exec_lo
	s_delay_alu instid0(VALU_DEP_1) | instskip(NEXT) | instid1(VALU_DEP_1)
	v_or_b32_e32 v22, v32, v22
	v_dual_lshlrev_b32 v22, 16, v22 :: v_dual_bitop2_b32 v21, 1, v21 bitop3:0x54
	s_delay_alu instid0(VALU_DEP_1) | instskip(NEXT) | instid1(VALU_DEP_1)
	v_and_b32_e32 v21, 0xffff, v21
	v_or_b32_e32 v21, v21, v22
	v_cmpx_gt_u32_e64 s21, v19
	s_cbranch_execz .LBB161_158
; %bb.153:
	s_and_not1_b32 vcc_lo, exec_lo, s7
	s_cbranch_vccnz .LBB161_157
; %bb.154:
	v_add_nc_u32_e32 v22, -8, v26
	v_mad_nc_u64_u32 v[24:25], v10, s18, s[8:9]
	s_add_nc_u64 s[2:3], s[18:19], -1
	s_mov_b32 s7, 0
	ds_load_b64 v[26:27], v22
	v_mad_u32 v25, v11, s18, v25
	s_delay_alu instid0(VALU_DEP_1) | instskip(SKIP_2) | instid1(VALU_DEP_1)
	v_mad_u32 v25, v10, s19, v25
	s_wait_dscnt 0x0
	v_mad_nc_u64_u32 v[22:23], v26, s18, s[8:9]
                                        ; implicit-def: $sgpr8
	v_mad_u32 v23, v27, s18, v23
	s_delay_alu instid0(VALU_DEP_1)
	v_mad_u32 v23, v26, s19, v23
.LBB161_155:                            ; =>This Inner Loop Header: Depth=1
	global_load_u8 v26, v[22:23], off
	global_load_u8 v27, v[24:25], off
	s_cmp_eq_u64 s[2:3], 0
	s_add_nc_u64 s[18:19], s[2:3], -1
	s_cselect_b32 s3, -1, 0
	s_wait_xcnt 0x1
	v_add_nc_u64_e32 v[22:23], 1, v[22:23]
	s_wait_xcnt 0x0
	v_add_nc_u64_e32 v[24:25], 1, v[24:25]
	s_wait_loadcnt 0x0
	v_cmp_ne_u16_e32 vcc_lo, v26, v27
	v_cmp_eq_u16_e64 s2, v26, v27
	s_or_b32 s3, vcc_lo, s3
	s_delay_alu instid0(SALU_CYCLE_1) | instskip(NEXT) | instid1(SALU_CYCLE_1)
	s_and_b32 s3, exec_lo, s3
	s_or_b32 s7, s3, s7
	s_and_not1_b32 s8, s8, exec_lo
	s_and_b32 s9, s2, exec_lo
	s_mov_b64 s[2:3], s[18:19]
	s_or_b32 s8, s8, s9
	s_and_not1_b32 exec_lo, exec_lo, s7
	s_cbranch_execnz .LBB161_155
; %bb.156:
	s_or_b32 exec_lo, exec_lo, s7
	s_xor_b32 s2, s8, -1
.LBB161_157:
	s_delay_alu instid0(SALU_CYCLE_1)
	s_and_b32 s2, s2, exec_lo
.LBB161_158:
	s_or_b32 exec_lo, exec_lo, s5
	s_delay_alu instid0(VALU_DEP_2)
	v_perm_b32 v21, v21, v21, 0x3020104
	s_or_b32 s6, s6, exec_lo
.LBB161_159:
	s_or_b32 exec_lo, exec_lo, s4
.LBB161_160:
	s_and_saveexec_b32 s3, s6
; %bb.161:
	s_delay_alu instid0(VALU_DEP_1)
	v_dual_lshrrev_b32 v20, 24, v21 :: v_dual_lshrrev_b32 v32, 16, v21
	v_lshrrev_b32_e32 v33, 8, v21
	v_cndmask_b32_e64 v16, 0, 1, s2
; %bb.162:
	s_or_b32 exec_lo, exec_lo, s3
	s_delay_alu instid0(SALU_CYCLE_1)
	s_and_not1_b32 vcc_lo, exec_lo, s22
	s_cbranch_vccnz .LBB161_166
; %bb.163:
	s_delay_alu instid0(VALU_DEP_1)
	v_perm_b32 v16, v16, v33, 0xc0c0004
	v_perm_b32 v20, v32, v20, 0xc0c0004
	v_cmp_gt_u32_e32 vcc_lo, s21, v19
	v_and_b32_e32 v22, 0xff, v30
	v_perm_b32 v17, v17, v31, 0xc0c0004
	v_add_nc_u32_e32 v21, 1, v19
	v_lshl_or_b32 v16, v20, 16, v16
	s_delay_alu instid0(VALU_DEP_1) | instskip(NEXT) | instid1(VALU_DEP_3)
	v_dual_cndmask_b32 v20, 0, v16 :: v_dual_add_nc_u32 v23, 4, v19
	v_cmp_gt_u32_e32 vcc_lo, s21, v21
	v_dual_lshlrev_b32 v21, 16, v22 :: v_dual_add_nc_u32 v22, 2, v19
	s_delay_alu instid0(VALU_DEP_3) | instskip(NEXT) | instid1(VALU_DEP_1)
	v_and_b32_e32 v20, 0xff, v20
	v_cndmask_b32_e32 v20, v20, v16, vcc_lo
	s_delay_alu instid0(VALU_DEP_3) | instskip(NEXT) | instid1(VALU_DEP_2)
	v_cmp_gt_u32_e32 vcc_lo, s21, v22
	v_and_b32_e32 v20, 0xffff, v20
	s_wait_dscnt 0x0
	v_or_b32_e32 v24, v17, v21
	v_bitop3_b32 v17, v17, 0xffff00, v21 bitop3:0xc8
	s_delay_alu instid0(VALU_DEP_3) | instskip(SKIP_1) | instid1(VALU_DEP_2)
	v_dual_cndmask_b32 v20, v20, v16 :: v_dual_add_nc_u32 v21, 5, v19
	v_cmp_gt_u32_e32 vcc_lo, s21, v23
	v_cmp_gt_u32_e64 s2, s21, v21
	s_delay_alu instid0(VALU_DEP_3) | instskip(SKIP_3) | instid1(VALU_DEP_2)
	v_and_b32_e32 v20, 0xffffff, v20
	v_dual_cndmask_b32 v17, v17, v24 :: v_dual_add_nc_u32 v22, 3, v19
	s_or_b32 vcc_lo, s2, vcc_lo
	v_add_nc_u32_e32 v19, 6, v19
	v_cmp_gt_u32_e64 s3, s21, v22
	s_delay_alu instid0(VALU_DEP_3) | instskip(NEXT) | instid1(VALU_DEP_2)
	v_and_b32_e32 v17, 0xffff00ff, v17
	v_cndmask_b32_e64 v20, v20, v16, s3
	s_delay_alu instid0(VALU_DEP_2) | instskip(SKIP_1) | instid1(VALU_DEP_1)
	v_cndmask_b32_e64 v17, v17, v24, s2
	s_mov_b32 s2, exec_lo
	v_dual_cndmask_b32 v16, v20, v16, vcc_lo :: v_dual_lshrrev_b32 v30, 16, v17
	v_lshrrev_b32_e32 v31, 8, v17
	s_delay_alu instid0(VALU_DEP_2)
	v_lshrrev_b64 v[20:21], 24, v[16:17]
	v_dual_lshrrev_b32 v32, 16, v16 :: v_dual_lshrrev_b32 v33, 8, v16
	v_cmpx_le_u32_e64 s21, v19
; %bb.164:
	v_mov_b32_e32 v30, 0
; %bb.165:
	s_or_b32 exec_lo, exec_lo, s2
.LBB161_166:
	s_delay_alu instid0(VALU_DEP_1)
	v_and_b32_e32 v19, 0xff, v16
	v_and_b32_e32 v21, 0xff, v33
	;; [unrolled: 1-line block ×5, first 2 shown]
	v_mbcnt_lo_u32_b32 v38, -1, 0
	v_and_b32_e32 v37, 0xff, v31
	v_add3_u32 v22, v21, v19, v34
	v_and_b32_e32 v23, 0xff, v30
	s_wait_dscnt 0x0
	v_dual_lshrrev_b32 v39, 5, v0 :: v_dual_bitop2_b32 v24, 15, v38 bitop3:0x40
	s_and_b32 vcc_lo, exec_lo, s23
	v_add3_u32 v22, v22, v35, v36
	s_mov_b32 s8, -1
	s_delay_alu instid0(VALU_DEP_2)
	v_cmp_eq_u32_e64 s2, 0, v24
	s_wait_kmcnt 0x0
	v_cmp_lt_u32_e64 s4, 1, v24
	v_add3_u32 v40, v22, v37, v23
	v_and_b32_e32 v22, 16, v38
	v_or_b32_e32 v23, 31, v0
	v_cmp_lt_u32_e64 s5, 3, v24
	v_cmp_lt_u32_e64 s3, 7, v24
	s_barrier_signal -1
	v_cmp_eq_u32_e64 s7, 0, v22
	v_cmp_eq_u32_e64 s6, v0, v23
	s_barrier_wait -1
                                        ; implicit-def: $vgpr25
                                        ; implicit-def: $vgpr26
                                        ; implicit-def: $vgpr27
                                        ; implicit-def: $vgpr28
                                        ; implicit-def: $vgpr29
                                        ; implicit-def: $vgpr41
                                        ; implicit-def: $vgpr42
                                        ; implicit-def: $vgpr24
                                        ; implicit-def: $vgpr22
	s_cbranch_vccz .LBB161_193
; %bb.167:
	v_mov_b32_dpp v22, v40 row_shr:1 row_mask:0xf bank_mask:0xf
	s_delay_alu instid0(VALU_DEP_1) | instskip(NEXT) | instid1(VALU_DEP_1)
	v_cndmask_b32_e64 v22, v22, 0, s2
	v_add_nc_u32_e32 v22, v22, v40
	s_delay_alu instid0(VALU_DEP_1) | instskip(NEXT) | instid1(VALU_DEP_1)
	v_mov_b32_dpp v23, v22 row_shr:2 row_mask:0xf bank_mask:0xf
	v_cndmask_b32_e64 v23, 0, v23, s4
	s_delay_alu instid0(VALU_DEP_1) | instskip(NEXT) | instid1(VALU_DEP_1)
	v_add_nc_u32_e32 v22, v22, v23
	v_mov_b32_dpp v23, v22 row_shr:4 row_mask:0xf bank_mask:0xf
	s_delay_alu instid0(VALU_DEP_1) | instskip(NEXT) | instid1(VALU_DEP_1)
	v_cndmask_b32_e64 v23, 0, v23, s5
	v_add_nc_u32_e32 v22, v22, v23
	s_delay_alu instid0(VALU_DEP_1) | instskip(NEXT) | instid1(VALU_DEP_1)
	v_mov_b32_dpp v23, v22 row_shr:8 row_mask:0xf bank_mask:0xf
	v_cndmask_b32_e64 v23, 0, v23, s3
	s_delay_alu instid0(VALU_DEP_1) | instskip(SKIP_3) | instid1(VALU_DEP_1)
	v_add_nc_u32_e32 v22, v22, v23
	ds_swizzle_b32 v23, v22 offset:swizzle(BROADCAST,32,15)
	s_wait_dscnt 0x0
	v_cndmask_b32_e64 v23, v23, 0, s7
	v_add_nc_u32_e32 v22, v22, v23
	s_and_saveexec_b32 s8, s6
; %bb.168:
	v_lshlrev_b32_e32 v23, 2, v39
	ds_store_b32 v23, v22
; %bb.169:
	s_or_b32 exec_lo, exec_lo, s8
	s_delay_alu instid0(SALU_CYCLE_1)
	s_mov_b32 s8, exec_lo
	s_wait_dscnt 0x0
	s_barrier_signal -1
	s_barrier_wait -1
	v_cmpx_gt_u32_e32 16, v0
	s_cbranch_execz .LBB161_171
; %bb.170:
	v_lshlrev_b32_e32 v23, 2, v0
	ds_load_b32 v24, v23
	s_wait_dscnt 0x0
	v_mov_b32_dpp v25, v24 row_shr:1 row_mask:0xf bank_mask:0xf
	s_delay_alu instid0(VALU_DEP_1) | instskip(NEXT) | instid1(VALU_DEP_1)
	v_cndmask_b32_e64 v25, v25, 0, s2
	v_add_nc_u32_e32 v24, v25, v24
	s_delay_alu instid0(VALU_DEP_1) | instskip(NEXT) | instid1(VALU_DEP_1)
	v_mov_b32_dpp v25, v24 row_shr:2 row_mask:0xf bank_mask:0xf
	v_cndmask_b32_e64 v25, 0, v25, s4
	s_delay_alu instid0(VALU_DEP_1) | instskip(NEXT) | instid1(VALU_DEP_1)
	v_add_nc_u32_e32 v24, v24, v25
	v_mov_b32_dpp v25, v24 row_shr:4 row_mask:0xf bank_mask:0xf
	s_delay_alu instid0(VALU_DEP_1) | instskip(NEXT) | instid1(VALU_DEP_1)
	v_cndmask_b32_e64 v25, 0, v25, s5
	v_add_nc_u32_e32 v24, v24, v25
	s_delay_alu instid0(VALU_DEP_1) | instskip(NEXT) | instid1(VALU_DEP_1)
	v_mov_b32_dpp v25, v24 row_shr:8 row_mask:0xf bank_mask:0xf
	v_cndmask_b32_e64 v25, 0, v25, s3
	s_delay_alu instid0(VALU_DEP_1)
	v_add_nc_u32_e32 v24, v24, v25
	ds_store_b32 v23, v24
.LBB161_171:
	s_or_b32 exec_lo, exec_lo, s8
	s_delay_alu instid0(SALU_CYCLE_1)
	s_mov_b32 s9, exec_lo
	v_cmp_gt_u32_e32 vcc_lo, 32, v0
	s_wait_dscnt 0x0
	s_barrier_signal -1
	s_barrier_wait -1
                                        ; implicit-def: $vgpr41
	v_cmpx_lt_u32_e32 31, v0
	s_cbranch_execz .LBB161_173
; %bb.172:
	v_lshl_add_u32 v23, v39, 2, -4
	ds_load_b32 v41, v23
	s_wait_dscnt 0x0
	v_add_nc_u32_e32 v22, v41, v22
.LBB161_173:
	s_or_b32 exec_lo, exec_lo, s9
	v_sub_co_u32 v23, s8, v38, 1
	s_delay_alu instid0(VALU_DEP_1) | instskip(NEXT) | instid1(VALU_DEP_1)
	v_cmp_gt_i32_e64 s9, 0, v23
	v_cndmask_b32_e64 v23, v23, v38, s9
	s_delay_alu instid0(VALU_DEP_1)
	v_lshlrev_b32_e32 v23, 2, v23
	ds_bpermute_b32 v42, v23, v22
	s_and_saveexec_b32 s9, vcc_lo
	s_cbranch_execz .LBB161_192
; %bb.174:
	v_mov_b32_e32 v29, 0
	ds_load_b32 v22, v29 offset:60
	s_and_saveexec_b32 s18, s8
	s_cbranch_execz .LBB161_176
; %bb.175:
	s_add_co_i32 s19, s20, 32
	s_delay_alu instid0(SALU_CYCLE_1)
	v_dual_mov_b32 v23, 1 :: v_dual_mov_b32 v24, s19
	s_wait_dscnt 0x0
	global_store_b64 v24, v[22:23], s[10:11] scale_offset scope:SCOPE_DEV
.LBB161_176:
	s_wait_xcnt 0x0
	s_or_b32 exec_lo, exec_lo, s18
	v_xad_u32 v24, v38, -1, s20
	s_mov_b32 s19, 0
	s_mov_b32 s18, exec_lo
	s_delay_alu instid0(VALU_DEP_1) | instskip(SKIP_4) | instid1(VALU_DEP_1)
	v_add_nc_u32_e32 v28, 32, v24
	global_load_b64 v[26:27], v28, s[10:11] scale_offset scope:SCOPE_DEV
	s_wait_loadcnt 0x0
	v_and_b32_e32 v23, 0xff, v27
	s_wait_xcnt 0x0
	v_cmpx_eq_u16_e32 0, v23
	s_cbranch_execz .LBB161_180
; %bb.177:
	v_lshl_add_u64 v[28:29], v[28:29], 3, s[10:11]
.LBB161_178:                            ; =>This Inner Loop Header: Depth=1
	global_load_b64 v[26:27], v[28:29], off scope:SCOPE_DEV
	s_wait_loadcnt 0x0
	v_and_b32_e32 v23, 0xff, v27
	s_delay_alu instid0(VALU_DEP_1)
	v_cmp_ne_u16_e32 vcc_lo, 0, v23
	s_or_b32 s19, vcc_lo, s19
	s_wait_xcnt 0x0
	s_and_not1_b32 exec_lo, exec_lo, s19
	s_cbranch_execnz .LBB161_178
; %bb.179:
	s_or_b32 exec_lo, exec_lo, s19
.LBB161_180:
	s_delay_alu instid0(SALU_CYCLE_1)
	s_or_b32 exec_lo, exec_lo, s18
	v_cmp_ne_u32_e32 vcc_lo, 31, v38
	v_lshlrev_b32_e64 v44, v38, -1
	v_dual_add_nc_u32 v46, 2, v38 :: v_dual_add_nc_u32 v48, 4, v38
	v_dual_add_nc_u32 v50, 8, v38 :: v_dual_add_nc_u32 v52, 16, v38
	v_add_co_ci_u32_e64 v23, null, 0, v38, vcc_lo
	v_lshl_or_b32 v51, v38, 2, 64
	s_delay_alu instid0(VALU_DEP_2)
	v_lshlrev_b32_e32 v43, 2, v23
	v_and_b32_e32 v23, 0xff, v27
	ds_bpermute_b32 v25, v43, v26
	v_cmp_eq_u16_e32 vcc_lo, 2, v23
	v_and_or_b32 v23, vcc_lo, v44, 0x80000000
	v_cmp_gt_u32_e32 vcc_lo, 30, v38
	s_delay_alu instid0(VALU_DEP_2) | instskip(SKIP_1) | instid1(VALU_DEP_2)
	v_ctz_i32_b32_e32 v23, v23
	v_cndmask_b32_e64 v28, 0, 2, vcc_lo
	v_cmp_lt_u32_e32 vcc_lo, v38, v23
	s_delay_alu instid0(VALU_DEP_2)
	v_add_lshl_u32 v45, v28, v38, 2
	s_wait_dscnt 0x0
	v_cndmask_b32_e32 v25, 0, v25, vcc_lo
	v_cmp_gt_u32_e32 vcc_lo, 28, v38
	v_cndmask_b32_e64 v28, 0, 4, vcc_lo
	v_cmp_le_u32_e32 vcc_lo, v46, v23
	s_delay_alu instid0(VALU_DEP_4) | instskip(NEXT) | instid1(VALU_DEP_3)
	v_add_nc_u32_e32 v25, v25, v26
	v_add_lshl_u32 v47, v28, v38, 2
	ds_bpermute_b32 v26, v45, v25
	s_wait_dscnt 0x0
	v_cndmask_b32_e32 v26, 0, v26, vcc_lo
	v_cmp_gt_u32_e32 vcc_lo, 24, v38
	v_cndmask_b32_e64 v28, 0, 8, vcc_lo
	v_cmp_le_u32_e32 vcc_lo, v48, v23
	s_delay_alu instid0(VALU_DEP_4) | instskip(NEXT) | instid1(VALU_DEP_3)
	v_add_nc_u32_e32 v25, v25, v26
	v_add_lshl_u32 v49, v28, v38, 2
	ds_bpermute_b32 v26, v47, v25
	s_wait_dscnt 0x0
	v_cndmask_b32_e32 v26, 0, v26, vcc_lo
	v_cmp_le_u32_e32 vcc_lo, v50, v23
	s_delay_alu instid0(VALU_DEP_2) | instskip(SKIP_4) | instid1(VALU_DEP_2)
	v_add_nc_u32_e32 v25, v25, v26
	ds_bpermute_b32 v26, v49, v25
	s_wait_dscnt 0x0
	v_cndmask_b32_e32 v26, 0, v26, vcc_lo
	v_cmp_le_u32_e32 vcc_lo, v52, v23
	v_add_nc_u32_e32 v25, v25, v26
	ds_bpermute_b32 v26, v51, v25
	s_wait_dscnt 0x0
	v_cndmask_b32_e32 v23, 0, v26, vcc_lo
	s_delay_alu instid0(VALU_DEP_1)
	v_dual_mov_b32 v25, 0 :: v_dual_add_nc_u32 v26, v25, v23
	s_branch .LBB161_183
.LBB161_181:                            ;   in Loop: Header=BB161_183 Depth=1
	s_or_b32 exec_lo, exec_lo, s18
	v_and_b32_e32 v28, 0xff, v27
	ds_bpermute_b32 v29, v43, v26
	v_subrev_nc_u32_e32 v24, 32, v24
	s_mov_b32 s18, 0
	v_cmp_eq_u16_e32 vcc_lo, 2, v28
	v_and_or_b32 v28, vcc_lo, v44, 0x80000000
	s_delay_alu instid0(VALU_DEP_1) | instskip(NEXT) | instid1(VALU_DEP_1)
	v_ctz_i32_b32_e32 v28, v28
	v_cmp_lt_u32_e32 vcc_lo, v38, v28
	s_wait_dscnt 0x0
	v_cndmask_b32_e32 v29, 0, v29, vcc_lo
	v_cmp_le_u32_e32 vcc_lo, v46, v28
	s_delay_alu instid0(VALU_DEP_2) | instskip(SKIP_4) | instid1(VALU_DEP_2)
	v_add_nc_u32_e32 v26, v29, v26
	ds_bpermute_b32 v29, v45, v26
	s_wait_dscnt 0x0
	v_cndmask_b32_e32 v29, 0, v29, vcc_lo
	v_cmp_le_u32_e32 vcc_lo, v48, v28
	v_add_nc_u32_e32 v26, v26, v29
	ds_bpermute_b32 v29, v47, v26
	s_wait_dscnt 0x0
	v_cndmask_b32_e32 v29, 0, v29, vcc_lo
	v_cmp_le_u32_e32 vcc_lo, v50, v28
	s_delay_alu instid0(VALU_DEP_2) | instskip(SKIP_4) | instid1(VALU_DEP_2)
	v_add_nc_u32_e32 v26, v26, v29
	ds_bpermute_b32 v29, v49, v26
	s_wait_dscnt 0x0
	v_cndmask_b32_e32 v29, 0, v29, vcc_lo
	v_cmp_le_u32_e32 vcc_lo, v52, v28
	v_add_nc_u32_e32 v26, v26, v29
	ds_bpermute_b32 v29, v51, v26
	s_wait_dscnt 0x0
	v_cndmask_b32_e32 v28, 0, v29, vcc_lo
	s_delay_alu instid0(VALU_DEP_1)
	v_add3_u32 v26, v28, v23, v26
.LBB161_182:                            ;   in Loop: Header=BB161_183 Depth=1
	s_and_b32 vcc_lo, exec_lo, s18
	s_cbranch_vccnz .LBB161_188
.LBB161_183:                            ; =>This Loop Header: Depth=1
                                        ;     Child Loop BB161_186 Depth 2
	v_and_b32_e32 v23, 0xff, v27
	s_mov_b32 s18, -1
                                        ; implicit-def: $vgpr27
	s_delay_alu instid0(VALU_DEP_1)
	v_cmp_ne_u16_e32 vcc_lo, 2, v23
	v_mov_b32_e32 v23, v26
                                        ; implicit-def: $vgpr26
	s_cmp_lg_u32 vcc_lo, exec_lo
	s_cbranch_scc1 .LBB161_182
; %bb.184:                              ;   in Loop: Header=BB161_183 Depth=1
	global_load_b64 v[26:27], v24, s[10:11] scale_offset scope:SCOPE_DEV
	s_mov_b32 s18, exec_lo
	s_wait_loadcnt 0x0
	v_and_b32_e32 v28, 0xff, v27
	s_wait_xcnt 0x0
	s_delay_alu instid0(VALU_DEP_1)
	v_cmpx_eq_u16_e32 0, v28
	s_cbranch_execz .LBB161_181
; %bb.185:                              ;   in Loop: Header=BB161_183 Depth=1
	v_lshl_add_u64 v[28:29], v[24:25], 3, s[10:11]
	s_mov_b32 s19, 0
.LBB161_186:                            ;   Parent Loop BB161_183 Depth=1
                                        ; =>  This Inner Loop Header: Depth=2
	global_load_b64 v[26:27], v[28:29], off scope:SCOPE_DEV
	s_wait_loadcnt 0x0
	v_and_b32_e32 v53, 0xff, v27
	s_delay_alu instid0(VALU_DEP_1)
	v_cmp_ne_u16_e32 vcc_lo, 0, v53
	s_or_b32 s19, vcc_lo, s19
	s_wait_xcnt 0x0
	s_and_not1_b32 exec_lo, exec_lo, s19
	s_cbranch_execnz .LBB161_186
; %bb.187:                              ;   in Loop: Header=BB161_183 Depth=1
	s_or_b32 exec_lo, exec_lo, s19
	s_branch .LBB161_181
.LBB161_188:
	s_and_saveexec_b32 s18, s8
	s_cbranch_execz .LBB161_190
; %bb.189:
	s_add_co_i32 s19, s20, 32
	v_dual_mov_b32 v25, 2 :: v_dual_add_nc_u32 v24, v23, v22
	v_dual_mov_b32 v26, s19 :: v_dual_mov_b32 v27, 0
	global_store_b64 v26, v[24:25], s[10:11] scale_offset scope:SCOPE_DEV
	ds_store_b64 v27, v[22:23] offset:28672
.LBB161_190:
	s_wait_xcnt 0x0
	s_or_b32 exec_lo, exec_lo, s18
	v_cmp_eq_u32_e32 vcc_lo, 0, v0
	s_and_b32 exec_lo, exec_lo, vcc_lo
; %bb.191:
	v_mov_b32_e32 v22, 0
	ds_store_b32 v22, v23 offset:60
.LBB161_192:
	s_or_b32 exec_lo, exec_lo, s9
	s_wait_dscnt 0x0
	v_dual_mov_b32 v22, 0 :: v_dual_cndmask_b32 v24, v42, v41, s8
	s_wait_storecnt 0x0
	s_barrier_signal -1
	s_barrier_wait -1
	ds_load_b32 v23, v22 offset:60
	v_cmp_ne_u32_e32 vcc_lo, 0, v0
	s_wait_dscnt 0x0
	s_barrier_signal -1
	s_barrier_wait -1
	v_cndmask_b32_e32 v24, 0, v24, vcc_lo
	s_mov_b32 s8, 0
	s_delay_alu instid0(VALU_DEP_1) | instskip(SKIP_2) | instid1(VALU_DEP_1)
	v_add_nc_u32_e32 v42, v23, v24
	ds_load_b64 v[22:23], v22 offset:28672
	v_add_nc_u32_e32 v41, v42, v19
	v_add_nc_u32_e32 v29, v41, v21
	s_delay_alu instid0(VALU_DEP_1) | instskip(SKIP_1) | instid1(VALU_DEP_1)
	v_add_nc_u32_e32 v28, v29, v34
	s_wait_dscnt 0x0
	v_dual_mov_b32 v24, v23 :: v_dual_add_nc_u32 v27, v28, v35
	s_delay_alu instid0(VALU_DEP_1) | instskip(NEXT) | instid1(VALU_DEP_1)
	v_add_nc_u32_e32 v26, v27, v36
	v_add_nc_u32_e32 v25, v26, v37
.LBB161_193:
	s_and_b32 vcc_lo, exec_lo, s8
	s_cbranch_vccz .LBB161_203
; %bb.194:
	v_mov_b32_dpp v22, v40 row_shr:1 row_mask:0xf bank_mask:0xf
	s_delay_alu instid0(VALU_DEP_1) | instskip(NEXT) | instid1(VALU_DEP_1)
	v_cndmask_b32_e64 v22, v22, 0, s2
	v_add_nc_u32_e32 v22, v22, v40
	s_delay_alu instid0(VALU_DEP_1) | instskip(NEXT) | instid1(VALU_DEP_1)
	v_mov_b32_dpp v23, v22 row_shr:2 row_mask:0xf bank_mask:0xf
	v_cndmask_b32_e64 v23, 0, v23, s4
	s_delay_alu instid0(VALU_DEP_1) | instskip(NEXT) | instid1(VALU_DEP_1)
	v_add_nc_u32_e32 v22, v22, v23
	v_mov_b32_dpp v23, v22 row_shr:4 row_mask:0xf bank_mask:0xf
	s_delay_alu instid0(VALU_DEP_1) | instskip(NEXT) | instid1(VALU_DEP_1)
	v_cndmask_b32_e64 v23, 0, v23, s5
	v_add_nc_u32_e32 v22, v22, v23
	s_delay_alu instid0(VALU_DEP_1) | instskip(NEXT) | instid1(VALU_DEP_1)
	v_mov_b32_dpp v23, v22 row_shr:8 row_mask:0xf bank_mask:0xf
	v_cndmask_b32_e64 v23, 0, v23, s3
	s_delay_alu instid0(VALU_DEP_1) | instskip(SKIP_3) | instid1(VALU_DEP_1)
	v_add_nc_u32_e32 v22, v22, v23
	ds_swizzle_b32 v23, v22 offset:swizzle(BROADCAST,32,15)
	s_wait_dscnt 0x0
	v_cndmask_b32_e64 v23, v23, 0, s7
	v_add_nc_u32_e32 v22, v22, v23
	s_and_saveexec_b32 s7, s6
; %bb.195:
	v_lshlrev_b32_e32 v23, 2, v39
	ds_store_b32 v23, v22
; %bb.196:
	s_or_b32 exec_lo, exec_lo, s7
	s_delay_alu instid0(SALU_CYCLE_1)
	s_mov_b32 s6, exec_lo
	s_wait_dscnt 0x0
	s_barrier_signal -1
	s_barrier_wait -1
	v_cmpx_gt_u32_e32 16, v0
	s_cbranch_execz .LBB161_198
; %bb.197:
	v_lshlrev_b32_e32 v23, 2, v0
	ds_load_b32 v24, v23
	s_wait_dscnt 0x0
	v_mov_b32_dpp v25, v24 row_shr:1 row_mask:0xf bank_mask:0xf
	s_delay_alu instid0(VALU_DEP_1) | instskip(NEXT) | instid1(VALU_DEP_1)
	v_cndmask_b32_e64 v25, v25, 0, s2
	v_add_nc_u32_e32 v24, v25, v24
	s_delay_alu instid0(VALU_DEP_1) | instskip(NEXT) | instid1(VALU_DEP_1)
	v_mov_b32_dpp v25, v24 row_shr:2 row_mask:0xf bank_mask:0xf
	v_cndmask_b32_e64 v25, 0, v25, s4
	s_delay_alu instid0(VALU_DEP_1) | instskip(NEXT) | instid1(VALU_DEP_1)
	v_add_nc_u32_e32 v24, v24, v25
	v_mov_b32_dpp v25, v24 row_shr:4 row_mask:0xf bank_mask:0xf
	s_delay_alu instid0(VALU_DEP_1) | instskip(NEXT) | instid1(VALU_DEP_1)
	v_cndmask_b32_e64 v25, 0, v25, s5
	v_add_nc_u32_e32 v24, v24, v25
	s_delay_alu instid0(VALU_DEP_1) | instskip(NEXT) | instid1(VALU_DEP_1)
	v_mov_b32_dpp v25, v24 row_shr:8 row_mask:0xf bank_mask:0xf
	v_cndmask_b32_e64 v25, 0, v25, s3
	s_delay_alu instid0(VALU_DEP_1)
	v_add_nc_u32_e32 v24, v24, v25
	ds_store_b32 v23, v24
.LBB161_198:
	s_or_b32 exec_lo, exec_lo, s6
	v_dual_mov_b32 v23, 0 :: v_dual_mov_b32 v24, 0
	s_mov_b32 s2, exec_lo
	s_wait_dscnt 0x0
	s_barrier_signal -1
	s_barrier_wait -1
	v_cmpx_lt_u32_e32 31, v0
; %bb.199:
	v_lshl_add_u32 v24, v39, 2, -4
	ds_load_b32 v24, v24
; %bb.200:
	s_or_b32 exec_lo, exec_lo, s2
	v_sub_co_u32 v25, vcc_lo, v38, 1
	s_delay_alu instid0(VALU_DEP_1) | instskip(NEXT) | instid1(VALU_DEP_1)
	v_cmp_gt_i32_e64 s2, 0, v25
	v_cndmask_b32_e64 v25, v25, v38, s2
	s_wait_dscnt 0x0
	v_add_nc_u32_e32 v22, v24, v22
	v_cmp_eq_u32_e64 s2, 0, v0
	s_delay_alu instid0(VALU_DEP_3)
	v_lshlrev_b32_e32 v25, 2, v25
	ds_bpermute_b32 v25, v25, v22
	ds_load_b32 v22, v23 offset:60
	s_and_saveexec_b32 s3, s2
	s_cbranch_execz .LBB161_202
; %bb.201:
	v_dual_mov_b32 v26, 0 :: v_dual_mov_b32 v23, 2
	s_wait_dscnt 0x0
	global_store_b64 v26, v[22:23], s[10:11] offset:256 scope:SCOPE_DEV
.LBB161_202:
	s_wait_xcnt 0x0
	s_or_b32 exec_lo, exec_lo, s3
	s_wait_dscnt 0x1
	v_cndmask_b32_e32 v23, v25, v24, vcc_lo
	s_wait_storecnt_dscnt 0x0
	s_barrier_signal -1
	s_barrier_wait -1
	s_delay_alu instid0(VALU_DEP_1) | instskip(NEXT) | instid1(VALU_DEP_1)
	v_cndmask_b32_e64 v42, v23, 0, s2
	v_dual_mov_b32 v24, 0 :: v_dual_add_nc_u32 v41, v42, v19
	s_delay_alu instid0(VALU_DEP_1) | instskip(NEXT) | instid1(VALU_DEP_1)
	v_add_nc_u32_e32 v29, v41, v21
	v_add_nc_u32_e32 v28, v29, v34
	s_delay_alu instid0(VALU_DEP_1) | instskip(NEXT) | instid1(VALU_DEP_1)
	v_add_nc_u32_e32 v27, v28, v35
	v_add_nc_u32_e32 v26, v27, v36
	s_delay_alu instid0(VALU_DEP_1)
	v_add_nc_u32_e32 v25, v26, v37
.LBB161_203:
	s_load_b64 s[2:3], s[0:1], 0x28
	v_and_b32_e32 v16, 1, v16
	v_cmp_gt_u32_e32 vcc_lo, 0x201, v22
	s_wait_xcnt 0x0
	s_mov_b32 s1, -1
	s_delay_alu instid0(VALU_DEP_2)
	v_cmp_eq_u32_e64 s0, 1, v16
	s_cbranch_vccnz .LBB161_207
; %bb.204:
	s_and_b32 vcc_lo, exec_lo, s1
	s_cbranch_vccnz .LBB161_222
.LBB161_205:
	v_cmp_eq_u32_e32 vcc_lo, 0, v0
	s_and_b32 s0, vcc_lo, s16
	s_delay_alu instid0(SALU_CYCLE_1)
	s_and_saveexec_b32 s1, s0
	s_cbranch_execnz .LBB161_239
.LBB161_206:
	s_endpgm
.LBB161_207:
	v_add_nc_u32_e32 v19, v24, v22
	s_delay_alu instid0(VALU_DEP_1) | instskip(SKIP_1) | instid1(SALU_CYCLE_1)
	v_cmp_lt_u32_e32 vcc_lo, v42, v19
	s_or_b32 s1, s17, vcc_lo
	s_and_b32 s1, s1, s0
	s_delay_alu instid0(SALU_CYCLE_1)
	s_and_saveexec_b32 s0, s1
	s_cbranch_execz .LBB161_209
; %bb.208:
	s_lshl_b64 s[4:5], s[14:15], 3
	s_wait_kmcnt 0x0
	s_add_nc_u64 s[4:5], s[2:3], s[4:5]
	global_store_b64 v42, v[10:11], s[4:5] scale_offset
.LBB161_209:
	s_wait_xcnt 0x0
	s_or_b32 exec_lo, exec_lo, s0
	v_and_b32_e32 v21, 1, v33
	v_cmp_lt_u32_e32 vcc_lo, v41, v19
	s_delay_alu instid0(VALU_DEP_2) | instskip(SKIP_1) | instid1(SALU_CYCLE_1)
	v_cmp_eq_u32_e64 s0, 1, v21
	s_or_b32 s1, s17, vcc_lo
	s_and_b32 s1, s1, s0
	s_delay_alu instid0(SALU_CYCLE_1)
	s_and_saveexec_b32 s0, s1
	s_cbranch_execz .LBB161_211
; %bb.210:
	s_lshl_b64 s[4:5], s[14:15], 3
	s_wait_kmcnt 0x0
	s_add_nc_u64 s[4:5], s[2:3], s[4:5]
	global_store_b64 v41, v[12:13], s[4:5] scale_offset
.LBB161_211:
	s_wait_xcnt 0x0
	s_or_b32 exec_lo, exec_lo, s0
	v_and_b32_e32 v21, 1, v32
	v_cmp_lt_u32_e32 vcc_lo, v29, v19
	s_delay_alu instid0(VALU_DEP_2) | instskip(SKIP_1) | instid1(SALU_CYCLE_1)
	v_cmp_eq_u32_e64 s0, 1, v21
	;; [unrolled: 17-line block ×6, first 2 shown]
	s_or_b32 s1, s17, vcc_lo
	s_and_b32 s1, s1, s0
	s_delay_alu instid0(SALU_CYCLE_1)
	s_and_saveexec_b32 s0, s1
	s_cbranch_execz .LBB161_221
; %bb.220:
	s_lshl_b64 s[4:5], s[14:15], 3
	s_wait_kmcnt 0x0
	s_add_nc_u64 s[4:5], s[2:3], s[4:5]
	global_store_b64 v25, v[14:15], s[4:5] scale_offset
.LBB161_221:
	s_wait_xcnt 0x0
	s_or_b32 exec_lo, exec_lo, s0
	s_branch .LBB161_205
.LBB161_222:
	s_mov_b32 s0, exec_lo
	v_cmpx_eq_u32_e32 1, v16
; %bb.223:
	v_sub_nc_u32_e32 v16, v42, v24
	s_delay_alu instid0(VALU_DEP_1)
	v_lshlrev_b32_e32 v16, 3, v16
	ds_store_b64 v16, v[10:11]
; %bb.224:
	s_or_b32 exec_lo, exec_lo, s0
	v_and_b32_e32 v10, 1, v33
	s_mov_b32 s0, exec_lo
	s_delay_alu instid0(VALU_DEP_1)
	v_cmpx_eq_u32_e32 1, v10
; %bb.225:
	v_sub_nc_u32_e32 v10, v41, v24
	s_delay_alu instid0(VALU_DEP_1)
	v_lshlrev_b32_e32 v10, 3, v10
	ds_store_b64 v10, v[12:13]
; %bb.226:
	s_or_b32 exec_lo, exec_lo, s0
	v_and_b32_e32 v10, 1, v32
	s_mov_b32 s0, exec_lo
	s_delay_alu instid0(VALU_DEP_1)
	;; [unrolled: 11-line block ×6, first 2 shown]
	v_cmpx_eq_u32_e32 1, v2
; %bb.235:
	v_sub_nc_u32_e32 v2, v25, v24
	s_delay_alu instid0(VALU_DEP_1)
	v_lshlrev_b32_e32 v2, 3, v2
	ds_store_b64 v2, v[14:15]
; %bb.236:
	s_or_b32 exec_lo, exec_lo, s0
	v_mov_b32_e32 v25, 0
	s_lshl_b64 s[0:1], s[14:15], 3
	s_wait_storecnt_dscnt 0x0
	s_barrier_signal -1
	s_barrier_wait -1
	v_lshlrev_b64_e32 v[2:3], 3, v[24:25]
	v_mov_b32_e32 v19, v25
	s_delay_alu instid0(VALU_DEP_2) | instskip(SKIP_2) | instid1(VALU_DEP_1)
	v_add_nc_u64_e32 v[2:3], s[0:1], v[2:3]
	s_mov_b32 s0, 0
	s_wait_kmcnt 0x0
	v_add_nc_u64_e32 v[2:3], s[2:3], v[2:3]
	s_delay_alu instid0(VALU_DEP_1)
	v_add_nc_u64_e32 v[2:3], v[2:3], v[18:19]
.LBB161_237:                            ; =>This Inner Loop Header: Depth=1
	ds_load_b64 v[4:5], v18
	v_add_nc_u32_e32 v1, 0x200, v1
	v_add_nc_u32_e32 v18, 0x1000, v18
	s_delay_alu instid0(VALU_DEP_2)
	v_cmp_ge_u32_e32 vcc_lo, v1, v22
	s_or_b32 s0, vcc_lo, s0
	s_wait_dscnt 0x0
	global_store_b64 v[2:3], v[4:5], off
	s_wait_xcnt 0x0
	v_add_nc_u64_e32 v[2:3], 0x1000, v[2:3]
	s_and_not1_b32 exec_lo, exec_lo, s0
	s_cbranch_execnz .LBB161_237
; %bb.238:
	s_or_b32 exec_lo, exec_lo, s0
	v_cmp_eq_u32_e32 vcc_lo, 0, v0
	s_and_b32 s0, vcc_lo, s16
	s_delay_alu instid0(SALU_CYCLE_1)
	s_and_saveexec_b32 s1, s0
	s_cbranch_execz .LBB161_206
.LBB161_239:
	v_mov_b32_e32 v23, 0
	s_delay_alu instid0(VALU_DEP_1) | instskip(SKIP_1) | instid1(VALU_DEP_1)
	v_add_nc_u64_e32 v[0:1], s[14:15], v[22:23]
	v_mov_b32_e32 v25, v23
	v_add_nc_u64_e32 v[0:1], v[0:1], v[24:25]
	global_store_b64 v23, v[0:1], s[12:13]
	s_endpgm
	.section	.rodata,"a",@progbits
	.p2align	6, 0x0
	.amdhsa_kernel _ZN7rocprim17ROCPRIM_400000_NS6detail17trampoline_kernelINS0_14default_configENS1_25partition_config_selectorILNS1_17partition_subalgoE8ElNS0_10empty_typeEbEEZZNS1_14partition_implILS5_8ELb0ES3_jPlPS6_PKS6_NS0_5tupleIJS9_S6_EEENSD_IJSA_SA_EEENS0_18inequality_wrapperIZN2at6native12_GLOBAL__N_124unique_dim_cuda_templateIhEESt5tupleIJNSH_6TensorESM_SM_EERKSM_lbbbEUlllE0_EEPmJS6_EEE10hipError_tPvRmT3_T4_T5_T6_T7_T9_mT8_P12ihipStream_tbDpT10_ENKUlT_T0_E_clISt17integral_constantIbLb0EES1C_EEDaS17_S18_EUlS17_E_NS1_11comp_targetILNS1_3genE0ELNS1_11target_archE4294967295ELNS1_3gpuE0ELNS1_3repE0EEENS1_30default_config_static_selectorELNS0_4arch9wavefront6targetE0EEEvT1_
		.amdhsa_group_segment_fixed_size 28680
		.amdhsa_private_segment_fixed_size 0
		.amdhsa_kernarg_size 120
		.amdhsa_user_sgpr_count 2
		.amdhsa_user_sgpr_dispatch_ptr 0
		.amdhsa_user_sgpr_queue_ptr 0
		.amdhsa_user_sgpr_kernarg_segment_ptr 1
		.amdhsa_user_sgpr_dispatch_id 0
		.amdhsa_user_sgpr_kernarg_preload_length 0
		.amdhsa_user_sgpr_kernarg_preload_offset 0
		.amdhsa_user_sgpr_private_segment_size 0
		.amdhsa_wavefront_size32 1
		.amdhsa_uses_dynamic_stack 0
		.amdhsa_enable_private_segment 0
		.amdhsa_system_sgpr_workgroup_id_x 1
		.amdhsa_system_sgpr_workgroup_id_y 0
		.amdhsa_system_sgpr_workgroup_id_z 0
		.amdhsa_system_sgpr_workgroup_info 0
		.amdhsa_system_vgpr_workitem_id 0
		.amdhsa_next_free_vgpr 54
		.amdhsa_next_free_sgpr 36
		.amdhsa_named_barrier_count 0
		.amdhsa_reserve_vcc 1
		.amdhsa_float_round_mode_32 0
		.amdhsa_float_round_mode_16_64 0
		.amdhsa_float_denorm_mode_32 3
		.amdhsa_float_denorm_mode_16_64 3
		.amdhsa_fp16_overflow 0
		.amdhsa_memory_ordered 1
		.amdhsa_forward_progress 1
		.amdhsa_inst_pref_size 87
		.amdhsa_round_robin_scheduling 0
		.amdhsa_exception_fp_ieee_invalid_op 0
		.amdhsa_exception_fp_denorm_src 0
		.amdhsa_exception_fp_ieee_div_zero 0
		.amdhsa_exception_fp_ieee_overflow 0
		.amdhsa_exception_fp_ieee_underflow 0
		.amdhsa_exception_fp_ieee_inexact 0
		.amdhsa_exception_int_div_zero 0
	.end_amdhsa_kernel
	.section	.text._ZN7rocprim17ROCPRIM_400000_NS6detail17trampoline_kernelINS0_14default_configENS1_25partition_config_selectorILNS1_17partition_subalgoE8ElNS0_10empty_typeEbEEZZNS1_14partition_implILS5_8ELb0ES3_jPlPS6_PKS6_NS0_5tupleIJS9_S6_EEENSD_IJSA_SA_EEENS0_18inequality_wrapperIZN2at6native12_GLOBAL__N_124unique_dim_cuda_templateIhEESt5tupleIJNSH_6TensorESM_SM_EERKSM_lbbbEUlllE0_EEPmJS6_EEE10hipError_tPvRmT3_T4_T5_T6_T7_T9_mT8_P12ihipStream_tbDpT10_ENKUlT_T0_E_clISt17integral_constantIbLb0EES1C_EEDaS17_S18_EUlS17_E_NS1_11comp_targetILNS1_3genE0ELNS1_11target_archE4294967295ELNS1_3gpuE0ELNS1_3repE0EEENS1_30default_config_static_selectorELNS0_4arch9wavefront6targetE0EEEvT1_,"axG",@progbits,_ZN7rocprim17ROCPRIM_400000_NS6detail17trampoline_kernelINS0_14default_configENS1_25partition_config_selectorILNS1_17partition_subalgoE8ElNS0_10empty_typeEbEEZZNS1_14partition_implILS5_8ELb0ES3_jPlPS6_PKS6_NS0_5tupleIJS9_S6_EEENSD_IJSA_SA_EEENS0_18inequality_wrapperIZN2at6native12_GLOBAL__N_124unique_dim_cuda_templateIhEESt5tupleIJNSH_6TensorESM_SM_EERKSM_lbbbEUlllE0_EEPmJS6_EEE10hipError_tPvRmT3_T4_T5_T6_T7_T9_mT8_P12ihipStream_tbDpT10_ENKUlT_T0_E_clISt17integral_constantIbLb0EES1C_EEDaS17_S18_EUlS17_E_NS1_11comp_targetILNS1_3genE0ELNS1_11target_archE4294967295ELNS1_3gpuE0ELNS1_3repE0EEENS1_30default_config_static_selectorELNS0_4arch9wavefront6targetE0EEEvT1_,comdat
.Lfunc_end161:
	.size	_ZN7rocprim17ROCPRIM_400000_NS6detail17trampoline_kernelINS0_14default_configENS1_25partition_config_selectorILNS1_17partition_subalgoE8ElNS0_10empty_typeEbEEZZNS1_14partition_implILS5_8ELb0ES3_jPlPS6_PKS6_NS0_5tupleIJS9_S6_EEENSD_IJSA_SA_EEENS0_18inequality_wrapperIZN2at6native12_GLOBAL__N_124unique_dim_cuda_templateIhEESt5tupleIJNSH_6TensorESM_SM_EERKSM_lbbbEUlllE0_EEPmJS6_EEE10hipError_tPvRmT3_T4_T5_T6_T7_T9_mT8_P12ihipStream_tbDpT10_ENKUlT_T0_E_clISt17integral_constantIbLb0EES1C_EEDaS17_S18_EUlS17_E_NS1_11comp_targetILNS1_3genE0ELNS1_11target_archE4294967295ELNS1_3gpuE0ELNS1_3repE0EEENS1_30default_config_static_selectorELNS0_4arch9wavefront6targetE0EEEvT1_, .Lfunc_end161-_ZN7rocprim17ROCPRIM_400000_NS6detail17trampoline_kernelINS0_14default_configENS1_25partition_config_selectorILNS1_17partition_subalgoE8ElNS0_10empty_typeEbEEZZNS1_14partition_implILS5_8ELb0ES3_jPlPS6_PKS6_NS0_5tupleIJS9_S6_EEENSD_IJSA_SA_EEENS0_18inequality_wrapperIZN2at6native12_GLOBAL__N_124unique_dim_cuda_templateIhEESt5tupleIJNSH_6TensorESM_SM_EERKSM_lbbbEUlllE0_EEPmJS6_EEE10hipError_tPvRmT3_T4_T5_T6_T7_T9_mT8_P12ihipStream_tbDpT10_ENKUlT_T0_E_clISt17integral_constantIbLb0EES1C_EEDaS17_S18_EUlS17_E_NS1_11comp_targetILNS1_3genE0ELNS1_11target_archE4294967295ELNS1_3gpuE0ELNS1_3repE0EEENS1_30default_config_static_selectorELNS0_4arch9wavefront6targetE0EEEvT1_
                                        ; -- End function
	.set _ZN7rocprim17ROCPRIM_400000_NS6detail17trampoline_kernelINS0_14default_configENS1_25partition_config_selectorILNS1_17partition_subalgoE8ElNS0_10empty_typeEbEEZZNS1_14partition_implILS5_8ELb0ES3_jPlPS6_PKS6_NS0_5tupleIJS9_S6_EEENSD_IJSA_SA_EEENS0_18inequality_wrapperIZN2at6native12_GLOBAL__N_124unique_dim_cuda_templateIhEESt5tupleIJNSH_6TensorESM_SM_EERKSM_lbbbEUlllE0_EEPmJS6_EEE10hipError_tPvRmT3_T4_T5_T6_T7_T9_mT8_P12ihipStream_tbDpT10_ENKUlT_T0_E_clISt17integral_constantIbLb0EES1C_EEDaS17_S18_EUlS17_E_NS1_11comp_targetILNS1_3genE0ELNS1_11target_archE4294967295ELNS1_3gpuE0ELNS1_3repE0EEENS1_30default_config_static_selectorELNS0_4arch9wavefront6targetE0EEEvT1_.num_vgpr, 54
	.set _ZN7rocprim17ROCPRIM_400000_NS6detail17trampoline_kernelINS0_14default_configENS1_25partition_config_selectorILNS1_17partition_subalgoE8ElNS0_10empty_typeEbEEZZNS1_14partition_implILS5_8ELb0ES3_jPlPS6_PKS6_NS0_5tupleIJS9_S6_EEENSD_IJSA_SA_EEENS0_18inequality_wrapperIZN2at6native12_GLOBAL__N_124unique_dim_cuda_templateIhEESt5tupleIJNSH_6TensorESM_SM_EERKSM_lbbbEUlllE0_EEPmJS6_EEE10hipError_tPvRmT3_T4_T5_T6_T7_T9_mT8_P12ihipStream_tbDpT10_ENKUlT_T0_E_clISt17integral_constantIbLb0EES1C_EEDaS17_S18_EUlS17_E_NS1_11comp_targetILNS1_3genE0ELNS1_11target_archE4294967295ELNS1_3gpuE0ELNS1_3repE0EEENS1_30default_config_static_selectorELNS0_4arch9wavefront6targetE0EEEvT1_.num_agpr, 0
	.set _ZN7rocprim17ROCPRIM_400000_NS6detail17trampoline_kernelINS0_14default_configENS1_25partition_config_selectorILNS1_17partition_subalgoE8ElNS0_10empty_typeEbEEZZNS1_14partition_implILS5_8ELb0ES3_jPlPS6_PKS6_NS0_5tupleIJS9_S6_EEENSD_IJSA_SA_EEENS0_18inequality_wrapperIZN2at6native12_GLOBAL__N_124unique_dim_cuda_templateIhEESt5tupleIJNSH_6TensorESM_SM_EERKSM_lbbbEUlllE0_EEPmJS6_EEE10hipError_tPvRmT3_T4_T5_T6_T7_T9_mT8_P12ihipStream_tbDpT10_ENKUlT_T0_E_clISt17integral_constantIbLb0EES1C_EEDaS17_S18_EUlS17_E_NS1_11comp_targetILNS1_3genE0ELNS1_11target_archE4294967295ELNS1_3gpuE0ELNS1_3repE0EEENS1_30default_config_static_selectorELNS0_4arch9wavefront6targetE0EEEvT1_.numbered_sgpr, 36
	.set _ZN7rocprim17ROCPRIM_400000_NS6detail17trampoline_kernelINS0_14default_configENS1_25partition_config_selectorILNS1_17partition_subalgoE8ElNS0_10empty_typeEbEEZZNS1_14partition_implILS5_8ELb0ES3_jPlPS6_PKS6_NS0_5tupleIJS9_S6_EEENSD_IJSA_SA_EEENS0_18inequality_wrapperIZN2at6native12_GLOBAL__N_124unique_dim_cuda_templateIhEESt5tupleIJNSH_6TensorESM_SM_EERKSM_lbbbEUlllE0_EEPmJS6_EEE10hipError_tPvRmT3_T4_T5_T6_T7_T9_mT8_P12ihipStream_tbDpT10_ENKUlT_T0_E_clISt17integral_constantIbLb0EES1C_EEDaS17_S18_EUlS17_E_NS1_11comp_targetILNS1_3genE0ELNS1_11target_archE4294967295ELNS1_3gpuE0ELNS1_3repE0EEENS1_30default_config_static_selectorELNS0_4arch9wavefront6targetE0EEEvT1_.num_named_barrier, 0
	.set _ZN7rocprim17ROCPRIM_400000_NS6detail17trampoline_kernelINS0_14default_configENS1_25partition_config_selectorILNS1_17partition_subalgoE8ElNS0_10empty_typeEbEEZZNS1_14partition_implILS5_8ELb0ES3_jPlPS6_PKS6_NS0_5tupleIJS9_S6_EEENSD_IJSA_SA_EEENS0_18inequality_wrapperIZN2at6native12_GLOBAL__N_124unique_dim_cuda_templateIhEESt5tupleIJNSH_6TensorESM_SM_EERKSM_lbbbEUlllE0_EEPmJS6_EEE10hipError_tPvRmT3_T4_T5_T6_T7_T9_mT8_P12ihipStream_tbDpT10_ENKUlT_T0_E_clISt17integral_constantIbLb0EES1C_EEDaS17_S18_EUlS17_E_NS1_11comp_targetILNS1_3genE0ELNS1_11target_archE4294967295ELNS1_3gpuE0ELNS1_3repE0EEENS1_30default_config_static_selectorELNS0_4arch9wavefront6targetE0EEEvT1_.private_seg_size, 0
	.set _ZN7rocprim17ROCPRIM_400000_NS6detail17trampoline_kernelINS0_14default_configENS1_25partition_config_selectorILNS1_17partition_subalgoE8ElNS0_10empty_typeEbEEZZNS1_14partition_implILS5_8ELb0ES3_jPlPS6_PKS6_NS0_5tupleIJS9_S6_EEENSD_IJSA_SA_EEENS0_18inequality_wrapperIZN2at6native12_GLOBAL__N_124unique_dim_cuda_templateIhEESt5tupleIJNSH_6TensorESM_SM_EERKSM_lbbbEUlllE0_EEPmJS6_EEE10hipError_tPvRmT3_T4_T5_T6_T7_T9_mT8_P12ihipStream_tbDpT10_ENKUlT_T0_E_clISt17integral_constantIbLb0EES1C_EEDaS17_S18_EUlS17_E_NS1_11comp_targetILNS1_3genE0ELNS1_11target_archE4294967295ELNS1_3gpuE0ELNS1_3repE0EEENS1_30default_config_static_selectorELNS0_4arch9wavefront6targetE0EEEvT1_.uses_vcc, 1
	.set _ZN7rocprim17ROCPRIM_400000_NS6detail17trampoline_kernelINS0_14default_configENS1_25partition_config_selectorILNS1_17partition_subalgoE8ElNS0_10empty_typeEbEEZZNS1_14partition_implILS5_8ELb0ES3_jPlPS6_PKS6_NS0_5tupleIJS9_S6_EEENSD_IJSA_SA_EEENS0_18inequality_wrapperIZN2at6native12_GLOBAL__N_124unique_dim_cuda_templateIhEESt5tupleIJNSH_6TensorESM_SM_EERKSM_lbbbEUlllE0_EEPmJS6_EEE10hipError_tPvRmT3_T4_T5_T6_T7_T9_mT8_P12ihipStream_tbDpT10_ENKUlT_T0_E_clISt17integral_constantIbLb0EES1C_EEDaS17_S18_EUlS17_E_NS1_11comp_targetILNS1_3genE0ELNS1_11target_archE4294967295ELNS1_3gpuE0ELNS1_3repE0EEENS1_30default_config_static_selectorELNS0_4arch9wavefront6targetE0EEEvT1_.uses_flat_scratch, 0
	.set _ZN7rocprim17ROCPRIM_400000_NS6detail17trampoline_kernelINS0_14default_configENS1_25partition_config_selectorILNS1_17partition_subalgoE8ElNS0_10empty_typeEbEEZZNS1_14partition_implILS5_8ELb0ES3_jPlPS6_PKS6_NS0_5tupleIJS9_S6_EEENSD_IJSA_SA_EEENS0_18inequality_wrapperIZN2at6native12_GLOBAL__N_124unique_dim_cuda_templateIhEESt5tupleIJNSH_6TensorESM_SM_EERKSM_lbbbEUlllE0_EEPmJS6_EEE10hipError_tPvRmT3_T4_T5_T6_T7_T9_mT8_P12ihipStream_tbDpT10_ENKUlT_T0_E_clISt17integral_constantIbLb0EES1C_EEDaS17_S18_EUlS17_E_NS1_11comp_targetILNS1_3genE0ELNS1_11target_archE4294967295ELNS1_3gpuE0ELNS1_3repE0EEENS1_30default_config_static_selectorELNS0_4arch9wavefront6targetE0EEEvT1_.has_dyn_sized_stack, 0
	.set _ZN7rocprim17ROCPRIM_400000_NS6detail17trampoline_kernelINS0_14default_configENS1_25partition_config_selectorILNS1_17partition_subalgoE8ElNS0_10empty_typeEbEEZZNS1_14partition_implILS5_8ELb0ES3_jPlPS6_PKS6_NS0_5tupleIJS9_S6_EEENSD_IJSA_SA_EEENS0_18inequality_wrapperIZN2at6native12_GLOBAL__N_124unique_dim_cuda_templateIhEESt5tupleIJNSH_6TensorESM_SM_EERKSM_lbbbEUlllE0_EEPmJS6_EEE10hipError_tPvRmT3_T4_T5_T6_T7_T9_mT8_P12ihipStream_tbDpT10_ENKUlT_T0_E_clISt17integral_constantIbLb0EES1C_EEDaS17_S18_EUlS17_E_NS1_11comp_targetILNS1_3genE0ELNS1_11target_archE4294967295ELNS1_3gpuE0ELNS1_3repE0EEENS1_30default_config_static_selectorELNS0_4arch9wavefront6targetE0EEEvT1_.has_recursion, 0
	.set _ZN7rocprim17ROCPRIM_400000_NS6detail17trampoline_kernelINS0_14default_configENS1_25partition_config_selectorILNS1_17partition_subalgoE8ElNS0_10empty_typeEbEEZZNS1_14partition_implILS5_8ELb0ES3_jPlPS6_PKS6_NS0_5tupleIJS9_S6_EEENSD_IJSA_SA_EEENS0_18inequality_wrapperIZN2at6native12_GLOBAL__N_124unique_dim_cuda_templateIhEESt5tupleIJNSH_6TensorESM_SM_EERKSM_lbbbEUlllE0_EEPmJS6_EEE10hipError_tPvRmT3_T4_T5_T6_T7_T9_mT8_P12ihipStream_tbDpT10_ENKUlT_T0_E_clISt17integral_constantIbLb0EES1C_EEDaS17_S18_EUlS17_E_NS1_11comp_targetILNS1_3genE0ELNS1_11target_archE4294967295ELNS1_3gpuE0ELNS1_3repE0EEENS1_30default_config_static_selectorELNS0_4arch9wavefront6targetE0EEEvT1_.has_indirect_call, 0
	.section	.AMDGPU.csdata,"",@progbits
; Kernel info:
; codeLenInByte = 11068
; TotalNumSgprs: 38
; NumVgprs: 54
; ScratchSize: 0
; MemoryBound: 0
; FloatMode: 240
; IeeeMode: 1
; LDSByteSize: 28680 bytes/workgroup (compile time only)
; SGPRBlocks: 0
; VGPRBlocks: 3
; NumSGPRsForWavesPerEU: 38
; NumVGPRsForWavesPerEU: 54
; NamedBarCnt: 0
; Occupancy: 16
; WaveLimiterHint : 1
; COMPUTE_PGM_RSRC2:SCRATCH_EN: 0
; COMPUTE_PGM_RSRC2:USER_SGPR: 2
; COMPUTE_PGM_RSRC2:TRAP_HANDLER: 0
; COMPUTE_PGM_RSRC2:TGID_X_EN: 1
; COMPUTE_PGM_RSRC2:TGID_Y_EN: 0
; COMPUTE_PGM_RSRC2:TGID_Z_EN: 0
; COMPUTE_PGM_RSRC2:TIDIG_COMP_CNT: 0
	.section	.text._ZN7rocprim17ROCPRIM_400000_NS6detail17trampoline_kernelINS0_14default_configENS1_25partition_config_selectorILNS1_17partition_subalgoE8ElNS0_10empty_typeEbEEZZNS1_14partition_implILS5_8ELb0ES3_jPlPS6_PKS6_NS0_5tupleIJS9_S6_EEENSD_IJSA_SA_EEENS0_18inequality_wrapperIZN2at6native12_GLOBAL__N_124unique_dim_cuda_templateIhEESt5tupleIJNSH_6TensorESM_SM_EERKSM_lbbbEUlllE0_EEPmJS6_EEE10hipError_tPvRmT3_T4_T5_T6_T7_T9_mT8_P12ihipStream_tbDpT10_ENKUlT_T0_E_clISt17integral_constantIbLb0EES1C_EEDaS17_S18_EUlS17_E_NS1_11comp_targetILNS1_3genE5ELNS1_11target_archE942ELNS1_3gpuE9ELNS1_3repE0EEENS1_30default_config_static_selectorELNS0_4arch9wavefront6targetE0EEEvT1_,"axG",@progbits,_ZN7rocprim17ROCPRIM_400000_NS6detail17trampoline_kernelINS0_14default_configENS1_25partition_config_selectorILNS1_17partition_subalgoE8ElNS0_10empty_typeEbEEZZNS1_14partition_implILS5_8ELb0ES3_jPlPS6_PKS6_NS0_5tupleIJS9_S6_EEENSD_IJSA_SA_EEENS0_18inequality_wrapperIZN2at6native12_GLOBAL__N_124unique_dim_cuda_templateIhEESt5tupleIJNSH_6TensorESM_SM_EERKSM_lbbbEUlllE0_EEPmJS6_EEE10hipError_tPvRmT3_T4_T5_T6_T7_T9_mT8_P12ihipStream_tbDpT10_ENKUlT_T0_E_clISt17integral_constantIbLb0EES1C_EEDaS17_S18_EUlS17_E_NS1_11comp_targetILNS1_3genE5ELNS1_11target_archE942ELNS1_3gpuE9ELNS1_3repE0EEENS1_30default_config_static_selectorELNS0_4arch9wavefront6targetE0EEEvT1_,comdat
	.globl	_ZN7rocprim17ROCPRIM_400000_NS6detail17trampoline_kernelINS0_14default_configENS1_25partition_config_selectorILNS1_17partition_subalgoE8ElNS0_10empty_typeEbEEZZNS1_14partition_implILS5_8ELb0ES3_jPlPS6_PKS6_NS0_5tupleIJS9_S6_EEENSD_IJSA_SA_EEENS0_18inequality_wrapperIZN2at6native12_GLOBAL__N_124unique_dim_cuda_templateIhEESt5tupleIJNSH_6TensorESM_SM_EERKSM_lbbbEUlllE0_EEPmJS6_EEE10hipError_tPvRmT3_T4_T5_T6_T7_T9_mT8_P12ihipStream_tbDpT10_ENKUlT_T0_E_clISt17integral_constantIbLb0EES1C_EEDaS17_S18_EUlS17_E_NS1_11comp_targetILNS1_3genE5ELNS1_11target_archE942ELNS1_3gpuE9ELNS1_3repE0EEENS1_30default_config_static_selectorELNS0_4arch9wavefront6targetE0EEEvT1_ ; -- Begin function _ZN7rocprim17ROCPRIM_400000_NS6detail17trampoline_kernelINS0_14default_configENS1_25partition_config_selectorILNS1_17partition_subalgoE8ElNS0_10empty_typeEbEEZZNS1_14partition_implILS5_8ELb0ES3_jPlPS6_PKS6_NS0_5tupleIJS9_S6_EEENSD_IJSA_SA_EEENS0_18inequality_wrapperIZN2at6native12_GLOBAL__N_124unique_dim_cuda_templateIhEESt5tupleIJNSH_6TensorESM_SM_EERKSM_lbbbEUlllE0_EEPmJS6_EEE10hipError_tPvRmT3_T4_T5_T6_T7_T9_mT8_P12ihipStream_tbDpT10_ENKUlT_T0_E_clISt17integral_constantIbLb0EES1C_EEDaS17_S18_EUlS17_E_NS1_11comp_targetILNS1_3genE5ELNS1_11target_archE942ELNS1_3gpuE9ELNS1_3repE0EEENS1_30default_config_static_selectorELNS0_4arch9wavefront6targetE0EEEvT1_
	.p2align	8
	.type	_ZN7rocprim17ROCPRIM_400000_NS6detail17trampoline_kernelINS0_14default_configENS1_25partition_config_selectorILNS1_17partition_subalgoE8ElNS0_10empty_typeEbEEZZNS1_14partition_implILS5_8ELb0ES3_jPlPS6_PKS6_NS0_5tupleIJS9_S6_EEENSD_IJSA_SA_EEENS0_18inequality_wrapperIZN2at6native12_GLOBAL__N_124unique_dim_cuda_templateIhEESt5tupleIJNSH_6TensorESM_SM_EERKSM_lbbbEUlllE0_EEPmJS6_EEE10hipError_tPvRmT3_T4_T5_T6_T7_T9_mT8_P12ihipStream_tbDpT10_ENKUlT_T0_E_clISt17integral_constantIbLb0EES1C_EEDaS17_S18_EUlS17_E_NS1_11comp_targetILNS1_3genE5ELNS1_11target_archE942ELNS1_3gpuE9ELNS1_3repE0EEENS1_30default_config_static_selectorELNS0_4arch9wavefront6targetE0EEEvT1_,@function
_ZN7rocprim17ROCPRIM_400000_NS6detail17trampoline_kernelINS0_14default_configENS1_25partition_config_selectorILNS1_17partition_subalgoE8ElNS0_10empty_typeEbEEZZNS1_14partition_implILS5_8ELb0ES3_jPlPS6_PKS6_NS0_5tupleIJS9_S6_EEENSD_IJSA_SA_EEENS0_18inequality_wrapperIZN2at6native12_GLOBAL__N_124unique_dim_cuda_templateIhEESt5tupleIJNSH_6TensorESM_SM_EERKSM_lbbbEUlllE0_EEPmJS6_EEE10hipError_tPvRmT3_T4_T5_T6_T7_T9_mT8_P12ihipStream_tbDpT10_ENKUlT_T0_E_clISt17integral_constantIbLb0EES1C_EEDaS17_S18_EUlS17_E_NS1_11comp_targetILNS1_3genE5ELNS1_11target_archE942ELNS1_3gpuE9ELNS1_3repE0EEENS1_30default_config_static_selectorELNS0_4arch9wavefront6targetE0EEEvT1_: ; @_ZN7rocprim17ROCPRIM_400000_NS6detail17trampoline_kernelINS0_14default_configENS1_25partition_config_selectorILNS1_17partition_subalgoE8ElNS0_10empty_typeEbEEZZNS1_14partition_implILS5_8ELb0ES3_jPlPS6_PKS6_NS0_5tupleIJS9_S6_EEENSD_IJSA_SA_EEENS0_18inequality_wrapperIZN2at6native12_GLOBAL__N_124unique_dim_cuda_templateIhEESt5tupleIJNSH_6TensorESM_SM_EERKSM_lbbbEUlllE0_EEPmJS6_EEE10hipError_tPvRmT3_T4_T5_T6_T7_T9_mT8_P12ihipStream_tbDpT10_ENKUlT_T0_E_clISt17integral_constantIbLb0EES1C_EEDaS17_S18_EUlS17_E_NS1_11comp_targetILNS1_3genE5ELNS1_11target_archE942ELNS1_3gpuE9ELNS1_3repE0EEENS1_30default_config_static_selectorELNS0_4arch9wavefront6targetE0EEEvT1_
; %bb.0:
	.section	.rodata,"a",@progbits
	.p2align	6, 0x0
	.amdhsa_kernel _ZN7rocprim17ROCPRIM_400000_NS6detail17trampoline_kernelINS0_14default_configENS1_25partition_config_selectorILNS1_17partition_subalgoE8ElNS0_10empty_typeEbEEZZNS1_14partition_implILS5_8ELb0ES3_jPlPS6_PKS6_NS0_5tupleIJS9_S6_EEENSD_IJSA_SA_EEENS0_18inequality_wrapperIZN2at6native12_GLOBAL__N_124unique_dim_cuda_templateIhEESt5tupleIJNSH_6TensorESM_SM_EERKSM_lbbbEUlllE0_EEPmJS6_EEE10hipError_tPvRmT3_T4_T5_T6_T7_T9_mT8_P12ihipStream_tbDpT10_ENKUlT_T0_E_clISt17integral_constantIbLb0EES1C_EEDaS17_S18_EUlS17_E_NS1_11comp_targetILNS1_3genE5ELNS1_11target_archE942ELNS1_3gpuE9ELNS1_3repE0EEENS1_30default_config_static_selectorELNS0_4arch9wavefront6targetE0EEEvT1_
		.amdhsa_group_segment_fixed_size 0
		.amdhsa_private_segment_fixed_size 0
		.amdhsa_kernarg_size 120
		.amdhsa_user_sgpr_count 2
		.amdhsa_user_sgpr_dispatch_ptr 0
		.amdhsa_user_sgpr_queue_ptr 0
		.amdhsa_user_sgpr_kernarg_segment_ptr 1
		.amdhsa_user_sgpr_dispatch_id 0
		.amdhsa_user_sgpr_kernarg_preload_length 0
		.amdhsa_user_sgpr_kernarg_preload_offset 0
		.amdhsa_user_sgpr_private_segment_size 0
		.amdhsa_wavefront_size32 1
		.amdhsa_uses_dynamic_stack 0
		.amdhsa_enable_private_segment 0
		.amdhsa_system_sgpr_workgroup_id_x 1
		.amdhsa_system_sgpr_workgroup_id_y 0
		.amdhsa_system_sgpr_workgroup_id_z 0
		.amdhsa_system_sgpr_workgroup_info 0
		.amdhsa_system_vgpr_workitem_id 0
		.amdhsa_next_free_vgpr 1
		.amdhsa_next_free_sgpr 1
		.amdhsa_named_barrier_count 0
		.amdhsa_reserve_vcc 0
		.amdhsa_float_round_mode_32 0
		.amdhsa_float_round_mode_16_64 0
		.amdhsa_float_denorm_mode_32 3
		.amdhsa_float_denorm_mode_16_64 3
		.amdhsa_fp16_overflow 0
		.amdhsa_memory_ordered 1
		.amdhsa_forward_progress 1
		.amdhsa_inst_pref_size 0
		.amdhsa_round_robin_scheduling 0
		.amdhsa_exception_fp_ieee_invalid_op 0
		.amdhsa_exception_fp_denorm_src 0
		.amdhsa_exception_fp_ieee_div_zero 0
		.amdhsa_exception_fp_ieee_overflow 0
		.amdhsa_exception_fp_ieee_underflow 0
		.amdhsa_exception_fp_ieee_inexact 0
		.amdhsa_exception_int_div_zero 0
	.end_amdhsa_kernel
	.section	.text._ZN7rocprim17ROCPRIM_400000_NS6detail17trampoline_kernelINS0_14default_configENS1_25partition_config_selectorILNS1_17partition_subalgoE8ElNS0_10empty_typeEbEEZZNS1_14partition_implILS5_8ELb0ES3_jPlPS6_PKS6_NS0_5tupleIJS9_S6_EEENSD_IJSA_SA_EEENS0_18inequality_wrapperIZN2at6native12_GLOBAL__N_124unique_dim_cuda_templateIhEESt5tupleIJNSH_6TensorESM_SM_EERKSM_lbbbEUlllE0_EEPmJS6_EEE10hipError_tPvRmT3_T4_T5_T6_T7_T9_mT8_P12ihipStream_tbDpT10_ENKUlT_T0_E_clISt17integral_constantIbLb0EES1C_EEDaS17_S18_EUlS17_E_NS1_11comp_targetILNS1_3genE5ELNS1_11target_archE942ELNS1_3gpuE9ELNS1_3repE0EEENS1_30default_config_static_selectorELNS0_4arch9wavefront6targetE0EEEvT1_,"axG",@progbits,_ZN7rocprim17ROCPRIM_400000_NS6detail17trampoline_kernelINS0_14default_configENS1_25partition_config_selectorILNS1_17partition_subalgoE8ElNS0_10empty_typeEbEEZZNS1_14partition_implILS5_8ELb0ES3_jPlPS6_PKS6_NS0_5tupleIJS9_S6_EEENSD_IJSA_SA_EEENS0_18inequality_wrapperIZN2at6native12_GLOBAL__N_124unique_dim_cuda_templateIhEESt5tupleIJNSH_6TensorESM_SM_EERKSM_lbbbEUlllE0_EEPmJS6_EEE10hipError_tPvRmT3_T4_T5_T6_T7_T9_mT8_P12ihipStream_tbDpT10_ENKUlT_T0_E_clISt17integral_constantIbLb0EES1C_EEDaS17_S18_EUlS17_E_NS1_11comp_targetILNS1_3genE5ELNS1_11target_archE942ELNS1_3gpuE9ELNS1_3repE0EEENS1_30default_config_static_selectorELNS0_4arch9wavefront6targetE0EEEvT1_,comdat
.Lfunc_end162:
	.size	_ZN7rocprim17ROCPRIM_400000_NS6detail17trampoline_kernelINS0_14default_configENS1_25partition_config_selectorILNS1_17partition_subalgoE8ElNS0_10empty_typeEbEEZZNS1_14partition_implILS5_8ELb0ES3_jPlPS6_PKS6_NS0_5tupleIJS9_S6_EEENSD_IJSA_SA_EEENS0_18inequality_wrapperIZN2at6native12_GLOBAL__N_124unique_dim_cuda_templateIhEESt5tupleIJNSH_6TensorESM_SM_EERKSM_lbbbEUlllE0_EEPmJS6_EEE10hipError_tPvRmT3_T4_T5_T6_T7_T9_mT8_P12ihipStream_tbDpT10_ENKUlT_T0_E_clISt17integral_constantIbLb0EES1C_EEDaS17_S18_EUlS17_E_NS1_11comp_targetILNS1_3genE5ELNS1_11target_archE942ELNS1_3gpuE9ELNS1_3repE0EEENS1_30default_config_static_selectorELNS0_4arch9wavefront6targetE0EEEvT1_, .Lfunc_end162-_ZN7rocprim17ROCPRIM_400000_NS6detail17trampoline_kernelINS0_14default_configENS1_25partition_config_selectorILNS1_17partition_subalgoE8ElNS0_10empty_typeEbEEZZNS1_14partition_implILS5_8ELb0ES3_jPlPS6_PKS6_NS0_5tupleIJS9_S6_EEENSD_IJSA_SA_EEENS0_18inequality_wrapperIZN2at6native12_GLOBAL__N_124unique_dim_cuda_templateIhEESt5tupleIJNSH_6TensorESM_SM_EERKSM_lbbbEUlllE0_EEPmJS6_EEE10hipError_tPvRmT3_T4_T5_T6_T7_T9_mT8_P12ihipStream_tbDpT10_ENKUlT_T0_E_clISt17integral_constantIbLb0EES1C_EEDaS17_S18_EUlS17_E_NS1_11comp_targetILNS1_3genE5ELNS1_11target_archE942ELNS1_3gpuE9ELNS1_3repE0EEENS1_30default_config_static_selectorELNS0_4arch9wavefront6targetE0EEEvT1_
                                        ; -- End function
	.set _ZN7rocprim17ROCPRIM_400000_NS6detail17trampoline_kernelINS0_14default_configENS1_25partition_config_selectorILNS1_17partition_subalgoE8ElNS0_10empty_typeEbEEZZNS1_14partition_implILS5_8ELb0ES3_jPlPS6_PKS6_NS0_5tupleIJS9_S6_EEENSD_IJSA_SA_EEENS0_18inequality_wrapperIZN2at6native12_GLOBAL__N_124unique_dim_cuda_templateIhEESt5tupleIJNSH_6TensorESM_SM_EERKSM_lbbbEUlllE0_EEPmJS6_EEE10hipError_tPvRmT3_T4_T5_T6_T7_T9_mT8_P12ihipStream_tbDpT10_ENKUlT_T0_E_clISt17integral_constantIbLb0EES1C_EEDaS17_S18_EUlS17_E_NS1_11comp_targetILNS1_3genE5ELNS1_11target_archE942ELNS1_3gpuE9ELNS1_3repE0EEENS1_30default_config_static_selectorELNS0_4arch9wavefront6targetE0EEEvT1_.num_vgpr, 0
	.set _ZN7rocprim17ROCPRIM_400000_NS6detail17trampoline_kernelINS0_14default_configENS1_25partition_config_selectorILNS1_17partition_subalgoE8ElNS0_10empty_typeEbEEZZNS1_14partition_implILS5_8ELb0ES3_jPlPS6_PKS6_NS0_5tupleIJS9_S6_EEENSD_IJSA_SA_EEENS0_18inequality_wrapperIZN2at6native12_GLOBAL__N_124unique_dim_cuda_templateIhEESt5tupleIJNSH_6TensorESM_SM_EERKSM_lbbbEUlllE0_EEPmJS6_EEE10hipError_tPvRmT3_T4_T5_T6_T7_T9_mT8_P12ihipStream_tbDpT10_ENKUlT_T0_E_clISt17integral_constantIbLb0EES1C_EEDaS17_S18_EUlS17_E_NS1_11comp_targetILNS1_3genE5ELNS1_11target_archE942ELNS1_3gpuE9ELNS1_3repE0EEENS1_30default_config_static_selectorELNS0_4arch9wavefront6targetE0EEEvT1_.num_agpr, 0
	.set _ZN7rocprim17ROCPRIM_400000_NS6detail17trampoline_kernelINS0_14default_configENS1_25partition_config_selectorILNS1_17partition_subalgoE8ElNS0_10empty_typeEbEEZZNS1_14partition_implILS5_8ELb0ES3_jPlPS6_PKS6_NS0_5tupleIJS9_S6_EEENSD_IJSA_SA_EEENS0_18inequality_wrapperIZN2at6native12_GLOBAL__N_124unique_dim_cuda_templateIhEESt5tupleIJNSH_6TensorESM_SM_EERKSM_lbbbEUlllE0_EEPmJS6_EEE10hipError_tPvRmT3_T4_T5_T6_T7_T9_mT8_P12ihipStream_tbDpT10_ENKUlT_T0_E_clISt17integral_constantIbLb0EES1C_EEDaS17_S18_EUlS17_E_NS1_11comp_targetILNS1_3genE5ELNS1_11target_archE942ELNS1_3gpuE9ELNS1_3repE0EEENS1_30default_config_static_selectorELNS0_4arch9wavefront6targetE0EEEvT1_.numbered_sgpr, 0
	.set _ZN7rocprim17ROCPRIM_400000_NS6detail17trampoline_kernelINS0_14default_configENS1_25partition_config_selectorILNS1_17partition_subalgoE8ElNS0_10empty_typeEbEEZZNS1_14partition_implILS5_8ELb0ES3_jPlPS6_PKS6_NS0_5tupleIJS9_S6_EEENSD_IJSA_SA_EEENS0_18inequality_wrapperIZN2at6native12_GLOBAL__N_124unique_dim_cuda_templateIhEESt5tupleIJNSH_6TensorESM_SM_EERKSM_lbbbEUlllE0_EEPmJS6_EEE10hipError_tPvRmT3_T4_T5_T6_T7_T9_mT8_P12ihipStream_tbDpT10_ENKUlT_T0_E_clISt17integral_constantIbLb0EES1C_EEDaS17_S18_EUlS17_E_NS1_11comp_targetILNS1_3genE5ELNS1_11target_archE942ELNS1_3gpuE9ELNS1_3repE0EEENS1_30default_config_static_selectorELNS0_4arch9wavefront6targetE0EEEvT1_.num_named_barrier, 0
	.set _ZN7rocprim17ROCPRIM_400000_NS6detail17trampoline_kernelINS0_14default_configENS1_25partition_config_selectorILNS1_17partition_subalgoE8ElNS0_10empty_typeEbEEZZNS1_14partition_implILS5_8ELb0ES3_jPlPS6_PKS6_NS0_5tupleIJS9_S6_EEENSD_IJSA_SA_EEENS0_18inequality_wrapperIZN2at6native12_GLOBAL__N_124unique_dim_cuda_templateIhEESt5tupleIJNSH_6TensorESM_SM_EERKSM_lbbbEUlllE0_EEPmJS6_EEE10hipError_tPvRmT3_T4_T5_T6_T7_T9_mT8_P12ihipStream_tbDpT10_ENKUlT_T0_E_clISt17integral_constantIbLb0EES1C_EEDaS17_S18_EUlS17_E_NS1_11comp_targetILNS1_3genE5ELNS1_11target_archE942ELNS1_3gpuE9ELNS1_3repE0EEENS1_30default_config_static_selectorELNS0_4arch9wavefront6targetE0EEEvT1_.private_seg_size, 0
	.set _ZN7rocprim17ROCPRIM_400000_NS6detail17trampoline_kernelINS0_14default_configENS1_25partition_config_selectorILNS1_17partition_subalgoE8ElNS0_10empty_typeEbEEZZNS1_14partition_implILS5_8ELb0ES3_jPlPS6_PKS6_NS0_5tupleIJS9_S6_EEENSD_IJSA_SA_EEENS0_18inequality_wrapperIZN2at6native12_GLOBAL__N_124unique_dim_cuda_templateIhEESt5tupleIJNSH_6TensorESM_SM_EERKSM_lbbbEUlllE0_EEPmJS6_EEE10hipError_tPvRmT3_T4_T5_T6_T7_T9_mT8_P12ihipStream_tbDpT10_ENKUlT_T0_E_clISt17integral_constantIbLb0EES1C_EEDaS17_S18_EUlS17_E_NS1_11comp_targetILNS1_3genE5ELNS1_11target_archE942ELNS1_3gpuE9ELNS1_3repE0EEENS1_30default_config_static_selectorELNS0_4arch9wavefront6targetE0EEEvT1_.uses_vcc, 0
	.set _ZN7rocprim17ROCPRIM_400000_NS6detail17trampoline_kernelINS0_14default_configENS1_25partition_config_selectorILNS1_17partition_subalgoE8ElNS0_10empty_typeEbEEZZNS1_14partition_implILS5_8ELb0ES3_jPlPS6_PKS6_NS0_5tupleIJS9_S6_EEENSD_IJSA_SA_EEENS0_18inequality_wrapperIZN2at6native12_GLOBAL__N_124unique_dim_cuda_templateIhEESt5tupleIJNSH_6TensorESM_SM_EERKSM_lbbbEUlllE0_EEPmJS6_EEE10hipError_tPvRmT3_T4_T5_T6_T7_T9_mT8_P12ihipStream_tbDpT10_ENKUlT_T0_E_clISt17integral_constantIbLb0EES1C_EEDaS17_S18_EUlS17_E_NS1_11comp_targetILNS1_3genE5ELNS1_11target_archE942ELNS1_3gpuE9ELNS1_3repE0EEENS1_30default_config_static_selectorELNS0_4arch9wavefront6targetE0EEEvT1_.uses_flat_scratch, 0
	.set _ZN7rocprim17ROCPRIM_400000_NS6detail17trampoline_kernelINS0_14default_configENS1_25partition_config_selectorILNS1_17partition_subalgoE8ElNS0_10empty_typeEbEEZZNS1_14partition_implILS5_8ELb0ES3_jPlPS6_PKS6_NS0_5tupleIJS9_S6_EEENSD_IJSA_SA_EEENS0_18inequality_wrapperIZN2at6native12_GLOBAL__N_124unique_dim_cuda_templateIhEESt5tupleIJNSH_6TensorESM_SM_EERKSM_lbbbEUlllE0_EEPmJS6_EEE10hipError_tPvRmT3_T4_T5_T6_T7_T9_mT8_P12ihipStream_tbDpT10_ENKUlT_T0_E_clISt17integral_constantIbLb0EES1C_EEDaS17_S18_EUlS17_E_NS1_11comp_targetILNS1_3genE5ELNS1_11target_archE942ELNS1_3gpuE9ELNS1_3repE0EEENS1_30default_config_static_selectorELNS0_4arch9wavefront6targetE0EEEvT1_.has_dyn_sized_stack, 0
	.set _ZN7rocprim17ROCPRIM_400000_NS6detail17trampoline_kernelINS0_14default_configENS1_25partition_config_selectorILNS1_17partition_subalgoE8ElNS0_10empty_typeEbEEZZNS1_14partition_implILS5_8ELb0ES3_jPlPS6_PKS6_NS0_5tupleIJS9_S6_EEENSD_IJSA_SA_EEENS0_18inequality_wrapperIZN2at6native12_GLOBAL__N_124unique_dim_cuda_templateIhEESt5tupleIJNSH_6TensorESM_SM_EERKSM_lbbbEUlllE0_EEPmJS6_EEE10hipError_tPvRmT3_T4_T5_T6_T7_T9_mT8_P12ihipStream_tbDpT10_ENKUlT_T0_E_clISt17integral_constantIbLb0EES1C_EEDaS17_S18_EUlS17_E_NS1_11comp_targetILNS1_3genE5ELNS1_11target_archE942ELNS1_3gpuE9ELNS1_3repE0EEENS1_30default_config_static_selectorELNS0_4arch9wavefront6targetE0EEEvT1_.has_recursion, 0
	.set _ZN7rocprim17ROCPRIM_400000_NS6detail17trampoline_kernelINS0_14default_configENS1_25partition_config_selectorILNS1_17partition_subalgoE8ElNS0_10empty_typeEbEEZZNS1_14partition_implILS5_8ELb0ES3_jPlPS6_PKS6_NS0_5tupleIJS9_S6_EEENSD_IJSA_SA_EEENS0_18inequality_wrapperIZN2at6native12_GLOBAL__N_124unique_dim_cuda_templateIhEESt5tupleIJNSH_6TensorESM_SM_EERKSM_lbbbEUlllE0_EEPmJS6_EEE10hipError_tPvRmT3_T4_T5_T6_T7_T9_mT8_P12ihipStream_tbDpT10_ENKUlT_T0_E_clISt17integral_constantIbLb0EES1C_EEDaS17_S18_EUlS17_E_NS1_11comp_targetILNS1_3genE5ELNS1_11target_archE942ELNS1_3gpuE9ELNS1_3repE0EEENS1_30default_config_static_selectorELNS0_4arch9wavefront6targetE0EEEvT1_.has_indirect_call, 0
	.section	.AMDGPU.csdata,"",@progbits
; Kernel info:
; codeLenInByte = 0
; TotalNumSgprs: 0
; NumVgprs: 0
; ScratchSize: 0
; MemoryBound: 0
; FloatMode: 240
; IeeeMode: 1
; LDSByteSize: 0 bytes/workgroup (compile time only)
; SGPRBlocks: 0
; VGPRBlocks: 0
; NumSGPRsForWavesPerEU: 1
; NumVGPRsForWavesPerEU: 1
; NamedBarCnt: 0
; Occupancy: 16
; WaveLimiterHint : 0
; COMPUTE_PGM_RSRC2:SCRATCH_EN: 0
; COMPUTE_PGM_RSRC2:USER_SGPR: 2
; COMPUTE_PGM_RSRC2:TRAP_HANDLER: 0
; COMPUTE_PGM_RSRC2:TGID_X_EN: 1
; COMPUTE_PGM_RSRC2:TGID_Y_EN: 0
; COMPUTE_PGM_RSRC2:TGID_Z_EN: 0
; COMPUTE_PGM_RSRC2:TIDIG_COMP_CNT: 0
	.section	.text._ZN7rocprim17ROCPRIM_400000_NS6detail17trampoline_kernelINS0_14default_configENS1_25partition_config_selectorILNS1_17partition_subalgoE8ElNS0_10empty_typeEbEEZZNS1_14partition_implILS5_8ELb0ES3_jPlPS6_PKS6_NS0_5tupleIJS9_S6_EEENSD_IJSA_SA_EEENS0_18inequality_wrapperIZN2at6native12_GLOBAL__N_124unique_dim_cuda_templateIhEESt5tupleIJNSH_6TensorESM_SM_EERKSM_lbbbEUlllE0_EEPmJS6_EEE10hipError_tPvRmT3_T4_T5_T6_T7_T9_mT8_P12ihipStream_tbDpT10_ENKUlT_T0_E_clISt17integral_constantIbLb0EES1C_EEDaS17_S18_EUlS17_E_NS1_11comp_targetILNS1_3genE4ELNS1_11target_archE910ELNS1_3gpuE8ELNS1_3repE0EEENS1_30default_config_static_selectorELNS0_4arch9wavefront6targetE0EEEvT1_,"axG",@progbits,_ZN7rocprim17ROCPRIM_400000_NS6detail17trampoline_kernelINS0_14default_configENS1_25partition_config_selectorILNS1_17partition_subalgoE8ElNS0_10empty_typeEbEEZZNS1_14partition_implILS5_8ELb0ES3_jPlPS6_PKS6_NS0_5tupleIJS9_S6_EEENSD_IJSA_SA_EEENS0_18inequality_wrapperIZN2at6native12_GLOBAL__N_124unique_dim_cuda_templateIhEESt5tupleIJNSH_6TensorESM_SM_EERKSM_lbbbEUlllE0_EEPmJS6_EEE10hipError_tPvRmT3_T4_T5_T6_T7_T9_mT8_P12ihipStream_tbDpT10_ENKUlT_T0_E_clISt17integral_constantIbLb0EES1C_EEDaS17_S18_EUlS17_E_NS1_11comp_targetILNS1_3genE4ELNS1_11target_archE910ELNS1_3gpuE8ELNS1_3repE0EEENS1_30default_config_static_selectorELNS0_4arch9wavefront6targetE0EEEvT1_,comdat
	.globl	_ZN7rocprim17ROCPRIM_400000_NS6detail17trampoline_kernelINS0_14default_configENS1_25partition_config_selectorILNS1_17partition_subalgoE8ElNS0_10empty_typeEbEEZZNS1_14partition_implILS5_8ELb0ES3_jPlPS6_PKS6_NS0_5tupleIJS9_S6_EEENSD_IJSA_SA_EEENS0_18inequality_wrapperIZN2at6native12_GLOBAL__N_124unique_dim_cuda_templateIhEESt5tupleIJNSH_6TensorESM_SM_EERKSM_lbbbEUlllE0_EEPmJS6_EEE10hipError_tPvRmT3_T4_T5_T6_T7_T9_mT8_P12ihipStream_tbDpT10_ENKUlT_T0_E_clISt17integral_constantIbLb0EES1C_EEDaS17_S18_EUlS17_E_NS1_11comp_targetILNS1_3genE4ELNS1_11target_archE910ELNS1_3gpuE8ELNS1_3repE0EEENS1_30default_config_static_selectorELNS0_4arch9wavefront6targetE0EEEvT1_ ; -- Begin function _ZN7rocprim17ROCPRIM_400000_NS6detail17trampoline_kernelINS0_14default_configENS1_25partition_config_selectorILNS1_17partition_subalgoE8ElNS0_10empty_typeEbEEZZNS1_14partition_implILS5_8ELb0ES3_jPlPS6_PKS6_NS0_5tupleIJS9_S6_EEENSD_IJSA_SA_EEENS0_18inequality_wrapperIZN2at6native12_GLOBAL__N_124unique_dim_cuda_templateIhEESt5tupleIJNSH_6TensorESM_SM_EERKSM_lbbbEUlllE0_EEPmJS6_EEE10hipError_tPvRmT3_T4_T5_T6_T7_T9_mT8_P12ihipStream_tbDpT10_ENKUlT_T0_E_clISt17integral_constantIbLb0EES1C_EEDaS17_S18_EUlS17_E_NS1_11comp_targetILNS1_3genE4ELNS1_11target_archE910ELNS1_3gpuE8ELNS1_3repE0EEENS1_30default_config_static_selectorELNS0_4arch9wavefront6targetE0EEEvT1_
	.p2align	8
	.type	_ZN7rocprim17ROCPRIM_400000_NS6detail17trampoline_kernelINS0_14default_configENS1_25partition_config_selectorILNS1_17partition_subalgoE8ElNS0_10empty_typeEbEEZZNS1_14partition_implILS5_8ELb0ES3_jPlPS6_PKS6_NS0_5tupleIJS9_S6_EEENSD_IJSA_SA_EEENS0_18inequality_wrapperIZN2at6native12_GLOBAL__N_124unique_dim_cuda_templateIhEESt5tupleIJNSH_6TensorESM_SM_EERKSM_lbbbEUlllE0_EEPmJS6_EEE10hipError_tPvRmT3_T4_T5_T6_T7_T9_mT8_P12ihipStream_tbDpT10_ENKUlT_T0_E_clISt17integral_constantIbLb0EES1C_EEDaS17_S18_EUlS17_E_NS1_11comp_targetILNS1_3genE4ELNS1_11target_archE910ELNS1_3gpuE8ELNS1_3repE0EEENS1_30default_config_static_selectorELNS0_4arch9wavefront6targetE0EEEvT1_,@function
_ZN7rocprim17ROCPRIM_400000_NS6detail17trampoline_kernelINS0_14default_configENS1_25partition_config_selectorILNS1_17partition_subalgoE8ElNS0_10empty_typeEbEEZZNS1_14partition_implILS5_8ELb0ES3_jPlPS6_PKS6_NS0_5tupleIJS9_S6_EEENSD_IJSA_SA_EEENS0_18inequality_wrapperIZN2at6native12_GLOBAL__N_124unique_dim_cuda_templateIhEESt5tupleIJNSH_6TensorESM_SM_EERKSM_lbbbEUlllE0_EEPmJS6_EEE10hipError_tPvRmT3_T4_T5_T6_T7_T9_mT8_P12ihipStream_tbDpT10_ENKUlT_T0_E_clISt17integral_constantIbLb0EES1C_EEDaS17_S18_EUlS17_E_NS1_11comp_targetILNS1_3genE4ELNS1_11target_archE910ELNS1_3gpuE8ELNS1_3repE0EEENS1_30default_config_static_selectorELNS0_4arch9wavefront6targetE0EEEvT1_: ; @_ZN7rocprim17ROCPRIM_400000_NS6detail17trampoline_kernelINS0_14default_configENS1_25partition_config_selectorILNS1_17partition_subalgoE8ElNS0_10empty_typeEbEEZZNS1_14partition_implILS5_8ELb0ES3_jPlPS6_PKS6_NS0_5tupleIJS9_S6_EEENSD_IJSA_SA_EEENS0_18inequality_wrapperIZN2at6native12_GLOBAL__N_124unique_dim_cuda_templateIhEESt5tupleIJNSH_6TensorESM_SM_EERKSM_lbbbEUlllE0_EEPmJS6_EEE10hipError_tPvRmT3_T4_T5_T6_T7_T9_mT8_P12ihipStream_tbDpT10_ENKUlT_T0_E_clISt17integral_constantIbLb0EES1C_EEDaS17_S18_EUlS17_E_NS1_11comp_targetILNS1_3genE4ELNS1_11target_archE910ELNS1_3gpuE8ELNS1_3repE0EEENS1_30default_config_static_selectorELNS0_4arch9wavefront6targetE0EEEvT1_
; %bb.0:
	.section	.rodata,"a",@progbits
	.p2align	6, 0x0
	.amdhsa_kernel _ZN7rocprim17ROCPRIM_400000_NS6detail17trampoline_kernelINS0_14default_configENS1_25partition_config_selectorILNS1_17partition_subalgoE8ElNS0_10empty_typeEbEEZZNS1_14partition_implILS5_8ELb0ES3_jPlPS6_PKS6_NS0_5tupleIJS9_S6_EEENSD_IJSA_SA_EEENS0_18inequality_wrapperIZN2at6native12_GLOBAL__N_124unique_dim_cuda_templateIhEESt5tupleIJNSH_6TensorESM_SM_EERKSM_lbbbEUlllE0_EEPmJS6_EEE10hipError_tPvRmT3_T4_T5_T6_T7_T9_mT8_P12ihipStream_tbDpT10_ENKUlT_T0_E_clISt17integral_constantIbLb0EES1C_EEDaS17_S18_EUlS17_E_NS1_11comp_targetILNS1_3genE4ELNS1_11target_archE910ELNS1_3gpuE8ELNS1_3repE0EEENS1_30default_config_static_selectorELNS0_4arch9wavefront6targetE0EEEvT1_
		.amdhsa_group_segment_fixed_size 0
		.amdhsa_private_segment_fixed_size 0
		.amdhsa_kernarg_size 120
		.amdhsa_user_sgpr_count 2
		.amdhsa_user_sgpr_dispatch_ptr 0
		.amdhsa_user_sgpr_queue_ptr 0
		.amdhsa_user_sgpr_kernarg_segment_ptr 1
		.amdhsa_user_sgpr_dispatch_id 0
		.amdhsa_user_sgpr_kernarg_preload_length 0
		.amdhsa_user_sgpr_kernarg_preload_offset 0
		.amdhsa_user_sgpr_private_segment_size 0
		.amdhsa_wavefront_size32 1
		.amdhsa_uses_dynamic_stack 0
		.amdhsa_enable_private_segment 0
		.amdhsa_system_sgpr_workgroup_id_x 1
		.amdhsa_system_sgpr_workgroup_id_y 0
		.amdhsa_system_sgpr_workgroup_id_z 0
		.amdhsa_system_sgpr_workgroup_info 0
		.amdhsa_system_vgpr_workitem_id 0
		.amdhsa_next_free_vgpr 1
		.amdhsa_next_free_sgpr 1
		.amdhsa_named_barrier_count 0
		.amdhsa_reserve_vcc 0
		.amdhsa_float_round_mode_32 0
		.amdhsa_float_round_mode_16_64 0
		.amdhsa_float_denorm_mode_32 3
		.amdhsa_float_denorm_mode_16_64 3
		.amdhsa_fp16_overflow 0
		.amdhsa_memory_ordered 1
		.amdhsa_forward_progress 1
		.amdhsa_inst_pref_size 0
		.amdhsa_round_robin_scheduling 0
		.amdhsa_exception_fp_ieee_invalid_op 0
		.amdhsa_exception_fp_denorm_src 0
		.amdhsa_exception_fp_ieee_div_zero 0
		.amdhsa_exception_fp_ieee_overflow 0
		.amdhsa_exception_fp_ieee_underflow 0
		.amdhsa_exception_fp_ieee_inexact 0
		.amdhsa_exception_int_div_zero 0
	.end_amdhsa_kernel
	.section	.text._ZN7rocprim17ROCPRIM_400000_NS6detail17trampoline_kernelINS0_14default_configENS1_25partition_config_selectorILNS1_17partition_subalgoE8ElNS0_10empty_typeEbEEZZNS1_14partition_implILS5_8ELb0ES3_jPlPS6_PKS6_NS0_5tupleIJS9_S6_EEENSD_IJSA_SA_EEENS0_18inequality_wrapperIZN2at6native12_GLOBAL__N_124unique_dim_cuda_templateIhEESt5tupleIJNSH_6TensorESM_SM_EERKSM_lbbbEUlllE0_EEPmJS6_EEE10hipError_tPvRmT3_T4_T5_T6_T7_T9_mT8_P12ihipStream_tbDpT10_ENKUlT_T0_E_clISt17integral_constantIbLb0EES1C_EEDaS17_S18_EUlS17_E_NS1_11comp_targetILNS1_3genE4ELNS1_11target_archE910ELNS1_3gpuE8ELNS1_3repE0EEENS1_30default_config_static_selectorELNS0_4arch9wavefront6targetE0EEEvT1_,"axG",@progbits,_ZN7rocprim17ROCPRIM_400000_NS6detail17trampoline_kernelINS0_14default_configENS1_25partition_config_selectorILNS1_17partition_subalgoE8ElNS0_10empty_typeEbEEZZNS1_14partition_implILS5_8ELb0ES3_jPlPS6_PKS6_NS0_5tupleIJS9_S6_EEENSD_IJSA_SA_EEENS0_18inequality_wrapperIZN2at6native12_GLOBAL__N_124unique_dim_cuda_templateIhEESt5tupleIJNSH_6TensorESM_SM_EERKSM_lbbbEUlllE0_EEPmJS6_EEE10hipError_tPvRmT3_T4_T5_T6_T7_T9_mT8_P12ihipStream_tbDpT10_ENKUlT_T0_E_clISt17integral_constantIbLb0EES1C_EEDaS17_S18_EUlS17_E_NS1_11comp_targetILNS1_3genE4ELNS1_11target_archE910ELNS1_3gpuE8ELNS1_3repE0EEENS1_30default_config_static_selectorELNS0_4arch9wavefront6targetE0EEEvT1_,comdat
.Lfunc_end163:
	.size	_ZN7rocprim17ROCPRIM_400000_NS6detail17trampoline_kernelINS0_14default_configENS1_25partition_config_selectorILNS1_17partition_subalgoE8ElNS0_10empty_typeEbEEZZNS1_14partition_implILS5_8ELb0ES3_jPlPS6_PKS6_NS0_5tupleIJS9_S6_EEENSD_IJSA_SA_EEENS0_18inequality_wrapperIZN2at6native12_GLOBAL__N_124unique_dim_cuda_templateIhEESt5tupleIJNSH_6TensorESM_SM_EERKSM_lbbbEUlllE0_EEPmJS6_EEE10hipError_tPvRmT3_T4_T5_T6_T7_T9_mT8_P12ihipStream_tbDpT10_ENKUlT_T0_E_clISt17integral_constantIbLb0EES1C_EEDaS17_S18_EUlS17_E_NS1_11comp_targetILNS1_3genE4ELNS1_11target_archE910ELNS1_3gpuE8ELNS1_3repE0EEENS1_30default_config_static_selectorELNS0_4arch9wavefront6targetE0EEEvT1_, .Lfunc_end163-_ZN7rocprim17ROCPRIM_400000_NS6detail17trampoline_kernelINS0_14default_configENS1_25partition_config_selectorILNS1_17partition_subalgoE8ElNS0_10empty_typeEbEEZZNS1_14partition_implILS5_8ELb0ES3_jPlPS6_PKS6_NS0_5tupleIJS9_S6_EEENSD_IJSA_SA_EEENS0_18inequality_wrapperIZN2at6native12_GLOBAL__N_124unique_dim_cuda_templateIhEESt5tupleIJNSH_6TensorESM_SM_EERKSM_lbbbEUlllE0_EEPmJS6_EEE10hipError_tPvRmT3_T4_T5_T6_T7_T9_mT8_P12ihipStream_tbDpT10_ENKUlT_T0_E_clISt17integral_constantIbLb0EES1C_EEDaS17_S18_EUlS17_E_NS1_11comp_targetILNS1_3genE4ELNS1_11target_archE910ELNS1_3gpuE8ELNS1_3repE0EEENS1_30default_config_static_selectorELNS0_4arch9wavefront6targetE0EEEvT1_
                                        ; -- End function
	.set _ZN7rocprim17ROCPRIM_400000_NS6detail17trampoline_kernelINS0_14default_configENS1_25partition_config_selectorILNS1_17partition_subalgoE8ElNS0_10empty_typeEbEEZZNS1_14partition_implILS5_8ELb0ES3_jPlPS6_PKS6_NS0_5tupleIJS9_S6_EEENSD_IJSA_SA_EEENS0_18inequality_wrapperIZN2at6native12_GLOBAL__N_124unique_dim_cuda_templateIhEESt5tupleIJNSH_6TensorESM_SM_EERKSM_lbbbEUlllE0_EEPmJS6_EEE10hipError_tPvRmT3_T4_T5_T6_T7_T9_mT8_P12ihipStream_tbDpT10_ENKUlT_T0_E_clISt17integral_constantIbLb0EES1C_EEDaS17_S18_EUlS17_E_NS1_11comp_targetILNS1_3genE4ELNS1_11target_archE910ELNS1_3gpuE8ELNS1_3repE0EEENS1_30default_config_static_selectorELNS0_4arch9wavefront6targetE0EEEvT1_.num_vgpr, 0
	.set _ZN7rocprim17ROCPRIM_400000_NS6detail17trampoline_kernelINS0_14default_configENS1_25partition_config_selectorILNS1_17partition_subalgoE8ElNS0_10empty_typeEbEEZZNS1_14partition_implILS5_8ELb0ES3_jPlPS6_PKS6_NS0_5tupleIJS9_S6_EEENSD_IJSA_SA_EEENS0_18inequality_wrapperIZN2at6native12_GLOBAL__N_124unique_dim_cuda_templateIhEESt5tupleIJNSH_6TensorESM_SM_EERKSM_lbbbEUlllE0_EEPmJS6_EEE10hipError_tPvRmT3_T4_T5_T6_T7_T9_mT8_P12ihipStream_tbDpT10_ENKUlT_T0_E_clISt17integral_constantIbLb0EES1C_EEDaS17_S18_EUlS17_E_NS1_11comp_targetILNS1_3genE4ELNS1_11target_archE910ELNS1_3gpuE8ELNS1_3repE0EEENS1_30default_config_static_selectorELNS0_4arch9wavefront6targetE0EEEvT1_.num_agpr, 0
	.set _ZN7rocprim17ROCPRIM_400000_NS6detail17trampoline_kernelINS0_14default_configENS1_25partition_config_selectorILNS1_17partition_subalgoE8ElNS0_10empty_typeEbEEZZNS1_14partition_implILS5_8ELb0ES3_jPlPS6_PKS6_NS0_5tupleIJS9_S6_EEENSD_IJSA_SA_EEENS0_18inequality_wrapperIZN2at6native12_GLOBAL__N_124unique_dim_cuda_templateIhEESt5tupleIJNSH_6TensorESM_SM_EERKSM_lbbbEUlllE0_EEPmJS6_EEE10hipError_tPvRmT3_T4_T5_T6_T7_T9_mT8_P12ihipStream_tbDpT10_ENKUlT_T0_E_clISt17integral_constantIbLb0EES1C_EEDaS17_S18_EUlS17_E_NS1_11comp_targetILNS1_3genE4ELNS1_11target_archE910ELNS1_3gpuE8ELNS1_3repE0EEENS1_30default_config_static_selectorELNS0_4arch9wavefront6targetE0EEEvT1_.numbered_sgpr, 0
	.set _ZN7rocprim17ROCPRIM_400000_NS6detail17trampoline_kernelINS0_14default_configENS1_25partition_config_selectorILNS1_17partition_subalgoE8ElNS0_10empty_typeEbEEZZNS1_14partition_implILS5_8ELb0ES3_jPlPS6_PKS6_NS0_5tupleIJS9_S6_EEENSD_IJSA_SA_EEENS0_18inequality_wrapperIZN2at6native12_GLOBAL__N_124unique_dim_cuda_templateIhEESt5tupleIJNSH_6TensorESM_SM_EERKSM_lbbbEUlllE0_EEPmJS6_EEE10hipError_tPvRmT3_T4_T5_T6_T7_T9_mT8_P12ihipStream_tbDpT10_ENKUlT_T0_E_clISt17integral_constantIbLb0EES1C_EEDaS17_S18_EUlS17_E_NS1_11comp_targetILNS1_3genE4ELNS1_11target_archE910ELNS1_3gpuE8ELNS1_3repE0EEENS1_30default_config_static_selectorELNS0_4arch9wavefront6targetE0EEEvT1_.num_named_barrier, 0
	.set _ZN7rocprim17ROCPRIM_400000_NS6detail17trampoline_kernelINS0_14default_configENS1_25partition_config_selectorILNS1_17partition_subalgoE8ElNS0_10empty_typeEbEEZZNS1_14partition_implILS5_8ELb0ES3_jPlPS6_PKS6_NS0_5tupleIJS9_S6_EEENSD_IJSA_SA_EEENS0_18inequality_wrapperIZN2at6native12_GLOBAL__N_124unique_dim_cuda_templateIhEESt5tupleIJNSH_6TensorESM_SM_EERKSM_lbbbEUlllE0_EEPmJS6_EEE10hipError_tPvRmT3_T4_T5_T6_T7_T9_mT8_P12ihipStream_tbDpT10_ENKUlT_T0_E_clISt17integral_constantIbLb0EES1C_EEDaS17_S18_EUlS17_E_NS1_11comp_targetILNS1_3genE4ELNS1_11target_archE910ELNS1_3gpuE8ELNS1_3repE0EEENS1_30default_config_static_selectorELNS0_4arch9wavefront6targetE0EEEvT1_.private_seg_size, 0
	.set _ZN7rocprim17ROCPRIM_400000_NS6detail17trampoline_kernelINS0_14default_configENS1_25partition_config_selectorILNS1_17partition_subalgoE8ElNS0_10empty_typeEbEEZZNS1_14partition_implILS5_8ELb0ES3_jPlPS6_PKS6_NS0_5tupleIJS9_S6_EEENSD_IJSA_SA_EEENS0_18inequality_wrapperIZN2at6native12_GLOBAL__N_124unique_dim_cuda_templateIhEESt5tupleIJNSH_6TensorESM_SM_EERKSM_lbbbEUlllE0_EEPmJS6_EEE10hipError_tPvRmT3_T4_T5_T6_T7_T9_mT8_P12ihipStream_tbDpT10_ENKUlT_T0_E_clISt17integral_constantIbLb0EES1C_EEDaS17_S18_EUlS17_E_NS1_11comp_targetILNS1_3genE4ELNS1_11target_archE910ELNS1_3gpuE8ELNS1_3repE0EEENS1_30default_config_static_selectorELNS0_4arch9wavefront6targetE0EEEvT1_.uses_vcc, 0
	.set _ZN7rocprim17ROCPRIM_400000_NS6detail17trampoline_kernelINS0_14default_configENS1_25partition_config_selectorILNS1_17partition_subalgoE8ElNS0_10empty_typeEbEEZZNS1_14partition_implILS5_8ELb0ES3_jPlPS6_PKS6_NS0_5tupleIJS9_S6_EEENSD_IJSA_SA_EEENS0_18inequality_wrapperIZN2at6native12_GLOBAL__N_124unique_dim_cuda_templateIhEESt5tupleIJNSH_6TensorESM_SM_EERKSM_lbbbEUlllE0_EEPmJS6_EEE10hipError_tPvRmT3_T4_T5_T6_T7_T9_mT8_P12ihipStream_tbDpT10_ENKUlT_T0_E_clISt17integral_constantIbLb0EES1C_EEDaS17_S18_EUlS17_E_NS1_11comp_targetILNS1_3genE4ELNS1_11target_archE910ELNS1_3gpuE8ELNS1_3repE0EEENS1_30default_config_static_selectorELNS0_4arch9wavefront6targetE0EEEvT1_.uses_flat_scratch, 0
	.set _ZN7rocprim17ROCPRIM_400000_NS6detail17trampoline_kernelINS0_14default_configENS1_25partition_config_selectorILNS1_17partition_subalgoE8ElNS0_10empty_typeEbEEZZNS1_14partition_implILS5_8ELb0ES3_jPlPS6_PKS6_NS0_5tupleIJS9_S6_EEENSD_IJSA_SA_EEENS0_18inequality_wrapperIZN2at6native12_GLOBAL__N_124unique_dim_cuda_templateIhEESt5tupleIJNSH_6TensorESM_SM_EERKSM_lbbbEUlllE0_EEPmJS6_EEE10hipError_tPvRmT3_T4_T5_T6_T7_T9_mT8_P12ihipStream_tbDpT10_ENKUlT_T0_E_clISt17integral_constantIbLb0EES1C_EEDaS17_S18_EUlS17_E_NS1_11comp_targetILNS1_3genE4ELNS1_11target_archE910ELNS1_3gpuE8ELNS1_3repE0EEENS1_30default_config_static_selectorELNS0_4arch9wavefront6targetE0EEEvT1_.has_dyn_sized_stack, 0
	.set _ZN7rocprim17ROCPRIM_400000_NS6detail17trampoline_kernelINS0_14default_configENS1_25partition_config_selectorILNS1_17partition_subalgoE8ElNS0_10empty_typeEbEEZZNS1_14partition_implILS5_8ELb0ES3_jPlPS6_PKS6_NS0_5tupleIJS9_S6_EEENSD_IJSA_SA_EEENS0_18inequality_wrapperIZN2at6native12_GLOBAL__N_124unique_dim_cuda_templateIhEESt5tupleIJNSH_6TensorESM_SM_EERKSM_lbbbEUlllE0_EEPmJS6_EEE10hipError_tPvRmT3_T4_T5_T6_T7_T9_mT8_P12ihipStream_tbDpT10_ENKUlT_T0_E_clISt17integral_constantIbLb0EES1C_EEDaS17_S18_EUlS17_E_NS1_11comp_targetILNS1_3genE4ELNS1_11target_archE910ELNS1_3gpuE8ELNS1_3repE0EEENS1_30default_config_static_selectorELNS0_4arch9wavefront6targetE0EEEvT1_.has_recursion, 0
	.set _ZN7rocprim17ROCPRIM_400000_NS6detail17trampoline_kernelINS0_14default_configENS1_25partition_config_selectorILNS1_17partition_subalgoE8ElNS0_10empty_typeEbEEZZNS1_14partition_implILS5_8ELb0ES3_jPlPS6_PKS6_NS0_5tupleIJS9_S6_EEENSD_IJSA_SA_EEENS0_18inequality_wrapperIZN2at6native12_GLOBAL__N_124unique_dim_cuda_templateIhEESt5tupleIJNSH_6TensorESM_SM_EERKSM_lbbbEUlllE0_EEPmJS6_EEE10hipError_tPvRmT3_T4_T5_T6_T7_T9_mT8_P12ihipStream_tbDpT10_ENKUlT_T0_E_clISt17integral_constantIbLb0EES1C_EEDaS17_S18_EUlS17_E_NS1_11comp_targetILNS1_3genE4ELNS1_11target_archE910ELNS1_3gpuE8ELNS1_3repE0EEENS1_30default_config_static_selectorELNS0_4arch9wavefront6targetE0EEEvT1_.has_indirect_call, 0
	.section	.AMDGPU.csdata,"",@progbits
; Kernel info:
; codeLenInByte = 0
; TotalNumSgprs: 0
; NumVgprs: 0
; ScratchSize: 0
; MemoryBound: 0
; FloatMode: 240
; IeeeMode: 1
; LDSByteSize: 0 bytes/workgroup (compile time only)
; SGPRBlocks: 0
; VGPRBlocks: 0
; NumSGPRsForWavesPerEU: 1
; NumVGPRsForWavesPerEU: 1
; NamedBarCnt: 0
; Occupancy: 16
; WaveLimiterHint : 0
; COMPUTE_PGM_RSRC2:SCRATCH_EN: 0
; COMPUTE_PGM_RSRC2:USER_SGPR: 2
; COMPUTE_PGM_RSRC2:TRAP_HANDLER: 0
; COMPUTE_PGM_RSRC2:TGID_X_EN: 1
; COMPUTE_PGM_RSRC2:TGID_Y_EN: 0
; COMPUTE_PGM_RSRC2:TGID_Z_EN: 0
; COMPUTE_PGM_RSRC2:TIDIG_COMP_CNT: 0
	.section	.text._ZN7rocprim17ROCPRIM_400000_NS6detail17trampoline_kernelINS0_14default_configENS1_25partition_config_selectorILNS1_17partition_subalgoE8ElNS0_10empty_typeEbEEZZNS1_14partition_implILS5_8ELb0ES3_jPlPS6_PKS6_NS0_5tupleIJS9_S6_EEENSD_IJSA_SA_EEENS0_18inequality_wrapperIZN2at6native12_GLOBAL__N_124unique_dim_cuda_templateIhEESt5tupleIJNSH_6TensorESM_SM_EERKSM_lbbbEUlllE0_EEPmJS6_EEE10hipError_tPvRmT3_T4_T5_T6_T7_T9_mT8_P12ihipStream_tbDpT10_ENKUlT_T0_E_clISt17integral_constantIbLb0EES1C_EEDaS17_S18_EUlS17_E_NS1_11comp_targetILNS1_3genE3ELNS1_11target_archE908ELNS1_3gpuE7ELNS1_3repE0EEENS1_30default_config_static_selectorELNS0_4arch9wavefront6targetE0EEEvT1_,"axG",@progbits,_ZN7rocprim17ROCPRIM_400000_NS6detail17trampoline_kernelINS0_14default_configENS1_25partition_config_selectorILNS1_17partition_subalgoE8ElNS0_10empty_typeEbEEZZNS1_14partition_implILS5_8ELb0ES3_jPlPS6_PKS6_NS0_5tupleIJS9_S6_EEENSD_IJSA_SA_EEENS0_18inequality_wrapperIZN2at6native12_GLOBAL__N_124unique_dim_cuda_templateIhEESt5tupleIJNSH_6TensorESM_SM_EERKSM_lbbbEUlllE0_EEPmJS6_EEE10hipError_tPvRmT3_T4_T5_T6_T7_T9_mT8_P12ihipStream_tbDpT10_ENKUlT_T0_E_clISt17integral_constantIbLb0EES1C_EEDaS17_S18_EUlS17_E_NS1_11comp_targetILNS1_3genE3ELNS1_11target_archE908ELNS1_3gpuE7ELNS1_3repE0EEENS1_30default_config_static_selectorELNS0_4arch9wavefront6targetE0EEEvT1_,comdat
	.globl	_ZN7rocprim17ROCPRIM_400000_NS6detail17trampoline_kernelINS0_14default_configENS1_25partition_config_selectorILNS1_17partition_subalgoE8ElNS0_10empty_typeEbEEZZNS1_14partition_implILS5_8ELb0ES3_jPlPS6_PKS6_NS0_5tupleIJS9_S6_EEENSD_IJSA_SA_EEENS0_18inequality_wrapperIZN2at6native12_GLOBAL__N_124unique_dim_cuda_templateIhEESt5tupleIJNSH_6TensorESM_SM_EERKSM_lbbbEUlllE0_EEPmJS6_EEE10hipError_tPvRmT3_T4_T5_T6_T7_T9_mT8_P12ihipStream_tbDpT10_ENKUlT_T0_E_clISt17integral_constantIbLb0EES1C_EEDaS17_S18_EUlS17_E_NS1_11comp_targetILNS1_3genE3ELNS1_11target_archE908ELNS1_3gpuE7ELNS1_3repE0EEENS1_30default_config_static_selectorELNS0_4arch9wavefront6targetE0EEEvT1_ ; -- Begin function _ZN7rocprim17ROCPRIM_400000_NS6detail17trampoline_kernelINS0_14default_configENS1_25partition_config_selectorILNS1_17partition_subalgoE8ElNS0_10empty_typeEbEEZZNS1_14partition_implILS5_8ELb0ES3_jPlPS6_PKS6_NS0_5tupleIJS9_S6_EEENSD_IJSA_SA_EEENS0_18inequality_wrapperIZN2at6native12_GLOBAL__N_124unique_dim_cuda_templateIhEESt5tupleIJNSH_6TensorESM_SM_EERKSM_lbbbEUlllE0_EEPmJS6_EEE10hipError_tPvRmT3_T4_T5_T6_T7_T9_mT8_P12ihipStream_tbDpT10_ENKUlT_T0_E_clISt17integral_constantIbLb0EES1C_EEDaS17_S18_EUlS17_E_NS1_11comp_targetILNS1_3genE3ELNS1_11target_archE908ELNS1_3gpuE7ELNS1_3repE0EEENS1_30default_config_static_selectorELNS0_4arch9wavefront6targetE0EEEvT1_
	.p2align	8
	.type	_ZN7rocprim17ROCPRIM_400000_NS6detail17trampoline_kernelINS0_14default_configENS1_25partition_config_selectorILNS1_17partition_subalgoE8ElNS0_10empty_typeEbEEZZNS1_14partition_implILS5_8ELb0ES3_jPlPS6_PKS6_NS0_5tupleIJS9_S6_EEENSD_IJSA_SA_EEENS0_18inequality_wrapperIZN2at6native12_GLOBAL__N_124unique_dim_cuda_templateIhEESt5tupleIJNSH_6TensorESM_SM_EERKSM_lbbbEUlllE0_EEPmJS6_EEE10hipError_tPvRmT3_T4_T5_T6_T7_T9_mT8_P12ihipStream_tbDpT10_ENKUlT_T0_E_clISt17integral_constantIbLb0EES1C_EEDaS17_S18_EUlS17_E_NS1_11comp_targetILNS1_3genE3ELNS1_11target_archE908ELNS1_3gpuE7ELNS1_3repE0EEENS1_30default_config_static_selectorELNS0_4arch9wavefront6targetE0EEEvT1_,@function
_ZN7rocprim17ROCPRIM_400000_NS6detail17trampoline_kernelINS0_14default_configENS1_25partition_config_selectorILNS1_17partition_subalgoE8ElNS0_10empty_typeEbEEZZNS1_14partition_implILS5_8ELb0ES3_jPlPS6_PKS6_NS0_5tupleIJS9_S6_EEENSD_IJSA_SA_EEENS0_18inequality_wrapperIZN2at6native12_GLOBAL__N_124unique_dim_cuda_templateIhEESt5tupleIJNSH_6TensorESM_SM_EERKSM_lbbbEUlllE0_EEPmJS6_EEE10hipError_tPvRmT3_T4_T5_T6_T7_T9_mT8_P12ihipStream_tbDpT10_ENKUlT_T0_E_clISt17integral_constantIbLb0EES1C_EEDaS17_S18_EUlS17_E_NS1_11comp_targetILNS1_3genE3ELNS1_11target_archE908ELNS1_3gpuE7ELNS1_3repE0EEENS1_30default_config_static_selectorELNS0_4arch9wavefront6targetE0EEEvT1_: ; @_ZN7rocprim17ROCPRIM_400000_NS6detail17trampoline_kernelINS0_14default_configENS1_25partition_config_selectorILNS1_17partition_subalgoE8ElNS0_10empty_typeEbEEZZNS1_14partition_implILS5_8ELb0ES3_jPlPS6_PKS6_NS0_5tupleIJS9_S6_EEENSD_IJSA_SA_EEENS0_18inequality_wrapperIZN2at6native12_GLOBAL__N_124unique_dim_cuda_templateIhEESt5tupleIJNSH_6TensorESM_SM_EERKSM_lbbbEUlllE0_EEPmJS6_EEE10hipError_tPvRmT3_T4_T5_T6_T7_T9_mT8_P12ihipStream_tbDpT10_ENKUlT_T0_E_clISt17integral_constantIbLb0EES1C_EEDaS17_S18_EUlS17_E_NS1_11comp_targetILNS1_3genE3ELNS1_11target_archE908ELNS1_3gpuE7ELNS1_3repE0EEENS1_30default_config_static_selectorELNS0_4arch9wavefront6targetE0EEEvT1_
; %bb.0:
	.section	.rodata,"a",@progbits
	.p2align	6, 0x0
	.amdhsa_kernel _ZN7rocprim17ROCPRIM_400000_NS6detail17trampoline_kernelINS0_14default_configENS1_25partition_config_selectorILNS1_17partition_subalgoE8ElNS0_10empty_typeEbEEZZNS1_14partition_implILS5_8ELb0ES3_jPlPS6_PKS6_NS0_5tupleIJS9_S6_EEENSD_IJSA_SA_EEENS0_18inequality_wrapperIZN2at6native12_GLOBAL__N_124unique_dim_cuda_templateIhEESt5tupleIJNSH_6TensorESM_SM_EERKSM_lbbbEUlllE0_EEPmJS6_EEE10hipError_tPvRmT3_T4_T5_T6_T7_T9_mT8_P12ihipStream_tbDpT10_ENKUlT_T0_E_clISt17integral_constantIbLb0EES1C_EEDaS17_S18_EUlS17_E_NS1_11comp_targetILNS1_3genE3ELNS1_11target_archE908ELNS1_3gpuE7ELNS1_3repE0EEENS1_30default_config_static_selectorELNS0_4arch9wavefront6targetE0EEEvT1_
		.amdhsa_group_segment_fixed_size 0
		.amdhsa_private_segment_fixed_size 0
		.amdhsa_kernarg_size 120
		.amdhsa_user_sgpr_count 2
		.amdhsa_user_sgpr_dispatch_ptr 0
		.amdhsa_user_sgpr_queue_ptr 0
		.amdhsa_user_sgpr_kernarg_segment_ptr 1
		.amdhsa_user_sgpr_dispatch_id 0
		.amdhsa_user_sgpr_kernarg_preload_length 0
		.amdhsa_user_sgpr_kernarg_preload_offset 0
		.amdhsa_user_sgpr_private_segment_size 0
		.amdhsa_wavefront_size32 1
		.amdhsa_uses_dynamic_stack 0
		.amdhsa_enable_private_segment 0
		.amdhsa_system_sgpr_workgroup_id_x 1
		.amdhsa_system_sgpr_workgroup_id_y 0
		.amdhsa_system_sgpr_workgroup_id_z 0
		.amdhsa_system_sgpr_workgroup_info 0
		.amdhsa_system_vgpr_workitem_id 0
		.amdhsa_next_free_vgpr 1
		.amdhsa_next_free_sgpr 1
		.amdhsa_named_barrier_count 0
		.amdhsa_reserve_vcc 0
		.amdhsa_float_round_mode_32 0
		.amdhsa_float_round_mode_16_64 0
		.amdhsa_float_denorm_mode_32 3
		.amdhsa_float_denorm_mode_16_64 3
		.amdhsa_fp16_overflow 0
		.amdhsa_memory_ordered 1
		.amdhsa_forward_progress 1
		.amdhsa_inst_pref_size 0
		.amdhsa_round_robin_scheduling 0
		.amdhsa_exception_fp_ieee_invalid_op 0
		.amdhsa_exception_fp_denorm_src 0
		.amdhsa_exception_fp_ieee_div_zero 0
		.amdhsa_exception_fp_ieee_overflow 0
		.amdhsa_exception_fp_ieee_underflow 0
		.amdhsa_exception_fp_ieee_inexact 0
		.amdhsa_exception_int_div_zero 0
	.end_amdhsa_kernel
	.section	.text._ZN7rocprim17ROCPRIM_400000_NS6detail17trampoline_kernelINS0_14default_configENS1_25partition_config_selectorILNS1_17partition_subalgoE8ElNS0_10empty_typeEbEEZZNS1_14partition_implILS5_8ELb0ES3_jPlPS6_PKS6_NS0_5tupleIJS9_S6_EEENSD_IJSA_SA_EEENS0_18inequality_wrapperIZN2at6native12_GLOBAL__N_124unique_dim_cuda_templateIhEESt5tupleIJNSH_6TensorESM_SM_EERKSM_lbbbEUlllE0_EEPmJS6_EEE10hipError_tPvRmT3_T4_T5_T6_T7_T9_mT8_P12ihipStream_tbDpT10_ENKUlT_T0_E_clISt17integral_constantIbLb0EES1C_EEDaS17_S18_EUlS17_E_NS1_11comp_targetILNS1_3genE3ELNS1_11target_archE908ELNS1_3gpuE7ELNS1_3repE0EEENS1_30default_config_static_selectorELNS0_4arch9wavefront6targetE0EEEvT1_,"axG",@progbits,_ZN7rocprim17ROCPRIM_400000_NS6detail17trampoline_kernelINS0_14default_configENS1_25partition_config_selectorILNS1_17partition_subalgoE8ElNS0_10empty_typeEbEEZZNS1_14partition_implILS5_8ELb0ES3_jPlPS6_PKS6_NS0_5tupleIJS9_S6_EEENSD_IJSA_SA_EEENS0_18inequality_wrapperIZN2at6native12_GLOBAL__N_124unique_dim_cuda_templateIhEESt5tupleIJNSH_6TensorESM_SM_EERKSM_lbbbEUlllE0_EEPmJS6_EEE10hipError_tPvRmT3_T4_T5_T6_T7_T9_mT8_P12ihipStream_tbDpT10_ENKUlT_T0_E_clISt17integral_constantIbLb0EES1C_EEDaS17_S18_EUlS17_E_NS1_11comp_targetILNS1_3genE3ELNS1_11target_archE908ELNS1_3gpuE7ELNS1_3repE0EEENS1_30default_config_static_selectorELNS0_4arch9wavefront6targetE0EEEvT1_,comdat
.Lfunc_end164:
	.size	_ZN7rocprim17ROCPRIM_400000_NS6detail17trampoline_kernelINS0_14default_configENS1_25partition_config_selectorILNS1_17partition_subalgoE8ElNS0_10empty_typeEbEEZZNS1_14partition_implILS5_8ELb0ES3_jPlPS6_PKS6_NS0_5tupleIJS9_S6_EEENSD_IJSA_SA_EEENS0_18inequality_wrapperIZN2at6native12_GLOBAL__N_124unique_dim_cuda_templateIhEESt5tupleIJNSH_6TensorESM_SM_EERKSM_lbbbEUlllE0_EEPmJS6_EEE10hipError_tPvRmT3_T4_T5_T6_T7_T9_mT8_P12ihipStream_tbDpT10_ENKUlT_T0_E_clISt17integral_constantIbLb0EES1C_EEDaS17_S18_EUlS17_E_NS1_11comp_targetILNS1_3genE3ELNS1_11target_archE908ELNS1_3gpuE7ELNS1_3repE0EEENS1_30default_config_static_selectorELNS0_4arch9wavefront6targetE0EEEvT1_, .Lfunc_end164-_ZN7rocprim17ROCPRIM_400000_NS6detail17trampoline_kernelINS0_14default_configENS1_25partition_config_selectorILNS1_17partition_subalgoE8ElNS0_10empty_typeEbEEZZNS1_14partition_implILS5_8ELb0ES3_jPlPS6_PKS6_NS0_5tupleIJS9_S6_EEENSD_IJSA_SA_EEENS0_18inequality_wrapperIZN2at6native12_GLOBAL__N_124unique_dim_cuda_templateIhEESt5tupleIJNSH_6TensorESM_SM_EERKSM_lbbbEUlllE0_EEPmJS6_EEE10hipError_tPvRmT3_T4_T5_T6_T7_T9_mT8_P12ihipStream_tbDpT10_ENKUlT_T0_E_clISt17integral_constantIbLb0EES1C_EEDaS17_S18_EUlS17_E_NS1_11comp_targetILNS1_3genE3ELNS1_11target_archE908ELNS1_3gpuE7ELNS1_3repE0EEENS1_30default_config_static_selectorELNS0_4arch9wavefront6targetE0EEEvT1_
                                        ; -- End function
	.set _ZN7rocprim17ROCPRIM_400000_NS6detail17trampoline_kernelINS0_14default_configENS1_25partition_config_selectorILNS1_17partition_subalgoE8ElNS0_10empty_typeEbEEZZNS1_14partition_implILS5_8ELb0ES3_jPlPS6_PKS6_NS0_5tupleIJS9_S6_EEENSD_IJSA_SA_EEENS0_18inequality_wrapperIZN2at6native12_GLOBAL__N_124unique_dim_cuda_templateIhEESt5tupleIJNSH_6TensorESM_SM_EERKSM_lbbbEUlllE0_EEPmJS6_EEE10hipError_tPvRmT3_T4_T5_T6_T7_T9_mT8_P12ihipStream_tbDpT10_ENKUlT_T0_E_clISt17integral_constantIbLb0EES1C_EEDaS17_S18_EUlS17_E_NS1_11comp_targetILNS1_3genE3ELNS1_11target_archE908ELNS1_3gpuE7ELNS1_3repE0EEENS1_30default_config_static_selectorELNS0_4arch9wavefront6targetE0EEEvT1_.num_vgpr, 0
	.set _ZN7rocprim17ROCPRIM_400000_NS6detail17trampoline_kernelINS0_14default_configENS1_25partition_config_selectorILNS1_17partition_subalgoE8ElNS0_10empty_typeEbEEZZNS1_14partition_implILS5_8ELb0ES3_jPlPS6_PKS6_NS0_5tupleIJS9_S6_EEENSD_IJSA_SA_EEENS0_18inequality_wrapperIZN2at6native12_GLOBAL__N_124unique_dim_cuda_templateIhEESt5tupleIJNSH_6TensorESM_SM_EERKSM_lbbbEUlllE0_EEPmJS6_EEE10hipError_tPvRmT3_T4_T5_T6_T7_T9_mT8_P12ihipStream_tbDpT10_ENKUlT_T0_E_clISt17integral_constantIbLb0EES1C_EEDaS17_S18_EUlS17_E_NS1_11comp_targetILNS1_3genE3ELNS1_11target_archE908ELNS1_3gpuE7ELNS1_3repE0EEENS1_30default_config_static_selectorELNS0_4arch9wavefront6targetE0EEEvT1_.num_agpr, 0
	.set _ZN7rocprim17ROCPRIM_400000_NS6detail17trampoline_kernelINS0_14default_configENS1_25partition_config_selectorILNS1_17partition_subalgoE8ElNS0_10empty_typeEbEEZZNS1_14partition_implILS5_8ELb0ES3_jPlPS6_PKS6_NS0_5tupleIJS9_S6_EEENSD_IJSA_SA_EEENS0_18inequality_wrapperIZN2at6native12_GLOBAL__N_124unique_dim_cuda_templateIhEESt5tupleIJNSH_6TensorESM_SM_EERKSM_lbbbEUlllE0_EEPmJS6_EEE10hipError_tPvRmT3_T4_T5_T6_T7_T9_mT8_P12ihipStream_tbDpT10_ENKUlT_T0_E_clISt17integral_constantIbLb0EES1C_EEDaS17_S18_EUlS17_E_NS1_11comp_targetILNS1_3genE3ELNS1_11target_archE908ELNS1_3gpuE7ELNS1_3repE0EEENS1_30default_config_static_selectorELNS0_4arch9wavefront6targetE0EEEvT1_.numbered_sgpr, 0
	.set _ZN7rocprim17ROCPRIM_400000_NS6detail17trampoline_kernelINS0_14default_configENS1_25partition_config_selectorILNS1_17partition_subalgoE8ElNS0_10empty_typeEbEEZZNS1_14partition_implILS5_8ELb0ES3_jPlPS6_PKS6_NS0_5tupleIJS9_S6_EEENSD_IJSA_SA_EEENS0_18inequality_wrapperIZN2at6native12_GLOBAL__N_124unique_dim_cuda_templateIhEESt5tupleIJNSH_6TensorESM_SM_EERKSM_lbbbEUlllE0_EEPmJS6_EEE10hipError_tPvRmT3_T4_T5_T6_T7_T9_mT8_P12ihipStream_tbDpT10_ENKUlT_T0_E_clISt17integral_constantIbLb0EES1C_EEDaS17_S18_EUlS17_E_NS1_11comp_targetILNS1_3genE3ELNS1_11target_archE908ELNS1_3gpuE7ELNS1_3repE0EEENS1_30default_config_static_selectorELNS0_4arch9wavefront6targetE0EEEvT1_.num_named_barrier, 0
	.set _ZN7rocprim17ROCPRIM_400000_NS6detail17trampoline_kernelINS0_14default_configENS1_25partition_config_selectorILNS1_17partition_subalgoE8ElNS0_10empty_typeEbEEZZNS1_14partition_implILS5_8ELb0ES3_jPlPS6_PKS6_NS0_5tupleIJS9_S6_EEENSD_IJSA_SA_EEENS0_18inequality_wrapperIZN2at6native12_GLOBAL__N_124unique_dim_cuda_templateIhEESt5tupleIJNSH_6TensorESM_SM_EERKSM_lbbbEUlllE0_EEPmJS6_EEE10hipError_tPvRmT3_T4_T5_T6_T7_T9_mT8_P12ihipStream_tbDpT10_ENKUlT_T0_E_clISt17integral_constantIbLb0EES1C_EEDaS17_S18_EUlS17_E_NS1_11comp_targetILNS1_3genE3ELNS1_11target_archE908ELNS1_3gpuE7ELNS1_3repE0EEENS1_30default_config_static_selectorELNS0_4arch9wavefront6targetE0EEEvT1_.private_seg_size, 0
	.set _ZN7rocprim17ROCPRIM_400000_NS6detail17trampoline_kernelINS0_14default_configENS1_25partition_config_selectorILNS1_17partition_subalgoE8ElNS0_10empty_typeEbEEZZNS1_14partition_implILS5_8ELb0ES3_jPlPS6_PKS6_NS0_5tupleIJS9_S6_EEENSD_IJSA_SA_EEENS0_18inequality_wrapperIZN2at6native12_GLOBAL__N_124unique_dim_cuda_templateIhEESt5tupleIJNSH_6TensorESM_SM_EERKSM_lbbbEUlllE0_EEPmJS6_EEE10hipError_tPvRmT3_T4_T5_T6_T7_T9_mT8_P12ihipStream_tbDpT10_ENKUlT_T0_E_clISt17integral_constantIbLb0EES1C_EEDaS17_S18_EUlS17_E_NS1_11comp_targetILNS1_3genE3ELNS1_11target_archE908ELNS1_3gpuE7ELNS1_3repE0EEENS1_30default_config_static_selectorELNS0_4arch9wavefront6targetE0EEEvT1_.uses_vcc, 0
	.set _ZN7rocprim17ROCPRIM_400000_NS6detail17trampoline_kernelINS0_14default_configENS1_25partition_config_selectorILNS1_17partition_subalgoE8ElNS0_10empty_typeEbEEZZNS1_14partition_implILS5_8ELb0ES3_jPlPS6_PKS6_NS0_5tupleIJS9_S6_EEENSD_IJSA_SA_EEENS0_18inequality_wrapperIZN2at6native12_GLOBAL__N_124unique_dim_cuda_templateIhEESt5tupleIJNSH_6TensorESM_SM_EERKSM_lbbbEUlllE0_EEPmJS6_EEE10hipError_tPvRmT3_T4_T5_T6_T7_T9_mT8_P12ihipStream_tbDpT10_ENKUlT_T0_E_clISt17integral_constantIbLb0EES1C_EEDaS17_S18_EUlS17_E_NS1_11comp_targetILNS1_3genE3ELNS1_11target_archE908ELNS1_3gpuE7ELNS1_3repE0EEENS1_30default_config_static_selectorELNS0_4arch9wavefront6targetE0EEEvT1_.uses_flat_scratch, 0
	.set _ZN7rocprim17ROCPRIM_400000_NS6detail17trampoline_kernelINS0_14default_configENS1_25partition_config_selectorILNS1_17partition_subalgoE8ElNS0_10empty_typeEbEEZZNS1_14partition_implILS5_8ELb0ES3_jPlPS6_PKS6_NS0_5tupleIJS9_S6_EEENSD_IJSA_SA_EEENS0_18inequality_wrapperIZN2at6native12_GLOBAL__N_124unique_dim_cuda_templateIhEESt5tupleIJNSH_6TensorESM_SM_EERKSM_lbbbEUlllE0_EEPmJS6_EEE10hipError_tPvRmT3_T4_T5_T6_T7_T9_mT8_P12ihipStream_tbDpT10_ENKUlT_T0_E_clISt17integral_constantIbLb0EES1C_EEDaS17_S18_EUlS17_E_NS1_11comp_targetILNS1_3genE3ELNS1_11target_archE908ELNS1_3gpuE7ELNS1_3repE0EEENS1_30default_config_static_selectorELNS0_4arch9wavefront6targetE0EEEvT1_.has_dyn_sized_stack, 0
	.set _ZN7rocprim17ROCPRIM_400000_NS6detail17trampoline_kernelINS0_14default_configENS1_25partition_config_selectorILNS1_17partition_subalgoE8ElNS0_10empty_typeEbEEZZNS1_14partition_implILS5_8ELb0ES3_jPlPS6_PKS6_NS0_5tupleIJS9_S6_EEENSD_IJSA_SA_EEENS0_18inequality_wrapperIZN2at6native12_GLOBAL__N_124unique_dim_cuda_templateIhEESt5tupleIJNSH_6TensorESM_SM_EERKSM_lbbbEUlllE0_EEPmJS6_EEE10hipError_tPvRmT3_T4_T5_T6_T7_T9_mT8_P12ihipStream_tbDpT10_ENKUlT_T0_E_clISt17integral_constantIbLb0EES1C_EEDaS17_S18_EUlS17_E_NS1_11comp_targetILNS1_3genE3ELNS1_11target_archE908ELNS1_3gpuE7ELNS1_3repE0EEENS1_30default_config_static_selectorELNS0_4arch9wavefront6targetE0EEEvT1_.has_recursion, 0
	.set _ZN7rocprim17ROCPRIM_400000_NS6detail17trampoline_kernelINS0_14default_configENS1_25partition_config_selectorILNS1_17partition_subalgoE8ElNS0_10empty_typeEbEEZZNS1_14partition_implILS5_8ELb0ES3_jPlPS6_PKS6_NS0_5tupleIJS9_S6_EEENSD_IJSA_SA_EEENS0_18inequality_wrapperIZN2at6native12_GLOBAL__N_124unique_dim_cuda_templateIhEESt5tupleIJNSH_6TensorESM_SM_EERKSM_lbbbEUlllE0_EEPmJS6_EEE10hipError_tPvRmT3_T4_T5_T6_T7_T9_mT8_P12ihipStream_tbDpT10_ENKUlT_T0_E_clISt17integral_constantIbLb0EES1C_EEDaS17_S18_EUlS17_E_NS1_11comp_targetILNS1_3genE3ELNS1_11target_archE908ELNS1_3gpuE7ELNS1_3repE0EEENS1_30default_config_static_selectorELNS0_4arch9wavefront6targetE0EEEvT1_.has_indirect_call, 0
	.section	.AMDGPU.csdata,"",@progbits
; Kernel info:
; codeLenInByte = 0
; TotalNumSgprs: 0
; NumVgprs: 0
; ScratchSize: 0
; MemoryBound: 0
; FloatMode: 240
; IeeeMode: 1
; LDSByteSize: 0 bytes/workgroup (compile time only)
; SGPRBlocks: 0
; VGPRBlocks: 0
; NumSGPRsForWavesPerEU: 1
; NumVGPRsForWavesPerEU: 1
; NamedBarCnt: 0
; Occupancy: 16
; WaveLimiterHint : 0
; COMPUTE_PGM_RSRC2:SCRATCH_EN: 0
; COMPUTE_PGM_RSRC2:USER_SGPR: 2
; COMPUTE_PGM_RSRC2:TRAP_HANDLER: 0
; COMPUTE_PGM_RSRC2:TGID_X_EN: 1
; COMPUTE_PGM_RSRC2:TGID_Y_EN: 0
; COMPUTE_PGM_RSRC2:TGID_Z_EN: 0
; COMPUTE_PGM_RSRC2:TIDIG_COMP_CNT: 0
	.section	.text._ZN7rocprim17ROCPRIM_400000_NS6detail17trampoline_kernelINS0_14default_configENS1_25partition_config_selectorILNS1_17partition_subalgoE8ElNS0_10empty_typeEbEEZZNS1_14partition_implILS5_8ELb0ES3_jPlPS6_PKS6_NS0_5tupleIJS9_S6_EEENSD_IJSA_SA_EEENS0_18inequality_wrapperIZN2at6native12_GLOBAL__N_124unique_dim_cuda_templateIhEESt5tupleIJNSH_6TensorESM_SM_EERKSM_lbbbEUlllE0_EEPmJS6_EEE10hipError_tPvRmT3_T4_T5_T6_T7_T9_mT8_P12ihipStream_tbDpT10_ENKUlT_T0_E_clISt17integral_constantIbLb0EES1C_EEDaS17_S18_EUlS17_E_NS1_11comp_targetILNS1_3genE2ELNS1_11target_archE906ELNS1_3gpuE6ELNS1_3repE0EEENS1_30default_config_static_selectorELNS0_4arch9wavefront6targetE0EEEvT1_,"axG",@progbits,_ZN7rocprim17ROCPRIM_400000_NS6detail17trampoline_kernelINS0_14default_configENS1_25partition_config_selectorILNS1_17partition_subalgoE8ElNS0_10empty_typeEbEEZZNS1_14partition_implILS5_8ELb0ES3_jPlPS6_PKS6_NS0_5tupleIJS9_S6_EEENSD_IJSA_SA_EEENS0_18inequality_wrapperIZN2at6native12_GLOBAL__N_124unique_dim_cuda_templateIhEESt5tupleIJNSH_6TensorESM_SM_EERKSM_lbbbEUlllE0_EEPmJS6_EEE10hipError_tPvRmT3_T4_T5_T6_T7_T9_mT8_P12ihipStream_tbDpT10_ENKUlT_T0_E_clISt17integral_constantIbLb0EES1C_EEDaS17_S18_EUlS17_E_NS1_11comp_targetILNS1_3genE2ELNS1_11target_archE906ELNS1_3gpuE6ELNS1_3repE0EEENS1_30default_config_static_selectorELNS0_4arch9wavefront6targetE0EEEvT1_,comdat
	.globl	_ZN7rocprim17ROCPRIM_400000_NS6detail17trampoline_kernelINS0_14default_configENS1_25partition_config_selectorILNS1_17partition_subalgoE8ElNS0_10empty_typeEbEEZZNS1_14partition_implILS5_8ELb0ES3_jPlPS6_PKS6_NS0_5tupleIJS9_S6_EEENSD_IJSA_SA_EEENS0_18inequality_wrapperIZN2at6native12_GLOBAL__N_124unique_dim_cuda_templateIhEESt5tupleIJNSH_6TensorESM_SM_EERKSM_lbbbEUlllE0_EEPmJS6_EEE10hipError_tPvRmT3_T4_T5_T6_T7_T9_mT8_P12ihipStream_tbDpT10_ENKUlT_T0_E_clISt17integral_constantIbLb0EES1C_EEDaS17_S18_EUlS17_E_NS1_11comp_targetILNS1_3genE2ELNS1_11target_archE906ELNS1_3gpuE6ELNS1_3repE0EEENS1_30default_config_static_selectorELNS0_4arch9wavefront6targetE0EEEvT1_ ; -- Begin function _ZN7rocprim17ROCPRIM_400000_NS6detail17trampoline_kernelINS0_14default_configENS1_25partition_config_selectorILNS1_17partition_subalgoE8ElNS0_10empty_typeEbEEZZNS1_14partition_implILS5_8ELb0ES3_jPlPS6_PKS6_NS0_5tupleIJS9_S6_EEENSD_IJSA_SA_EEENS0_18inequality_wrapperIZN2at6native12_GLOBAL__N_124unique_dim_cuda_templateIhEESt5tupleIJNSH_6TensorESM_SM_EERKSM_lbbbEUlllE0_EEPmJS6_EEE10hipError_tPvRmT3_T4_T5_T6_T7_T9_mT8_P12ihipStream_tbDpT10_ENKUlT_T0_E_clISt17integral_constantIbLb0EES1C_EEDaS17_S18_EUlS17_E_NS1_11comp_targetILNS1_3genE2ELNS1_11target_archE906ELNS1_3gpuE6ELNS1_3repE0EEENS1_30default_config_static_selectorELNS0_4arch9wavefront6targetE0EEEvT1_
	.p2align	8
	.type	_ZN7rocprim17ROCPRIM_400000_NS6detail17trampoline_kernelINS0_14default_configENS1_25partition_config_selectorILNS1_17partition_subalgoE8ElNS0_10empty_typeEbEEZZNS1_14partition_implILS5_8ELb0ES3_jPlPS6_PKS6_NS0_5tupleIJS9_S6_EEENSD_IJSA_SA_EEENS0_18inequality_wrapperIZN2at6native12_GLOBAL__N_124unique_dim_cuda_templateIhEESt5tupleIJNSH_6TensorESM_SM_EERKSM_lbbbEUlllE0_EEPmJS6_EEE10hipError_tPvRmT3_T4_T5_T6_T7_T9_mT8_P12ihipStream_tbDpT10_ENKUlT_T0_E_clISt17integral_constantIbLb0EES1C_EEDaS17_S18_EUlS17_E_NS1_11comp_targetILNS1_3genE2ELNS1_11target_archE906ELNS1_3gpuE6ELNS1_3repE0EEENS1_30default_config_static_selectorELNS0_4arch9wavefront6targetE0EEEvT1_,@function
_ZN7rocprim17ROCPRIM_400000_NS6detail17trampoline_kernelINS0_14default_configENS1_25partition_config_selectorILNS1_17partition_subalgoE8ElNS0_10empty_typeEbEEZZNS1_14partition_implILS5_8ELb0ES3_jPlPS6_PKS6_NS0_5tupleIJS9_S6_EEENSD_IJSA_SA_EEENS0_18inequality_wrapperIZN2at6native12_GLOBAL__N_124unique_dim_cuda_templateIhEESt5tupleIJNSH_6TensorESM_SM_EERKSM_lbbbEUlllE0_EEPmJS6_EEE10hipError_tPvRmT3_T4_T5_T6_T7_T9_mT8_P12ihipStream_tbDpT10_ENKUlT_T0_E_clISt17integral_constantIbLb0EES1C_EEDaS17_S18_EUlS17_E_NS1_11comp_targetILNS1_3genE2ELNS1_11target_archE906ELNS1_3gpuE6ELNS1_3repE0EEENS1_30default_config_static_selectorELNS0_4arch9wavefront6targetE0EEEvT1_: ; @_ZN7rocprim17ROCPRIM_400000_NS6detail17trampoline_kernelINS0_14default_configENS1_25partition_config_selectorILNS1_17partition_subalgoE8ElNS0_10empty_typeEbEEZZNS1_14partition_implILS5_8ELb0ES3_jPlPS6_PKS6_NS0_5tupleIJS9_S6_EEENSD_IJSA_SA_EEENS0_18inequality_wrapperIZN2at6native12_GLOBAL__N_124unique_dim_cuda_templateIhEESt5tupleIJNSH_6TensorESM_SM_EERKSM_lbbbEUlllE0_EEPmJS6_EEE10hipError_tPvRmT3_T4_T5_T6_T7_T9_mT8_P12ihipStream_tbDpT10_ENKUlT_T0_E_clISt17integral_constantIbLb0EES1C_EEDaS17_S18_EUlS17_E_NS1_11comp_targetILNS1_3genE2ELNS1_11target_archE906ELNS1_3gpuE6ELNS1_3repE0EEENS1_30default_config_static_selectorELNS0_4arch9wavefront6targetE0EEEvT1_
; %bb.0:
	.section	.rodata,"a",@progbits
	.p2align	6, 0x0
	.amdhsa_kernel _ZN7rocprim17ROCPRIM_400000_NS6detail17trampoline_kernelINS0_14default_configENS1_25partition_config_selectorILNS1_17partition_subalgoE8ElNS0_10empty_typeEbEEZZNS1_14partition_implILS5_8ELb0ES3_jPlPS6_PKS6_NS0_5tupleIJS9_S6_EEENSD_IJSA_SA_EEENS0_18inequality_wrapperIZN2at6native12_GLOBAL__N_124unique_dim_cuda_templateIhEESt5tupleIJNSH_6TensorESM_SM_EERKSM_lbbbEUlllE0_EEPmJS6_EEE10hipError_tPvRmT3_T4_T5_T6_T7_T9_mT8_P12ihipStream_tbDpT10_ENKUlT_T0_E_clISt17integral_constantIbLb0EES1C_EEDaS17_S18_EUlS17_E_NS1_11comp_targetILNS1_3genE2ELNS1_11target_archE906ELNS1_3gpuE6ELNS1_3repE0EEENS1_30default_config_static_selectorELNS0_4arch9wavefront6targetE0EEEvT1_
		.amdhsa_group_segment_fixed_size 0
		.amdhsa_private_segment_fixed_size 0
		.amdhsa_kernarg_size 120
		.amdhsa_user_sgpr_count 2
		.amdhsa_user_sgpr_dispatch_ptr 0
		.amdhsa_user_sgpr_queue_ptr 0
		.amdhsa_user_sgpr_kernarg_segment_ptr 1
		.amdhsa_user_sgpr_dispatch_id 0
		.amdhsa_user_sgpr_kernarg_preload_length 0
		.amdhsa_user_sgpr_kernarg_preload_offset 0
		.amdhsa_user_sgpr_private_segment_size 0
		.amdhsa_wavefront_size32 1
		.amdhsa_uses_dynamic_stack 0
		.amdhsa_enable_private_segment 0
		.amdhsa_system_sgpr_workgroup_id_x 1
		.amdhsa_system_sgpr_workgroup_id_y 0
		.amdhsa_system_sgpr_workgroup_id_z 0
		.amdhsa_system_sgpr_workgroup_info 0
		.amdhsa_system_vgpr_workitem_id 0
		.amdhsa_next_free_vgpr 1
		.amdhsa_next_free_sgpr 1
		.amdhsa_named_barrier_count 0
		.amdhsa_reserve_vcc 0
		.amdhsa_float_round_mode_32 0
		.amdhsa_float_round_mode_16_64 0
		.amdhsa_float_denorm_mode_32 3
		.amdhsa_float_denorm_mode_16_64 3
		.amdhsa_fp16_overflow 0
		.amdhsa_memory_ordered 1
		.amdhsa_forward_progress 1
		.amdhsa_inst_pref_size 0
		.amdhsa_round_robin_scheduling 0
		.amdhsa_exception_fp_ieee_invalid_op 0
		.amdhsa_exception_fp_denorm_src 0
		.amdhsa_exception_fp_ieee_div_zero 0
		.amdhsa_exception_fp_ieee_overflow 0
		.amdhsa_exception_fp_ieee_underflow 0
		.amdhsa_exception_fp_ieee_inexact 0
		.amdhsa_exception_int_div_zero 0
	.end_amdhsa_kernel
	.section	.text._ZN7rocprim17ROCPRIM_400000_NS6detail17trampoline_kernelINS0_14default_configENS1_25partition_config_selectorILNS1_17partition_subalgoE8ElNS0_10empty_typeEbEEZZNS1_14partition_implILS5_8ELb0ES3_jPlPS6_PKS6_NS0_5tupleIJS9_S6_EEENSD_IJSA_SA_EEENS0_18inequality_wrapperIZN2at6native12_GLOBAL__N_124unique_dim_cuda_templateIhEESt5tupleIJNSH_6TensorESM_SM_EERKSM_lbbbEUlllE0_EEPmJS6_EEE10hipError_tPvRmT3_T4_T5_T6_T7_T9_mT8_P12ihipStream_tbDpT10_ENKUlT_T0_E_clISt17integral_constantIbLb0EES1C_EEDaS17_S18_EUlS17_E_NS1_11comp_targetILNS1_3genE2ELNS1_11target_archE906ELNS1_3gpuE6ELNS1_3repE0EEENS1_30default_config_static_selectorELNS0_4arch9wavefront6targetE0EEEvT1_,"axG",@progbits,_ZN7rocprim17ROCPRIM_400000_NS6detail17trampoline_kernelINS0_14default_configENS1_25partition_config_selectorILNS1_17partition_subalgoE8ElNS0_10empty_typeEbEEZZNS1_14partition_implILS5_8ELb0ES3_jPlPS6_PKS6_NS0_5tupleIJS9_S6_EEENSD_IJSA_SA_EEENS0_18inequality_wrapperIZN2at6native12_GLOBAL__N_124unique_dim_cuda_templateIhEESt5tupleIJNSH_6TensorESM_SM_EERKSM_lbbbEUlllE0_EEPmJS6_EEE10hipError_tPvRmT3_T4_T5_T6_T7_T9_mT8_P12ihipStream_tbDpT10_ENKUlT_T0_E_clISt17integral_constantIbLb0EES1C_EEDaS17_S18_EUlS17_E_NS1_11comp_targetILNS1_3genE2ELNS1_11target_archE906ELNS1_3gpuE6ELNS1_3repE0EEENS1_30default_config_static_selectorELNS0_4arch9wavefront6targetE0EEEvT1_,comdat
.Lfunc_end165:
	.size	_ZN7rocprim17ROCPRIM_400000_NS6detail17trampoline_kernelINS0_14default_configENS1_25partition_config_selectorILNS1_17partition_subalgoE8ElNS0_10empty_typeEbEEZZNS1_14partition_implILS5_8ELb0ES3_jPlPS6_PKS6_NS0_5tupleIJS9_S6_EEENSD_IJSA_SA_EEENS0_18inequality_wrapperIZN2at6native12_GLOBAL__N_124unique_dim_cuda_templateIhEESt5tupleIJNSH_6TensorESM_SM_EERKSM_lbbbEUlllE0_EEPmJS6_EEE10hipError_tPvRmT3_T4_T5_T6_T7_T9_mT8_P12ihipStream_tbDpT10_ENKUlT_T0_E_clISt17integral_constantIbLb0EES1C_EEDaS17_S18_EUlS17_E_NS1_11comp_targetILNS1_3genE2ELNS1_11target_archE906ELNS1_3gpuE6ELNS1_3repE0EEENS1_30default_config_static_selectorELNS0_4arch9wavefront6targetE0EEEvT1_, .Lfunc_end165-_ZN7rocprim17ROCPRIM_400000_NS6detail17trampoline_kernelINS0_14default_configENS1_25partition_config_selectorILNS1_17partition_subalgoE8ElNS0_10empty_typeEbEEZZNS1_14partition_implILS5_8ELb0ES3_jPlPS6_PKS6_NS0_5tupleIJS9_S6_EEENSD_IJSA_SA_EEENS0_18inequality_wrapperIZN2at6native12_GLOBAL__N_124unique_dim_cuda_templateIhEESt5tupleIJNSH_6TensorESM_SM_EERKSM_lbbbEUlllE0_EEPmJS6_EEE10hipError_tPvRmT3_T4_T5_T6_T7_T9_mT8_P12ihipStream_tbDpT10_ENKUlT_T0_E_clISt17integral_constantIbLb0EES1C_EEDaS17_S18_EUlS17_E_NS1_11comp_targetILNS1_3genE2ELNS1_11target_archE906ELNS1_3gpuE6ELNS1_3repE0EEENS1_30default_config_static_selectorELNS0_4arch9wavefront6targetE0EEEvT1_
                                        ; -- End function
	.set _ZN7rocprim17ROCPRIM_400000_NS6detail17trampoline_kernelINS0_14default_configENS1_25partition_config_selectorILNS1_17partition_subalgoE8ElNS0_10empty_typeEbEEZZNS1_14partition_implILS5_8ELb0ES3_jPlPS6_PKS6_NS0_5tupleIJS9_S6_EEENSD_IJSA_SA_EEENS0_18inequality_wrapperIZN2at6native12_GLOBAL__N_124unique_dim_cuda_templateIhEESt5tupleIJNSH_6TensorESM_SM_EERKSM_lbbbEUlllE0_EEPmJS6_EEE10hipError_tPvRmT3_T4_T5_T6_T7_T9_mT8_P12ihipStream_tbDpT10_ENKUlT_T0_E_clISt17integral_constantIbLb0EES1C_EEDaS17_S18_EUlS17_E_NS1_11comp_targetILNS1_3genE2ELNS1_11target_archE906ELNS1_3gpuE6ELNS1_3repE0EEENS1_30default_config_static_selectorELNS0_4arch9wavefront6targetE0EEEvT1_.num_vgpr, 0
	.set _ZN7rocprim17ROCPRIM_400000_NS6detail17trampoline_kernelINS0_14default_configENS1_25partition_config_selectorILNS1_17partition_subalgoE8ElNS0_10empty_typeEbEEZZNS1_14partition_implILS5_8ELb0ES3_jPlPS6_PKS6_NS0_5tupleIJS9_S6_EEENSD_IJSA_SA_EEENS0_18inequality_wrapperIZN2at6native12_GLOBAL__N_124unique_dim_cuda_templateIhEESt5tupleIJNSH_6TensorESM_SM_EERKSM_lbbbEUlllE0_EEPmJS6_EEE10hipError_tPvRmT3_T4_T5_T6_T7_T9_mT8_P12ihipStream_tbDpT10_ENKUlT_T0_E_clISt17integral_constantIbLb0EES1C_EEDaS17_S18_EUlS17_E_NS1_11comp_targetILNS1_3genE2ELNS1_11target_archE906ELNS1_3gpuE6ELNS1_3repE0EEENS1_30default_config_static_selectorELNS0_4arch9wavefront6targetE0EEEvT1_.num_agpr, 0
	.set _ZN7rocprim17ROCPRIM_400000_NS6detail17trampoline_kernelINS0_14default_configENS1_25partition_config_selectorILNS1_17partition_subalgoE8ElNS0_10empty_typeEbEEZZNS1_14partition_implILS5_8ELb0ES3_jPlPS6_PKS6_NS0_5tupleIJS9_S6_EEENSD_IJSA_SA_EEENS0_18inequality_wrapperIZN2at6native12_GLOBAL__N_124unique_dim_cuda_templateIhEESt5tupleIJNSH_6TensorESM_SM_EERKSM_lbbbEUlllE0_EEPmJS6_EEE10hipError_tPvRmT3_T4_T5_T6_T7_T9_mT8_P12ihipStream_tbDpT10_ENKUlT_T0_E_clISt17integral_constantIbLb0EES1C_EEDaS17_S18_EUlS17_E_NS1_11comp_targetILNS1_3genE2ELNS1_11target_archE906ELNS1_3gpuE6ELNS1_3repE0EEENS1_30default_config_static_selectorELNS0_4arch9wavefront6targetE0EEEvT1_.numbered_sgpr, 0
	.set _ZN7rocprim17ROCPRIM_400000_NS6detail17trampoline_kernelINS0_14default_configENS1_25partition_config_selectorILNS1_17partition_subalgoE8ElNS0_10empty_typeEbEEZZNS1_14partition_implILS5_8ELb0ES3_jPlPS6_PKS6_NS0_5tupleIJS9_S6_EEENSD_IJSA_SA_EEENS0_18inequality_wrapperIZN2at6native12_GLOBAL__N_124unique_dim_cuda_templateIhEESt5tupleIJNSH_6TensorESM_SM_EERKSM_lbbbEUlllE0_EEPmJS6_EEE10hipError_tPvRmT3_T4_T5_T6_T7_T9_mT8_P12ihipStream_tbDpT10_ENKUlT_T0_E_clISt17integral_constantIbLb0EES1C_EEDaS17_S18_EUlS17_E_NS1_11comp_targetILNS1_3genE2ELNS1_11target_archE906ELNS1_3gpuE6ELNS1_3repE0EEENS1_30default_config_static_selectorELNS0_4arch9wavefront6targetE0EEEvT1_.num_named_barrier, 0
	.set _ZN7rocprim17ROCPRIM_400000_NS6detail17trampoline_kernelINS0_14default_configENS1_25partition_config_selectorILNS1_17partition_subalgoE8ElNS0_10empty_typeEbEEZZNS1_14partition_implILS5_8ELb0ES3_jPlPS6_PKS6_NS0_5tupleIJS9_S6_EEENSD_IJSA_SA_EEENS0_18inequality_wrapperIZN2at6native12_GLOBAL__N_124unique_dim_cuda_templateIhEESt5tupleIJNSH_6TensorESM_SM_EERKSM_lbbbEUlllE0_EEPmJS6_EEE10hipError_tPvRmT3_T4_T5_T6_T7_T9_mT8_P12ihipStream_tbDpT10_ENKUlT_T0_E_clISt17integral_constantIbLb0EES1C_EEDaS17_S18_EUlS17_E_NS1_11comp_targetILNS1_3genE2ELNS1_11target_archE906ELNS1_3gpuE6ELNS1_3repE0EEENS1_30default_config_static_selectorELNS0_4arch9wavefront6targetE0EEEvT1_.private_seg_size, 0
	.set _ZN7rocprim17ROCPRIM_400000_NS6detail17trampoline_kernelINS0_14default_configENS1_25partition_config_selectorILNS1_17partition_subalgoE8ElNS0_10empty_typeEbEEZZNS1_14partition_implILS5_8ELb0ES3_jPlPS6_PKS6_NS0_5tupleIJS9_S6_EEENSD_IJSA_SA_EEENS0_18inequality_wrapperIZN2at6native12_GLOBAL__N_124unique_dim_cuda_templateIhEESt5tupleIJNSH_6TensorESM_SM_EERKSM_lbbbEUlllE0_EEPmJS6_EEE10hipError_tPvRmT3_T4_T5_T6_T7_T9_mT8_P12ihipStream_tbDpT10_ENKUlT_T0_E_clISt17integral_constantIbLb0EES1C_EEDaS17_S18_EUlS17_E_NS1_11comp_targetILNS1_3genE2ELNS1_11target_archE906ELNS1_3gpuE6ELNS1_3repE0EEENS1_30default_config_static_selectorELNS0_4arch9wavefront6targetE0EEEvT1_.uses_vcc, 0
	.set _ZN7rocprim17ROCPRIM_400000_NS6detail17trampoline_kernelINS0_14default_configENS1_25partition_config_selectorILNS1_17partition_subalgoE8ElNS0_10empty_typeEbEEZZNS1_14partition_implILS5_8ELb0ES3_jPlPS6_PKS6_NS0_5tupleIJS9_S6_EEENSD_IJSA_SA_EEENS0_18inequality_wrapperIZN2at6native12_GLOBAL__N_124unique_dim_cuda_templateIhEESt5tupleIJNSH_6TensorESM_SM_EERKSM_lbbbEUlllE0_EEPmJS6_EEE10hipError_tPvRmT3_T4_T5_T6_T7_T9_mT8_P12ihipStream_tbDpT10_ENKUlT_T0_E_clISt17integral_constantIbLb0EES1C_EEDaS17_S18_EUlS17_E_NS1_11comp_targetILNS1_3genE2ELNS1_11target_archE906ELNS1_3gpuE6ELNS1_3repE0EEENS1_30default_config_static_selectorELNS0_4arch9wavefront6targetE0EEEvT1_.uses_flat_scratch, 0
	.set _ZN7rocprim17ROCPRIM_400000_NS6detail17trampoline_kernelINS0_14default_configENS1_25partition_config_selectorILNS1_17partition_subalgoE8ElNS0_10empty_typeEbEEZZNS1_14partition_implILS5_8ELb0ES3_jPlPS6_PKS6_NS0_5tupleIJS9_S6_EEENSD_IJSA_SA_EEENS0_18inequality_wrapperIZN2at6native12_GLOBAL__N_124unique_dim_cuda_templateIhEESt5tupleIJNSH_6TensorESM_SM_EERKSM_lbbbEUlllE0_EEPmJS6_EEE10hipError_tPvRmT3_T4_T5_T6_T7_T9_mT8_P12ihipStream_tbDpT10_ENKUlT_T0_E_clISt17integral_constantIbLb0EES1C_EEDaS17_S18_EUlS17_E_NS1_11comp_targetILNS1_3genE2ELNS1_11target_archE906ELNS1_3gpuE6ELNS1_3repE0EEENS1_30default_config_static_selectorELNS0_4arch9wavefront6targetE0EEEvT1_.has_dyn_sized_stack, 0
	.set _ZN7rocprim17ROCPRIM_400000_NS6detail17trampoline_kernelINS0_14default_configENS1_25partition_config_selectorILNS1_17partition_subalgoE8ElNS0_10empty_typeEbEEZZNS1_14partition_implILS5_8ELb0ES3_jPlPS6_PKS6_NS0_5tupleIJS9_S6_EEENSD_IJSA_SA_EEENS0_18inequality_wrapperIZN2at6native12_GLOBAL__N_124unique_dim_cuda_templateIhEESt5tupleIJNSH_6TensorESM_SM_EERKSM_lbbbEUlllE0_EEPmJS6_EEE10hipError_tPvRmT3_T4_T5_T6_T7_T9_mT8_P12ihipStream_tbDpT10_ENKUlT_T0_E_clISt17integral_constantIbLb0EES1C_EEDaS17_S18_EUlS17_E_NS1_11comp_targetILNS1_3genE2ELNS1_11target_archE906ELNS1_3gpuE6ELNS1_3repE0EEENS1_30default_config_static_selectorELNS0_4arch9wavefront6targetE0EEEvT1_.has_recursion, 0
	.set _ZN7rocprim17ROCPRIM_400000_NS6detail17trampoline_kernelINS0_14default_configENS1_25partition_config_selectorILNS1_17partition_subalgoE8ElNS0_10empty_typeEbEEZZNS1_14partition_implILS5_8ELb0ES3_jPlPS6_PKS6_NS0_5tupleIJS9_S6_EEENSD_IJSA_SA_EEENS0_18inequality_wrapperIZN2at6native12_GLOBAL__N_124unique_dim_cuda_templateIhEESt5tupleIJNSH_6TensorESM_SM_EERKSM_lbbbEUlllE0_EEPmJS6_EEE10hipError_tPvRmT3_T4_T5_T6_T7_T9_mT8_P12ihipStream_tbDpT10_ENKUlT_T0_E_clISt17integral_constantIbLb0EES1C_EEDaS17_S18_EUlS17_E_NS1_11comp_targetILNS1_3genE2ELNS1_11target_archE906ELNS1_3gpuE6ELNS1_3repE0EEENS1_30default_config_static_selectorELNS0_4arch9wavefront6targetE0EEEvT1_.has_indirect_call, 0
	.section	.AMDGPU.csdata,"",@progbits
; Kernel info:
; codeLenInByte = 0
; TotalNumSgprs: 0
; NumVgprs: 0
; ScratchSize: 0
; MemoryBound: 0
; FloatMode: 240
; IeeeMode: 1
; LDSByteSize: 0 bytes/workgroup (compile time only)
; SGPRBlocks: 0
; VGPRBlocks: 0
; NumSGPRsForWavesPerEU: 1
; NumVGPRsForWavesPerEU: 1
; NamedBarCnt: 0
; Occupancy: 16
; WaveLimiterHint : 0
; COMPUTE_PGM_RSRC2:SCRATCH_EN: 0
; COMPUTE_PGM_RSRC2:USER_SGPR: 2
; COMPUTE_PGM_RSRC2:TRAP_HANDLER: 0
; COMPUTE_PGM_RSRC2:TGID_X_EN: 1
; COMPUTE_PGM_RSRC2:TGID_Y_EN: 0
; COMPUTE_PGM_RSRC2:TGID_Z_EN: 0
; COMPUTE_PGM_RSRC2:TIDIG_COMP_CNT: 0
	.section	.text._ZN7rocprim17ROCPRIM_400000_NS6detail17trampoline_kernelINS0_14default_configENS1_25partition_config_selectorILNS1_17partition_subalgoE8ElNS0_10empty_typeEbEEZZNS1_14partition_implILS5_8ELb0ES3_jPlPS6_PKS6_NS0_5tupleIJS9_S6_EEENSD_IJSA_SA_EEENS0_18inequality_wrapperIZN2at6native12_GLOBAL__N_124unique_dim_cuda_templateIhEESt5tupleIJNSH_6TensorESM_SM_EERKSM_lbbbEUlllE0_EEPmJS6_EEE10hipError_tPvRmT3_T4_T5_T6_T7_T9_mT8_P12ihipStream_tbDpT10_ENKUlT_T0_E_clISt17integral_constantIbLb0EES1C_EEDaS17_S18_EUlS17_E_NS1_11comp_targetILNS1_3genE10ELNS1_11target_archE1200ELNS1_3gpuE4ELNS1_3repE0EEENS1_30default_config_static_selectorELNS0_4arch9wavefront6targetE0EEEvT1_,"axG",@progbits,_ZN7rocprim17ROCPRIM_400000_NS6detail17trampoline_kernelINS0_14default_configENS1_25partition_config_selectorILNS1_17partition_subalgoE8ElNS0_10empty_typeEbEEZZNS1_14partition_implILS5_8ELb0ES3_jPlPS6_PKS6_NS0_5tupleIJS9_S6_EEENSD_IJSA_SA_EEENS0_18inequality_wrapperIZN2at6native12_GLOBAL__N_124unique_dim_cuda_templateIhEESt5tupleIJNSH_6TensorESM_SM_EERKSM_lbbbEUlllE0_EEPmJS6_EEE10hipError_tPvRmT3_T4_T5_T6_T7_T9_mT8_P12ihipStream_tbDpT10_ENKUlT_T0_E_clISt17integral_constantIbLb0EES1C_EEDaS17_S18_EUlS17_E_NS1_11comp_targetILNS1_3genE10ELNS1_11target_archE1200ELNS1_3gpuE4ELNS1_3repE0EEENS1_30default_config_static_selectorELNS0_4arch9wavefront6targetE0EEEvT1_,comdat
	.globl	_ZN7rocprim17ROCPRIM_400000_NS6detail17trampoline_kernelINS0_14default_configENS1_25partition_config_selectorILNS1_17partition_subalgoE8ElNS0_10empty_typeEbEEZZNS1_14partition_implILS5_8ELb0ES3_jPlPS6_PKS6_NS0_5tupleIJS9_S6_EEENSD_IJSA_SA_EEENS0_18inequality_wrapperIZN2at6native12_GLOBAL__N_124unique_dim_cuda_templateIhEESt5tupleIJNSH_6TensorESM_SM_EERKSM_lbbbEUlllE0_EEPmJS6_EEE10hipError_tPvRmT3_T4_T5_T6_T7_T9_mT8_P12ihipStream_tbDpT10_ENKUlT_T0_E_clISt17integral_constantIbLb0EES1C_EEDaS17_S18_EUlS17_E_NS1_11comp_targetILNS1_3genE10ELNS1_11target_archE1200ELNS1_3gpuE4ELNS1_3repE0EEENS1_30default_config_static_selectorELNS0_4arch9wavefront6targetE0EEEvT1_ ; -- Begin function _ZN7rocprim17ROCPRIM_400000_NS6detail17trampoline_kernelINS0_14default_configENS1_25partition_config_selectorILNS1_17partition_subalgoE8ElNS0_10empty_typeEbEEZZNS1_14partition_implILS5_8ELb0ES3_jPlPS6_PKS6_NS0_5tupleIJS9_S6_EEENSD_IJSA_SA_EEENS0_18inequality_wrapperIZN2at6native12_GLOBAL__N_124unique_dim_cuda_templateIhEESt5tupleIJNSH_6TensorESM_SM_EERKSM_lbbbEUlllE0_EEPmJS6_EEE10hipError_tPvRmT3_T4_T5_T6_T7_T9_mT8_P12ihipStream_tbDpT10_ENKUlT_T0_E_clISt17integral_constantIbLb0EES1C_EEDaS17_S18_EUlS17_E_NS1_11comp_targetILNS1_3genE10ELNS1_11target_archE1200ELNS1_3gpuE4ELNS1_3repE0EEENS1_30default_config_static_selectorELNS0_4arch9wavefront6targetE0EEEvT1_
	.p2align	8
	.type	_ZN7rocprim17ROCPRIM_400000_NS6detail17trampoline_kernelINS0_14default_configENS1_25partition_config_selectorILNS1_17partition_subalgoE8ElNS0_10empty_typeEbEEZZNS1_14partition_implILS5_8ELb0ES3_jPlPS6_PKS6_NS0_5tupleIJS9_S6_EEENSD_IJSA_SA_EEENS0_18inequality_wrapperIZN2at6native12_GLOBAL__N_124unique_dim_cuda_templateIhEESt5tupleIJNSH_6TensorESM_SM_EERKSM_lbbbEUlllE0_EEPmJS6_EEE10hipError_tPvRmT3_T4_T5_T6_T7_T9_mT8_P12ihipStream_tbDpT10_ENKUlT_T0_E_clISt17integral_constantIbLb0EES1C_EEDaS17_S18_EUlS17_E_NS1_11comp_targetILNS1_3genE10ELNS1_11target_archE1200ELNS1_3gpuE4ELNS1_3repE0EEENS1_30default_config_static_selectorELNS0_4arch9wavefront6targetE0EEEvT1_,@function
_ZN7rocprim17ROCPRIM_400000_NS6detail17trampoline_kernelINS0_14default_configENS1_25partition_config_selectorILNS1_17partition_subalgoE8ElNS0_10empty_typeEbEEZZNS1_14partition_implILS5_8ELb0ES3_jPlPS6_PKS6_NS0_5tupleIJS9_S6_EEENSD_IJSA_SA_EEENS0_18inequality_wrapperIZN2at6native12_GLOBAL__N_124unique_dim_cuda_templateIhEESt5tupleIJNSH_6TensorESM_SM_EERKSM_lbbbEUlllE0_EEPmJS6_EEE10hipError_tPvRmT3_T4_T5_T6_T7_T9_mT8_P12ihipStream_tbDpT10_ENKUlT_T0_E_clISt17integral_constantIbLb0EES1C_EEDaS17_S18_EUlS17_E_NS1_11comp_targetILNS1_3genE10ELNS1_11target_archE1200ELNS1_3gpuE4ELNS1_3repE0EEENS1_30default_config_static_selectorELNS0_4arch9wavefront6targetE0EEEvT1_: ; @_ZN7rocprim17ROCPRIM_400000_NS6detail17trampoline_kernelINS0_14default_configENS1_25partition_config_selectorILNS1_17partition_subalgoE8ElNS0_10empty_typeEbEEZZNS1_14partition_implILS5_8ELb0ES3_jPlPS6_PKS6_NS0_5tupleIJS9_S6_EEENSD_IJSA_SA_EEENS0_18inequality_wrapperIZN2at6native12_GLOBAL__N_124unique_dim_cuda_templateIhEESt5tupleIJNSH_6TensorESM_SM_EERKSM_lbbbEUlllE0_EEPmJS6_EEE10hipError_tPvRmT3_T4_T5_T6_T7_T9_mT8_P12ihipStream_tbDpT10_ENKUlT_T0_E_clISt17integral_constantIbLb0EES1C_EEDaS17_S18_EUlS17_E_NS1_11comp_targetILNS1_3genE10ELNS1_11target_archE1200ELNS1_3gpuE4ELNS1_3repE0EEENS1_30default_config_static_selectorELNS0_4arch9wavefront6targetE0EEEvT1_
; %bb.0:
	.section	.rodata,"a",@progbits
	.p2align	6, 0x0
	.amdhsa_kernel _ZN7rocprim17ROCPRIM_400000_NS6detail17trampoline_kernelINS0_14default_configENS1_25partition_config_selectorILNS1_17partition_subalgoE8ElNS0_10empty_typeEbEEZZNS1_14partition_implILS5_8ELb0ES3_jPlPS6_PKS6_NS0_5tupleIJS9_S6_EEENSD_IJSA_SA_EEENS0_18inequality_wrapperIZN2at6native12_GLOBAL__N_124unique_dim_cuda_templateIhEESt5tupleIJNSH_6TensorESM_SM_EERKSM_lbbbEUlllE0_EEPmJS6_EEE10hipError_tPvRmT3_T4_T5_T6_T7_T9_mT8_P12ihipStream_tbDpT10_ENKUlT_T0_E_clISt17integral_constantIbLb0EES1C_EEDaS17_S18_EUlS17_E_NS1_11comp_targetILNS1_3genE10ELNS1_11target_archE1200ELNS1_3gpuE4ELNS1_3repE0EEENS1_30default_config_static_selectorELNS0_4arch9wavefront6targetE0EEEvT1_
		.amdhsa_group_segment_fixed_size 0
		.amdhsa_private_segment_fixed_size 0
		.amdhsa_kernarg_size 120
		.amdhsa_user_sgpr_count 2
		.amdhsa_user_sgpr_dispatch_ptr 0
		.amdhsa_user_sgpr_queue_ptr 0
		.amdhsa_user_sgpr_kernarg_segment_ptr 1
		.amdhsa_user_sgpr_dispatch_id 0
		.amdhsa_user_sgpr_kernarg_preload_length 0
		.amdhsa_user_sgpr_kernarg_preload_offset 0
		.amdhsa_user_sgpr_private_segment_size 0
		.amdhsa_wavefront_size32 1
		.amdhsa_uses_dynamic_stack 0
		.amdhsa_enable_private_segment 0
		.amdhsa_system_sgpr_workgroup_id_x 1
		.amdhsa_system_sgpr_workgroup_id_y 0
		.amdhsa_system_sgpr_workgroup_id_z 0
		.amdhsa_system_sgpr_workgroup_info 0
		.amdhsa_system_vgpr_workitem_id 0
		.amdhsa_next_free_vgpr 1
		.amdhsa_next_free_sgpr 1
		.amdhsa_named_barrier_count 0
		.amdhsa_reserve_vcc 0
		.amdhsa_float_round_mode_32 0
		.amdhsa_float_round_mode_16_64 0
		.amdhsa_float_denorm_mode_32 3
		.amdhsa_float_denorm_mode_16_64 3
		.amdhsa_fp16_overflow 0
		.amdhsa_memory_ordered 1
		.amdhsa_forward_progress 1
		.amdhsa_inst_pref_size 0
		.amdhsa_round_robin_scheduling 0
		.amdhsa_exception_fp_ieee_invalid_op 0
		.amdhsa_exception_fp_denorm_src 0
		.amdhsa_exception_fp_ieee_div_zero 0
		.amdhsa_exception_fp_ieee_overflow 0
		.amdhsa_exception_fp_ieee_underflow 0
		.amdhsa_exception_fp_ieee_inexact 0
		.amdhsa_exception_int_div_zero 0
	.end_amdhsa_kernel
	.section	.text._ZN7rocprim17ROCPRIM_400000_NS6detail17trampoline_kernelINS0_14default_configENS1_25partition_config_selectorILNS1_17partition_subalgoE8ElNS0_10empty_typeEbEEZZNS1_14partition_implILS5_8ELb0ES3_jPlPS6_PKS6_NS0_5tupleIJS9_S6_EEENSD_IJSA_SA_EEENS0_18inequality_wrapperIZN2at6native12_GLOBAL__N_124unique_dim_cuda_templateIhEESt5tupleIJNSH_6TensorESM_SM_EERKSM_lbbbEUlllE0_EEPmJS6_EEE10hipError_tPvRmT3_T4_T5_T6_T7_T9_mT8_P12ihipStream_tbDpT10_ENKUlT_T0_E_clISt17integral_constantIbLb0EES1C_EEDaS17_S18_EUlS17_E_NS1_11comp_targetILNS1_3genE10ELNS1_11target_archE1200ELNS1_3gpuE4ELNS1_3repE0EEENS1_30default_config_static_selectorELNS0_4arch9wavefront6targetE0EEEvT1_,"axG",@progbits,_ZN7rocprim17ROCPRIM_400000_NS6detail17trampoline_kernelINS0_14default_configENS1_25partition_config_selectorILNS1_17partition_subalgoE8ElNS0_10empty_typeEbEEZZNS1_14partition_implILS5_8ELb0ES3_jPlPS6_PKS6_NS0_5tupleIJS9_S6_EEENSD_IJSA_SA_EEENS0_18inequality_wrapperIZN2at6native12_GLOBAL__N_124unique_dim_cuda_templateIhEESt5tupleIJNSH_6TensorESM_SM_EERKSM_lbbbEUlllE0_EEPmJS6_EEE10hipError_tPvRmT3_T4_T5_T6_T7_T9_mT8_P12ihipStream_tbDpT10_ENKUlT_T0_E_clISt17integral_constantIbLb0EES1C_EEDaS17_S18_EUlS17_E_NS1_11comp_targetILNS1_3genE10ELNS1_11target_archE1200ELNS1_3gpuE4ELNS1_3repE0EEENS1_30default_config_static_selectorELNS0_4arch9wavefront6targetE0EEEvT1_,comdat
.Lfunc_end166:
	.size	_ZN7rocprim17ROCPRIM_400000_NS6detail17trampoline_kernelINS0_14default_configENS1_25partition_config_selectorILNS1_17partition_subalgoE8ElNS0_10empty_typeEbEEZZNS1_14partition_implILS5_8ELb0ES3_jPlPS6_PKS6_NS0_5tupleIJS9_S6_EEENSD_IJSA_SA_EEENS0_18inequality_wrapperIZN2at6native12_GLOBAL__N_124unique_dim_cuda_templateIhEESt5tupleIJNSH_6TensorESM_SM_EERKSM_lbbbEUlllE0_EEPmJS6_EEE10hipError_tPvRmT3_T4_T5_T6_T7_T9_mT8_P12ihipStream_tbDpT10_ENKUlT_T0_E_clISt17integral_constantIbLb0EES1C_EEDaS17_S18_EUlS17_E_NS1_11comp_targetILNS1_3genE10ELNS1_11target_archE1200ELNS1_3gpuE4ELNS1_3repE0EEENS1_30default_config_static_selectorELNS0_4arch9wavefront6targetE0EEEvT1_, .Lfunc_end166-_ZN7rocprim17ROCPRIM_400000_NS6detail17trampoline_kernelINS0_14default_configENS1_25partition_config_selectorILNS1_17partition_subalgoE8ElNS0_10empty_typeEbEEZZNS1_14partition_implILS5_8ELb0ES3_jPlPS6_PKS6_NS0_5tupleIJS9_S6_EEENSD_IJSA_SA_EEENS0_18inequality_wrapperIZN2at6native12_GLOBAL__N_124unique_dim_cuda_templateIhEESt5tupleIJNSH_6TensorESM_SM_EERKSM_lbbbEUlllE0_EEPmJS6_EEE10hipError_tPvRmT3_T4_T5_T6_T7_T9_mT8_P12ihipStream_tbDpT10_ENKUlT_T0_E_clISt17integral_constantIbLb0EES1C_EEDaS17_S18_EUlS17_E_NS1_11comp_targetILNS1_3genE10ELNS1_11target_archE1200ELNS1_3gpuE4ELNS1_3repE0EEENS1_30default_config_static_selectorELNS0_4arch9wavefront6targetE0EEEvT1_
                                        ; -- End function
	.set _ZN7rocprim17ROCPRIM_400000_NS6detail17trampoline_kernelINS0_14default_configENS1_25partition_config_selectorILNS1_17partition_subalgoE8ElNS0_10empty_typeEbEEZZNS1_14partition_implILS5_8ELb0ES3_jPlPS6_PKS6_NS0_5tupleIJS9_S6_EEENSD_IJSA_SA_EEENS0_18inequality_wrapperIZN2at6native12_GLOBAL__N_124unique_dim_cuda_templateIhEESt5tupleIJNSH_6TensorESM_SM_EERKSM_lbbbEUlllE0_EEPmJS6_EEE10hipError_tPvRmT3_T4_T5_T6_T7_T9_mT8_P12ihipStream_tbDpT10_ENKUlT_T0_E_clISt17integral_constantIbLb0EES1C_EEDaS17_S18_EUlS17_E_NS1_11comp_targetILNS1_3genE10ELNS1_11target_archE1200ELNS1_3gpuE4ELNS1_3repE0EEENS1_30default_config_static_selectorELNS0_4arch9wavefront6targetE0EEEvT1_.num_vgpr, 0
	.set _ZN7rocprim17ROCPRIM_400000_NS6detail17trampoline_kernelINS0_14default_configENS1_25partition_config_selectorILNS1_17partition_subalgoE8ElNS0_10empty_typeEbEEZZNS1_14partition_implILS5_8ELb0ES3_jPlPS6_PKS6_NS0_5tupleIJS9_S6_EEENSD_IJSA_SA_EEENS0_18inequality_wrapperIZN2at6native12_GLOBAL__N_124unique_dim_cuda_templateIhEESt5tupleIJNSH_6TensorESM_SM_EERKSM_lbbbEUlllE0_EEPmJS6_EEE10hipError_tPvRmT3_T4_T5_T6_T7_T9_mT8_P12ihipStream_tbDpT10_ENKUlT_T0_E_clISt17integral_constantIbLb0EES1C_EEDaS17_S18_EUlS17_E_NS1_11comp_targetILNS1_3genE10ELNS1_11target_archE1200ELNS1_3gpuE4ELNS1_3repE0EEENS1_30default_config_static_selectorELNS0_4arch9wavefront6targetE0EEEvT1_.num_agpr, 0
	.set _ZN7rocprim17ROCPRIM_400000_NS6detail17trampoline_kernelINS0_14default_configENS1_25partition_config_selectorILNS1_17partition_subalgoE8ElNS0_10empty_typeEbEEZZNS1_14partition_implILS5_8ELb0ES3_jPlPS6_PKS6_NS0_5tupleIJS9_S6_EEENSD_IJSA_SA_EEENS0_18inequality_wrapperIZN2at6native12_GLOBAL__N_124unique_dim_cuda_templateIhEESt5tupleIJNSH_6TensorESM_SM_EERKSM_lbbbEUlllE0_EEPmJS6_EEE10hipError_tPvRmT3_T4_T5_T6_T7_T9_mT8_P12ihipStream_tbDpT10_ENKUlT_T0_E_clISt17integral_constantIbLb0EES1C_EEDaS17_S18_EUlS17_E_NS1_11comp_targetILNS1_3genE10ELNS1_11target_archE1200ELNS1_3gpuE4ELNS1_3repE0EEENS1_30default_config_static_selectorELNS0_4arch9wavefront6targetE0EEEvT1_.numbered_sgpr, 0
	.set _ZN7rocprim17ROCPRIM_400000_NS6detail17trampoline_kernelINS0_14default_configENS1_25partition_config_selectorILNS1_17partition_subalgoE8ElNS0_10empty_typeEbEEZZNS1_14partition_implILS5_8ELb0ES3_jPlPS6_PKS6_NS0_5tupleIJS9_S6_EEENSD_IJSA_SA_EEENS0_18inequality_wrapperIZN2at6native12_GLOBAL__N_124unique_dim_cuda_templateIhEESt5tupleIJNSH_6TensorESM_SM_EERKSM_lbbbEUlllE0_EEPmJS6_EEE10hipError_tPvRmT3_T4_T5_T6_T7_T9_mT8_P12ihipStream_tbDpT10_ENKUlT_T0_E_clISt17integral_constantIbLb0EES1C_EEDaS17_S18_EUlS17_E_NS1_11comp_targetILNS1_3genE10ELNS1_11target_archE1200ELNS1_3gpuE4ELNS1_3repE0EEENS1_30default_config_static_selectorELNS0_4arch9wavefront6targetE0EEEvT1_.num_named_barrier, 0
	.set _ZN7rocprim17ROCPRIM_400000_NS6detail17trampoline_kernelINS0_14default_configENS1_25partition_config_selectorILNS1_17partition_subalgoE8ElNS0_10empty_typeEbEEZZNS1_14partition_implILS5_8ELb0ES3_jPlPS6_PKS6_NS0_5tupleIJS9_S6_EEENSD_IJSA_SA_EEENS0_18inequality_wrapperIZN2at6native12_GLOBAL__N_124unique_dim_cuda_templateIhEESt5tupleIJNSH_6TensorESM_SM_EERKSM_lbbbEUlllE0_EEPmJS6_EEE10hipError_tPvRmT3_T4_T5_T6_T7_T9_mT8_P12ihipStream_tbDpT10_ENKUlT_T0_E_clISt17integral_constantIbLb0EES1C_EEDaS17_S18_EUlS17_E_NS1_11comp_targetILNS1_3genE10ELNS1_11target_archE1200ELNS1_3gpuE4ELNS1_3repE0EEENS1_30default_config_static_selectorELNS0_4arch9wavefront6targetE0EEEvT1_.private_seg_size, 0
	.set _ZN7rocprim17ROCPRIM_400000_NS6detail17trampoline_kernelINS0_14default_configENS1_25partition_config_selectorILNS1_17partition_subalgoE8ElNS0_10empty_typeEbEEZZNS1_14partition_implILS5_8ELb0ES3_jPlPS6_PKS6_NS0_5tupleIJS9_S6_EEENSD_IJSA_SA_EEENS0_18inequality_wrapperIZN2at6native12_GLOBAL__N_124unique_dim_cuda_templateIhEESt5tupleIJNSH_6TensorESM_SM_EERKSM_lbbbEUlllE0_EEPmJS6_EEE10hipError_tPvRmT3_T4_T5_T6_T7_T9_mT8_P12ihipStream_tbDpT10_ENKUlT_T0_E_clISt17integral_constantIbLb0EES1C_EEDaS17_S18_EUlS17_E_NS1_11comp_targetILNS1_3genE10ELNS1_11target_archE1200ELNS1_3gpuE4ELNS1_3repE0EEENS1_30default_config_static_selectorELNS0_4arch9wavefront6targetE0EEEvT1_.uses_vcc, 0
	.set _ZN7rocprim17ROCPRIM_400000_NS6detail17trampoline_kernelINS0_14default_configENS1_25partition_config_selectorILNS1_17partition_subalgoE8ElNS0_10empty_typeEbEEZZNS1_14partition_implILS5_8ELb0ES3_jPlPS6_PKS6_NS0_5tupleIJS9_S6_EEENSD_IJSA_SA_EEENS0_18inequality_wrapperIZN2at6native12_GLOBAL__N_124unique_dim_cuda_templateIhEESt5tupleIJNSH_6TensorESM_SM_EERKSM_lbbbEUlllE0_EEPmJS6_EEE10hipError_tPvRmT3_T4_T5_T6_T7_T9_mT8_P12ihipStream_tbDpT10_ENKUlT_T0_E_clISt17integral_constantIbLb0EES1C_EEDaS17_S18_EUlS17_E_NS1_11comp_targetILNS1_3genE10ELNS1_11target_archE1200ELNS1_3gpuE4ELNS1_3repE0EEENS1_30default_config_static_selectorELNS0_4arch9wavefront6targetE0EEEvT1_.uses_flat_scratch, 0
	.set _ZN7rocprim17ROCPRIM_400000_NS6detail17trampoline_kernelINS0_14default_configENS1_25partition_config_selectorILNS1_17partition_subalgoE8ElNS0_10empty_typeEbEEZZNS1_14partition_implILS5_8ELb0ES3_jPlPS6_PKS6_NS0_5tupleIJS9_S6_EEENSD_IJSA_SA_EEENS0_18inequality_wrapperIZN2at6native12_GLOBAL__N_124unique_dim_cuda_templateIhEESt5tupleIJNSH_6TensorESM_SM_EERKSM_lbbbEUlllE0_EEPmJS6_EEE10hipError_tPvRmT3_T4_T5_T6_T7_T9_mT8_P12ihipStream_tbDpT10_ENKUlT_T0_E_clISt17integral_constantIbLb0EES1C_EEDaS17_S18_EUlS17_E_NS1_11comp_targetILNS1_3genE10ELNS1_11target_archE1200ELNS1_3gpuE4ELNS1_3repE0EEENS1_30default_config_static_selectorELNS0_4arch9wavefront6targetE0EEEvT1_.has_dyn_sized_stack, 0
	.set _ZN7rocprim17ROCPRIM_400000_NS6detail17trampoline_kernelINS0_14default_configENS1_25partition_config_selectorILNS1_17partition_subalgoE8ElNS0_10empty_typeEbEEZZNS1_14partition_implILS5_8ELb0ES3_jPlPS6_PKS6_NS0_5tupleIJS9_S6_EEENSD_IJSA_SA_EEENS0_18inequality_wrapperIZN2at6native12_GLOBAL__N_124unique_dim_cuda_templateIhEESt5tupleIJNSH_6TensorESM_SM_EERKSM_lbbbEUlllE0_EEPmJS6_EEE10hipError_tPvRmT3_T4_T5_T6_T7_T9_mT8_P12ihipStream_tbDpT10_ENKUlT_T0_E_clISt17integral_constantIbLb0EES1C_EEDaS17_S18_EUlS17_E_NS1_11comp_targetILNS1_3genE10ELNS1_11target_archE1200ELNS1_3gpuE4ELNS1_3repE0EEENS1_30default_config_static_selectorELNS0_4arch9wavefront6targetE0EEEvT1_.has_recursion, 0
	.set _ZN7rocprim17ROCPRIM_400000_NS6detail17trampoline_kernelINS0_14default_configENS1_25partition_config_selectorILNS1_17partition_subalgoE8ElNS0_10empty_typeEbEEZZNS1_14partition_implILS5_8ELb0ES3_jPlPS6_PKS6_NS0_5tupleIJS9_S6_EEENSD_IJSA_SA_EEENS0_18inequality_wrapperIZN2at6native12_GLOBAL__N_124unique_dim_cuda_templateIhEESt5tupleIJNSH_6TensorESM_SM_EERKSM_lbbbEUlllE0_EEPmJS6_EEE10hipError_tPvRmT3_T4_T5_T6_T7_T9_mT8_P12ihipStream_tbDpT10_ENKUlT_T0_E_clISt17integral_constantIbLb0EES1C_EEDaS17_S18_EUlS17_E_NS1_11comp_targetILNS1_3genE10ELNS1_11target_archE1200ELNS1_3gpuE4ELNS1_3repE0EEENS1_30default_config_static_selectorELNS0_4arch9wavefront6targetE0EEEvT1_.has_indirect_call, 0
	.section	.AMDGPU.csdata,"",@progbits
; Kernel info:
; codeLenInByte = 0
; TotalNumSgprs: 0
; NumVgprs: 0
; ScratchSize: 0
; MemoryBound: 0
; FloatMode: 240
; IeeeMode: 1
; LDSByteSize: 0 bytes/workgroup (compile time only)
; SGPRBlocks: 0
; VGPRBlocks: 0
; NumSGPRsForWavesPerEU: 1
; NumVGPRsForWavesPerEU: 1
; NamedBarCnt: 0
; Occupancy: 16
; WaveLimiterHint : 0
; COMPUTE_PGM_RSRC2:SCRATCH_EN: 0
; COMPUTE_PGM_RSRC2:USER_SGPR: 2
; COMPUTE_PGM_RSRC2:TRAP_HANDLER: 0
; COMPUTE_PGM_RSRC2:TGID_X_EN: 1
; COMPUTE_PGM_RSRC2:TGID_Y_EN: 0
; COMPUTE_PGM_RSRC2:TGID_Z_EN: 0
; COMPUTE_PGM_RSRC2:TIDIG_COMP_CNT: 0
	.section	.text._ZN7rocprim17ROCPRIM_400000_NS6detail17trampoline_kernelINS0_14default_configENS1_25partition_config_selectorILNS1_17partition_subalgoE8ElNS0_10empty_typeEbEEZZNS1_14partition_implILS5_8ELb0ES3_jPlPS6_PKS6_NS0_5tupleIJS9_S6_EEENSD_IJSA_SA_EEENS0_18inequality_wrapperIZN2at6native12_GLOBAL__N_124unique_dim_cuda_templateIhEESt5tupleIJNSH_6TensorESM_SM_EERKSM_lbbbEUlllE0_EEPmJS6_EEE10hipError_tPvRmT3_T4_T5_T6_T7_T9_mT8_P12ihipStream_tbDpT10_ENKUlT_T0_E_clISt17integral_constantIbLb0EES1C_EEDaS17_S18_EUlS17_E_NS1_11comp_targetILNS1_3genE9ELNS1_11target_archE1100ELNS1_3gpuE3ELNS1_3repE0EEENS1_30default_config_static_selectorELNS0_4arch9wavefront6targetE0EEEvT1_,"axG",@progbits,_ZN7rocprim17ROCPRIM_400000_NS6detail17trampoline_kernelINS0_14default_configENS1_25partition_config_selectorILNS1_17partition_subalgoE8ElNS0_10empty_typeEbEEZZNS1_14partition_implILS5_8ELb0ES3_jPlPS6_PKS6_NS0_5tupleIJS9_S6_EEENSD_IJSA_SA_EEENS0_18inequality_wrapperIZN2at6native12_GLOBAL__N_124unique_dim_cuda_templateIhEESt5tupleIJNSH_6TensorESM_SM_EERKSM_lbbbEUlllE0_EEPmJS6_EEE10hipError_tPvRmT3_T4_T5_T6_T7_T9_mT8_P12ihipStream_tbDpT10_ENKUlT_T0_E_clISt17integral_constantIbLb0EES1C_EEDaS17_S18_EUlS17_E_NS1_11comp_targetILNS1_3genE9ELNS1_11target_archE1100ELNS1_3gpuE3ELNS1_3repE0EEENS1_30default_config_static_selectorELNS0_4arch9wavefront6targetE0EEEvT1_,comdat
	.globl	_ZN7rocprim17ROCPRIM_400000_NS6detail17trampoline_kernelINS0_14default_configENS1_25partition_config_selectorILNS1_17partition_subalgoE8ElNS0_10empty_typeEbEEZZNS1_14partition_implILS5_8ELb0ES3_jPlPS6_PKS6_NS0_5tupleIJS9_S6_EEENSD_IJSA_SA_EEENS0_18inequality_wrapperIZN2at6native12_GLOBAL__N_124unique_dim_cuda_templateIhEESt5tupleIJNSH_6TensorESM_SM_EERKSM_lbbbEUlllE0_EEPmJS6_EEE10hipError_tPvRmT3_T4_T5_T6_T7_T9_mT8_P12ihipStream_tbDpT10_ENKUlT_T0_E_clISt17integral_constantIbLb0EES1C_EEDaS17_S18_EUlS17_E_NS1_11comp_targetILNS1_3genE9ELNS1_11target_archE1100ELNS1_3gpuE3ELNS1_3repE0EEENS1_30default_config_static_selectorELNS0_4arch9wavefront6targetE0EEEvT1_ ; -- Begin function _ZN7rocprim17ROCPRIM_400000_NS6detail17trampoline_kernelINS0_14default_configENS1_25partition_config_selectorILNS1_17partition_subalgoE8ElNS0_10empty_typeEbEEZZNS1_14partition_implILS5_8ELb0ES3_jPlPS6_PKS6_NS0_5tupleIJS9_S6_EEENSD_IJSA_SA_EEENS0_18inequality_wrapperIZN2at6native12_GLOBAL__N_124unique_dim_cuda_templateIhEESt5tupleIJNSH_6TensorESM_SM_EERKSM_lbbbEUlllE0_EEPmJS6_EEE10hipError_tPvRmT3_T4_T5_T6_T7_T9_mT8_P12ihipStream_tbDpT10_ENKUlT_T0_E_clISt17integral_constantIbLb0EES1C_EEDaS17_S18_EUlS17_E_NS1_11comp_targetILNS1_3genE9ELNS1_11target_archE1100ELNS1_3gpuE3ELNS1_3repE0EEENS1_30default_config_static_selectorELNS0_4arch9wavefront6targetE0EEEvT1_
	.p2align	8
	.type	_ZN7rocprim17ROCPRIM_400000_NS6detail17trampoline_kernelINS0_14default_configENS1_25partition_config_selectorILNS1_17partition_subalgoE8ElNS0_10empty_typeEbEEZZNS1_14partition_implILS5_8ELb0ES3_jPlPS6_PKS6_NS0_5tupleIJS9_S6_EEENSD_IJSA_SA_EEENS0_18inequality_wrapperIZN2at6native12_GLOBAL__N_124unique_dim_cuda_templateIhEESt5tupleIJNSH_6TensorESM_SM_EERKSM_lbbbEUlllE0_EEPmJS6_EEE10hipError_tPvRmT3_T4_T5_T6_T7_T9_mT8_P12ihipStream_tbDpT10_ENKUlT_T0_E_clISt17integral_constantIbLb0EES1C_EEDaS17_S18_EUlS17_E_NS1_11comp_targetILNS1_3genE9ELNS1_11target_archE1100ELNS1_3gpuE3ELNS1_3repE0EEENS1_30default_config_static_selectorELNS0_4arch9wavefront6targetE0EEEvT1_,@function
_ZN7rocprim17ROCPRIM_400000_NS6detail17trampoline_kernelINS0_14default_configENS1_25partition_config_selectorILNS1_17partition_subalgoE8ElNS0_10empty_typeEbEEZZNS1_14partition_implILS5_8ELb0ES3_jPlPS6_PKS6_NS0_5tupleIJS9_S6_EEENSD_IJSA_SA_EEENS0_18inequality_wrapperIZN2at6native12_GLOBAL__N_124unique_dim_cuda_templateIhEESt5tupleIJNSH_6TensorESM_SM_EERKSM_lbbbEUlllE0_EEPmJS6_EEE10hipError_tPvRmT3_T4_T5_T6_T7_T9_mT8_P12ihipStream_tbDpT10_ENKUlT_T0_E_clISt17integral_constantIbLb0EES1C_EEDaS17_S18_EUlS17_E_NS1_11comp_targetILNS1_3genE9ELNS1_11target_archE1100ELNS1_3gpuE3ELNS1_3repE0EEENS1_30default_config_static_selectorELNS0_4arch9wavefront6targetE0EEEvT1_: ; @_ZN7rocprim17ROCPRIM_400000_NS6detail17trampoline_kernelINS0_14default_configENS1_25partition_config_selectorILNS1_17partition_subalgoE8ElNS0_10empty_typeEbEEZZNS1_14partition_implILS5_8ELb0ES3_jPlPS6_PKS6_NS0_5tupleIJS9_S6_EEENSD_IJSA_SA_EEENS0_18inequality_wrapperIZN2at6native12_GLOBAL__N_124unique_dim_cuda_templateIhEESt5tupleIJNSH_6TensorESM_SM_EERKSM_lbbbEUlllE0_EEPmJS6_EEE10hipError_tPvRmT3_T4_T5_T6_T7_T9_mT8_P12ihipStream_tbDpT10_ENKUlT_T0_E_clISt17integral_constantIbLb0EES1C_EEDaS17_S18_EUlS17_E_NS1_11comp_targetILNS1_3genE9ELNS1_11target_archE1100ELNS1_3gpuE3ELNS1_3repE0EEENS1_30default_config_static_selectorELNS0_4arch9wavefront6targetE0EEEvT1_
; %bb.0:
	.section	.rodata,"a",@progbits
	.p2align	6, 0x0
	.amdhsa_kernel _ZN7rocprim17ROCPRIM_400000_NS6detail17trampoline_kernelINS0_14default_configENS1_25partition_config_selectorILNS1_17partition_subalgoE8ElNS0_10empty_typeEbEEZZNS1_14partition_implILS5_8ELb0ES3_jPlPS6_PKS6_NS0_5tupleIJS9_S6_EEENSD_IJSA_SA_EEENS0_18inequality_wrapperIZN2at6native12_GLOBAL__N_124unique_dim_cuda_templateIhEESt5tupleIJNSH_6TensorESM_SM_EERKSM_lbbbEUlllE0_EEPmJS6_EEE10hipError_tPvRmT3_T4_T5_T6_T7_T9_mT8_P12ihipStream_tbDpT10_ENKUlT_T0_E_clISt17integral_constantIbLb0EES1C_EEDaS17_S18_EUlS17_E_NS1_11comp_targetILNS1_3genE9ELNS1_11target_archE1100ELNS1_3gpuE3ELNS1_3repE0EEENS1_30default_config_static_selectorELNS0_4arch9wavefront6targetE0EEEvT1_
		.amdhsa_group_segment_fixed_size 0
		.amdhsa_private_segment_fixed_size 0
		.amdhsa_kernarg_size 120
		.amdhsa_user_sgpr_count 2
		.amdhsa_user_sgpr_dispatch_ptr 0
		.amdhsa_user_sgpr_queue_ptr 0
		.amdhsa_user_sgpr_kernarg_segment_ptr 1
		.amdhsa_user_sgpr_dispatch_id 0
		.amdhsa_user_sgpr_kernarg_preload_length 0
		.amdhsa_user_sgpr_kernarg_preload_offset 0
		.amdhsa_user_sgpr_private_segment_size 0
		.amdhsa_wavefront_size32 1
		.amdhsa_uses_dynamic_stack 0
		.amdhsa_enable_private_segment 0
		.amdhsa_system_sgpr_workgroup_id_x 1
		.amdhsa_system_sgpr_workgroup_id_y 0
		.amdhsa_system_sgpr_workgroup_id_z 0
		.amdhsa_system_sgpr_workgroup_info 0
		.amdhsa_system_vgpr_workitem_id 0
		.amdhsa_next_free_vgpr 1
		.amdhsa_next_free_sgpr 1
		.amdhsa_named_barrier_count 0
		.amdhsa_reserve_vcc 0
		.amdhsa_float_round_mode_32 0
		.amdhsa_float_round_mode_16_64 0
		.amdhsa_float_denorm_mode_32 3
		.amdhsa_float_denorm_mode_16_64 3
		.amdhsa_fp16_overflow 0
		.amdhsa_memory_ordered 1
		.amdhsa_forward_progress 1
		.amdhsa_inst_pref_size 0
		.amdhsa_round_robin_scheduling 0
		.amdhsa_exception_fp_ieee_invalid_op 0
		.amdhsa_exception_fp_denorm_src 0
		.amdhsa_exception_fp_ieee_div_zero 0
		.amdhsa_exception_fp_ieee_overflow 0
		.amdhsa_exception_fp_ieee_underflow 0
		.amdhsa_exception_fp_ieee_inexact 0
		.amdhsa_exception_int_div_zero 0
	.end_amdhsa_kernel
	.section	.text._ZN7rocprim17ROCPRIM_400000_NS6detail17trampoline_kernelINS0_14default_configENS1_25partition_config_selectorILNS1_17partition_subalgoE8ElNS0_10empty_typeEbEEZZNS1_14partition_implILS5_8ELb0ES3_jPlPS6_PKS6_NS0_5tupleIJS9_S6_EEENSD_IJSA_SA_EEENS0_18inequality_wrapperIZN2at6native12_GLOBAL__N_124unique_dim_cuda_templateIhEESt5tupleIJNSH_6TensorESM_SM_EERKSM_lbbbEUlllE0_EEPmJS6_EEE10hipError_tPvRmT3_T4_T5_T6_T7_T9_mT8_P12ihipStream_tbDpT10_ENKUlT_T0_E_clISt17integral_constantIbLb0EES1C_EEDaS17_S18_EUlS17_E_NS1_11comp_targetILNS1_3genE9ELNS1_11target_archE1100ELNS1_3gpuE3ELNS1_3repE0EEENS1_30default_config_static_selectorELNS0_4arch9wavefront6targetE0EEEvT1_,"axG",@progbits,_ZN7rocprim17ROCPRIM_400000_NS6detail17trampoline_kernelINS0_14default_configENS1_25partition_config_selectorILNS1_17partition_subalgoE8ElNS0_10empty_typeEbEEZZNS1_14partition_implILS5_8ELb0ES3_jPlPS6_PKS6_NS0_5tupleIJS9_S6_EEENSD_IJSA_SA_EEENS0_18inequality_wrapperIZN2at6native12_GLOBAL__N_124unique_dim_cuda_templateIhEESt5tupleIJNSH_6TensorESM_SM_EERKSM_lbbbEUlllE0_EEPmJS6_EEE10hipError_tPvRmT3_T4_T5_T6_T7_T9_mT8_P12ihipStream_tbDpT10_ENKUlT_T0_E_clISt17integral_constantIbLb0EES1C_EEDaS17_S18_EUlS17_E_NS1_11comp_targetILNS1_3genE9ELNS1_11target_archE1100ELNS1_3gpuE3ELNS1_3repE0EEENS1_30default_config_static_selectorELNS0_4arch9wavefront6targetE0EEEvT1_,comdat
.Lfunc_end167:
	.size	_ZN7rocprim17ROCPRIM_400000_NS6detail17trampoline_kernelINS0_14default_configENS1_25partition_config_selectorILNS1_17partition_subalgoE8ElNS0_10empty_typeEbEEZZNS1_14partition_implILS5_8ELb0ES3_jPlPS6_PKS6_NS0_5tupleIJS9_S6_EEENSD_IJSA_SA_EEENS0_18inequality_wrapperIZN2at6native12_GLOBAL__N_124unique_dim_cuda_templateIhEESt5tupleIJNSH_6TensorESM_SM_EERKSM_lbbbEUlllE0_EEPmJS6_EEE10hipError_tPvRmT3_T4_T5_T6_T7_T9_mT8_P12ihipStream_tbDpT10_ENKUlT_T0_E_clISt17integral_constantIbLb0EES1C_EEDaS17_S18_EUlS17_E_NS1_11comp_targetILNS1_3genE9ELNS1_11target_archE1100ELNS1_3gpuE3ELNS1_3repE0EEENS1_30default_config_static_selectorELNS0_4arch9wavefront6targetE0EEEvT1_, .Lfunc_end167-_ZN7rocprim17ROCPRIM_400000_NS6detail17trampoline_kernelINS0_14default_configENS1_25partition_config_selectorILNS1_17partition_subalgoE8ElNS0_10empty_typeEbEEZZNS1_14partition_implILS5_8ELb0ES3_jPlPS6_PKS6_NS0_5tupleIJS9_S6_EEENSD_IJSA_SA_EEENS0_18inequality_wrapperIZN2at6native12_GLOBAL__N_124unique_dim_cuda_templateIhEESt5tupleIJNSH_6TensorESM_SM_EERKSM_lbbbEUlllE0_EEPmJS6_EEE10hipError_tPvRmT3_T4_T5_T6_T7_T9_mT8_P12ihipStream_tbDpT10_ENKUlT_T0_E_clISt17integral_constantIbLb0EES1C_EEDaS17_S18_EUlS17_E_NS1_11comp_targetILNS1_3genE9ELNS1_11target_archE1100ELNS1_3gpuE3ELNS1_3repE0EEENS1_30default_config_static_selectorELNS0_4arch9wavefront6targetE0EEEvT1_
                                        ; -- End function
	.set _ZN7rocprim17ROCPRIM_400000_NS6detail17trampoline_kernelINS0_14default_configENS1_25partition_config_selectorILNS1_17partition_subalgoE8ElNS0_10empty_typeEbEEZZNS1_14partition_implILS5_8ELb0ES3_jPlPS6_PKS6_NS0_5tupleIJS9_S6_EEENSD_IJSA_SA_EEENS0_18inequality_wrapperIZN2at6native12_GLOBAL__N_124unique_dim_cuda_templateIhEESt5tupleIJNSH_6TensorESM_SM_EERKSM_lbbbEUlllE0_EEPmJS6_EEE10hipError_tPvRmT3_T4_T5_T6_T7_T9_mT8_P12ihipStream_tbDpT10_ENKUlT_T0_E_clISt17integral_constantIbLb0EES1C_EEDaS17_S18_EUlS17_E_NS1_11comp_targetILNS1_3genE9ELNS1_11target_archE1100ELNS1_3gpuE3ELNS1_3repE0EEENS1_30default_config_static_selectorELNS0_4arch9wavefront6targetE0EEEvT1_.num_vgpr, 0
	.set _ZN7rocprim17ROCPRIM_400000_NS6detail17trampoline_kernelINS0_14default_configENS1_25partition_config_selectorILNS1_17partition_subalgoE8ElNS0_10empty_typeEbEEZZNS1_14partition_implILS5_8ELb0ES3_jPlPS6_PKS6_NS0_5tupleIJS9_S6_EEENSD_IJSA_SA_EEENS0_18inequality_wrapperIZN2at6native12_GLOBAL__N_124unique_dim_cuda_templateIhEESt5tupleIJNSH_6TensorESM_SM_EERKSM_lbbbEUlllE0_EEPmJS6_EEE10hipError_tPvRmT3_T4_T5_T6_T7_T9_mT8_P12ihipStream_tbDpT10_ENKUlT_T0_E_clISt17integral_constantIbLb0EES1C_EEDaS17_S18_EUlS17_E_NS1_11comp_targetILNS1_3genE9ELNS1_11target_archE1100ELNS1_3gpuE3ELNS1_3repE0EEENS1_30default_config_static_selectorELNS0_4arch9wavefront6targetE0EEEvT1_.num_agpr, 0
	.set _ZN7rocprim17ROCPRIM_400000_NS6detail17trampoline_kernelINS0_14default_configENS1_25partition_config_selectorILNS1_17partition_subalgoE8ElNS0_10empty_typeEbEEZZNS1_14partition_implILS5_8ELb0ES3_jPlPS6_PKS6_NS0_5tupleIJS9_S6_EEENSD_IJSA_SA_EEENS0_18inequality_wrapperIZN2at6native12_GLOBAL__N_124unique_dim_cuda_templateIhEESt5tupleIJNSH_6TensorESM_SM_EERKSM_lbbbEUlllE0_EEPmJS6_EEE10hipError_tPvRmT3_T4_T5_T6_T7_T9_mT8_P12ihipStream_tbDpT10_ENKUlT_T0_E_clISt17integral_constantIbLb0EES1C_EEDaS17_S18_EUlS17_E_NS1_11comp_targetILNS1_3genE9ELNS1_11target_archE1100ELNS1_3gpuE3ELNS1_3repE0EEENS1_30default_config_static_selectorELNS0_4arch9wavefront6targetE0EEEvT1_.numbered_sgpr, 0
	.set _ZN7rocprim17ROCPRIM_400000_NS6detail17trampoline_kernelINS0_14default_configENS1_25partition_config_selectorILNS1_17partition_subalgoE8ElNS0_10empty_typeEbEEZZNS1_14partition_implILS5_8ELb0ES3_jPlPS6_PKS6_NS0_5tupleIJS9_S6_EEENSD_IJSA_SA_EEENS0_18inequality_wrapperIZN2at6native12_GLOBAL__N_124unique_dim_cuda_templateIhEESt5tupleIJNSH_6TensorESM_SM_EERKSM_lbbbEUlllE0_EEPmJS6_EEE10hipError_tPvRmT3_T4_T5_T6_T7_T9_mT8_P12ihipStream_tbDpT10_ENKUlT_T0_E_clISt17integral_constantIbLb0EES1C_EEDaS17_S18_EUlS17_E_NS1_11comp_targetILNS1_3genE9ELNS1_11target_archE1100ELNS1_3gpuE3ELNS1_3repE0EEENS1_30default_config_static_selectorELNS0_4arch9wavefront6targetE0EEEvT1_.num_named_barrier, 0
	.set _ZN7rocprim17ROCPRIM_400000_NS6detail17trampoline_kernelINS0_14default_configENS1_25partition_config_selectorILNS1_17partition_subalgoE8ElNS0_10empty_typeEbEEZZNS1_14partition_implILS5_8ELb0ES3_jPlPS6_PKS6_NS0_5tupleIJS9_S6_EEENSD_IJSA_SA_EEENS0_18inequality_wrapperIZN2at6native12_GLOBAL__N_124unique_dim_cuda_templateIhEESt5tupleIJNSH_6TensorESM_SM_EERKSM_lbbbEUlllE0_EEPmJS6_EEE10hipError_tPvRmT3_T4_T5_T6_T7_T9_mT8_P12ihipStream_tbDpT10_ENKUlT_T0_E_clISt17integral_constantIbLb0EES1C_EEDaS17_S18_EUlS17_E_NS1_11comp_targetILNS1_3genE9ELNS1_11target_archE1100ELNS1_3gpuE3ELNS1_3repE0EEENS1_30default_config_static_selectorELNS0_4arch9wavefront6targetE0EEEvT1_.private_seg_size, 0
	.set _ZN7rocprim17ROCPRIM_400000_NS6detail17trampoline_kernelINS0_14default_configENS1_25partition_config_selectorILNS1_17partition_subalgoE8ElNS0_10empty_typeEbEEZZNS1_14partition_implILS5_8ELb0ES3_jPlPS6_PKS6_NS0_5tupleIJS9_S6_EEENSD_IJSA_SA_EEENS0_18inequality_wrapperIZN2at6native12_GLOBAL__N_124unique_dim_cuda_templateIhEESt5tupleIJNSH_6TensorESM_SM_EERKSM_lbbbEUlllE0_EEPmJS6_EEE10hipError_tPvRmT3_T4_T5_T6_T7_T9_mT8_P12ihipStream_tbDpT10_ENKUlT_T0_E_clISt17integral_constantIbLb0EES1C_EEDaS17_S18_EUlS17_E_NS1_11comp_targetILNS1_3genE9ELNS1_11target_archE1100ELNS1_3gpuE3ELNS1_3repE0EEENS1_30default_config_static_selectorELNS0_4arch9wavefront6targetE0EEEvT1_.uses_vcc, 0
	.set _ZN7rocprim17ROCPRIM_400000_NS6detail17trampoline_kernelINS0_14default_configENS1_25partition_config_selectorILNS1_17partition_subalgoE8ElNS0_10empty_typeEbEEZZNS1_14partition_implILS5_8ELb0ES3_jPlPS6_PKS6_NS0_5tupleIJS9_S6_EEENSD_IJSA_SA_EEENS0_18inequality_wrapperIZN2at6native12_GLOBAL__N_124unique_dim_cuda_templateIhEESt5tupleIJNSH_6TensorESM_SM_EERKSM_lbbbEUlllE0_EEPmJS6_EEE10hipError_tPvRmT3_T4_T5_T6_T7_T9_mT8_P12ihipStream_tbDpT10_ENKUlT_T0_E_clISt17integral_constantIbLb0EES1C_EEDaS17_S18_EUlS17_E_NS1_11comp_targetILNS1_3genE9ELNS1_11target_archE1100ELNS1_3gpuE3ELNS1_3repE0EEENS1_30default_config_static_selectorELNS0_4arch9wavefront6targetE0EEEvT1_.uses_flat_scratch, 0
	.set _ZN7rocprim17ROCPRIM_400000_NS6detail17trampoline_kernelINS0_14default_configENS1_25partition_config_selectorILNS1_17partition_subalgoE8ElNS0_10empty_typeEbEEZZNS1_14partition_implILS5_8ELb0ES3_jPlPS6_PKS6_NS0_5tupleIJS9_S6_EEENSD_IJSA_SA_EEENS0_18inequality_wrapperIZN2at6native12_GLOBAL__N_124unique_dim_cuda_templateIhEESt5tupleIJNSH_6TensorESM_SM_EERKSM_lbbbEUlllE0_EEPmJS6_EEE10hipError_tPvRmT3_T4_T5_T6_T7_T9_mT8_P12ihipStream_tbDpT10_ENKUlT_T0_E_clISt17integral_constantIbLb0EES1C_EEDaS17_S18_EUlS17_E_NS1_11comp_targetILNS1_3genE9ELNS1_11target_archE1100ELNS1_3gpuE3ELNS1_3repE0EEENS1_30default_config_static_selectorELNS0_4arch9wavefront6targetE0EEEvT1_.has_dyn_sized_stack, 0
	.set _ZN7rocprim17ROCPRIM_400000_NS6detail17trampoline_kernelINS0_14default_configENS1_25partition_config_selectorILNS1_17partition_subalgoE8ElNS0_10empty_typeEbEEZZNS1_14partition_implILS5_8ELb0ES3_jPlPS6_PKS6_NS0_5tupleIJS9_S6_EEENSD_IJSA_SA_EEENS0_18inequality_wrapperIZN2at6native12_GLOBAL__N_124unique_dim_cuda_templateIhEESt5tupleIJNSH_6TensorESM_SM_EERKSM_lbbbEUlllE0_EEPmJS6_EEE10hipError_tPvRmT3_T4_T5_T6_T7_T9_mT8_P12ihipStream_tbDpT10_ENKUlT_T0_E_clISt17integral_constantIbLb0EES1C_EEDaS17_S18_EUlS17_E_NS1_11comp_targetILNS1_3genE9ELNS1_11target_archE1100ELNS1_3gpuE3ELNS1_3repE0EEENS1_30default_config_static_selectorELNS0_4arch9wavefront6targetE0EEEvT1_.has_recursion, 0
	.set _ZN7rocprim17ROCPRIM_400000_NS6detail17trampoline_kernelINS0_14default_configENS1_25partition_config_selectorILNS1_17partition_subalgoE8ElNS0_10empty_typeEbEEZZNS1_14partition_implILS5_8ELb0ES3_jPlPS6_PKS6_NS0_5tupleIJS9_S6_EEENSD_IJSA_SA_EEENS0_18inequality_wrapperIZN2at6native12_GLOBAL__N_124unique_dim_cuda_templateIhEESt5tupleIJNSH_6TensorESM_SM_EERKSM_lbbbEUlllE0_EEPmJS6_EEE10hipError_tPvRmT3_T4_T5_T6_T7_T9_mT8_P12ihipStream_tbDpT10_ENKUlT_T0_E_clISt17integral_constantIbLb0EES1C_EEDaS17_S18_EUlS17_E_NS1_11comp_targetILNS1_3genE9ELNS1_11target_archE1100ELNS1_3gpuE3ELNS1_3repE0EEENS1_30default_config_static_selectorELNS0_4arch9wavefront6targetE0EEEvT1_.has_indirect_call, 0
	.section	.AMDGPU.csdata,"",@progbits
; Kernel info:
; codeLenInByte = 0
; TotalNumSgprs: 0
; NumVgprs: 0
; ScratchSize: 0
; MemoryBound: 0
; FloatMode: 240
; IeeeMode: 1
; LDSByteSize: 0 bytes/workgroup (compile time only)
; SGPRBlocks: 0
; VGPRBlocks: 0
; NumSGPRsForWavesPerEU: 1
; NumVGPRsForWavesPerEU: 1
; NamedBarCnt: 0
; Occupancy: 16
; WaveLimiterHint : 0
; COMPUTE_PGM_RSRC2:SCRATCH_EN: 0
; COMPUTE_PGM_RSRC2:USER_SGPR: 2
; COMPUTE_PGM_RSRC2:TRAP_HANDLER: 0
; COMPUTE_PGM_RSRC2:TGID_X_EN: 1
; COMPUTE_PGM_RSRC2:TGID_Y_EN: 0
; COMPUTE_PGM_RSRC2:TGID_Z_EN: 0
; COMPUTE_PGM_RSRC2:TIDIG_COMP_CNT: 0
	.section	.text._ZN7rocprim17ROCPRIM_400000_NS6detail17trampoline_kernelINS0_14default_configENS1_25partition_config_selectorILNS1_17partition_subalgoE8ElNS0_10empty_typeEbEEZZNS1_14partition_implILS5_8ELb0ES3_jPlPS6_PKS6_NS0_5tupleIJS9_S6_EEENSD_IJSA_SA_EEENS0_18inequality_wrapperIZN2at6native12_GLOBAL__N_124unique_dim_cuda_templateIhEESt5tupleIJNSH_6TensorESM_SM_EERKSM_lbbbEUlllE0_EEPmJS6_EEE10hipError_tPvRmT3_T4_T5_T6_T7_T9_mT8_P12ihipStream_tbDpT10_ENKUlT_T0_E_clISt17integral_constantIbLb0EES1C_EEDaS17_S18_EUlS17_E_NS1_11comp_targetILNS1_3genE8ELNS1_11target_archE1030ELNS1_3gpuE2ELNS1_3repE0EEENS1_30default_config_static_selectorELNS0_4arch9wavefront6targetE0EEEvT1_,"axG",@progbits,_ZN7rocprim17ROCPRIM_400000_NS6detail17trampoline_kernelINS0_14default_configENS1_25partition_config_selectorILNS1_17partition_subalgoE8ElNS0_10empty_typeEbEEZZNS1_14partition_implILS5_8ELb0ES3_jPlPS6_PKS6_NS0_5tupleIJS9_S6_EEENSD_IJSA_SA_EEENS0_18inequality_wrapperIZN2at6native12_GLOBAL__N_124unique_dim_cuda_templateIhEESt5tupleIJNSH_6TensorESM_SM_EERKSM_lbbbEUlllE0_EEPmJS6_EEE10hipError_tPvRmT3_T4_T5_T6_T7_T9_mT8_P12ihipStream_tbDpT10_ENKUlT_T0_E_clISt17integral_constantIbLb0EES1C_EEDaS17_S18_EUlS17_E_NS1_11comp_targetILNS1_3genE8ELNS1_11target_archE1030ELNS1_3gpuE2ELNS1_3repE0EEENS1_30default_config_static_selectorELNS0_4arch9wavefront6targetE0EEEvT1_,comdat
	.globl	_ZN7rocprim17ROCPRIM_400000_NS6detail17trampoline_kernelINS0_14default_configENS1_25partition_config_selectorILNS1_17partition_subalgoE8ElNS0_10empty_typeEbEEZZNS1_14partition_implILS5_8ELb0ES3_jPlPS6_PKS6_NS0_5tupleIJS9_S6_EEENSD_IJSA_SA_EEENS0_18inequality_wrapperIZN2at6native12_GLOBAL__N_124unique_dim_cuda_templateIhEESt5tupleIJNSH_6TensorESM_SM_EERKSM_lbbbEUlllE0_EEPmJS6_EEE10hipError_tPvRmT3_T4_T5_T6_T7_T9_mT8_P12ihipStream_tbDpT10_ENKUlT_T0_E_clISt17integral_constantIbLb0EES1C_EEDaS17_S18_EUlS17_E_NS1_11comp_targetILNS1_3genE8ELNS1_11target_archE1030ELNS1_3gpuE2ELNS1_3repE0EEENS1_30default_config_static_selectorELNS0_4arch9wavefront6targetE0EEEvT1_ ; -- Begin function _ZN7rocprim17ROCPRIM_400000_NS6detail17trampoline_kernelINS0_14default_configENS1_25partition_config_selectorILNS1_17partition_subalgoE8ElNS0_10empty_typeEbEEZZNS1_14partition_implILS5_8ELb0ES3_jPlPS6_PKS6_NS0_5tupleIJS9_S6_EEENSD_IJSA_SA_EEENS0_18inequality_wrapperIZN2at6native12_GLOBAL__N_124unique_dim_cuda_templateIhEESt5tupleIJNSH_6TensorESM_SM_EERKSM_lbbbEUlllE0_EEPmJS6_EEE10hipError_tPvRmT3_T4_T5_T6_T7_T9_mT8_P12ihipStream_tbDpT10_ENKUlT_T0_E_clISt17integral_constantIbLb0EES1C_EEDaS17_S18_EUlS17_E_NS1_11comp_targetILNS1_3genE8ELNS1_11target_archE1030ELNS1_3gpuE2ELNS1_3repE0EEENS1_30default_config_static_selectorELNS0_4arch9wavefront6targetE0EEEvT1_
	.p2align	8
	.type	_ZN7rocprim17ROCPRIM_400000_NS6detail17trampoline_kernelINS0_14default_configENS1_25partition_config_selectorILNS1_17partition_subalgoE8ElNS0_10empty_typeEbEEZZNS1_14partition_implILS5_8ELb0ES3_jPlPS6_PKS6_NS0_5tupleIJS9_S6_EEENSD_IJSA_SA_EEENS0_18inequality_wrapperIZN2at6native12_GLOBAL__N_124unique_dim_cuda_templateIhEESt5tupleIJNSH_6TensorESM_SM_EERKSM_lbbbEUlllE0_EEPmJS6_EEE10hipError_tPvRmT3_T4_T5_T6_T7_T9_mT8_P12ihipStream_tbDpT10_ENKUlT_T0_E_clISt17integral_constantIbLb0EES1C_EEDaS17_S18_EUlS17_E_NS1_11comp_targetILNS1_3genE8ELNS1_11target_archE1030ELNS1_3gpuE2ELNS1_3repE0EEENS1_30default_config_static_selectorELNS0_4arch9wavefront6targetE0EEEvT1_,@function
_ZN7rocprim17ROCPRIM_400000_NS6detail17trampoline_kernelINS0_14default_configENS1_25partition_config_selectorILNS1_17partition_subalgoE8ElNS0_10empty_typeEbEEZZNS1_14partition_implILS5_8ELb0ES3_jPlPS6_PKS6_NS0_5tupleIJS9_S6_EEENSD_IJSA_SA_EEENS0_18inequality_wrapperIZN2at6native12_GLOBAL__N_124unique_dim_cuda_templateIhEESt5tupleIJNSH_6TensorESM_SM_EERKSM_lbbbEUlllE0_EEPmJS6_EEE10hipError_tPvRmT3_T4_T5_T6_T7_T9_mT8_P12ihipStream_tbDpT10_ENKUlT_T0_E_clISt17integral_constantIbLb0EES1C_EEDaS17_S18_EUlS17_E_NS1_11comp_targetILNS1_3genE8ELNS1_11target_archE1030ELNS1_3gpuE2ELNS1_3repE0EEENS1_30default_config_static_selectorELNS0_4arch9wavefront6targetE0EEEvT1_: ; @_ZN7rocprim17ROCPRIM_400000_NS6detail17trampoline_kernelINS0_14default_configENS1_25partition_config_selectorILNS1_17partition_subalgoE8ElNS0_10empty_typeEbEEZZNS1_14partition_implILS5_8ELb0ES3_jPlPS6_PKS6_NS0_5tupleIJS9_S6_EEENSD_IJSA_SA_EEENS0_18inequality_wrapperIZN2at6native12_GLOBAL__N_124unique_dim_cuda_templateIhEESt5tupleIJNSH_6TensorESM_SM_EERKSM_lbbbEUlllE0_EEPmJS6_EEE10hipError_tPvRmT3_T4_T5_T6_T7_T9_mT8_P12ihipStream_tbDpT10_ENKUlT_T0_E_clISt17integral_constantIbLb0EES1C_EEDaS17_S18_EUlS17_E_NS1_11comp_targetILNS1_3genE8ELNS1_11target_archE1030ELNS1_3gpuE2ELNS1_3repE0EEENS1_30default_config_static_selectorELNS0_4arch9wavefront6targetE0EEEvT1_
; %bb.0:
	.section	.rodata,"a",@progbits
	.p2align	6, 0x0
	.amdhsa_kernel _ZN7rocprim17ROCPRIM_400000_NS6detail17trampoline_kernelINS0_14default_configENS1_25partition_config_selectorILNS1_17partition_subalgoE8ElNS0_10empty_typeEbEEZZNS1_14partition_implILS5_8ELb0ES3_jPlPS6_PKS6_NS0_5tupleIJS9_S6_EEENSD_IJSA_SA_EEENS0_18inequality_wrapperIZN2at6native12_GLOBAL__N_124unique_dim_cuda_templateIhEESt5tupleIJNSH_6TensorESM_SM_EERKSM_lbbbEUlllE0_EEPmJS6_EEE10hipError_tPvRmT3_T4_T5_T6_T7_T9_mT8_P12ihipStream_tbDpT10_ENKUlT_T0_E_clISt17integral_constantIbLb0EES1C_EEDaS17_S18_EUlS17_E_NS1_11comp_targetILNS1_3genE8ELNS1_11target_archE1030ELNS1_3gpuE2ELNS1_3repE0EEENS1_30default_config_static_selectorELNS0_4arch9wavefront6targetE0EEEvT1_
		.amdhsa_group_segment_fixed_size 0
		.amdhsa_private_segment_fixed_size 0
		.amdhsa_kernarg_size 120
		.amdhsa_user_sgpr_count 2
		.amdhsa_user_sgpr_dispatch_ptr 0
		.amdhsa_user_sgpr_queue_ptr 0
		.amdhsa_user_sgpr_kernarg_segment_ptr 1
		.amdhsa_user_sgpr_dispatch_id 0
		.amdhsa_user_sgpr_kernarg_preload_length 0
		.amdhsa_user_sgpr_kernarg_preload_offset 0
		.amdhsa_user_sgpr_private_segment_size 0
		.amdhsa_wavefront_size32 1
		.amdhsa_uses_dynamic_stack 0
		.amdhsa_enable_private_segment 0
		.amdhsa_system_sgpr_workgroup_id_x 1
		.amdhsa_system_sgpr_workgroup_id_y 0
		.amdhsa_system_sgpr_workgroup_id_z 0
		.amdhsa_system_sgpr_workgroup_info 0
		.amdhsa_system_vgpr_workitem_id 0
		.amdhsa_next_free_vgpr 1
		.amdhsa_next_free_sgpr 1
		.amdhsa_named_barrier_count 0
		.amdhsa_reserve_vcc 0
		.amdhsa_float_round_mode_32 0
		.amdhsa_float_round_mode_16_64 0
		.amdhsa_float_denorm_mode_32 3
		.amdhsa_float_denorm_mode_16_64 3
		.amdhsa_fp16_overflow 0
		.amdhsa_memory_ordered 1
		.amdhsa_forward_progress 1
		.amdhsa_inst_pref_size 0
		.amdhsa_round_robin_scheduling 0
		.amdhsa_exception_fp_ieee_invalid_op 0
		.amdhsa_exception_fp_denorm_src 0
		.amdhsa_exception_fp_ieee_div_zero 0
		.amdhsa_exception_fp_ieee_overflow 0
		.amdhsa_exception_fp_ieee_underflow 0
		.amdhsa_exception_fp_ieee_inexact 0
		.amdhsa_exception_int_div_zero 0
	.end_amdhsa_kernel
	.section	.text._ZN7rocprim17ROCPRIM_400000_NS6detail17trampoline_kernelINS0_14default_configENS1_25partition_config_selectorILNS1_17partition_subalgoE8ElNS0_10empty_typeEbEEZZNS1_14partition_implILS5_8ELb0ES3_jPlPS6_PKS6_NS0_5tupleIJS9_S6_EEENSD_IJSA_SA_EEENS0_18inequality_wrapperIZN2at6native12_GLOBAL__N_124unique_dim_cuda_templateIhEESt5tupleIJNSH_6TensorESM_SM_EERKSM_lbbbEUlllE0_EEPmJS6_EEE10hipError_tPvRmT3_T4_T5_T6_T7_T9_mT8_P12ihipStream_tbDpT10_ENKUlT_T0_E_clISt17integral_constantIbLb0EES1C_EEDaS17_S18_EUlS17_E_NS1_11comp_targetILNS1_3genE8ELNS1_11target_archE1030ELNS1_3gpuE2ELNS1_3repE0EEENS1_30default_config_static_selectorELNS0_4arch9wavefront6targetE0EEEvT1_,"axG",@progbits,_ZN7rocprim17ROCPRIM_400000_NS6detail17trampoline_kernelINS0_14default_configENS1_25partition_config_selectorILNS1_17partition_subalgoE8ElNS0_10empty_typeEbEEZZNS1_14partition_implILS5_8ELb0ES3_jPlPS6_PKS6_NS0_5tupleIJS9_S6_EEENSD_IJSA_SA_EEENS0_18inequality_wrapperIZN2at6native12_GLOBAL__N_124unique_dim_cuda_templateIhEESt5tupleIJNSH_6TensorESM_SM_EERKSM_lbbbEUlllE0_EEPmJS6_EEE10hipError_tPvRmT3_T4_T5_T6_T7_T9_mT8_P12ihipStream_tbDpT10_ENKUlT_T0_E_clISt17integral_constantIbLb0EES1C_EEDaS17_S18_EUlS17_E_NS1_11comp_targetILNS1_3genE8ELNS1_11target_archE1030ELNS1_3gpuE2ELNS1_3repE0EEENS1_30default_config_static_selectorELNS0_4arch9wavefront6targetE0EEEvT1_,comdat
.Lfunc_end168:
	.size	_ZN7rocprim17ROCPRIM_400000_NS6detail17trampoline_kernelINS0_14default_configENS1_25partition_config_selectorILNS1_17partition_subalgoE8ElNS0_10empty_typeEbEEZZNS1_14partition_implILS5_8ELb0ES3_jPlPS6_PKS6_NS0_5tupleIJS9_S6_EEENSD_IJSA_SA_EEENS0_18inequality_wrapperIZN2at6native12_GLOBAL__N_124unique_dim_cuda_templateIhEESt5tupleIJNSH_6TensorESM_SM_EERKSM_lbbbEUlllE0_EEPmJS6_EEE10hipError_tPvRmT3_T4_T5_T6_T7_T9_mT8_P12ihipStream_tbDpT10_ENKUlT_T0_E_clISt17integral_constantIbLb0EES1C_EEDaS17_S18_EUlS17_E_NS1_11comp_targetILNS1_3genE8ELNS1_11target_archE1030ELNS1_3gpuE2ELNS1_3repE0EEENS1_30default_config_static_selectorELNS0_4arch9wavefront6targetE0EEEvT1_, .Lfunc_end168-_ZN7rocprim17ROCPRIM_400000_NS6detail17trampoline_kernelINS0_14default_configENS1_25partition_config_selectorILNS1_17partition_subalgoE8ElNS0_10empty_typeEbEEZZNS1_14partition_implILS5_8ELb0ES3_jPlPS6_PKS6_NS0_5tupleIJS9_S6_EEENSD_IJSA_SA_EEENS0_18inequality_wrapperIZN2at6native12_GLOBAL__N_124unique_dim_cuda_templateIhEESt5tupleIJNSH_6TensorESM_SM_EERKSM_lbbbEUlllE0_EEPmJS6_EEE10hipError_tPvRmT3_T4_T5_T6_T7_T9_mT8_P12ihipStream_tbDpT10_ENKUlT_T0_E_clISt17integral_constantIbLb0EES1C_EEDaS17_S18_EUlS17_E_NS1_11comp_targetILNS1_3genE8ELNS1_11target_archE1030ELNS1_3gpuE2ELNS1_3repE0EEENS1_30default_config_static_selectorELNS0_4arch9wavefront6targetE0EEEvT1_
                                        ; -- End function
	.set _ZN7rocprim17ROCPRIM_400000_NS6detail17trampoline_kernelINS0_14default_configENS1_25partition_config_selectorILNS1_17partition_subalgoE8ElNS0_10empty_typeEbEEZZNS1_14partition_implILS5_8ELb0ES3_jPlPS6_PKS6_NS0_5tupleIJS9_S6_EEENSD_IJSA_SA_EEENS0_18inequality_wrapperIZN2at6native12_GLOBAL__N_124unique_dim_cuda_templateIhEESt5tupleIJNSH_6TensorESM_SM_EERKSM_lbbbEUlllE0_EEPmJS6_EEE10hipError_tPvRmT3_T4_T5_T6_T7_T9_mT8_P12ihipStream_tbDpT10_ENKUlT_T0_E_clISt17integral_constantIbLb0EES1C_EEDaS17_S18_EUlS17_E_NS1_11comp_targetILNS1_3genE8ELNS1_11target_archE1030ELNS1_3gpuE2ELNS1_3repE0EEENS1_30default_config_static_selectorELNS0_4arch9wavefront6targetE0EEEvT1_.num_vgpr, 0
	.set _ZN7rocprim17ROCPRIM_400000_NS6detail17trampoline_kernelINS0_14default_configENS1_25partition_config_selectorILNS1_17partition_subalgoE8ElNS0_10empty_typeEbEEZZNS1_14partition_implILS5_8ELb0ES3_jPlPS6_PKS6_NS0_5tupleIJS9_S6_EEENSD_IJSA_SA_EEENS0_18inequality_wrapperIZN2at6native12_GLOBAL__N_124unique_dim_cuda_templateIhEESt5tupleIJNSH_6TensorESM_SM_EERKSM_lbbbEUlllE0_EEPmJS6_EEE10hipError_tPvRmT3_T4_T5_T6_T7_T9_mT8_P12ihipStream_tbDpT10_ENKUlT_T0_E_clISt17integral_constantIbLb0EES1C_EEDaS17_S18_EUlS17_E_NS1_11comp_targetILNS1_3genE8ELNS1_11target_archE1030ELNS1_3gpuE2ELNS1_3repE0EEENS1_30default_config_static_selectorELNS0_4arch9wavefront6targetE0EEEvT1_.num_agpr, 0
	.set _ZN7rocprim17ROCPRIM_400000_NS6detail17trampoline_kernelINS0_14default_configENS1_25partition_config_selectorILNS1_17partition_subalgoE8ElNS0_10empty_typeEbEEZZNS1_14partition_implILS5_8ELb0ES3_jPlPS6_PKS6_NS0_5tupleIJS9_S6_EEENSD_IJSA_SA_EEENS0_18inequality_wrapperIZN2at6native12_GLOBAL__N_124unique_dim_cuda_templateIhEESt5tupleIJNSH_6TensorESM_SM_EERKSM_lbbbEUlllE0_EEPmJS6_EEE10hipError_tPvRmT3_T4_T5_T6_T7_T9_mT8_P12ihipStream_tbDpT10_ENKUlT_T0_E_clISt17integral_constantIbLb0EES1C_EEDaS17_S18_EUlS17_E_NS1_11comp_targetILNS1_3genE8ELNS1_11target_archE1030ELNS1_3gpuE2ELNS1_3repE0EEENS1_30default_config_static_selectorELNS0_4arch9wavefront6targetE0EEEvT1_.numbered_sgpr, 0
	.set _ZN7rocprim17ROCPRIM_400000_NS6detail17trampoline_kernelINS0_14default_configENS1_25partition_config_selectorILNS1_17partition_subalgoE8ElNS0_10empty_typeEbEEZZNS1_14partition_implILS5_8ELb0ES3_jPlPS6_PKS6_NS0_5tupleIJS9_S6_EEENSD_IJSA_SA_EEENS0_18inequality_wrapperIZN2at6native12_GLOBAL__N_124unique_dim_cuda_templateIhEESt5tupleIJNSH_6TensorESM_SM_EERKSM_lbbbEUlllE0_EEPmJS6_EEE10hipError_tPvRmT3_T4_T5_T6_T7_T9_mT8_P12ihipStream_tbDpT10_ENKUlT_T0_E_clISt17integral_constantIbLb0EES1C_EEDaS17_S18_EUlS17_E_NS1_11comp_targetILNS1_3genE8ELNS1_11target_archE1030ELNS1_3gpuE2ELNS1_3repE0EEENS1_30default_config_static_selectorELNS0_4arch9wavefront6targetE0EEEvT1_.num_named_barrier, 0
	.set _ZN7rocprim17ROCPRIM_400000_NS6detail17trampoline_kernelINS0_14default_configENS1_25partition_config_selectorILNS1_17partition_subalgoE8ElNS0_10empty_typeEbEEZZNS1_14partition_implILS5_8ELb0ES3_jPlPS6_PKS6_NS0_5tupleIJS9_S6_EEENSD_IJSA_SA_EEENS0_18inequality_wrapperIZN2at6native12_GLOBAL__N_124unique_dim_cuda_templateIhEESt5tupleIJNSH_6TensorESM_SM_EERKSM_lbbbEUlllE0_EEPmJS6_EEE10hipError_tPvRmT3_T4_T5_T6_T7_T9_mT8_P12ihipStream_tbDpT10_ENKUlT_T0_E_clISt17integral_constantIbLb0EES1C_EEDaS17_S18_EUlS17_E_NS1_11comp_targetILNS1_3genE8ELNS1_11target_archE1030ELNS1_3gpuE2ELNS1_3repE0EEENS1_30default_config_static_selectorELNS0_4arch9wavefront6targetE0EEEvT1_.private_seg_size, 0
	.set _ZN7rocprim17ROCPRIM_400000_NS6detail17trampoline_kernelINS0_14default_configENS1_25partition_config_selectorILNS1_17partition_subalgoE8ElNS0_10empty_typeEbEEZZNS1_14partition_implILS5_8ELb0ES3_jPlPS6_PKS6_NS0_5tupleIJS9_S6_EEENSD_IJSA_SA_EEENS0_18inequality_wrapperIZN2at6native12_GLOBAL__N_124unique_dim_cuda_templateIhEESt5tupleIJNSH_6TensorESM_SM_EERKSM_lbbbEUlllE0_EEPmJS6_EEE10hipError_tPvRmT3_T4_T5_T6_T7_T9_mT8_P12ihipStream_tbDpT10_ENKUlT_T0_E_clISt17integral_constantIbLb0EES1C_EEDaS17_S18_EUlS17_E_NS1_11comp_targetILNS1_3genE8ELNS1_11target_archE1030ELNS1_3gpuE2ELNS1_3repE0EEENS1_30default_config_static_selectorELNS0_4arch9wavefront6targetE0EEEvT1_.uses_vcc, 0
	.set _ZN7rocprim17ROCPRIM_400000_NS6detail17trampoline_kernelINS0_14default_configENS1_25partition_config_selectorILNS1_17partition_subalgoE8ElNS0_10empty_typeEbEEZZNS1_14partition_implILS5_8ELb0ES3_jPlPS6_PKS6_NS0_5tupleIJS9_S6_EEENSD_IJSA_SA_EEENS0_18inequality_wrapperIZN2at6native12_GLOBAL__N_124unique_dim_cuda_templateIhEESt5tupleIJNSH_6TensorESM_SM_EERKSM_lbbbEUlllE0_EEPmJS6_EEE10hipError_tPvRmT3_T4_T5_T6_T7_T9_mT8_P12ihipStream_tbDpT10_ENKUlT_T0_E_clISt17integral_constantIbLb0EES1C_EEDaS17_S18_EUlS17_E_NS1_11comp_targetILNS1_3genE8ELNS1_11target_archE1030ELNS1_3gpuE2ELNS1_3repE0EEENS1_30default_config_static_selectorELNS0_4arch9wavefront6targetE0EEEvT1_.uses_flat_scratch, 0
	.set _ZN7rocprim17ROCPRIM_400000_NS6detail17trampoline_kernelINS0_14default_configENS1_25partition_config_selectorILNS1_17partition_subalgoE8ElNS0_10empty_typeEbEEZZNS1_14partition_implILS5_8ELb0ES3_jPlPS6_PKS6_NS0_5tupleIJS9_S6_EEENSD_IJSA_SA_EEENS0_18inequality_wrapperIZN2at6native12_GLOBAL__N_124unique_dim_cuda_templateIhEESt5tupleIJNSH_6TensorESM_SM_EERKSM_lbbbEUlllE0_EEPmJS6_EEE10hipError_tPvRmT3_T4_T5_T6_T7_T9_mT8_P12ihipStream_tbDpT10_ENKUlT_T0_E_clISt17integral_constantIbLb0EES1C_EEDaS17_S18_EUlS17_E_NS1_11comp_targetILNS1_3genE8ELNS1_11target_archE1030ELNS1_3gpuE2ELNS1_3repE0EEENS1_30default_config_static_selectorELNS0_4arch9wavefront6targetE0EEEvT1_.has_dyn_sized_stack, 0
	.set _ZN7rocprim17ROCPRIM_400000_NS6detail17trampoline_kernelINS0_14default_configENS1_25partition_config_selectorILNS1_17partition_subalgoE8ElNS0_10empty_typeEbEEZZNS1_14partition_implILS5_8ELb0ES3_jPlPS6_PKS6_NS0_5tupleIJS9_S6_EEENSD_IJSA_SA_EEENS0_18inequality_wrapperIZN2at6native12_GLOBAL__N_124unique_dim_cuda_templateIhEESt5tupleIJNSH_6TensorESM_SM_EERKSM_lbbbEUlllE0_EEPmJS6_EEE10hipError_tPvRmT3_T4_T5_T6_T7_T9_mT8_P12ihipStream_tbDpT10_ENKUlT_T0_E_clISt17integral_constantIbLb0EES1C_EEDaS17_S18_EUlS17_E_NS1_11comp_targetILNS1_3genE8ELNS1_11target_archE1030ELNS1_3gpuE2ELNS1_3repE0EEENS1_30default_config_static_selectorELNS0_4arch9wavefront6targetE0EEEvT1_.has_recursion, 0
	.set _ZN7rocprim17ROCPRIM_400000_NS6detail17trampoline_kernelINS0_14default_configENS1_25partition_config_selectorILNS1_17partition_subalgoE8ElNS0_10empty_typeEbEEZZNS1_14partition_implILS5_8ELb0ES3_jPlPS6_PKS6_NS0_5tupleIJS9_S6_EEENSD_IJSA_SA_EEENS0_18inequality_wrapperIZN2at6native12_GLOBAL__N_124unique_dim_cuda_templateIhEESt5tupleIJNSH_6TensorESM_SM_EERKSM_lbbbEUlllE0_EEPmJS6_EEE10hipError_tPvRmT3_T4_T5_T6_T7_T9_mT8_P12ihipStream_tbDpT10_ENKUlT_T0_E_clISt17integral_constantIbLb0EES1C_EEDaS17_S18_EUlS17_E_NS1_11comp_targetILNS1_3genE8ELNS1_11target_archE1030ELNS1_3gpuE2ELNS1_3repE0EEENS1_30default_config_static_selectorELNS0_4arch9wavefront6targetE0EEEvT1_.has_indirect_call, 0
	.section	.AMDGPU.csdata,"",@progbits
; Kernel info:
; codeLenInByte = 0
; TotalNumSgprs: 0
; NumVgprs: 0
; ScratchSize: 0
; MemoryBound: 0
; FloatMode: 240
; IeeeMode: 1
; LDSByteSize: 0 bytes/workgroup (compile time only)
; SGPRBlocks: 0
; VGPRBlocks: 0
; NumSGPRsForWavesPerEU: 1
; NumVGPRsForWavesPerEU: 1
; NamedBarCnt: 0
; Occupancy: 16
; WaveLimiterHint : 0
; COMPUTE_PGM_RSRC2:SCRATCH_EN: 0
; COMPUTE_PGM_RSRC2:USER_SGPR: 2
; COMPUTE_PGM_RSRC2:TRAP_HANDLER: 0
; COMPUTE_PGM_RSRC2:TGID_X_EN: 1
; COMPUTE_PGM_RSRC2:TGID_Y_EN: 0
; COMPUTE_PGM_RSRC2:TGID_Z_EN: 0
; COMPUTE_PGM_RSRC2:TIDIG_COMP_CNT: 0
	.section	.text._ZN7rocprim17ROCPRIM_400000_NS6detail17trampoline_kernelINS0_14default_configENS1_25transform_config_selectorImLb1EEEZNS1_14transform_implILb1ES3_S5_PmS7_NS0_8identityIvEEEE10hipError_tT2_T3_mT4_P12ihipStream_tbEUlT_E_NS1_11comp_targetILNS1_3genE0ELNS1_11target_archE4294967295ELNS1_3gpuE0ELNS1_3repE0EEENS1_30default_config_static_selectorELNS0_4arch9wavefront6targetE0EEEvT1_,"axG",@progbits,_ZN7rocprim17ROCPRIM_400000_NS6detail17trampoline_kernelINS0_14default_configENS1_25transform_config_selectorImLb1EEEZNS1_14transform_implILb1ES3_S5_PmS7_NS0_8identityIvEEEE10hipError_tT2_T3_mT4_P12ihipStream_tbEUlT_E_NS1_11comp_targetILNS1_3genE0ELNS1_11target_archE4294967295ELNS1_3gpuE0ELNS1_3repE0EEENS1_30default_config_static_selectorELNS0_4arch9wavefront6targetE0EEEvT1_,comdat
	.protected	_ZN7rocprim17ROCPRIM_400000_NS6detail17trampoline_kernelINS0_14default_configENS1_25transform_config_selectorImLb1EEEZNS1_14transform_implILb1ES3_S5_PmS7_NS0_8identityIvEEEE10hipError_tT2_T3_mT4_P12ihipStream_tbEUlT_E_NS1_11comp_targetILNS1_3genE0ELNS1_11target_archE4294967295ELNS1_3gpuE0ELNS1_3repE0EEENS1_30default_config_static_selectorELNS0_4arch9wavefront6targetE0EEEvT1_ ; -- Begin function _ZN7rocprim17ROCPRIM_400000_NS6detail17trampoline_kernelINS0_14default_configENS1_25transform_config_selectorImLb1EEEZNS1_14transform_implILb1ES3_S5_PmS7_NS0_8identityIvEEEE10hipError_tT2_T3_mT4_P12ihipStream_tbEUlT_E_NS1_11comp_targetILNS1_3genE0ELNS1_11target_archE4294967295ELNS1_3gpuE0ELNS1_3repE0EEENS1_30default_config_static_selectorELNS0_4arch9wavefront6targetE0EEEvT1_
	.globl	_ZN7rocprim17ROCPRIM_400000_NS6detail17trampoline_kernelINS0_14default_configENS1_25transform_config_selectorImLb1EEEZNS1_14transform_implILb1ES3_S5_PmS7_NS0_8identityIvEEEE10hipError_tT2_T3_mT4_P12ihipStream_tbEUlT_E_NS1_11comp_targetILNS1_3genE0ELNS1_11target_archE4294967295ELNS1_3gpuE0ELNS1_3repE0EEENS1_30default_config_static_selectorELNS0_4arch9wavefront6targetE0EEEvT1_
	.p2align	8
	.type	_ZN7rocprim17ROCPRIM_400000_NS6detail17trampoline_kernelINS0_14default_configENS1_25transform_config_selectorImLb1EEEZNS1_14transform_implILb1ES3_S5_PmS7_NS0_8identityIvEEEE10hipError_tT2_T3_mT4_P12ihipStream_tbEUlT_E_NS1_11comp_targetILNS1_3genE0ELNS1_11target_archE4294967295ELNS1_3gpuE0ELNS1_3repE0EEENS1_30default_config_static_selectorELNS0_4arch9wavefront6targetE0EEEvT1_,@function
_ZN7rocprim17ROCPRIM_400000_NS6detail17trampoline_kernelINS0_14default_configENS1_25transform_config_selectorImLb1EEEZNS1_14transform_implILb1ES3_S5_PmS7_NS0_8identityIvEEEE10hipError_tT2_T3_mT4_P12ihipStream_tbEUlT_E_NS1_11comp_targetILNS1_3genE0ELNS1_11target_archE4294967295ELNS1_3gpuE0ELNS1_3repE0EEENS1_30default_config_static_selectorELNS0_4arch9wavefront6targetE0EEEvT1_: ; @_ZN7rocprim17ROCPRIM_400000_NS6detail17trampoline_kernelINS0_14default_configENS1_25transform_config_selectorImLb1EEEZNS1_14transform_implILb1ES3_S5_PmS7_NS0_8identityIvEEEE10hipError_tT2_T3_mT4_P12ihipStream_tbEUlT_E_NS1_11comp_targetILNS1_3genE0ELNS1_11target_archE4294967295ELNS1_3gpuE0ELNS1_3repE0EEENS1_30default_config_static_selectorELNS0_4arch9wavefront6targetE0EEEvT1_
; %bb.0:
	s_clause 0x1
	s_load_b32 s2, s[0:1], 0x28
	s_load_b32 s3, s[0:1], 0x10
	s_bfe_u32 s4, ttmp6, 0x4000c
	s_and_b32 s5, ttmp6, 15
	s_add_co_i32 s4, s4, 1
	s_getreg_b32 s6, hwreg(HW_REG_IB_STS2, 6, 4)
	s_mul_i32 s4, ttmp9, s4
	s_delay_alu instid0(SALU_CYCLE_1)
	s_add_co_i32 s5, s5, s4
	s_cmp_eq_u32 s6, 0
	s_cselect_b32 s4, ttmp9, s5
	s_wait_kmcnt 0x0
	s_add_co_i32 s5, s2, -1
	s_lshl_b32 s2, s4, 7
	s_cmp_lg_u32 s4, s5
	s_cselect_b32 s4, -1, 0
	s_sub_co_i32 s3, s3, s2
	s_delay_alu instid0(SALU_CYCLE_1) | instskip(SKIP_2) | instid1(SALU_CYCLE_1)
	v_cmp_gt_u32_e32 vcc_lo, s3, v0
	s_mov_b32 s3, 0
	s_or_b32 s4, vcc_lo, s4
	s_and_saveexec_b32 s5, s4
	s_cbranch_execz .LBB169_2
; %bb.1:
	s_clause 0x1
	s_load_b128 s[4:7], s[0:1], 0x0
	s_load_b64 s[8:9], s[0:1], 0x18
	s_lshl_b64 s[2:3], s[2:3], 3
	s_wait_kmcnt 0x0
	s_lshl_b64 s[0:1], s[6:7], 3
	s_delay_alu instid0(SALU_CYCLE_1)
	s_add_nc_u64 s[4:5], s[4:5], s[0:1]
	s_add_nc_u64 s[0:1], s[8:9], s[0:1]
	s_add_nc_u64 s[4:5], s[4:5], s[2:3]
	s_add_nc_u64 s[0:1], s[0:1], s[2:3]
	global_load_b64 v[2:3], v0, s[4:5] scale_offset
	s_wait_loadcnt 0x0
	global_store_b64 v0, v[2:3], s[0:1] scale_offset
.LBB169_2:
	s_endpgm
	.section	.rodata,"a",@progbits
	.p2align	6, 0x0
	.amdhsa_kernel _ZN7rocprim17ROCPRIM_400000_NS6detail17trampoline_kernelINS0_14default_configENS1_25transform_config_selectorImLb1EEEZNS1_14transform_implILb1ES3_S5_PmS7_NS0_8identityIvEEEE10hipError_tT2_T3_mT4_P12ihipStream_tbEUlT_E_NS1_11comp_targetILNS1_3genE0ELNS1_11target_archE4294967295ELNS1_3gpuE0ELNS1_3repE0EEENS1_30default_config_static_selectorELNS0_4arch9wavefront6targetE0EEEvT1_
		.amdhsa_group_segment_fixed_size 0
		.amdhsa_private_segment_fixed_size 0
		.amdhsa_kernarg_size 296
		.amdhsa_user_sgpr_count 2
		.amdhsa_user_sgpr_dispatch_ptr 0
		.amdhsa_user_sgpr_queue_ptr 0
		.amdhsa_user_sgpr_kernarg_segment_ptr 1
		.amdhsa_user_sgpr_dispatch_id 0
		.amdhsa_user_sgpr_kernarg_preload_length 0
		.amdhsa_user_sgpr_kernarg_preload_offset 0
		.amdhsa_user_sgpr_private_segment_size 0
		.amdhsa_wavefront_size32 1
		.amdhsa_uses_dynamic_stack 0
		.amdhsa_enable_private_segment 0
		.amdhsa_system_sgpr_workgroup_id_x 1
		.amdhsa_system_sgpr_workgroup_id_y 0
		.amdhsa_system_sgpr_workgroup_id_z 0
		.amdhsa_system_sgpr_workgroup_info 0
		.amdhsa_system_vgpr_workitem_id 0
		.amdhsa_next_free_vgpr 4
		.amdhsa_next_free_sgpr 10
		.amdhsa_named_barrier_count 0
		.amdhsa_reserve_vcc 1
		.amdhsa_float_round_mode_32 0
		.amdhsa_float_round_mode_16_64 0
		.amdhsa_float_denorm_mode_32 3
		.amdhsa_float_denorm_mode_16_64 3
		.amdhsa_fp16_overflow 0
		.amdhsa_memory_ordered 1
		.amdhsa_forward_progress 1
		.amdhsa_inst_pref_size 2
		.amdhsa_round_robin_scheduling 0
		.amdhsa_exception_fp_ieee_invalid_op 0
		.amdhsa_exception_fp_denorm_src 0
		.amdhsa_exception_fp_ieee_div_zero 0
		.amdhsa_exception_fp_ieee_overflow 0
		.amdhsa_exception_fp_ieee_underflow 0
		.amdhsa_exception_fp_ieee_inexact 0
		.amdhsa_exception_int_div_zero 0
	.end_amdhsa_kernel
	.section	.text._ZN7rocprim17ROCPRIM_400000_NS6detail17trampoline_kernelINS0_14default_configENS1_25transform_config_selectorImLb1EEEZNS1_14transform_implILb1ES3_S5_PmS7_NS0_8identityIvEEEE10hipError_tT2_T3_mT4_P12ihipStream_tbEUlT_E_NS1_11comp_targetILNS1_3genE0ELNS1_11target_archE4294967295ELNS1_3gpuE0ELNS1_3repE0EEENS1_30default_config_static_selectorELNS0_4arch9wavefront6targetE0EEEvT1_,"axG",@progbits,_ZN7rocprim17ROCPRIM_400000_NS6detail17trampoline_kernelINS0_14default_configENS1_25transform_config_selectorImLb1EEEZNS1_14transform_implILb1ES3_S5_PmS7_NS0_8identityIvEEEE10hipError_tT2_T3_mT4_P12ihipStream_tbEUlT_E_NS1_11comp_targetILNS1_3genE0ELNS1_11target_archE4294967295ELNS1_3gpuE0ELNS1_3repE0EEENS1_30default_config_static_selectorELNS0_4arch9wavefront6targetE0EEEvT1_,comdat
.Lfunc_end169:
	.size	_ZN7rocprim17ROCPRIM_400000_NS6detail17trampoline_kernelINS0_14default_configENS1_25transform_config_selectorImLb1EEEZNS1_14transform_implILb1ES3_S5_PmS7_NS0_8identityIvEEEE10hipError_tT2_T3_mT4_P12ihipStream_tbEUlT_E_NS1_11comp_targetILNS1_3genE0ELNS1_11target_archE4294967295ELNS1_3gpuE0ELNS1_3repE0EEENS1_30default_config_static_selectorELNS0_4arch9wavefront6targetE0EEEvT1_, .Lfunc_end169-_ZN7rocprim17ROCPRIM_400000_NS6detail17trampoline_kernelINS0_14default_configENS1_25transform_config_selectorImLb1EEEZNS1_14transform_implILb1ES3_S5_PmS7_NS0_8identityIvEEEE10hipError_tT2_T3_mT4_P12ihipStream_tbEUlT_E_NS1_11comp_targetILNS1_3genE0ELNS1_11target_archE4294967295ELNS1_3gpuE0ELNS1_3repE0EEENS1_30default_config_static_selectorELNS0_4arch9wavefront6targetE0EEEvT1_
                                        ; -- End function
	.set _ZN7rocprim17ROCPRIM_400000_NS6detail17trampoline_kernelINS0_14default_configENS1_25transform_config_selectorImLb1EEEZNS1_14transform_implILb1ES3_S5_PmS7_NS0_8identityIvEEEE10hipError_tT2_T3_mT4_P12ihipStream_tbEUlT_E_NS1_11comp_targetILNS1_3genE0ELNS1_11target_archE4294967295ELNS1_3gpuE0ELNS1_3repE0EEENS1_30default_config_static_selectorELNS0_4arch9wavefront6targetE0EEEvT1_.num_vgpr, 4
	.set _ZN7rocprim17ROCPRIM_400000_NS6detail17trampoline_kernelINS0_14default_configENS1_25transform_config_selectorImLb1EEEZNS1_14transform_implILb1ES3_S5_PmS7_NS0_8identityIvEEEE10hipError_tT2_T3_mT4_P12ihipStream_tbEUlT_E_NS1_11comp_targetILNS1_3genE0ELNS1_11target_archE4294967295ELNS1_3gpuE0ELNS1_3repE0EEENS1_30default_config_static_selectorELNS0_4arch9wavefront6targetE0EEEvT1_.num_agpr, 0
	.set _ZN7rocprim17ROCPRIM_400000_NS6detail17trampoline_kernelINS0_14default_configENS1_25transform_config_selectorImLb1EEEZNS1_14transform_implILb1ES3_S5_PmS7_NS0_8identityIvEEEE10hipError_tT2_T3_mT4_P12ihipStream_tbEUlT_E_NS1_11comp_targetILNS1_3genE0ELNS1_11target_archE4294967295ELNS1_3gpuE0ELNS1_3repE0EEENS1_30default_config_static_selectorELNS0_4arch9wavefront6targetE0EEEvT1_.numbered_sgpr, 10
	.set _ZN7rocprim17ROCPRIM_400000_NS6detail17trampoline_kernelINS0_14default_configENS1_25transform_config_selectorImLb1EEEZNS1_14transform_implILb1ES3_S5_PmS7_NS0_8identityIvEEEE10hipError_tT2_T3_mT4_P12ihipStream_tbEUlT_E_NS1_11comp_targetILNS1_3genE0ELNS1_11target_archE4294967295ELNS1_3gpuE0ELNS1_3repE0EEENS1_30default_config_static_selectorELNS0_4arch9wavefront6targetE0EEEvT1_.num_named_barrier, 0
	.set _ZN7rocprim17ROCPRIM_400000_NS6detail17trampoline_kernelINS0_14default_configENS1_25transform_config_selectorImLb1EEEZNS1_14transform_implILb1ES3_S5_PmS7_NS0_8identityIvEEEE10hipError_tT2_T3_mT4_P12ihipStream_tbEUlT_E_NS1_11comp_targetILNS1_3genE0ELNS1_11target_archE4294967295ELNS1_3gpuE0ELNS1_3repE0EEENS1_30default_config_static_selectorELNS0_4arch9wavefront6targetE0EEEvT1_.private_seg_size, 0
	.set _ZN7rocprim17ROCPRIM_400000_NS6detail17trampoline_kernelINS0_14default_configENS1_25transform_config_selectorImLb1EEEZNS1_14transform_implILb1ES3_S5_PmS7_NS0_8identityIvEEEE10hipError_tT2_T3_mT4_P12ihipStream_tbEUlT_E_NS1_11comp_targetILNS1_3genE0ELNS1_11target_archE4294967295ELNS1_3gpuE0ELNS1_3repE0EEENS1_30default_config_static_selectorELNS0_4arch9wavefront6targetE0EEEvT1_.uses_vcc, 1
	.set _ZN7rocprim17ROCPRIM_400000_NS6detail17trampoline_kernelINS0_14default_configENS1_25transform_config_selectorImLb1EEEZNS1_14transform_implILb1ES3_S5_PmS7_NS0_8identityIvEEEE10hipError_tT2_T3_mT4_P12ihipStream_tbEUlT_E_NS1_11comp_targetILNS1_3genE0ELNS1_11target_archE4294967295ELNS1_3gpuE0ELNS1_3repE0EEENS1_30default_config_static_selectorELNS0_4arch9wavefront6targetE0EEEvT1_.uses_flat_scratch, 0
	.set _ZN7rocprim17ROCPRIM_400000_NS6detail17trampoline_kernelINS0_14default_configENS1_25transform_config_selectorImLb1EEEZNS1_14transform_implILb1ES3_S5_PmS7_NS0_8identityIvEEEE10hipError_tT2_T3_mT4_P12ihipStream_tbEUlT_E_NS1_11comp_targetILNS1_3genE0ELNS1_11target_archE4294967295ELNS1_3gpuE0ELNS1_3repE0EEENS1_30default_config_static_selectorELNS0_4arch9wavefront6targetE0EEEvT1_.has_dyn_sized_stack, 0
	.set _ZN7rocprim17ROCPRIM_400000_NS6detail17trampoline_kernelINS0_14default_configENS1_25transform_config_selectorImLb1EEEZNS1_14transform_implILb1ES3_S5_PmS7_NS0_8identityIvEEEE10hipError_tT2_T3_mT4_P12ihipStream_tbEUlT_E_NS1_11comp_targetILNS1_3genE0ELNS1_11target_archE4294967295ELNS1_3gpuE0ELNS1_3repE0EEENS1_30default_config_static_selectorELNS0_4arch9wavefront6targetE0EEEvT1_.has_recursion, 0
	.set _ZN7rocprim17ROCPRIM_400000_NS6detail17trampoline_kernelINS0_14default_configENS1_25transform_config_selectorImLb1EEEZNS1_14transform_implILb1ES3_S5_PmS7_NS0_8identityIvEEEE10hipError_tT2_T3_mT4_P12ihipStream_tbEUlT_E_NS1_11comp_targetILNS1_3genE0ELNS1_11target_archE4294967295ELNS1_3gpuE0ELNS1_3repE0EEENS1_30default_config_static_selectorELNS0_4arch9wavefront6targetE0EEEvT1_.has_indirect_call, 0
	.section	.AMDGPU.csdata,"",@progbits
; Kernel info:
; codeLenInByte = 192
; TotalNumSgprs: 12
; NumVgprs: 4
; ScratchSize: 0
; MemoryBound: 0
; FloatMode: 240
; IeeeMode: 1
; LDSByteSize: 0 bytes/workgroup (compile time only)
; SGPRBlocks: 0
; VGPRBlocks: 0
; NumSGPRsForWavesPerEU: 12
; NumVGPRsForWavesPerEU: 4
; NamedBarCnt: 0
; Occupancy: 16
; WaveLimiterHint : 0
; COMPUTE_PGM_RSRC2:SCRATCH_EN: 0
; COMPUTE_PGM_RSRC2:USER_SGPR: 2
; COMPUTE_PGM_RSRC2:TRAP_HANDLER: 0
; COMPUTE_PGM_RSRC2:TGID_X_EN: 1
; COMPUTE_PGM_RSRC2:TGID_Y_EN: 0
; COMPUTE_PGM_RSRC2:TGID_Z_EN: 0
; COMPUTE_PGM_RSRC2:TIDIG_COMP_CNT: 0
	.section	.text._ZN7rocprim17ROCPRIM_400000_NS6detail17trampoline_kernelINS0_14default_configENS1_25transform_config_selectorImLb1EEEZNS1_14transform_implILb1ES3_S5_PmS7_NS0_8identityIvEEEE10hipError_tT2_T3_mT4_P12ihipStream_tbEUlT_E_NS1_11comp_targetILNS1_3genE10ELNS1_11target_archE1201ELNS1_3gpuE5ELNS1_3repE0EEENS1_30default_config_static_selectorELNS0_4arch9wavefront6targetE0EEEvT1_,"axG",@progbits,_ZN7rocprim17ROCPRIM_400000_NS6detail17trampoline_kernelINS0_14default_configENS1_25transform_config_selectorImLb1EEEZNS1_14transform_implILb1ES3_S5_PmS7_NS0_8identityIvEEEE10hipError_tT2_T3_mT4_P12ihipStream_tbEUlT_E_NS1_11comp_targetILNS1_3genE10ELNS1_11target_archE1201ELNS1_3gpuE5ELNS1_3repE0EEENS1_30default_config_static_selectorELNS0_4arch9wavefront6targetE0EEEvT1_,comdat
	.protected	_ZN7rocprim17ROCPRIM_400000_NS6detail17trampoline_kernelINS0_14default_configENS1_25transform_config_selectorImLb1EEEZNS1_14transform_implILb1ES3_S5_PmS7_NS0_8identityIvEEEE10hipError_tT2_T3_mT4_P12ihipStream_tbEUlT_E_NS1_11comp_targetILNS1_3genE10ELNS1_11target_archE1201ELNS1_3gpuE5ELNS1_3repE0EEENS1_30default_config_static_selectorELNS0_4arch9wavefront6targetE0EEEvT1_ ; -- Begin function _ZN7rocprim17ROCPRIM_400000_NS6detail17trampoline_kernelINS0_14default_configENS1_25transform_config_selectorImLb1EEEZNS1_14transform_implILb1ES3_S5_PmS7_NS0_8identityIvEEEE10hipError_tT2_T3_mT4_P12ihipStream_tbEUlT_E_NS1_11comp_targetILNS1_3genE10ELNS1_11target_archE1201ELNS1_3gpuE5ELNS1_3repE0EEENS1_30default_config_static_selectorELNS0_4arch9wavefront6targetE0EEEvT1_
	.globl	_ZN7rocprim17ROCPRIM_400000_NS6detail17trampoline_kernelINS0_14default_configENS1_25transform_config_selectorImLb1EEEZNS1_14transform_implILb1ES3_S5_PmS7_NS0_8identityIvEEEE10hipError_tT2_T3_mT4_P12ihipStream_tbEUlT_E_NS1_11comp_targetILNS1_3genE10ELNS1_11target_archE1201ELNS1_3gpuE5ELNS1_3repE0EEENS1_30default_config_static_selectorELNS0_4arch9wavefront6targetE0EEEvT1_
	.p2align	8
	.type	_ZN7rocprim17ROCPRIM_400000_NS6detail17trampoline_kernelINS0_14default_configENS1_25transform_config_selectorImLb1EEEZNS1_14transform_implILb1ES3_S5_PmS7_NS0_8identityIvEEEE10hipError_tT2_T3_mT4_P12ihipStream_tbEUlT_E_NS1_11comp_targetILNS1_3genE10ELNS1_11target_archE1201ELNS1_3gpuE5ELNS1_3repE0EEENS1_30default_config_static_selectorELNS0_4arch9wavefront6targetE0EEEvT1_,@function
_ZN7rocprim17ROCPRIM_400000_NS6detail17trampoline_kernelINS0_14default_configENS1_25transform_config_selectorImLb1EEEZNS1_14transform_implILb1ES3_S5_PmS7_NS0_8identityIvEEEE10hipError_tT2_T3_mT4_P12ihipStream_tbEUlT_E_NS1_11comp_targetILNS1_3genE10ELNS1_11target_archE1201ELNS1_3gpuE5ELNS1_3repE0EEENS1_30default_config_static_selectorELNS0_4arch9wavefront6targetE0EEEvT1_: ; @_ZN7rocprim17ROCPRIM_400000_NS6detail17trampoline_kernelINS0_14default_configENS1_25transform_config_selectorImLb1EEEZNS1_14transform_implILb1ES3_S5_PmS7_NS0_8identityIvEEEE10hipError_tT2_T3_mT4_P12ihipStream_tbEUlT_E_NS1_11comp_targetILNS1_3genE10ELNS1_11target_archE1201ELNS1_3gpuE5ELNS1_3repE0EEENS1_30default_config_static_selectorELNS0_4arch9wavefront6targetE0EEEvT1_
; %bb.0:
	.section	.rodata,"a",@progbits
	.p2align	6, 0x0
	.amdhsa_kernel _ZN7rocprim17ROCPRIM_400000_NS6detail17trampoline_kernelINS0_14default_configENS1_25transform_config_selectorImLb1EEEZNS1_14transform_implILb1ES3_S5_PmS7_NS0_8identityIvEEEE10hipError_tT2_T3_mT4_P12ihipStream_tbEUlT_E_NS1_11comp_targetILNS1_3genE10ELNS1_11target_archE1201ELNS1_3gpuE5ELNS1_3repE0EEENS1_30default_config_static_selectorELNS0_4arch9wavefront6targetE0EEEvT1_
		.amdhsa_group_segment_fixed_size 0
		.amdhsa_private_segment_fixed_size 0
		.amdhsa_kernarg_size 40
		.amdhsa_user_sgpr_count 2
		.amdhsa_user_sgpr_dispatch_ptr 0
		.amdhsa_user_sgpr_queue_ptr 0
		.amdhsa_user_sgpr_kernarg_segment_ptr 1
		.amdhsa_user_sgpr_dispatch_id 0
		.amdhsa_user_sgpr_kernarg_preload_length 0
		.amdhsa_user_sgpr_kernarg_preload_offset 0
		.amdhsa_user_sgpr_private_segment_size 0
		.amdhsa_wavefront_size32 1
		.amdhsa_uses_dynamic_stack 0
		.amdhsa_enable_private_segment 0
		.amdhsa_system_sgpr_workgroup_id_x 1
		.amdhsa_system_sgpr_workgroup_id_y 0
		.amdhsa_system_sgpr_workgroup_id_z 0
		.amdhsa_system_sgpr_workgroup_info 0
		.amdhsa_system_vgpr_workitem_id 0
		.amdhsa_next_free_vgpr 1
		.amdhsa_next_free_sgpr 1
		.amdhsa_named_barrier_count 0
		.amdhsa_reserve_vcc 0
		.amdhsa_float_round_mode_32 0
		.amdhsa_float_round_mode_16_64 0
		.amdhsa_float_denorm_mode_32 3
		.amdhsa_float_denorm_mode_16_64 3
		.amdhsa_fp16_overflow 0
		.amdhsa_memory_ordered 1
		.amdhsa_forward_progress 1
		.amdhsa_inst_pref_size 0
		.amdhsa_round_robin_scheduling 0
		.amdhsa_exception_fp_ieee_invalid_op 0
		.amdhsa_exception_fp_denorm_src 0
		.amdhsa_exception_fp_ieee_div_zero 0
		.amdhsa_exception_fp_ieee_overflow 0
		.amdhsa_exception_fp_ieee_underflow 0
		.amdhsa_exception_fp_ieee_inexact 0
		.amdhsa_exception_int_div_zero 0
	.end_amdhsa_kernel
	.section	.text._ZN7rocprim17ROCPRIM_400000_NS6detail17trampoline_kernelINS0_14default_configENS1_25transform_config_selectorImLb1EEEZNS1_14transform_implILb1ES3_S5_PmS7_NS0_8identityIvEEEE10hipError_tT2_T3_mT4_P12ihipStream_tbEUlT_E_NS1_11comp_targetILNS1_3genE10ELNS1_11target_archE1201ELNS1_3gpuE5ELNS1_3repE0EEENS1_30default_config_static_selectorELNS0_4arch9wavefront6targetE0EEEvT1_,"axG",@progbits,_ZN7rocprim17ROCPRIM_400000_NS6detail17trampoline_kernelINS0_14default_configENS1_25transform_config_selectorImLb1EEEZNS1_14transform_implILb1ES3_S5_PmS7_NS0_8identityIvEEEE10hipError_tT2_T3_mT4_P12ihipStream_tbEUlT_E_NS1_11comp_targetILNS1_3genE10ELNS1_11target_archE1201ELNS1_3gpuE5ELNS1_3repE0EEENS1_30default_config_static_selectorELNS0_4arch9wavefront6targetE0EEEvT1_,comdat
.Lfunc_end170:
	.size	_ZN7rocprim17ROCPRIM_400000_NS6detail17trampoline_kernelINS0_14default_configENS1_25transform_config_selectorImLb1EEEZNS1_14transform_implILb1ES3_S5_PmS7_NS0_8identityIvEEEE10hipError_tT2_T3_mT4_P12ihipStream_tbEUlT_E_NS1_11comp_targetILNS1_3genE10ELNS1_11target_archE1201ELNS1_3gpuE5ELNS1_3repE0EEENS1_30default_config_static_selectorELNS0_4arch9wavefront6targetE0EEEvT1_, .Lfunc_end170-_ZN7rocprim17ROCPRIM_400000_NS6detail17trampoline_kernelINS0_14default_configENS1_25transform_config_selectorImLb1EEEZNS1_14transform_implILb1ES3_S5_PmS7_NS0_8identityIvEEEE10hipError_tT2_T3_mT4_P12ihipStream_tbEUlT_E_NS1_11comp_targetILNS1_3genE10ELNS1_11target_archE1201ELNS1_3gpuE5ELNS1_3repE0EEENS1_30default_config_static_selectorELNS0_4arch9wavefront6targetE0EEEvT1_
                                        ; -- End function
	.set _ZN7rocprim17ROCPRIM_400000_NS6detail17trampoline_kernelINS0_14default_configENS1_25transform_config_selectorImLb1EEEZNS1_14transform_implILb1ES3_S5_PmS7_NS0_8identityIvEEEE10hipError_tT2_T3_mT4_P12ihipStream_tbEUlT_E_NS1_11comp_targetILNS1_3genE10ELNS1_11target_archE1201ELNS1_3gpuE5ELNS1_3repE0EEENS1_30default_config_static_selectorELNS0_4arch9wavefront6targetE0EEEvT1_.num_vgpr, 0
	.set _ZN7rocprim17ROCPRIM_400000_NS6detail17trampoline_kernelINS0_14default_configENS1_25transform_config_selectorImLb1EEEZNS1_14transform_implILb1ES3_S5_PmS7_NS0_8identityIvEEEE10hipError_tT2_T3_mT4_P12ihipStream_tbEUlT_E_NS1_11comp_targetILNS1_3genE10ELNS1_11target_archE1201ELNS1_3gpuE5ELNS1_3repE0EEENS1_30default_config_static_selectorELNS0_4arch9wavefront6targetE0EEEvT1_.num_agpr, 0
	.set _ZN7rocprim17ROCPRIM_400000_NS6detail17trampoline_kernelINS0_14default_configENS1_25transform_config_selectorImLb1EEEZNS1_14transform_implILb1ES3_S5_PmS7_NS0_8identityIvEEEE10hipError_tT2_T3_mT4_P12ihipStream_tbEUlT_E_NS1_11comp_targetILNS1_3genE10ELNS1_11target_archE1201ELNS1_3gpuE5ELNS1_3repE0EEENS1_30default_config_static_selectorELNS0_4arch9wavefront6targetE0EEEvT1_.numbered_sgpr, 0
	.set _ZN7rocprim17ROCPRIM_400000_NS6detail17trampoline_kernelINS0_14default_configENS1_25transform_config_selectorImLb1EEEZNS1_14transform_implILb1ES3_S5_PmS7_NS0_8identityIvEEEE10hipError_tT2_T3_mT4_P12ihipStream_tbEUlT_E_NS1_11comp_targetILNS1_3genE10ELNS1_11target_archE1201ELNS1_3gpuE5ELNS1_3repE0EEENS1_30default_config_static_selectorELNS0_4arch9wavefront6targetE0EEEvT1_.num_named_barrier, 0
	.set _ZN7rocprim17ROCPRIM_400000_NS6detail17trampoline_kernelINS0_14default_configENS1_25transform_config_selectorImLb1EEEZNS1_14transform_implILb1ES3_S5_PmS7_NS0_8identityIvEEEE10hipError_tT2_T3_mT4_P12ihipStream_tbEUlT_E_NS1_11comp_targetILNS1_3genE10ELNS1_11target_archE1201ELNS1_3gpuE5ELNS1_3repE0EEENS1_30default_config_static_selectorELNS0_4arch9wavefront6targetE0EEEvT1_.private_seg_size, 0
	.set _ZN7rocprim17ROCPRIM_400000_NS6detail17trampoline_kernelINS0_14default_configENS1_25transform_config_selectorImLb1EEEZNS1_14transform_implILb1ES3_S5_PmS7_NS0_8identityIvEEEE10hipError_tT2_T3_mT4_P12ihipStream_tbEUlT_E_NS1_11comp_targetILNS1_3genE10ELNS1_11target_archE1201ELNS1_3gpuE5ELNS1_3repE0EEENS1_30default_config_static_selectorELNS0_4arch9wavefront6targetE0EEEvT1_.uses_vcc, 0
	.set _ZN7rocprim17ROCPRIM_400000_NS6detail17trampoline_kernelINS0_14default_configENS1_25transform_config_selectorImLb1EEEZNS1_14transform_implILb1ES3_S5_PmS7_NS0_8identityIvEEEE10hipError_tT2_T3_mT4_P12ihipStream_tbEUlT_E_NS1_11comp_targetILNS1_3genE10ELNS1_11target_archE1201ELNS1_3gpuE5ELNS1_3repE0EEENS1_30default_config_static_selectorELNS0_4arch9wavefront6targetE0EEEvT1_.uses_flat_scratch, 0
	.set _ZN7rocprim17ROCPRIM_400000_NS6detail17trampoline_kernelINS0_14default_configENS1_25transform_config_selectorImLb1EEEZNS1_14transform_implILb1ES3_S5_PmS7_NS0_8identityIvEEEE10hipError_tT2_T3_mT4_P12ihipStream_tbEUlT_E_NS1_11comp_targetILNS1_3genE10ELNS1_11target_archE1201ELNS1_3gpuE5ELNS1_3repE0EEENS1_30default_config_static_selectorELNS0_4arch9wavefront6targetE0EEEvT1_.has_dyn_sized_stack, 0
	.set _ZN7rocprim17ROCPRIM_400000_NS6detail17trampoline_kernelINS0_14default_configENS1_25transform_config_selectorImLb1EEEZNS1_14transform_implILb1ES3_S5_PmS7_NS0_8identityIvEEEE10hipError_tT2_T3_mT4_P12ihipStream_tbEUlT_E_NS1_11comp_targetILNS1_3genE10ELNS1_11target_archE1201ELNS1_3gpuE5ELNS1_3repE0EEENS1_30default_config_static_selectorELNS0_4arch9wavefront6targetE0EEEvT1_.has_recursion, 0
	.set _ZN7rocprim17ROCPRIM_400000_NS6detail17trampoline_kernelINS0_14default_configENS1_25transform_config_selectorImLb1EEEZNS1_14transform_implILb1ES3_S5_PmS7_NS0_8identityIvEEEE10hipError_tT2_T3_mT4_P12ihipStream_tbEUlT_E_NS1_11comp_targetILNS1_3genE10ELNS1_11target_archE1201ELNS1_3gpuE5ELNS1_3repE0EEENS1_30default_config_static_selectorELNS0_4arch9wavefront6targetE0EEEvT1_.has_indirect_call, 0
	.section	.AMDGPU.csdata,"",@progbits
; Kernel info:
; codeLenInByte = 0
; TotalNumSgprs: 0
; NumVgprs: 0
; ScratchSize: 0
; MemoryBound: 0
; FloatMode: 240
; IeeeMode: 1
; LDSByteSize: 0 bytes/workgroup (compile time only)
; SGPRBlocks: 0
; VGPRBlocks: 0
; NumSGPRsForWavesPerEU: 1
; NumVGPRsForWavesPerEU: 1
; NamedBarCnt: 0
; Occupancy: 16
; WaveLimiterHint : 0
; COMPUTE_PGM_RSRC2:SCRATCH_EN: 0
; COMPUTE_PGM_RSRC2:USER_SGPR: 2
; COMPUTE_PGM_RSRC2:TRAP_HANDLER: 0
; COMPUTE_PGM_RSRC2:TGID_X_EN: 1
; COMPUTE_PGM_RSRC2:TGID_Y_EN: 0
; COMPUTE_PGM_RSRC2:TGID_Z_EN: 0
; COMPUTE_PGM_RSRC2:TIDIG_COMP_CNT: 0
	.section	.text._ZN7rocprim17ROCPRIM_400000_NS6detail17trampoline_kernelINS0_14default_configENS1_25transform_config_selectorImLb1EEEZNS1_14transform_implILb1ES3_S5_PmS7_NS0_8identityIvEEEE10hipError_tT2_T3_mT4_P12ihipStream_tbEUlT_E_NS1_11comp_targetILNS1_3genE5ELNS1_11target_archE942ELNS1_3gpuE9ELNS1_3repE0EEENS1_30default_config_static_selectorELNS0_4arch9wavefront6targetE0EEEvT1_,"axG",@progbits,_ZN7rocprim17ROCPRIM_400000_NS6detail17trampoline_kernelINS0_14default_configENS1_25transform_config_selectorImLb1EEEZNS1_14transform_implILb1ES3_S5_PmS7_NS0_8identityIvEEEE10hipError_tT2_T3_mT4_P12ihipStream_tbEUlT_E_NS1_11comp_targetILNS1_3genE5ELNS1_11target_archE942ELNS1_3gpuE9ELNS1_3repE0EEENS1_30default_config_static_selectorELNS0_4arch9wavefront6targetE0EEEvT1_,comdat
	.protected	_ZN7rocprim17ROCPRIM_400000_NS6detail17trampoline_kernelINS0_14default_configENS1_25transform_config_selectorImLb1EEEZNS1_14transform_implILb1ES3_S5_PmS7_NS0_8identityIvEEEE10hipError_tT2_T3_mT4_P12ihipStream_tbEUlT_E_NS1_11comp_targetILNS1_3genE5ELNS1_11target_archE942ELNS1_3gpuE9ELNS1_3repE0EEENS1_30default_config_static_selectorELNS0_4arch9wavefront6targetE0EEEvT1_ ; -- Begin function _ZN7rocprim17ROCPRIM_400000_NS6detail17trampoline_kernelINS0_14default_configENS1_25transform_config_selectorImLb1EEEZNS1_14transform_implILb1ES3_S5_PmS7_NS0_8identityIvEEEE10hipError_tT2_T3_mT4_P12ihipStream_tbEUlT_E_NS1_11comp_targetILNS1_3genE5ELNS1_11target_archE942ELNS1_3gpuE9ELNS1_3repE0EEENS1_30default_config_static_selectorELNS0_4arch9wavefront6targetE0EEEvT1_
	.globl	_ZN7rocprim17ROCPRIM_400000_NS6detail17trampoline_kernelINS0_14default_configENS1_25transform_config_selectorImLb1EEEZNS1_14transform_implILb1ES3_S5_PmS7_NS0_8identityIvEEEE10hipError_tT2_T3_mT4_P12ihipStream_tbEUlT_E_NS1_11comp_targetILNS1_3genE5ELNS1_11target_archE942ELNS1_3gpuE9ELNS1_3repE0EEENS1_30default_config_static_selectorELNS0_4arch9wavefront6targetE0EEEvT1_
	.p2align	8
	.type	_ZN7rocprim17ROCPRIM_400000_NS6detail17trampoline_kernelINS0_14default_configENS1_25transform_config_selectorImLb1EEEZNS1_14transform_implILb1ES3_S5_PmS7_NS0_8identityIvEEEE10hipError_tT2_T3_mT4_P12ihipStream_tbEUlT_E_NS1_11comp_targetILNS1_3genE5ELNS1_11target_archE942ELNS1_3gpuE9ELNS1_3repE0EEENS1_30default_config_static_selectorELNS0_4arch9wavefront6targetE0EEEvT1_,@function
_ZN7rocprim17ROCPRIM_400000_NS6detail17trampoline_kernelINS0_14default_configENS1_25transform_config_selectorImLb1EEEZNS1_14transform_implILb1ES3_S5_PmS7_NS0_8identityIvEEEE10hipError_tT2_T3_mT4_P12ihipStream_tbEUlT_E_NS1_11comp_targetILNS1_3genE5ELNS1_11target_archE942ELNS1_3gpuE9ELNS1_3repE0EEENS1_30default_config_static_selectorELNS0_4arch9wavefront6targetE0EEEvT1_: ; @_ZN7rocprim17ROCPRIM_400000_NS6detail17trampoline_kernelINS0_14default_configENS1_25transform_config_selectorImLb1EEEZNS1_14transform_implILb1ES3_S5_PmS7_NS0_8identityIvEEEE10hipError_tT2_T3_mT4_P12ihipStream_tbEUlT_E_NS1_11comp_targetILNS1_3genE5ELNS1_11target_archE942ELNS1_3gpuE9ELNS1_3repE0EEENS1_30default_config_static_selectorELNS0_4arch9wavefront6targetE0EEEvT1_
; %bb.0:
	.section	.rodata,"a",@progbits
	.p2align	6, 0x0
	.amdhsa_kernel _ZN7rocprim17ROCPRIM_400000_NS6detail17trampoline_kernelINS0_14default_configENS1_25transform_config_selectorImLb1EEEZNS1_14transform_implILb1ES3_S5_PmS7_NS0_8identityIvEEEE10hipError_tT2_T3_mT4_P12ihipStream_tbEUlT_E_NS1_11comp_targetILNS1_3genE5ELNS1_11target_archE942ELNS1_3gpuE9ELNS1_3repE0EEENS1_30default_config_static_selectorELNS0_4arch9wavefront6targetE0EEEvT1_
		.amdhsa_group_segment_fixed_size 0
		.amdhsa_private_segment_fixed_size 0
		.amdhsa_kernarg_size 40
		.amdhsa_user_sgpr_count 2
		.amdhsa_user_sgpr_dispatch_ptr 0
		.amdhsa_user_sgpr_queue_ptr 0
		.amdhsa_user_sgpr_kernarg_segment_ptr 1
		.amdhsa_user_sgpr_dispatch_id 0
		.amdhsa_user_sgpr_kernarg_preload_length 0
		.amdhsa_user_sgpr_kernarg_preload_offset 0
		.amdhsa_user_sgpr_private_segment_size 0
		.amdhsa_wavefront_size32 1
		.amdhsa_uses_dynamic_stack 0
		.amdhsa_enable_private_segment 0
		.amdhsa_system_sgpr_workgroup_id_x 1
		.amdhsa_system_sgpr_workgroup_id_y 0
		.amdhsa_system_sgpr_workgroup_id_z 0
		.amdhsa_system_sgpr_workgroup_info 0
		.amdhsa_system_vgpr_workitem_id 0
		.amdhsa_next_free_vgpr 1
		.amdhsa_next_free_sgpr 1
		.amdhsa_named_barrier_count 0
		.amdhsa_reserve_vcc 0
		.amdhsa_float_round_mode_32 0
		.amdhsa_float_round_mode_16_64 0
		.amdhsa_float_denorm_mode_32 3
		.amdhsa_float_denorm_mode_16_64 3
		.amdhsa_fp16_overflow 0
		.amdhsa_memory_ordered 1
		.amdhsa_forward_progress 1
		.amdhsa_inst_pref_size 0
		.amdhsa_round_robin_scheduling 0
		.amdhsa_exception_fp_ieee_invalid_op 0
		.amdhsa_exception_fp_denorm_src 0
		.amdhsa_exception_fp_ieee_div_zero 0
		.amdhsa_exception_fp_ieee_overflow 0
		.amdhsa_exception_fp_ieee_underflow 0
		.amdhsa_exception_fp_ieee_inexact 0
		.amdhsa_exception_int_div_zero 0
	.end_amdhsa_kernel
	.section	.text._ZN7rocprim17ROCPRIM_400000_NS6detail17trampoline_kernelINS0_14default_configENS1_25transform_config_selectorImLb1EEEZNS1_14transform_implILb1ES3_S5_PmS7_NS0_8identityIvEEEE10hipError_tT2_T3_mT4_P12ihipStream_tbEUlT_E_NS1_11comp_targetILNS1_3genE5ELNS1_11target_archE942ELNS1_3gpuE9ELNS1_3repE0EEENS1_30default_config_static_selectorELNS0_4arch9wavefront6targetE0EEEvT1_,"axG",@progbits,_ZN7rocprim17ROCPRIM_400000_NS6detail17trampoline_kernelINS0_14default_configENS1_25transform_config_selectorImLb1EEEZNS1_14transform_implILb1ES3_S5_PmS7_NS0_8identityIvEEEE10hipError_tT2_T3_mT4_P12ihipStream_tbEUlT_E_NS1_11comp_targetILNS1_3genE5ELNS1_11target_archE942ELNS1_3gpuE9ELNS1_3repE0EEENS1_30default_config_static_selectorELNS0_4arch9wavefront6targetE0EEEvT1_,comdat
.Lfunc_end171:
	.size	_ZN7rocprim17ROCPRIM_400000_NS6detail17trampoline_kernelINS0_14default_configENS1_25transform_config_selectorImLb1EEEZNS1_14transform_implILb1ES3_S5_PmS7_NS0_8identityIvEEEE10hipError_tT2_T3_mT4_P12ihipStream_tbEUlT_E_NS1_11comp_targetILNS1_3genE5ELNS1_11target_archE942ELNS1_3gpuE9ELNS1_3repE0EEENS1_30default_config_static_selectorELNS0_4arch9wavefront6targetE0EEEvT1_, .Lfunc_end171-_ZN7rocprim17ROCPRIM_400000_NS6detail17trampoline_kernelINS0_14default_configENS1_25transform_config_selectorImLb1EEEZNS1_14transform_implILb1ES3_S5_PmS7_NS0_8identityIvEEEE10hipError_tT2_T3_mT4_P12ihipStream_tbEUlT_E_NS1_11comp_targetILNS1_3genE5ELNS1_11target_archE942ELNS1_3gpuE9ELNS1_3repE0EEENS1_30default_config_static_selectorELNS0_4arch9wavefront6targetE0EEEvT1_
                                        ; -- End function
	.set _ZN7rocprim17ROCPRIM_400000_NS6detail17trampoline_kernelINS0_14default_configENS1_25transform_config_selectorImLb1EEEZNS1_14transform_implILb1ES3_S5_PmS7_NS0_8identityIvEEEE10hipError_tT2_T3_mT4_P12ihipStream_tbEUlT_E_NS1_11comp_targetILNS1_3genE5ELNS1_11target_archE942ELNS1_3gpuE9ELNS1_3repE0EEENS1_30default_config_static_selectorELNS0_4arch9wavefront6targetE0EEEvT1_.num_vgpr, 0
	.set _ZN7rocprim17ROCPRIM_400000_NS6detail17trampoline_kernelINS0_14default_configENS1_25transform_config_selectorImLb1EEEZNS1_14transform_implILb1ES3_S5_PmS7_NS0_8identityIvEEEE10hipError_tT2_T3_mT4_P12ihipStream_tbEUlT_E_NS1_11comp_targetILNS1_3genE5ELNS1_11target_archE942ELNS1_3gpuE9ELNS1_3repE0EEENS1_30default_config_static_selectorELNS0_4arch9wavefront6targetE0EEEvT1_.num_agpr, 0
	.set _ZN7rocprim17ROCPRIM_400000_NS6detail17trampoline_kernelINS0_14default_configENS1_25transform_config_selectorImLb1EEEZNS1_14transform_implILb1ES3_S5_PmS7_NS0_8identityIvEEEE10hipError_tT2_T3_mT4_P12ihipStream_tbEUlT_E_NS1_11comp_targetILNS1_3genE5ELNS1_11target_archE942ELNS1_3gpuE9ELNS1_3repE0EEENS1_30default_config_static_selectorELNS0_4arch9wavefront6targetE0EEEvT1_.numbered_sgpr, 0
	.set _ZN7rocprim17ROCPRIM_400000_NS6detail17trampoline_kernelINS0_14default_configENS1_25transform_config_selectorImLb1EEEZNS1_14transform_implILb1ES3_S5_PmS7_NS0_8identityIvEEEE10hipError_tT2_T3_mT4_P12ihipStream_tbEUlT_E_NS1_11comp_targetILNS1_3genE5ELNS1_11target_archE942ELNS1_3gpuE9ELNS1_3repE0EEENS1_30default_config_static_selectorELNS0_4arch9wavefront6targetE0EEEvT1_.num_named_barrier, 0
	.set _ZN7rocprim17ROCPRIM_400000_NS6detail17trampoline_kernelINS0_14default_configENS1_25transform_config_selectorImLb1EEEZNS1_14transform_implILb1ES3_S5_PmS7_NS0_8identityIvEEEE10hipError_tT2_T3_mT4_P12ihipStream_tbEUlT_E_NS1_11comp_targetILNS1_3genE5ELNS1_11target_archE942ELNS1_3gpuE9ELNS1_3repE0EEENS1_30default_config_static_selectorELNS0_4arch9wavefront6targetE0EEEvT1_.private_seg_size, 0
	.set _ZN7rocprim17ROCPRIM_400000_NS6detail17trampoline_kernelINS0_14default_configENS1_25transform_config_selectorImLb1EEEZNS1_14transform_implILb1ES3_S5_PmS7_NS0_8identityIvEEEE10hipError_tT2_T3_mT4_P12ihipStream_tbEUlT_E_NS1_11comp_targetILNS1_3genE5ELNS1_11target_archE942ELNS1_3gpuE9ELNS1_3repE0EEENS1_30default_config_static_selectorELNS0_4arch9wavefront6targetE0EEEvT1_.uses_vcc, 0
	.set _ZN7rocprim17ROCPRIM_400000_NS6detail17trampoline_kernelINS0_14default_configENS1_25transform_config_selectorImLb1EEEZNS1_14transform_implILb1ES3_S5_PmS7_NS0_8identityIvEEEE10hipError_tT2_T3_mT4_P12ihipStream_tbEUlT_E_NS1_11comp_targetILNS1_3genE5ELNS1_11target_archE942ELNS1_3gpuE9ELNS1_3repE0EEENS1_30default_config_static_selectorELNS0_4arch9wavefront6targetE0EEEvT1_.uses_flat_scratch, 0
	.set _ZN7rocprim17ROCPRIM_400000_NS6detail17trampoline_kernelINS0_14default_configENS1_25transform_config_selectorImLb1EEEZNS1_14transform_implILb1ES3_S5_PmS7_NS0_8identityIvEEEE10hipError_tT2_T3_mT4_P12ihipStream_tbEUlT_E_NS1_11comp_targetILNS1_3genE5ELNS1_11target_archE942ELNS1_3gpuE9ELNS1_3repE0EEENS1_30default_config_static_selectorELNS0_4arch9wavefront6targetE0EEEvT1_.has_dyn_sized_stack, 0
	.set _ZN7rocprim17ROCPRIM_400000_NS6detail17trampoline_kernelINS0_14default_configENS1_25transform_config_selectorImLb1EEEZNS1_14transform_implILb1ES3_S5_PmS7_NS0_8identityIvEEEE10hipError_tT2_T3_mT4_P12ihipStream_tbEUlT_E_NS1_11comp_targetILNS1_3genE5ELNS1_11target_archE942ELNS1_3gpuE9ELNS1_3repE0EEENS1_30default_config_static_selectorELNS0_4arch9wavefront6targetE0EEEvT1_.has_recursion, 0
	.set _ZN7rocprim17ROCPRIM_400000_NS6detail17trampoline_kernelINS0_14default_configENS1_25transform_config_selectorImLb1EEEZNS1_14transform_implILb1ES3_S5_PmS7_NS0_8identityIvEEEE10hipError_tT2_T3_mT4_P12ihipStream_tbEUlT_E_NS1_11comp_targetILNS1_3genE5ELNS1_11target_archE942ELNS1_3gpuE9ELNS1_3repE0EEENS1_30default_config_static_selectorELNS0_4arch9wavefront6targetE0EEEvT1_.has_indirect_call, 0
	.section	.AMDGPU.csdata,"",@progbits
; Kernel info:
; codeLenInByte = 0
; TotalNumSgprs: 0
; NumVgprs: 0
; ScratchSize: 0
; MemoryBound: 0
; FloatMode: 240
; IeeeMode: 1
; LDSByteSize: 0 bytes/workgroup (compile time only)
; SGPRBlocks: 0
; VGPRBlocks: 0
; NumSGPRsForWavesPerEU: 1
; NumVGPRsForWavesPerEU: 1
; NamedBarCnt: 0
; Occupancy: 16
; WaveLimiterHint : 0
; COMPUTE_PGM_RSRC2:SCRATCH_EN: 0
; COMPUTE_PGM_RSRC2:USER_SGPR: 2
; COMPUTE_PGM_RSRC2:TRAP_HANDLER: 0
; COMPUTE_PGM_RSRC2:TGID_X_EN: 1
; COMPUTE_PGM_RSRC2:TGID_Y_EN: 0
; COMPUTE_PGM_RSRC2:TGID_Z_EN: 0
; COMPUTE_PGM_RSRC2:TIDIG_COMP_CNT: 0
	.section	.text._ZN7rocprim17ROCPRIM_400000_NS6detail17trampoline_kernelINS0_14default_configENS1_25transform_config_selectorImLb1EEEZNS1_14transform_implILb1ES3_S5_PmS7_NS0_8identityIvEEEE10hipError_tT2_T3_mT4_P12ihipStream_tbEUlT_E_NS1_11comp_targetILNS1_3genE4ELNS1_11target_archE910ELNS1_3gpuE8ELNS1_3repE0EEENS1_30default_config_static_selectorELNS0_4arch9wavefront6targetE0EEEvT1_,"axG",@progbits,_ZN7rocprim17ROCPRIM_400000_NS6detail17trampoline_kernelINS0_14default_configENS1_25transform_config_selectorImLb1EEEZNS1_14transform_implILb1ES3_S5_PmS7_NS0_8identityIvEEEE10hipError_tT2_T3_mT4_P12ihipStream_tbEUlT_E_NS1_11comp_targetILNS1_3genE4ELNS1_11target_archE910ELNS1_3gpuE8ELNS1_3repE0EEENS1_30default_config_static_selectorELNS0_4arch9wavefront6targetE0EEEvT1_,comdat
	.protected	_ZN7rocprim17ROCPRIM_400000_NS6detail17trampoline_kernelINS0_14default_configENS1_25transform_config_selectorImLb1EEEZNS1_14transform_implILb1ES3_S5_PmS7_NS0_8identityIvEEEE10hipError_tT2_T3_mT4_P12ihipStream_tbEUlT_E_NS1_11comp_targetILNS1_3genE4ELNS1_11target_archE910ELNS1_3gpuE8ELNS1_3repE0EEENS1_30default_config_static_selectorELNS0_4arch9wavefront6targetE0EEEvT1_ ; -- Begin function _ZN7rocprim17ROCPRIM_400000_NS6detail17trampoline_kernelINS0_14default_configENS1_25transform_config_selectorImLb1EEEZNS1_14transform_implILb1ES3_S5_PmS7_NS0_8identityIvEEEE10hipError_tT2_T3_mT4_P12ihipStream_tbEUlT_E_NS1_11comp_targetILNS1_3genE4ELNS1_11target_archE910ELNS1_3gpuE8ELNS1_3repE0EEENS1_30default_config_static_selectorELNS0_4arch9wavefront6targetE0EEEvT1_
	.globl	_ZN7rocprim17ROCPRIM_400000_NS6detail17trampoline_kernelINS0_14default_configENS1_25transform_config_selectorImLb1EEEZNS1_14transform_implILb1ES3_S5_PmS7_NS0_8identityIvEEEE10hipError_tT2_T3_mT4_P12ihipStream_tbEUlT_E_NS1_11comp_targetILNS1_3genE4ELNS1_11target_archE910ELNS1_3gpuE8ELNS1_3repE0EEENS1_30default_config_static_selectorELNS0_4arch9wavefront6targetE0EEEvT1_
	.p2align	8
	.type	_ZN7rocprim17ROCPRIM_400000_NS6detail17trampoline_kernelINS0_14default_configENS1_25transform_config_selectorImLb1EEEZNS1_14transform_implILb1ES3_S5_PmS7_NS0_8identityIvEEEE10hipError_tT2_T3_mT4_P12ihipStream_tbEUlT_E_NS1_11comp_targetILNS1_3genE4ELNS1_11target_archE910ELNS1_3gpuE8ELNS1_3repE0EEENS1_30default_config_static_selectorELNS0_4arch9wavefront6targetE0EEEvT1_,@function
_ZN7rocprim17ROCPRIM_400000_NS6detail17trampoline_kernelINS0_14default_configENS1_25transform_config_selectorImLb1EEEZNS1_14transform_implILb1ES3_S5_PmS7_NS0_8identityIvEEEE10hipError_tT2_T3_mT4_P12ihipStream_tbEUlT_E_NS1_11comp_targetILNS1_3genE4ELNS1_11target_archE910ELNS1_3gpuE8ELNS1_3repE0EEENS1_30default_config_static_selectorELNS0_4arch9wavefront6targetE0EEEvT1_: ; @_ZN7rocprim17ROCPRIM_400000_NS6detail17trampoline_kernelINS0_14default_configENS1_25transform_config_selectorImLb1EEEZNS1_14transform_implILb1ES3_S5_PmS7_NS0_8identityIvEEEE10hipError_tT2_T3_mT4_P12ihipStream_tbEUlT_E_NS1_11comp_targetILNS1_3genE4ELNS1_11target_archE910ELNS1_3gpuE8ELNS1_3repE0EEENS1_30default_config_static_selectorELNS0_4arch9wavefront6targetE0EEEvT1_
; %bb.0:
	.section	.rodata,"a",@progbits
	.p2align	6, 0x0
	.amdhsa_kernel _ZN7rocprim17ROCPRIM_400000_NS6detail17trampoline_kernelINS0_14default_configENS1_25transform_config_selectorImLb1EEEZNS1_14transform_implILb1ES3_S5_PmS7_NS0_8identityIvEEEE10hipError_tT2_T3_mT4_P12ihipStream_tbEUlT_E_NS1_11comp_targetILNS1_3genE4ELNS1_11target_archE910ELNS1_3gpuE8ELNS1_3repE0EEENS1_30default_config_static_selectorELNS0_4arch9wavefront6targetE0EEEvT1_
		.amdhsa_group_segment_fixed_size 0
		.amdhsa_private_segment_fixed_size 0
		.amdhsa_kernarg_size 40
		.amdhsa_user_sgpr_count 2
		.amdhsa_user_sgpr_dispatch_ptr 0
		.amdhsa_user_sgpr_queue_ptr 0
		.amdhsa_user_sgpr_kernarg_segment_ptr 1
		.amdhsa_user_sgpr_dispatch_id 0
		.amdhsa_user_sgpr_kernarg_preload_length 0
		.amdhsa_user_sgpr_kernarg_preload_offset 0
		.amdhsa_user_sgpr_private_segment_size 0
		.amdhsa_wavefront_size32 1
		.amdhsa_uses_dynamic_stack 0
		.amdhsa_enable_private_segment 0
		.amdhsa_system_sgpr_workgroup_id_x 1
		.amdhsa_system_sgpr_workgroup_id_y 0
		.amdhsa_system_sgpr_workgroup_id_z 0
		.amdhsa_system_sgpr_workgroup_info 0
		.amdhsa_system_vgpr_workitem_id 0
		.amdhsa_next_free_vgpr 1
		.amdhsa_next_free_sgpr 1
		.amdhsa_named_barrier_count 0
		.amdhsa_reserve_vcc 0
		.amdhsa_float_round_mode_32 0
		.amdhsa_float_round_mode_16_64 0
		.amdhsa_float_denorm_mode_32 3
		.amdhsa_float_denorm_mode_16_64 3
		.amdhsa_fp16_overflow 0
		.amdhsa_memory_ordered 1
		.amdhsa_forward_progress 1
		.amdhsa_inst_pref_size 0
		.amdhsa_round_robin_scheduling 0
		.amdhsa_exception_fp_ieee_invalid_op 0
		.amdhsa_exception_fp_denorm_src 0
		.amdhsa_exception_fp_ieee_div_zero 0
		.amdhsa_exception_fp_ieee_overflow 0
		.amdhsa_exception_fp_ieee_underflow 0
		.amdhsa_exception_fp_ieee_inexact 0
		.amdhsa_exception_int_div_zero 0
	.end_amdhsa_kernel
	.section	.text._ZN7rocprim17ROCPRIM_400000_NS6detail17trampoline_kernelINS0_14default_configENS1_25transform_config_selectorImLb1EEEZNS1_14transform_implILb1ES3_S5_PmS7_NS0_8identityIvEEEE10hipError_tT2_T3_mT4_P12ihipStream_tbEUlT_E_NS1_11comp_targetILNS1_3genE4ELNS1_11target_archE910ELNS1_3gpuE8ELNS1_3repE0EEENS1_30default_config_static_selectorELNS0_4arch9wavefront6targetE0EEEvT1_,"axG",@progbits,_ZN7rocprim17ROCPRIM_400000_NS6detail17trampoline_kernelINS0_14default_configENS1_25transform_config_selectorImLb1EEEZNS1_14transform_implILb1ES3_S5_PmS7_NS0_8identityIvEEEE10hipError_tT2_T3_mT4_P12ihipStream_tbEUlT_E_NS1_11comp_targetILNS1_3genE4ELNS1_11target_archE910ELNS1_3gpuE8ELNS1_3repE0EEENS1_30default_config_static_selectorELNS0_4arch9wavefront6targetE0EEEvT1_,comdat
.Lfunc_end172:
	.size	_ZN7rocprim17ROCPRIM_400000_NS6detail17trampoline_kernelINS0_14default_configENS1_25transform_config_selectorImLb1EEEZNS1_14transform_implILb1ES3_S5_PmS7_NS0_8identityIvEEEE10hipError_tT2_T3_mT4_P12ihipStream_tbEUlT_E_NS1_11comp_targetILNS1_3genE4ELNS1_11target_archE910ELNS1_3gpuE8ELNS1_3repE0EEENS1_30default_config_static_selectorELNS0_4arch9wavefront6targetE0EEEvT1_, .Lfunc_end172-_ZN7rocprim17ROCPRIM_400000_NS6detail17trampoline_kernelINS0_14default_configENS1_25transform_config_selectorImLb1EEEZNS1_14transform_implILb1ES3_S5_PmS7_NS0_8identityIvEEEE10hipError_tT2_T3_mT4_P12ihipStream_tbEUlT_E_NS1_11comp_targetILNS1_3genE4ELNS1_11target_archE910ELNS1_3gpuE8ELNS1_3repE0EEENS1_30default_config_static_selectorELNS0_4arch9wavefront6targetE0EEEvT1_
                                        ; -- End function
	.set _ZN7rocprim17ROCPRIM_400000_NS6detail17trampoline_kernelINS0_14default_configENS1_25transform_config_selectorImLb1EEEZNS1_14transform_implILb1ES3_S5_PmS7_NS0_8identityIvEEEE10hipError_tT2_T3_mT4_P12ihipStream_tbEUlT_E_NS1_11comp_targetILNS1_3genE4ELNS1_11target_archE910ELNS1_3gpuE8ELNS1_3repE0EEENS1_30default_config_static_selectorELNS0_4arch9wavefront6targetE0EEEvT1_.num_vgpr, 0
	.set _ZN7rocprim17ROCPRIM_400000_NS6detail17trampoline_kernelINS0_14default_configENS1_25transform_config_selectorImLb1EEEZNS1_14transform_implILb1ES3_S5_PmS7_NS0_8identityIvEEEE10hipError_tT2_T3_mT4_P12ihipStream_tbEUlT_E_NS1_11comp_targetILNS1_3genE4ELNS1_11target_archE910ELNS1_3gpuE8ELNS1_3repE0EEENS1_30default_config_static_selectorELNS0_4arch9wavefront6targetE0EEEvT1_.num_agpr, 0
	.set _ZN7rocprim17ROCPRIM_400000_NS6detail17trampoline_kernelINS0_14default_configENS1_25transform_config_selectorImLb1EEEZNS1_14transform_implILb1ES3_S5_PmS7_NS0_8identityIvEEEE10hipError_tT2_T3_mT4_P12ihipStream_tbEUlT_E_NS1_11comp_targetILNS1_3genE4ELNS1_11target_archE910ELNS1_3gpuE8ELNS1_3repE0EEENS1_30default_config_static_selectorELNS0_4arch9wavefront6targetE0EEEvT1_.numbered_sgpr, 0
	.set _ZN7rocprim17ROCPRIM_400000_NS6detail17trampoline_kernelINS0_14default_configENS1_25transform_config_selectorImLb1EEEZNS1_14transform_implILb1ES3_S5_PmS7_NS0_8identityIvEEEE10hipError_tT2_T3_mT4_P12ihipStream_tbEUlT_E_NS1_11comp_targetILNS1_3genE4ELNS1_11target_archE910ELNS1_3gpuE8ELNS1_3repE0EEENS1_30default_config_static_selectorELNS0_4arch9wavefront6targetE0EEEvT1_.num_named_barrier, 0
	.set _ZN7rocprim17ROCPRIM_400000_NS6detail17trampoline_kernelINS0_14default_configENS1_25transform_config_selectorImLb1EEEZNS1_14transform_implILb1ES3_S5_PmS7_NS0_8identityIvEEEE10hipError_tT2_T3_mT4_P12ihipStream_tbEUlT_E_NS1_11comp_targetILNS1_3genE4ELNS1_11target_archE910ELNS1_3gpuE8ELNS1_3repE0EEENS1_30default_config_static_selectorELNS0_4arch9wavefront6targetE0EEEvT1_.private_seg_size, 0
	.set _ZN7rocprim17ROCPRIM_400000_NS6detail17trampoline_kernelINS0_14default_configENS1_25transform_config_selectorImLb1EEEZNS1_14transform_implILb1ES3_S5_PmS7_NS0_8identityIvEEEE10hipError_tT2_T3_mT4_P12ihipStream_tbEUlT_E_NS1_11comp_targetILNS1_3genE4ELNS1_11target_archE910ELNS1_3gpuE8ELNS1_3repE0EEENS1_30default_config_static_selectorELNS0_4arch9wavefront6targetE0EEEvT1_.uses_vcc, 0
	.set _ZN7rocprim17ROCPRIM_400000_NS6detail17trampoline_kernelINS0_14default_configENS1_25transform_config_selectorImLb1EEEZNS1_14transform_implILb1ES3_S5_PmS7_NS0_8identityIvEEEE10hipError_tT2_T3_mT4_P12ihipStream_tbEUlT_E_NS1_11comp_targetILNS1_3genE4ELNS1_11target_archE910ELNS1_3gpuE8ELNS1_3repE0EEENS1_30default_config_static_selectorELNS0_4arch9wavefront6targetE0EEEvT1_.uses_flat_scratch, 0
	.set _ZN7rocprim17ROCPRIM_400000_NS6detail17trampoline_kernelINS0_14default_configENS1_25transform_config_selectorImLb1EEEZNS1_14transform_implILb1ES3_S5_PmS7_NS0_8identityIvEEEE10hipError_tT2_T3_mT4_P12ihipStream_tbEUlT_E_NS1_11comp_targetILNS1_3genE4ELNS1_11target_archE910ELNS1_3gpuE8ELNS1_3repE0EEENS1_30default_config_static_selectorELNS0_4arch9wavefront6targetE0EEEvT1_.has_dyn_sized_stack, 0
	.set _ZN7rocprim17ROCPRIM_400000_NS6detail17trampoline_kernelINS0_14default_configENS1_25transform_config_selectorImLb1EEEZNS1_14transform_implILb1ES3_S5_PmS7_NS0_8identityIvEEEE10hipError_tT2_T3_mT4_P12ihipStream_tbEUlT_E_NS1_11comp_targetILNS1_3genE4ELNS1_11target_archE910ELNS1_3gpuE8ELNS1_3repE0EEENS1_30default_config_static_selectorELNS0_4arch9wavefront6targetE0EEEvT1_.has_recursion, 0
	.set _ZN7rocprim17ROCPRIM_400000_NS6detail17trampoline_kernelINS0_14default_configENS1_25transform_config_selectorImLb1EEEZNS1_14transform_implILb1ES3_S5_PmS7_NS0_8identityIvEEEE10hipError_tT2_T3_mT4_P12ihipStream_tbEUlT_E_NS1_11comp_targetILNS1_3genE4ELNS1_11target_archE910ELNS1_3gpuE8ELNS1_3repE0EEENS1_30default_config_static_selectorELNS0_4arch9wavefront6targetE0EEEvT1_.has_indirect_call, 0
	.section	.AMDGPU.csdata,"",@progbits
; Kernel info:
; codeLenInByte = 0
; TotalNumSgprs: 0
; NumVgprs: 0
; ScratchSize: 0
; MemoryBound: 0
; FloatMode: 240
; IeeeMode: 1
; LDSByteSize: 0 bytes/workgroup (compile time only)
; SGPRBlocks: 0
; VGPRBlocks: 0
; NumSGPRsForWavesPerEU: 1
; NumVGPRsForWavesPerEU: 1
; NamedBarCnt: 0
; Occupancy: 16
; WaveLimiterHint : 0
; COMPUTE_PGM_RSRC2:SCRATCH_EN: 0
; COMPUTE_PGM_RSRC2:USER_SGPR: 2
; COMPUTE_PGM_RSRC2:TRAP_HANDLER: 0
; COMPUTE_PGM_RSRC2:TGID_X_EN: 1
; COMPUTE_PGM_RSRC2:TGID_Y_EN: 0
; COMPUTE_PGM_RSRC2:TGID_Z_EN: 0
; COMPUTE_PGM_RSRC2:TIDIG_COMP_CNT: 0
	.section	.text._ZN7rocprim17ROCPRIM_400000_NS6detail17trampoline_kernelINS0_14default_configENS1_25transform_config_selectorImLb1EEEZNS1_14transform_implILb1ES3_S5_PmS7_NS0_8identityIvEEEE10hipError_tT2_T3_mT4_P12ihipStream_tbEUlT_E_NS1_11comp_targetILNS1_3genE3ELNS1_11target_archE908ELNS1_3gpuE7ELNS1_3repE0EEENS1_30default_config_static_selectorELNS0_4arch9wavefront6targetE0EEEvT1_,"axG",@progbits,_ZN7rocprim17ROCPRIM_400000_NS6detail17trampoline_kernelINS0_14default_configENS1_25transform_config_selectorImLb1EEEZNS1_14transform_implILb1ES3_S5_PmS7_NS0_8identityIvEEEE10hipError_tT2_T3_mT4_P12ihipStream_tbEUlT_E_NS1_11comp_targetILNS1_3genE3ELNS1_11target_archE908ELNS1_3gpuE7ELNS1_3repE0EEENS1_30default_config_static_selectorELNS0_4arch9wavefront6targetE0EEEvT1_,comdat
	.protected	_ZN7rocprim17ROCPRIM_400000_NS6detail17trampoline_kernelINS0_14default_configENS1_25transform_config_selectorImLb1EEEZNS1_14transform_implILb1ES3_S5_PmS7_NS0_8identityIvEEEE10hipError_tT2_T3_mT4_P12ihipStream_tbEUlT_E_NS1_11comp_targetILNS1_3genE3ELNS1_11target_archE908ELNS1_3gpuE7ELNS1_3repE0EEENS1_30default_config_static_selectorELNS0_4arch9wavefront6targetE0EEEvT1_ ; -- Begin function _ZN7rocprim17ROCPRIM_400000_NS6detail17trampoline_kernelINS0_14default_configENS1_25transform_config_selectorImLb1EEEZNS1_14transform_implILb1ES3_S5_PmS7_NS0_8identityIvEEEE10hipError_tT2_T3_mT4_P12ihipStream_tbEUlT_E_NS1_11comp_targetILNS1_3genE3ELNS1_11target_archE908ELNS1_3gpuE7ELNS1_3repE0EEENS1_30default_config_static_selectorELNS0_4arch9wavefront6targetE0EEEvT1_
	.globl	_ZN7rocprim17ROCPRIM_400000_NS6detail17trampoline_kernelINS0_14default_configENS1_25transform_config_selectorImLb1EEEZNS1_14transform_implILb1ES3_S5_PmS7_NS0_8identityIvEEEE10hipError_tT2_T3_mT4_P12ihipStream_tbEUlT_E_NS1_11comp_targetILNS1_3genE3ELNS1_11target_archE908ELNS1_3gpuE7ELNS1_3repE0EEENS1_30default_config_static_selectorELNS0_4arch9wavefront6targetE0EEEvT1_
	.p2align	8
	.type	_ZN7rocprim17ROCPRIM_400000_NS6detail17trampoline_kernelINS0_14default_configENS1_25transform_config_selectorImLb1EEEZNS1_14transform_implILb1ES3_S5_PmS7_NS0_8identityIvEEEE10hipError_tT2_T3_mT4_P12ihipStream_tbEUlT_E_NS1_11comp_targetILNS1_3genE3ELNS1_11target_archE908ELNS1_3gpuE7ELNS1_3repE0EEENS1_30default_config_static_selectorELNS0_4arch9wavefront6targetE0EEEvT1_,@function
_ZN7rocprim17ROCPRIM_400000_NS6detail17trampoline_kernelINS0_14default_configENS1_25transform_config_selectorImLb1EEEZNS1_14transform_implILb1ES3_S5_PmS7_NS0_8identityIvEEEE10hipError_tT2_T3_mT4_P12ihipStream_tbEUlT_E_NS1_11comp_targetILNS1_3genE3ELNS1_11target_archE908ELNS1_3gpuE7ELNS1_3repE0EEENS1_30default_config_static_selectorELNS0_4arch9wavefront6targetE0EEEvT1_: ; @_ZN7rocprim17ROCPRIM_400000_NS6detail17trampoline_kernelINS0_14default_configENS1_25transform_config_selectorImLb1EEEZNS1_14transform_implILb1ES3_S5_PmS7_NS0_8identityIvEEEE10hipError_tT2_T3_mT4_P12ihipStream_tbEUlT_E_NS1_11comp_targetILNS1_3genE3ELNS1_11target_archE908ELNS1_3gpuE7ELNS1_3repE0EEENS1_30default_config_static_selectorELNS0_4arch9wavefront6targetE0EEEvT1_
; %bb.0:
	.section	.rodata,"a",@progbits
	.p2align	6, 0x0
	.amdhsa_kernel _ZN7rocprim17ROCPRIM_400000_NS6detail17trampoline_kernelINS0_14default_configENS1_25transform_config_selectorImLb1EEEZNS1_14transform_implILb1ES3_S5_PmS7_NS0_8identityIvEEEE10hipError_tT2_T3_mT4_P12ihipStream_tbEUlT_E_NS1_11comp_targetILNS1_3genE3ELNS1_11target_archE908ELNS1_3gpuE7ELNS1_3repE0EEENS1_30default_config_static_selectorELNS0_4arch9wavefront6targetE0EEEvT1_
		.amdhsa_group_segment_fixed_size 0
		.amdhsa_private_segment_fixed_size 0
		.amdhsa_kernarg_size 40
		.amdhsa_user_sgpr_count 2
		.amdhsa_user_sgpr_dispatch_ptr 0
		.amdhsa_user_sgpr_queue_ptr 0
		.amdhsa_user_sgpr_kernarg_segment_ptr 1
		.amdhsa_user_sgpr_dispatch_id 0
		.amdhsa_user_sgpr_kernarg_preload_length 0
		.amdhsa_user_sgpr_kernarg_preload_offset 0
		.amdhsa_user_sgpr_private_segment_size 0
		.amdhsa_wavefront_size32 1
		.amdhsa_uses_dynamic_stack 0
		.amdhsa_enable_private_segment 0
		.amdhsa_system_sgpr_workgroup_id_x 1
		.amdhsa_system_sgpr_workgroup_id_y 0
		.amdhsa_system_sgpr_workgroup_id_z 0
		.amdhsa_system_sgpr_workgroup_info 0
		.amdhsa_system_vgpr_workitem_id 0
		.amdhsa_next_free_vgpr 1
		.amdhsa_next_free_sgpr 1
		.amdhsa_named_barrier_count 0
		.amdhsa_reserve_vcc 0
		.amdhsa_float_round_mode_32 0
		.amdhsa_float_round_mode_16_64 0
		.amdhsa_float_denorm_mode_32 3
		.amdhsa_float_denorm_mode_16_64 3
		.amdhsa_fp16_overflow 0
		.amdhsa_memory_ordered 1
		.amdhsa_forward_progress 1
		.amdhsa_inst_pref_size 0
		.amdhsa_round_robin_scheduling 0
		.amdhsa_exception_fp_ieee_invalid_op 0
		.amdhsa_exception_fp_denorm_src 0
		.amdhsa_exception_fp_ieee_div_zero 0
		.amdhsa_exception_fp_ieee_overflow 0
		.amdhsa_exception_fp_ieee_underflow 0
		.amdhsa_exception_fp_ieee_inexact 0
		.amdhsa_exception_int_div_zero 0
	.end_amdhsa_kernel
	.section	.text._ZN7rocprim17ROCPRIM_400000_NS6detail17trampoline_kernelINS0_14default_configENS1_25transform_config_selectorImLb1EEEZNS1_14transform_implILb1ES3_S5_PmS7_NS0_8identityIvEEEE10hipError_tT2_T3_mT4_P12ihipStream_tbEUlT_E_NS1_11comp_targetILNS1_3genE3ELNS1_11target_archE908ELNS1_3gpuE7ELNS1_3repE0EEENS1_30default_config_static_selectorELNS0_4arch9wavefront6targetE0EEEvT1_,"axG",@progbits,_ZN7rocprim17ROCPRIM_400000_NS6detail17trampoline_kernelINS0_14default_configENS1_25transform_config_selectorImLb1EEEZNS1_14transform_implILb1ES3_S5_PmS7_NS0_8identityIvEEEE10hipError_tT2_T3_mT4_P12ihipStream_tbEUlT_E_NS1_11comp_targetILNS1_3genE3ELNS1_11target_archE908ELNS1_3gpuE7ELNS1_3repE0EEENS1_30default_config_static_selectorELNS0_4arch9wavefront6targetE0EEEvT1_,comdat
.Lfunc_end173:
	.size	_ZN7rocprim17ROCPRIM_400000_NS6detail17trampoline_kernelINS0_14default_configENS1_25transform_config_selectorImLb1EEEZNS1_14transform_implILb1ES3_S5_PmS7_NS0_8identityIvEEEE10hipError_tT2_T3_mT4_P12ihipStream_tbEUlT_E_NS1_11comp_targetILNS1_3genE3ELNS1_11target_archE908ELNS1_3gpuE7ELNS1_3repE0EEENS1_30default_config_static_selectorELNS0_4arch9wavefront6targetE0EEEvT1_, .Lfunc_end173-_ZN7rocprim17ROCPRIM_400000_NS6detail17trampoline_kernelINS0_14default_configENS1_25transform_config_selectorImLb1EEEZNS1_14transform_implILb1ES3_S5_PmS7_NS0_8identityIvEEEE10hipError_tT2_T3_mT4_P12ihipStream_tbEUlT_E_NS1_11comp_targetILNS1_3genE3ELNS1_11target_archE908ELNS1_3gpuE7ELNS1_3repE0EEENS1_30default_config_static_selectorELNS0_4arch9wavefront6targetE0EEEvT1_
                                        ; -- End function
	.set _ZN7rocprim17ROCPRIM_400000_NS6detail17trampoline_kernelINS0_14default_configENS1_25transform_config_selectorImLb1EEEZNS1_14transform_implILb1ES3_S5_PmS7_NS0_8identityIvEEEE10hipError_tT2_T3_mT4_P12ihipStream_tbEUlT_E_NS1_11comp_targetILNS1_3genE3ELNS1_11target_archE908ELNS1_3gpuE7ELNS1_3repE0EEENS1_30default_config_static_selectorELNS0_4arch9wavefront6targetE0EEEvT1_.num_vgpr, 0
	.set _ZN7rocprim17ROCPRIM_400000_NS6detail17trampoline_kernelINS0_14default_configENS1_25transform_config_selectorImLb1EEEZNS1_14transform_implILb1ES3_S5_PmS7_NS0_8identityIvEEEE10hipError_tT2_T3_mT4_P12ihipStream_tbEUlT_E_NS1_11comp_targetILNS1_3genE3ELNS1_11target_archE908ELNS1_3gpuE7ELNS1_3repE0EEENS1_30default_config_static_selectorELNS0_4arch9wavefront6targetE0EEEvT1_.num_agpr, 0
	.set _ZN7rocprim17ROCPRIM_400000_NS6detail17trampoline_kernelINS0_14default_configENS1_25transform_config_selectorImLb1EEEZNS1_14transform_implILb1ES3_S5_PmS7_NS0_8identityIvEEEE10hipError_tT2_T3_mT4_P12ihipStream_tbEUlT_E_NS1_11comp_targetILNS1_3genE3ELNS1_11target_archE908ELNS1_3gpuE7ELNS1_3repE0EEENS1_30default_config_static_selectorELNS0_4arch9wavefront6targetE0EEEvT1_.numbered_sgpr, 0
	.set _ZN7rocprim17ROCPRIM_400000_NS6detail17trampoline_kernelINS0_14default_configENS1_25transform_config_selectorImLb1EEEZNS1_14transform_implILb1ES3_S5_PmS7_NS0_8identityIvEEEE10hipError_tT2_T3_mT4_P12ihipStream_tbEUlT_E_NS1_11comp_targetILNS1_3genE3ELNS1_11target_archE908ELNS1_3gpuE7ELNS1_3repE0EEENS1_30default_config_static_selectorELNS0_4arch9wavefront6targetE0EEEvT1_.num_named_barrier, 0
	.set _ZN7rocprim17ROCPRIM_400000_NS6detail17trampoline_kernelINS0_14default_configENS1_25transform_config_selectorImLb1EEEZNS1_14transform_implILb1ES3_S5_PmS7_NS0_8identityIvEEEE10hipError_tT2_T3_mT4_P12ihipStream_tbEUlT_E_NS1_11comp_targetILNS1_3genE3ELNS1_11target_archE908ELNS1_3gpuE7ELNS1_3repE0EEENS1_30default_config_static_selectorELNS0_4arch9wavefront6targetE0EEEvT1_.private_seg_size, 0
	.set _ZN7rocprim17ROCPRIM_400000_NS6detail17trampoline_kernelINS0_14default_configENS1_25transform_config_selectorImLb1EEEZNS1_14transform_implILb1ES3_S5_PmS7_NS0_8identityIvEEEE10hipError_tT2_T3_mT4_P12ihipStream_tbEUlT_E_NS1_11comp_targetILNS1_3genE3ELNS1_11target_archE908ELNS1_3gpuE7ELNS1_3repE0EEENS1_30default_config_static_selectorELNS0_4arch9wavefront6targetE0EEEvT1_.uses_vcc, 0
	.set _ZN7rocprim17ROCPRIM_400000_NS6detail17trampoline_kernelINS0_14default_configENS1_25transform_config_selectorImLb1EEEZNS1_14transform_implILb1ES3_S5_PmS7_NS0_8identityIvEEEE10hipError_tT2_T3_mT4_P12ihipStream_tbEUlT_E_NS1_11comp_targetILNS1_3genE3ELNS1_11target_archE908ELNS1_3gpuE7ELNS1_3repE0EEENS1_30default_config_static_selectorELNS0_4arch9wavefront6targetE0EEEvT1_.uses_flat_scratch, 0
	.set _ZN7rocprim17ROCPRIM_400000_NS6detail17trampoline_kernelINS0_14default_configENS1_25transform_config_selectorImLb1EEEZNS1_14transform_implILb1ES3_S5_PmS7_NS0_8identityIvEEEE10hipError_tT2_T3_mT4_P12ihipStream_tbEUlT_E_NS1_11comp_targetILNS1_3genE3ELNS1_11target_archE908ELNS1_3gpuE7ELNS1_3repE0EEENS1_30default_config_static_selectorELNS0_4arch9wavefront6targetE0EEEvT1_.has_dyn_sized_stack, 0
	.set _ZN7rocprim17ROCPRIM_400000_NS6detail17trampoline_kernelINS0_14default_configENS1_25transform_config_selectorImLb1EEEZNS1_14transform_implILb1ES3_S5_PmS7_NS0_8identityIvEEEE10hipError_tT2_T3_mT4_P12ihipStream_tbEUlT_E_NS1_11comp_targetILNS1_3genE3ELNS1_11target_archE908ELNS1_3gpuE7ELNS1_3repE0EEENS1_30default_config_static_selectorELNS0_4arch9wavefront6targetE0EEEvT1_.has_recursion, 0
	.set _ZN7rocprim17ROCPRIM_400000_NS6detail17trampoline_kernelINS0_14default_configENS1_25transform_config_selectorImLb1EEEZNS1_14transform_implILb1ES3_S5_PmS7_NS0_8identityIvEEEE10hipError_tT2_T3_mT4_P12ihipStream_tbEUlT_E_NS1_11comp_targetILNS1_3genE3ELNS1_11target_archE908ELNS1_3gpuE7ELNS1_3repE0EEENS1_30default_config_static_selectorELNS0_4arch9wavefront6targetE0EEEvT1_.has_indirect_call, 0
	.section	.AMDGPU.csdata,"",@progbits
; Kernel info:
; codeLenInByte = 0
; TotalNumSgprs: 0
; NumVgprs: 0
; ScratchSize: 0
; MemoryBound: 0
; FloatMode: 240
; IeeeMode: 1
; LDSByteSize: 0 bytes/workgroup (compile time only)
; SGPRBlocks: 0
; VGPRBlocks: 0
; NumSGPRsForWavesPerEU: 1
; NumVGPRsForWavesPerEU: 1
; NamedBarCnt: 0
; Occupancy: 16
; WaveLimiterHint : 0
; COMPUTE_PGM_RSRC2:SCRATCH_EN: 0
; COMPUTE_PGM_RSRC2:USER_SGPR: 2
; COMPUTE_PGM_RSRC2:TRAP_HANDLER: 0
; COMPUTE_PGM_RSRC2:TGID_X_EN: 1
; COMPUTE_PGM_RSRC2:TGID_Y_EN: 0
; COMPUTE_PGM_RSRC2:TGID_Z_EN: 0
; COMPUTE_PGM_RSRC2:TIDIG_COMP_CNT: 0
	.section	.text._ZN7rocprim17ROCPRIM_400000_NS6detail17trampoline_kernelINS0_14default_configENS1_25transform_config_selectorImLb1EEEZNS1_14transform_implILb1ES3_S5_PmS7_NS0_8identityIvEEEE10hipError_tT2_T3_mT4_P12ihipStream_tbEUlT_E_NS1_11comp_targetILNS1_3genE2ELNS1_11target_archE906ELNS1_3gpuE6ELNS1_3repE0EEENS1_30default_config_static_selectorELNS0_4arch9wavefront6targetE0EEEvT1_,"axG",@progbits,_ZN7rocprim17ROCPRIM_400000_NS6detail17trampoline_kernelINS0_14default_configENS1_25transform_config_selectorImLb1EEEZNS1_14transform_implILb1ES3_S5_PmS7_NS0_8identityIvEEEE10hipError_tT2_T3_mT4_P12ihipStream_tbEUlT_E_NS1_11comp_targetILNS1_3genE2ELNS1_11target_archE906ELNS1_3gpuE6ELNS1_3repE0EEENS1_30default_config_static_selectorELNS0_4arch9wavefront6targetE0EEEvT1_,comdat
	.protected	_ZN7rocprim17ROCPRIM_400000_NS6detail17trampoline_kernelINS0_14default_configENS1_25transform_config_selectorImLb1EEEZNS1_14transform_implILb1ES3_S5_PmS7_NS0_8identityIvEEEE10hipError_tT2_T3_mT4_P12ihipStream_tbEUlT_E_NS1_11comp_targetILNS1_3genE2ELNS1_11target_archE906ELNS1_3gpuE6ELNS1_3repE0EEENS1_30default_config_static_selectorELNS0_4arch9wavefront6targetE0EEEvT1_ ; -- Begin function _ZN7rocprim17ROCPRIM_400000_NS6detail17trampoline_kernelINS0_14default_configENS1_25transform_config_selectorImLb1EEEZNS1_14transform_implILb1ES3_S5_PmS7_NS0_8identityIvEEEE10hipError_tT2_T3_mT4_P12ihipStream_tbEUlT_E_NS1_11comp_targetILNS1_3genE2ELNS1_11target_archE906ELNS1_3gpuE6ELNS1_3repE0EEENS1_30default_config_static_selectorELNS0_4arch9wavefront6targetE0EEEvT1_
	.globl	_ZN7rocprim17ROCPRIM_400000_NS6detail17trampoline_kernelINS0_14default_configENS1_25transform_config_selectorImLb1EEEZNS1_14transform_implILb1ES3_S5_PmS7_NS0_8identityIvEEEE10hipError_tT2_T3_mT4_P12ihipStream_tbEUlT_E_NS1_11comp_targetILNS1_3genE2ELNS1_11target_archE906ELNS1_3gpuE6ELNS1_3repE0EEENS1_30default_config_static_selectorELNS0_4arch9wavefront6targetE0EEEvT1_
	.p2align	8
	.type	_ZN7rocprim17ROCPRIM_400000_NS6detail17trampoline_kernelINS0_14default_configENS1_25transform_config_selectorImLb1EEEZNS1_14transform_implILb1ES3_S5_PmS7_NS0_8identityIvEEEE10hipError_tT2_T3_mT4_P12ihipStream_tbEUlT_E_NS1_11comp_targetILNS1_3genE2ELNS1_11target_archE906ELNS1_3gpuE6ELNS1_3repE0EEENS1_30default_config_static_selectorELNS0_4arch9wavefront6targetE0EEEvT1_,@function
_ZN7rocprim17ROCPRIM_400000_NS6detail17trampoline_kernelINS0_14default_configENS1_25transform_config_selectorImLb1EEEZNS1_14transform_implILb1ES3_S5_PmS7_NS0_8identityIvEEEE10hipError_tT2_T3_mT4_P12ihipStream_tbEUlT_E_NS1_11comp_targetILNS1_3genE2ELNS1_11target_archE906ELNS1_3gpuE6ELNS1_3repE0EEENS1_30default_config_static_selectorELNS0_4arch9wavefront6targetE0EEEvT1_: ; @_ZN7rocprim17ROCPRIM_400000_NS6detail17trampoline_kernelINS0_14default_configENS1_25transform_config_selectorImLb1EEEZNS1_14transform_implILb1ES3_S5_PmS7_NS0_8identityIvEEEE10hipError_tT2_T3_mT4_P12ihipStream_tbEUlT_E_NS1_11comp_targetILNS1_3genE2ELNS1_11target_archE906ELNS1_3gpuE6ELNS1_3repE0EEENS1_30default_config_static_selectorELNS0_4arch9wavefront6targetE0EEEvT1_
; %bb.0:
	.section	.rodata,"a",@progbits
	.p2align	6, 0x0
	.amdhsa_kernel _ZN7rocprim17ROCPRIM_400000_NS6detail17trampoline_kernelINS0_14default_configENS1_25transform_config_selectorImLb1EEEZNS1_14transform_implILb1ES3_S5_PmS7_NS0_8identityIvEEEE10hipError_tT2_T3_mT4_P12ihipStream_tbEUlT_E_NS1_11comp_targetILNS1_3genE2ELNS1_11target_archE906ELNS1_3gpuE6ELNS1_3repE0EEENS1_30default_config_static_selectorELNS0_4arch9wavefront6targetE0EEEvT1_
		.amdhsa_group_segment_fixed_size 0
		.amdhsa_private_segment_fixed_size 0
		.amdhsa_kernarg_size 40
		.amdhsa_user_sgpr_count 2
		.amdhsa_user_sgpr_dispatch_ptr 0
		.amdhsa_user_sgpr_queue_ptr 0
		.amdhsa_user_sgpr_kernarg_segment_ptr 1
		.amdhsa_user_sgpr_dispatch_id 0
		.amdhsa_user_sgpr_kernarg_preload_length 0
		.amdhsa_user_sgpr_kernarg_preload_offset 0
		.amdhsa_user_sgpr_private_segment_size 0
		.amdhsa_wavefront_size32 1
		.amdhsa_uses_dynamic_stack 0
		.amdhsa_enable_private_segment 0
		.amdhsa_system_sgpr_workgroup_id_x 1
		.amdhsa_system_sgpr_workgroup_id_y 0
		.amdhsa_system_sgpr_workgroup_id_z 0
		.amdhsa_system_sgpr_workgroup_info 0
		.amdhsa_system_vgpr_workitem_id 0
		.amdhsa_next_free_vgpr 1
		.amdhsa_next_free_sgpr 1
		.amdhsa_named_barrier_count 0
		.amdhsa_reserve_vcc 0
		.amdhsa_float_round_mode_32 0
		.amdhsa_float_round_mode_16_64 0
		.amdhsa_float_denorm_mode_32 3
		.amdhsa_float_denorm_mode_16_64 3
		.amdhsa_fp16_overflow 0
		.amdhsa_memory_ordered 1
		.amdhsa_forward_progress 1
		.amdhsa_inst_pref_size 0
		.amdhsa_round_robin_scheduling 0
		.amdhsa_exception_fp_ieee_invalid_op 0
		.amdhsa_exception_fp_denorm_src 0
		.amdhsa_exception_fp_ieee_div_zero 0
		.amdhsa_exception_fp_ieee_overflow 0
		.amdhsa_exception_fp_ieee_underflow 0
		.amdhsa_exception_fp_ieee_inexact 0
		.amdhsa_exception_int_div_zero 0
	.end_amdhsa_kernel
	.section	.text._ZN7rocprim17ROCPRIM_400000_NS6detail17trampoline_kernelINS0_14default_configENS1_25transform_config_selectorImLb1EEEZNS1_14transform_implILb1ES3_S5_PmS7_NS0_8identityIvEEEE10hipError_tT2_T3_mT4_P12ihipStream_tbEUlT_E_NS1_11comp_targetILNS1_3genE2ELNS1_11target_archE906ELNS1_3gpuE6ELNS1_3repE0EEENS1_30default_config_static_selectorELNS0_4arch9wavefront6targetE0EEEvT1_,"axG",@progbits,_ZN7rocprim17ROCPRIM_400000_NS6detail17trampoline_kernelINS0_14default_configENS1_25transform_config_selectorImLb1EEEZNS1_14transform_implILb1ES3_S5_PmS7_NS0_8identityIvEEEE10hipError_tT2_T3_mT4_P12ihipStream_tbEUlT_E_NS1_11comp_targetILNS1_3genE2ELNS1_11target_archE906ELNS1_3gpuE6ELNS1_3repE0EEENS1_30default_config_static_selectorELNS0_4arch9wavefront6targetE0EEEvT1_,comdat
.Lfunc_end174:
	.size	_ZN7rocprim17ROCPRIM_400000_NS6detail17trampoline_kernelINS0_14default_configENS1_25transform_config_selectorImLb1EEEZNS1_14transform_implILb1ES3_S5_PmS7_NS0_8identityIvEEEE10hipError_tT2_T3_mT4_P12ihipStream_tbEUlT_E_NS1_11comp_targetILNS1_3genE2ELNS1_11target_archE906ELNS1_3gpuE6ELNS1_3repE0EEENS1_30default_config_static_selectorELNS0_4arch9wavefront6targetE0EEEvT1_, .Lfunc_end174-_ZN7rocprim17ROCPRIM_400000_NS6detail17trampoline_kernelINS0_14default_configENS1_25transform_config_selectorImLb1EEEZNS1_14transform_implILb1ES3_S5_PmS7_NS0_8identityIvEEEE10hipError_tT2_T3_mT4_P12ihipStream_tbEUlT_E_NS1_11comp_targetILNS1_3genE2ELNS1_11target_archE906ELNS1_3gpuE6ELNS1_3repE0EEENS1_30default_config_static_selectorELNS0_4arch9wavefront6targetE0EEEvT1_
                                        ; -- End function
	.set _ZN7rocprim17ROCPRIM_400000_NS6detail17trampoline_kernelINS0_14default_configENS1_25transform_config_selectorImLb1EEEZNS1_14transform_implILb1ES3_S5_PmS7_NS0_8identityIvEEEE10hipError_tT2_T3_mT4_P12ihipStream_tbEUlT_E_NS1_11comp_targetILNS1_3genE2ELNS1_11target_archE906ELNS1_3gpuE6ELNS1_3repE0EEENS1_30default_config_static_selectorELNS0_4arch9wavefront6targetE0EEEvT1_.num_vgpr, 0
	.set _ZN7rocprim17ROCPRIM_400000_NS6detail17trampoline_kernelINS0_14default_configENS1_25transform_config_selectorImLb1EEEZNS1_14transform_implILb1ES3_S5_PmS7_NS0_8identityIvEEEE10hipError_tT2_T3_mT4_P12ihipStream_tbEUlT_E_NS1_11comp_targetILNS1_3genE2ELNS1_11target_archE906ELNS1_3gpuE6ELNS1_3repE0EEENS1_30default_config_static_selectorELNS0_4arch9wavefront6targetE0EEEvT1_.num_agpr, 0
	.set _ZN7rocprim17ROCPRIM_400000_NS6detail17trampoline_kernelINS0_14default_configENS1_25transform_config_selectorImLb1EEEZNS1_14transform_implILb1ES3_S5_PmS7_NS0_8identityIvEEEE10hipError_tT2_T3_mT4_P12ihipStream_tbEUlT_E_NS1_11comp_targetILNS1_3genE2ELNS1_11target_archE906ELNS1_3gpuE6ELNS1_3repE0EEENS1_30default_config_static_selectorELNS0_4arch9wavefront6targetE0EEEvT1_.numbered_sgpr, 0
	.set _ZN7rocprim17ROCPRIM_400000_NS6detail17trampoline_kernelINS0_14default_configENS1_25transform_config_selectorImLb1EEEZNS1_14transform_implILb1ES3_S5_PmS7_NS0_8identityIvEEEE10hipError_tT2_T3_mT4_P12ihipStream_tbEUlT_E_NS1_11comp_targetILNS1_3genE2ELNS1_11target_archE906ELNS1_3gpuE6ELNS1_3repE0EEENS1_30default_config_static_selectorELNS0_4arch9wavefront6targetE0EEEvT1_.num_named_barrier, 0
	.set _ZN7rocprim17ROCPRIM_400000_NS6detail17trampoline_kernelINS0_14default_configENS1_25transform_config_selectorImLb1EEEZNS1_14transform_implILb1ES3_S5_PmS7_NS0_8identityIvEEEE10hipError_tT2_T3_mT4_P12ihipStream_tbEUlT_E_NS1_11comp_targetILNS1_3genE2ELNS1_11target_archE906ELNS1_3gpuE6ELNS1_3repE0EEENS1_30default_config_static_selectorELNS0_4arch9wavefront6targetE0EEEvT1_.private_seg_size, 0
	.set _ZN7rocprim17ROCPRIM_400000_NS6detail17trampoline_kernelINS0_14default_configENS1_25transform_config_selectorImLb1EEEZNS1_14transform_implILb1ES3_S5_PmS7_NS0_8identityIvEEEE10hipError_tT2_T3_mT4_P12ihipStream_tbEUlT_E_NS1_11comp_targetILNS1_3genE2ELNS1_11target_archE906ELNS1_3gpuE6ELNS1_3repE0EEENS1_30default_config_static_selectorELNS0_4arch9wavefront6targetE0EEEvT1_.uses_vcc, 0
	.set _ZN7rocprim17ROCPRIM_400000_NS6detail17trampoline_kernelINS0_14default_configENS1_25transform_config_selectorImLb1EEEZNS1_14transform_implILb1ES3_S5_PmS7_NS0_8identityIvEEEE10hipError_tT2_T3_mT4_P12ihipStream_tbEUlT_E_NS1_11comp_targetILNS1_3genE2ELNS1_11target_archE906ELNS1_3gpuE6ELNS1_3repE0EEENS1_30default_config_static_selectorELNS0_4arch9wavefront6targetE0EEEvT1_.uses_flat_scratch, 0
	.set _ZN7rocprim17ROCPRIM_400000_NS6detail17trampoline_kernelINS0_14default_configENS1_25transform_config_selectorImLb1EEEZNS1_14transform_implILb1ES3_S5_PmS7_NS0_8identityIvEEEE10hipError_tT2_T3_mT4_P12ihipStream_tbEUlT_E_NS1_11comp_targetILNS1_3genE2ELNS1_11target_archE906ELNS1_3gpuE6ELNS1_3repE0EEENS1_30default_config_static_selectorELNS0_4arch9wavefront6targetE0EEEvT1_.has_dyn_sized_stack, 0
	.set _ZN7rocprim17ROCPRIM_400000_NS6detail17trampoline_kernelINS0_14default_configENS1_25transform_config_selectorImLb1EEEZNS1_14transform_implILb1ES3_S5_PmS7_NS0_8identityIvEEEE10hipError_tT2_T3_mT4_P12ihipStream_tbEUlT_E_NS1_11comp_targetILNS1_3genE2ELNS1_11target_archE906ELNS1_3gpuE6ELNS1_3repE0EEENS1_30default_config_static_selectorELNS0_4arch9wavefront6targetE0EEEvT1_.has_recursion, 0
	.set _ZN7rocprim17ROCPRIM_400000_NS6detail17trampoline_kernelINS0_14default_configENS1_25transform_config_selectorImLb1EEEZNS1_14transform_implILb1ES3_S5_PmS7_NS0_8identityIvEEEE10hipError_tT2_T3_mT4_P12ihipStream_tbEUlT_E_NS1_11comp_targetILNS1_3genE2ELNS1_11target_archE906ELNS1_3gpuE6ELNS1_3repE0EEENS1_30default_config_static_selectorELNS0_4arch9wavefront6targetE0EEEvT1_.has_indirect_call, 0
	.section	.AMDGPU.csdata,"",@progbits
; Kernel info:
; codeLenInByte = 0
; TotalNumSgprs: 0
; NumVgprs: 0
; ScratchSize: 0
; MemoryBound: 0
; FloatMode: 240
; IeeeMode: 1
; LDSByteSize: 0 bytes/workgroup (compile time only)
; SGPRBlocks: 0
; VGPRBlocks: 0
; NumSGPRsForWavesPerEU: 1
; NumVGPRsForWavesPerEU: 1
; NamedBarCnt: 0
; Occupancy: 16
; WaveLimiterHint : 0
; COMPUTE_PGM_RSRC2:SCRATCH_EN: 0
; COMPUTE_PGM_RSRC2:USER_SGPR: 2
; COMPUTE_PGM_RSRC2:TRAP_HANDLER: 0
; COMPUTE_PGM_RSRC2:TGID_X_EN: 1
; COMPUTE_PGM_RSRC2:TGID_Y_EN: 0
; COMPUTE_PGM_RSRC2:TGID_Z_EN: 0
; COMPUTE_PGM_RSRC2:TIDIG_COMP_CNT: 0
	.section	.text._ZN7rocprim17ROCPRIM_400000_NS6detail17trampoline_kernelINS0_14default_configENS1_25transform_config_selectorImLb1EEEZNS1_14transform_implILb1ES3_S5_PmS7_NS0_8identityIvEEEE10hipError_tT2_T3_mT4_P12ihipStream_tbEUlT_E_NS1_11comp_targetILNS1_3genE9ELNS1_11target_archE1100ELNS1_3gpuE3ELNS1_3repE0EEENS1_30default_config_static_selectorELNS0_4arch9wavefront6targetE0EEEvT1_,"axG",@progbits,_ZN7rocprim17ROCPRIM_400000_NS6detail17trampoline_kernelINS0_14default_configENS1_25transform_config_selectorImLb1EEEZNS1_14transform_implILb1ES3_S5_PmS7_NS0_8identityIvEEEE10hipError_tT2_T3_mT4_P12ihipStream_tbEUlT_E_NS1_11comp_targetILNS1_3genE9ELNS1_11target_archE1100ELNS1_3gpuE3ELNS1_3repE0EEENS1_30default_config_static_selectorELNS0_4arch9wavefront6targetE0EEEvT1_,comdat
	.protected	_ZN7rocprim17ROCPRIM_400000_NS6detail17trampoline_kernelINS0_14default_configENS1_25transform_config_selectorImLb1EEEZNS1_14transform_implILb1ES3_S5_PmS7_NS0_8identityIvEEEE10hipError_tT2_T3_mT4_P12ihipStream_tbEUlT_E_NS1_11comp_targetILNS1_3genE9ELNS1_11target_archE1100ELNS1_3gpuE3ELNS1_3repE0EEENS1_30default_config_static_selectorELNS0_4arch9wavefront6targetE0EEEvT1_ ; -- Begin function _ZN7rocprim17ROCPRIM_400000_NS6detail17trampoline_kernelINS0_14default_configENS1_25transform_config_selectorImLb1EEEZNS1_14transform_implILb1ES3_S5_PmS7_NS0_8identityIvEEEE10hipError_tT2_T3_mT4_P12ihipStream_tbEUlT_E_NS1_11comp_targetILNS1_3genE9ELNS1_11target_archE1100ELNS1_3gpuE3ELNS1_3repE0EEENS1_30default_config_static_selectorELNS0_4arch9wavefront6targetE0EEEvT1_
	.globl	_ZN7rocprim17ROCPRIM_400000_NS6detail17trampoline_kernelINS0_14default_configENS1_25transform_config_selectorImLb1EEEZNS1_14transform_implILb1ES3_S5_PmS7_NS0_8identityIvEEEE10hipError_tT2_T3_mT4_P12ihipStream_tbEUlT_E_NS1_11comp_targetILNS1_3genE9ELNS1_11target_archE1100ELNS1_3gpuE3ELNS1_3repE0EEENS1_30default_config_static_selectorELNS0_4arch9wavefront6targetE0EEEvT1_
	.p2align	8
	.type	_ZN7rocprim17ROCPRIM_400000_NS6detail17trampoline_kernelINS0_14default_configENS1_25transform_config_selectorImLb1EEEZNS1_14transform_implILb1ES3_S5_PmS7_NS0_8identityIvEEEE10hipError_tT2_T3_mT4_P12ihipStream_tbEUlT_E_NS1_11comp_targetILNS1_3genE9ELNS1_11target_archE1100ELNS1_3gpuE3ELNS1_3repE0EEENS1_30default_config_static_selectorELNS0_4arch9wavefront6targetE0EEEvT1_,@function
_ZN7rocprim17ROCPRIM_400000_NS6detail17trampoline_kernelINS0_14default_configENS1_25transform_config_selectorImLb1EEEZNS1_14transform_implILb1ES3_S5_PmS7_NS0_8identityIvEEEE10hipError_tT2_T3_mT4_P12ihipStream_tbEUlT_E_NS1_11comp_targetILNS1_3genE9ELNS1_11target_archE1100ELNS1_3gpuE3ELNS1_3repE0EEENS1_30default_config_static_selectorELNS0_4arch9wavefront6targetE0EEEvT1_: ; @_ZN7rocprim17ROCPRIM_400000_NS6detail17trampoline_kernelINS0_14default_configENS1_25transform_config_selectorImLb1EEEZNS1_14transform_implILb1ES3_S5_PmS7_NS0_8identityIvEEEE10hipError_tT2_T3_mT4_P12ihipStream_tbEUlT_E_NS1_11comp_targetILNS1_3genE9ELNS1_11target_archE1100ELNS1_3gpuE3ELNS1_3repE0EEENS1_30default_config_static_selectorELNS0_4arch9wavefront6targetE0EEEvT1_
; %bb.0:
	.section	.rodata,"a",@progbits
	.p2align	6, 0x0
	.amdhsa_kernel _ZN7rocprim17ROCPRIM_400000_NS6detail17trampoline_kernelINS0_14default_configENS1_25transform_config_selectorImLb1EEEZNS1_14transform_implILb1ES3_S5_PmS7_NS0_8identityIvEEEE10hipError_tT2_T3_mT4_P12ihipStream_tbEUlT_E_NS1_11comp_targetILNS1_3genE9ELNS1_11target_archE1100ELNS1_3gpuE3ELNS1_3repE0EEENS1_30default_config_static_selectorELNS0_4arch9wavefront6targetE0EEEvT1_
		.amdhsa_group_segment_fixed_size 0
		.amdhsa_private_segment_fixed_size 0
		.amdhsa_kernarg_size 40
		.amdhsa_user_sgpr_count 2
		.amdhsa_user_sgpr_dispatch_ptr 0
		.amdhsa_user_sgpr_queue_ptr 0
		.amdhsa_user_sgpr_kernarg_segment_ptr 1
		.amdhsa_user_sgpr_dispatch_id 0
		.amdhsa_user_sgpr_kernarg_preload_length 0
		.amdhsa_user_sgpr_kernarg_preload_offset 0
		.amdhsa_user_sgpr_private_segment_size 0
		.amdhsa_wavefront_size32 1
		.amdhsa_uses_dynamic_stack 0
		.amdhsa_enable_private_segment 0
		.amdhsa_system_sgpr_workgroup_id_x 1
		.amdhsa_system_sgpr_workgroup_id_y 0
		.amdhsa_system_sgpr_workgroup_id_z 0
		.amdhsa_system_sgpr_workgroup_info 0
		.amdhsa_system_vgpr_workitem_id 0
		.amdhsa_next_free_vgpr 1
		.amdhsa_next_free_sgpr 1
		.amdhsa_named_barrier_count 0
		.amdhsa_reserve_vcc 0
		.amdhsa_float_round_mode_32 0
		.amdhsa_float_round_mode_16_64 0
		.amdhsa_float_denorm_mode_32 3
		.amdhsa_float_denorm_mode_16_64 3
		.amdhsa_fp16_overflow 0
		.amdhsa_memory_ordered 1
		.amdhsa_forward_progress 1
		.amdhsa_inst_pref_size 0
		.amdhsa_round_robin_scheduling 0
		.amdhsa_exception_fp_ieee_invalid_op 0
		.amdhsa_exception_fp_denorm_src 0
		.amdhsa_exception_fp_ieee_div_zero 0
		.amdhsa_exception_fp_ieee_overflow 0
		.amdhsa_exception_fp_ieee_underflow 0
		.amdhsa_exception_fp_ieee_inexact 0
		.amdhsa_exception_int_div_zero 0
	.end_amdhsa_kernel
	.section	.text._ZN7rocprim17ROCPRIM_400000_NS6detail17trampoline_kernelINS0_14default_configENS1_25transform_config_selectorImLb1EEEZNS1_14transform_implILb1ES3_S5_PmS7_NS0_8identityIvEEEE10hipError_tT2_T3_mT4_P12ihipStream_tbEUlT_E_NS1_11comp_targetILNS1_3genE9ELNS1_11target_archE1100ELNS1_3gpuE3ELNS1_3repE0EEENS1_30default_config_static_selectorELNS0_4arch9wavefront6targetE0EEEvT1_,"axG",@progbits,_ZN7rocprim17ROCPRIM_400000_NS6detail17trampoline_kernelINS0_14default_configENS1_25transform_config_selectorImLb1EEEZNS1_14transform_implILb1ES3_S5_PmS7_NS0_8identityIvEEEE10hipError_tT2_T3_mT4_P12ihipStream_tbEUlT_E_NS1_11comp_targetILNS1_3genE9ELNS1_11target_archE1100ELNS1_3gpuE3ELNS1_3repE0EEENS1_30default_config_static_selectorELNS0_4arch9wavefront6targetE0EEEvT1_,comdat
.Lfunc_end175:
	.size	_ZN7rocprim17ROCPRIM_400000_NS6detail17trampoline_kernelINS0_14default_configENS1_25transform_config_selectorImLb1EEEZNS1_14transform_implILb1ES3_S5_PmS7_NS0_8identityIvEEEE10hipError_tT2_T3_mT4_P12ihipStream_tbEUlT_E_NS1_11comp_targetILNS1_3genE9ELNS1_11target_archE1100ELNS1_3gpuE3ELNS1_3repE0EEENS1_30default_config_static_selectorELNS0_4arch9wavefront6targetE0EEEvT1_, .Lfunc_end175-_ZN7rocprim17ROCPRIM_400000_NS6detail17trampoline_kernelINS0_14default_configENS1_25transform_config_selectorImLb1EEEZNS1_14transform_implILb1ES3_S5_PmS7_NS0_8identityIvEEEE10hipError_tT2_T3_mT4_P12ihipStream_tbEUlT_E_NS1_11comp_targetILNS1_3genE9ELNS1_11target_archE1100ELNS1_3gpuE3ELNS1_3repE0EEENS1_30default_config_static_selectorELNS0_4arch9wavefront6targetE0EEEvT1_
                                        ; -- End function
	.set _ZN7rocprim17ROCPRIM_400000_NS6detail17trampoline_kernelINS0_14default_configENS1_25transform_config_selectorImLb1EEEZNS1_14transform_implILb1ES3_S5_PmS7_NS0_8identityIvEEEE10hipError_tT2_T3_mT4_P12ihipStream_tbEUlT_E_NS1_11comp_targetILNS1_3genE9ELNS1_11target_archE1100ELNS1_3gpuE3ELNS1_3repE0EEENS1_30default_config_static_selectorELNS0_4arch9wavefront6targetE0EEEvT1_.num_vgpr, 0
	.set _ZN7rocprim17ROCPRIM_400000_NS6detail17trampoline_kernelINS0_14default_configENS1_25transform_config_selectorImLb1EEEZNS1_14transform_implILb1ES3_S5_PmS7_NS0_8identityIvEEEE10hipError_tT2_T3_mT4_P12ihipStream_tbEUlT_E_NS1_11comp_targetILNS1_3genE9ELNS1_11target_archE1100ELNS1_3gpuE3ELNS1_3repE0EEENS1_30default_config_static_selectorELNS0_4arch9wavefront6targetE0EEEvT1_.num_agpr, 0
	.set _ZN7rocprim17ROCPRIM_400000_NS6detail17trampoline_kernelINS0_14default_configENS1_25transform_config_selectorImLb1EEEZNS1_14transform_implILb1ES3_S5_PmS7_NS0_8identityIvEEEE10hipError_tT2_T3_mT4_P12ihipStream_tbEUlT_E_NS1_11comp_targetILNS1_3genE9ELNS1_11target_archE1100ELNS1_3gpuE3ELNS1_3repE0EEENS1_30default_config_static_selectorELNS0_4arch9wavefront6targetE0EEEvT1_.numbered_sgpr, 0
	.set _ZN7rocprim17ROCPRIM_400000_NS6detail17trampoline_kernelINS0_14default_configENS1_25transform_config_selectorImLb1EEEZNS1_14transform_implILb1ES3_S5_PmS7_NS0_8identityIvEEEE10hipError_tT2_T3_mT4_P12ihipStream_tbEUlT_E_NS1_11comp_targetILNS1_3genE9ELNS1_11target_archE1100ELNS1_3gpuE3ELNS1_3repE0EEENS1_30default_config_static_selectorELNS0_4arch9wavefront6targetE0EEEvT1_.num_named_barrier, 0
	.set _ZN7rocprim17ROCPRIM_400000_NS6detail17trampoline_kernelINS0_14default_configENS1_25transform_config_selectorImLb1EEEZNS1_14transform_implILb1ES3_S5_PmS7_NS0_8identityIvEEEE10hipError_tT2_T3_mT4_P12ihipStream_tbEUlT_E_NS1_11comp_targetILNS1_3genE9ELNS1_11target_archE1100ELNS1_3gpuE3ELNS1_3repE0EEENS1_30default_config_static_selectorELNS0_4arch9wavefront6targetE0EEEvT1_.private_seg_size, 0
	.set _ZN7rocprim17ROCPRIM_400000_NS6detail17trampoline_kernelINS0_14default_configENS1_25transform_config_selectorImLb1EEEZNS1_14transform_implILb1ES3_S5_PmS7_NS0_8identityIvEEEE10hipError_tT2_T3_mT4_P12ihipStream_tbEUlT_E_NS1_11comp_targetILNS1_3genE9ELNS1_11target_archE1100ELNS1_3gpuE3ELNS1_3repE0EEENS1_30default_config_static_selectorELNS0_4arch9wavefront6targetE0EEEvT1_.uses_vcc, 0
	.set _ZN7rocprim17ROCPRIM_400000_NS6detail17trampoline_kernelINS0_14default_configENS1_25transform_config_selectorImLb1EEEZNS1_14transform_implILb1ES3_S5_PmS7_NS0_8identityIvEEEE10hipError_tT2_T3_mT4_P12ihipStream_tbEUlT_E_NS1_11comp_targetILNS1_3genE9ELNS1_11target_archE1100ELNS1_3gpuE3ELNS1_3repE0EEENS1_30default_config_static_selectorELNS0_4arch9wavefront6targetE0EEEvT1_.uses_flat_scratch, 0
	.set _ZN7rocprim17ROCPRIM_400000_NS6detail17trampoline_kernelINS0_14default_configENS1_25transform_config_selectorImLb1EEEZNS1_14transform_implILb1ES3_S5_PmS7_NS0_8identityIvEEEE10hipError_tT2_T3_mT4_P12ihipStream_tbEUlT_E_NS1_11comp_targetILNS1_3genE9ELNS1_11target_archE1100ELNS1_3gpuE3ELNS1_3repE0EEENS1_30default_config_static_selectorELNS0_4arch9wavefront6targetE0EEEvT1_.has_dyn_sized_stack, 0
	.set _ZN7rocprim17ROCPRIM_400000_NS6detail17trampoline_kernelINS0_14default_configENS1_25transform_config_selectorImLb1EEEZNS1_14transform_implILb1ES3_S5_PmS7_NS0_8identityIvEEEE10hipError_tT2_T3_mT4_P12ihipStream_tbEUlT_E_NS1_11comp_targetILNS1_3genE9ELNS1_11target_archE1100ELNS1_3gpuE3ELNS1_3repE0EEENS1_30default_config_static_selectorELNS0_4arch9wavefront6targetE0EEEvT1_.has_recursion, 0
	.set _ZN7rocprim17ROCPRIM_400000_NS6detail17trampoline_kernelINS0_14default_configENS1_25transform_config_selectorImLb1EEEZNS1_14transform_implILb1ES3_S5_PmS7_NS0_8identityIvEEEE10hipError_tT2_T3_mT4_P12ihipStream_tbEUlT_E_NS1_11comp_targetILNS1_3genE9ELNS1_11target_archE1100ELNS1_3gpuE3ELNS1_3repE0EEENS1_30default_config_static_selectorELNS0_4arch9wavefront6targetE0EEEvT1_.has_indirect_call, 0
	.section	.AMDGPU.csdata,"",@progbits
; Kernel info:
; codeLenInByte = 0
; TotalNumSgprs: 0
; NumVgprs: 0
; ScratchSize: 0
; MemoryBound: 0
; FloatMode: 240
; IeeeMode: 1
; LDSByteSize: 0 bytes/workgroup (compile time only)
; SGPRBlocks: 0
; VGPRBlocks: 0
; NumSGPRsForWavesPerEU: 1
; NumVGPRsForWavesPerEU: 1
; NamedBarCnt: 0
; Occupancy: 16
; WaveLimiterHint : 0
; COMPUTE_PGM_RSRC2:SCRATCH_EN: 0
; COMPUTE_PGM_RSRC2:USER_SGPR: 2
; COMPUTE_PGM_RSRC2:TRAP_HANDLER: 0
; COMPUTE_PGM_RSRC2:TGID_X_EN: 1
; COMPUTE_PGM_RSRC2:TGID_Y_EN: 0
; COMPUTE_PGM_RSRC2:TGID_Z_EN: 0
; COMPUTE_PGM_RSRC2:TIDIG_COMP_CNT: 0
	.section	.text._ZN7rocprim17ROCPRIM_400000_NS6detail17trampoline_kernelINS0_14default_configENS1_25transform_config_selectorImLb1EEEZNS1_14transform_implILb1ES3_S5_PmS7_NS0_8identityIvEEEE10hipError_tT2_T3_mT4_P12ihipStream_tbEUlT_E_NS1_11comp_targetILNS1_3genE8ELNS1_11target_archE1030ELNS1_3gpuE2ELNS1_3repE0EEENS1_30default_config_static_selectorELNS0_4arch9wavefront6targetE0EEEvT1_,"axG",@progbits,_ZN7rocprim17ROCPRIM_400000_NS6detail17trampoline_kernelINS0_14default_configENS1_25transform_config_selectorImLb1EEEZNS1_14transform_implILb1ES3_S5_PmS7_NS0_8identityIvEEEE10hipError_tT2_T3_mT4_P12ihipStream_tbEUlT_E_NS1_11comp_targetILNS1_3genE8ELNS1_11target_archE1030ELNS1_3gpuE2ELNS1_3repE0EEENS1_30default_config_static_selectorELNS0_4arch9wavefront6targetE0EEEvT1_,comdat
	.protected	_ZN7rocprim17ROCPRIM_400000_NS6detail17trampoline_kernelINS0_14default_configENS1_25transform_config_selectorImLb1EEEZNS1_14transform_implILb1ES3_S5_PmS7_NS0_8identityIvEEEE10hipError_tT2_T3_mT4_P12ihipStream_tbEUlT_E_NS1_11comp_targetILNS1_3genE8ELNS1_11target_archE1030ELNS1_3gpuE2ELNS1_3repE0EEENS1_30default_config_static_selectorELNS0_4arch9wavefront6targetE0EEEvT1_ ; -- Begin function _ZN7rocprim17ROCPRIM_400000_NS6detail17trampoline_kernelINS0_14default_configENS1_25transform_config_selectorImLb1EEEZNS1_14transform_implILb1ES3_S5_PmS7_NS0_8identityIvEEEE10hipError_tT2_T3_mT4_P12ihipStream_tbEUlT_E_NS1_11comp_targetILNS1_3genE8ELNS1_11target_archE1030ELNS1_3gpuE2ELNS1_3repE0EEENS1_30default_config_static_selectorELNS0_4arch9wavefront6targetE0EEEvT1_
	.globl	_ZN7rocprim17ROCPRIM_400000_NS6detail17trampoline_kernelINS0_14default_configENS1_25transform_config_selectorImLb1EEEZNS1_14transform_implILb1ES3_S5_PmS7_NS0_8identityIvEEEE10hipError_tT2_T3_mT4_P12ihipStream_tbEUlT_E_NS1_11comp_targetILNS1_3genE8ELNS1_11target_archE1030ELNS1_3gpuE2ELNS1_3repE0EEENS1_30default_config_static_selectorELNS0_4arch9wavefront6targetE0EEEvT1_
	.p2align	8
	.type	_ZN7rocprim17ROCPRIM_400000_NS6detail17trampoline_kernelINS0_14default_configENS1_25transform_config_selectorImLb1EEEZNS1_14transform_implILb1ES3_S5_PmS7_NS0_8identityIvEEEE10hipError_tT2_T3_mT4_P12ihipStream_tbEUlT_E_NS1_11comp_targetILNS1_3genE8ELNS1_11target_archE1030ELNS1_3gpuE2ELNS1_3repE0EEENS1_30default_config_static_selectorELNS0_4arch9wavefront6targetE0EEEvT1_,@function
_ZN7rocprim17ROCPRIM_400000_NS6detail17trampoline_kernelINS0_14default_configENS1_25transform_config_selectorImLb1EEEZNS1_14transform_implILb1ES3_S5_PmS7_NS0_8identityIvEEEE10hipError_tT2_T3_mT4_P12ihipStream_tbEUlT_E_NS1_11comp_targetILNS1_3genE8ELNS1_11target_archE1030ELNS1_3gpuE2ELNS1_3repE0EEENS1_30default_config_static_selectorELNS0_4arch9wavefront6targetE0EEEvT1_: ; @_ZN7rocprim17ROCPRIM_400000_NS6detail17trampoline_kernelINS0_14default_configENS1_25transform_config_selectorImLb1EEEZNS1_14transform_implILb1ES3_S5_PmS7_NS0_8identityIvEEEE10hipError_tT2_T3_mT4_P12ihipStream_tbEUlT_E_NS1_11comp_targetILNS1_3genE8ELNS1_11target_archE1030ELNS1_3gpuE2ELNS1_3repE0EEENS1_30default_config_static_selectorELNS0_4arch9wavefront6targetE0EEEvT1_
; %bb.0:
	.section	.rodata,"a",@progbits
	.p2align	6, 0x0
	.amdhsa_kernel _ZN7rocprim17ROCPRIM_400000_NS6detail17trampoline_kernelINS0_14default_configENS1_25transform_config_selectorImLb1EEEZNS1_14transform_implILb1ES3_S5_PmS7_NS0_8identityIvEEEE10hipError_tT2_T3_mT4_P12ihipStream_tbEUlT_E_NS1_11comp_targetILNS1_3genE8ELNS1_11target_archE1030ELNS1_3gpuE2ELNS1_3repE0EEENS1_30default_config_static_selectorELNS0_4arch9wavefront6targetE0EEEvT1_
		.amdhsa_group_segment_fixed_size 0
		.amdhsa_private_segment_fixed_size 0
		.amdhsa_kernarg_size 40
		.amdhsa_user_sgpr_count 2
		.amdhsa_user_sgpr_dispatch_ptr 0
		.amdhsa_user_sgpr_queue_ptr 0
		.amdhsa_user_sgpr_kernarg_segment_ptr 1
		.amdhsa_user_sgpr_dispatch_id 0
		.amdhsa_user_sgpr_kernarg_preload_length 0
		.amdhsa_user_sgpr_kernarg_preload_offset 0
		.amdhsa_user_sgpr_private_segment_size 0
		.amdhsa_wavefront_size32 1
		.amdhsa_uses_dynamic_stack 0
		.amdhsa_enable_private_segment 0
		.amdhsa_system_sgpr_workgroup_id_x 1
		.amdhsa_system_sgpr_workgroup_id_y 0
		.amdhsa_system_sgpr_workgroup_id_z 0
		.amdhsa_system_sgpr_workgroup_info 0
		.amdhsa_system_vgpr_workitem_id 0
		.amdhsa_next_free_vgpr 1
		.amdhsa_next_free_sgpr 1
		.amdhsa_named_barrier_count 0
		.amdhsa_reserve_vcc 0
		.amdhsa_float_round_mode_32 0
		.amdhsa_float_round_mode_16_64 0
		.amdhsa_float_denorm_mode_32 3
		.amdhsa_float_denorm_mode_16_64 3
		.amdhsa_fp16_overflow 0
		.amdhsa_memory_ordered 1
		.amdhsa_forward_progress 1
		.amdhsa_inst_pref_size 0
		.amdhsa_round_robin_scheduling 0
		.amdhsa_exception_fp_ieee_invalid_op 0
		.amdhsa_exception_fp_denorm_src 0
		.amdhsa_exception_fp_ieee_div_zero 0
		.amdhsa_exception_fp_ieee_overflow 0
		.amdhsa_exception_fp_ieee_underflow 0
		.amdhsa_exception_fp_ieee_inexact 0
		.amdhsa_exception_int_div_zero 0
	.end_amdhsa_kernel
	.section	.text._ZN7rocprim17ROCPRIM_400000_NS6detail17trampoline_kernelINS0_14default_configENS1_25transform_config_selectorImLb1EEEZNS1_14transform_implILb1ES3_S5_PmS7_NS0_8identityIvEEEE10hipError_tT2_T3_mT4_P12ihipStream_tbEUlT_E_NS1_11comp_targetILNS1_3genE8ELNS1_11target_archE1030ELNS1_3gpuE2ELNS1_3repE0EEENS1_30default_config_static_selectorELNS0_4arch9wavefront6targetE0EEEvT1_,"axG",@progbits,_ZN7rocprim17ROCPRIM_400000_NS6detail17trampoline_kernelINS0_14default_configENS1_25transform_config_selectorImLb1EEEZNS1_14transform_implILb1ES3_S5_PmS7_NS0_8identityIvEEEE10hipError_tT2_T3_mT4_P12ihipStream_tbEUlT_E_NS1_11comp_targetILNS1_3genE8ELNS1_11target_archE1030ELNS1_3gpuE2ELNS1_3repE0EEENS1_30default_config_static_selectorELNS0_4arch9wavefront6targetE0EEEvT1_,comdat
.Lfunc_end176:
	.size	_ZN7rocprim17ROCPRIM_400000_NS6detail17trampoline_kernelINS0_14default_configENS1_25transform_config_selectorImLb1EEEZNS1_14transform_implILb1ES3_S5_PmS7_NS0_8identityIvEEEE10hipError_tT2_T3_mT4_P12ihipStream_tbEUlT_E_NS1_11comp_targetILNS1_3genE8ELNS1_11target_archE1030ELNS1_3gpuE2ELNS1_3repE0EEENS1_30default_config_static_selectorELNS0_4arch9wavefront6targetE0EEEvT1_, .Lfunc_end176-_ZN7rocprim17ROCPRIM_400000_NS6detail17trampoline_kernelINS0_14default_configENS1_25transform_config_selectorImLb1EEEZNS1_14transform_implILb1ES3_S5_PmS7_NS0_8identityIvEEEE10hipError_tT2_T3_mT4_P12ihipStream_tbEUlT_E_NS1_11comp_targetILNS1_3genE8ELNS1_11target_archE1030ELNS1_3gpuE2ELNS1_3repE0EEENS1_30default_config_static_selectorELNS0_4arch9wavefront6targetE0EEEvT1_
                                        ; -- End function
	.set _ZN7rocprim17ROCPRIM_400000_NS6detail17trampoline_kernelINS0_14default_configENS1_25transform_config_selectorImLb1EEEZNS1_14transform_implILb1ES3_S5_PmS7_NS0_8identityIvEEEE10hipError_tT2_T3_mT4_P12ihipStream_tbEUlT_E_NS1_11comp_targetILNS1_3genE8ELNS1_11target_archE1030ELNS1_3gpuE2ELNS1_3repE0EEENS1_30default_config_static_selectorELNS0_4arch9wavefront6targetE0EEEvT1_.num_vgpr, 0
	.set _ZN7rocprim17ROCPRIM_400000_NS6detail17trampoline_kernelINS0_14default_configENS1_25transform_config_selectorImLb1EEEZNS1_14transform_implILb1ES3_S5_PmS7_NS0_8identityIvEEEE10hipError_tT2_T3_mT4_P12ihipStream_tbEUlT_E_NS1_11comp_targetILNS1_3genE8ELNS1_11target_archE1030ELNS1_3gpuE2ELNS1_3repE0EEENS1_30default_config_static_selectorELNS0_4arch9wavefront6targetE0EEEvT1_.num_agpr, 0
	.set _ZN7rocprim17ROCPRIM_400000_NS6detail17trampoline_kernelINS0_14default_configENS1_25transform_config_selectorImLb1EEEZNS1_14transform_implILb1ES3_S5_PmS7_NS0_8identityIvEEEE10hipError_tT2_T3_mT4_P12ihipStream_tbEUlT_E_NS1_11comp_targetILNS1_3genE8ELNS1_11target_archE1030ELNS1_3gpuE2ELNS1_3repE0EEENS1_30default_config_static_selectorELNS0_4arch9wavefront6targetE0EEEvT1_.numbered_sgpr, 0
	.set _ZN7rocprim17ROCPRIM_400000_NS6detail17trampoline_kernelINS0_14default_configENS1_25transform_config_selectorImLb1EEEZNS1_14transform_implILb1ES3_S5_PmS7_NS0_8identityIvEEEE10hipError_tT2_T3_mT4_P12ihipStream_tbEUlT_E_NS1_11comp_targetILNS1_3genE8ELNS1_11target_archE1030ELNS1_3gpuE2ELNS1_3repE0EEENS1_30default_config_static_selectorELNS0_4arch9wavefront6targetE0EEEvT1_.num_named_barrier, 0
	.set _ZN7rocprim17ROCPRIM_400000_NS6detail17trampoline_kernelINS0_14default_configENS1_25transform_config_selectorImLb1EEEZNS1_14transform_implILb1ES3_S5_PmS7_NS0_8identityIvEEEE10hipError_tT2_T3_mT4_P12ihipStream_tbEUlT_E_NS1_11comp_targetILNS1_3genE8ELNS1_11target_archE1030ELNS1_3gpuE2ELNS1_3repE0EEENS1_30default_config_static_selectorELNS0_4arch9wavefront6targetE0EEEvT1_.private_seg_size, 0
	.set _ZN7rocprim17ROCPRIM_400000_NS6detail17trampoline_kernelINS0_14default_configENS1_25transform_config_selectorImLb1EEEZNS1_14transform_implILb1ES3_S5_PmS7_NS0_8identityIvEEEE10hipError_tT2_T3_mT4_P12ihipStream_tbEUlT_E_NS1_11comp_targetILNS1_3genE8ELNS1_11target_archE1030ELNS1_3gpuE2ELNS1_3repE0EEENS1_30default_config_static_selectorELNS0_4arch9wavefront6targetE0EEEvT1_.uses_vcc, 0
	.set _ZN7rocprim17ROCPRIM_400000_NS6detail17trampoline_kernelINS0_14default_configENS1_25transform_config_selectorImLb1EEEZNS1_14transform_implILb1ES3_S5_PmS7_NS0_8identityIvEEEE10hipError_tT2_T3_mT4_P12ihipStream_tbEUlT_E_NS1_11comp_targetILNS1_3genE8ELNS1_11target_archE1030ELNS1_3gpuE2ELNS1_3repE0EEENS1_30default_config_static_selectorELNS0_4arch9wavefront6targetE0EEEvT1_.uses_flat_scratch, 0
	.set _ZN7rocprim17ROCPRIM_400000_NS6detail17trampoline_kernelINS0_14default_configENS1_25transform_config_selectorImLb1EEEZNS1_14transform_implILb1ES3_S5_PmS7_NS0_8identityIvEEEE10hipError_tT2_T3_mT4_P12ihipStream_tbEUlT_E_NS1_11comp_targetILNS1_3genE8ELNS1_11target_archE1030ELNS1_3gpuE2ELNS1_3repE0EEENS1_30default_config_static_selectorELNS0_4arch9wavefront6targetE0EEEvT1_.has_dyn_sized_stack, 0
	.set _ZN7rocprim17ROCPRIM_400000_NS6detail17trampoline_kernelINS0_14default_configENS1_25transform_config_selectorImLb1EEEZNS1_14transform_implILb1ES3_S5_PmS7_NS0_8identityIvEEEE10hipError_tT2_T3_mT4_P12ihipStream_tbEUlT_E_NS1_11comp_targetILNS1_3genE8ELNS1_11target_archE1030ELNS1_3gpuE2ELNS1_3repE0EEENS1_30default_config_static_selectorELNS0_4arch9wavefront6targetE0EEEvT1_.has_recursion, 0
	.set _ZN7rocprim17ROCPRIM_400000_NS6detail17trampoline_kernelINS0_14default_configENS1_25transform_config_selectorImLb1EEEZNS1_14transform_implILb1ES3_S5_PmS7_NS0_8identityIvEEEE10hipError_tT2_T3_mT4_P12ihipStream_tbEUlT_E_NS1_11comp_targetILNS1_3genE8ELNS1_11target_archE1030ELNS1_3gpuE2ELNS1_3repE0EEENS1_30default_config_static_selectorELNS0_4arch9wavefront6targetE0EEEvT1_.has_indirect_call, 0
	.section	.AMDGPU.csdata,"",@progbits
; Kernel info:
; codeLenInByte = 0
; TotalNumSgprs: 0
; NumVgprs: 0
; ScratchSize: 0
; MemoryBound: 0
; FloatMode: 240
; IeeeMode: 1
; LDSByteSize: 0 bytes/workgroup (compile time only)
; SGPRBlocks: 0
; VGPRBlocks: 0
; NumSGPRsForWavesPerEU: 1
; NumVGPRsForWavesPerEU: 1
; NamedBarCnt: 0
; Occupancy: 16
; WaveLimiterHint : 0
; COMPUTE_PGM_RSRC2:SCRATCH_EN: 0
; COMPUTE_PGM_RSRC2:USER_SGPR: 2
; COMPUTE_PGM_RSRC2:TRAP_HANDLER: 0
; COMPUTE_PGM_RSRC2:TGID_X_EN: 1
; COMPUTE_PGM_RSRC2:TGID_Y_EN: 0
; COMPUTE_PGM_RSRC2:TGID_Z_EN: 0
; COMPUTE_PGM_RSRC2:TIDIG_COMP_CNT: 0
	.section	.text._ZN7rocprim17ROCPRIM_400000_NS6detail31init_lookback_scan_state_kernelINS1_19lookback_scan_stateIjLb1ELb1EEENS1_16block_id_wrapperIjLb1EEEEEvT_jT0_jPNS7_10value_typeE,"axG",@progbits,_ZN7rocprim17ROCPRIM_400000_NS6detail31init_lookback_scan_state_kernelINS1_19lookback_scan_stateIjLb1ELb1EEENS1_16block_id_wrapperIjLb1EEEEEvT_jT0_jPNS7_10value_typeE,comdat
	.protected	_ZN7rocprim17ROCPRIM_400000_NS6detail31init_lookback_scan_state_kernelINS1_19lookback_scan_stateIjLb1ELb1EEENS1_16block_id_wrapperIjLb1EEEEEvT_jT0_jPNS7_10value_typeE ; -- Begin function _ZN7rocprim17ROCPRIM_400000_NS6detail31init_lookback_scan_state_kernelINS1_19lookback_scan_stateIjLb1ELb1EEENS1_16block_id_wrapperIjLb1EEEEEvT_jT0_jPNS7_10value_typeE
	.globl	_ZN7rocprim17ROCPRIM_400000_NS6detail31init_lookback_scan_state_kernelINS1_19lookback_scan_stateIjLb1ELb1EEENS1_16block_id_wrapperIjLb1EEEEEvT_jT0_jPNS7_10value_typeE
	.p2align	8
	.type	_ZN7rocprim17ROCPRIM_400000_NS6detail31init_lookback_scan_state_kernelINS1_19lookback_scan_stateIjLb1ELb1EEENS1_16block_id_wrapperIjLb1EEEEEvT_jT0_jPNS7_10value_typeE,@function
_ZN7rocprim17ROCPRIM_400000_NS6detail31init_lookback_scan_state_kernelINS1_19lookback_scan_stateIjLb1ELb1EEENS1_16block_id_wrapperIjLb1EEEEEvT_jT0_jPNS7_10value_typeE: ; @_ZN7rocprim17ROCPRIM_400000_NS6detail31init_lookback_scan_state_kernelINS1_19lookback_scan_stateIjLb1ELb1EEENS1_16block_id_wrapperIjLb1EEEEEvT_jT0_jPNS7_10value_typeE
; %bb.0:
	s_clause 0x2
	s_load_b32 s7, s[0:1], 0x34
	s_load_b96 s[4:6], s[0:1], 0x0
	s_load_b64 s[2:3], s[0:1], 0x20
	s_bfe_u32 s8, ttmp6, 0x4000c
	s_and_b32 s9, ttmp6, 15
	s_add_co_i32 s8, s8, 1
	s_getreg_b32 s10, hwreg(HW_REG_IB_STS2, 6, 4)
	s_mul_i32 s8, ttmp9, s8
	s_delay_alu instid0(SALU_CYCLE_1)
	s_add_co_i32 s9, s9, s8
	s_wait_kmcnt 0x0
	s_and_b32 s7, s7, 0xffff
	s_cmp_eq_u32 s10, 0
	s_cselect_b32 s8, ttmp9, s9
	s_cmp_eq_u64 s[2:3], 0
	v_mad_u32 v4, s8, s7, v0
	s_cbranch_scc1 .LBB177_9
; %bb.1:
	s_load_b32 s8, s[0:1], 0x18
	s_wait_kmcnt 0x0
	s_cmp_lt_u32 s8, s6
	s_cselect_b32 s7, s8, 0
	s_delay_alu instid0(VALU_DEP_1) | instid1(SALU_CYCLE_1)
	v_cmp_eq_u32_e32 vcc_lo, s7, v4
	s_and_saveexec_b32 s7, vcc_lo
	s_cbranch_execz .LBB177_8
; %bb.2:
	s_add_co_i32 s8, s8, 32
	s_delay_alu instid0(SALU_CYCLE_1)
	v_mov_b32_e32 v0, s8
	global_load_b64 v[2:3], v0, s[4:5] scale_offset scope:SCOPE_DEV
	s_wait_xcnt 0x0
	v_mov_b32_e32 v0, 0
	s_wait_loadcnt 0x0
	v_and_b32_e32 v1, 0xff, v3
	s_delay_alu instid0(VALU_DEP_1)
	v_cmp_ne_u64_e32 vcc_lo, 0, v[0:1]
	s_cbranch_vccnz .LBB177_7
; %bb.3:
	s_mov_b32 s9, 0
	s_mov_b32 s10, 1
	s_lshl_b64 s[8:9], s[8:9], 3
	s_delay_alu instid0(SALU_CYCLE_1)
	s_add_nc_u64 s[8:9], s[4:5], s[8:9]
.LBB177_4:                              ; =>This Loop Header: Depth=1
                                        ;     Child Loop BB177_5 Depth 2
	s_mov_b32 s11, s10
.LBB177_5:                              ;   Parent Loop BB177_4 Depth=1
                                        ; =>  This Inner Loop Header: Depth=2
	s_delay_alu instid0(SALU_CYCLE_1)
	s_add_co_i32 s11, s11, -1
	s_sleep 1
	s_cmp_eq_u32 s11, 0
	s_cbranch_scc0 .LBB177_5
; %bb.6:                                ;   in Loop: Header=BB177_4 Depth=1
	global_load_b64 v[2:3], v0, s[8:9] scope:SCOPE_DEV
	s_cmp_lt_u32 s10, 32
	s_cselect_b32 s11, -1, 0
	s_delay_alu instid0(SALU_CYCLE_1) | instskip(SKIP_3) | instid1(VALU_DEP_1)
	s_cmp_lg_u32 s11, 0
	s_add_co_ci_u32 s10, s10, 0
	s_wait_loadcnt 0x0
	v_and_b32_e32 v1, 0xff, v3
	v_cmp_ne_u64_e32 vcc_lo, 0, v[0:1]
	s_cbranch_vccz .LBB177_4
.LBB177_7:
	v_mov_b32_e32 v0, 0
	global_store_b32 v0, v2, s[2:3]
.LBB177_8:
	s_wait_xcnt 0x0
	s_or_b32 exec_lo, exec_lo, s7
.LBB177_9:
	s_delay_alu instid0(SALU_CYCLE_1) | instskip(NEXT) | instid1(VALU_DEP_1)
	s_mov_b32 s2, exec_lo
	v_cmpx_eq_u32_e32 0, v4
	s_cbranch_execz .LBB177_11
; %bb.10:
	s_load_b64 s[0:1], s[0:1], 0x10
	v_mov_b32_e32 v0, 0
	s_wait_kmcnt 0x0
	global_store_b32 v0, v0, s[0:1]
.LBB177_11:
	s_wait_xcnt 0x0
	s_or_b32 exec_lo, exec_lo, s2
	s_delay_alu instid0(SALU_CYCLE_1)
	s_mov_b32 s0, exec_lo
	v_cmpx_gt_u32_e64 s6, v4
	s_cbranch_execz .LBB177_13
; %bb.12:
	v_mov_b64_e32 v[0:1], 0
	v_add_nc_u32_e32 v2, 32, v4
	global_store_b64 v2, v[0:1], s[4:5] scale_offset
.LBB177_13:
	s_wait_xcnt 0x0
	s_or_b32 exec_lo, exec_lo, s0
	s_delay_alu instid0(SALU_CYCLE_1)
	s_mov_b32 s0, exec_lo
	v_cmpx_gt_u32_e32 32, v4
	s_cbranch_execz .LBB177_15
; %bb.14:
	v_mov_b64_e32 v[0:1], 0xff00000000
	global_store_b64 v4, v[0:1], s[4:5] scale_offset
.LBB177_15:
	s_endpgm
	.section	.rodata,"a",@progbits
	.p2align	6, 0x0
	.amdhsa_kernel _ZN7rocprim17ROCPRIM_400000_NS6detail31init_lookback_scan_state_kernelINS1_19lookback_scan_stateIjLb1ELb1EEENS1_16block_id_wrapperIjLb1EEEEEvT_jT0_jPNS7_10value_typeE
		.amdhsa_group_segment_fixed_size 0
		.amdhsa_private_segment_fixed_size 0
		.amdhsa_kernarg_size 296
		.amdhsa_user_sgpr_count 2
		.amdhsa_user_sgpr_dispatch_ptr 0
		.amdhsa_user_sgpr_queue_ptr 0
		.amdhsa_user_sgpr_kernarg_segment_ptr 1
		.amdhsa_user_sgpr_dispatch_id 0
		.amdhsa_user_sgpr_kernarg_preload_length 0
		.amdhsa_user_sgpr_kernarg_preload_offset 0
		.amdhsa_user_sgpr_private_segment_size 0
		.amdhsa_wavefront_size32 1
		.amdhsa_uses_dynamic_stack 0
		.amdhsa_enable_private_segment 0
		.amdhsa_system_sgpr_workgroup_id_x 1
		.amdhsa_system_sgpr_workgroup_id_y 0
		.amdhsa_system_sgpr_workgroup_id_z 0
		.amdhsa_system_sgpr_workgroup_info 0
		.amdhsa_system_vgpr_workitem_id 0
		.amdhsa_next_free_vgpr 5
		.amdhsa_next_free_sgpr 12
		.amdhsa_named_barrier_count 0
		.amdhsa_reserve_vcc 1
		.amdhsa_float_round_mode_32 0
		.amdhsa_float_round_mode_16_64 0
		.amdhsa_float_denorm_mode_32 3
		.amdhsa_float_denorm_mode_16_64 3
		.amdhsa_fp16_overflow 0
		.amdhsa_memory_ordered 1
		.amdhsa_forward_progress 1
		.amdhsa_inst_pref_size 4
		.amdhsa_round_robin_scheduling 0
		.amdhsa_exception_fp_ieee_invalid_op 0
		.amdhsa_exception_fp_denorm_src 0
		.amdhsa_exception_fp_ieee_div_zero 0
		.amdhsa_exception_fp_ieee_overflow 0
		.amdhsa_exception_fp_ieee_underflow 0
		.amdhsa_exception_fp_ieee_inexact 0
		.amdhsa_exception_int_div_zero 0
	.end_amdhsa_kernel
	.section	.text._ZN7rocprim17ROCPRIM_400000_NS6detail31init_lookback_scan_state_kernelINS1_19lookback_scan_stateIjLb1ELb1EEENS1_16block_id_wrapperIjLb1EEEEEvT_jT0_jPNS7_10value_typeE,"axG",@progbits,_ZN7rocprim17ROCPRIM_400000_NS6detail31init_lookback_scan_state_kernelINS1_19lookback_scan_stateIjLb1ELb1EEENS1_16block_id_wrapperIjLb1EEEEEvT_jT0_jPNS7_10value_typeE,comdat
.Lfunc_end177:
	.size	_ZN7rocprim17ROCPRIM_400000_NS6detail31init_lookback_scan_state_kernelINS1_19lookback_scan_stateIjLb1ELb1EEENS1_16block_id_wrapperIjLb1EEEEEvT_jT0_jPNS7_10value_typeE, .Lfunc_end177-_ZN7rocprim17ROCPRIM_400000_NS6detail31init_lookback_scan_state_kernelINS1_19lookback_scan_stateIjLb1ELb1EEENS1_16block_id_wrapperIjLb1EEEEEvT_jT0_jPNS7_10value_typeE
                                        ; -- End function
	.set _ZN7rocprim17ROCPRIM_400000_NS6detail31init_lookback_scan_state_kernelINS1_19lookback_scan_stateIjLb1ELb1EEENS1_16block_id_wrapperIjLb1EEEEEvT_jT0_jPNS7_10value_typeE.num_vgpr, 5
	.set _ZN7rocprim17ROCPRIM_400000_NS6detail31init_lookback_scan_state_kernelINS1_19lookback_scan_stateIjLb1ELb1EEENS1_16block_id_wrapperIjLb1EEEEEvT_jT0_jPNS7_10value_typeE.num_agpr, 0
	.set _ZN7rocprim17ROCPRIM_400000_NS6detail31init_lookback_scan_state_kernelINS1_19lookback_scan_stateIjLb1ELb1EEENS1_16block_id_wrapperIjLb1EEEEEvT_jT0_jPNS7_10value_typeE.numbered_sgpr, 12
	.set _ZN7rocprim17ROCPRIM_400000_NS6detail31init_lookback_scan_state_kernelINS1_19lookback_scan_stateIjLb1ELb1EEENS1_16block_id_wrapperIjLb1EEEEEvT_jT0_jPNS7_10value_typeE.num_named_barrier, 0
	.set _ZN7rocprim17ROCPRIM_400000_NS6detail31init_lookback_scan_state_kernelINS1_19lookback_scan_stateIjLb1ELb1EEENS1_16block_id_wrapperIjLb1EEEEEvT_jT0_jPNS7_10value_typeE.private_seg_size, 0
	.set _ZN7rocprim17ROCPRIM_400000_NS6detail31init_lookback_scan_state_kernelINS1_19lookback_scan_stateIjLb1ELb1EEENS1_16block_id_wrapperIjLb1EEEEEvT_jT0_jPNS7_10value_typeE.uses_vcc, 1
	.set _ZN7rocprim17ROCPRIM_400000_NS6detail31init_lookback_scan_state_kernelINS1_19lookback_scan_stateIjLb1ELb1EEENS1_16block_id_wrapperIjLb1EEEEEvT_jT0_jPNS7_10value_typeE.uses_flat_scratch, 0
	.set _ZN7rocprim17ROCPRIM_400000_NS6detail31init_lookback_scan_state_kernelINS1_19lookback_scan_stateIjLb1ELb1EEENS1_16block_id_wrapperIjLb1EEEEEvT_jT0_jPNS7_10value_typeE.has_dyn_sized_stack, 0
	.set _ZN7rocprim17ROCPRIM_400000_NS6detail31init_lookback_scan_state_kernelINS1_19lookback_scan_stateIjLb1ELb1EEENS1_16block_id_wrapperIjLb1EEEEEvT_jT0_jPNS7_10value_typeE.has_recursion, 0
	.set _ZN7rocprim17ROCPRIM_400000_NS6detail31init_lookback_scan_state_kernelINS1_19lookback_scan_stateIjLb1ELb1EEENS1_16block_id_wrapperIjLb1EEEEEvT_jT0_jPNS7_10value_typeE.has_indirect_call, 0
	.section	.AMDGPU.csdata,"",@progbits
; Kernel info:
; codeLenInByte = 452
; TotalNumSgprs: 14
; NumVgprs: 5
; ScratchSize: 0
; MemoryBound: 0
; FloatMode: 240
; IeeeMode: 1
; LDSByteSize: 0 bytes/workgroup (compile time only)
; SGPRBlocks: 0
; VGPRBlocks: 0
; NumSGPRsForWavesPerEU: 14
; NumVGPRsForWavesPerEU: 5
; NamedBarCnt: 0
; Occupancy: 16
; WaveLimiterHint : 0
; COMPUTE_PGM_RSRC2:SCRATCH_EN: 0
; COMPUTE_PGM_RSRC2:USER_SGPR: 2
; COMPUTE_PGM_RSRC2:TRAP_HANDLER: 0
; COMPUTE_PGM_RSRC2:TGID_X_EN: 1
; COMPUTE_PGM_RSRC2:TGID_Y_EN: 0
; COMPUTE_PGM_RSRC2:TGID_Z_EN: 0
; COMPUTE_PGM_RSRC2:TIDIG_COMP_CNT: 0
	.section	.text._ZN7rocprim17ROCPRIM_400000_NS6detail17trampoline_kernelINS0_14default_configENS1_25partition_config_selectorILNS1_17partition_subalgoE8ElNS0_10empty_typeEbEEZZNS1_14partition_implILS5_8ELb0ES3_jPlPS6_PKS6_NS0_5tupleIJS9_S6_EEENSD_IJSA_SA_EEENS0_18inequality_wrapperIZN2at6native12_GLOBAL__N_124unique_dim_cuda_templateIhEESt5tupleIJNSH_6TensorESM_SM_EERKSM_lbbbEUlllE0_EEPmJS6_EEE10hipError_tPvRmT3_T4_T5_T6_T7_T9_mT8_P12ihipStream_tbDpT10_ENKUlT_T0_E_clISt17integral_constantIbLb1EES1C_EEDaS17_S18_EUlS17_E_NS1_11comp_targetILNS1_3genE0ELNS1_11target_archE4294967295ELNS1_3gpuE0ELNS1_3repE0EEENS1_30default_config_static_selectorELNS0_4arch9wavefront6targetE0EEEvT1_,"axG",@progbits,_ZN7rocprim17ROCPRIM_400000_NS6detail17trampoline_kernelINS0_14default_configENS1_25partition_config_selectorILNS1_17partition_subalgoE8ElNS0_10empty_typeEbEEZZNS1_14partition_implILS5_8ELb0ES3_jPlPS6_PKS6_NS0_5tupleIJS9_S6_EEENSD_IJSA_SA_EEENS0_18inequality_wrapperIZN2at6native12_GLOBAL__N_124unique_dim_cuda_templateIhEESt5tupleIJNSH_6TensorESM_SM_EERKSM_lbbbEUlllE0_EEPmJS6_EEE10hipError_tPvRmT3_T4_T5_T6_T7_T9_mT8_P12ihipStream_tbDpT10_ENKUlT_T0_E_clISt17integral_constantIbLb1EES1C_EEDaS17_S18_EUlS17_E_NS1_11comp_targetILNS1_3genE0ELNS1_11target_archE4294967295ELNS1_3gpuE0ELNS1_3repE0EEENS1_30default_config_static_selectorELNS0_4arch9wavefront6targetE0EEEvT1_,comdat
	.globl	_ZN7rocprim17ROCPRIM_400000_NS6detail17trampoline_kernelINS0_14default_configENS1_25partition_config_selectorILNS1_17partition_subalgoE8ElNS0_10empty_typeEbEEZZNS1_14partition_implILS5_8ELb0ES3_jPlPS6_PKS6_NS0_5tupleIJS9_S6_EEENSD_IJSA_SA_EEENS0_18inequality_wrapperIZN2at6native12_GLOBAL__N_124unique_dim_cuda_templateIhEESt5tupleIJNSH_6TensorESM_SM_EERKSM_lbbbEUlllE0_EEPmJS6_EEE10hipError_tPvRmT3_T4_T5_T6_T7_T9_mT8_P12ihipStream_tbDpT10_ENKUlT_T0_E_clISt17integral_constantIbLb1EES1C_EEDaS17_S18_EUlS17_E_NS1_11comp_targetILNS1_3genE0ELNS1_11target_archE4294967295ELNS1_3gpuE0ELNS1_3repE0EEENS1_30default_config_static_selectorELNS0_4arch9wavefront6targetE0EEEvT1_ ; -- Begin function _ZN7rocprim17ROCPRIM_400000_NS6detail17trampoline_kernelINS0_14default_configENS1_25partition_config_selectorILNS1_17partition_subalgoE8ElNS0_10empty_typeEbEEZZNS1_14partition_implILS5_8ELb0ES3_jPlPS6_PKS6_NS0_5tupleIJS9_S6_EEENSD_IJSA_SA_EEENS0_18inequality_wrapperIZN2at6native12_GLOBAL__N_124unique_dim_cuda_templateIhEESt5tupleIJNSH_6TensorESM_SM_EERKSM_lbbbEUlllE0_EEPmJS6_EEE10hipError_tPvRmT3_T4_T5_T6_T7_T9_mT8_P12ihipStream_tbDpT10_ENKUlT_T0_E_clISt17integral_constantIbLb1EES1C_EEDaS17_S18_EUlS17_E_NS1_11comp_targetILNS1_3genE0ELNS1_11target_archE4294967295ELNS1_3gpuE0ELNS1_3repE0EEENS1_30default_config_static_selectorELNS0_4arch9wavefront6targetE0EEEvT1_
	.p2align	8
	.type	_ZN7rocprim17ROCPRIM_400000_NS6detail17trampoline_kernelINS0_14default_configENS1_25partition_config_selectorILNS1_17partition_subalgoE8ElNS0_10empty_typeEbEEZZNS1_14partition_implILS5_8ELb0ES3_jPlPS6_PKS6_NS0_5tupleIJS9_S6_EEENSD_IJSA_SA_EEENS0_18inequality_wrapperIZN2at6native12_GLOBAL__N_124unique_dim_cuda_templateIhEESt5tupleIJNSH_6TensorESM_SM_EERKSM_lbbbEUlllE0_EEPmJS6_EEE10hipError_tPvRmT3_T4_T5_T6_T7_T9_mT8_P12ihipStream_tbDpT10_ENKUlT_T0_E_clISt17integral_constantIbLb1EES1C_EEDaS17_S18_EUlS17_E_NS1_11comp_targetILNS1_3genE0ELNS1_11target_archE4294967295ELNS1_3gpuE0ELNS1_3repE0EEENS1_30default_config_static_selectorELNS0_4arch9wavefront6targetE0EEEvT1_,@function
_ZN7rocprim17ROCPRIM_400000_NS6detail17trampoline_kernelINS0_14default_configENS1_25partition_config_selectorILNS1_17partition_subalgoE8ElNS0_10empty_typeEbEEZZNS1_14partition_implILS5_8ELb0ES3_jPlPS6_PKS6_NS0_5tupleIJS9_S6_EEENSD_IJSA_SA_EEENS0_18inequality_wrapperIZN2at6native12_GLOBAL__N_124unique_dim_cuda_templateIhEESt5tupleIJNSH_6TensorESM_SM_EERKSM_lbbbEUlllE0_EEPmJS6_EEE10hipError_tPvRmT3_T4_T5_T6_T7_T9_mT8_P12ihipStream_tbDpT10_ENKUlT_T0_E_clISt17integral_constantIbLb1EES1C_EEDaS17_S18_EUlS17_E_NS1_11comp_targetILNS1_3genE0ELNS1_11target_archE4294967295ELNS1_3gpuE0ELNS1_3repE0EEENS1_30default_config_static_selectorELNS0_4arch9wavefront6targetE0EEEvT1_: ; @_ZN7rocprim17ROCPRIM_400000_NS6detail17trampoline_kernelINS0_14default_configENS1_25partition_config_selectorILNS1_17partition_subalgoE8ElNS0_10empty_typeEbEEZZNS1_14partition_implILS5_8ELb0ES3_jPlPS6_PKS6_NS0_5tupleIJS9_S6_EEENSD_IJSA_SA_EEENS0_18inequality_wrapperIZN2at6native12_GLOBAL__N_124unique_dim_cuda_templateIhEESt5tupleIJNSH_6TensorESM_SM_EERKSM_lbbbEUlllE0_EEPmJS6_EEE10hipError_tPvRmT3_T4_T5_T6_T7_T9_mT8_P12ihipStream_tbDpT10_ENKUlT_T0_E_clISt17integral_constantIbLb1EES1C_EEDaS17_S18_EUlS17_E_NS1_11comp_targetILNS1_3genE0ELNS1_11target_archE4294967295ELNS1_3gpuE0ELNS1_3repE0EEENS1_30default_config_static_selectorELNS0_4arch9wavefront6targetE0EEEvT1_
; %bb.0:
	s_endpgm
	.section	.rodata,"a",@progbits
	.p2align	6, 0x0
	.amdhsa_kernel _ZN7rocprim17ROCPRIM_400000_NS6detail17trampoline_kernelINS0_14default_configENS1_25partition_config_selectorILNS1_17partition_subalgoE8ElNS0_10empty_typeEbEEZZNS1_14partition_implILS5_8ELb0ES3_jPlPS6_PKS6_NS0_5tupleIJS9_S6_EEENSD_IJSA_SA_EEENS0_18inequality_wrapperIZN2at6native12_GLOBAL__N_124unique_dim_cuda_templateIhEESt5tupleIJNSH_6TensorESM_SM_EERKSM_lbbbEUlllE0_EEPmJS6_EEE10hipError_tPvRmT3_T4_T5_T6_T7_T9_mT8_P12ihipStream_tbDpT10_ENKUlT_T0_E_clISt17integral_constantIbLb1EES1C_EEDaS17_S18_EUlS17_E_NS1_11comp_targetILNS1_3genE0ELNS1_11target_archE4294967295ELNS1_3gpuE0ELNS1_3repE0EEENS1_30default_config_static_selectorELNS0_4arch9wavefront6targetE0EEEvT1_
		.amdhsa_group_segment_fixed_size 0
		.amdhsa_private_segment_fixed_size 0
		.amdhsa_kernarg_size 136
		.amdhsa_user_sgpr_count 2
		.amdhsa_user_sgpr_dispatch_ptr 0
		.amdhsa_user_sgpr_queue_ptr 0
		.amdhsa_user_sgpr_kernarg_segment_ptr 1
		.amdhsa_user_sgpr_dispatch_id 0
		.amdhsa_user_sgpr_kernarg_preload_length 0
		.amdhsa_user_sgpr_kernarg_preload_offset 0
		.amdhsa_user_sgpr_private_segment_size 0
		.amdhsa_wavefront_size32 1
		.amdhsa_uses_dynamic_stack 0
		.amdhsa_enable_private_segment 0
		.amdhsa_system_sgpr_workgroup_id_x 1
		.amdhsa_system_sgpr_workgroup_id_y 0
		.amdhsa_system_sgpr_workgroup_id_z 0
		.amdhsa_system_sgpr_workgroup_info 0
		.amdhsa_system_vgpr_workitem_id 0
		.amdhsa_next_free_vgpr 1
		.amdhsa_next_free_sgpr 1
		.amdhsa_named_barrier_count 0
		.amdhsa_reserve_vcc 0
		.amdhsa_float_round_mode_32 0
		.amdhsa_float_round_mode_16_64 0
		.amdhsa_float_denorm_mode_32 3
		.amdhsa_float_denorm_mode_16_64 3
		.amdhsa_fp16_overflow 0
		.amdhsa_memory_ordered 1
		.amdhsa_forward_progress 1
		.amdhsa_inst_pref_size 1
		.amdhsa_round_robin_scheduling 0
		.amdhsa_exception_fp_ieee_invalid_op 0
		.amdhsa_exception_fp_denorm_src 0
		.amdhsa_exception_fp_ieee_div_zero 0
		.amdhsa_exception_fp_ieee_overflow 0
		.amdhsa_exception_fp_ieee_underflow 0
		.amdhsa_exception_fp_ieee_inexact 0
		.amdhsa_exception_int_div_zero 0
	.end_amdhsa_kernel
	.section	.text._ZN7rocprim17ROCPRIM_400000_NS6detail17trampoline_kernelINS0_14default_configENS1_25partition_config_selectorILNS1_17partition_subalgoE8ElNS0_10empty_typeEbEEZZNS1_14partition_implILS5_8ELb0ES3_jPlPS6_PKS6_NS0_5tupleIJS9_S6_EEENSD_IJSA_SA_EEENS0_18inequality_wrapperIZN2at6native12_GLOBAL__N_124unique_dim_cuda_templateIhEESt5tupleIJNSH_6TensorESM_SM_EERKSM_lbbbEUlllE0_EEPmJS6_EEE10hipError_tPvRmT3_T4_T5_T6_T7_T9_mT8_P12ihipStream_tbDpT10_ENKUlT_T0_E_clISt17integral_constantIbLb1EES1C_EEDaS17_S18_EUlS17_E_NS1_11comp_targetILNS1_3genE0ELNS1_11target_archE4294967295ELNS1_3gpuE0ELNS1_3repE0EEENS1_30default_config_static_selectorELNS0_4arch9wavefront6targetE0EEEvT1_,"axG",@progbits,_ZN7rocprim17ROCPRIM_400000_NS6detail17trampoline_kernelINS0_14default_configENS1_25partition_config_selectorILNS1_17partition_subalgoE8ElNS0_10empty_typeEbEEZZNS1_14partition_implILS5_8ELb0ES3_jPlPS6_PKS6_NS0_5tupleIJS9_S6_EEENSD_IJSA_SA_EEENS0_18inequality_wrapperIZN2at6native12_GLOBAL__N_124unique_dim_cuda_templateIhEESt5tupleIJNSH_6TensorESM_SM_EERKSM_lbbbEUlllE0_EEPmJS6_EEE10hipError_tPvRmT3_T4_T5_T6_T7_T9_mT8_P12ihipStream_tbDpT10_ENKUlT_T0_E_clISt17integral_constantIbLb1EES1C_EEDaS17_S18_EUlS17_E_NS1_11comp_targetILNS1_3genE0ELNS1_11target_archE4294967295ELNS1_3gpuE0ELNS1_3repE0EEENS1_30default_config_static_selectorELNS0_4arch9wavefront6targetE0EEEvT1_,comdat
.Lfunc_end178:
	.size	_ZN7rocprim17ROCPRIM_400000_NS6detail17trampoline_kernelINS0_14default_configENS1_25partition_config_selectorILNS1_17partition_subalgoE8ElNS0_10empty_typeEbEEZZNS1_14partition_implILS5_8ELb0ES3_jPlPS6_PKS6_NS0_5tupleIJS9_S6_EEENSD_IJSA_SA_EEENS0_18inequality_wrapperIZN2at6native12_GLOBAL__N_124unique_dim_cuda_templateIhEESt5tupleIJNSH_6TensorESM_SM_EERKSM_lbbbEUlllE0_EEPmJS6_EEE10hipError_tPvRmT3_T4_T5_T6_T7_T9_mT8_P12ihipStream_tbDpT10_ENKUlT_T0_E_clISt17integral_constantIbLb1EES1C_EEDaS17_S18_EUlS17_E_NS1_11comp_targetILNS1_3genE0ELNS1_11target_archE4294967295ELNS1_3gpuE0ELNS1_3repE0EEENS1_30default_config_static_selectorELNS0_4arch9wavefront6targetE0EEEvT1_, .Lfunc_end178-_ZN7rocprim17ROCPRIM_400000_NS6detail17trampoline_kernelINS0_14default_configENS1_25partition_config_selectorILNS1_17partition_subalgoE8ElNS0_10empty_typeEbEEZZNS1_14partition_implILS5_8ELb0ES3_jPlPS6_PKS6_NS0_5tupleIJS9_S6_EEENSD_IJSA_SA_EEENS0_18inequality_wrapperIZN2at6native12_GLOBAL__N_124unique_dim_cuda_templateIhEESt5tupleIJNSH_6TensorESM_SM_EERKSM_lbbbEUlllE0_EEPmJS6_EEE10hipError_tPvRmT3_T4_T5_T6_T7_T9_mT8_P12ihipStream_tbDpT10_ENKUlT_T0_E_clISt17integral_constantIbLb1EES1C_EEDaS17_S18_EUlS17_E_NS1_11comp_targetILNS1_3genE0ELNS1_11target_archE4294967295ELNS1_3gpuE0ELNS1_3repE0EEENS1_30default_config_static_selectorELNS0_4arch9wavefront6targetE0EEEvT1_
                                        ; -- End function
	.set _ZN7rocprim17ROCPRIM_400000_NS6detail17trampoline_kernelINS0_14default_configENS1_25partition_config_selectorILNS1_17partition_subalgoE8ElNS0_10empty_typeEbEEZZNS1_14partition_implILS5_8ELb0ES3_jPlPS6_PKS6_NS0_5tupleIJS9_S6_EEENSD_IJSA_SA_EEENS0_18inequality_wrapperIZN2at6native12_GLOBAL__N_124unique_dim_cuda_templateIhEESt5tupleIJNSH_6TensorESM_SM_EERKSM_lbbbEUlllE0_EEPmJS6_EEE10hipError_tPvRmT3_T4_T5_T6_T7_T9_mT8_P12ihipStream_tbDpT10_ENKUlT_T0_E_clISt17integral_constantIbLb1EES1C_EEDaS17_S18_EUlS17_E_NS1_11comp_targetILNS1_3genE0ELNS1_11target_archE4294967295ELNS1_3gpuE0ELNS1_3repE0EEENS1_30default_config_static_selectorELNS0_4arch9wavefront6targetE0EEEvT1_.num_vgpr, 0
	.set _ZN7rocprim17ROCPRIM_400000_NS6detail17trampoline_kernelINS0_14default_configENS1_25partition_config_selectorILNS1_17partition_subalgoE8ElNS0_10empty_typeEbEEZZNS1_14partition_implILS5_8ELb0ES3_jPlPS6_PKS6_NS0_5tupleIJS9_S6_EEENSD_IJSA_SA_EEENS0_18inequality_wrapperIZN2at6native12_GLOBAL__N_124unique_dim_cuda_templateIhEESt5tupleIJNSH_6TensorESM_SM_EERKSM_lbbbEUlllE0_EEPmJS6_EEE10hipError_tPvRmT3_T4_T5_T6_T7_T9_mT8_P12ihipStream_tbDpT10_ENKUlT_T0_E_clISt17integral_constantIbLb1EES1C_EEDaS17_S18_EUlS17_E_NS1_11comp_targetILNS1_3genE0ELNS1_11target_archE4294967295ELNS1_3gpuE0ELNS1_3repE0EEENS1_30default_config_static_selectorELNS0_4arch9wavefront6targetE0EEEvT1_.num_agpr, 0
	.set _ZN7rocprim17ROCPRIM_400000_NS6detail17trampoline_kernelINS0_14default_configENS1_25partition_config_selectorILNS1_17partition_subalgoE8ElNS0_10empty_typeEbEEZZNS1_14partition_implILS5_8ELb0ES3_jPlPS6_PKS6_NS0_5tupleIJS9_S6_EEENSD_IJSA_SA_EEENS0_18inequality_wrapperIZN2at6native12_GLOBAL__N_124unique_dim_cuda_templateIhEESt5tupleIJNSH_6TensorESM_SM_EERKSM_lbbbEUlllE0_EEPmJS6_EEE10hipError_tPvRmT3_T4_T5_T6_T7_T9_mT8_P12ihipStream_tbDpT10_ENKUlT_T0_E_clISt17integral_constantIbLb1EES1C_EEDaS17_S18_EUlS17_E_NS1_11comp_targetILNS1_3genE0ELNS1_11target_archE4294967295ELNS1_3gpuE0ELNS1_3repE0EEENS1_30default_config_static_selectorELNS0_4arch9wavefront6targetE0EEEvT1_.numbered_sgpr, 0
	.set _ZN7rocprim17ROCPRIM_400000_NS6detail17trampoline_kernelINS0_14default_configENS1_25partition_config_selectorILNS1_17partition_subalgoE8ElNS0_10empty_typeEbEEZZNS1_14partition_implILS5_8ELb0ES3_jPlPS6_PKS6_NS0_5tupleIJS9_S6_EEENSD_IJSA_SA_EEENS0_18inequality_wrapperIZN2at6native12_GLOBAL__N_124unique_dim_cuda_templateIhEESt5tupleIJNSH_6TensorESM_SM_EERKSM_lbbbEUlllE0_EEPmJS6_EEE10hipError_tPvRmT3_T4_T5_T6_T7_T9_mT8_P12ihipStream_tbDpT10_ENKUlT_T0_E_clISt17integral_constantIbLb1EES1C_EEDaS17_S18_EUlS17_E_NS1_11comp_targetILNS1_3genE0ELNS1_11target_archE4294967295ELNS1_3gpuE0ELNS1_3repE0EEENS1_30default_config_static_selectorELNS0_4arch9wavefront6targetE0EEEvT1_.num_named_barrier, 0
	.set _ZN7rocprim17ROCPRIM_400000_NS6detail17trampoline_kernelINS0_14default_configENS1_25partition_config_selectorILNS1_17partition_subalgoE8ElNS0_10empty_typeEbEEZZNS1_14partition_implILS5_8ELb0ES3_jPlPS6_PKS6_NS0_5tupleIJS9_S6_EEENSD_IJSA_SA_EEENS0_18inequality_wrapperIZN2at6native12_GLOBAL__N_124unique_dim_cuda_templateIhEESt5tupleIJNSH_6TensorESM_SM_EERKSM_lbbbEUlllE0_EEPmJS6_EEE10hipError_tPvRmT3_T4_T5_T6_T7_T9_mT8_P12ihipStream_tbDpT10_ENKUlT_T0_E_clISt17integral_constantIbLb1EES1C_EEDaS17_S18_EUlS17_E_NS1_11comp_targetILNS1_3genE0ELNS1_11target_archE4294967295ELNS1_3gpuE0ELNS1_3repE0EEENS1_30default_config_static_selectorELNS0_4arch9wavefront6targetE0EEEvT1_.private_seg_size, 0
	.set _ZN7rocprim17ROCPRIM_400000_NS6detail17trampoline_kernelINS0_14default_configENS1_25partition_config_selectorILNS1_17partition_subalgoE8ElNS0_10empty_typeEbEEZZNS1_14partition_implILS5_8ELb0ES3_jPlPS6_PKS6_NS0_5tupleIJS9_S6_EEENSD_IJSA_SA_EEENS0_18inequality_wrapperIZN2at6native12_GLOBAL__N_124unique_dim_cuda_templateIhEESt5tupleIJNSH_6TensorESM_SM_EERKSM_lbbbEUlllE0_EEPmJS6_EEE10hipError_tPvRmT3_T4_T5_T6_T7_T9_mT8_P12ihipStream_tbDpT10_ENKUlT_T0_E_clISt17integral_constantIbLb1EES1C_EEDaS17_S18_EUlS17_E_NS1_11comp_targetILNS1_3genE0ELNS1_11target_archE4294967295ELNS1_3gpuE0ELNS1_3repE0EEENS1_30default_config_static_selectorELNS0_4arch9wavefront6targetE0EEEvT1_.uses_vcc, 0
	.set _ZN7rocprim17ROCPRIM_400000_NS6detail17trampoline_kernelINS0_14default_configENS1_25partition_config_selectorILNS1_17partition_subalgoE8ElNS0_10empty_typeEbEEZZNS1_14partition_implILS5_8ELb0ES3_jPlPS6_PKS6_NS0_5tupleIJS9_S6_EEENSD_IJSA_SA_EEENS0_18inequality_wrapperIZN2at6native12_GLOBAL__N_124unique_dim_cuda_templateIhEESt5tupleIJNSH_6TensorESM_SM_EERKSM_lbbbEUlllE0_EEPmJS6_EEE10hipError_tPvRmT3_T4_T5_T6_T7_T9_mT8_P12ihipStream_tbDpT10_ENKUlT_T0_E_clISt17integral_constantIbLb1EES1C_EEDaS17_S18_EUlS17_E_NS1_11comp_targetILNS1_3genE0ELNS1_11target_archE4294967295ELNS1_3gpuE0ELNS1_3repE0EEENS1_30default_config_static_selectorELNS0_4arch9wavefront6targetE0EEEvT1_.uses_flat_scratch, 0
	.set _ZN7rocprim17ROCPRIM_400000_NS6detail17trampoline_kernelINS0_14default_configENS1_25partition_config_selectorILNS1_17partition_subalgoE8ElNS0_10empty_typeEbEEZZNS1_14partition_implILS5_8ELb0ES3_jPlPS6_PKS6_NS0_5tupleIJS9_S6_EEENSD_IJSA_SA_EEENS0_18inequality_wrapperIZN2at6native12_GLOBAL__N_124unique_dim_cuda_templateIhEESt5tupleIJNSH_6TensorESM_SM_EERKSM_lbbbEUlllE0_EEPmJS6_EEE10hipError_tPvRmT3_T4_T5_T6_T7_T9_mT8_P12ihipStream_tbDpT10_ENKUlT_T0_E_clISt17integral_constantIbLb1EES1C_EEDaS17_S18_EUlS17_E_NS1_11comp_targetILNS1_3genE0ELNS1_11target_archE4294967295ELNS1_3gpuE0ELNS1_3repE0EEENS1_30default_config_static_selectorELNS0_4arch9wavefront6targetE0EEEvT1_.has_dyn_sized_stack, 0
	.set _ZN7rocprim17ROCPRIM_400000_NS6detail17trampoline_kernelINS0_14default_configENS1_25partition_config_selectorILNS1_17partition_subalgoE8ElNS0_10empty_typeEbEEZZNS1_14partition_implILS5_8ELb0ES3_jPlPS6_PKS6_NS0_5tupleIJS9_S6_EEENSD_IJSA_SA_EEENS0_18inequality_wrapperIZN2at6native12_GLOBAL__N_124unique_dim_cuda_templateIhEESt5tupleIJNSH_6TensorESM_SM_EERKSM_lbbbEUlllE0_EEPmJS6_EEE10hipError_tPvRmT3_T4_T5_T6_T7_T9_mT8_P12ihipStream_tbDpT10_ENKUlT_T0_E_clISt17integral_constantIbLb1EES1C_EEDaS17_S18_EUlS17_E_NS1_11comp_targetILNS1_3genE0ELNS1_11target_archE4294967295ELNS1_3gpuE0ELNS1_3repE0EEENS1_30default_config_static_selectorELNS0_4arch9wavefront6targetE0EEEvT1_.has_recursion, 0
	.set _ZN7rocprim17ROCPRIM_400000_NS6detail17trampoline_kernelINS0_14default_configENS1_25partition_config_selectorILNS1_17partition_subalgoE8ElNS0_10empty_typeEbEEZZNS1_14partition_implILS5_8ELb0ES3_jPlPS6_PKS6_NS0_5tupleIJS9_S6_EEENSD_IJSA_SA_EEENS0_18inequality_wrapperIZN2at6native12_GLOBAL__N_124unique_dim_cuda_templateIhEESt5tupleIJNSH_6TensorESM_SM_EERKSM_lbbbEUlllE0_EEPmJS6_EEE10hipError_tPvRmT3_T4_T5_T6_T7_T9_mT8_P12ihipStream_tbDpT10_ENKUlT_T0_E_clISt17integral_constantIbLb1EES1C_EEDaS17_S18_EUlS17_E_NS1_11comp_targetILNS1_3genE0ELNS1_11target_archE4294967295ELNS1_3gpuE0ELNS1_3repE0EEENS1_30default_config_static_selectorELNS0_4arch9wavefront6targetE0EEEvT1_.has_indirect_call, 0
	.section	.AMDGPU.csdata,"",@progbits
; Kernel info:
; codeLenInByte = 4
; TotalNumSgprs: 0
; NumVgprs: 0
; ScratchSize: 0
; MemoryBound: 0
; FloatMode: 240
; IeeeMode: 1
; LDSByteSize: 0 bytes/workgroup (compile time only)
; SGPRBlocks: 0
; VGPRBlocks: 0
; NumSGPRsForWavesPerEU: 1
; NumVGPRsForWavesPerEU: 1
; NamedBarCnt: 0
; Occupancy: 16
; WaveLimiterHint : 0
; COMPUTE_PGM_RSRC2:SCRATCH_EN: 0
; COMPUTE_PGM_RSRC2:USER_SGPR: 2
; COMPUTE_PGM_RSRC2:TRAP_HANDLER: 0
; COMPUTE_PGM_RSRC2:TGID_X_EN: 1
; COMPUTE_PGM_RSRC2:TGID_Y_EN: 0
; COMPUTE_PGM_RSRC2:TGID_Z_EN: 0
; COMPUTE_PGM_RSRC2:TIDIG_COMP_CNT: 0
	.section	.text._ZN7rocprim17ROCPRIM_400000_NS6detail17trampoline_kernelINS0_14default_configENS1_25partition_config_selectorILNS1_17partition_subalgoE8ElNS0_10empty_typeEbEEZZNS1_14partition_implILS5_8ELb0ES3_jPlPS6_PKS6_NS0_5tupleIJS9_S6_EEENSD_IJSA_SA_EEENS0_18inequality_wrapperIZN2at6native12_GLOBAL__N_124unique_dim_cuda_templateIhEESt5tupleIJNSH_6TensorESM_SM_EERKSM_lbbbEUlllE0_EEPmJS6_EEE10hipError_tPvRmT3_T4_T5_T6_T7_T9_mT8_P12ihipStream_tbDpT10_ENKUlT_T0_E_clISt17integral_constantIbLb1EES1C_EEDaS17_S18_EUlS17_E_NS1_11comp_targetILNS1_3genE5ELNS1_11target_archE942ELNS1_3gpuE9ELNS1_3repE0EEENS1_30default_config_static_selectorELNS0_4arch9wavefront6targetE0EEEvT1_,"axG",@progbits,_ZN7rocprim17ROCPRIM_400000_NS6detail17trampoline_kernelINS0_14default_configENS1_25partition_config_selectorILNS1_17partition_subalgoE8ElNS0_10empty_typeEbEEZZNS1_14partition_implILS5_8ELb0ES3_jPlPS6_PKS6_NS0_5tupleIJS9_S6_EEENSD_IJSA_SA_EEENS0_18inequality_wrapperIZN2at6native12_GLOBAL__N_124unique_dim_cuda_templateIhEESt5tupleIJNSH_6TensorESM_SM_EERKSM_lbbbEUlllE0_EEPmJS6_EEE10hipError_tPvRmT3_T4_T5_T6_T7_T9_mT8_P12ihipStream_tbDpT10_ENKUlT_T0_E_clISt17integral_constantIbLb1EES1C_EEDaS17_S18_EUlS17_E_NS1_11comp_targetILNS1_3genE5ELNS1_11target_archE942ELNS1_3gpuE9ELNS1_3repE0EEENS1_30default_config_static_selectorELNS0_4arch9wavefront6targetE0EEEvT1_,comdat
	.globl	_ZN7rocprim17ROCPRIM_400000_NS6detail17trampoline_kernelINS0_14default_configENS1_25partition_config_selectorILNS1_17partition_subalgoE8ElNS0_10empty_typeEbEEZZNS1_14partition_implILS5_8ELb0ES3_jPlPS6_PKS6_NS0_5tupleIJS9_S6_EEENSD_IJSA_SA_EEENS0_18inequality_wrapperIZN2at6native12_GLOBAL__N_124unique_dim_cuda_templateIhEESt5tupleIJNSH_6TensorESM_SM_EERKSM_lbbbEUlllE0_EEPmJS6_EEE10hipError_tPvRmT3_T4_T5_T6_T7_T9_mT8_P12ihipStream_tbDpT10_ENKUlT_T0_E_clISt17integral_constantIbLb1EES1C_EEDaS17_S18_EUlS17_E_NS1_11comp_targetILNS1_3genE5ELNS1_11target_archE942ELNS1_3gpuE9ELNS1_3repE0EEENS1_30default_config_static_selectorELNS0_4arch9wavefront6targetE0EEEvT1_ ; -- Begin function _ZN7rocprim17ROCPRIM_400000_NS6detail17trampoline_kernelINS0_14default_configENS1_25partition_config_selectorILNS1_17partition_subalgoE8ElNS0_10empty_typeEbEEZZNS1_14partition_implILS5_8ELb0ES3_jPlPS6_PKS6_NS0_5tupleIJS9_S6_EEENSD_IJSA_SA_EEENS0_18inequality_wrapperIZN2at6native12_GLOBAL__N_124unique_dim_cuda_templateIhEESt5tupleIJNSH_6TensorESM_SM_EERKSM_lbbbEUlllE0_EEPmJS6_EEE10hipError_tPvRmT3_T4_T5_T6_T7_T9_mT8_P12ihipStream_tbDpT10_ENKUlT_T0_E_clISt17integral_constantIbLb1EES1C_EEDaS17_S18_EUlS17_E_NS1_11comp_targetILNS1_3genE5ELNS1_11target_archE942ELNS1_3gpuE9ELNS1_3repE0EEENS1_30default_config_static_selectorELNS0_4arch9wavefront6targetE0EEEvT1_
	.p2align	8
	.type	_ZN7rocprim17ROCPRIM_400000_NS6detail17trampoline_kernelINS0_14default_configENS1_25partition_config_selectorILNS1_17partition_subalgoE8ElNS0_10empty_typeEbEEZZNS1_14partition_implILS5_8ELb0ES3_jPlPS6_PKS6_NS0_5tupleIJS9_S6_EEENSD_IJSA_SA_EEENS0_18inequality_wrapperIZN2at6native12_GLOBAL__N_124unique_dim_cuda_templateIhEESt5tupleIJNSH_6TensorESM_SM_EERKSM_lbbbEUlllE0_EEPmJS6_EEE10hipError_tPvRmT3_T4_T5_T6_T7_T9_mT8_P12ihipStream_tbDpT10_ENKUlT_T0_E_clISt17integral_constantIbLb1EES1C_EEDaS17_S18_EUlS17_E_NS1_11comp_targetILNS1_3genE5ELNS1_11target_archE942ELNS1_3gpuE9ELNS1_3repE0EEENS1_30default_config_static_selectorELNS0_4arch9wavefront6targetE0EEEvT1_,@function
_ZN7rocprim17ROCPRIM_400000_NS6detail17trampoline_kernelINS0_14default_configENS1_25partition_config_selectorILNS1_17partition_subalgoE8ElNS0_10empty_typeEbEEZZNS1_14partition_implILS5_8ELb0ES3_jPlPS6_PKS6_NS0_5tupleIJS9_S6_EEENSD_IJSA_SA_EEENS0_18inequality_wrapperIZN2at6native12_GLOBAL__N_124unique_dim_cuda_templateIhEESt5tupleIJNSH_6TensorESM_SM_EERKSM_lbbbEUlllE0_EEPmJS6_EEE10hipError_tPvRmT3_T4_T5_T6_T7_T9_mT8_P12ihipStream_tbDpT10_ENKUlT_T0_E_clISt17integral_constantIbLb1EES1C_EEDaS17_S18_EUlS17_E_NS1_11comp_targetILNS1_3genE5ELNS1_11target_archE942ELNS1_3gpuE9ELNS1_3repE0EEENS1_30default_config_static_selectorELNS0_4arch9wavefront6targetE0EEEvT1_: ; @_ZN7rocprim17ROCPRIM_400000_NS6detail17trampoline_kernelINS0_14default_configENS1_25partition_config_selectorILNS1_17partition_subalgoE8ElNS0_10empty_typeEbEEZZNS1_14partition_implILS5_8ELb0ES3_jPlPS6_PKS6_NS0_5tupleIJS9_S6_EEENSD_IJSA_SA_EEENS0_18inequality_wrapperIZN2at6native12_GLOBAL__N_124unique_dim_cuda_templateIhEESt5tupleIJNSH_6TensorESM_SM_EERKSM_lbbbEUlllE0_EEPmJS6_EEE10hipError_tPvRmT3_T4_T5_T6_T7_T9_mT8_P12ihipStream_tbDpT10_ENKUlT_T0_E_clISt17integral_constantIbLb1EES1C_EEDaS17_S18_EUlS17_E_NS1_11comp_targetILNS1_3genE5ELNS1_11target_archE942ELNS1_3gpuE9ELNS1_3repE0EEENS1_30default_config_static_selectorELNS0_4arch9wavefront6targetE0EEEvT1_
; %bb.0:
	.section	.rodata,"a",@progbits
	.p2align	6, 0x0
	.amdhsa_kernel _ZN7rocprim17ROCPRIM_400000_NS6detail17trampoline_kernelINS0_14default_configENS1_25partition_config_selectorILNS1_17partition_subalgoE8ElNS0_10empty_typeEbEEZZNS1_14partition_implILS5_8ELb0ES3_jPlPS6_PKS6_NS0_5tupleIJS9_S6_EEENSD_IJSA_SA_EEENS0_18inequality_wrapperIZN2at6native12_GLOBAL__N_124unique_dim_cuda_templateIhEESt5tupleIJNSH_6TensorESM_SM_EERKSM_lbbbEUlllE0_EEPmJS6_EEE10hipError_tPvRmT3_T4_T5_T6_T7_T9_mT8_P12ihipStream_tbDpT10_ENKUlT_T0_E_clISt17integral_constantIbLb1EES1C_EEDaS17_S18_EUlS17_E_NS1_11comp_targetILNS1_3genE5ELNS1_11target_archE942ELNS1_3gpuE9ELNS1_3repE0EEENS1_30default_config_static_selectorELNS0_4arch9wavefront6targetE0EEEvT1_
		.amdhsa_group_segment_fixed_size 0
		.amdhsa_private_segment_fixed_size 0
		.amdhsa_kernarg_size 136
		.amdhsa_user_sgpr_count 2
		.amdhsa_user_sgpr_dispatch_ptr 0
		.amdhsa_user_sgpr_queue_ptr 0
		.amdhsa_user_sgpr_kernarg_segment_ptr 1
		.amdhsa_user_sgpr_dispatch_id 0
		.amdhsa_user_sgpr_kernarg_preload_length 0
		.amdhsa_user_sgpr_kernarg_preload_offset 0
		.amdhsa_user_sgpr_private_segment_size 0
		.amdhsa_wavefront_size32 1
		.amdhsa_uses_dynamic_stack 0
		.amdhsa_enable_private_segment 0
		.amdhsa_system_sgpr_workgroup_id_x 1
		.amdhsa_system_sgpr_workgroup_id_y 0
		.amdhsa_system_sgpr_workgroup_id_z 0
		.amdhsa_system_sgpr_workgroup_info 0
		.amdhsa_system_vgpr_workitem_id 0
		.amdhsa_next_free_vgpr 1
		.amdhsa_next_free_sgpr 1
		.amdhsa_named_barrier_count 0
		.amdhsa_reserve_vcc 0
		.amdhsa_float_round_mode_32 0
		.amdhsa_float_round_mode_16_64 0
		.amdhsa_float_denorm_mode_32 3
		.amdhsa_float_denorm_mode_16_64 3
		.amdhsa_fp16_overflow 0
		.amdhsa_memory_ordered 1
		.amdhsa_forward_progress 1
		.amdhsa_inst_pref_size 0
		.amdhsa_round_robin_scheduling 0
		.amdhsa_exception_fp_ieee_invalid_op 0
		.amdhsa_exception_fp_denorm_src 0
		.amdhsa_exception_fp_ieee_div_zero 0
		.amdhsa_exception_fp_ieee_overflow 0
		.amdhsa_exception_fp_ieee_underflow 0
		.amdhsa_exception_fp_ieee_inexact 0
		.amdhsa_exception_int_div_zero 0
	.end_amdhsa_kernel
	.section	.text._ZN7rocprim17ROCPRIM_400000_NS6detail17trampoline_kernelINS0_14default_configENS1_25partition_config_selectorILNS1_17partition_subalgoE8ElNS0_10empty_typeEbEEZZNS1_14partition_implILS5_8ELb0ES3_jPlPS6_PKS6_NS0_5tupleIJS9_S6_EEENSD_IJSA_SA_EEENS0_18inequality_wrapperIZN2at6native12_GLOBAL__N_124unique_dim_cuda_templateIhEESt5tupleIJNSH_6TensorESM_SM_EERKSM_lbbbEUlllE0_EEPmJS6_EEE10hipError_tPvRmT3_T4_T5_T6_T7_T9_mT8_P12ihipStream_tbDpT10_ENKUlT_T0_E_clISt17integral_constantIbLb1EES1C_EEDaS17_S18_EUlS17_E_NS1_11comp_targetILNS1_3genE5ELNS1_11target_archE942ELNS1_3gpuE9ELNS1_3repE0EEENS1_30default_config_static_selectorELNS0_4arch9wavefront6targetE0EEEvT1_,"axG",@progbits,_ZN7rocprim17ROCPRIM_400000_NS6detail17trampoline_kernelINS0_14default_configENS1_25partition_config_selectorILNS1_17partition_subalgoE8ElNS0_10empty_typeEbEEZZNS1_14partition_implILS5_8ELb0ES3_jPlPS6_PKS6_NS0_5tupleIJS9_S6_EEENSD_IJSA_SA_EEENS0_18inequality_wrapperIZN2at6native12_GLOBAL__N_124unique_dim_cuda_templateIhEESt5tupleIJNSH_6TensorESM_SM_EERKSM_lbbbEUlllE0_EEPmJS6_EEE10hipError_tPvRmT3_T4_T5_T6_T7_T9_mT8_P12ihipStream_tbDpT10_ENKUlT_T0_E_clISt17integral_constantIbLb1EES1C_EEDaS17_S18_EUlS17_E_NS1_11comp_targetILNS1_3genE5ELNS1_11target_archE942ELNS1_3gpuE9ELNS1_3repE0EEENS1_30default_config_static_selectorELNS0_4arch9wavefront6targetE0EEEvT1_,comdat
.Lfunc_end179:
	.size	_ZN7rocprim17ROCPRIM_400000_NS6detail17trampoline_kernelINS0_14default_configENS1_25partition_config_selectorILNS1_17partition_subalgoE8ElNS0_10empty_typeEbEEZZNS1_14partition_implILS5_8ELb0ES3_jPlPS6_PKS6_NS0_5tupleIJS9_S6_EEENSD_IJSA_SA_EEENS0_18inequality_wrapperIZN2at6native12_GLOBAL__N_124unique_dim_cuda_templateIhEESt5tupleIJNSH_6TensorESM_SM_EERKSM_lbbbEUlllE0_EEPmJS6_EEE10hipError_tPvRmT3_T4_T5_T6_T7_T9_mT8_P12ihipStream_tbDpT10_ENKUlT_T0_E_clISt17integral_constantIbLb1EES1C_EEDaS17_S18_EUlS17_E_NS1_11comp_targetILNS1_3genE5ELNS1_11target_archE942ELNS1_3gpuE9ELNS1_3repE0EEENS1_30default_config_static_selectorELNS0_4arch9wavefront6targetE0EEEvT1_, .Lfunc_end179-_ZN7rocprim17ROCPRIM_400000_NS6detail17trampoline_kernelINS0_14default_configENS1_25partition_config_selectorILNS1_17partition_subalgoE8ElNS0_10empty_typeEbEEZZNS1_14partition_implILS5_8ELb0ES3_jPlPS6_PKS6_NS0_5tupleIJS9_S6_EEENSD_IJSA_SA_EEENS0_18inequality_wrapperIZN2at6native12_GLOBAL__N_124unique_dim_cuda_templateIhEESt5tupleIJNSH_6TensorESM_SM_EERKSM_lbbbEUlllE0_EEPmJS6_EEE10hipError_tPvRmT3_T4_T5_T6_T7_T9_mT8_P12ihipStream_tbDpT10_ENKUlT_T0_E_clISt17integral_constantIbLb1EES1C_EEDaS17_S18_EUlS17_E_NS1_11comp_targetILNS1_3genE5ELNS1_11target_archE942ELNS1_3gpuE9ELNS1_3repE0EEENS1_30default_config_static_selectorELNS0_4arch9wavefront6targetE0EEEvT1_
                                        ; -- End function
	.set _ZN7rocprim17ROCPRIM_400000_NS6detail17trampoline_kernelINS0_14default_configENS1_25partition_config_selectorILNS1_17partition_subalgoE8ElNS0_10empty_typeEbEEZZNS1_14partition_implILS5_8ELb0ES3_jPlPS6_PKS6_NS0_5tupleIJS9_S6_EEENSD_IJSA_SA_EEENS0_18inequality_wrapperIZN2at6native12_GLOBAL__N_124unique_dim_cuda_templateIhEESt5tupleIJNSH_6TensorESM_SM_EERKSM_lbbbEUlllE0_EEPmJS6_EEE10hipError_tPvRmT3_T4_T5_T6_T7_T9_mT8_P12ihipStream_tbDpT10_ENKUlT_T0_E_clISt17integral_constantIbLb1EES1C_EEDaS17_S18_EUlS17_E_NS1_11comp_targetILNS1_3genE5ELNS1_11target_archE942ELNS1_3gpuE9ELNS1_3repE0EEENS1_30default_config_static_selectorELNS0_4arch9wavefront6targetE0EEEvT1_.num_vgpr, 0
	.set _ZN7rocprim17ROCPRIM_400000_NS6detail17trampoline_kernelINS0_14default_configENS1_25partition_config_selectorILNS1_17partition_subalgoE8ElNS0_10empty_typeEbEEZZNS1_14partition_implILS5_8ELb0ES3_jPlPS6_PKS6_NS0_5tupleIJS9_S6_EEENSD_IJSA_SA_EEENS0_18inequality_wrapperIZN2at6native12_GLOBAL__N_124unique_dim_cuda_templateIhEESt5tupleIJNSH_6TensorESM_SM_EERKSM_lbbbEUlllE0_EEPmJS6_EEE10hipError_tPvRmT3_T4_T5_T6_T7_T9_mT8_P12ihipStream_tbDpT10_ENKUlT_T0_E_clISt17integral_constantIbLb1EES1C_EEDaS17_S18_EUlS17_E_NS1_11comp_targetILNS1_3genE5ELNS1_11target_archE942ELNS1_3gpuE9ELNS1_3repE0EEENS1_30default_config_static_selectorELNS0_4arch9wavefront6targetE0EEEvT1_.num_agpr, 0
	.set _ZN7rocprim17ROCPRIM_400000_NS6detail17trampoline_kernelINS0_14default_configENS1_25partition_config_selectorILNS1_17partition_subalgoE8ElNS0_10empty_typeEbEEZZNS1_14partition_implILS5_8ELb0ES3_jPlPS6_PKS6_NS0_5tupleIJS9_S6_EEENSD_IJSA_SA_EEENS0_18inequality_wrapperIZN2at6native12_GLOBAL__N_124unique_dim_cuda_templateIhEESt5tupleIJNSH_6TensorESM_SM_EERKSM_lbbbEUlllE0_EEPmJS6_EEE10hipError_tPvRmT3_T4_T5_T6_T7_T9_mT8_P12ihipStream_tbDpT10_ENKUlT_T0_E_clISt17integral_constantIbLb1EES1C_EEDaS17_S18_EUlS17_E_NS1_11comp_targetILNS1_3genE5ELNS1_11target_archE942ELNS1_3gpuE9ELNS1_3repE0EEENS1_30default_config_static_selectorELNS0_4arch9wavefront6targetE0EEEvT1_.numbered_sgpr, 0
	.set _ZN7rocprim17ROCPRIM_400000_NS6detail17trampoline_kernelINS0_14default_configENS1_25partition_config_selectorILNS1_17partition_subalgoE8ElNS0_10empty_typeEbEEZZNS1_14partition_implILS5_8ELb0ES3_jPlPS6_PKS6_NS0_5tupleIJS9_S6_EEENSD_IJSA_SA_EEENS0_18inequality_wrapperIZN2at6native12_GLOBAL__N_124unique_dim_cuda_templateIhEESt5tupleIJNSH_6TensorESM_SM_EERKSM_lbbbEUlllE0_EEPmJS6_EEE10hipError_tPvRmT3_T4_T5_T6_T7_T9_mT8_P12ihipStream_tbDpT10_ENKUlT_T0_E_clISt17integral_constantIbLb1EES1C_EEDaS17_S18_EUlS17_E_NS1_11comp_targetILNS1_3genE5ELNS1_11target_archE942ELNS1_3gpuE9ELNS1_3repE0EEENS1_30default_config_static_selectorELNS0_4arch9wavefront6targetE0EEEvT1_.num_named_barrier, 0
	.set _ZN7rocprim17ROCPRIM_400000_NS6detail17trampoline_kernelINS0_14default_configENS1_25partition_config_selectorILNS1_17partition_subalgoE8ElNS0_10empty_typeEbEEZZNS1_14partition_implILS5_8ELb0ES3_jPlPS6_PKS6_NS0_5tupleIJS9_S6_EEENSD_IJSA_SA_EEENS0_18inequality_wrapperIZN2at6native12_GLOBAL__N_124unique_dim_cuda_templateIhEESt5tupleIJNSH_6TensorESM_SM_EERKSM_lbbbEUlllE0_EEPmJS6_EEE10hipError_tPvRmT3_T4_T5_T6_T7_T9_mT8_P12ihipStream_tbDpT10_ENKUlT_T0_E_clISt17integral_constantIbLb1EES1C_EEDaS17_S18_EUlS17_E_NS1_11comp_targetILNS1_3genE5ELNS1_11target_archE942ELNS1_3gpuE9ELNS1_3repE0EEENS1_30default_config_static_selectorELNS0_4arch9wavefront6targetE0EEEvT1_.private_seg_size, 0
	.set _ZN7rocprim17ROCPRIM_400000_NS6detail17trampoline_kernelINS0_14default_configENS1_25partition_config_selectorILNS1_17partition_subalgoE8ElNS0_10empty_typeEbEEZZNS1_14partition_implILS5_8ELb0ES3_jPlPS6_PKS6_NS0_5tupleIJS9_S6_EEENSD_IJSA_SA_EEENS0_18inequality_wrapperIZN2at6native12_GLOBAL__N_124unique_dim_cuda_templateIhEESt5tupleIJNSH_6TensorESM_SM_EERKSM_lbbbEUlllE0_EEPmJS6_EEE10hipError_tPvRmT3_T4_T5_T6_T7_T9_mT8_P12ihipStream_tbDpT10_ENKUlT_T0_E_clISt17integral_constantIbLb1EES1C_EEDaS17_S18_EUlS17_E_NS1_11comp_targetILNS1_3genE5ELNS1_11target_archE942ELNS1_3gpuE9ELNS1_3repE0EEENS1_30default_config_static_selectorELNS0_4arch9wavefront6targetE0EEEvT1_.uses_vcc, 0
	.set _ZN7rocprim17ROCPRIM_400000_NS6detail17trampoline_kernelINS0_14default_configENS1_25partition_config_selectorILNS1_17partition_subalgoE8ElNS0_10empty_typeEbEEZZNS1_14partition_implILS5_8ELb0ES3_jPlPS6_PKS6_NS0_5tupleIJS9_S6_EEENSD_IJSA_SA_EEENS0_18inequality_wrapperIZN2at6native12_GLOBAL__N_124unique_dim_cuda_templateIhEESt5tupleIJNSH_6TensorESM_SM_EERKSM_lbbbEUlllE0_EEPmJS6_EEE10hipError_tPvRmT3_T4_T5_T6_T7_T9_mT8_P12ihipStream_tbDpT10_ENKUlT_T0_E_clISt17integral_constantIbLb1EES1C_EEDaS17_S18_EUlS17_E_NS1_11comp_targetILNS1_3genE5ELNS1_11target_archE942ELNS1_3gpuE9ELNS1_3repE0EEENS1_30default_config_static_selectorELNS0_4arch9wavefront6targetE0EEEvT1_.uses_flat_scratch, 0
	.set _ZN7rocprim17ROCPRIM_400000_NS6detail17trampoline_kernelINS0_14default_configENS1_25partition_config_selectorILNS1_17partition_subalgoE8ElNS0_10empty_typeEbEEZZNS1_14partition_implILS5_8ELb0ES3_jPlPS6_PKS6_NS0_5tupleIJS9_S6_EEENSD_IJSA_SA_EEENS0_18inequality_wrapperIZN2at6native12_GLOBAL__N_124unique_dim_cuda_templateIhEESt5tupleIJNSH_6TensorESM_SM_EERKSM_lbbbEUlllE0_EEPmJS6_EEE10hipError_tPvRmT3_T4_T5_T6_T7_T9_mT8_P12ihipStream_tbDpT10_ENKUlT_T0_E_clISt17integral_constantIbLb1EES1C_EEDaS17_S18_EUlS17_E_NS1_11comp_targetILNS1_3genE5ELNS1_11target_archE942ELNS1_3gpuE9ELNS1_3repE0EEENS1_30default_config_static_selectorELNS0_4arch9wavefront6targetE0EEEvT1_.has_dyn_sized_stack, 0
	.set _ZN7rocprim17ROCPRIM_400000_NS6detail17trampoline_kernelINS0_14default_configENS1_25partition_config_selectorILNS1_17partition_subalgoE8ElNS0_10empty_typeEbEEZZNS1_14partition_implILS5_8ELb0ES3_jPlPS6_PKS6_NS0_5tupleIJS9_S6_EEENSD_IJSA_SA_EEENS0_18inequality_wrapperIZN2at6native12_GLOBAL__N_124unique_dim_cuda_templateIhEESt5tupleIJNSH_6TensorESM_SM_EERKSM_lbbbEUlllE0_EEPmJS6_EEE10hipError_tPvRmT3_T4_T5_T6_T7_T9_mT8_P12ihipStream_tbDpT10_ENKUlT_T0_E_clISt17integral_constantIbLb1EES1C_EEDaS17_S18_EUlS17_E_NS1_11comp_targetILNS1_3genE5ELNS1_11target_archE942ELNS1_3gpuE9ELNS1_3repE0EEENS1_30default_config_static_selectorELNS0_4arch9wavefront6targetE0EEEvT1_.has_recursion, 0
	.set _ZN7rocprim17ROCPRIM_400000_NS6detail17trampoline_kernelINS0_14default_configENS1_25partition_config_selectorILNS1_17partition_subalgoE8ElNS0_10empty_typeEbEEZZNS1_14partition_implILS5_8ELb0ES3_jPlPS6_PKS6_NS0_5tupleIJS9_S6_EEENSD_IJSA_SA_EEENS0_18inequality_wrapperIZN2at6native12_GLOBAL__N_124unique_dim_cuda_templateIhEESt5tupleIJNSH_6TensorESM_SM_EERKSM_lbbbEUlllE0_EEPmJS6_EEE10hipError_tPvRmT3_T4_T5_T6_T7_T9_mT8_P12ihipStream_tbDpT10_ENKUlT_T0_E_clISt17integral_constantIbLb1EES1C_EEDaS17_S18_EUlS17_E_NS1_11comp_targetILNS1_3genE5ELNS1_11target_archE942ELNS1_3gpuE9ELNS1_3repE0EEENS1_30default_config_static_selectorELNS0_4arch9wavefront6targetE0EEEvT1_.has_indirect_call, 0
	.section	.AMDGPU.csdata,"",@progbits
; Kernel info:
; codeLenInByte = 0
; TotalNumSgprs: 0
; NumVgprs: 0
; ScratchSize: 0
; MemoryBound: 0
; FloatMode: 240
; IeeeMode: 1
; LDSByteSize: 0 bytes/workgroup (compile time only)
; SGPRBlocks: 0
; VGPRBlocks: 0
; NumSGPRsForWavesPerEU: 1
; NumVGPRsForWavesPerEU: 1
; NamedBarCnt: 0
; Occupancy: 16
; WaveLimiterHint : 0
; COMPUTE_PGM_RSRC2:SCRATCH_EN: 0
; COMPUTE_PGM_RSRC2:USER_SGPR: 2
; COMPUTE_PGM_RSRC2:TRAP_HANDLER: 0
; COMPUTE_PGM_RSRC2:TGID_X_EN: 1
; COMPUTE_PGM_RSRC2:TGID_Y_EN: 0
; COMPUTE_PGM_RSRC2:TGID_Z_EN: 0
; COMPUTE_PGM_RSRC2:TIDIG_COMP_CNT: 0
	.section	.text._ZN7rocprim17ROCPRIM_400000_NS6detail17trampoline_kernelINS0_14default_configENS1_25partition_config_selectorILNS1_17partition_subalgoE8ElNS0_10empty_typeEbEEZZNS1_14partition_implILS5_8ELb0ES3_jPlPS6_PKS6_NS0_5tupleIJS9_S6_EEENSD_IJSA_SA_EEENS0_18inequality_wrapperIZN2at6native12_GLOBAL__N_124unique_dim_cuda_templateIhEESt5tupleIJNSH_6TensorESM_SM_EERKSM_lbbbEUlllE0_EEPmJS6_EEE10hipError_tPvRmT3_T4_T5_T6_T7_T9_mT8_P12ihipStream_tbDpT10_ENKUlT_T0_E_clISt17integral_constantIbLb1EES1C_EEDaS17_S18_EUlS17_E_NS1_11comp_targetILNS1_3genE4ELNS1_11target_archE910ELNS1_3gpuE8ELNS1_3repE0EEENS1_30default_config_static_selectorELNS0_4arch9wavefront6targetE0EEEvT1_,"axG",@progbits,_ZN7rocprim17ROCPRIM_400000_NS6detail17trampoline_kernelINS0_14default_configENS1_25partition_config_selectorILNS1_17partition_subalgoE8ElNS0_10empty_typeEbEEZZNS1_14partition_implILS5_8ELb0ES3_jPlPS6_PKS6_NS0_5tupleIJS9_S6_EEENSD_IJSA_SA_EEENS0_18inequality_wrapperIZN2at6native12_GLOBAL__N_124unique_dim_cuda_templateIhEESt5tupleIJNSH_6TensorESM_SM_EERKSM_lbbbEUlllE0_EEPmJS6_EEE10hipError_tPvRmT3_T4_T5_T6_T7_T9_mT8_P12ihipStream_tbDpT10_ENKUlT_T0_E_clISt17integral_constantIbLb1EES1C_EEDaS17_S18_EUlS17_E_NS1_11comp_targetILNS1_3genE4ELNS1_11target_archE910ELNS1_3gpuE8ELNS1_3repE0EEENS1_30default_config_static_selectorELNS0_4arch9wavefront6targetE0EEEvT1_,comdat
	.globl	_ZN7rocprim17ROCPRIM_400000_NS6detail17trampoline_kernelINS0_14default_configENS1_25partition_config_selectorILNS1_17partition_subalgoE8ElNS0_10empty_typeEbEEZZNS1_14partition_implILS5_8ELb0ES3_jPlPS6_PKS6_NS0_5tupleIJS9_S6_EEENSD_IJSA_SA_EEENS0_18inequality_wrapperIZN2at6native12_GLOBAL__N_124unique_dim_cuda_templateIhEESt5tupleIJNSH_6TensorESM_SM_EERKSM_lbbbEUlllE0_EEPmJS6_EEE10hipError_tPvRmT3_T4_T5_T6_T7_T9_mT8_P12ihipStream_tbDpT10_ENKUlT_T0_E_clISt17integral_constantIbLb1EES1C_EEDaS17_S18_EUlS17_E_NS1_11comp_targetILNS1_3genE4ELNS1_11target_archE910ELNS1_3gpuE8ELNS1_3repE0EEENS1_30default_config_static_selectorELNS0_4arch9wavefront6targetE0EEEvT1_ ; -- Begin function _ZN7rocprim17ROCPRIM_400000_NS6detail17trampoline_kernelINS0_14default_configENS1_25partition_config_selectorILNS1_17partition_subalgoE8ElNS0_10empty_typeEbEEZZNS1_14partition_implILS5_8ELb0ES3_jPlPS6_PKS6_NS0_5tupleIJS9_S6_EEENSD_IJSA_SA_EEENS0_18inequality_wrapperIZN2at6native12_GLOBAL__N_124unique_dim_cuda_templateIhEESt5tupleIJNSH_6TensorESM_SM_EERKSM_lbbbEUlllE0_EEPmJS6_EEE10hipError_tPvRmT3_T4_T5_T6_T7_T9_mT8_P12ihipStream_tbDpT10_ENKUlT_T0_E_clISt17integral_constantIbLb1EES1C_EEDaS17_S18_EUlS17_E_NS1_11comp_targetILNS1_3genE4ELNS1_11target_archE910ELNS1_3gpuE8ELNS1_3repE0EEENS1_30default_config_static_selectorELNS0_4arch9wavefront6targetE0EEEvT1_
	.p2align	8
	.type	_ZN7rocprim17ROCPRIM_400000_NS6detail17trampoline_kernelINS0_14default_configENS1_25partition_config_selectorILNS1_17partition_subalgoE8ElNS0_10empty_typeEbEEZZNS1_14partition_implILS5_8ELb0ES3_jPlPS6_PKS6_NS0_5tupleIJS9_S6_EEENSD_IJSA_SA_EEENS0_18inequality_wrapperIZN2at6native12_GLOBAL__N_124unique_dim_cuda_templateIhEESt5tupleIJNSH_6TensorESM_SM_EERKSM_lbbbEUlllE0_EEPmJS6_EEE10hipError_tPvRmT3_T4_T5_T6_T7_T9_mT8_P12ihipStream_tbDpT10_ENKUlT_T0_E_clISt17integral_constantIbLb1EES1C_EEDaS17_S18_EUlS17_E_NS1_11comp_targetILNS1_3genE4ELNS1_11target_archE910ELNS1_3gpuE8ELNS1_3repE0EEENS1_30default_config_static_selectorELNS0_4arch9wavefront6targetE0EEEvT1_,@function
_ZN7rocprim17ROCPRIM_400000_NS6detail17trampoline_kernelINS0_14default_configENS1_25partition_config_selectorILNS1_17partition_subalgoE8ElNS0_10empty_typeEbEEZZNS1_14partition_implILS5_8ELb0ES3_jPlPS6_PKS6_NS0_5tupleIJS9_S6_EEENSD_IJSA_SA_EEENS0_18inequality_wrapperIZN2at6native12_GLOBAL__N_124unique_dim_cuda_templateIhEESt5tupleIJNSH_6TensorESM_SM_EERKSM_lbbbEUlllE0_EEPmJS6_EEE10hipError_tPvRmT3_T4_T5_T6_T7_T9_mT8_P12ihipStream_tbDpT10_ENKUlT_T0_E_clISt17integral_constantIbLb1EES1C_EEDaS17_S18_EUlS17_E_NS1_11comp_targetILNS1_3genE4ELNS1_11target_archE910ELNS1_3gpuE8ELNS1_3repE0EEENS1_30default_config_static_selectorELNS0_4arch9wavefront6targetE0EEEvT1_: ; @_ZN7rocprim17ROCPRIM_400000_NS6detail17trampoline_kernelINS0_14default_configENS1_25partition_config_selectorILNS1_17partition_subalgoE8ElNS0_10empty_typeEbEEZZNS1_14partition_implILS5_8ELb0ES3_jPlPS6_PKS6_NS0_5tupleIJS9_S6_EEENSD_IJSA_SA_EEENS0_18inequality_wrapperIZN2at6native12_GLOBAL__N_124unique_dim_cuda_templateIhEESt5tupleIJNSH_6TensorESM_SM_EERKSM_lbbbEUlllE0_EEPmJS6_EEE10hipError_tPvRmT3_T4_T5_T6_T7_T9_mT8_P12ihipStream_tbDpT10_ENKUlT_T0_E_clISt17integral_constantIbLb1EES1C_EEDaS17_S18_EUlS17_E_NS1_11comp_targetILNS1_3genE4ELNS1_11target_archE910ELNS1_3gpuE8ELNS1_3repE0EEENS1_30default_config_static_selectorELNS0_4arch9wavefront6targetE0EEEvT1_
; %bb.0:
	.section	.rodata,"a",@progbits
	.p2align	6, 0x0
	.amdhsa_kernel _ZN7rocprim17ROCPRIM_400000_NS6detail17trampoline_kernelINS0_14default_configENS1_25partition_config_selectorILNS1_17partition_subalgoE8ElNS0_10empty_typeEbEEZZNS1_14partition_implILS5_8ELb0ES3_jPlPS6_PKS6_NS0_5tupleIJS9_S6_EEENSD_IJSA_SA_EEENS0_18inequality_wrapperIZN2at6native12_GLOBAL__N_124unique_dim_cuda_templateIhEESt5tupleIJNSH_6TensorESM_SM_EERKSM_lbbbEUlllE0_EEPmJS6_EEE10hipError_tPvRmT3_T4_T5_T6_T7_T9_mT8_P12ihipStream_tbDpT10_ENKUlT_T0_E_clISt17integral_constantIbLb1EES1C_EEDaS17_S18_EUlS17_E_NS1_11comp_targetILNS1_3genE4ELNS1_11target_archE910ELNS1_3gpuE8ELNS1_3repE0EEENS1_30default_config_static_selectorELNS0_4arch9wavefront6targetE0EEEvT1_
		.amdhsa_group_segment_fixed_size 0
		.amdhsa_private_segment_fixed_size 0
		.amdhsa_kernarg_size 136
		.amdhsa_user_sgpr_count 2
		.amdhsa_user_sgpr_dispatch_ptr 0
		.amdhsa_user_sgpr_queue_ptr 0
		.amdhsa_user_sgpr_kernarg_segment_ptr 1
		.amdhsa_user_sgpr_dispatch_id 0
		.amdhsa_user_sgpr_kernarg_preload_length 0
		.amdhsa_user_sgpr_kernarg_preload_offset 0
		.amdhsa_user_sgpr_private_segment_size 0
		.amdhsa_wavefront_size32 1
		.amdhsa_uses_dynamic_stack 0
		.amdhsa_enable_private_segment 0
		.amdhsa_system_sgpr_workgroup_id_x 1
		.amdhsa_system_sgpr_workgroup_id_y 0
		.amdhsa_system_sgpr_workgroup_id_z 0
		.amdhsa_system_sgpr_workgroup_info 0
		.amdhsa_system_vgpr_workitem_id 0
		.amdhsa_next_free_vgpr 1
		.amdhsa_next_free_sgpr 1
		.amdhsa_named_barrier_count 0
		.amdhsa_reserve_vcc 0
		.amdhsa_float_round_mode_32 0
		.amdhsa_float_round_mode_16_64 0
		.amdhsa_float_denorm_mode_32 3
		.amdhsa_float_denorm_mode_16_64 3
		.amdhsa_fp16_overflow 0
		.amdhsa_memory_ordered 1
		.amdhsa_forward_progress 1
		.amdhsa_inst_pref_size 0
		.amdhsa_round_robin_scheduling 0
		.amdhsa_exception_fp_ieee_invalid_op 0
		.amdhsa_exception_fp_denorm_src 0
		.amdhsa_exception_fp_ieee_div_zero 0
		.amdhsa_exception_fp_ieee_overflow 0
		.amdhsa_exception_fp_ieee_underflow 0
		.amdhsa_exception_fp_ieee_inexact 0
		.amdhsa_exception_int_div_zero 0
	.end_amdhsa_kernel
	.section	.text._ZN7rocprim17ROCPRIM_400000_NS6detail17trampoline_kernelINS0_14default_configENS1_25partition_config_selectorILNS1_17partition_subalgoE8ElNS0_10empty_typeEbEEZZNS1_14partition_implILS5_8ELb0ES3_jPlPS6_PKS6_NS0_5tupleIJS9_S6_EEENSD_IJSA_SA_EEENS0_18inequality_wrapperIZN2at6native12_GLOBAL__N_124unique_dim_cuda_templateIhEESt5tupleIJNSH_6TensorESM_SM_EERKSM_lbbbEUlllE0_EEPmJS6_EEE10hipError_tPvRmT3_T4_T5_T6_T7_T9_mT8_P12ihipStream_tbDpT10_ENKUlT_T0_E_clISt17integral_constantIbLb1EES1C_EEDaS17_S18_EUlS17_E_NS1_11comp_targetILNS1_3genE4ELNS1_11target_archE910ELNS1_3gpuE8ELNS1_3repE0EEENS1_30default_config_static_selectorELNS0_4arch9wavefront6targetE0EEEvT1_,"axG",@progbits,_ZN7rocprim17ROCPRIM_400000_NS6detail17trampoline_kernelINS0_14default_configENS1_25partition_config_selectorILNS1_17partition_subalgoE8ElNS0_10empty_typeEbEEZZNS1_14partition_implILS5_8ELb0ES3_jPlPS6_PKS6_NS0_5tupleIJS9_S6_EEENSD_IJSA_SA_EEENS0_18inequality_wrapperIZN2at6native12_GLOBAL__N_124unique_dim_cuda_templateIhEESt5tupleIJNSH_6TensorESM_SM_EERKSM_lbbbEUlllE0_EEPmJS6_EEE10hipError_tPvRmT3_T4_T5_T6_T7_T9_mT8_P12ihipStream_tbDpT10_ENKUlT_T0_E_clISt17integral_constantIbLb1EES1C_EEDaS17_S18_EUlS17_E_NS1_11comp_targetILNS1_3genE4ELNS1_11target_archE910ELNS1_3gpuE8ELNS1_3repE0EEENS1_30default_config_static_selectorELNS0_4arch9wavefront6targetE0EEEvT1_,comdat
.Lfunc_end180:
	.size	_ZN7rocprim17ROCPRIM_400000_NS6detail17trampoline_kernelINS0_14default_configENS1_25partition_config_selectorILNS1_17partition_subalgoE8ElNS0_10empty_typeEbEEZZNS1_14partition_implILS5_8ELb0ES3_jPlPS6_PKS6_NS0_5tupleIJS9_S6_EEENSD_IJSA_SA_EEENS0_18inequality_wrapperIZN2at6native12_GLOBAL__N_124unique_dim_cuda_templateIhEESt5tupleIJNSH_6TensorESM_SM_EERKSM_lbbbEUlllE0_EEPmJS6_EEE10hipError_tPvRmT3_T4_T5_T6_T7_T9_mT8_P12ihipStream_tbDpT10_ENKUlT_T0_E_clISt17integral_constantIbLb1EES1C_EEDaS17_S18_EUlS17_E_NS1_11comp_targetILNS1_3genE4ELNS1_11target_archE910ELNS1_3gpuE8ELNS1_3repE0EEENS1_30default_config_static_selectorELNS0_4arch9wavefront6targetE0EEEvT1_, .Lfunc_end180-_ZN7rocprim17ROCPRIM_400000_NS6detail17trampoline_kernelINS0_14default_configENS1_25partition_config_selectorILNS1_17partition_subalgoE8ElNS0_10empty_typeEbEEZZNS1_14partition_implILS5_8ELb0ES3_jPlPS6_PKS6_NS0_5tupleIJS9_S6_EEENSD_IJSA_SA_EEENS0_18inequality_wrapperIZN2at6native12_GLOBAL__N_124unique_dim_cuda_templateIhEESt5tupleIJNSH_6TensorESM_SM_EERKSM_lbbbEUlllE0_EEPmJS6_EEE10hipError_tPvRmT3_T4_T5_T6_T7_T9_mT8_P12ihipStream_tbDpT10_ENKUlT_T0_E_clISt17integral_constantIbLb1EES1C_EEDaS17_S18_EUlS17_E_NS1_11comp_targetILNS1_3genE4ELNS1_11target_archE910ELNS1_3gpuE8ELNS1_3repE0EEENS1_30default_config_static_selectorELNS0_4arch9wavefront6targetE0EEEvT1_
                                        ; -- End function
	.set _ZN7rocprim17ROCPRIM_400000_NS6detail17trampoline_kernelINS0_14default_configENS1_25partition_config_selectorILNS1_17partition_subalgoE8ElNS0_10empty_typeEbEEZZNS1_14partition_implILS5_8ELb0ES3_jPlPS6_PKS6_NS0_5tupleIJS9_S6_EEENSD_IJSA_SA_EEENS0_18inequality_wrapperIZN2at6native12_GLOBAL__N_124unique_dim_cuda_templateIhEESt5tupleIJNSH_6TensorESM_SM_EERKSM_lbbbEUlllE0_EEPmJS6_EEE10hipError_tPvRmT3_T4_T5_T6_T7_T9_mT8_P12ihipStream_tbDpT10_ENKUlT_T0_E_clISt17integral_constantIbLb1EES1C_EEDaS17_S18_EUlS17_E_NS1_11comp_targetILNS1_3genE4ELNS1_11target_archE910ELNS1_3gpuE8ELNS1_3repE0EEENS1_30default_config_static_selectorELNS0_4arch9wavefront6targetE0EEEvT1_.num_vgpr, 0
	.set _ZN7rocprim17ROCPRIM_400000_NS6detail17trampoline_kernelINS0_14default_configENS1_25partition_config_selectorILNS1_17partition_subalgoE8ElNS0_10empty_typeEbEEZZNS1_14partition_implILS5_8ELb0ES3_jPlPS6_PKS6_NS0_5tupleIJS9_S6_EEENSD_IJSA_SA_EEENS0_18inequality_wrapperIZN2at6native12_GLOBAL__N_124unique_dim_cuda_templateIhEESt5tupleIJNSH_6TensorESM_SM_EERKSM_lbbbEUlllE0_EEPmJS6_EEE10hipError_tPvRmT3_T4_T5_T6_T7_T9_mT8_P12ihipStream_tbDpT10_ENKUlT_T0_E_clISt17integral_constantIbLb1EES1C_EEDaS17_S18_EUlS17_E_NS1_11comp_targetILNS1_3genE4ELNS1_11target_archE910ELNS1_3gpuE8ELNS1_3repE0EEENS1_30default_config_static_selectorELNS0_4arch9wavefront6targetE0EEEvT1_.num_agpr, 0
	.set _ZN7rocprim17ROCPRIM_400000_NS6detail17trampoline_kernelINS0_14default_configENS1_25partition_config_selectorILNS1_17partition_subalgoE8ElNS0_10empty_typeEbEEZZNS1_14partition_implILS5_8ELb0ES3_jPlPS6_PKS6_NS0_5tupleIJS9_S6_EEENSD_IJSA_SA_EEENS0_18inequality_wrapperIZN2at6native12_GLOBAL__N_124unique_dim_cuda_templateIhEESt5tupleIJNSH_6TensorESM_SM_EERKSM_lbbbEUlllE0_EEPmJS6_EEE10hipError_tPvRmT3_T4_T5_T6_T7_T9_mT8_P12ihipStream_tbDpT10_ENKUlT_T0_E_clISt17integral_constantIbLb1EES1C_EEDaS17_S18_EUlS17_E_NS1_11comp_targetILNS1_3genE4ELNS1_11target_archE910ELNS1_3gpuE8ELNS1_3repE0EEENS1_30default_config_static_selectorELNS0_4arch9wavefront6targetE0EEEvT1_.numbered_sgpr, 0
	.set _ZN7rocprim17ROCPRIM_400000_NS6detail17trampoline_kernelINS0_14default_configENS1_25partition_config_selectorILNS1_17partition_subalgoE8ElNS0_10empty_typeEbEEZZNS1_14partition_implILS5_8ELb0ES3_jPlPS6_PKS6_NS0_5tupleIJS9_S6_EEENSD_IJSA_SA_EEENS0_18inequality_wrapperIZN2at6native12_GLOBAL__N_124unique_dim_cuda_templateIhEESt5tupleIJNSH_6TensorESM_SM_EERKSM_lbbbEUlllE0_EEPmJS6_EEE10hipError_tPvRmT3_T4_T5_T6_T7_T9_mT8_P12ihipStream_tbDpT10_ENKUlT_T0_E_clISt17integral_constantIbLb1EES1C_EEDaS17_S18_EUlS17_E_NS1_11comp_targetILNS1_3genE4ELNS1_11target_archE910ELNS1_3gpuE8ELNS1_3repE0EEENS1_30default_config_static_selectorELNS0_4arch9wavefront6targetE0EEEvT1_.num_named_barrier, 0
	.set _ZN7rocprim17ROCPRIM_400000_NS6detail17trampoline_kernelINS0_14default_configENS1_25partition_config_selectorILNS1_17partition_subalgoE8ElNS0_10empty_typeEbEEZZNS1_14partition_implILS5_8ELb0ES3_jPlPS6_PKS6_NS0_5tupleIJS9_S6_EEENSD_IJSA_SA_EEENS0_18inequality_wrapperIZN2at6native12_GLOBAL__N_124unique_dim_cuda_templateIhEESt5tupleIJNSH_6TensorESM_SM_EERKSM_lbbbEUlllE0_EEPmJS6_EEE10hipError_tPvRmT3_T4_T5_T6_T7_T9_mT8_P12ihipStream_tbDpT10_ENKUlT_T0_E_clISt17integral_constantIbLb1EES1C_EEDaS17_S18_EUlS17_E_NS1_11comp_targetILNS1_3genE4ELNS1_11target_archE910ELNS1_3gpuE8ELNS1_3repE0EEENS1_30default_config_static_selectorELNS0_4arch9wavefront6targetE0EEEvT1_.private_seg_size, 0
	.set _ZN7rocprim17ROCPRIM_400000_NS6detail17trampoline_kernelINS0_14default_configENS1_25partition_config_selectorILNS1_17partition_subalgoE8ElNS0_10empty_typeEbEEZZNS1_14partition_implILS5_8ELb0ES3_jPlPS6_PKS6_NS0_5tupleIJS9_S6_EEENSD_IJSA_SA_EEENS0_18inequality_wrapperIZN2at6native12_GLOBAL__N_124unique_dim_cuda_templateIhEESt5tupleIJNSH_6TensorESM_SM_EERKSM_lbbbEUlllE0_EEPmJS6_EEE10hipError_tPvRmT3_T4_T5_T6_T7_T9_mT8_P12ihipStream_tbDpT10_ENKUlT_T0_E_clISt17integral_constantIbLb1EES1C_EEDaS17_S18_EUlS17_E_NS1_11comp_targetILNS1_3genE4ELNS1_11target_archE910ELNS1_3gpuE8ELNS1_3repE0EEENS1_30default_config_static_selectorELNS0_4arch9wavefront6targetE0EEEvT1_.uses_vcc, 0
	.set _ZN7rocprim17ROCPRIM_400000_NS6detail17trampoline_kernelINS0_14default_configENS1_25partition_config_selectorILNS1_17partition_subalgoE8ElNS0_10empty_typeEbEEZZNS1_14partition_implILS5_8ELb0ES3_jPlPS6_PKS6_NS0_5tupleIJS9_S6_EEENSD_IJSA_SA_EEENS0_18inequality_wrapperIZN2at6native12_GLOBAL__N_124unique_dim_cuda_templateIhEESt5tupleIJNSH_6TensorESM_SM_EERKSM_lbbbEUlllE0_EEPmJS6_EEE10hipError_tPvRmT3_T4_T5_T6_T7_T9_mT8_P12ihipStream_tbDpT10_ENKUlT_T0_E_clISt17integral_constantIbLb1EES1C_EEDaS17_S18_EUlS17_E_NS1_11comp_targetILNS1_3genE4ELNS1_11target_archE910ELNS1_3gpuE8ELNS1_3repE0EEENS1_30default_config_static_selectorELNS0_4arch9wavefront6targetE0EEEvT1_.uses_flat_scratch, 0
	.set _ZN7rocprim17ROCPRIM_400000_NS6detail17trampoline_kernelINS0_14default_configENS1_25partition_config_selectorILNS1_17partition_subalgoE8ElNS0_10empty_typeEbEEZZNS1_14partition_implILS5_8ELb0ES3_jPlPS6_PKS6_NS0_5tupleIJS9_S6_EEENSD_IJSA_SA_EEENS0_18inequality_wrapperIZN2at6native12_GLOBAL__N_124unique_dim_cuda_templateIhEESt5tupleIJNSH_6TensorESM_SM_EERKSM_lbbbEUlllE0_EEPmJS6_EEE10hipError_tPvRmT3_T4_T5_T6_T7_T9_mT8_P12ihipStream_tbDpT10_ENKUlT_T0_E_clISt17integral_constantIbLb1EES1C_EEDaS17_S18_EUlS17_E_NS1_11comp_targetILNS1_3genE4ELNS1_11target_archE910ELNS1_3gpuE8ELNS1_3repE0EEENS1_30default_config_static_selectorELNS0_4arch9wavefront6targetE0EEEvT1_.has_dyn_sized_stack, 0
	.set _ZN7rocprim17ROCPRIM_400000_NS6detail17trampoline_kernelINS0_14default_configENS1_25partition_config_selectorILNS1_17partition_subalgoE8ElNS0_10empty_typeEbEEZZNS1_14partition_implILS5_8ELb0ES3_jPlPS6_PKS6_NS0_5tupleIJS9_S6_EEENSD_IJSA_SA_EEENS0_18inequality_wrapperIZN2at6native12_GLOBAL__N_124unique_dim_cuda_templateIhEESt5tupleIJNSH_6TensorESM_SM_EERKSM_lbbbEUlllE0_EEPmJS6_EEE10hipError_tPvRmT3_T4_T5_T6_T7_T9_mT8_P12ihipStream_tbDpT10_ENKUlT_T0_E_clISt17integral_constantIbLb1EES1C_EEDaS17_S18_EUlS17_E_NS1_11comp_targetILNS1_3genE4ELNS1_11target_archE910ELNS1_3gpuE8ELNS1_3repE0EEENS1_30default_config_static_selectorELNS0_4arch9wavefront6targetE0EEEvT1_.has_recursion, 0
	.set _ZN7rocprim17ROCPRIM_400000_NS6detail17trampoline_kernelINS0_14default_configENS1_25partition_config_selectorILNS1_17partition_subalgoE8ElNS0_10empty_typeEbEEZZNS1_14partition_implILS5_8ELb0ES3_jPlPS6_PKS6_NS0_5tupleIJS9_S6_EEENSD_IJSA_SA_EEENS0_18inequality_wrapperIZN2at6native12_GLOBAL__N_124unique_dim_cuda_templateIhEESt5tupleIJNSH_6TensorESM_SM_EERKSM_lbbbEUlllE0_EEPmJS6_EEE10hipError_tPvRmT3_T4_T5_T6_T7_T9_mT8_P12ihipStream_tbDpT10_ENKUlT_T0_E_clISt17integral_constantIbLb1EES1C_EEDaS17_S18_EUlS17_E_NS1_11comp_targetILNS1_3genE4ELNS1_11target_archE910ELNS1_3gpuE8ELNS1_3repE0EEENS1_30default_config_static_selectorELNS0_4arch9wavefront6targetE0EEEvT1_.has_indirect_call, 0
	.section	.AMDGPU.csdata,"",@progbits
; Kernel info:
; codeLenInByte = 0
; TotalNumSgprs: 0
; NumVgprs: 0
; ScratchSize: 0
; MemoryBound: 0
; FloatMode: 240
; IeeeMode: 1
; LDSByteSize: 0 bytes/workgroup (compile time only)
; SGPRBlocks: 0
; VGPRBlocks: 0
; NumSGPRsForWavesPerEU: 1
; NumVGPRsForWavesPerEU: 1
; NamedBarCnt: 0
; Occupancy: 16
; WaveLimiterHint : 0
; COMPUTE_PGM_RSRC2:SCRATCH_EN: 0
; COMPUTE_PGM_RSRC2:USER_SGPR: 2
; COMPUTE_PGM_RSRC2:TRAP_HANDLER: 0
; COMPUTE_PGM_RSRC2:TGID_X_EN: 1
; COMPUTE_PGM_RSRC2:TGID_Y_EN: 0
; COMPUTE_PGM_RSRC2:TGID_Z_EN: 0
; COMPUTE_PGM_RSRC2:TIDIG_COMP_CNT: 0
	.section	.text._ZN7rocprim17ROCPRIM_400000_NS6detail17trampoline_kernelINS0_14default_configENS1_25partition_config_selectorILNS1_17partition_subalgoE8ElNS0_10empty_typeEbEEZZNS1_14partition_implILS5_8ELb0ES3_jPlPS6_PKS6_NS0_5tupleIJS9_S6_EEENSD_IJSA_SA_EEENS0_18inequality_wrapperIZN2at6native12_GLOBAL__N_124unique_dim_cuda_templateIhEESt5tupleIJNSH_6TensorESM_SM_EERKSM_lbbbEUlllE0_EEPmJS6_EEE10hipError_tPvRmT3_T4_T5_T6_T7_T9_mT8_P12ihipStream_tbDpT10_ENKUlT_T0_E_clISt17integral_constantIbLb1EES1C_EEDaS17_S18_EUlS17_E_NS1_11comp_targetILNS1_3genE3ELNS1_11target_archE908ELNS1_3gpuE7ELNS1_3repE0EEENS1_30default_config_static_selectorELNS0_4arch9wavefront6targetE0EEEvT1_,"axG",@progbits,_ZN7rocprim17ROCPRIM_400000_NS6detail17trampoline_kernelINS0_14default_configENS1_25partition_config_selectorILNS1_17partition_subalgoE8ElNS0_10empty_typeEbEEZZNS1_14partition_implILS5_8ELb0ES3_jPlPS6_PKS6_NS0_5tupleIJS9_S6_EEENSD_IJSA_SA_EEENS0_18inequality_wrapperIZN2at6native12_GLOBAL__N_124unique_dim_cuda_templateIhEESt5tupleIJNSH_6TensorESM_SM_EERKSM_lbbbEUlllE0_EEPmJS6_EEE10hipError_tPvRmT3_T4_T5_T6_T7_T9_mT8_P12ihipStream_tbDpT10_ENKUlT_T0_E_clISt17integral_constantIbLb1EES1C_EEDaS17_S18_EUlS17_E_NS1_11comp_targetILNS1_3genE3ELNS1_11target_archE908ELNS1_3gpuE7ELNS1_3repE0EEENS1_30default_config_static_selectorELNS0_4arch9wavefront6targetE0EEEvT1_,comdat
	.globl	_ZN7rocprim17ROCPRIM_400000_NS6detail17trampoline_kernelINS0_14default_configENS1_25partition_config_selectorILNS1_17partition_subalgoE8ElNS0_10empty_typeEbEEZZNS1_14partition_implILS5_8ELb0ES3_jPlPS6_PKS6_NS0_5tupleIJS9_S6_EEENSD_IJSA_SA_EEENS0_18inequality_wrapperIZN2at6native12_GLOBAL__N_124unique_dim_cuda_templateIhEESt5tupleIJNSH_6TensorESM_SM_EERKSM_lbbbEUlllE0_EEPmJS6_EEE10hipError_tPvRmT3_T4_T5_T6_T7_T9_mT8_P12ihipStream_tbDpT10_ENKUlT_T0_E_clISt17integral_constantIbLb1EES1C_EEDaS17_S18_EUlS17_E_NS1_11comp_targetILNS1_3genE3ELNS1_11target_archE908ELNS1_3gpuE7ELNS1_3repE0EEENS1_30default_config_static_selectorELNS0_4arch9wavefront6targetE0EEEvT1_ ; -- Begin function _ZN7rocprim17ROCPRIM_400000_NS6detail17trampoline_kernelINS0_14default_configENS1_25partition_config_selectorILNS1_17partition_subalgoE8ElNS0_10empty_typeEbEEZZNS1_14partition_implILS5_8ELb0ES3_jPlPS6_PKS6_NS0_5tupleIJS9_S6_EEENSD_IJSA_SA_EEENS0_18inequality_wrapperIZN2at6native12_GLOBAL__N_124unique_dim_cuda_templateIhEESt5tupleIJNSH_6TensorESM_SM_EERKSM_lbbbEUlllE0_EEPmJS6_EEE10hipError_tPvRmT3_T4_T5_T6_T7_T9_mT8_P12ihipStream_tbDpT10_ENKUlT_T0_E_clISt17integral_constantIbLb1EES1C_EEDaS17_S18_EUlS17_E_NS1_11comp_targetILNS1_3genE3ELNS1_11target_archE908ELNS1_3gpuE7ELNS1_3repE0EEENS1_30default_config_static_selectorELNS0_4arch9wavefront6targetE0EEEvT1_
	.p2align	8
	.type	_ZN7rocprim17ROCPRIM_400000_NS6detail17trampoline_kernelINS0_14default_configENS1_25partition_config_selectorILNS1_17partition_subalgoE8ElNS0_10empty_typeEbEEZZNS1_14partition_implILS5_8ELb0ES3_jPlPS6_PKS6_NS0_5tupleIJS9_S6_EEENSD_IJSA_SA_EEENS0_18inequality_wrapperIZN2at6native12_GLOBAL__N_124unique_dim_cuda_templateIhEESt5tupleIJNSH_6TensorESM_SM_EERKSM_lbbbEUlllE0_EEPmJS6_EEE10hipError_tPvRmT3_T4_T5_T6_T7_T9_mT8_P12ihipStream_tbDpT10_ENKUlT_T0_E_clISt17integral_constantIbLb1EES1C_EEDaS17_S18_EUlS17_E_NS1_11comp_targetILNS1_3genE3ELNS1_11target_archE908ELNS1_3gpuE7ELNS1_3repE0EEENS1_30default_config_static_selectorELNS0_4arch9wavefront6targetE0EEEvT1_,@function
_ZN7rocprim17ROCPRIM_400000_NS6detail17trampoline_kernelINS0_14default_configENS1_25partition_config_selectorILNS1_17partition_subalgoE8ElNS0_10empty_typeEbEEZZNS1_14partition_implILS5_8ELb0ES3_jPlPS6_PKS6_NS0_5tupleIJS9_S6_EEENSD_IJSA_SA_EEENS0_18inequality_wrapperIZN2at6native12_GLOBAL__N_124unique_dim_cuda_templateIhEESt5tupleIJNSH_6TensorESM_SM_EERKSM_lbbbEUlllE0_EEPmJS6_EEE10hipError_tPvRmT3_T4_T5_T6_T7_T9_mT8_P12ihipStream_tbDpT10_ENKUlT_T0_E_clISt17integral_constantIbLb1EES1C_EEDaS17_S18_EUlS17_E_NS1_11comp_targetILNS1_3genE3ELNS1_11target_archE908ELNS1_3gpuE7ELNS1_3repE0EEENS1_30default_config_static_selectorELNS0_4arch9wavefront6targetE0EEEvT1_: ; @_ZN7rocprim17ROCPRIM_400000_NS6detail17trampoline_kernelINS0_14default_configENS1_25partition_config_selectorILNS1_17partition_subalgoE8ElNS0_10empty_typeEbEEZZNS1_14partition_implILS5_8ELb0ES3_jPlPS6_PKS6_NS0_5tupleIJS9_S6_EEENSD_IJSA_SA_EEENS0_18inequality_wrapperIZN2at6native12_GLOBAL__N_124unique_dim_cuda_templateIhEESt5tupleIJNSH_6TensorESM_SM_EERKSM_lbbbEUlllE0_EEPmJS6_EEE10hipError_tPvRmT3_T4_T5_T6_T7_T9_mT8_P12ihipStream_tbDpT10_ENKUlT_T0_E_clISt17integral_constantIbLb1EES1C_EEDaS17_S18_EUlS17_E_NS1_11comp_targetILNS1_3genE3ELNS1_11target_archE908ELNS1_3gpuE7ELNS1_3repE0EEENS1_30default_config_static_selectorELNS0_4arch9wavefront6targetE0EEEvT1_
; %bb.0:
	.section	.rodata,"a",@progbits
	.p2align	6, 0x0
	.amdhsa_kernel _ZN7rocprim17ROCPRIM_400000_NS6detail17trampoline_kernelINS0_14default_configENS1_25partition_config_selectorILNS1_17partition_subalgoE8ElNS0_10empty_typeEbEEZZNS1_14partition_implILS5_8ELb0ES3_jPlPS6_PKS6_NS0_5tupleIJS9_S6_EEENSD_IJSA_SA_EEENS0_18inequality_wrapperIZN2at6native12_GLOBAL__N_124unique_dim_cuda_templateIhEESt5tupleIJNSH_6TensorESM_SM_EERKSM_lbbbEUlllE0_EEPmJS6_EEE10hipError_tPvRmT3_T4_T5_T6_T7_T9_mT8_P12ihipStream_tbDpT10_ENKUlT_T0_E_clISt17integral_constantIbLb1EES1C_EEDaS17_S18_EUlS17_E_NS1_11comp_targetILNS1_3genE3ELNS1_11target_archE908ELNS1_3gpuE7ELNS1_3repE0EEENS1_30default_config_static_selectorELNS0_4arch9wavefront6targetE0EEEvT1_
		.amdhsa_group_segment_fixed_size 0
		.amdhsa_private_segment_fixed_size 0
		.amdhsa_kernarg_size 136
		.amdhsa_user_sgpr_count 2
		.amdhsa_user_sgpr_dispatch_ptr 0
		.amdhsa_user_sgpr_queue_ptr 0
		.amdhsa_user_sgpr_kernarg_segment_ptr 1
		.amdhsa_user_sgpr_dispatch_id 0
		.amdhsa_user_sgpr_kernarg_preload_length 0
		.amdhsa_user_sgpr_kernarg_preload_offset 0
		.amdhsa_user_sgpr_private_segment_size 0
		.amdhsa_wavefront_size32 1
		.amdhsa_uses_dynamic_stack 0
		.amdhsa_enable_private_segment 0
		.amdhsa_system_sgpr_workgroup_id_x 1
		.amdhsa_system_sgpr_workgroup_id_y 0
		.amdhsa_system_sgpr_workgroup_id_z 0
		.amdhsa_system_sgpr_workgroup_info 0
		.amdhsa_system_vgpr_workitem_id 0
		.amdhsa_next_free_vgpr 1
		.amdhsa_next_free_sgpr 1
		.amdhsa_named_barrier_count 0
		.amdhsa_reserve_vcc 0
		.amdhsa_float_round_mode_32 0
		.amdhsa_float_round_mode_16_64 0
		.amdhsa_float_denorm_mode_32 3
		.amdhsa_float_denorm_mode_16_64 3
		.amdhsa_fp16_overflow 0
		.amdhsa_memory_ordered 1
		.amdhsa_forward_progress 1
		.amdhsa_inst_pref_size 0
		.amdhsa_round_robin_scheduling 0
		.amdhsa_exception_fp_ieee_invalid_op 0
		.amdhsa_exception_fp_denorm_src 0
		.amdhsa_exception_fp_ieee_div_zero 0
		.amdhsa_exception_fp_ieee_overflow 0
		.amdhsa_exception_fp_ieee_underflow 0
		.amdhsa_exception_fp_ieee_inexact 0
		.amdhsa_exception_int_div_zero 0
	.end_amdhsa_kernel
	.section	.text._ZN7rocprim17ROCPRIM_400000_NS6detail17trampoline_kernelINS0_14default_configENS1_25partition_config_selectorILNS1_17partition_subalgoE8ElNS0_10empty_typeEbEEZZNS1_14partition_implILS5_8ELb0ES3_jPlPS6_PKS6_NS0_5tupleIJS9_S6_EEENSD_IJSA_SA_EEENS0_18inequality_wrapperIZN2at6native12_GLOBAL__N_124unique_dim_cuda_templateIhEESt5tupleIJNSH_6TensorESM_SM_EERKSM_lbbbEUlllE0_EEPmJS6_EEE10hipError_tPvRmT3_T4_T5_T6_T7_T9_mT8_P12ihipStream_tbDpT10_ENKUlT_T0_E_clISt17integral_constantIbLb1EES1C_EEDaS17_S18_EUlS17_E_NS1_11comp_targetILNS1_3genE3ELNS1_11target_archE908ELNS1_3gpuE7ELNS1_3repE0EEENS1_30default_config_static_selectorELNS0_4arch9wavefront6targetE0EEEvT1_,"axG",@progbits,_ZN7rocprim17ROCPRIM_400000_NS6detail17trampoline_kernelINS0_14default_configENS1_25partition_config_selectorILNS1_17partition_subalgoE8ElNS0_10empty_typeEbEEZZNS1_14partition_implILS5_8ELb0ES3_jPlPS6_PKS6_NS0_5tupleIJS9_S6_EEENSD_IJSA_SA_EEENS0_18inequality_wrapperIZN2at6native12_GLOBAL__N_124unique_dim_cuda_templateIhEESt5tupleIJNSH_6TensorESM_SM_EERKSM_lbbbEUlllE0_EEPmJS6_EEE10hipError_tPvRmT3_T4_T5_T6_T7_T9_mT8_P12ihipStream_tbDpT10_ENKUlT_T0_E_clISt17integral_constantIbLb1EES1C_EEDaS17_S18_EUlS17_E_NS1_11comp_targetILNS1_3genE3ELNS1_11target_archE908ELNS1_3gpuE7ELNS1_3repE0EEENS1_30default_config_static_selectorELNS0_4arch9wavefront6targetE0EEEvT1_,comdat
.Lfunc_end181:
	.size	_ZN7rocprim17ROCPRIM_400000_NS6detail17trampoline_kernelINS0_14default_configENS1_25partition_config_selectorILNS1_17partition_subalgoE8ElNS0_10empty_typeEbEEZZNS1_14partition_implILS5_8ELb0ES3_jPlPS6_PKS6_NS0_5tupleIJS9_S6_EEENSD_IJSA_SA_EEENS0_18inequality_wrapperIZN2at6native12_GLOBAL__N_124unique_dim_cuda_templateIhEESt5tupleIJNSH_6TensorESM_SM_EERKSM_lbbbEUlllE0_EEPmJS6_EEE10hipError_tPvRmT3_T4_T5_T6_T7_T9_mT8_P12ihipStream_tbDpT10_ENKUlT_T0_E_clISt17integral_constantIbLb1EES1C_EEDaS17_S18_EUlS17_E_NS1_11comp_targetILNS1_3genE3ELNS1_11target_archE908ELNS1_3gpuE7ELNS1_3repE0EEENS1_30default_config_static_selectorELNS0_4arch9wavefront6targetE0EEEvT1_, .Lfunc_end181-_ZN7rocprim17ROCPRIM_400000_NS6detail17trampoline_kernelINS0_14default_configENS1_25partition_config_selectorILNS1_17partition_subalgoE8ElNS0_10empty_typeEbEEZZNS1_14partition_implILS5_8ELb0ES3_jPlPS6_PKS6_NS0_5tupleIJS9_S6_EEENSD_IJSA_SA_EEENS0_18inequality_wrapperIZN2at6native12_GLOBAL__N_124unique_dim_cuda_templateIhEESt5tupleIJNSH_6TensorESM_SM_EERKSM_lbbbEUlllE0_EEPmJS6_EEE10hipError_tPvRmT3_T4_T5_T6_T7_T9_mT8_P12ihipStream_tbDpT10_ENKUlT_T0_E_clISt17integral_constantIbLb1EES1C_EEDaS17_S18_EUlS17_E_NS1_11comp_targetILNS1_3genE3ELNS1_11target_archE908ELNS1_3gpuE7ELNS1_3repE0EEENS1_30default_config_static_selectorELNS0_4arch9wavefront6targetE0EEEvT1_
                                        ; -- End function
	.set _ZN7rocprim17ROCPRIM_400000_NS6detail17trampoline_kernelINS0_14default_configENS1_25partition_config_selectorILNS1_17partition_subalgoE8ElNS0_10empty_typeEbEEZZNS1_14partition_implILS5_8ELb0ES3_jPlPS6_PKS6_NS0_5tupleIJS9_S6_EEENSD_IJSA_SA_EEENS0_18inequality_wrapperIZN2at6native12_GLOBAL__N_124unique_dim_cuda_templateIhEESt5tupleIJNSH_6TensorESM_SM_EERKSM_lbbbEUlllE0_EEPmJS6_EEE10hipError_tPvRmT3_T4_T5_T6_T7_T9_mT8_P12ihipStream_tbDpT10_ENKUlT_T0_E_clISt17integral_constantIbLb1EES1C_EEDaS17_S18_EUlS17_E_NS1_11comp_targetILNS1_3genE3ELNS1_11target_archE908ELNS1_3gpuE7ELNS1_3repE0EEENS1_30default_config_static_selectorELNS0_4arch9wavefront6targetE0EEEvT1_.num_vgpr, 0
	.set _ZN7rocprim17ROCPRIM_400000_NS6detail17trampoline_kernelINS0_14default_configENS1_25partition_config_selectorILNS1_17partition_subalgoE8ElNS0_10empty_typeEbEEZZNS1_14partition_implILS5_8ELb0ES3_jPlPS6_PKS6_NS0_5tupleIJS9_S6_EEENSD_IJSA_SA_EEENS0_18inequality_wrapperIZN2at6native12_GLOBAL__N_124unique_dim_cuda_templateIhEESt5tupleIJNSH_6TensorESM_SM_EERKSM_lbbbEUlllE0_EEPmJS6_EEE10hipError_tPvRmT3_T4_T5_T6_T7_T9_mT8_P12ihipStream_tbDpT10_ENKUlT_T0_E_clISt17integral_constantIbLb1EES1C_EEDaS17_S18_EUlS17_E_NS1_11comp_targetILNS1_3genE3ELNS1_11target_archE908ELNS1_3gpuE7ELNS1_3repE0EEENS1_30default_config_static_selectorELNS0_4arch9wavefront6targetE0EEEvT1_.num_agpr, 0
	.set _ZN7rocprim17ROCPRIM_400000_NS6detail17trampoline_kernelINS0_14default_configENS1_25partition_config_selectorILNS1_17partition_subalgoE8ElNS0_10empty_typeEbEEZZNS1_14partition_implILS5_8ELb0ES3_jPlPS6_PKS6_NS0_5tupleIJS9_S6_EEENSD_IJSA_SA_EEENS0_18inequality_wrapperIZN2at6native12_GLOBAL__N_124unique_dim_cuda_templateIhEESt5tupleIJNSH_6TensorESM_SM_EERKSM_lbbbEUlllE0_EEPmJS6_EEE10hipError_tPvRmT3_T4_T5_T6_T7_T9_mT8_P12ihipStream_tbDpT10_ENKUlT_T0_E_clISt17integral_constantIbLb1EES1C_EEDaS17_S18_EUlS17_E_NS1_11comp_targetILNS1_3genE3ELNS1_11target_archE908ELNS1_3gpuE7ELNS1_3repE0EEENS1_30default_config_static_selectorELNS0_4arch9wavefront6targetE0EEEvT1_.numbered_sgpr, 0
	.set _ZN7rocprim17ROCPRIM_400000_NS6detail17trampoline_kernelINS0_14default_configENS1_25partition_config_selectorILNS1_17partition_subalgoE8ElNS0_10empty_typeEbEEZZNS1_14partition_implILS5_8ELb0ES3_jPlPS6_PKS6_NS0_5tupleIJS9_S6_EEENSD_IJSA_SA_EEENS0_18inequality_wrapperIZN2at6native12_GLOBAL__N_124unique_dim_cuda_templateIhEESt5tupleIJNSH_6TensorESM_SM_EERKSM_lbbbEUlllE0_EEPmJS6_EEE10hipError_tPvRmT3_T4_T5_T6_T7_T9_mT8_P12ihipStream_tbDpT10_ENKUlT_T0_E_clISt17integral_constantIbLb1EES1C_EEDaS17_S18_EUlS17_E_NS1_11comp_targetILNS1_3genE3ELNS1_11target_archE908ELNS1_3gpuE7ELNS1_3repE0EEENS1_30default_config_static_selectorELNS0_4arch9wavefront6targetE0EEEvT1_.num_named_barrier, 0
	.set _ZN7rocprim17ROCPRIM_400000_NS6detail17trampoline_kernelINS0_14default_configENS1_25partition_config_selectorILNS1_17partition_subalgoE8ElNS0_10empty_typeEbEEZZNS1_14partition_implILS5_8ELb0ES3_jPlPS6_PKS6_NS0_5tupleIJS9_S6_EEENSD_IJSA_SA_EEENS0_18inequality_wrapperIZN2at6native12_GLOBAL__N_124unique_dim_cuda_templateIhEESt5tupleIJNSH_6TensorESM_SM_EERKSM_lbbbEUlllE0_EEPmJS6_EEE10hipError_tPvRmT3_T4_T5_T6_T7_T9_mT8_P12ihipStream_tbDpT10_ENKUlT_T0_E_clISt17integral_constantIbLb1EES1C_EEDaS17_S18_EUlS17_E_NS1_11comp_targetILNS1_3genE3ELNS1_11target_archE908ELNS1_3gpuE7ELNS1_3repE0EEENS1_30default_config_static_selectorELNS0_4arch9wavefront6targetE0EEEvT1_.private_seg_size, 0
	.set _ZN7rocprim17ROCPRIM_400000_NS6detail17trampoline_kernelINS0_14default_configENS1_25partition_config_selectorILNS1_17partition_subalgoE8ElNS0_10empty_typeEbEEZZNS1_14partition_implILS5_8ELb0ES3_jPlPS6_PKS6_NS0_5tupleIJS9_S6_EEENSD_IJSA_SA_EEENS0_18inequality_wrapperIZN2at6native12_GLOBAL__N_124unique_dim_cuda_templateIhEESt5tupleIJNSH_6TensorESM_SM_EERKSM_lbbbEUlllE0_EEPmJS6_EEE10hipError_tPvRmT3_T4_T5_T6_T7_T9_mT8_P12ihipStream_tbDpT10_ENKUlT_T0_E_clISt17integral_constantIbLb1EES1C_EEDaS17_S18_EUlS17_E_NS1_11comp_targetILNS1_3genE3ELNS1_11target_archE908ELNS1_3gpuE7ELNS1_3repE0EEENS1_30default_config_static_selectorELNS0_4arch9wavefront6targetE0EEEvT1_.uses_vcc, 0
	.set _ZN7rocprim17ROCPRIM_400000_NS6detail17trampoline_kernelINS0_14default_configENS1_25partition_config_selectorILNS1_17partition_subalgoE8ElNS0_10empty_typeEbEEZZNS1_14partition_implILS5_8ELb0ES3_jPlPS6_PKS6_NS0_5tupleIJS9_S6_EEENSD_IJSA_SA_EEENS0_18inequality_wrapperIZN2at6native12_GLOBAL__N_124unique_dim_cuda_templateIhEESt5tupleIJNSH_6TensorESM_SM_EERKSM_lbbbEUlllE0_EEPmJS6_EEE10hipError_tPvRmT3_T4_T5_T6_T7_T9_mT8_P12ihipStream_tbDpT10_ENKUlT_T0_E_clISt17integral_constantIbLb1EES1C_EEDaS17_S18_EUlS17_E_NS1_11comp_targetILNS1_3genE3ELNS1_11target_archE908ELNS1_3gpuE7ELNS1_3repE0EEENS1_30default_config_static_selectorELNS0_4arch9wavefront6targetE0EEEvT1_.uses_flat_scratch, 0
	.set _ZN7rocprim17ROCPRIM_400000_NS6detail17trampoline_kernelINS0_14default_configENS1_25partition_config_selectorILNS1_17partition_subalgoE8ElNS0_10empty_typeEbEEZZNS1_14partition_implILS5_8ELb0ES3_jPlPS6_PKS6_NS0_5tupleIJS9_S6_EEENSD_IJSA_SA_EEENS0_18inequality_wrapperIZN2at6native12_GLOBAL__N_124unique_dim_cuda_templateIhEESt5tupleIJNSH_6TensorESM_SM_EERKSM_lbbbEUlllE0_EEPmJS6_EEE10hipError_tPvRmT3_T4_T5_T6_T7_T9_mT8_P12ihipStream_tbDpT10_ENKUlT_T0_E_clISt17integral_constantIbLb1EES1C_EEDaS17_S18_EUlS17_E_NS1_11comp_targetILNS1_3genE3ELNS1_11target_archE908ELNS1_3gpuE7ELNS1_3repE0EEENS1_30default_config_static_selectorELNS0_4arch9wavefront6targetE0EEEvT1_.has_dyn_sized_stack, 0
	.set _ZN7rocprim17ROCPRIM_400000_NS6detail17trampoline_kernelINS0_14default_configENS1_25partition_config_selectorILNS1_17partition_subalgoE8ElNS0_10empty_typeEbEEZZNS1_14partition_implILS5_8ELb0ES3_jPlPS6_PKS6_NS0_5tupleIJS9_S6_EEENSD_IJSA_SA_EEENS0_18inequality_wrapperIZN2at6native12_GLOBAL__N_124unique_dim_cuda_templateIhEESt5tupleIJNSH_6TensorESM_SM_EERKSM_lbbbEUlllE0_EEPmJS6_EEE10hipError_tPvRmT3_T4_T5_T6_T7_T9_mT8_P12ihipStream_tbDpT10_ENKUlT_T0_E_clISt17integral_constantIbLb1EES1C_EEDaS17_S18_EUlS17_E_NS1_11comp_targetILNS1_3genE3ELNS1_11target_archE908ELNS1_3gpuE7ELNS1_3repE0EEENS1_30default_config_static_selectorELNS0_4arch9wavefront6targetE0EEEvT1_.has_recursion, 0
	.set _ZN7rocprim17ROCPRIM_400000_NS6detail17trampoline_kernelINS0_14default_configENS1_25partition_config_selectorILNS1_17partition_subalgoE8ElNS0_10empty_typeEbEEZZNS1_14partition_implILS5_8ELb0ES3_jPlPS6_PKS6_NS0_5tupleIJS9_S6_EEENSD_IJSA_SA_EEENS0_18inequality_wrapperIZN2at6native12_GLOBAL__N_124unique_dim_cuda_templateIhEESt5tupleIJNSH_6TensorESM_SM_EERKSM_lbbbEUlllE0_EEPmJS6_EEE10hipError_tPvRmT3_T4_T5_T6_T7_T9_mT8_P12ihipStream_tbDpT10_ENKUlT_T0_E_clISt17integral_constantIbLb1EES1C_EEDaS17_S18_EUlS17_E_NS1_11comp_targetILNS1_3genE3ELNS1_11target_archE908ELNS1_3gpuE7ELNS1_3repE0EEENS1_30default_config_static_selectorELNS0_4arch9wavefront6targetE0EEEvT1_.has_indirect_call, 0
	.section	.AMDGPU.csdata,"",@progbits
; Kernel info:
; codeLenInByte = 0
; TotalNumSgprs: 0
; NumVgprs: 0
; ScratchSize: 0
; MemoryBound: 0
; FloatMode: 240
; IeeeMode: 1
; LDSByteSize: 0 bytes/workgroup (compile time only)
; SGPRBlocks: 0
; VGPRBlocks: 0
; NumSGPRsForWavesPerEU: 1
; NumVGPRsForWavesPerEU: 1
; NamedBarCnt: 0
; Occupancy: 16
; WaveLimiterHint : 0
; COMPUTE_PGM_RSRC2:SCRATCH_EN: 0
; COMPUTE_PGM_RSRC2:USER_SGPR: 2
; COMPUTE_PGM_RSRC2:TRAP_HANDLER: 0
; COMPUTE_PGM_RSRC2:TGID_X_EN: 1
; COMPUTE_PGM_RSRC2:TGID_Y_EN: 0
; COMPUTE_PGM_RSRC2:TGID_Z_EN: 0
; COMPUTE_PGM_RSRC2:TIDIG_COMP_CNT: 0
	.section	.text._ZN7rocprim17ROCPRIM_400000_NS6detail17trampoline_kernelINS0_14default_configENS1_25partition_config_selectorILNS1_17partition_subalgoE8ElNS0_10empty_typeEbEEZZNS1_14partition_implILS5_8ELb0ES3_jPlPS6_PKS6_NS0_5tupleIJS9_S6_EEENSD_IJSA_SA_EEENS0_18inequality_wrapperIZN2at6native12_GLOBAL__N_124unique_dim_cuda_templateIhEESt5tupleIJNSH_6TensorESM_SM_EERKSM_lbbbEUlllE0_EEPmJS6_EEE10hipError_tPvRmT3_T4_T5_T6_T7_T9_mT8_P12ihipStream_tbDpT10_ENKUlT_T0_E_clISt17integral_constantIbLb1EES1C_EEDaS17_S18_EUlS17_E_NS1_11comp_targetILNS1_3genE2ELNS1_11target_archE906ELNS1_3gpuE6ELNS1_3repE0EEENS1_30default_config_static_selectorELNS0_4arch9wavefront6targetE0EEEvT1_,"axG",@progbits,_ZN7rocprim17ROCPRIM_400000_NS6detail17trampoline_kernelINS0_14default_configENS1_25partition_config_selectorILNS1_17partition_subalgoE8ElNS0_10empty_typeEbEEZZNS1_14partition_implILS5_8ELb0ES3_jPlPS6_PKS6_NS0_5tupleIJS9_S6_EEENSD_IJSA_SA_EEENS0_18inequality_wrapperIZN2at6native12_GLOBAL__N_124unique_dim_cuda_templateIhEESt5tupleIJNSH_6TensorESM_SM_EERKSM_lbbbEUlllE0_EEPmJS6_EEE10hipError_tPvRmT3_T4_T5_T6_T7_T9_mT8_P12ihipStream_tbDpT10_ENKUlT_T0_E_clISt17integral_constantIbLb1EES1C_EEDaS17_S18_EUlS17_E_NS1_11comp_targetILNS1_3genE2ELNS1_11target_archE906ELNS1_3gpuE6ELNS1_3repE0EEENS1_30default_config_static_selectorELNS0_4arch9wavefront6targetE0EEEvT1_,comdat
	.globl	_ZN7rocprim17ROCPRIM_400000_NS6detail17trampoline_kernelINS0_14default_configENS1_25partition_config_selectorILNS1_17partition_subalgoE8ElNS0_10empty_typeEbEEZZNS1_14partition_implILS5_8ELb0ES3_jPlPS6_PKS6_NS0_5tupleIJS9_S6_EEENSD_IJSA_SA_EEENS0_18inequality_wrapperIZN2at6native12_GLOBAL__N_124unique_dim_cuda_templateIhEESt5tupleIJNSH_6TensorESM_SM_EERKSM_lbbbEUlllE0_EEPmJS6_EEE10hipError_tPvRmT3_T4_T5_T6_T7_T9_mT8_P12ihipStream_tbDpT10_ENKUlT_T0_E_clISt17integral_constantIbLb1EES1C_EEDaS17_S18_EUlS17_E_NS1_11comp_targetILNS1_3genE2ELNS1_11target_archE906ELNS1_3gpuE6ELNS1_3repE0EEENS1_30default_config_static_selectorELNS0_4arch9wavefront6targetE0EEEvT1_ ; -- Begin function _ZN7rocprim17ROCPRIM_400000_NS6detail17trampoline_kernelINS0_14default_configENS1_25partition_config_selectorILNS1_17partition_subalgoE8ElNS0_10empty_typeEbEEZZNS1_14partition_implILS5_8ELb0ES3_jPlPS6_PKS6_NS0_5tupleIJS9_S6_EEENSD_IJSA_SA_EEENS0_18inequality_wrapperIZN2at6native12_GLOBAL__N_124unique_dim_cuda_templateIhEESt5tupleIJNSH_6TensorESM_SM_EERKSM_lbbbEUlllE0_EEPmJS6_EEE10hipError_tPvRmT3_T4_T5_T6_T7_T9_mT8_P12ihipStream_tbDpT10_ENKUlT_T0_E_clISt17integral_constantIbLb1EES1C_EEDaS17_S18_EUlS17_E_NS1_11comp_targetILNS1_3genE2ELNS1_11target_archE906ELNS1_3gpuE6ELNS1_3repE0EEENS1_30default_config_static_selectorELNS0_4arch9wavefront6targetE0EEEvT1_
	.p2align	8
	.type	_ZN7rocprim17ROCPRIM_400000_NS6detail17trampoline_kernelINS0_14default_configENS1_25partition_config_selectorILNS1_17partition_subalgoE8ElNS0_10empty_typeEbEEZZNS1_14partition_implILS5_8ELb0ES3_jPlPS6_PKS6_NS0_5tupleIJS9_S6_EEENSD_IJSA_SA_EEENS0_18inequality_wrapperIZN2at6native12_GLOBAL__N_124unique_dim_cuda_templateIhEESt5tupleIJNSH_6TensorESM_SM_EERKSM_lbbbEUlllE0_EEPmJS6_EEE10hipError_tPvRmT3_T4_T5_T6_T7_T9_mT8_P12ihipStream_tbDpT10_ENKUlT_T0_E_clISt17integral_constantIbLb1EES1C_EEDaS17_S18_EUlS17_E_NS1_11comp_targetILNS1_3genE2ELNS1_11target_archE906ELNS1_3gpuE6ELNS1_3repE0EEENS1_30default_config_static_selectorELNS0_4arch9wavefront6targetE0EEEvT1_,@function
_ZN7rocprim17ROCPRIM_400000_NS6detail17trampoline_kernelINS0_14default_configENS1_25partition_config_selectorILNS1_17partition_subalgoE8ElNS0_10empty_typeEbEEZZNS1_14partition_implILS5_8ELb0ES3_jPlPS6_PKS6_NS0_5tupleIJS9_S6_EEENSD_IJSA_SA_EEENS0_18inequality_wrapperIZN2at6native12_GLOBAL__N_124unique_dim_cuda_templateIhEESt5tupleIJNSH_6TensorESM_SM_EERKSM_lbbbEUlllE0_EEPmJS6_EEE10hipError_tPvRmT3_T4_T5_T6_T7_T9_mT8_P12ihipStream_tbDpT10_ENKUlT_T0_E_clISt17integral_constantIbLb1EES1C_EEDaS17_S18_EUlS17_E_NS1_11comp_targetILNS1_3genE2ELNS1_11target_archE906ELNS1_3gpuE6ELNS1_3repE0EEENS1_30default_config_static_selectorELNS0_4arch9wavefront6targetE0EEEvT1_: ; @_ZN7rocprim17ROCPRIM_400000_NS6detail17trampoline_kernelINS0_14default_configENS1_25partition_config_selectorILNS1_17partition_subalgoE8ElNS0_10empty_typeEbEEZZNS1_14partition_implILS5_8ELb0ES3_jPlPS6_PKS6_NS0_5tupleIJS9_S6_EEENSD_IJSA_SA_EEENS0_18inequality_wrapperIZN2at6native12_GLOBAL__N_124unique_dim_cuda_templateIhEESt5tupleIJNSH_6TensorESM_SM_EERKSM_lbbbEUlllE0_EEPmJS6_EEE10hipError_tPvRmT3_T4_T5_T6_T7_T9_mT8_P12ihipStream_tbDpT10_ENKUlT_T0_E_clISt17integral_constantIbLb1EES1C_EEDaS17_S18_EUlS17_E_NS1_11comp_targetILNS1_3genE2ELNS1_11target_archE906ELNS1_3gpuE6ELNS1_3repE0EEENS1_30default_config_static_selectorELNS0_4arch9wavefront6targetE0EEEvT1_
; %bb.0:
	.section	.rodata,"a",@progbits
	.p2align	6, 0x0
	.amdhsa_kernel _ZN7rocprim17ROCPRIM_400000_NS6detail17trampoline_kernelINS0_14default_configENS1_25partition_config_selectorILNS1_17partition_subalgoE8ElNS0_10empty_typeEbEEZZNS1_14partition_implILS5_8ELb0ES3_jPlPS6_PKS6_NS0_5tupleIJS9_S6_EEENSD_IJSA_SA_EEENS0_18inequality_wrapperIZN2at6native12_GLOBAL__N_124unique_dim_cuda_templateIhEESt5tupleIJNSH_6TensorESM_SM_EERKSM_lbbbEUlllE0_EEPmJS6_EEE10hipError_tPvRmT3_T4_T5_T6_T7_T9_mT8_P12ihipStream_tbDpT10_ENKUlT_T0_E_clISt17integral_constantIbLb1EES1C_EEDaS17_S18_EUlS17_E_NS1_11comp_targetILNS1_3genE2ELNS1_11target_archE906ELNS1_3gpuE6ELNS1_3repE0EEENS1_30default_config_static_selectorELNS0_4arch9wavefront6targetE0EEEvT1_
		.amdhsa_group_segment_fixed_size 0
		.amdhsa_private_segment_fixed_size 0
		.amdhsa_kernarg_size 136
		.amdhsa_user_sgpr_count 2
		.amdhsa_user_sgpr_dispatch_ptr 0
		.amdhsa_user_sgpr_queue_ptr 0
		.amdhsa_user_sgpr_kernarg_segment_ptr 1
		.amdhsa_user_sgpr_dispatch_id 0
		.amdhsa_user_sgpr_kernarg_preload_length 0
		.amdhsa_user_sgpr_kernarg_preload_offset 0
		.amdhsa_user_sgpr_private_segment_size 0
		.amdhsa_wavefront_size32 1
		.amdhsa_uses_dynamic_stack 0
		.amdhsa_enable_private_segment 0
		.amdhsa_system_sgpr_workgroup_id_x 1
		.amdhsa_system_sgpr_workgroup_id_y 0
		.amdhsa_system_sgpr_workgroup_id_z 0
		.amdhsa_system_sgpr_workgroup_info 0
		.amdhsa_system_vgpr_workitem_id 0
		.amdhsa_next_free_vgpr 1
		.amdhsa_next_free_sgpr 1
		.amdhsa_named_barrier_count 0
		.amdhsa_reserve_vcc 0
		.amdhsa_float_round_mode_32 0
		.amdhsa_float_round_mode_16_64 0
		.amdhsa_float_denorm_mode_32 3
		.amdhsa_float_denorm_mode_16_64 3
		.amdhsa_fp16_overflow 0
		.amdhsa_memory_ordered 1
		.amdhsa_forward_progress 1
		.amdhsa_inst_pref_size 0
		.amdhsa_round_robin_scheduling 0
		.amdhsa_exception_fp_ieee_invalid_op 0
		.amdhsa_exception_fp_denorm_src 0
		.amdhsa_exception_fp_ieee_div_zero 0
		.amdhsa_exception_fp_ieee_overflow 0
		.amdhsa_exception_fp_ieee_underflow 0
		.amdhsa_exception_fp_ieee_inexact 0
		.amdhsa_exception_int_div_zero 0
	.end_amdhsa_kernel
	.section	.text._ZN7rocprim17ROCPRIM_400000_NS6detail17trampoline_kernelINS0_14default_configENS1_25partition_config_selectorILNS1_17partition_subalgoE8ElNS0_10empty_typeEbEEZZNS1_14partition_implILS5_8ELb0ES3_jPlPS6_PKS6_NS0_5tupleIJS9_S6_EEENSD_IJSA_SA_EEENS0_18inequality_wrapperIZN2at6native12_GLOBAL__N_124unique_dim_cuda_templateIhEESt5tupleIJNSH_6TensorESM_SM_EERKSM_lbbbEUlllE0_EEPmJS6_EEE10hipError_tPvRmT3_T4_T5_T6_T7_T9_mT8_P12ihipStream_tbDpT10_ENKUlT_T0_E_clISt17integral_constantIbLb1EES1C_EEDaS17_S18_EUlS17_E_NS1_11comp_targetILNS1_3genE2ELNS1_11target_archE906ELNS1_3gpuE6ELNS1_3repE0EEENS1_30default_config_static_selectorELNS0_4arch9wavefront6targetE0EEEvT1_,"axG",@progbits,_ZN7rocprim17ROCPRIM_400000_NS6detail17trampoline_kernelINS0_14default_configENS1_25partition_config_selectorILNS1_17partition_subalgoE8ElNS0_10empty_typeEbEEZZNS1_14partition_implILS5_8ELb0ES3_jPlPS6_PKS6_NS0_5tupleIJS9_S6_EEENSD_IJSA_SA_EEENS0_18inequality_wrapperIZN2at6native12_GLOBAL__N_124unique_dim_cuda_templateIhEESt5tupleIJNSH_6TensorESM_SM_EERKSM_lbbbEUlllE0_EEPmJS6_EEE10hipError_tPvRmT3_T4_T5_T6_T7_T9_mT8_P12ihipStream_tbDpT10_ENKUlT_T0_E_clISt17integral_constantIbLb1EES1C_EEDaS17_S18_EUlS17_E_NS1_11comp_targetILNS1_3genE2ELNS1_11target_archE906ELNS1_3gpuE6ELNS1_3repE0EEENS1_30default_config_static_selectorELNS0_4arch9wavefront6targetE0EEEvT1_,comdat
.Lfunc_end182:
	.size	_ZN7rocprim17ROCPRIM_400000_NS6detail17trampoline_kernelINS0_14default_configENS1_25partition_config_selectorILNS1_17partition_subalgoE8ElNS0_10empty_typeEbEEZZNS1_14partition_implILS5_8ELb0ES3_jPlPS6_PKS6_NS0_5tupleIJS9_S6_EEENSD_IJSA_SA_EEENS0_18inequality_wrapperIZN2at6native12_GLOBAL__N_124unique_dim_cuda_templateIhEESt5tupleIJNSH_6TensorESM_SM_EERKSM_lbbbEUlllE0_EEPmJS6_EEE10hipError_tPvRmT3_T4_T5_T6_T7_T9_mT8_P12ihipStream_tbDpT10_ENKUlT_T0_E_clISt17integral_constantIbLb1EES1C_EEDaS17_S18_EUlS17_E_NS1_11comp_targetILNS1_3genE2ELNS1_11target_archE906ELNS1_3gpuE6ELNS1_3repE0EEENS1_30default_config_static_selectorELNS0_4arch9wavefront6targetE0EEEvT1_, .Lfunc_end182-_ZN7rocprim17ROCPRIM_400000_NS6detail17trampoline_kernelINS0_14default_configENS1_25partition_config_selectorILNS1_17partition_subalgoE8ElNS0_10empty_typeEbEEZZNS1_14partition_implILS5_8ELb0ES3_jPlPS6_PKS6_NS0_5tupleIJS9_S6_EEENSD_IJSA_SA_EEENS0_18inequality_wrapperIZN2at6native12_GLOBAL__N_124unique_dim_cuda_templateIhEESt5tupleIJNSH_6TensorESM_SM_EERKSM_lbbbEUlllE0_EEPmJS6_EEE10hipError_tPvRmT3_T4_T5_T6_T7_T9_mT8_P12ihipStream_tbDpT10_ENKUlT_T0_E_clISt17integral_constantIbLb1EES1C_EEDaS17_S18_EUlS17_E_NS1_11comp_targetILNS1_3genE2ELNS1_11target_archE906ELNS1_3gpuE6ELNS1_3repE0EEENS1_30default_config_static_selectorELNS0_4arch9wavefront6targetE0EEEvT1_
                                        ; -- End function
	.set _ZN7rocprim17ROCPRIM_400000_NS6detail17trampoline_kernelINS0_14default_configENS1_25partition_config_selectorILNS1_17partition_subalgoE8ElNS0_10empty_typeEbEEZZNS1_14partition_implILS5_8ELb0ES3_jPlPS6_PKS6_NS0_5tupleIJS9_S6_EEENSD_IJSA_SA_EEENS0_18inequality_wrapperIZN2at6native12_GLOBAL__N_124unique_dim_cuda_templateIhEESt5tupleIJNSH_6TensorESM_SM_EERKSM_lbbbEUlllE0_EEPmJS6_EEE10hipError_tPvRmT3_T4_T5_T6_T7_T9_mT8_P12ihipStream_tbDpT10_ENKUlT_T0_E_clISt17integral_constantIbLb1EES1C_EEDaS17_S18_EUlS17_E_NS1_11comp_targetILNS1_3genE2ELNS1_11target_archE906ELNS1_3gpuE6ELNS1_3repE0EEENS1_30default_config_static_selectorELNS0_4arch9wavefront6targetE0EEEvT1_.num_vgpr, 0
	.set _ZN7rocprim17ROCPRIM_400000_NS6detail17trampoline_kernelINS0_14default_configENS1_25partition_config_selectorILNS1_17partition_subalgoE8ElNS0_10empty_typeEbEEZZNS1_14partition_implILS5_8ELb0ES3_jPlPS6_PKS6_NS0_5tupleIJS9_S6_EEENSD_IJSA_SA_EEENS0_18inequality_wrapperIZN2at6native12_GLOBAL__N_124unique_dim_cuda_templateIhEESt5tupleIJNSH_6TensorESM_SM_EERKSM_lbbbEUlllE0_EEPmJS6_EEE10hipError_tPvRmT3_T4_T5_T6_T7_T9_mT8_P12ihipStream_tbDpT10_ENKUlT_T0_E_clISt17integral_constantIbLb1EES1C_EEDaS17_S18_EUlS17_E_NS1_11comp_targetILNS1_3genE2ELNS1_11target_archE906ELNS1_3gpuE6ELNS1_3repE0EEENS1_30default_config_static_selectorELNS0_4arch9wavefront6targetE0EEEvT1_.num_agpr, 0
	.set _ZN7rocprim17ROCPRIM_400000_NS6detail17trampoline_kernelINS0_14default_configENS1_25partition_config_selectorILNS1_17partition_subalgoE8ElNS0_10empty_typeEbEEZZNS1_14partition_implILS5_8ELb0ES3_jPlPS6_PKS6_NS0_5tupleIJS9_S6_EEENSD_IJSA_SA_EEENS0_18inequality_wrapperIZN2at6native12_GLOBAL__N_124unique_dim_cuda_templateIhEESt5tupleIJNSH_6TensorESM_SM_EERKSM_lbbbEUlllE0_EEPmJS6_EEE10hipError_tPvRmT3_T4_T5_T6_T7_T9_mT8_P12ihipStream_tbDpT10_ENKUlT_T0_E_clISt17integral_constantIbLb1EES1C_EEDaS17_S18_EUlS17_E_NS1_11comp_targetILNS1_3genE2ELNS1_11target_archE906ELNS1_3gpuE6ELNS1_3repE0EEENS1_30default_config_static_selectorELNS0_4arch9wavefront6targetE0EEEvT1_.numbered_sgpr, 0
	.set _ZN7rocprim17ROCPRIM_400000_NS6detail17trampoline_kernelINS0_14default_configENS1_25partition_config_selectorILNS1_17partition_subalgoE8ElNS0_10empty_typeEbEEZZNS1_14partition_implILS5_8ELb0ES3_jPlPS6_PKS6_NS0_5tupleIJS9_S6_EEENSD_IJSA_SA_EEENS0_18inequality_wrapperIZN2at6native12_GLOBAL__N_124unique_dim_cuda_templateIhEESt5tupleIJNSH_6TensorESM_SM_EERKSM_lbbbEUlllE0_EEPmJS6_EEE10hipError_tPvRmT3_T4_T5_T6_T7_T9_mT8_P12ihipStream_tbDpT10_ENKUlT_T0_E_clISt17integral_constantIbLb1EES1C_EEDaS17_S18_EUlS17_E_NS1_11comp_targetILNS1_3genE2ELNS1_11target_archE906ELNS1_3gpuE6ELNS1_3repE0EEENS1_30default_config_static_selectorELNS0_4arch9wavefront6targetE0EEEvT1_.num_named_barrier, 0
	.set _ZN7rocprim17ROCPRIM_400000_NS6detail17trampoline_kernelINS0_14default_configENS1_25partition_config_selectorILNS1_17partition_subalgoE8ElNS0_10empty_typeEbEEZZNS1_14partition_implILS5_8ELb0ES3_jPlPS6_PKS6_NS0_5tupleIJS9_S6_EEENSD_IJSA_SA_EEENS0_18inequality_wrapperIZN2at6native12_GLOBAL__N_124unique_dim_cuda_templateIhEESt5tupleIJNSH_6TensorESM_SM_EERKSM_lbbbEUlllE0_EEPmJS6_EEE10hipError_tPvRmT3_T4_T5_T6_T7_T9_mT8_P12ihipStream_tbDpT10_ENKUlT_T0_E_clISt17integral_constantIbLb1EES1C_EEDaS17_S18_EUlS17_E_NS1_11comp_targetILNS1_3genE2ELNS1_11target_archE906ELNS1_3gpuE6ELNS1_3repE0EEENS1_30default_config_static_selectorELNS0_4arch9wavefront6targetE0EEEvT1_.private_seg_size, 0
	.set _ZN7rocprim17ROCPRIM_400000_NS6detail17trampoline_kernelINS0_14default_configENS1_25partition_config_selectorILNS1_17partition_subalgoE8ElNS0_10empty_typeEbEEZZNS1_14partition_implILS5_8ELb0ES3_jPlPS6_PKS6_NS0_5tupleIJS9_S6_EEENSD_IJSA_SA_EEENS0_18inequality_wrapperIZN2at6native12_GLOBAL__N_124unique_dim_cuda_templateIhEESt5tupleIJNSH_6TensorESM_SM_EERKSM_lbbbEUlllE0_EEPmJS6_EEE10hipError_tPvRmT3_T4_T5_T6_T7_T9_mT8_P12ihipStream_tbDpT10_ENKUlT_T0_E_clISt17integral_constantIbLb1EES1C_EEDaS17_S18_EUlS17_E_NS1_11comp_targetILNS1_3genE2ELNS1_11target_archE906ELNS1_3gpuE6ELNS1_3repE0EEENS1_30default_config_static_selectorELNS0_4arch9wavefront6targetE0EEEvT1_.uses_vcc, 0
	.set _ZN7rocprim17ROCPRIM_400000_NS6detail17trampoline_kernelINS0_14default_configENS1_25partition_config_selectorILNS1_17partition_subalgoE8ElNS0_10empty_typeEbEEZZNS1_14partition_implILS5_8ELb0ES3_jPlPS6_PKS6_NS0_5tupleIJS9_S6_EEENSD_IJSA_SA_EEENS0_18inequality_wrapperIZN2at6native12_GLOBAL__N_124unique_dim_cuda_templateIhEESt5tupleIJNSH_6TensorESM_SM_EERKSM_lbbbEUlllE0_EEPmJS6_EEE10hipError_tPvRmT3_T4_T5_T6_T7_T9_mT8_P12ihipStream_tbDpT10_ENKUlT_T0_E_clISt17integral_constantIbLb1EES1C_EEDaS17_S18_EUlS17_E_NS1_11comp_targetILNS1_3genE2ELNS1_11target_archE906ELNS1_3gpuE6ELNS1_3repE0EEENS1_30default_config_static_selectorELNS0_4arch9wavefront6targetE0EEEvT1_.uses_flat_scratch, 0
	.set _ZN7rocprim17ROCPRIM_400000_NS6detail17trampoline_kernelINS0_14default_configENS1_25partition_config_selectorILNS1_17partition_subalgoE8ElNS0_10empty_typeEbEEZZNS1_14partition_implILS5_8ELb0ES3_jPlPS6_PKS6_NS0_5tupleIJS9_S6_EEENSD_IJSA_SA_EEENS0_18inequality_wrapperIZN2at6native12_GLOBAL__N_124unique_dim_cuda_templateIhEESt5tupleIJNSH_6TensorESM_SM_EERKSM_lbbbEUlllE0_EEPmJS6_EEE10hipError_tPvRmT3_T4_T5_T6_T7_T9_mT8_P12ihipStream_tbDpT10_ENKUlT_T0_E_clISt17integral_constantIbLb1EES1C_EEDaS17_S18_EUlS17_E_NS1_11comp_targetILNS1_3genE2ELNS1_11target_archE906ELNS1_3gpuE6ELNS1_3repE0EEENS1_30default_config_static_selectorELNS0_4arch9wavefront6targetE0EEEvT1_.has_dyn_sized_stack, 0
	.set _ZN7rocprim17ROCPRIM_400000_NS6detail17trampoline_kernelINS0_14default_configENS1_25partition_config_selectorILNS1_17partition_subalgoE8ElNS0_10empty_typeEbEEZZNS1_14partition_implILS5_8ELb0ES3_jPlPS6_PKS6_NS0_5tupleIJS9_S6_EEENSD_IJSA_SA_EEENS0_18inequality_wrapperIZN2at6native12_GLOBAL__N_124unique_dim_cuda_templateIhEESt5tupleIJNSH_6TensorESM_SM_EERKSM_lbbbEUlllE0_EEPmJS6_EEE10hipError_tPvRmT3_T4_T5_T6_T7_T9_mT8_P12ihipStream_tbDpT10_ENKUlT_T0_E_clISt17integral_constantIbLb1EES1C_EEDaS17_S18_EUlS17_E_NS1_11comp_targetILNS1_3genE2ELNS1_11target_archE906ELNS1_3gpuE6ELNS1_3repE0EEENS1_30default_config_static_selectorELNS0_4arch9wavefront6targetE0EEEvT1_.has_recursion, 0
	.set _ZN7rocprim17ROCPRIM_400000_NS6detail17trampoline_kernelINS0_14default_configENS1_25partition_config_selectorILNS1_17partition_subalgoE8ElNS0_10empty_typeEbEEZZNS1_14partition_implILS5_8ELb0ES3_jPlPS6_PKS6_NS0_5tupleIJS9_S6_EEENSD_IJSA_SA_EEENS0_18inequality_wrapperIZN2at6native12_GLOBAL__N_124unique_dim_cuda_templateIhEESt5tupleIJNSH_6TensorESM_SM_EERKSM_lbbbEUlllE0_EEPmJS6_EEE10hipError_tPvRmT3_T4_T5_T6_T7_T9_mT8_P12ihipStream_tbDpT10_ENKUlT_T0_E_clISt17integral_constantIbLb1EES1C_EEDaS17_S18_EUlS17_E_NS1_11comp_targetILNS1_3genE2ELNS1_11target_archE906ELNS1_3gpuE6ELNS1_3repE0EEENS1_30default_config_static_selectorELNS0_4arch9wavefront6targetE0EEEvT1_.has_indirect_call, 0
	.section	.AMDGPU.csdata,"",@progbits
; Kernel info:
; codeLenInByte = 0
; TotalNumSgprs: 0
; NumVgprs: 0
; ScratchSize: 0
; MemoryBound: 0
; FloatMode: 240
; IeeeMode: 1
; LDSByteSize: 0 bytes/workgroup (compile time only)
; SGPRBlocks: 0
; VGPRBlocks: 0
; NumSGPRsForWavesPerEU: 1
; NumVGPRsForWavesPerEU: 1
; NamedBarCnt: 0
; Occupancy: 16
; WaveLimiterHint : 0
; COMPUTE_PGM_RSRC2:SCRATCH_EN: 0
; COMPUTE_PGM_RSRC2:USER_SGPR: 2
; COMPUTE_PGM_RSRC2:TRAP_HANDLER: 0
; COMPUTE_PGM_RSRC2:TGID_X_EN: 1
; COMPUTE_PGM_RSRC2:TGID_Y_EN: 0
; COMPUTE_PGM_RSRC2:TGID_Z_EN: 0
; COMPUTE_PGM_RSRC2:TIDIG_COMP_CNT: 0
	.section	.text._ZN7rocprim17ROCPRIM_400000_NS6detail17trampoline_kernelINS0_14default_configENS1_25partition_config_selectorILNS1_17partition_subalgoE8ElNS0_10empty_typeEbEEZZNS1_14partition_implILS5_8ELb0ES3_jPlPS6_PKS6_NS0_5tupleIJS9_S6_EEENSD_IJSA_SA_EEENS0_18inequality_wrapperIZN2at6native12_GLOBAL__N_124unique_dim_cuda_templateIhEESt5tupleIJNSH_6TensorESM_SM_EERKSM_lbbbEUlllE0_EEPmJS6_EEE10hipError_tPvRmT3_T4_T5_T6_T7_T9_mT8_P12ihipStream_tbDpT10_ENKUlT_T0_E_clISt17integral_constantIbLb1EES1C_EEDaS17_S18_EUlS17_E_NS1_11comp_targetILNS1_3genE10ELNS1_11target_archE1200ELNS1_3gpuE4ELNS1_3repE0EEENS1_30default_config_static_selectorELNS0_4arch9wavefront6targetE0EEEvT1_,"axG",@progbits,_ZN7rocprim17ROCPRIM_400000_NS6detail17trampoline_kernelINS0_14default_configENS1_25partition_config_selectorILNS1_17partition_subalgoE8ElNS0_10empty_typeEbEEZZNS1_14partition_implILS5_8ELb0ES3_jPlPS6_PKS6_NS0_5tupleIJS9_S6_EEENSD_IJSA_SA_EEENS0_18inequality_wrapperIZN2at6native12_GLOBAL__N_124unique_dim_cuda_templateIhEESt5tupleIJNSH_6TensorESM_SM_EERKSM_lbbbEUlllE0_EEPmJS6_EEE10hipError_tPvRmT3_T4_T5_T6_T7_T9_mT8_P12ihipStream_tbDpT10_ENKUlT_T0_E_clISt17integral_constantIbLb1EES1C_EEDaS17_S18_EUlS17_E_NS1_11comp_targetILNS1_3genE10ELNS1_11target_archE1200ELNS1_3gpuE4ELNS1_3repE0EEENS1_30default_config_static_selectorELNS0_4arch9wavefront6targetE0EEEvT1_,comdat
	.globl	_ZN7rocprim17ROCPRIM_400000_NS6detail17trampoline_kernelINS0_14default_configENS1_25partition_config_selectorILNS1_17partition_subalgoE8ElNS0_10empty_typeEbEEZZNS1_14partition_implILS5_8ELb0ES3_jPlPS6_PKS6_NS0_5tupleIJS9_S6_EEENSD_IJSA_SA_EEENS0_18inequality_wrapperIZN2at6native12_GLOBAL__N_124unique_dim_cuda_templateIhEESt5tupleIJNSH_6TensorESM_SM_EERKSM_lbbbEUlllE0_EEPmJS6_EEE10hipError_tPvRmT3_T4_T5_T6_T7_T9_mT8_P12ihipStream_tbDpT10_ENKUlT_T0_E_clISt17integral_constantIbLb1EES1C_EEDaS17_S18_EUlS17_E_NS1_11comp_targetILNS1_3genE10ELNS1_11target_archE1200ELNS1_3gpuE4ELNS1_3repE0EEENS1_30default_config_static_selectorELNS0_4arch9wavefront6targetE0EEEvT1_ ; -- Begin function _ZN7rocprim17ROCPRIM_400000_NS6detail17trampoline_kernelINS0_14default_configENS1_25partition_config_selectorILNS1_17partition_subalgoE8ElNS0_10empty_typeEbEEZZNS1_14partition_implILS5_8ELb0ES3_jPlPS6_PKS6_NS0_5tupleIJS9_S6_EEENSD_IJSA_SA_EEENS0_18inequality_wrapperIZN2at6native12_GLOBAL__N_124unique_dim_cuda_templateIhEESt5tupleIJNSH_6TensorESM_SM_EERKSM_lbbbEUlllE0_EEPmJS6_EEE10hipError_tPvRmT3_T4_T5_T6_T7_T9_mT8_P12ihipStream_tbDpT10_ENKUlT_T0_E_clISt17integral_constantIbLb1EES1C_EEDaS17_S18_EUlS17_E_NS1_11comp_targetILNS1_3genE10ELNS1_11target_archE1200ELNS1_3gpuE4ELNS1_3repE0EEENS1_30default_config_static_selectorELNS0_4arch9wavefront6targetE0EEEvT1_
	.p2align	8
	.type	_ZN7rocprim17ROCPRIM_400000_NS6detail17trampoline_kernelINS0_14default_configENS1_25partition_config_selectorILNS1_17partition_subalgoE8ElNS0_10empty_typeEbEEZZNS1_14partition_implILS5_8ELb0ES3_jPlPS6_PKS6_NS0_5tupleIJS9_S6_EEENSD_IJSA_SA_EEENS0_18inequality_wrapperIZN2at6native12_GLOBAL__N_124unique_dim_cuda_templateIhEESt5tupleIJNSH_6TensorESM_SM_EERKSM_lbbbEUlllE0_EEPmJS6_EEE10hipError_tPvRmT3_T4_T5_T6_T7_T9_mT8_P12ihipStream_tbDpT10_ENKUlT_T0_E_clISt17integral_constantIbLb1EES1C_EEDaS17_S18_EUlS17_E_NS1_11comp_targetILNS1_3genE10ELNS1_11target_archE1200ELNS1_3gpuE4ELNS1_3repE0EEENS1_30default_config_static_selectorELNS0_4arch9wavefront6targetE0EEEvT1_,@function
_ZN7rocprim17ROCPRIM_400000_NS6detail17trampoline_kernelINS0_14default_configENS1_25partition_config_selectorILNS1_17partition_subalgoE8ElNS0_10empty_typeEbEEZZNS1_14partition_implILS5_8ELb0ES3_jPlPS6_PKS6_NS0_5tupleIJS9_S6_EEENSD_IJSA_SA_EEENS0_18inequality_wrapperIZN2at6native12_GLOBAL__N_124unique_dim_cuda_templateIhEESt5tupleIJNSH_6TensorESM_SM_EERKSM_lbbbEUlllE0_EEPmJS6_EEE10hipError_tPvRmT3_T4_T5_T6_T7_T9_mT8_P12ihipStream_tbDpT10_ENKUlT_T0_E_clISt17integral_constantIbLb1EES1C_EEDaS17_S18_EUlS17_E_NS1_11comp_targetILNS1_3genE10ELNS1_11target_archE1200ELNS1_3gpuE4ELNS1_3repE0EEENS1_30default_config_static_selectorELNS0_4arch9wavefront6targetE0EEEvT1_: ; @_ZN7rocprim17ROCPRIM_400000_NS6detail17trampoline_kernelINS0_14default_configENS1_25partition_config_selectorILNS1_17partition_subalgoE8ElNS0_10empty_typeEbEEZZNS1_14partition_implILS5_8ELb0ES3_jPlPS6_PKS6_NS0_5tupleIJS9_S6_EEENSD_IJSA_SA_EEENS0_18inequality_wrapperIZN2at6native12_GLOBAL__N_124unique_dim_cuda_templateIhEESt5tupleIJNSH_6TensorESM_SM_EERKSM_lbbbEUlllE0_EEPmJS6_EEE10hipError_tPvRmT3_T4_T5_T6_T7_T9_mT8_P12ihipStream_tbDpT10_ENKUlT_T0_E_clISt17integral_constantIbLb1EES1C_EEDaS17_S18_EUlS17_E_NS1_11comp_targetILNS1_3genE10ELNS1_11target_archE1200ELNS1_3gpuE4ELNS1_3repE0EEENS1_30default_config_static_selectorELNS0_4arch9wavefront6targetE0EEEvT1_
; %bb.0:
	.section	.rodata,"a",@progbits
	.p2align	6, 0x0
	.amdhsa_kernel _ZN7rocprim17ROCPRIM_400000_NS6detail17trampoline_kernelINS0_14default_configENS1_25partition_config_selectorILNS1_17partition_subalgoE8ElNS0_10empty_typeEbEEZZNS1_14partition_implILS5_8ELb0ES3_jPlPS6_PKS6_NS0_5tupleIJS9_S6_EEENSD_IJSA_SA_EEENS0_18inequality_wrapperIZN2at6native12_GLOBAL__N_124unique_dim_cuda_templateIhEESt5tupleIJNSH_6TensorESM_SM_EERKSM_lbbbEUlllE0_EEPmJS6_EEE10hipError_tPvRmT3_T4_T5_T6_T7_T9_mT8_P12ihipStream_tbDpT10_ENKUlT_T0_E_clISt17integral_constantIbLb1EES1C_EEDaS17_S18_EUlS17_E_NS1_11comp_targetILNS1_3genE10ELNS1_11target_archE1200ELNS1_3gpuE4ELNS1_3repE0EEENS1_30default_config_static_selectorELNS0_4arch9wavefront6targetE0EEEvT1_
		.amdhsa_group_segment_fixed_size 0
		.amdhsa_private_segment_fixed_size 0
		.amdhsa_kernarg_size 136
		.amdhsa_user_sgpr_count 2
		.amdhsa_user_sgpr_dispatch_ptr 0
		.amdhsa_user_sgpr_queue_ptr 0
		.amdhsa_user_sgpr_kernarg_segment_ptr 1
		.amdhsa_user_sgpr_dispatch_id 0
		.amdhsa_user_sgpr_kernarg_preload_length 0
		.amdhsa_user_sgpr_kernarg_preload_offset 0
		.amdhsa_user_sgpr_private_segment_size 0
		.amdhsa_wavefront_size32 1
		.amdhsa_uses_dynamic_stack 0
		.amdhsa_enable_private_segment 0
		.amdhsa_system_sgpr_workgroup_id_x 1
		.amdhsa_system_sgpr_workgroup_id_y 0
		.amdhsa_system_sgpr_workgroup_id_z 0
		.amdhsa_system_sgpr_workgroup_info 0
		.amdhsa_system_vgpr_workitem_id 0
		.amdhsa_next_free_vgpr 1
		.amdhsa_next_free_sgpr 1
		.amdhsa_named_barrier_count 0
		.amdhsa_reserve_vcc 0
		.amdhsa_float_round_mode_32 0
		.amdhsa_float_round_mode_16_64 0
		.amdhsa_float_denorm_mode_32 3
		.amdhsa_float_denorm_mode_16_64 3
		.amdhsa_fp16_overflow 0
		.amdhsa_memory_ordered 1
		.amdhsa_forward_progress 1
		.amdhsa_inst_pref_size 0
		.amdhsa_round_robin_scheduling 0
		.amdhsa_exception_fp_ieee_invalid_op 0
		.amdhsa_exception_fp_denorm_src 0
		.amdhsa_exception_fp_ieee_div_zero 0
		.amdhsa_exception_fp_ieee_overflow 0
		.amdhsa_exception_fp_ieee_underflow 0
		.amdhsa_exception_fp_ieee_inexact 0
		.amdhsa_exception_int_div_zero 0
	.end_amdhsa_kernel
	.section	.text._ZN7rocprim17ROCPRIM_400000_NS6detail17trampoline_kernelINS0_14default_configENS1_25partition_config_selectorILNS1_17partition_subalgoE8ElNS0_10empty_typeEbEEZZNS1_14partition_implILS5_8ELb0ES3_jPlPS6_PKS6_NS0_5tupleIJS9_S6_EEENSD_IJSA_SA_EEENS0_18inequality_wrapperIZN2at6native12_GLOBAL__N_124unique_dim_cuda_templateIhEESt5tupleIJNSH_6TensorESM_SM_EERKSM_lbbbEUlllE0_EEPmJS6_EEE10hipError_tPvRmT3_T4_T5_T6_T7_T9_mT8_P12ihipStream_tbDpT10_ENKUlT_T0_E_clISt17integral_constantIbLb1EES1C_EEDaS17_S18_EUlS17_E_NS1_11comp_targetILNS1_3genE10ELNS1_11target_archE1200ELNS1_3gpuE4ELNS1_3repE0EEENS1_30default_config_static_selectorELNS0_4arch9wavefront6targetE0EEEvT1_,"axG",@progbits,_ZN7rocprim17ROCPRIM_400000_NS6detail17trampoline_kernelINS0_14default_configENS1_25partition_config_selectorILNS1_17partition_subalgoE8ElNS0_10empty_typeEbEEZZNS1_14partition_implILS5_8ELb0ES3_jPlPS6_PKS6_NS0_5tupleIJS9_S6_EEENSD_IJSA_SA_EEENS0_18inequality_wrapperIZN2at6native12_GLOBAL__N_124unique_dim_cuda_templateIhEESt5tupleIJNSH_6TensorESM_SM_EERKSM_lbbbEUlllE0_EEPmJS6_EEE10hipError_tPvRmT3_T4_T5_T6_T7_T9_mT8_P12ihipStream_tbDpT10_ENKUlT_T0_E_clISt17integral_constantIbLb1EES1C_EEDaS17_S18_EUlS17_E_NS1_11comp_targetILNS1_3genE10ELNS1_11target_archE1200ELNS1_3gpuE4ELNS1_3repE0EEENS1_30default_config_static_selectorELNS0_4arch9wavefront6targetE0EEEvT1_,comdat
.Lfunc_end183:
	.size	_ZN7rocprim17ROCPRIM_400000_NS6detail17trampoline_kernelINS0_14default_configENS1_25partition_config_selectorILNS1_17partition_subalgoE8ElNS0_10empty_typeEbEEZZNS1_14partition_implILS5_8ELb0ES3_jPlPS6_PKS6_NS0_5tupleIJS9_S6_EEENSD_IJSA_SA_EEENS0_18inequality_wrapperIZN2at6native12_GLOBAL__N_124unique_dim_cuda_templateIhEESt5tupleIJNSH_6TensorESM_SM_EERKSM_lbbbEUlllE0_EEPmJS6_EEE10hipError_tPvRmT3_T4_T5_T6_T7_T9_mT8_P12ihipStream_tbDpT10_ENKUlT_T0_E_clISt17integral_constantIbLb1EES1C_EEDaS17_S18_EUlS17_E_NS1_11comp_targetILNS1_3genE10ELNS1_11target_archE1200ELNS1_3gpuE4ELNS1_3repE0EEENS1_30default_config_static_selectorELNS0_4arch9wavefront6targetE0EEEvT1_, .Lfunc_end183-_ZN7rocprim17ROCPRIM_400000_NS6detail17trampoline_kernelINS0_14default_configENS1_25partition_config_selectorILNS1_17partition_subalgoE8ElNS0_10empty_typeEbEEZZNS1_14partition_implILS5_8ELb0ES3_jPlPS6_PKS6_NS0_5tupleIJS9_S6_EEENSD_IJSA_SA_EEENS0_18inequality_wrapperIZN2at6native12_GLOBAL__N_124unique_dim_cuda_templateIhEESt5tupleIJNSH_6TensorESM_SM_EERKSM_lbbbEUlllE0_EEPmJS6_EEE10hipError_tPvRmT3_T4_T5_T6_T7_T9_mT8_P12ihipStream_tbDpT10_ENKUlT_T0_E_clISt17integral_constantIbLb1EES1C_EEDaS17_S18_EUlS17_E_NS1_11comp_targetILNS1_3genE10ELNS1_11target_archE1200ELNS1_3gpuE4ELNS1_3repE0EEENS1_30default_config_static_selectorELNS0_4arch9wavefront6targetE0EEEvT1_
                                        ; -- End function
	.set _ZN7rocprim17ROCPRIM_400000_NS6detail17trampoline_kernelINS0_14default_configENS1_25partition_config_selectorILNS1_17partition_subalgoE8ElNS0_10empty_typeEbEEZZNS1_14partition_implILS5_8ELb0ES3_jPlPS6_PKS6_NS0_5tupleIJS9_S6_EEENSD_IJSA_SA_EEENS0_18inequality_wrapperIZN2at6native12_GLOBAL__N_124unique_dim_cuda_templateIhEESt5tupleIJNSH_6TensorESM_SM_EERKSM_lbbbEUlllE0_EEPmJS6_EEE10hipError_tPvRmT3_T4_T5_T6_T7_T9_mT8_P12ihipStream_tbDpT10_ENKUlT_T0_E_clISt17integral_constantIbLb1EES1C_EEDaS17_S18_EUlS17_E_NS1_11comp_targetILNS1_3genE10ELNS1_11target_archE1200ELNS1_3gpuE4ELNS1_3repE0EEENS1_30default_config_static_selectorELNS0_4arch9wavefront6targetE0EEEvT1_.num_vgpr, 0
	.set _ZN7rocprim17ROCPRIM_400000_NS6detail17trampoline_kernelINS0_14default_configENS1_25partition_config_selectorILNS1_17partition_subalgoE8ElNS0_10empty_typeEbEEZZNS1_14partition_implILS5_8ELb0ES3_jPlPS6_PKS6_NS0_5tupleIJS9_S6_EEENSD_IJSA_SA_EEENS0_18inequality_wrapperIZN2at6native12_GLOBAL__N_124unique_dim_cuda_templateIhEESt5tupleIJNSH_6TensorESM_SM_EERKSM_lbbbEUlllE0_EEPmJS6_EEE10hipError_tPvRmT3_T4_T5_T6_T7_T9_mT8_P12ihipStream_tbDpT10_ENKUlT_T0_E_clISt17integral_constantIbLb1EES1C_EEDaS17_S18_EUlS17_E_NS1_11comp_targetILNS1_3genE10ELNS1_11target_archE1200ELNS1_3gpuE4ELNS1_3repE0EEENS1_30default_config_static_selectorELNS0_4arch9wavefront6targetE0EEEvT1_.num_agpr, 0
	.set _ZN7rocprim17ROCPRIM_400000_NS6detail17trampoline_kernelINS0_14default_configENS1_25partition_config_selectorILNS1_17partition_subalgoE8ElNS0_10empty_typeEbEEZZNS1_14partition_implILS5_8ELb0ES3_jPlPS6_PKS6_NS0_5tupleIJS9_S6_EEENSD_IJSA_SA_EEENS0_18inequality_wrapperIZN2at6native12_GLOBAL__N_124unique_dim_cuda_templateIhEESt5tupleIJNSH_6TensorESM_SM_EERKSM_lbbbEUlllE0_EEPmJS6_EEE10hipError_tPvRmT3_T4_T5_T6_T7_T9_mT8_P12ihipStream_tbDpT10_ENKUlT_T0_E_clISt17integral_constantIbLb1EES1C_EEDaS17_S18_EUlS17_E_NS1_11comp_targetILNS1_3genE10ELNS1_11target_archE1200ELNS1_3gpuE4ELNS1_3repE0EEENS1_30default_config_static_selectorELNS0_4arch9wavefront6targetE0EEEvT1_.numbered_sgpr, 0
	.set _ZN7rocprim17ROCPRIM_400000_NS6detail17trampoline_kernelINS0_14default_configENS1_25partition_config_selectorILNS1_17partition_subalgoE8ElNS0_10empty_typeEbEEZZNS1_14partition_implILS5_8ELb0ES3_jPlPS6_PKS6_NS0_5tupleIJS9_S6_EEENSD_IJSA_SA_EEENS0_18inequality_wrapperIZN2at6native12_GLOBAL__N_124unique_dim_cuda_templateIhEESt5tupleIJNSH_6TensorESM_SM_EERKSM_lbbbEUlllE0_EEPmJS6_EEE10hipError_tPvRmT3_T4_T5_T6_T7_T9_mT8_P12ihipStream_tbDpT10_ENKUlT_T0_E_clISt17integral_constantIbLb1EES1C_EEDaS17_S18_EUlS17_E_NS1_11comp_targetILNS1_3genE10ELNS1_11target_archE1200ELNS1_3gpuE4ELNS1_3repE0EEENS1_30default_config_static_selectorELNS0_4arch9wavefront6targetE0EEEvT1_.num_named_barrier, 0
	.set _ZN7rocprim17ROCPRIM_400000_NS6detail17trampoline_kernelINS0_14default_configENS1_25partition_config_selectorILNS1_17partition_subalgoE8ElNS0_10empty_typeEbEEZZNS1_14partition_implILS5_8ELb0ES3_jPlPS6_PKS6_NS0_5tupleIJS9_S6_EEENSD_IJSA_SA_EEENS0_18inequality_wrapperIZN2at6native12_GLOBAL__N_124unique_dim_cuda_templateIhEESt5tupleIJNSH_6TensorESM_SM_EERKSM_lbbbEUlllE0_EEPmJS6_EEE10hipError_tPvRmT3_T4_T5_T6_T7_T9_mT8_P12ihipStream_tbDpT10_ENKUlT_T0_E_clISt17integral_constantIbLb1EES1C_EEDaS17_S18_EUlS17_E_NS1_11comp_targetILNS1_3genE10ELNS1_11target_archE1200ELNS1_3gpuE4ELNS1_3repE0EEENS1_30default_config_static_selectorELNS0_4arch9wavefront6targetE0EEEvT1_.private_seg_size, 0
	.set _ZN7rocprim17ROCPRIM_400000_NS6detail17trampoline_kernelINS0_14default_configENS1_25partition_config_selectorILNS1_17partition_subalgoE8ElNS0_10empty_typeEbEEZZNS1_14partition_implILS5_8ELb0ES3_jPlPS6_PKS6_NS0_5tupleIJS9_S6_EEENSD_IJSA_SA_EEENS0_18inequality_wrapperIZN2at6native12_GLOBAL__N_124unique_dim_cuda_templateIhEESt5tupleIJNSH_6TensorESM_SM_EERKSM_lbbbEUlllE0_EEPmJS6_EEE10hipError_tPvRmT3_T4_T5_T6_T7_T9_mT8_P12ihipStream_tbDpT10_ENKUlT_T0_E_clISt17integral_constantIbLb1EES1C_EEDaS17_S18_EUlS17_E_NS1_11comp_targetILNS1_3genE10ELNS1_11target_archE1200ELNS1_3gpuE4ELNS1_3repE0EEENS1_30default_config_static_selectorELNS0_4arch9wavefront6targetE0EEEvT1_.uses_vcc, 0
	.set _ZN7rocprim17ROCPRIM_400000_NS6detail17trampoline_kernelINS0_14default_configENS1_25partition_config_selectorILNS1_17partition_subalgoE8ElNS0_10empty_typeEbEEZZNS1_14partition_implILS5_8ELb0ES3_jPlPS6_PKS6_NS0_5tupleIJS9_S6_EEENSD_IJSA_SA_EEENS0_18inequality_wrapperIZN2at6native12_GLOBAL__N_124unique_dim_cuda_templateIhEESt5tupleIJNSH_6TensorESM_SM_EERKSM_lbbbEUlllE0_EEPmJS6_EEE10hipError_tPvRmT3_T4_T5_T6_T7_T9_mT8_P12ihipStream_tbDpT10_ENKUlT_T0_E_clISt17integral_constantIbLb1EES1C_EEDaS17_S18_EUlS17_E_NS1_11comp_targetILNS1_3genE10ELNS1_11target_archE1200ELNS1_3gpuE4ELNS1_3repE0EEENS1_30default_config_static_selectorELNS0_4arch9wavefront6targetE0EEEvT1_.uses_flat_scratch, 0
	.set _ZN7rocprim17ROCPRIM_400000_NS6detail17trampoline_kernelINS0_14default_configENS1_25partition_config_selectorILNS1_17partition_subalgoE8ElNS0_10empty_typeEbEEZZNS1_14partition_implILS5_8ELb0ES3_jPlPS6_PKS6_NS0_5tupleIJS9_S6_EEENSD_IJSA_SA_EEENS0_18inequality_wrapperIZN2at6native12_GLOBAL__N_124unique_dim_cuda_templateIhEESt5tupleIJNSH_6TensorESM_SM_EERKSM_lbbbEUlllE0_EEPmJS6_EEE10hipError_tPvRmT3_T4_T5_T6_T7_T9_mT8_P12ihipStream_tbDpT10_ENKUlT_T0_E_clISt17integral_constantIbLb1EES1C_EEDaS17_S18_EUlS17_E_NS1_11comp_targetILNS1_3genE10ELNS1_11target_archE1200ELNS1_3gpuE4ELNS1_3repE0EEENS1_30default_config_static_selectorELNS0_4arch9wavefront6targetE0EEEvT1_.has_dyn_sized_stack, 0
	.set _ZN7rocprim17ROCPRIM_400000_NS6detail17trampoline_kernelINS0_14default_configENS1_25partition_config_selectorILNS1_17partition_subalgoE8ElNS0_10empty_typeEbEEZZNS1_14partition_implILS5_8ELb0ES3_jPlPS6_PKS6_NS0_5tupleIJS9_S6_EEENSD_IJSA_SA_EEENS0_18inequality_wrapperIZN2at6native12_GLOBAL__N_124unique_dim_cuda_templateIhEESt5tupleIJNSH_6TensorESM_SM_EERKSM_lbbbEUlllE0_EEPmJS6_EEE10hipError_tPvRmT3_T4_T5_T6_T7_T9_mT8_P12ihipStream_tbDpT10_ENKUlT_T0_E_clISt17integral_constantIbLb1EES1C_EEDaS17_S18_EUlS17_E_NS1_11comp_targetILNS1_3genE10ELNS1_11target_archE1200ELNS1_3gpuE4ELNS1_3repE0EEENS1_30default_config_static_selectorELNS0_4arch9wavefront6targetE0EEEvT1_.has_recursion, 0
	.set _ZN7rocprim17ROCPRIM_400000_NS6detail17trampoline_kernelINS0_14default_configENS1_25partition_config_selectorILNS1_17partition_subalgoE8ElNS0_10empty_typeEbEEZZNS1_14partition_implILS5_8ELb0ES3_jPlPS6_PKS6_NS0_5tupleIJS9_S6_EEENSD_IJSA_SA_EEENS0_18inequality_wrapperIZN2at6native12_GLOBAL__N_124unique_dim_cuda_templateIhEESt5tupleIJNSH_6TensorESM_SM_EERKSM_lbbbEUlllE0_EEPmJS6_EEE10hipError_tPvRmT3_T4_T5_T6_T7_T9_mT8_P12ihipStream_tbDpT10_ENKUlT_T0_E_clISt17integral_constantIbLb1EES1C_EEDaS17_S18_EUlS17_E_NS1_11comp_targetILNS1_3genE10ELNS1_11target_archE1200ELNS1_3gpuE4ELNS1_3repE0EEENS1_30default_config_static_selectorELNS0_4arch9wavefront6targetE0EEEvT1_.has_indirect_call, 0
	.section	.AMDGPU.csdata,"",@progbits
; Kernel info:
; codeLenInByte = 0
; TotalNumSgprs: 0
; NumVgprs: 0
; ScratchSize: 0
; MemoryBound: 0
; FloatMode: 240
; IeeeMode: 1
; LDSByteSize: 0 bytes/workgroup (compile time only)
; SGPRBlocks: 0
; VGPRBlocks: 0
; NumSGPRsForWavesPerEU: 1
; NumVGPRsForWavesPerEU: 1
; NamedBarCnt: 0
; Occupancy: 16
; WaveLimiterHint : 0
; COMPUTE_PGM_RSRC2:SCRATCH_EN: 0
; COMPUTE_PGM_RSRC2:USER_SGPR: 2
; COMPUTE_PGM_RSRC2:TRAP_HANDLER: 0
; COMPUTE_PGM_RSRC2:TGID_X_EN: 1
; COMPUTE_PGM_RSRC2:TGID_Y_EN: 0
; COMPUTE_PGM_RSRC2:TGID_Z_EN: 0
; COMPUTE_PGM_RSRC2:TIDIG_COMP_CNT: 0
	.section	.text._ZN7rocprim17ROCPRIM_400000_NS6detail17trampoline_kernelINS0_14default_configENS1_25partition_config_selectorILNS1_17partition_subalgoE8ElNS0_10empty_typeEbEEZZNS1_14partition_implILS5_8ELb0ES3_jPlPS6_PKS6_NS0_5tupleIJS9_S6_EEENSD_IJSA_SA_EEENS0_18inequality_wrapperIZN2at6native12_GLOBAL__N_124unique_dim_cuda_templateIhEESt5tupleIJNSH_6TensorESM_SM_EERKSM_lbbbEUlllE0_EEPmJS6_EEE10hipError_tPvRmT3_T4_T5_T6_T7_T9_mT8_P12ihipStream_tbDpT10_ENKUlT_T0_E_clISt17integral_constantIbLb1EES1C_EEDaS17_S18_EUlS17_E_NS1_11comp_targetILNS1_3genE9ELNS1_11target_archE1100ELNS1_3gpuE3ELNS1_3repE0EEENS1_30default_config_static_selectorELNS0_4arch9wavefront6targetE0EEEvT1_,"axG",@progbits,_ZN7rocprim17ROCPRIM_400000_NS6detail17trampoline_kernelINS0_14default_configENS1_25partition_config_selectorILNS1_17partition_subalgoE8ElNS0_10empty_typeEbEEZZNS1_14partition_implILS5_8ELb0ES3_jPlPS6_PKS6_NS0_5tupleIJS9_S6_EEENSD_IJSA_SA_EEENS0_18inequality_wrapperIZN2at6native12_GLOBAL__N_124unique_dim_cuda_templateIhEESt5tupleIJNSH_6TensorESM_SM_EERKSM_lbbbEUlllE0_EEPmJS6_EEE10hipError_tPvRmT3_T4_T5_T6_T7_T9_mT8_P12ihipStream_tbDpT10_ENKUlT_T0_E_clISt17integral_constantIbLb1EES1C_EEDaS17_S18_EUlS17_E_NS1_11comp_targetILNS1_3genE9ELNS1_11target_archE1100ELNS1_3gpuE3ELNS1_3repE0EEENS1_30default_config_static_selectorELNS0_4arch9wavefront6targetE0EEEvT1_,comdat
	.globl	_ZN7rocprim17ROCPRIM_400000_NS6detail17trampoline_kernelINS0_14default_configENS1_25partition_config_selectorILNS1_17partition_subalgoE8ElNS0_10empty_typeEbEEZZNS1_14partition_implILS5_8ELb0ES3_jPlPS6_PKS6_NS0_5tupleIJS9_S6_EEENSD_IJSA_SA_EEENS0_18inequality_wrapperIZN2at6native12_GLOBAL__N_124unique_dim_cuda_templateIhEESt5tupleIJNSH_6TensorESM_SM_EERKSM_lbbbEUlllE0_EEPmJS6_EEE10hipError_tPvRmT3_T4_T5_T6_T7_T9_mT8_P12ihipStream_tbDpT10_ENKUlT_T0_E_clISt17integral_constantIbLb1EES1C_EEDaS17_S18_EUlS17_E_NS1_11comp_targetILNS1_3genE9ELNS1_11target_archE1100ELNS1_3gpuE3ELNS1_3repE0EEENS1_30default_config_static_selectorELNS0_4arch9wavefront6targetE0EEEvT1_ ; -- Begin function _ZN7rocprim17ROCPRIM_400000_NS6detail17trampoline_kernelINS0_14default_configENS1_25partition_config_selectorILNS1_17partition_subalgoE8ElNS0_10empty_typeEbEEZZNS1_14partition_implILS5_8ELb0ES3_jPlPS6_PKS6_NS0_5tupleIJS9_S6_EEENSD_IJSA_SA_EEENS0_18inequality_wrapperIZN2at6native12_GLOBAL__N_124unique_dim_cuda_templateIhEESt5tupleIJNSH_6TensorESM_SM_EERKSM_lbbbEUlllE0_EEPmJS6_EEE10hipError_tPvRmT3_T4_T5_T6_T7_T9_mT8_P12ihipStream_tbDpT10_ENKUlT_T0_E_clISt17integral_constantIbLb1EES1C_EEDaS17_S18_EUlS17_E_NS1_11comp_targetILNS1_3genE9ELNS1_11target_archE1100ELNS1_3gpuE3ELNS1_3repE0EEENS1_30default_config_static_selectorELNS0_4arch9wavefront6targetE0EEEvT1_
	.p2align	8
	.type	_ZN7rocprim17ROCPRIM_400000_NS6detail17trampoline_kernelINS0_14default_configENS1_25partition_config_selectorILNS1_17partition_subalgoE8ElNS0_10empty_typeEbEEZZNS1_14partition_implILS5_8ELb0ES3_jPlPS6_PKS6_NS0_5tupleIJS9_S6_EEENSD_IJSA_SA_EEENS0_18inequality_wrapperIZN2at6native12_GLOBAL__N_124unique_dim_cuda_templateIhEESt5tupleIJNSH_6TensorESM_SM_EERKSM_lbbbEUlllE0_EEPmJS6_EEE10hipError_tPvRmT3_T4_T5_T6_T7_T9_mT8_P12ihipStream_tbDpT10_ENKUlT_T0_E_clISt17integral_constantIbLb1EES1C_EEDaS17_S18_EUlS17_E_NS1_11comp_targetILNS1_3genE9ELNS1_11target_archE1100ELNS1_3gpuE3ELNS1_3repE0EEENS1_30default_config_static_selectorELNS0_4arch9wavefront6targetE0EEEvT1_,@function
_ZN7rocprim17ROCPRIM_400000_NS6detail17trampoline_kernelINS0_14default_configENS1_25partition_config_selectorILNS1_17partition_subalgoE8ElNS0_10empty_typeEbEEZZNS1_14partition_implILS5_8ELb0ES3_jPlPS6_PKS6_NS0_5tupleIJS9_S6_EEENSD_IJSA_SA_EEENS0_18inequality_wrapperIZN2at6native12_GLOBAL__N_124unique_dim_cuda_templateIhEESt5tupleIJNSH_6TensorESM_SM_EERKSM_lbbbEUlllE0_EEPmJS6_EEE10hipError_tPvRmT3_T4_T5_T6_T7_T9_mT8_P12ihipStream_tbDpT10_ENKUlT_T0_E_clISt17integral_constantIbLb1EES1C_EEDaS17_S18_EUlS17_E_NS1_11comp_targetILNS1_3genE9ELNS1_11target_archE1100ELNS1_3gpuE3ELNS1_3repE0EEENS1_30default_config_static_selectorELNS0_4arch9wavefront6targetE0EEEvT1_: ; @_ZN7rocprim17ROCPRIM_400000_NS6detail17trampoline_kernelINS0_14default_configENS1_25partition_config_selectorILNS1_17partition_subalgoE8ElNS0_10empty_typeEbEEZZNS1_14partition_implILS5_8ELb0ES3_jPlPS6_PKS6_NS0_5tupleIJS9_S6_EEENSD_IJSA_SA_EEENS0_18inequality_wrapperIZN2at6native12_GLOBAL__N_124unique_dim_cuda_templateIhEESt5tupleIJNSH_6TensorESM_SM_EERKSM_lbbbEUlllE0_EEPmJS6_EEE10hipError_tPvRmT3_T4_T5_T6_T7_T9_mT8_P12ihipStream_tbDpT10_ENKUlT_T0_E_clISt17integral_constantIbLb1EES1C_EEDaS17_S18_EUlS17_E_NS1_11comp_targetILNS1_3genE9ELNS1_11target_archE1100ELNS1_3gpuE3ELNS1_3repE0EEENS1_30default_config_static_selectorELNS0_4arch9wavefront6targetE0EEEvT1_
; %bb.0:
	.section	.rodata,"a",@progbits
	.p2align	6, 0x0
	.amdhsa_kernel _ZN7rocprim17ROCPRIM_400000_NS6detail17trampoline_kernelINS0_14default_configENS1_25partition_config_selectorILNS1_17partition_subalgoE8ElNS0_10empty_typeEbEEZZNS1_14partition_implILS5_8ELb0ES3_jPlPS6_PKS6_NS0_5tupleIJS9_S6_EEENSD_IJSA_SA_EEENS0_18inequality_wrapperIZN2at6native12_GLOBAL__N_124unique_dim_cuda_templateIhEESt5tupleIJNSH_6TensorESM_SM_EERKSM_lbbbEUlllE0_EEPmJS6_EEE10hipError_tPvRmT3_T4_T5_T6_T7_T9_mT8_P12ihipStream_tbDpT10_ENKUlT_T0_E_clISt17integral_constantIbLb1EES1C_EEDaS17_S18_EUlS17_E_NS1_11comp_targetILNS1_3genE9ELNS1_11target_archE1100ELNS1_3gpuE3ELNS1_3repE0EEENS1_30default_config_static_selectorELNS0_4arch9wavefront6targetE0EEEvT1_
		.amdhsa_group_segment_fixed_size 0
		.amdhsa_private_segment_fixed_size 0
		.amdhsa_kernarg_size 136
		.amdhsa_user_sgpr_count 2
		.amdhsa_user_sgpr_dispatch_ptr 0
		.amdhsa_user_sgpr_queue_ptr 0
		.amdhsa_user_sgpr_kernarg_segment_ptr 1
		.amdhsa_user_sgpr_dispatch_id 0
		.amdhsa_user_sgpr_kernarg_preload_length 0
		.amdhsa_user_sgpr_kernarg_preload_offset 0
		.amdhsa_user_sgpr_private_segment_size 0
		.amdhsa_wavefront_size32 1
		.amdhsa_uses_dynamic_stack 0
		.amdhsa_enable_private_segment 0
		.amdhsa_system_sgpr_workgroup_id_x 1
		.amdhsa_system_sgpr_workgroup_id_y 0
		.amdhsa_system_sgpr_workgroup_id_z 0
		.amdhsa_system_sgpr_workgroup_info 0
		.amdhsa_system_vgpr_workitem_id 0
		.amdhsa_next_free_vgpr 1
		.amdhsa_next_free_sgpr 1
		.amdhsa_named_barrier_count 0
		.amdhsa_reserve_vcc 0
		.amdhsa_float_round_mode_32 0
		.amdhsa_float_round_mode_16_64 0
		.amdhsa_float_denorm_mode_32 3
		.amdhsa_float_denorm_mode_16_64 3
		.amdhsa_fp16_overflow 0
		.amdhsa_memory_ordered 1
		.amdhsa_forward_progress 1
		.amdhsa_inst_pref_size 0
		.amdhsa_round_robin_scheduling 0
		.amdhsa_exception_fp_ieee_invalid_op 0
		.amdhsa_exception_fp_denorm_src 0
		.amdhsa_exception_fp_ieee_div_zero 0
		.amdhsa_exception_fp_ieee_overflow 0
		.amdhsa_exception_fp_ieee_underflow 0
		.amdhsa_exception_fp_ieee_inexact 0
		.amdhsa_exception_int_div_zero 0
	.end_amdhsa_kernel
	.section	.text._ZN7rocprim17ROCPRIM_400000_NS6detail17trampoline_kernelINS0_14default_configENS1_25partition_config_selectorILNS1_17partition_subalgoE8ElNS0_10empty_typeEbEEZZNS1_14partition_implILS5_8ELb0ES3_jPlPS6_PKS6_NS0_5tupleIJS9_S6_EEENSD_IJSA_SA_EEENS0_18inequality_wrapperIZN2at6native12_GLOBAL__N_124unique_dim_cuda_templateIhEESt5tupleIJNSH_6TensorESM_SM_EERKSM_lbbbEUlllE0_EEPmJS6_EEE10hipError_tPvRmT3_T4_T5_T6_T7_T9_mT8_P12ihipStream_tbDpT10_ENKUlT_T0_E_clISt17integral_constantIbLb1EES1C_EEDaS17_S18_EUlS17_E_NS1_11comp_targetILNS1_3genE9ELNS1_11target_archE1100ELNS1_3gpuE3ELNS1_3repE0EEENS1_30default_config_static_selectorELNS0_4arch9wavefront6targetE0EEEvT1_,"axG",@progbits,_ZN7rocprim17ROCPRIM_400000_NS6detail17trampoline_kernelINS0_14default_configENS1_25partition_config_selectorILNS1_17partition_subalgoE8ElNS0_10empty_typeEbEEZZNS1_14partition_implILS5_8ELb0ES3_jPlPS6_PKS6_NS0_5tupleIJS9_S6_EEENSD_IJSA_SA_EEENS0_18inequality_wrapperIZN2at6native12_GLOBAL__N_124unique_dim_cuda_templateIhEESt5tupleIJNSH_6TensorESM_SM_EERKSM_lbbbEUlllE0_EEPmJS6_EEE10hipError_tPvRmT3_T4_T5_T6_T7_T9_mT8_P12ihipStream_tbDpT10_ENKUlT_T0_E_clISt17integral_constantIbLb1EES1C_EEDaS17_S18_EUlS17_E_NS1_11comp_targetILNS1_3genE9ELNS1_11target_archE1100ELNS1_3gpuE3ELNS1_3repE0EEENS1_30default_config_static_selectorELNS0_4arch9wavefront6targetE0EEEvT1_,comdat
.Lfunc_end184:
	.size	_ZN7rocprim17ROCPRIM_400000_NS6detail17trampoline_kernelINS0_14default_configENS1_25partition_config_selectorILNS1_17partition_subalgoE8ElNS0_10empty_typeEbEEZZNS1_14partition_implILS5_8ELb0ES3_jPlPS6_PKS6_NS0_5tupleIJS9_S6_EEENSD_IJSA_SA_EEENS0_18inequality_wrapperIZN2at6native12_GLOBAL__N_124unique_dim_cuda_templateIhEESt5tupleIJNSH_6TensorESM_SM_EERKSM_lbbbEUlllE0_EEPmJS6_EEE10hipError_tPvRmT3_T4_T5_T6_T7_T9_mT8_P12ihipStream_tbDpT10_ENKUlT_T0_E_clISt17integral_constantIbLb1EES1C_EEDaS17_S18_EUlS17_E_NS1_11comp_targetILNS1_3genE9ELNS1_11target_archE1100ELNS1_3gpuE3ELNS1_3repE0EEENS1_30default_config_static_selectorELNS0_4arch9wavefront6targetE0EEEvT1_, .Lfunc_end184-_ZN7rocprim17ROCPRIM_400000_NS6detail17trampoline_kernelINS0_14default_configENS1_25partition_config_selectorILNS1_17partition_subalgoE8ElNS0_10empty_typeEbEEZZNS1_14partition_implILS5_8ELb0ES3_jPlPS6_PKS6_NS0_5tupleIJS9_S6_EEENSD_IJSA_SA_EEENS0_18inequality_wrapperIZN2at6native12_GLOBAL__N_124unique_dim_cuda_templateIhEESt5tupleIJNSH_6TensorESM_SM_EERKSM_lbbbEUlllE0_EEPmJS6_EEE10hipError_tPvRmT3_T4_T5_T6_T7_T9_mT8_P12ihipStream_tbDpT10_ENKUlT_T0_E_clISt17integral_constantIbLb1EES1C_EEDaS17_S18_EUlS17_E_NS1_11comp_targetILNS1_3genE9ELNS1_11target_archE1100ELNS1_3gpuE3ELNS1_3repE0EEENS1_30default_config_static_selectorELNS0_4arch9wavefront6targetE0EEEvT1_
                                        ; -- End function
	.set _ZN7rocprim17ROCPRIM_400000_NS6detail17trampoline_kernelINS0_14default_configENS1_25partition_config_selectorILNS1_17partition_subalgoE8ElNS0_10empty_typeEbEEZZNS1_14partition_implILS5_8ELb0ES3_jPlPS6_PKS6_NS0_5tupleIJS9_S6_EEENSD_IJSA_SA_EEENS0_18inequality_wrapperIZN2at6native12_GLOBAL__N_124unique_dim_cuda_templateIhEESt5tupleIJNSH_6TensorESM_SM_EERKSM_lbbbEUlllE0_EEPmJS6_EEE10hipError_tPvRmT3_T4_T5_T6_T7_T9_mT8_P12ihipStream_tbDpT10_ENKUlT_T0_E_clISt17integral_constantIbLb1EES1C_EEDaS17_S18_EUlS17_E_NS1_11comp_targetILNS1_3genE9ELNS1_11target_archE1100ELNS1_3gpuE3ELNS1_3repE0EEENS1_30default_config_static_selectorELNS0_4arch9wavefront6targetE0EEEvT1_.num_vgpr, 0
	.set _ZN7rocprim17ROCPRIM_400000_NS6detail17trampoline_kernelINS0_14default_configENS1_25partition_config_selectorILNS1_17partition_subalgoE8ElNS0_10empty_typeEbEEZZNS1_14partition_implILS5_8ELb0ES3_jPlPS6_PKS6_NS0_5tupleIJS9_S6_EEENSD_IJSA_SA_EEENS0_18inequality_wrapperIZN2at6native12_GLOBAL__N_124unique_dim_cuda_templateIhEESt5tupleIJNSH_6TensorESM_SM_EERKSM_lbbbEUlllE0_EEPmJS6_EEE10hipError_tPvRmT3_T4_T5_T6_T7_T9_mT8_P12ihipStream_tbDpT10_ENKUlT_T0_E_clISt17integral_constantIbLb1EES1C_EEDaS17_S18_EUlS17_E_NS1_11comp_targetILNS1_3genE9ELNS1_11target_archE1100ELNS1_3gpuE3ELNS1_3repE0EEENS1_30default_config_static_selectorELNS0_4arch9wavefront6targetE0EEEvT1_.num_agpr, 0
	.set _ZN7rocprim17ROCPRIM_400000_NS6detail17trampoline_kernelINS0_14default_configENS1_25partition_config_selectorILNS1_17partition_subalgoE8ElNS0_10empty_typeEbEEZZNS1_14partition_implILS5_8ELb0ES3_jPlPS6_PKS6_NS0_5tupleIJS9_S6_EEENSD_IJSA_SA_EEENS0_18inequality_wrapperIZN2at6native12_GLOBAL__N_124unique_dim_cuda_templateIhEESt5tupleIJNSH_6TensorESM_SM_EERKSM_lbbbEUlllE0_EEPmJS6_EEE10hipError_tPvRmT3_T4_T5_T6_T7_T9_mT8_P12ihipStream_tbDpT10_ENKUlT_T0_E_clISt17integral_constantIbLb1EES1C_EEDaS17_S18_EUlS17_E_NS1_11comp_targetILNS1_3genE9ELNS1_11target_archE1100ELNS1_3gpuE3ELNS1_3repE0EEENS1_30default_config_static_selectorELNS0_4arch9wavefront6targetE0EEEvT1_.numbered_sgpr, 0
	.set _ZN7rocprim17ROCPRIM_400000_NS6detail17trampoline_kernelINS0_14default_configENS1_25partition_config_selectorILNS1_17partition_subalgoE8ElNS0_10empty_typeEbEEZZNS1_14partition_implILS5_8ELb0ES3_jPlPS6_PKS6_NS0_5tupleIJS9_S6_EEENSD_IJSA_SA_EEENS0_18inequality_wrapperIZN2at6native12_GLOBAL__N_124unique_dim_cuda_templateIhEESt5tupleIJNSH_6TensorESM_SM_EERKSM_lbbbEUlllE0_EEPmJS6_EEE10hipError_tPvRmT3_T4_T5_T6_T7_T9_mT8_P12ihipStream_tbDpT10_ENKUlT_T0_E_clISt17integral_constantIbLb1EES1C_EEDaS17_S18_EUlS17_E_NS1_11comp_targetILNS1_3genE9ELNS1_11target_archE1100ELNS1_3gpuE3ELNS1_3repE0EEENS1_30default_config_static_selectorELNS0_4arch9wavefront6targetE0EEEvT1_.num_named_barrier, 0
	.set _ZN7rocprim17ROCPRIM_400000_NS6detail17trampoline_kernelINS0_14default_configENS1_25partition_config_selectorILNS1_17partition_subalgoE8ElNS0_10empty_typeEbEEZZNS1_14partition_implILS5_8ELb0ES3_jPlPS6_PKS6_NS0_5tupleIJS9_S6_EEENSD_IJSA_SA_EEENS0_18inequality_wrapperIZN2at6native12_GLOBAL__N_124unique_dim_cuda_templateIhEESt5tupleIJNSH_6TensorESM_SM_EERKSM_lbbbEUlllE0_EEPmJS6_EEE10hipError_tPvRmT3_T4_T5_T6_T7_T9_mT8_P12ihipStream_tbDpT10_ENKUlT_T0_E_clISt17integral_constantIbLb1EES1C_EEDaS17_S18_EUlS17_E_NS1_11comp_targetILNS1_3genE9ELNS1_11target_archE1100ELNS1_3gpuE3ELNS1_3repE0EEENS1_30default_config_static_selectorELNS0_4arch9wavefront6targetE0EEEvT1_.private_seg_size, 0
	.set _ZN7rocprim17ROCPRIM_400000_NS6detail17trampoline_kernelINS0_14default_configENS1_25partition_config_selectorILNS1_17partition_subalgoE8ElNS0_10empty_typeEbEEZZNS1_14partition_implILS5_8ELb0ES3_jPlPS6_PKS6_NS0_5tupleIJS9_S6_EEENSD_IJSA_SA_EEENS0_18inequality_wrapperIZN2at6native12_GLOBAL__N_124unique_dim_cuda_templateIhEESt5tupleIJNSH_6TensorESM_SM_EERKSM_lbbbEUlllE0_EEPmJS6_EEE10hipError_tPvRmT3_T4_T5_T6_T7_T9_mT8_P12ihipStream_tbDpT10_ENKUlT_T0_E_clISt17integral_constantIbLb1EES1C_EEDaS17_S18_EUlS17_E_NS1_11comp_targetILNS1_3genE9ELNS1_11target_archE1100ELNS1_3gpuE3ELNS1_3repE0EEENS1_30default_config_static_selectorELNS0_4arch9wavefront6targetE0EEEvT1_.uses_vcc, 0
	.set _ZN7rocprim17ROCPRIM_400000_NS6detail17trampoline_kernelINS0_14default_configENS1_25partition_config_selectorILNS1_17partition_subalgoE8ElNS0_10empty_typeEbEEZZNS1_14partition_implILS5_8ELb0ES3_jPlPS6_PKS6_NS0_5tupleIJS9_S6_EEENSD_IJSA_SA_EEENS0_18inequality_wrapperIZN2at6native12_GLOBAL__N_124unique_dim_cuda_templateIhEESt5tupleIJNSH_6TensorESM_SM_EERKSM_lbbbEUlllE0_EEPmJS6_EEE10hipError_tPvRmT3_T4_T5_T6_T7_T9_mT8_P12ihipStream_tbDpT10_ENKUlT_T0_E_clISt17integral_constantIbLb1EES1C_EEDaS17_S18_EUlS17_E_NS1_11comp_targetILNS1_3genE9ELNS1_11target_archE1100ELNS1_3gpuE3ELNS1_3repE0EEENS1_30default_config_static_selectorELNS0_4arch9wavefront6targetE0EEEvT1_.uses_flat_scratch, 0
	.set _ZN7rocprim17ROCPRIM_400000_NS6detail17trampoline_kernelINS0_14default_configENS1_25partition_config_selectorILNS1_17partition_subalgoE8ElNS0_10empty_typeEbEEZZNS1_14partition_implILS5_8ELb0ES3_jPlPS6_PKS6_NS0_5tupleIJS9_S6_EEENSD_IJSA_SA_EEENS0_18inequality_wrapperIZN2at6native12_GLOBAL__N_124unique_dim_cuda_templateIhEESt5tupleIJNSH_6TensorESM_SM_EERKSM_lbbbEUlllE0_EEPmJS6_EEE10hipError_tPvRmT3_T4_T5_T6_T7_T9_mT8_P12ihipStream_tbDpT10_ENKUlT_T0_E_clISt17integral_constantIbLb1EES1C_EEDaS17_S18_EUlS17_E_NS1_11comp_targetILNS1_3genE9ELNS1_11target_archE1100ELNS1_3gpuE3ELNS1_3repE0EEENS1_30default_config_static_selectorELNS0_4arch9wavefront6targetE0EEEvT1_.has_dyn_sized_stack, 0
	.set _ZN7rocprim17ROCPRIM_400000_NS6detail17trampoline_kernelINS0_14default_configENS1_25partition_config_selectorILNS1_17partition_subalgoE8ElNS0_10empty_typeEbEEZZNS1_14partition_implILS5_8ELb0ES3_jPlPS6_PKS6_NS0_5tupleIJS9_S6_EEENSD_IJSA_SA_EEENS0_18inequality_wrapperIZN2at6native12_GLOBAL__N_124unique_dim_cuda_templateIhEESt5tupleIJNSH_6TensorESM_SM_EERKSM_lbbbEUlllE0_EEPmJS6_EEE10hipError_tPvRmT3_T4_T5_T6_T7_T9_mT8_P12ihipStream_tbDpT10_ENKUlT_T0_E_clISt17integral_constantIbLb1EES1C_EEDaS17_S18_EUlS17_E_NS1_11comp_targetILNS1_3genE9ELNS1_11target_archE1100ELNS1_3gpuE3ELNS1_3repE0EEENS1_30default_config_static_selectorELNS0_4arch9wavefront6targetE0EEEvT1_.has_recursion, 0
	.set _ZN7rocprim17ROCPRIM_400000_NS6detail17trampoline_kernelINS0_14default_configENS1_25partition_config_selectorILNS1_17partition_subalgoE8ElNS0_10empty_typeEbEEZZNS1_14partition_implILS5_8ELb0ES3_jPlPS6_PKS6_NS0_5tupleIJS9_S6_EEENSD_IJSA_SA_EEENS0_18inequality_wrapperIZN2at6native12_GLOBAL__N_124unique_dim_cuda_templateIhEESt5tupleIJNSH_6TensorESM_SM_EERKSM_lbbbEUlllE0_EEPmJS6_EEE10hipError_tPvRmT3_T4_T5_T6_T7_T9_mT8_P12ihipStream_tbDpT10_ENKUlT_T0_E_clISt17integral_constantIbLb1EES1C_EEDaS17_S18_EUlS17_E_NS1_11comp_targetILNS1_3genE9ELNS1_11target_archE1100ELNS1_3gpuE3ELNS1_3repE0EEENS1_30default_config_static_selectorELNS0_4arch9wavefront6targetE0EEEvT1_.has_indirect_call, 0
	.section	.AMDGPU.csdata,"",@progbits
; Kernel info:
; codeLenInByte = 0
; TotalNumSgprs: 0
; NumVgprs: 0
; ScratchSize: 0
; MemoryBound: 0
; FloatMode: 240
; IeeeMode: 1
; LDSByteSize: 0 bytes/workgroup (compile time only)
; SGPRBlocks: 0
; VGPRBlocks: 0
; NumSGPRsForWavesPerEU: 1
; NumVGPRsForWavesPerEU: 1
; NamedBarCnt: 0
; Occupancy: 16
; WaveLimiterHint : 0
; COMPUTE_PGM_RSRC2:SCRATCH_EN: 0
; COMPUTE_PGM_RSRC2:USER_SGPR: 2
; COMPUTE_PGM_RSRC2:TRAP_HANDLER: 0
; COMPUTE_PGM_RSRC2:TGID_X_EN: 1
; COMPUTE_PGM_RSRC2:TGID_Y_EN: 0
; COMPUTE_PGM_RSRC2:TGID_Z_EN: 0
; COMPUTE_PGM_RSRC2:TIDIG_COMP_CNT: 0
	.section	.text._ZN7rocprim17ROCPRIM_400000_NS6detail17trampoline_kernelINS0_14default_configENS1_25partition_config_selectorILNS1_17partition_subalgoE8ElNS0_10empty_typeEbEEZZNS1_14partition_implILS5_8ELb0ES3_jPlPS6_PKS6_NS0_5tupleIJS9_S6_EEENSD_IJSA_SA_EEENS0_18inequality_wrapperIZN2at6native12_GLOBAL__N_124unique_dim_cuda_templateIhEESt5tupleIJNSH_6TensorESM_SM_EERKSM_lbbbEUlllE0_EEPmJS6_EEE10hipError_tPvRmT3_T4_T5_T6_T7_T9_mT8_P12ihipStream_tbDpT10_ENKUlT_T0_E_clISt17integral_constantIbLb1EES1C_EEDaS17_S18_EUlS17_E_NS1_11comp_targetILNS1_3genE8ELNS1_11target_archE1030ELNS1_3gpuE2ELNS1_3repE0EEENS1_30default_config_static_selectorELNS0_4arch9wavefront6targetE0EEEvT1_,"axG",@progbits,_ZN7rocprim17ROCPRIM_400000_NS6detail17trampoline_kernelINS0_14default_configENS1_25partition_config_selectorILNS1_17partition_subalgoE8ElNS0_10empty_typeEbEEZZNS1_14partition_implILS5_8ELb0ES3_jPlPS6_PKS6_NS0_5tupleIJS9_S6_EEENSD_IJSA_SA_EEENS0_18inequality_wrapperIZN2at6native12_GLOBAL__N_124unique_dim_cuda_templateIhEESt5tupleIJNSH_6TensorESM_SM_EERKSM_lbbbEUlllE0_EEPmJS6_EEE10hipError_tPvRmT3_T4_T5_T6_T7_T9_mT8_P12ihipStream_tbDpT10_ENKUlT_T0_E_clISt17integral_constantIbLb1EES1C_EEDaS17_S18_EUlS17_E_NS1_11comp_targetILNS1_3genE8ELNS1_11target_archE1030ELNS1_3gpuE2ELNS1_3repE0EEENS1_30default_config_static_selectorELNS0_4arch9wavefront6targetE0EEEvT1_,comdat
	.globl	_ZN7rocprim17ROCPRIM_400000_NS6detail17trampoline_kernelINS0_14default_configENS1_25partition_config_selectorILNS1_17partition_subalgoE8ElNS0_10empty_typeEbEEZZNS1_14partition_implILS5_8ELb0ES3_jPlPS6_PKS6_NS0_5tupleIJS9_S6_EEENSD_IJSA_SA_EEENS0_18inequality_wrapperIZN2at6native12_GLOBAL__N_124unique_dim_cuda_templateIhEESt5tupleIJNSH_6TensorESM_SM_EERKSM_lbbbEUlllE0_EEPmJS6_EEE10hipError_tPvRmT3_T4_T5_T6_T7_T9_mT8_P12ihipStream_tbDpT10_ENKUlT_T0_E_clISt17integral_constantIbLb1EES1C_EEDaS17_S18_EUlS17_E_NS1_11comp_targetILNS1_3genE8ELNS1_11target_archE1030ELNS1_3gpuE2ELNS1_3repE0EEENS1_30default_config_static_selectorELNS0_4arch9wavefront6targetE0EEEvT1_ ; -- Begin function _ZN7rocprim17ROCPRIM_400000_NS6detail17trampoline_kernelINS0_14default_configENS1_25partition_config_selectorILNS1_17partition_subalgoE8ElNS0_10empty_typeEbEEZZNS1_14partition_implILS5_8ELb0ES3_jPlPS6_PKS6_NS0_5tupleIJS9_S6_EEENSD_IJSA_SA_EEENS0_18inequality_wrapperIZN2at6native12_GLOBAL__N_124unique_dim_cuda_templateIhEESt5tupleIJNSH_6TensorESM_SM_EERKSM_lbbbEUlllE0_EEPmJS6_EEE10hipError_tPvRmT3_T4_T5_T6_T7_T9_mT8_P12ihipStream_tbDpT10_ENKUlT_T0_E_clISt17integral_constantIbLb1EES1C_EEDaS17_S18_EUlS17_E_NS1_11comp_targetILNS1_3genE8ELNS1_11target_archE1030ELNS1_3gpuE2ELNS1_3repE0EEENS1_30default_config_static_selectorELNS0_4arch9wavefront6targetE0EEEvT1_
	.p2align	8
	.type	_ZN7rocprim17ROCPRIM_400000_NS6detail17trampoline_kernelINS0_14default_configENS1_25partition_config_selectorILNS1_17partition_subalgoE8ElNS0_10empty_typeEbEEZZNS1_14partition_implILS5_8ELb0ES3_jPlPS6_PKS6_NS0_5tupleIJS9_S6_EEENSD_IJSA_SA_EEENS0_18inequality_wrapperIZN2at6native12_GLOBAL__N_124unique_dim_cuda_templateIhEESt5tupleIJNSH_6TensorESM_SM_EERKSM_lbbbEUlllE0_EEPmJS6_EEE10hipError_tPvRmT3_T4_T5_T6_T7_T9_mT8_P12ihipStream_tbDpT10_ENKUlT_T0_E_clISt17integral_constantIbLb1EES1C_EEDaS17_S18_EUlS17_E_NS1_11comp_targetILNS1_3genE8ELNS1_11target_archE1030ELNS1_3gpuE2ELNS1_3repE0EEENS1_30default_config_static_selectorELNS0_4arch9wavefront6targetE0EEEvT1_,@function
_ZN7rocprim17ROCPRIM_400000_NS6detail17trampoline_kernelINS0_14default_configENS1_25partition_config_selectorILNS1_17partition_subalgoE8ElNS0_10empty_typeEbEEZZNS1_14partition_implILS5_8ELb0ES3_jPlPS6_PKS6_NS0_5tupleIJS9_S6_EEENSD_IJSA_SA_EEENS0_18inequality_wrapperIZN2at6native12_GLOBAL__N_124unique_dim_cuda_templateIhEESt5tupleIJNSH_6TensorESM_SM_EERKSM_lbbbEUlllE0_EEPmJS6_EEE10hipError_tPvRmT3_T4_T5_T6_T7_T9_mT8_P12ihipStream_tbDpT10_ENKUlT_T0_E_clISt17integral_constantIbLb1EES1C_EEDaS17_S18_EUlS17_E_NS1_11comp_targetILNS1_3genE8ELNS1_11target_archE1030ELNS1_3gpuE2ELNS1_3repE0EEENS1_30default_config_static_selectorELNS0_4arch9wavefront6targetE0EEEvT1_: ; @_ZN7rocprim17ROCPRIM_400000_NS6detail17trampoline_kernelINS0_14default_configENS1_25partition_config_selectorILNS1_17partition_subalgoE8ElNS0_10empty_typeEbEEZZNS1_14partition_implILS5_8ELb0ES3_jPlPS6_PKS6_NS0_5tupleIJS9_S6_EEENSD_IJSA_SA_EEENS0_18inequality_wrapperIZN2at6native12_GLOBAL__N_124unique_dim_cuda_templateIhEESt5tupleIJNSH_6TensorESM_SM_EERKSM_lbbbEUlllE0_EEPmJS6_EEE10hipError_tPvRmT3_T4_T5_T6_T7_T9_mT8_P12ihipStream_tbDpT10_ENKUlT_T0_E_clISt17integral_constantIbLb1EES1C_EEDaS17_S18_EUlS17_E_NS1_11comp_targetILNS1_3genE8ELNS1_11target_archE1030ELNS1_3gpuE2ELNS1_3repE0EEENS1_30default_config_static_selectorELNS0_4arch9wavefront6targetE0EEEvT1_
; %bb.0:
	.section	.rodata,"a",@progbits
	.p2align	6, 0x0
	.amdhsa_kernel _ZN7rocprim17ROCPRIM_400000_NS6detail17trampoline_kernelINS0_14default_configENS1_25partition_config_selectorILNS1_17partition_subalgoE8ElNS0_10empty_typeEbEEZZNS1_14partition_implILS5_8ELb0ES3_jPlPS6_PKS6_NS0_5tupleIJS9_S6_EEENSD_IJSA_SA_EEENS0_18inequality_wrapperIZN2at6native12_GLOBAL__N_124unique_dim_cuda_templateIhEESt5tupleIJNSH_6TensorESM_SM_EERKSM_lbbbEUlllE0_EEPmJS6_EEE10hipError_tPvRmT3_T4_T5_T6_T7_T9_mT8_P12ihipStream_tbDpT10_ENKUlT_T0_E_clISt17integral_constantIbLb1EES1C_EEDaS17_S18_EUlS17_E_NS1_11comp_targetILNS1_3genE8ELNS1_11target_archE1030ELNS1_3gpuE2ELNS1_3repE0EEENS1_30default_config_static_selectorELNS0_4arch9wavefront6targetE0EEEvT1_
		.amdhsa_group_segment_fixed_size 0
		.amdhsa_private_segment_fixed_size 0
		.amdhsa_kernarg_size 136
		.amdhsa_user_sgpr_count 2
		.amdhsa_user_sgpr_dispatch_ptr 0
		.amdhsa_user_sgpr_queue_ptr 0
		.amdhsa_user_sgpr_kernarg_segment_ptr 1
		.amdhsa_user_sgpr_dispatch_id 0
		.amdhsa_user_sgpr_kernarg_preload_length 0
		.amdhsa_user_sgpr_kernarg_preload_offset 0
		.amdhsa_user_sgpr_private_segment_size 0
		.amdhsa_wavefront_size32 1
		.amdhsa_uses_dynamic_stack 0
		.amdhsa_enable_private_segment 0
		.amdhsa_system_sgpr_workgroup_id_x 1
		.amdhsa_system_sgpr_workgroup_id_y 0
		.amdhsa_system_sgpr_workgroup_id_z 0
		.amdhsa_system_sgpr_workgroup_info 0
		.amdhsa_system_vgpr_workitem_id 0
		.amdhsa_next_free_vgpr 1
		.amdhsa_next_free_sgpr 1
		.amdhsa_named_barrier_count 0
		.amdhsa_reserve_vcc 0
		.amdhsa_float_round_mode_32 0
		.amdhsa_float_round_mode_16_64 0
		.amdhsa_float_denorm_mode_32 3
		.amdhsa_float_denorm_mode_16_64 3
		.amdhsa_fp16_overflow 0
		.amdhsa_memory_ordered 1
		.amdhsa_forward_progress 1
		.amdhsa_inst_pref_size 0
		.amdhsa_round_robin_scheduling 0
		.amdhsa_exception_fp_ieee_invalid_op 0
		.amdhsa_exception_fp_denorm_src 0
		.amdhsa_exception_fp_ieee_div_zero 0
		.amdhsa_exception_fp_ieee_overflow 0
		.amdhsa_exception_fp_ieee_underflow 0
		.amdhsa_exception_fp_ieee_inexact 0
		.amdhsa_exception_int_div_zero 0
	.end_amdhsa_kernel
	.section	.text._ZN7rocprim17ROCPRIM_400000_NS6detail17trampoline_kernelINS0_14default_configENS1_25partition_config_selectorILNS1_17partition_subalgoE8ElNS0_10empty_typeEbEEZZNS1_14partition_implILS5_8ELb0ES3_jPlPS6_PKS6_NS0_5tupleIJS9_S6_EEENSD_IJSA_SA_EEENS0_18inequality_wrapperIZN2at6native12_GLOBAL__N_124unique_dim_cuda_templateIhEESt5tupleIJNSH_6TensorESM_SM_EERKSM_lbbbEUlllE0_EEPmJS6_EEE10hipError_tPvRmT3_T4_T5_T6_T7_T9_mT8_P12ihipStream_tbDpT10_ENKUlT_T0_E_clISt17integral_constantIbLb1EES1C_EEDaS17_S18_EUlS17_E_NS1_11comp_targetILNS1_3genE8ELNS1_11target_archE1030ELNS1_3gpuE2ELNS1_3repE0EEENS1_30default_config_static_selectorELNS0_4arch9wavefront6targetE0EEEvT1_,"axG",@progbits,_ZN7rocprim17ROCPRIM_400000_NS6detail17trampoline_kernelINS0_14default_configENS1_25partition_config_selectorILNS1_17partition_subalgoE8ElNS0_10empty_typeEbEEZZNS1_14partition_implILS5_8ELb0ES3_jPlPS6_PKS6_NS0_5tupleIJS9_S6_EEENSD_IJSA_SA_EEENS0_18inequality_wrapperIZN2at6native12_GLOBAL__N_124unique_dim_cuda_templateIhEESt5tupleIJNSH_6TensorESM_SM_EERKSM_lbbbEUlllE0_EEPmJS6_EEE10hipError_tPvRmT3_T4_T5_T6_T7_T9_mT8_P12ihipStream_tbDpT10_ENKUlT_T0_E_clISt17integral_constantIbLb1EES1C_EEDaS17_S18_EUlS17_E_NS1_11comp_targetILNS1_3genE8ELNS1_11target_archE1030ELNS1_3gpuE2ELNS1_3repE0EEENS1_30default_config_static_selectorELNS0_4arch9wavefront6targetE0EEEvT1_,comdat
.Lfunc_end185:
	.size	_ZN7rocprim17ROCPRIM_400000_NS6detail17trampoline_kernelINS0_14default_configENS1_25partition_config_selectorILNS1_17partition_subalgoE8ElNS0_10empty_typeEbEEZZNS1_14partition_implILS5_8ELb0ES3_jPlPS6_PKS6_NS0_5tupleIJS9_S6_EEENSD_IJSA_SA_EEENS0_18inequality_wrapperIZN2at6native12_GLOBAL__N_124unique_dim_cuda_templateIhEESt5tupleIJNSH_6TensorESM_SM_EERKSM_lbbbEUlllE0_EEPmJS6_EEE10hipError_tPvRmT3_T4_T5_T6_T7_T9_mT8_P12ihipStream_tbDpT10_ENKUlT_T0_E_clISt17integral_constantIbLb1EES1C_EEDaS17_S18_EUlS17_E_NS1_11comp_targetILNS1_3genE8ELNS1_11target_archE1030ELNS1_3gpuE2ELNS1_3repE0EEENS1_30default_config_static_selectorELNS0_4arch9wavefront6targetE0EEEvT1_, .Lfunc_end185-_ZN7rocprim17ROCPRIM_400000_NS6detail17trampoline_kernelINS0_14default_configENS1_25partition_config_selectorILNS1_17partition_subalgoE8ElNS0_10empty_typeEbEEZZNS1_14partition_implILS5_8ELb0ES3_jPlPS6_PKS6_NS0_5tupleIJS9_S6_EEENSD_IJSA_SA_EEENS0_18inequality_wrapperIZN2at6native12_GLOBAL__N_124unique_dim_cuda_templateIhEESt5tupleIJNSH_6TensorESM_SM_EERKSM_lbbbEUlllE0_EEPmJS6_EEE10hipError_tPvRmT3_T4_T5_T6_T7_T9_mT8_P12ihipStream_tbDpT10_ENKUlT_T0_E_clISt17integral_constantIbLb1EES1C_EEDaS17_S18_EUlS17_E_NS1_11comp_targetILNS1_3genE8ELNS1_11target_archE1030ELNS1_3gpuE2ELNS1_3repE0EEENS1_30default_config_static_selectorELNS0_4arch9wavefront6targetE0EEEvT1_
                                        ; -- End function
	.set _ZN7rocprim17ROCPRIM_400000_NS6detail17trampoline_kernelINS0_14default_configENS1_25partition_config_selectorILNS1_17partition_subalgoE8ElNS0_10empty_typeEbEEZZNS1_14partition_implILS5_8ELb0ES3_jPlPS6_PKS6_NS0_5tupleIJS9_S6_EEENSD_IJSA_SA_EEENS0_18inequality_wrapperIZN2at6native12_GLOBAL__N_124unique_dim_cuda_templateIhEESt5tupleIJNSH_6TensorESM_SM_EERKSM_lbbbEUlllE0_EEPmJS6_EEE10hipError_tPvRmT3_T4_T5_T6_T7_T9_mT8_P12ihipStream_tbDpT10_ENKUlT_T0_E_clISt17integral_constantIbLb1EES1C_EEDaS17_S18_EUlS17_E_NS1_11comp_targetILNS1_3genE8ELNS1_11target_archE1030ELNS1_3gpuE2ELNS1_3repE0EEENS1_30default_config_static_selectorELNS0_4arch9wavefront6targetE0EEEvT1_.num_vgpr, 0
	.set _ZN7rocprim17ROCPRIM_400000_NS6detail17trampoline_kernelINS0_14default_configENS1_25partition_config_selectorILNS1_17partition_subalgoE8ElNS0_10empty_typeEbEEZZNS1_14partition_implILS5_8ELb0ES3_jPlPS6_PKS6_NS0_5tupleIJS9_S6_EEENSD_IJSA_SA_EEENS0_18inequality_wrapperIZN2at6native12_GLOBAL__N_124unique_dim_cuda_templateIhEESt5tupleIJNSH_6TensorESM_SM_EERKSM_lbbbEUlllE0_EEPmJS6_EEE10hipError_tPvRmT3_T4_T5_T6_T7_T9_mT8_P12ihipStream_tbDpT10_ENKUlT_T0_E_clISt17integral_constantIbLb1EES1C_EEDaS17_S18_EUlS17_E_NS1_11comp_targetILNS1_3genE8ELNS1_11target_archE1030ELNS1_3gpuE2ELNS1_3repE0EEENS1_30default_config_static_selectorELNS0_4arch9wavefront6targetE0EEEvT1_.num_agpr, 0
	.set _ZN7rocprim17ROCPRIM_400000_NS6detail17trampoline_kernelINS0_14default_configENS1_25partition_config_selectorILNS1_17partition_subalgoE8ElNS0_10empty_typeEbEEZZNS1_14partition_implILS5_8ELb0ES3_jPlPS6_PKS6_NS0_5tupleIJS9_S6_EEENSD_IJSA_SA_EEENS0_18inequality_wrapperIZN2at6native12_GLOBAL__N_124unique_dim_cuda_templateIhEESt5tupleIJNSH_6TensorESM_SM_EERKSM_lbbbEUlllE0_EEPmJS6_EEE10hipError_tPvRmT3_T4_T5_T6_T7_T9_mT8_P12ihipStream_tbDpT10_ENKUlT_T0_E_clISt17integral_constantIbLb1EES1C_EEDaS17_S18_EUlS17_E_NS1_11comp_targetILNS1_3genE8ELNS1_11target_archE1030ELNS1_3gpuE2ELNS1_3repE0EEENS1_30default_config_static_selectorELNS0_4arch9wavefront6targetE0EEEvT1_.numbered_sgpr, 0
	.set _ZN7rocprim17ROCPRIM_400000_NS6detail17trampoline_kernelINS0_14default_configENS1_25partition_config_selectorILNS1_17partition_subalgoE8ElNS0_10empty_typeEbEEZZNS1_14partition_implILS5_8ELb0ES3_jPlPS6_PKS6_NS0_5tupleIJS9_S6_EEENSD_IJSA_SA_EEENS0_18inequality_wrapperIZN2at6native12_GLOBAL__N_124unique_dim_cuda_templateIhEESt5tupleIJNSH_6TensorESM_SM_EERKSM_lbbbEUlllE0_EEPmJS6_EEE10hipError_tPvRmT3_T4_T5_T6_T7_T9_mT8_P12ihipStream_tbDpT10_ENKUlT_T0_E_clISt17integral_constantIbLb1EES1C_EEDaS17_S18_EUlS17_E_NS1_11comp_targetILNS1_3genE8ELNS1_11target_archE1030ELNS1_3gpuE2ELNS1_3repE0EEENS1_30default_config_static_selectorELNS0_4arch9wavefront6targetE0EEEvT1_.num_named_barrier, 0
	.set _ZN7rocprim17ROCPRIM_400000_NS6detail17trampoline_kernelINS0_14default_configENS1_25partition_config_selectorILNS1_17partition_subalgoE8ElNS0_10empty_typeEbEEZZNS1_14partition_implILS5_8ELb0ES3_jPlPS6_PKS6_NS0_5tupleIJS9_S6_EEENSD_IJSA_SA_EEENS0_18inequality_wrapperIZN2at6native12_GLOBAL__N_124unique_dim_cuda_templateIhEESt5tupleIJNSH_6TensorESM_SM_EERKSM_lbbbEUlllE0_EEPmJS6_EEE10hipError_tPvRmT3_T4_T5_T6_T7_T9_mT8_P12ihipStream_tbDpT10_ENKUlT_T0_E_clISt17integral_constantIbLb1EES1C_EEDaS17_S18_EUlS17_E_NS1_11comp_targetILNS1_3genE8ELNS1_11target_archE1030ELNS1_3gpuE2ELNS1_3repE0EEENS1_30default_config_static_selectorELNS0_4arch9wavefront6targetE0EEEvT1_.private_seg_size, 0
	.set _ZN7rocprim17ROCPRIM_400000_NS6detail17trampoline_kernelINS0_14default_configENS1_25partition_config_selectorILNS1_17partition_subalgoE8ElNS0_10empty_typeEbEEZZNS1_14partition_implILS5_8ELb0ES3_jPlPS6_PKS6_NS0_5tupleIJS9_S6_EEENSD_IJSA_SA_EEENS0_18inequality_wrapperIZN2at6native12_GLOBAL__N_124unique_dim_cuda_templateIhEESt5tupleIJNSH_6TensorESM_SM_EERKSM_lbbbEUlllE0_EEPmJS6_EEE10hipError_tPvRmT3_T4_T5_T6_T7_T9_mT8_P12ihipStream_tbDpT10_ENKUlT_T0_E_clISt17integral_constantIbLb1EES1C_EEDaS17_S18_EUlS17_E_NS1_11comp_targetILNS1_3genE8ELNS1_11target_archE1030ELNS1_3gpuE2ELNS1_3repE0EEENS1_30default_config_static_selectorELNS0_4arch9wavefront6targetE0EEEvT1_.uses_vcc, 0
	.set _ZN7rocprim17ROCPRIM_400000_NS6detail17trampoline_kernelINS0_14default_configENS1_25partition_config_selectorILNS1_17partition_subalgoE8ElNS0_10empty_typeEbEEZZNS1_14partition_implILS5_8ELb0ES3_jPlPS6_PKS6_NS0_5tupleIJS9_S6_EEENSD_IJSA_SA_EEENS0_18inequality_wrapperIZN2at6native12_GLOBAL__N_124unique_dim_cuda_templateIhEESt5tupleIJNSH_6TensorESM_SM_EERKSM_lbbbEUlllE0_EEPmJS6_EEE10hipError_tPvRmT3_T4_T5_T6_T7_T9_mT8_P12ihipStream_tbDpT10_ENKUlT_T0_E_clISt17integral_constantIbLb1EES1C_EEDaS17_S18_EUlS17_E_NS1_11comp_targetILNS1_3genE8ELNS1_11target_archE1030ELNS1_3gpuE2ELNS1_3repE0EEENS1_30default_config_static_selectorELNS0_4arch9wavefront6targetE0EEEvT1_.uses_flat_scratch, 0
	.set _ZN7rocprim17ROCPRIM_400000_NS6detail17trampoline_kernelINS0_14default_configENS1_25partition_config_selectorILNS1_17partition_subalgoE8ElNS0_10empty_typeEbEEZZNS1_14partition_implILS5_8ELb0ES3_jPlPS6_PKS6_NS0_5tupleIJS9_S6_EEENSD_IJSA_SA_EEENS0_18inequality_wrapperIZN2at6native12_GLOBAL__N_124unique_dim_cuda_templateIhEESt5tupleIJNSH_6TensorESM_SM_EERKSM_lbbbEUlllE0_EEPmJS6_EEE10hipError_tPvRmT3_T4_T5_T6_T7_T9_mT8_P12ihipStream_tbDpT10_ENKUlT_T0_E_clISt17integral_constantIbLb1EES1C_EEDaS17_S18_EUlS17_E_NS1_11comp_targetILNS1_3genE8ELNS1_11target_archE1030ELNS1_3gpuE2ELNS1_3repE0EEENS1_30default_config_static_selectorELNS0_4arch9wavefront6targetE0EEEvT1_.has_dyn_sized_stack, 0
	.set _ZN7rocprim17ROCPRIM_400000_NS6detail17trampoline_kernelINS0_14default_configENS1_25partition_config_selectorILNS1_17partition_subalgoE8ElNS0_10empty_typeEbEEZZNS1_14partition_implILS5_8ELb0ES3_jPlPS6_PKS6_NS0_5tupleIJS9_S6_EEENSD_IJSA_SA_EEENS0_18inequality_wrapperIZN2at6native12_GLOBAL__N_124unique_dim_cuda_templateIhEESt5tupleIJNSH_6TensorESM_SM_EERKSM_lbbbEUlllE0_EEPmJS6_EEE10hipError_tPvRmT3_T4_T5_T6_T7_T9_mT8_P12ihipStream_tbDpT10_ENKUlT_T0_E_clISt17integral_constantIbLb1EES1C_EEDaS17_S18_EUlS17_E_NS1_11comp_targetILNS1_3genE8ELNS1_11target_archE1030ELNS1_3gpuE2ELNS1_3repE0EEENS1_30default_config_static_selectorELNS0_4arch9wavefront6targetE0EEEvT1_.has_recursion, 0
	.set _ZN7rocprim17ROCPRIM_400000_NS6detail17trampoline_kernelINS0_14default_configENS1_25partition_config_selectorILNS1_17partition_subalgoE8ElNS0_10empty_typeEbEEZZNS1_14partition_implILS5_8ELb0ES3_jPlPS6_PKS6_NS0_5tupleIJS9_S6_EEENSD_IJSA_SA_EEENS0_18inequality_wrapperIZN2at6native12_GLOBAL__N_124unique_dim_cuda_templateIhEESt5tupleIJNSH_6TensorESM_SM_EERKSM_lbbbEUlllE0_EEPmJS6_EEE10hipError_tPvRmT3_T4_T5_T6_T7_T9_mT8_P12ihipStream_tbDpT10_ENKUlT_T0_E_clISt17integral_constantIbLb1EES1C_EEDaS17_S18_EUlS17_E_NS1_11comp_targetILNS1_3genE8ELNS1_11target_archE1030ELNS1_3gpuE2ELNS1_3repE0EEENS1_30default_config_static_selectorELNS0_4arch9wavefront6targetE0EEEvT1_.has_indirect_call, 0
	.section	.AMDGPU.csdata,"",@progbits
; Kernel info:
; codeLenInByte = 0
; TotalNumSgprs: 0
; NumVgprs: 0
; ScratchSize: 0
; MemoryBound: 0
; FloatMode: 240
; IeeeMode: 1
; LDSByteSize: 0 bytes/workgroup (compile time only)
; SGPRBlocks: 0
; VGPRBlocks: 0
; NumSGPRsForWavesPerEU: 1
; NumVGPRsForWavesPerEU: 1
; NamedBarCnt: 0
; Occupancy: 16
; WaveLimiterHint : 0
; COMPUTE_PGM_RSRC2:SCRATCH_EN: 0
; COMPUTE_PGM_RSRC2:USER_SGPR: 2
; COMPUTE_PGM_RSRC2:TRAP_HANDLER: 0
; COMPUTE_PGM_RSRC2:TGID_X_EN: 1
; COMPUTE_PGM_RSRC2:TGID_Y_EN: 0
; COMPUTE_PGM_RSRC2:TGID_Z_EN: 0
; COMPUTE_PGM_RSRC2:TIDIG_COMP_CNT: 0
	.section	.text._ZN7rocprim17ROCPRIM_400000_NS6detail31init_lookback_scan_state_kernelINS1_19lookback_scan_stateIjLb1ELb1EEENS1_16block_id_wrapperIjLb0EEEEEvT_jT0_jPNS7_10value_typeE,"axG",@progbits,_ZN7rocprim17ROCPRIM_400000_NS6detail31init_lookback_scan_state_kernelINS1_19lookback_scan_stateIjLb1ELb1EEENS1_16block_id_wrapperIjLb0EEEEEvT_jT0_jPNS7_10value_typeE,comdat
	.protected	_ZN7rocprim17ROCPRIM_400000_NS6detail31init_lookback_scan_state_kernelINS1_19lookback_scan_stateIjLb1ELb1EEENS1_16block_id_wrapperIjLb0EEEEEvT_jT0_jPNS7_10value_typeE ; -- Begin function _ZN7rocprim17ROCPRIM_400000_NS6detail31init_lookback_scan_state_kernelINS1_19lookback_scan_stateIjLb1ELb1EEENS1_16block_id_wrapperIjLb0EEEEEvT_jT0_jPNS7_10value_typeE
	.globl	_ZN7rocprim17ROCPRIM_400000_NS6detail31init_lookback_scan_state_kernelINS1_19lookback_scan_stateIjLb1ELb1EEENS1_16block_id_wrapperIjLb0EEEEEvT_jT0_jPNS7_10value_typeE
	.p2align	8
	.type	_ZN7rocprim17ROCPRIM_400000_NS6detail31init_lookback_scan_state_kernelINS1_19lookback_scan_stateIjLb1ELb1EEENS1_16block_id_wrapperIjLb0EEEEEvT_jT0_jPNS7_10value_typeE,@function
_ZN7rocprim17ROCPRIM_400000_NS6detail31init_lookback_scan_state_kernelINS1_19lookback_scan_stateIjLb1ELb1EEENS1_16block_id_wrapperIjLb0EEEEEvT_jT0_jPNS7_10value_typeE: ; @_ZN7rocprim17ROCPRIM_400000_NS6detail31init_lookback_scan_state_kernelINS1_19lookback_scan_stateIjLb1ELb1EEENS1_16block_id_wrapperIjLb0EEEEEvT_jT0_jPNS7_10value_typeE
; %bb.0:
	s_clause 0x2
	s_load_b32 s7, s[0:1], 0x2c
	s_load_b96 s[4:6], s[0:1], 0x0
	s_load_b64 s[2:3], s[0:1], 0x18
	s_bfe_u32 s8, ttmp6, 0x4000c
	s_and_b32 s9, ttmp6, 15
	s_add_co_i32 s8, s8, 1
	s_getreg_b32 s10, hwreg(HW_REG_IB_STS2, 6, 4)
	s_mul_i32 s8, ttmp9, s8
	s_delay_alu instid0(SALU_CYCLE_1)
	s_add_co_i32 s9, s9, s8
	s_wait_kmcnt 0x0
	s_and_b32 s7, s7, 0xffff
	s_cmp_eq_u32 s10, 0
	s_cselect_b32 s8, ttmp9, s9
	s_cmp_eq_u64 s[2:3], 0
	v_mad_u32 v4, s8, s7, v0
	s_cbranch_scc1 .LBB186_9
; %bb.1:
	s_load_b32 s0, s[0:1], 0x10
	s_mov_b32 s7, exec_lo
	s_wait_kmcnt 0x0
	s_cmp_lt_u32 s0, s6
	s_cselect_b32 s1, s0, 0
	s_delay_alu instid0(VALU_DEP_1) | instid1(SALU_CYCLE_1)
	v_cmpx_eq_u32_e64 s1, v4
	s_cbranch_execz .LBB186_8
; %bb.2:
	s_add_co_i32 s0, s0, 32
	s_delay_alu instid0(SALU_CYCLE_1)
	v_mov_b32_e32 v0, s0
	global_load_b64 v[2:3], v0, s[4:5] scale_offset scope:SCOPE_DEV
	s_wait_xcnt 0x0
	v_mov_b32_e32 v0, 0
	s_wait_loadcnt 0x0
	v_and_b32_e32 v1, 0xff, v3
	s_delay_alu instid0(VALU_DEP_1)
	v_cmp_ne_u64_e32 vcc_lo, 0, v[0:1]
	s_cbranch_vccnz .LBB186_7
; %bb.3:
	s_mov_b32 s1, 0
	s_mov_b32 s8, 1
	s_lshl_b64 s[0:1], s[0:1], 3
	s_delay_alu instid0(SALU_CYCLE_1)
	s_add_nc_u64 s[0:1], s[4:5], s[0:1]
.LBB186_4:                              ; =>This Loop Header: Depth=1
                                        ;     Child Loop BB186_5 Depth 2
	s_mov_b32 s9, s8
.LBB186_5:                              ;   Parent Loop BB186_4 Depth=1
                                        ; =>  This Inner Loop Header: Depth=2
	s_delay_alu instid0(SALU_CYCLE_1)
	s_add_co_i32 s9, s9, -1
	s_sleep 1
	s_cmp_eq_u32 s9, 0
	s_cbranch_scc0 .LBB186_5
; %bb.6:                                ;   in Loop: Header=BB186_4 Depth=1
	global_load_b64 v[2:3], v0, s[0:1] scope:SCOPE_DEV
	s_cmp_lt_u32 s8, 32
	s_cselect_b32 s9, -1, 0
	s_delay_alu instid0(SALU_CYCLE_1) | instskip(SKIP_3) | instid1(VALU_DEP_1)
	s_cmp_lg_u32 s9, 0
	s_add_co_ci_u32 s8, s8, 0
	s_wait_loadcnt 0x0
	v_and_b32_e32 v1, 0xff, v3
	v_cmp_ne_u64_e32 vcc_lo, 0, v[0:1]
	s_cbranch_vccz .LBB186_4
.LBB186_7:
	v_mov_b32_e32 v0, 0
	global_store_b32 v0, v2, s[2:3]
.LBB186_8:
	s_wait_xcnt 0x0
	s_or_b32 exec_lo, exec_lo, s7
.LBB186_9:
	s_delay_alu instid0(SALU_CYCLE_1) | instskip(NEXT) | instid1(VALU_DEP_1)
	s_mov_b32 s0, exec_lo
	v_cmpx_gt_u32_e64 s6, v4
	s_cbranch_execz .LBB186_11
; %bb.10:
	v_mov_b64_e32 v[0:1], 0
	v_add_nc_u32_e32 v2, 32, v4
	global_store_b64 v2, v[0:1], s[4:5] scale_offset
.LBB186_11:
	s_wait_xcnt 0x0
	s_or_b32 exec_lo, exec_lo, s0
	s_delay_alu instid0(SALU_CYCLE_1)
	s_mov_b32 s0, exec_lo
	v_cmpx_gt_u32_e32 32, v4
	s_cbranch_execz .LBB186_13
; %bb.12:
	v_mov_b64_e32 v[0:1], 0xff00000000
	global_store_b64 v4, v[0:1], s[4:5] scale_offset
.LBB186_13:
	s_endpgm
	.section	.rodata,"a",@progbits
	.p2align	6, 0x0
	.amdhsa_kernel _ZN7rocprim17ROCPRIM_400000_NS6detail31init_lookback_scan_state_kernelINS1_19lookback_scan_stateIjLb1ELb1EEENS1_16block_id_wrapperIjLb0EEEEEvT_jT0_jPNS7_10value_typeE
		.amdhsa_group_segment_fixed_size 0
		.amdhsa_private_segment_fixed_size 0
		.amdhsa_kernarg_size 288
		.amdhsa_user_sgpr_count 2
		.amdhsa_user_sgpr_dispatch_ptr 0
		.amdhsa_user_sgpr_queue_ptr 0
		.amdhsa_user_sgpr_kernarg_segment_ptr 1
		.amdhsa_user_sgpr_dispatch_id 0
		.amdhsa_user_sgpr_kernarg_preload_length 0
		.amdhsa_user_sgpr_kernarg_preload_offset 0
		.amdhsa_user_sgpr_private_segment_size 0
		.amdhsa_wavefront_size32 1
		.amdhsa_uses_dynamic_stack 0
		.amdhsa_enable_private_segment 0
		.amdhsa_system_sgpr_workgroup_id_x 1
		.amdhsa_system_sgpr_workgroup_id_y 0
		.amdhsa_system_sgpr_workgroup_id_z 0
		.amdhsa_system_sgpr_workgroup_info 0
		.amdhsa_system_vgpr_workitem_id 0
		.amdhsa_next_free_vgpr 5
		.amdhsa_next_free_sgpr 11
		.amdhsa_named_barrier_count 0
		.amdhsa_reserve_vcc 1
		.amdhsa_float_round_mode_32 0
		.amdhsa_float_round_mode_16_64 0
		.amdhsa_float_denorm_mode_32 3
		.amdhsa_float_denorm_mode_16_64 3
		.amdhsa_fp16_overflow 0
		.amdhsa_memory_ordered 1
		.amdhsa_forward_progress 1
		.amdhsa_inst_pref_size 4
		.amdhsa_round_robin_scheduling 0
		.amdhsa_exception_fp_ieee_invalid_op 0
		.amdhsa_exception_fp_denorm_src 0
		.amdhsa_exception_fp_ieee_div_zero 0
		.amdhsa_exception_fp_ieee_overflow 0
		.amdhsa_exception_fp_ieee_underflow 0
		.amdhsa_exception_fp_ieee_inexact 0
		.amdhsa_exception_int_div_zero 0
	.end_amdhsa_kernel
	.section	.text._ZN7rocprim17ROCPRIM_400000_NS6detail31init_lookback_scan_state_kernelINS1_19lookback_scan_stateIjLb1ELb1EEENS1_16block_id_wrapperIjLb0EEEEEvT_jT0_jPNS7_10value_typeE,"axG",@progbits,_ZN7rocprim17ROCPRIM_400000_NS6detail31init_lookback_scan_state_kernelINS1_19lookback_scan_stateIjLb1ELb1EEENS1_16block_id_wrapperIjLb0EEEEEvT_jT0_jPNS7_10value_typeE,comdat
.Lfunc_end186:
	.size	_ZN7rocprim17ROCPRIM_400000_NS6detail31init_lookback_scan_state_kernelINS1_19lookback_scan_stateIjLb1ELb1EEENS1_16block_id_wrapperIjLb0EEEEEvT_jT0_jPNS7_10value_typeE, .Lfunc_end186-_ZN7rocprim17ROCPRIM_400000_NS6detail31init_lookback_scan_state_kernelINS1_19lookback_scan_stateIjLb1ELb1EEENS1_16block_id_wrapperIjLb0EEEEEvT_jT0_jPNS7_10value_typeE
                                        ; -- End function
	.set _ZN7rocprim17ROCPRIM_400000_NS6detail31init_lookback_scan_state_kernelINS1_19lookback_scan_stateIjLb1ELb1EEENS1_16block_id_wrapperIjLb0EEEEEvT_jT0_jPNS7_10value_typeE.num_vgpr, 5
	.set _ZN7rocprim17ROCPRIM_400000_NS6detail31init_lookback_scan_state_kernelINS1_19lookback_scan_stateIjLb1ELb1EEENS1_16block_id_wrapperIjLb0EEEEEvT_jT0_jPNS7_10value_typeE.num_agpr, 0
	.set _ZN7rocprim17ROCPRIM_400000_NS6detail31init_lookback_scan_state_kernelINS1_19lookback_scan_stateIjLb1ELb1EEENS1_16block_id_wrapperIjLb0EEEEEvT_jT0_jPNS7_10value_typeE.numbered_sgpr, 11
	.set _ZN7rocprim17ROCPRIM_400000_NS6detail31init_lookback_scan_state_kernelINS1_19lookback_scan_stateIjLb1ELb1EEENS1_16block_id_wrapperIjLb0EEEEEvT_jT0_jPNS7_10value_typeE.num_named_barrier, 0
	.set _ZN7rocprim17ROCPRIM_400000_NS6detail31init_lookback_scan_state_kernelINS1_19lookback_scan_stateIjLb1ELb1EEENS1_16block_id_wrapperIjLb0EEEEEvT_jT0_jPNS7_10value_typeE.private_seg_size, 0
	.set _ZN7rocprim17ROCPRIM_400000_NS6detail31init_lookback_scan_state_kernelINS1_19lookback_scan_stateIjLb1ELb1EEENS1_16block_id_wrapperIjLb0EEEEEvT_jT0_jPNS7_10value_typeE.uses_vcc, 1
	.set _ZN7rocprim17ROCPRIM_400000_NS6detail31init_lookback_scan_state_kernelINS1_19lookback_scan_stateIjLb1ELb1EEENS1_16block_id_wrapperIjLb0EEEEEvT_jT0_jPNS7_10value_typeE.uses_flat_scratch, 0
	.set _ZN7rocprim17ROCPRIM_400000_NS6detail31init_lookback_scan_state_kernelINS1_19lookback_scan_stateIjLb1ELb1EEENS1_16block_id_wrapperIjLb0EEEEEvT_jT0_jPNS7_10value_typeE.has_dyn_sized_stack, 0
	.set _ZN7rocprim17ROCPRIM_400000_NS6detail31init_lookback_scan_state_kernelINS1_19lookback_scan_stateIjLb1ELb1EEENS1_16block_id_wrapperIjLb0EEEEEvT_jT0_jPNS7_10value_typeE.has_recursion, 0
	.set _ZN7rocprim17ROCPRIM_400000_NS6detail31init_lookback_scan_state_kernelINS1_19lookback_scan_stateIjLb1ELb1EEENS1_16block_id_wrapperIjLb0EEEEEvT_jT0_jPNS7_10value_typeE.has_indirect_call, 0
	.section	.AMDGPU.csdata,"",@progbits
; Kernel info:
; codeLenInByte = 404
; TotalNumSgprs: 13
; NumVgprs: 5
; ScratchSize: 0
; MemoryBound: 0
; FloatMode: 240
; IeeeMode: 1
; LDSByteSize: 0 bytes/workgroup (compile time only)
; SGPRBlocks: 0
; VGPRBlocks: 0
; NumSGPRsForWavesPerEU: 13
; NumVGPRsForWavesPerEU: 5
; NamedBarCnt: 0
; Occupancy: 16
; WaveLimiterHint : 0
; COMPUTE_PGM_RSRC2:SCRATCH_EN: 0
; COMPUTE_PGM_RSRC2:USER_SGPR: 2
; COMPUTE_PGM_RSRC2:TRAP_HANDLER: 0
; COMPUTE_PGM_RSRC2:TGID_X_EN: 1
; COMPUTE_PGM_RSRC2:TGID_Y_EN: 0
; COMPUTE_PGM_RSRC2:TGID_Z_EN: 0
; COMPUTE_PGM_RSRC2:TIDIG_COMP_CNT: 0
	.section	.text._ZN7rocprim17ROCPRIM_400000_NS6detail17trampoline_kernelINS0_14default_configENS1_25partition_config_selectorILNS1_17partition_subalgoE8ElNS0_10empty_typeEbEEZZNS1_14partition_implILS5_8ELb0ES3_jPlPS6_PKS6_NS0_5tupleIJS9_S6_EEENSD_IJSA_SA_EEENS0_18inequality_wrapperIZN2at6native12_GLOBAL__N_124unique_dim_cuda_templateIhEESt5tupleIJNSH_6TensorESM_SM_EERKSM_lbbbEUlllE0_EEPmJS6_EEE10hipError_tPvRmT3_T4_T5_T6_T7_T9_mT8_P12ihipStream_tbDpT10_ENKUlT_T0_E_clISt17integral_constantIbLb1EES1B_IbLb0EEEEDaS17_S18_EUlS17_E_NS1_11comp_targetILNS1_3genE0ELNS1_11target_archE4294967295ELNS1_3gpuE0ELNS1_3repE0EEENS1_30default_config_static_selectorELNS0_4arch9wavefront6targetE0EEEvT1_,"axG",@progbits,_ZN7rocprim17ROCPRIM_400000_NS6detail17trampoline_kernelINS0_14default_configENS1_25partition_config_selectorILNS1_17partition_subalgoE8ElNS0_10empty_typeEbEEZZNS1_14partition_implILS5_8ELb0ES3_jPlPS6_PKS6_NS0_5tupleIJS9_S6_EEENSD_IJSA_SA_EEENS0_18inequality_wrapperIZN2at6native12_GLOBAL__N_124unique_dim_cuda_templateIhEESt5tupleIJNSH_6TensorESM_SM_EERKSM_lbbbEUlllE0_EEPmJS6_EEE10hipError_tPvRmT3_T4_T5_T6_T7_T9_mT8_P12ihipStream_tbDpT10_ENKUlT_T0_E_clISt17integral_constantIbLb1EES1B_IbLb0EEEEDaS17_S18_EUlS17_E_NS1_11comp_targetILNS1_3genE0ELNS1_11target_archE4294967295ELNS1_3gpuE0ELNS1_3repE0EEENS1_30default_config_static_selectorELNS0_4arch9wavefront6targetE0EEEvT1_,comdat
	.globl	_ZN7rocprim17ROCPRIM_400000_NS6detail17trampoline_kernelINS0_14default_configENS1_25partition_config_selectorILNS1_17partition_subalgoE8ElNS0_10empty_typeEbEEZZNS1_14partition_implILS5_8ELb0ES3_jPlPS6_PKS6_NS0_5tupleIJS9_S6_EEENSD_IJSA_SA_EEENS0_18inequality_wrapperIZN2at6native12_GLOBAL__N_124unique_dim_cuda_templateIhEESt5tupleIJNSH_6TensorESM_SM_EERKSM_lbbbEUlllE0_EEPmJS6_EEE10hipError_tPvRmT3_T4_T5_T6_T7_T9_mT8_P12ihipStream_tbDpT10_ENKUlT_T0_E_clISt17integral_constantIbLb1EES1B_IbLb0EEEEDaS17_S18_EUlS17_E_NS1_11comp_targetILNS1_3genE0ELNS1_11target_archE4294967295ELNS1_3gpuE0ELNS1_3repE0EEENS1_30default_config_static_selectorELNS0_4arch9wavefront6targetE0EEEvT1_ ; -- Begin function _ZN7rocprim17ROCPRIM_400000_NS6detail17trampoline_kernelINS0_14default_configENS1_25partition_config_selectorILNS1_17partition_subalgoE8ElNS0_10empty_typeEbEEZZNS1_14partition_implILS5_8ELb0ES3_jPlPS6_PKS6_NS0_5tupleIJS9_S6_EEENSD_IJSA_SA_EEENS0_18inequality_wrapperIZN2at6native12_GLOBAL__N_124unique_dim_cuda_templateIhEESt5tupleIJNSH_6TensorESM_SM_EERKSM_lbbbEUlllE0_EEPmJS6_EEE10hipError_tPvRmT3_T4_T5_T6_T7_T9_mT8_P12ihipStream_tbDpT10_ENKUlT_T0_E_clISt17integral_constantIbLb1EES1B_IbLb0EEEEDaS17_S18_EUlS17_E_NS1_11comp_targetILNS1_3genE0ELNS1_11target_archE4294967295ELNS1_3gpuE0ELNS1_3repE0EEENS1_30default_config_static_selectorELNS0_4arch9wavefront6targetE0EEEvT1_
	.p2align	8
	.type	_ZN7rocprim17ROCPRIM_400000_NS6detail17trampoline_kernelINS0_14default_configENS1_25partition_config_selectorILNS1_17partition_subalgoE8ElNS0_10empty_typeEbEEZZNS1_14partition_implILS5_8ELb0ES3_jPlPS6_PKS6_NS0_5tupleIJS9_S6_EEENSD_IJSA_SA_EEENS0_18inequality_wrapperIZN2at6native12_GLOBAL__N_124unique_dim_cuda_templateIhEESt5tupleIJNSH_6TensorESM_SM_EERKSM_lbbbEUlllE0_EEPmJS6_EEE10hipError_tPvRmT3_T4_T5_T6_T7_T9_mT8_P12ihipStream_tbDpT10_ENKUlT_T0_E_clISt17integral_constantIbLb1EES1B_IbLb0EEEEDaS17_S18_EUlS17_E_NS1_11comp_targetILNS1_3genE0ELNS1_11target_archE4294967295ELNS1_3gpuE0ELNS1_3repE0EEENS1_30default_config_static_selectorELNS0_4arch9wavefront6targetE0EEEvT1_,@function
_ZN7rocprim17ROCPRIM_400000_NS6detail17trampoline_kernelINS0_14default_configENS1_25partition_config_selectorILNS1_17partition_subalgoE8ElNS0_10empty_typeEbEEZZNS1_14partition_implILS5_8ELb0ES3_jPlPS6_PKS6_NS0_5tupleIJS9_S6_EEENSD_IJSA_SA_EEENS0_18inequality_wrapperIZN2at6native12_GLOBAL__N_124unique_dim_cuda_templateIhEESt5tupleIJNSH_6TensorESM_SM_EERKSM_lbbbEUlllE0_EEPmJS6_EEE10hipError_tPvRmT3_T4_T5_T6_T7_T9_mT8_P12ihipStream_tbDpT10_ENKUlT_T0_E_clISt17integral_constantIbLb1EES1B_IbLb0EEEEDaS17_S18_EUlS17_E_NS1_11comp_targetILNS1_3genE0ELNS1_11target_archE4294967295ELNS1_3gpuE0ELNS1_3repE0EEENS1_30default_config_static_selectorELNS0_4arch9wavefront6targetE0EEEvT1_: ; @_ZN7rocprim17ROCPRIM_400000_NS6detail17trampoline_kernelINS0_14default_configENS1_25partition_config_selectorILNS1_17partition_subalgoE8ElNS0_10empty_typeEbEEZZNS1_14partition_implILS5_8ELb0ES3_jPlPS6_PKS6_NS0_5tupleIJS9_S6_EEENSD_IJSA_SA_EEENS0_18inequality_wrapperIZN2at6native12_GLOBAL__N_124unique_dim_cuda_templateIhEESt5tupleIJNSH_6TensorESM_SM_EERKSM_lbbbEUlllE0_EEPmJS6_EEE10hipError_tPvRmT3_T4_T5_T6_T7_T9_mT8_P12ihipStream_tbDpT10_ENKUlT_T0_E_clISt17integral_constantIbLb1EES1B_IbLb0EEEEDaS17_S18_EUlS17_E_NS1_11comp_targetILNS1_3genE0ELNS1_11target_archE4294967295ELNS1_3gpuE0ELNS1_3repE0EEENS1_30default_config_static_selectorELNS0_4arch9wavefront6targetE0EEEvT1_
; %bb.0:
	s_endpgm
	.section	.rodata,"a",@progbits
	.p2align	6, 0x0
	.amdhsa_kernel _ZN7rocprim17ROCPRIM_400000_NS6detail17trampoline_kernelINS0_14default_configENS1_25partition_config_selectorILNS1_17partition_subalgoE8ElNS0_10empty_typeEbEEZZNS1_14partition_implILS5_8ELb0ES3_jPlPS6_PKS6_NS0_5tupleIJS9_S6_EEENSD_IJSA_SA_EEENS0_18inequality_wrapperIZN2at6native12_GLOBAL__N_124unique_dim_cuda_templateIhEESt5tupleIJNSH_6TensorESM_SM_EERKSM_lbbbEUlllE0_EEPmJS6_EEE10hipError_tPvRmT3_T4_T5_T6_T7_T9_mT8_P12ihipStream_tbDpT10_ENKUlT_T0_E_clISt17integral_constantIbLb1EES1B_IbLb0EEEEDaS17_S18_EUlS17_E_NS1_11comp_targetILNS1_3genE0ELNS1_11target_archE4294967295ELNS1_3gpuE0ELNS1_3repE0EEENS1_30default_config_static_selectorELNS0_4arch9wavefront6targetE0EEEvT1_
		.amdhsa_group_segment_fixed_size 0
		.amdhsa_private_segment_fixed_size 0
		.amdhsa_kernarg_size 120
		.amdhsa_user_sgpr_count 2
		.amdhsa_user_sgpr_dispatch_ptr 0
		.amdhsa_user_sgpr_queue_ptr 0
		.amdhsa_user_sgpr_kernarg_segment_ptr 1
		.amdhsa_user_sgpr_dispatch_id 0
		.amdhsa_user_sgpr_kernarg_preload_length 0
		.amdhsa_user_sgpr_kernarg_preload_offset 0
		.amdhsa_user_sgpr_private_segment_size 0
		.amdhsa_wavefront_size32 1
		.amdhsa_uses_dynamic_stack 0
		.amdhsa_enable_private_segment 0
		.amdhsa_system_sgpr_workgroup_id_x 1
		.amdhsa_system_sgpr_workgroup_id_y 0
		.amdhsa_system_sgpr_workgroup_id_z 0
		.amdhsa_system_sgpr_workgroup_info 0
		.amdhsa_system_vgpr_workitem_id 0
		.amdhsa_next_free_vgpr 1
		.amdhsa_next_free_sgpr 1
		.amdhsa_named_barrier_count 0
		.amdhsa_reserve_vcc 0
		.amdhsa_float_round_mode_32 0
		.amdhsa_float_round_mode_16_64 0
		.amdhsa_float_denorm_mode_32 3
		.amdhsa_float_denorm_mode_16_64 3
		.amdhsa_fp16_overflow 0
		.amdhsa_memory_ordered 1
		.amdhsa_forward_progress 1
		.amdhsa_inst_pref_size 1
		.amdhsa_round_robin_scheduling 0
		.amdhsa_exception_fp_ieee_invalid_op 0
		.amdhsa_exception_fp_denorm_src 0
		.amdhsa_exception_fp_ieee_div_zero 0
		.amdhsa_exception_fp_ieee_overflow 0
		.amdhsa_exception_fp_ieee_underflow 0
		.amdhsa_exception_fp_ieee_inexact 0
		.amdhsa_exception_int_div_zero 0
	.end_amdhsa_kernel
	.section	.text._ZN7rocprim17ROCPRIM_400000_NS6detail17trampoline_kernelINS0_14default_configENS1_25partition_config_selectorILNS1_17partition_subalgoE8ElNS0_10empty_typeEbEEZZNS1_14partition_implILS5_8ELb0ES3_jPlPS6_PKS6_NS0_5tupleIJS9_S6_EEENSD_IJSA_SA_EEENS0_18inequality_wrapperIZN2at6native12_GLOBAL__N_124unique_dim_cuda_templateIhEESt5tupleIJNSH_6TensorESM_SM_EERKSM_lbbbEUlllE0_EEPmJS6_EEE10hipError_tPvRmT3_T4_T5_T6_T7_T9_mT8_P12ihipStream_tbDpT10_ENKUlT_T0_E_clISt17integral_constantIbLb1EES1B_IbLb0EEEEDaS17_S18_EUlS17_E_NS1_11comp_targetILNS1_3genE0ELNS1_11target_archE4294967295ELNS1_3gpuE0ELNS1_3repE0EEENS1_30default_config_static_selectorELNS0_4arch9wavefront6targetE0EEEvT1_,"axG",@progbits,_ZN7rocprim17ROCPRIM_400000_NS6detail17trampoline_kernelINS0_14default_configENS1_25partition_config_selectorILNS1_17partition_subalgoE8ElNS0_10empty_typeEbEEZZNS1_14partition_implILS5_8ELb0ES3_jPlPS6_PKS6_NS0_5tupleIJS9_S6_EEENSD_IJSA_SA_EEENS0_18inequality_wrapperIZN2at6native12_GLOBAL__N_124unique_dim_cuda_templateIhEESt5tupleIJNSH_6TensorESM_SM_EERKSM_lbbbEUlllE0_EEPmJS6_EEE10hipError_tPvRmT3_T4_T5_T6_T7_T9_mT8_P12ihipStream_tbDpT10_ENKUlT_T0_E_clISt17integral_constantIbLb1EES1B_IbLb0EEEEDaS17_S18_EUlS17_E_NS1_11comp_targetILNS1_3genE0ELNS1_11target_archE4294967295ELNS1_3gpuE0ELNS1_3repE0EEENS1_30default_config_static_selectorELNS0_4arch9wavefront6targetE0EEEvT1_,comdat
.Lfunc_end187:
	.size	_ZN7rocprim17ROCPRIM_400000_NS6detail17trampoline_kernelINS0_14default_configENS1_25partition_config_selectorILNS1_17partition_subalgoE8ElNS0_10empty_typeEbEEZZNS1_14partition_implILS5_8ELb0ES3_jPlPS6_PKS6_NS0_5tupleIJS9_S6_EEENSD_IJSA_SA_EEENS0_18inequality_wrapperIZN2at6native12_GLOBAL__N_124unique_dim_cuda_templateIhEESt5tupleIJNSH_6TensorESM_SM_EERKSM_lbbbEUlllE0_EEPmJS6_EEE10hipError_tPvRmT3_T4_T5_T6_T7_T9_mT8_P12ihipStream_tbDpT10_ENKUlT_T0_E_clISt17integral_constantIbLb1EES1B_IbLb0EEEEDaS17_S18_EUlS17_E_NS1_11comp_targetILNS1_3genE0ELNS1_11target_archE4294967295ELNS1_3gpuE0ELNS1_3repE0EEENS1_30default_config_static_selectorELNS0_4arch9wavefront6targetE0EEEvT1_, .Lfunc_end187-_ZN7rocprim17ROCPRIM_400000_NS6detail17trampoline_kernelINS0_14default_configENS1_25partition_config_selectorILNS1_17partition_subalgoE8ElNS0_10empty_typeEbEEZZNS1_14partition_implILS5_8ELb0ES3_jPlPS6_PKS6_NS0_5tupleIJS9_S6_EEENSD_IJSA_SA_EEENS0_18inequality_wrapperIZN2at6native12_GLOBAL__N_124unique_dim_cuda_templateIhEESt5tupleIJNSH_6TensorESM_SM_EERKSM_lbbbEUlllE0_EEPmJS6_EEE10hipError_tPvRmT3_T4_T5_T6_T7_T9_mT8_P12ihipStream_tbDpT10_ENKUlT_T0_E_clISt17integral_constantIbLb1EES1B_IbLb0EEEEDaS17_S18_EUlS17_E_NS1_11comp_targetILNS1_3genE0ELNS1_11target_archE4294967295ELNS1_3gpuE0ELNS1_3repE0EEENS1_30default_config_static_selectorELNS0_4arch9wavefront6targetE0EEEvT1_
                                        ; -- End function
	.set _ZN7rocprim17ROCPRIM_400000_NS6detail17trampoline_kernelINS0_14default_configENS1_25partition_config_selectorILNS1_17partition_subalgoE8ElNS0_10empty_typeEbEEZZNS1_14partition_implILS5_8ELb0ES3_jPlPS6_PKS6_NS0_5tupleIJS9_S6_EEENSD_IJSA_SA_EEENS0_18inequality_wrapperIZN2at6native12_GLOBAL__N_124unique_dim_cuda_templateIhEESt5tupleIJNSH_6TensorESM_SM_EERKSM_lbbbEUlllE0_EEPmJS6_EEE10hipError_tPvRmT3_T4_T5_T6_T7_T9_mT8_P12ihipStream_tbDpT10_ENKUlT_T0_E_clISt17integral_constantIbLb1EES1B_IbLb0EEEEDaS17_S18_EUlS17_E_NS1_11comp_targetILNS1_3genE0ELNS1_11target_archE4294967295ELNS1_3gpuE0ELNS1_3repE0EEENS1_30default_config_static_selectorELNS0_4arch9wavefront6targetE0EEEvT1_.num_vgpr, 0
	.set _ZN7rocprim17ROCPRIM_400000_NS6detail17trampoline_kernelINS0_14default_configENS1_25partition_config_selectorILNS1_17partition_subalgoE8ElNS0_10empty_typeEbEEZZNS1_14partition_implILS5_8ELb0ES3_jPlPS6_PKS6_NS0_5tupleIJS9_S6_EEENSD_IJSA_SA_EEENS0_18inequality_wrapperIZN2at6native12_GLOBAL__N_124unique_dim_cuda_templateIhEESt5tupleIJNSH_6TensorESM_SM_EERKSM_lbbbEUlllE0_EEPmJS6_EEE10hipError_tPvRmT3_T4_T5_T6_T7_T9_mT8_P12ihipStream_tbDpT10_ENKUlT_T0_E_clISt17integral_constantIbLb1EES1B_IbLb0EEEEDaS17_S18_EUlS17_E_NS1_11comp_targetILNS1_3genE0ELNS1_11target_archE4294967295ELNS1_3gpuE0ELNS1_3repE0EEENS1_30default_config_static_selectorELNS0_4arch9wavefront6targetE0EEEvT1_.num_agpr, 0
	.set _ZN7rocprim17ROCPRIM_400000_NS6detail17trampoline_kernelINS0_14default_configENS1_25partition_config_selectorILNS1_17partition_subalgoE8ElNS0_10empty_typeEbEEZZNS1_14partition_implILS5_8ELb0ES3_jPlPS6_PKS6_NS0_5tupleIJS9_S6_EEENSD_IJSA_SA_EEENS0_18inequality_wrapperIZN2at6native12_GLOBAL__N_124unique_dim_cuda_templateIhEESt5tupleIJNSH_6TensorESM_SM_EERKSM_lbbbEUlllE0_EEPmJS6_EEE10hipError_tPvRmT3_T4_T5_T6_T7_T9_mT8_P12ihipStream_tbDpT10_ENKUlT_T0_E_clISt17integral_constantIbLb1EES1B_IbLb0EEEEDaS17_S18_EUlS17_E_NS1_11comp_targetILNS1_3genE0ELNS1_11target_archE4294967295ELNS1_3gpuE0ELNS1_3repE0EEENS1_30default_config_static_selectorELNS0_4arch9wavefront6targetE0EEEvT1_.numbered_sgpr, 0
	.set _ZN7rocprim17ROCPRIM_400000_NS6detail17trampoline_kernelINS0_14default_configENS1_25partition_config_selectorILNS1_17partition_subalgoE8ElNS0_10empty_typeEbEEZZNS1_14partition_implILS5_8ELb0ES3_jPlPS6_PKS6_NS0_5tupleIJS9_S6_EEENSD_IJSA_SA_EEENS0_18inequality_wrapperIZN2at6native12_GLOBAL__N_124unique_dim_cuda_templateIhEESt5tupleIJNSH_6TensorESM_SM_EERKSM_lbbbEUlllE0_EEPmJS6_EEE10hipError_tPvRmT3_T4_T5_T6_T7_T9_mT8_P12ihipStream_tbDpT10_ENKUlT_T0_E_clISt17integral_constantIbLb1EES1B_IbLb0EEEEDaS17_S18_EUlS17_E_NS1_11comp_targetILNS1_3genE0ELNS1_11target_archE4294967295ELNS1_3gpuE0ELNS1_3repE0EEENS1_30default_config_static_selectorELNS0_4arch9wavefront6targetE0EEEvT1_.num_named_barrier, 0
	.set _ZN7rocprim17ROCPRIM_400000_NS6detail17trampoline_kernelINS0_14default_configENS1_25partition_config_selectorILNS1_17partition_subalgoE8ElNS0_10empty_typeEbEEZZNS1_14partition_implILS5_8ELb0ES3_jPlPS6_PKS6_NS0_5tupleIJS9_S6_EEENSD_IJSA_SA_EEENS0_18inequality_wrapperIZN2at6native12_GLOBAL__N_124unique_dim_cuda_templateIhEESt5tupleIJNSH_6TensorESM_SM_EERKSM_lbbbEUlllE0_EEPmJS6_EEE10hipError_tPvRmT3_T4_T5_T6_T7_T9_mT8_P12ihipStream_tbDpT10_ENKUlT_T0_E_clISt17integral_constantIbLb1EES1B_IbLb0EEEEDaS17_S18_EUlS17_E_NS1_11comp_targetILNS1_3genE0ELNS1_11target_archE4294967295ELNS1_3gpuE0ELNS1_3repE0EEENS1_30default_config_static_selectorELNS0_4arch9wavefront6targetE0EEEvT1_.private_seg_size, 0
	.set _ZN7rocprim17ROCPRIM_400000_NS6detail17trampoline_kernelINS0_14default_configENS1_25partition_config_selectorILNS1_17partition_subalgoE8ElNS0_10empty_typeEbEEZZNS1_14partition_implILS5_8ELb0ES3_jPlPS6_PKS6_NS0_5tupleIJS9_S6_EEENSD_IJSA_SA_EEENS0_18inequality_wrapperIZN2at6native12_GLOBAL__N_124unique_dim_cuda_templateIhEESt5tupleIJNSH_6TensorESM_SM_EERKSM_lbbbEUlllE0_EEPmJS6_EEE10hipError_tPvRmT3_T4_T5_T6_T7_T9_mT8_P12ihipStream_tbDpT10_ENKUlT_T0_E_clISt17integral_constantIbLb1EES1B_IbLb0EEEEDaS17_S18_EUlS17_E_NS1_11comp_targetILNS1_3genE0ELNS1_11target_archE4294967295ELNS1_3gpuE0ELNS1_3repE0EEENS1_30default_config_static_selectorELNS0_4arch9wavefront6targetE0EEEvT1_.uses_vcc, 0
	.set _ZN7rocprim17ROCPRIM_400000_NS6detail17trampoline_kernelINS0_14default_configENS1_25partition_config_selectorILNS1_17partition_subalgoE8ElNS0_10empty_typeEbEEZZNS1_14partition_implILS5_8ELb0ES3_jPlPS6_PKS6_NS0_5tupleIJS9_S6_EEENSD_IJSA_SA_EEENS0_18inequality_wrapperIZN2at6native12_GLOBAL__N_124unique_dim_cuda_templateIhEESt5tupleIJNSH_6TensorESM_SM_EERKSM_lbbbEUlllE0_EEPmJS6_EEE10hipError_tPvRmT3_T4_T5_T6_T7_T9_mT8_P12ihipStream_tbDpT10_ENKUlT_T0_E_clISt17integral_constantIbLb1EES1B_IbLb0EEEEDaS17_S18_EUlS17_E_NS1_11comp_targetILNS1_3genE0ELNS1_11target_archE4294967295ELNS1_3gpuE0ELNS1_3repE0EEENS1_30default_config_static_selectorELNS0_4arch9wavefront6targetE0EEEvT1_.uses_flat_scratch, 0
	.set _ZN7rocprim17ROCPRIM_400000_NS6detail17trampoline_kernelINS0_14default_configENS1_25partition_config_selectorILNS1_17partition_subalgoE8ElNS0_10empty_typeEbEEZZNS1_14partition_implILS5_8ELb0ES3_jPlPS6_PKS6_NS0_5tupleIJS9_S6_EEENSD_IJSA_SA_EEENS0_18inequality_wrapperIZN2at6native12_GLOBAL__N_124unique_dim_cuda_templateIhEESt5tupleIJNSH_6TensorESM_SM_EERKSM_lbbbEUlllE0_EEPmJS6_EEE10hipError_tPvRmT3_T4_T5_T6_T7_T9_mT8_P12ihipStream_tbDpT10_ENKUlT_T0_E_clISt17integral_constantIbLb1EES1B_IbLb0EEEEDaS17_S18_EUlS17_E_NS1_11comp_targetILNS1_3genE0ELNS1_11target_archE4294967295ELNS1_3gpuE0ELNS1_3repE0EEENS1_30default_config_static_selectorELNS0_4arch9wavefront6targetE0EEEvT1_.has_dyn_sized_stack, 0
	.set _ZN7rocprim17ROCPRIM_400000_NS6detail17trampoline_kernelINS0_14default_configENS1_25partition_config_selectorILNS1_17partition_subalgoE8ElNS0_10empty_typeEbEEZZNS1_14partition_implILS5_8ELb0ES3_jPlPS6_PKS6_NS0_5tupleIJS9_S6_EEENSD_IJSA_SA_EEENS0_18inequality_wrapperIZN2at6native12_GLOBAL__N_124unique_dim_cuda_templateIhEESt5tupleIJNSH_6TensorESM_SM_EERKSM_lbbbEUlllE0_EEPmJS6_EEE10hipError_tPvRmT3_T4_T5_T6_T7_T9_mT8_P12ihipStream_tbDpT10_ENKUlT_T0_E_clISt17integral_constantIbLb1EES1B_IbLb0EEEEDaS17_S18_EUlS17_E_NS1_11comp_targetILNS1_3genE0ELNS1_11target_archE4294967295ELNS1_3gpuE0ELNS1_3repE0EEENS1_30default_config_static_selectorELNS0_4arch9wavefront6targetE0EEEvT1_.has_recursion, 0
	.set _ZN7rocprim17ROCPRIM_400000_NS6detail17trampoline_kernelINS0_14default_configENS1_25partition_config_selectorILNS1_17partition_subalgoE8ElNS0_10empty_typeEbEEZZNS1_14partition_implILS5_8ELb0ES3_jPlPS6_PKS6_NS0_5tupleIJS9_S6_EEENSD_IJSA_SA_EEENS0_18inequality_wrapperIZN2at6native12_GLOBAL__N_124unique_dim_cuda_templateIhEESt5tupleIJNSH_6TensorESM_SM_EERKSM_lbbbEUlllE0_EEPmJS6_EEE10hipError_tPvRmT3_T4_T5_T6_T7_T9_mT8_P12ihipStream_tbDpT10_ENKUlT_T0_E_clISt17integral_constantIbLb1EES1B_IbLb0EEEEDaS17_S18_EUlS17_E_NS1_11comp_targetILNS1_3genE0ELNS1_11target_archE4294967295ELNS1_3gpuE0ELNS1_3repE0EEENS1_30default_config_static_selectorELNS0_4arch9wavefront6targetE0EEEvT1_.has_indirect_call, 0
	.section	.AMDGPU.csdata,"",@progbits
; Kernel info:
; codeLenInByte = 4
; TotalNumSgprs: 0
; NumVgprs: 0
; ScratchSize: 0
; MemoryBound: 0
; FloatMode: 240
; IeeeMode: 1
; LDSByteSize: 0 bytes/workgroup (compile time only)
; SGPRBlocks: 0
; VGPRBlocks: 0
; NumSGPRsForWavesPerEU: 1
; NumVGPRsForWavesPerEU: 1
; NamedBarCnt: 0
; Occupancy: 16
; WaveLimiterHint : 0
; COMPUTE_PGM_RSRC2:SCRATCH_EN: 0
; COMPUTE_PGM_RSRC2:USER_SGPR: 2
; COMPUTE_PGM_RSRC2:TRAP_HANDLER: 0
; COMPUTE_PGM_RSRC2:TGID_X_EN: 1
; COMPUTE_PGM_RSRC2:TGID_Y_EN: 0
; COMPUTE_PGM_RSRC2:TGID_Z_EN: 0
; COMPUTE_PGM_RSRC2:TIDIG_COMP_CNT: 0
	.section	.text._ZN7rocprim17ROCPRIM_400000_NS6detail17trampoline_kernelINS0_14default_configENS1_25partition_config_selectorILNS1_17partition_subalgoE8ElNS0_10empty_typeEbEEZZNS1_14partition_implILS5_8ELb0ES3_jPlPS6_PKS6_NS0_5tupleIJS9_S6_EEENSD_IJSA_SA_EEENS0_18inequality_wrapperIZN2at6native12_GLOBAL__N_124unique_dim_cuda_templateIhEESt5tupleIJNSH_6TensorESM_SM_EERKSM_lbbbEUlllE0_EEPmJS6_EEE10hipError_tPvRmT3_T4_T5_T6_T7_T9_mT8_P12ihipStream_tbDpT10_ENKUlT_T0_E_clISt17integral_constantIbLb1EES1B_IbLb0EEEEDaS17_S18_EUlS17_E_NS1_11comp_targetILNS1_3genE5ELNS1_11target_archE942ELNS1_3gpuE9ELNS1_3repE0EEENS1_30default_config_static_selectorELNS0_4arch9wavefront6targetE0EEEvT1_,"axG",@progbits,_ZN7rocprim17ROCPRIM_400000_NS6detail17trampoline_kernelINS0_14default_configENS1_25partition_config_selectorILNS1_17partition_subalgoE8ElNS0_10empty_typeEbEEZZNS1_14partition_implILS5_8ELb0ES3_jPlPS6_PKS6_NS0_5tupleIJS9_S6_EEENSD_IJSA_SA_EEENS0_18inequality_wrapperIZN2at6native12_GLOBAL__N_124unique_dim_cuda_templateIhEESt5tupleIJNSH_6TensorESM_SM_EERKSM_lbbbEUlllE0_EEPmJS6_EEE10hipError_tPvRmT3_T4_T5_T6_T7_T9_mT8_P12ihipStream_tbDpT10_ENKUlT_T0_E_clISt17integral_constantIbLb1EES1B_IbLb0EEEEDaS17_S18_EUlS17_E_NS1_11comp_targetILNS1_3genE5ELNS1_11target_archE942ELNS1_3gpuE9ELNS1_3repE0EEENS1_30default_config_static_selectorELNS0_4arch9wavefront6targetE0EEEvT1_,comdat
	.globl	_ZN7rocprim17ROCPRIM_400000_NS6detail17trampoline_kernelINS0_14default_configENS1_25partition_config_selectorILNS1_17partition_subalgoE8ElNS0_10empty_typeEbEEZZNS1_14partition_implILS5_8ELb0ES3_jPlPS6_PKS6_NS0_5tupleIJS9_S6_EEENSD_IJSA_SA_EEENS0_18inequality_wrapperIZN2at6native12_GLOBAL__N_124unique_dim_cuda_templateIhEESt5tupleIJNSH_6TensorESM_SM_EERKSM_lbbbEUlllE0_EEPmJS6_EEE10hipError_tPvRmT3_T4_T5_T6_T7_T9_mT8_P12ihipStream_tbDpT10_ENKUlT_T0_E_clISt17integral_constantIbLb1EES1B_IbLb0EEEEDaS17_S18_EUlS17_E_NS1_11comp_targetILNS1_3genE5ELNS1_11target_archE942ELNS1_3gpuE9ELNS1_3repE0EEENS1_30default_config_static_selectorELNS0_4arch9wavefront6targetE0EEEvT1_ ; -- Begin function _ZN7rocprim17ROCPRIM_400000_NS6detail17trampoline_kernelINS0_14default_configENS1_25partition_config_selectorILNS1_17partition_subalgoE8ElNS0_10empty_typeEbEEZZNS1_14partition_implILS5_8ELb0ES3_jPlPS6_PKS6_NS0_5tupleIJS9_S6_EEENSD_IJSA_SA_EEENS0_18inequality_wrapperIZN2at6native12_GLOBAL__N_124unique_dim_cuda_templateIhEESt5tupleIJNSH_6TensorESM_SM_EERKSM_lbbbEUlllE0_EEPmJS6_EEE10hipError_tPvRmT3_T4_T5_T6_T7_T9_mT8_P12ihipStream_tbDpT10_ENKUlT_T0_E_clISt17integral_constantIbLb1EES1B_IbLb0EEEEDaS17_S18_EUlS17_E_NS1_11comp_targetILNS1_3genE5ELNS1_11target_archE942ELNS1_3gpuE9ELNS1_3repE0EEENS1_30default_config_static_selectorELNS0_4arch9wavefront6targetE0EEEvT1_
	.p2align	8
	.type	_ZN7rocprim17ROCPRIM_400000_NS6detail17trampoline_kernelINS0_14default_configENS1_25partition_config_selectorILNS1_17partition_subalgoE8ElNS0_10empty_typeEbEEZZNS1_14partition_implILS5_8ELb0ES3_jPlPS6_PKS6_NS0_5tupleIJS9_S6_EEENSD_IJSA_SA_EEENS0_18inequality_wrapperIZN2at6native12_GLOBAL__N_124unique_dim_cuda_templateIhEESt5tupleIJNSH_6TensorESM_SM_EERKSM_lbbbEUlllE0_EEPmJS6_EEE10hipError_tPvRmT3_T4_T5_T6_T7_T9_mT8_P12ihipStream_tbDpT10_ENKUlT_T0_E_clISt17integral_constantIbLb1EES1B_IbLb0EEEEDaS17_S18_EUlS17_E_NS1_11comp_targetILNS1_3genE5ELNS1_11target_archE942ELNS1_3gpuE9ELNS1_3repE0EEENS1_30default_config_static_selectorELNS0_4arch9wavefront6targetE0EEEvT1_,@function
_ZN7rocprim17ROCPRIM_400000_NS6detail17trampoline_kernelINS0_14default_configENS1_25partition_config_selectorILNS1_17partition_subalgoE8ElNS0_10empty_typeEbEEZZNS1_14partition_implILS5_8ELb0ES3_jPlPS6_PKS6_NS0_5tupleIJS9_S6_EEENSD_IJSA_SA_EEENS0_18inequality_wrapperIZN2at6native12_GLOBAL__N_124unique_dim_cuda_templateIhEESt5tupleIJNSH_6TensorESM_SM_EERKSM_lbbbEUlllE0_EEPmJS6_EEE10hipError_tPvRmT3_T4_T5_T6_T7_T9_mT8_P12ihipStream_tbDpT10_ENKUlT_T0_E_clISt17integral_constantIbLb1EES1B_IbLb0EEEEDaS17_S18_EUlS17_E_NS1_11comp_targetILNS1_3genE5ELNS1_11target_archE942ELNS1_3gpuE9ELNS1_3repE0EEENS1_30default_config_static_selectorELNS0_4arch9wavefront6targetE0EEEvT1_: ; @_ZN7rocprim17ROCPRIM_400000_NS6detail17trampoline_kernelINS0_14default_configENS1_25partition_config_selectorILNS1_17partition_subalgoE8ElNS0_10empty_typeEbEEZZNS1_14partition_implILS5_8ELb0ES3_jPlPS6_PKS6_NS0_5tupleIJS9_S6_EEENSD_IJSA_SA_EEENS0_18inequality_wrapperIZN2at6native12_GLOBAL__N_124unique_dim_cuda_templateIhEESt5tupleIJNSH_6TensorESM_SM_EERKSM_lbbbEUlllE0_EEPmJS6_EEE10hipError_tPvRmT3_T4_T5_T6_T7_T9_mT8_P12ihipStream_tbDpT10_ENKUlT_T0_E_clISt17integral_constantIbLb1EES1B_IbLb0EEEEDaS17_S18_EUlS17_E_NS1_11comp_targetILNS1_3genE5ELNS1_11target_archE942ELNS1_3gpuE9ELNS1_3repE0EEENS1_30default_config_static_selectorELNS0_4arch9wavefront6targetE0EEEvT1_
; %bb.0:
	.section	.rodata,"a",@progbits
	.p2align	6, 0x0
	.amdhsa_kernel _ZN7rocprim17ROCPRIM_400000_NS6detail17trampoline_kernelINS0_14default_configENS1_25partition_config_selectorILNS1_17partition_subalgoE8ElNS0_10empty_typeEbEEZZNS1_14partition_implILS5_8ELb0ES3_jPlPS6_PKS6_NS0_5tupleIJS9_S6_EEENSD_IJSA_SA_EEENS0_18inequality_wrapperIZN2at6native12_GLOBAL__N_124unique_dim_cuda_templateIhEESt5tupleIJNSH_6TensorESM_SM_EERKSM_lbbbEUlllE0_EEPmJS6_EEE10hipError_tPvRmT3_T4_T5_T6_T7_T9_mT8_P12ihipStream_tbDpT10_ENKUlT_T0_E_clISt17integral_constantIbLb1EES1B_IbLb0EEEEDaS17_S18_EUlS17_E_NS1_11comp_targetILNS1_3genE5ELNS1_11target_archE942ELNS1_3gpuE9ELNS1_3repE0EEENS1_30default_config_static_selectorELNS0_4arch9wavefront6targetE0EEEvT1_
		.amdhsa_group_segment_fixed_size 0
		.amdhsa_private_segment_fixed_size 0
		.amdhsa_kernarg_size 120
		.amdhsa_user_sgpr_count 2
		.amdhsa_user_sgpr_dispatch_ptr 0
		.amdhsa_user_sgpr_queue_ptr 0
		.amdhsa_user_sgpr_kernarg_segment_ptr 1
		.amdhsa_user_sgpr_dispatch_id 0
		.amdhsa_user_sgpr_kernarg_preload_length 0
		.amdhsa_user_sgpr_kernarg_preload_offset 0
		.amdhsa_user_sgpr_private_segment_size 0
		.amdhsa_wavefront_size32 1
		.amdhsa_uses_dynamic_stack 0
		.amdhsa_enable_private_segment 0
		.amdhsa_system_sgpr_workgroup_id_x 1
		.amdhsa_system_sgpr_workgroup_id_y 0
		.amdhsa_system_sgpr_workgroup_id_z 0
		.amdhsa_system_sgpr_workgroup_info 0
		.amdhsa_system_vgpr_workitem_id 0
		.amdhsa_next_free_vgpr 1
		.amdhsa_next_free_sgpr 1
		.amdhsa_named_barrier_count 0
		.amdhsa_reserve_vcc 0
		.amdhsa_float_round_mode_32 0
		.amdhsa_float_round_mode_16_64 0
		.amdhsa_float_denorm_mode_32 3
		.amdhsa_float_denorm_mode_16_64 3
		.amdhsa_fp16_overflow 0
		.amdhsa_memory_ordered 1
		.amdhsa_forward_progress 1
		.amdhsa_inst_pref_size 0
		.amdhsa_round_robin_scheduling 0
		.amdhsa_exception_fp_ieee_invalid_op 0
		.amdhsa_exception_fp_denorm_src 0
		.amdhsa_exception_fp_ieee_div_zero 0
		.amdhsa_exception_fp_ieee_overflow 0
		.amdhsa_exception_fp_ieee_underflow 0
		.amdhsa_exception_fp_ieee_inexact 0
		.amdhsa_exception_int_div_zero 0
	.end_amdhsa_kernel
	.section	.text._ZN7rocprim17ROCPRIM_400000_NS6detail17trampoline_kernelINS0_14default_configENS1_25partition_config_selectorILNS1_17partition_subalgoE8ElNS0_10empty_typeEbEEZZNS1_14partition_implILS5_8ELb0ES3_jPlPS6_PKS6_NS0_5tupleIJS9_S6_EEENSD_IJSA_SA_EEENS0_18inequality_wrapperIZN2at6native12_GLOBAL__N_124unique_dim_cuda_templateIhEESt5tupleIJNSH_6TensorESM_SM_EERKSM_lbbbEUlllE0_EEPmJS6_EEE10hipError_tPvRmT3_T4_T5_T6_T7_T9_mT8_P12ihipStream_tbDpT10_ENKUlT_T0_E_clISt17integral_constantIbLb1EES1B_IbLb0EEEEDaS17_S18_EUlS17_E_NS1_11comp_targetILNS1_3genE5ELNS1_11target_archE942ELNS1_3gpuE9ELNS1_3repE0EEENS1_30default_config_static_selectorELNS0_4arch9wavefront6targetE0EEEvT1_,"axG",@progbits,_ZN7rocprim17ROCPRIM_400000_NS6detail17trampoline_kernelINS0_14default_configENS1_25partition_config_selectorILNS1_17partition_subalgoE8ElNS0_10empty_typeEbEEZZNS1_14partition_implILS5_8ELb0ES3_jPlPS6_PKS6_NS0_5tupleIJS9_S6_EEENSD_IJSA_SA_EEENS0_18inequality_wrapperIZN2at6native12_GLOBAL__N_124unique_dim_cuda_templateIhEESt5tupleIJNSH_6TensorESM_SM_EERKSM_lbbbEUlllE0_EEPmJS6_EEE10hipError_tPvRmT3_T4_T5_T6_T7_T9_mT8_P12ihipStream_tbDpT10_ENKUlT_T0_E_clISt17integral_constantIbLb1EES1B_IbLb0EEEEDaS17_S18_EUlS17_E_NS1_11comp_targetILNS1_3genE5ELNS1_11target_archE942ELNS1_3gpuE9ELNS1_3repE0EEENS1_30default_config_static_selectorELNS0_4arch9wavefront6targetE0EEEvT1_,comdat
.Lfunc_end188:
	.size	_ZN7rocprim17ROCPRIM_400000_NS6detail17trampoline_kernelINS0_14default_configENS1_25partition_config_selectorILNS1_17partition_subalgoE8ElNS0_10empty_typeEbEEZZNS1_14partition_implILS5_8ELb0ES3_jPlPS6_PKS6_NS0_5tupleIJS9_S6_EEENSD_IJSA_SA_EEENS0_18inequality_wrapperIZN2at6native12_GLOBAL__N_124unique_dim_cuda_templateIhEESt5tupleIJNSH_6TensorESM_SM_EERKSM_lbbbEUlllE0_EEPmJS6_EEE10hipError_tPvRmT3_T4_T5_T6_T7_T9_mT8_P12ihipStream_tbDpT10_ENKUlT_T0_E_clISt17integral_constantIbLb1EES1B_IbLb0EEEEDaS17_S18_EUlS17_E_NS1_11comp_targetILNS1_3genE5ELNS1_11target_archE942ELNS1_3gpuE9ELNS1_3repE0EEENS1_30default_config_static_selectorELNS0_4arch9wavefront6targetE0EEEvT1_, .Lfunc_end188-_ZN7rocprim17ROCPRIM_400000_NS6detail17trampoline_kernelINS0_14default_configENS1_25partition_config_selectorILNS1_17partition_subalgoE8ElNS0_10empty_typeEbEEZZNS1_14partition_implILS5_8ELb0ES3_jPlPS6_PKS6_NS0_5tupleIJS9_S6_EEENSD_IJSA_SA_EEENS0_18inequality_wrapperIZN2at6native12_GLOBAL__N_124unique_dim_cuda_templateIhEESt5tupleIJNSH_6TensorESM_SM_EERKSM_lbbbEUlllE0_EEPmJS6_EEE10hipError_tPvRmT3_T4_T5_T6_T7_T9_mT8_P12ihipStream_tbDpT10_ENKUlT_T0_E_clISt17integral_constantIbLb1EES1B_IbLb0EEEEDaS17_S18_EUlS17_E_NS1_11comp_targetILNS1_3genE5ELNS1_11target_archE942ELNS1_3gpuE9ELNS1_3repE0EEENS1_30default_config_static_selectorELNS0_4arch9wavefront6targetE0EEEvT1_
                                        ; -- End function
	.set _ZN7rocprim17ROCPRIM_400000_NS6detail17trampoline_kernelINS0_14default_configENS1_25partition_config_selectorILNS1_17partition_subalgoE8ElNS0_10empty_typeEbEEZZNS1_14partition_implILS5_8ELb0ES3_jPlPS6_PKS6_NS0_5tupleIJS9_S6_EEENSD_IJSA_SA_EEENS0_18inequality_wrapperIZN2at6native12_GLOBAL__N_124unique_dim_cuda_templateIhEESt5tupleIJNSH_6TensorESM_SM_EERKSM_lbbbEUlllE0_EEPmJS6_EEE10hipError_tPvRmT3_T4_T5_T6_T7_T9_mT8_P12ihipStream_tbDpT10_ENKUlT_T0_E_clISt17integral_constantIbLb1EES1B_IbLb0EEEEDaS17_S18_EUlS17_E_NS1_11comp_targetILNS1_3genE5ELNS1_11target_archE942ELNS1_3gpuE9ELNS1_3repE0EEENS1_30default_config_static_selectorELNS0_4arch9wavefront6targetE0EEEvT1_.num_vgpr, 0
	.set _ZN7rocprim17ROCPRIM_400000_NS6detail17trampoline_kernelINS0_14default_configENS1_25partition_config_selectorILNS1_17partition_subalgoE8ElNS0_10empty_typeEbEEZZNS1_14partition_implILS5_8ELb0ES3_jPlPS6_PKS6_NS0_5tupleIJS9_S6_EEENSD_IJSA_SA_EEENS0_18inequality_wrapperIZN2at6native12_GLOBAL__N_124unique_dim_cuda_templateIhEESt5tupleIJNSH_6TensorESM_SM_EERKSM_lbbbEUlllE0_EEPmJS6_EEE10hipError_tPvRmT3_T4_T5_T6_T7_T9_mT8_P12ihipStream_tbDpT10_ENKUlT_T0_E_clISt17integral_constantIbLb1EES1B_IbLb0EEEEDaS17_S18_EUlS17_E_NS1_11comp_targetILNS1_3genE5ELNS1_11target_archE942ELNS1_3gpuE9ELNS1_3repE0EEENS1_30default_config_static_selectorELNS0_4arch9wavefront6targetE0EEEvT1_.num_agpr, 0
	.set _ZN7rocprim17ROCPRIM_400000_NS6detail17trampoline_kernelINS0_14default_configENS1_25partition_config_selectorILNS1_17partition_subalgoE8ElNS0_10empty_typeEbEEZZNS1_14partition_implILS5_8ELb0ES3_jPlPS6_PKS6_NS0_5tupleIJS9_S6_EEENSD_IJSA_SA_EEENS0_18inequality_wrapperIZN2at6native12_GLOBAL__N_124unique_dim_cuda_templateIhEESt5tupleIJNSH_6TensorESM_SM_EERKSM_lbbbEUlllE0_EEPmJS6_EEE10hipError_tPvRmT3_T4_T5_T6_T7_T9_mT8_P12ihipStream_tbDpT10_ENKUlT_T0_E_clISt17integral_constantIbLb1EES1B_IbLb0EEEEDaS17_S18_EUlS17_E_NS1_11comp_targetILNS1_3genE5ELNS1_11target_archE942ELNS1_3gpuE9ELNS1_3repE0EEENS1_30default_config_static_selectorELNS0_4arch9wavefront6targetE0EEEvT1_.numbered_sgpr, 0
	.set _ZN7rocprim17ROCPRIM_400000_NS6detail17trampoline_kernelINS0_14default_configENS1_25partition_config_selectorILNS1_17partition_subalgoE8ElNS0_10empty_typeEbEEZZNS1_14partition_implILS5_8ELb0ES3_jPlPS6_PKS6_NS0_5tupleIJS9_S6_EEENSD_IJSA_SA_EEENS0_18inequality_wrapperIZN2at6native12_GLOBAL__N_124unique_dim_cuda_templateIhEESt5tupleIJNSH_6TensorESM_SM_EERKSM_lbbbEUlllE0_EEPmJS6_EEE10hipError_tPvRmT3_T4_T5_T6_T7_T9_mT8_P12ihipStream_tbDpT10_ENKUlT_T0_E_clISt17integral_constantIbLb1EES1B_IbLb0EEEEDaS17_S18_EUlS17_E_NS1_11comp_targetILNS1_3genE5ELNS1_11target_archE942ELNS1_3gpuE9ELNS1_3repE0EEENS1_30default_config_static_selectorELNS0_4arch9wavefront6targetE0EEEvT1_.num_named_barrier, 0
	.set _ZN7rocprim17ROCPRIM_400000_NS6detail17trampoline_kernelINS0_14default_configENS1_25partition_config_selectorILNS1_17partition_subalgoE8ElNS0_10empty_typeEbEEZZNS1_14partition_implILS5_8ELb0ES3_jPlPS6_PKS6_NS0_5tupleIJS9_S6_EEENSD_IJSA_SA_EEENS0_18inequality_wrapperIZN2at6native12_GLOBAL__N_124unique_dim_cuda_templateIhEESt5tupleIJNSH_6TensorESM_SM_EERKSM_lbbbEUlllE0_EEPmJS6_EEE10hipError_tPvRmT3_T4_T5_T6_T7_T9_mT8_P12ihipStream_tbDpT10_ENKUlT_T0_E_clISt17integral_constantIbLb1EES1B_IbLb0EEEEDaS17_S18_EUlS17_E_NS1_11comp_targetILNS1_3genE5ELNS1_11target_archE942ELNS1_3gpuE9ELNS1_3repE0EEENS1_30default_config_static_selectorELNS0_4arch9wavefront6targetE0EEEvT1_.private_seg_size, 0
	.set _ZN7rocprim17ROCPRIM_400000_NS6detail17trampoline_kernelINS0_14default_configENS1_25partition_config_selectorILNS1_17partition_subalgoE8ElNS0_10empty_typeEbEEZZNS1_14partition_implILS5_8ELb0ES3_jPlPS6_PKS6_NS0_5tupleIJS9_S6_EEENSD_IJSA_SA_EEENS0_18inequality_wrapperIZN2at6native12_GLOBAL__N_124unique_dim_cuda_templateIhEESt5tupleIJNSH_6TensorESM_SM_EERKSM_lbbbEUlllE0_EEPmJS6_EEE10hipError_tPvRmT3_T4_T5_T6_T7_T9_mT8_P12ihipStream_tbDpT10_ENKUlT_T0_E_clISt17integral_constantIbLb1EES1B_IbLb0EEEEDaS17_S18_EUlS17_E_NS1_11comp_targetILNS1_3genE5ELNS1_11target_archE942ELNS1_3gpuE9ELNS1_3repE0EEENS1_30default_config_static_selectorELNS0_4arch9wavefront6targetE0EEEvT1_.uses_vcc, 0
	.set _ZN7rocprim17ROCPRIM_400000_NS6detail17trampoline_kernelINS0_14default_configENS1_25partition_config_selectorILNS1_17partition_subalgoE8ElNS0_10empty_typeEbEEZZNS1_14partition_implILS5_8ELb0ES3_jPlPS6_PKS6_NS0_5tupleIJS9_S6_EEENSD_IJSA_SA_EEENS0_18inequality_wrapperIZN2at6native12_GLOBAL__N_124unique_dim_cuda_templateIhEESt5tupleIJNSH_6TensorESM_SM_EERKSM_lbbbEUlllE0_EEPmJS6_EEE10hipError_tPvRmT3_T4_T5_T6_T7_T9_mT8_P12ihipStream_tbDpT10_ENKUlT_T0_E_clISt17integral_constantIbLb1EES1B_IbLb0EEEEDaS17_S18_EUlS17_E_NS1_11comp_targetILNS1_3genE5ELNS1_11target_archE942ELNS1_3gpuE9ELNS1_3repE0EEENS1_30default_config_static_selectorELNS0_4arch9wavefront6targetE0EEEvT1_.uses_flat_scratch, 0
	.set _ZN7rocprim17ROCPRIM_400000_NS6detail17trampoline_kernelINS0_14default_configENS1_25partition_config_selectorILNS1_17partition_subalgoE8ElNS0_10empty_typeEbEEZZNS1_14partition_implILS5_8ELb0ES3_jPlPS6_PKS6_NS0_5tupleIJS9_S6_EEENSD_IJSA_SA_EEENS0_18inequality_wrapperIZN2at6native12_GLOBAL__N_124unique_dim_cuda_templateIhEESt5tupleIJNSH_6TensorESM_SM_EERKSM_lbbbEUlllE0_EEPmJS6_EEE10hipError_tPvRmT3_T4_T5_T6_T7_T9_mT8_P12ihipStream_tbDpT10_ENKUlT_T0_E_clISt17integral_constantIbLb1EES1B_IbLb0EEEEDaS17_S18_EUlS17_E_NS1_11comp_targetILNS1_3genE5ELNS1_11target_archE942ELNS1_3gpuE9ELNS1_3repE0EEENS1_30default_config_static_selectorELNS0_4arch9wavefront6targetE0EEEvT1_.has_dyn_sized_stack, 0
	.set _ZN7rocprim17ROCPRIM_400000_NS6detail17trampoline_kernelINS0_14default_configENS1_25partition_config_selectorILNS1_17partition_subalgoE8ElNS0_10empty_typeEbEEZZNS1_14partition_implILS5_8ELb0ES3_jPlPS6_PKS6_NS0_5tupleIJS9_S6_EEENSD_IJSA_SA_EEENS0_18inequality_wrapperIZN2at6native12_GLOBAL__N_124unique_dim_cuda_templateIhEESt5tupleIJNSH_6TensorESM_SM_EERKSM_lbbbEUlllE0_EEPmJS6_EEE10hipError_tPvRmT3_T4_T5_T6_T7_T9_mT8_P12ihipStream_tbDpT10_ENKUlT_T0_E_clISt17integral_constantIbLb1EES1B_IbLb0EEEEDaS17_S18_EUlS17_E_NS1_11comp_targetILNS1_3genE5ELNS1_11target_archE942ELNS1_3gpuE9ELNS1_3repE0EEENS1_30default_config_static_selectorELNS0_4arch9wavefront6targetE0EEEvT1_.has_recursion, 0
	.set _ZN7rocprim17ROCPRIM_400000_NS6detail17trampoline_kernelINS0_14default_configENS1_25partition_config_selectorILNS1_17partition_subalgoE8ElNS0_10empty_typeEbEEZZNS1_14partition_implILS5_8ELb0ES3_jPlPS6_PKS6_NS0_5tupleIJS9_S6_EEENSD_IJSA_SA_EEENS0_18inequality_wrapperIZN2at6native12_GLOBAL__N_124unique_dim_cuda_templateIhEESt5tupleIJNSH_6TensorESM_SM_EERKSM_lbbbEUlllE0_EEPmJS6_EEE10hipError_tPvRmT3_T4_T5_T6_T7_T9_mT8_P12ihipStream_tbDpT10_ENKUlT_T0_E_clISt17integral_constantIbLb1EES1B_IbLb0EEEEDaS17_S18_EUlS17_E_NS1_11comp_targetILNS1_3genE5ELNS1_11target_archE942ELNS1_3gpuE9ELNS1_3repE0EEENS1_30default_config_static_selectorELNS0_4arch9wavefront6targetE0EEEvT1_.has_indirect_call, 0
	.section	.AMDGPU.csdata,"",@progbits
; Kernel info:
; codeLenInByte = 0
; TotalNumSgprs: 0
; NumVgprs: 0
; ScratchSize: 0
; MemoryBound: 0
; FloatMode: 240
; IeeeMode: 1
; LDSByteSize: 0 bytes/workgroup (compile time only)
; SGPRBlocks: 0
; VGPRBlocks: 0
; NumSGPRsForWavesPerEU: 1
; NumVGPRsForWavesPerEU: 1
; NamedBarCnt: 0
; Occupancy: 16
; WaveLimiterHint : 0
; COMPUTE_PGM_RSRC2:SCRATCH_EN: 0
; COMPUTE_PGM_RSRC2:USER_SGPR: 2
; COMPUTE_PGM_RSRC2:TRAP_HANDLER: 0
; COMPUTE_PGM_RSRC2:TGID_X_EN: 1
; COMPUTE_PGM_RSRC2:TGID_Y_EN: 0
; COMPUTE_PGM_RSRC2:TGID_Z_EN: 0
; COMPUTE_PGM_RSRC2:TIDIG_COMP_CNT: 0
	.section	.text._ZN7rocprim17ROCPRIM_400000_NS6detail17trampoline_kernelINS0_14default_configENS1_25partition_config_selectorILNS1_17partition_subalgoE8ElNS0_10empty_typeEbEEZZNS1_14partition_implILS5_8ELb0ES3_jPlPS6_PKS6_NS0_5tupleIJS9_S6_EEENSD_IJSA_SA_EEENS0_18inequality_wrapperIZN2at6native12_GLOBAL__N_124unique_dim_cuda_templateIhEESt5tupleIJNSH_6TensorESM_SM_EERKSM_lbbbEUlllE0_EEPmJS6_EEE10hipError_tPvRmT3_T4_T5_T6_T7_T9_mT8_P12ihipStream_tbDpT10_ENKUlT_T0_E_clISt17integral_constantIbLb1EES1B_IbLb0EEEEDaS17_S18_EUlS17_E_NS1_11comp_targetILNS1_3genE4ELNS1_11target_archE910ELNS1_3gpuE8ELNS1_3repE0EEENS1_30default_config_static_selectorELNS0_4arch9wavefront6targetE0EEEvT1_,"axG",@progbits,_ZN7rocprim17ROCPRIM_400000_NS6detail17trampoline_kernelINS0_14default_configENS1_25partition_config_selectorILNS1_17partition_subalgoE8ElNS0_10empty_typeEbEEZZNS1_14partition_implILS5_8ELb0ES3_jPlPS6_PKS6_NS0_5tupleIJS9_S6_EEENSD_IJSA_SA_EEENS0_18inequality_wrapperIZN2at6native12_GLOBAL__N_124unique_dim_cuda_templateIhEESt5tupleIJNSH_6TensorESM_SM_EERKSM_lbbbEUlllE0_EEPmJS6_EEE10hipError_tPvRmT3_T4_T5_T6_T7_T9_mT8_P12ihipStream_tbDpT10_ENKUlT_T0_E_clISt17integral_constantIbLb1EES1B_IbLb0EEEEDaS17_S18_EUlS17_E_NS1_11comp_targetILNS1_3genE4ELNS1_11target_archE910ELNS1_3gpuE8ELNS1_3repE0EEENS1_30default_config_static_selectorELNS0_4arch9wavefront6targetE0EEEvT1_,comdat
	.globl	_ZN7rocprim17ROCPRIM_400000_NS6detail17trampoline_kernelINS0_14default_configENS1_25partition_config_selectorILNS1_17partition_subalgoE8ElNS0_10empty_typeEbEEZZNS1_14partition_implILS5_8ELb0ES3_jPlPS6_PKS6_NS0_5tupleIJS9_S6_EEENSD_IJSA_SA_EEENS0_18inequality_wrapperIZN2at6native12_GLOBAL__N_124unique_dim_cuda_templateIhEESt5tupleIJNSH_6TensorESM_SM_EERKSM_lbbbEUlllE0_EEPmJS6_EEE10hipError_tPvRmT3_T4_T5_T6_T7_T9_mT8_P12ihipStream_tbDpT10_ENKUlT_T0_E_clISt17integral_constantIbLb1EES1B_IbLb0EEEEDaS17_S18_EUlS17_E_NS1_11comp_targetILNS1_3genE4ELNS1_11target_archE910ELNS1_3gpuE8ELNS1_3repE0EEENS1_30default_config_static_selectorELNS0_4arch9wavefront6targetE0EEEvT1_ ; -- Begin function _ZN7rocprim17ROCPRIM_400000_NS6detail17trampoline_kernelINS0_14default_configENS1_25partition_config_selectorILNS1_17partition_subalgoE8ElNS0_10empty_typeEbEEZZNS1_14partition_implILS5_8ELb0ES3_jPlPS6_PKS6_NS0_5tupleIJS9_S6_EEENSD_IJSA_SA_EEENS0_18inequality_wrapperIZN2at6native12_GLOBAL__N_124unique_dim_cuda_templateIhEESt5tupleIJNSH_6TensorESM_SM_EERKSM_lbbbEUlllE0_EEPmJS6_EEE10hipError_tPvRmT3_T4_T5_T6_T7_T9_mT8_P12ihipStream_tbDpT10_ENKUlT_T0_E_clISt17integral_constantIbLb1EES1B_IbLb0EEEEDaS17_S18_EUlS17_E_NS1_11comp_targetILNS1_3genE4ELNS1_11target_archE910ELNS1_3gpuE8ELNS1_3repE0EEENS1_30default_config_static_selectorELNS0_4arch9wavefront6targetE0EEEvT1_
	.p2align	8
	.type	_ZN7rocprim17ROCPRIM_400000_NS6detail17trampoline_kernelINS0_14default_configENS1_25partition_config_selectorILNS1_17partition_subalgoE8ElNS0_10empty_typeEbEEZZNS1_14partition_implILS5_8ELb0ES3_jPlPS6_PKS6_NS0_5tupleIJS9_S6_EEENSD_IJSA_SA_EEENS0_18inequality_wrapperIZN2at6native12_GLOBAL__N_124unique_dim_cuda_templateIhEESt5tupleIJNSH_6TensorESM_SM_EERKSM_lbbbEUlllE0_EEPmJS6_EEE10hipError_tPvRmT3_T4_T5_T6_T7_T9_mT8_P12ihipStream_tbDpT10_ENKUlT_T0_E_clISt17integral_constantIbLb1EES1B_IbLb0EEEEDaS17_S18_EUlS17_E_NS1_11comp_targetILNS1_3genE4ELNS1_11target_archE910ELNS1_3gpuE8ELNS1_3repE0EEENS1_30default_config_static_selectorELNS0_4arch9wavefront6targetE0EEEvT1_,@function
_ZN7rocprim17ROCPRIM_400000_NS6detail17trampoline_kernelINS0_14default_configENS1_25partition_config_selectorILNS1_17partition_subalgoE8ElNS0_10empty_typeEbEEZZNS1_14partition_implILS5_8ELb0ES3_jPlPS6_PKS6_NS0_5tupleIJS9_S6_EEENSD_IJSA_SA_EEENS0_18inequality_wrapperIZN2at6native12_GLOBAL__N_124unique_dim_cuda_templateIhEESt5tupleIJNSH_6TensorESM_SM_EERKSM_lbbbEUlllE0_EEPmJS6_EEE10hipError_tPvRmT3_T4_T5_T6_T7_T9_mT8_P12ihipStream_tbDpT10_ENKUlT_T0_E_clISt17integral_constantIbLb1EES1B_IbLb0EEEEDaS17_S18_EUlS17_E_NS1_11comp_targetILNS1_3genE4ELNS1_11target_archE910ELNS1_3gpuE8ELNS1_3repE0EEENS1_30default_config_static_selectorELNS0_4arch9wavefront6targetE0EEEvT1_: ; @_ZN7rocprim17ROCPRIM_400000_NS6detail17trampoline_kernelINS0_14default_configENS1_25partition_config_selectorILNS1_17partition_subalgoE8ElNS0_10empty_typeEbEEZZNS1_14partition_implILS5_8ELb0ES3_jPlPS6_PKS6_NS0_5tupleIJS9_S6_EEENSD_IJSA_SA_EEENS0_18inequality_wrapperIZN2at6native12_GLOBAL__N_124unique_dim_cuda_templateIhEESt5tupleIJNSH_6TensorESM_SM_EERKSM_lbbbEUlllE0_EEPmJS6_EEE10hipError_tPvRmT3_T4_T5_T6_T7_T9_mT8_P12ihipStream_tbDpT10_ENKUlT_T0_E_clISt17integral_constantIbLb1EES1B_IbLb0EEEEDaS17_S18_EUlS17_E_NS1_11comp_targetILNS1_3genE4ELNS1_11target_archE910ELNS1_3gpuE8ELNS1_3repE0EEENS1_30default_config_static_selectorELNS0_4arch9wavefront6targetE0EEEvT1_
; %bb.0:
	.section	.rodata,"a",@progbits
	.p2align	6, 0x0
	.amdhsa_kernel _ZN7rocprim17ROCPRIM_400000_NS6detail17trampoline_kernelINS0_14default_configENS1_25partition_config_selectorILNS1_17partition_subalgoE8ElNS0_10empty_typeEbEEZZNS1_14partition_implILS5_8ELb0ES3_jPlPS6_PKS6_NS0_5tupleIJS9_S6_EEENSD_IJSA_SA_EEENS0_18inequality_wrapperIZN2at6native12_GLOBAL__N_124unique_dim_cuda_templateIhEESt5tupleIJNSH_6TensorESM_SM_EERKSM_lbbbEUlllE0_EEPmJS6_EEE10hipError_tPvRmT3_T4_T5_T6_T7_T9_mT8_P12ihipStream_tbDpT10_ENKUlT_T0_E_clISt17integral_constantIbLb1EES1B_IbLb0EEEEDaS17_S18_EUlS17_E_NS1_11comp_targetILNS1_3genE4ELNS1_11target_archE910ELNS1_3gpuE8ELNS1_3repE0EEENS1_30default_config_static_selectorELNS0_4arch9wavefront6targetE0EEEvT1_
		.amdhsa_group_segment_fixed_size 0
		.amdhsa_private_segment_fixed_size 0
		.amdhsa_kernarg_size 120
		.amdhsa_user_sgpr_count 2
		.amdhsa_user_sgpr_dispatch_ptr 0
		.amdhsa_user_sgpr_queue_ptr 0
		.amdhsa_user_sgpr_kernarg_segment_ptr 1
		.amdhsa_user_sgpr_dispatch_id 0
		.amdhsa_user_sgpr_kernarg_preload_length 0
		.amdhsa_user_sgpr_kernarg_preload_offset 0
		.amdhsa_user_sgpr_private_segment_size 0
		.amdhsa_wavefront_size32 1
		.amdhsa_uses_dynamic_stack 0
		.amdhsa_enable_private_segment 0
		.amdhsa_system_sgpr_workgroup_id_x 1
		.amdhsa_system_sgpr_workgroup_id_y 0
		.amdhsa_system_sgpr_workgroup_id_z 0
		.amdhsa_system_sgpr_workgroup_info 0
		.amdhsa_system_vgpr_workitem_id 0
		.amdhsa_next_free_vgpr 1
		.amdhsa_next_free_sgpr 1
		.amdhsa_named_barrier_count 0
		.amdhsa_reserve_vcc 0
		.amdhsa_float_round_mode_32 0
		.amdhsa_float_round_mode_16_64 0
		.amdhsa_float_denorm_mode_32 3
		.amdhsa_float_denorm_mode_16_64 3
		.amdhsa_fp16_overflow 0
		.amdhsa_memory_ordered 1
		.amdhsa_forward_progress 1
		.amdhsa_inst_pref_size 0
		.amdhsa_round_robin_scheduling 0
		.amdhsa_exception_fp_ieee_invalid_op 0
		.amdhsa_exception_fp_denorm_src 0
		.amdhsa_exception_fp_ieee_div_zero 0
		.amdhsa_exception_fp_ieee_overflow 0
		.amdhsa_exception_fp_ieee_underflow 0
		.amdhsa_exception_fp_ieee_inexact 0
		.amdhsa_exception_int_div_zero 0
	.end_amdhsa_kernel
	.section	.text._ZN7rocprim17ROCPRIM_400000_NS6detail17trampoline_kernelINS0_14default_configENS1_25partition_config_selectorILNS1_17partition_subalgoE8ElNS0_10empty_typeEbEEZZNS1_14partition_implILS5_8ELb0ES3_jPlPS6_PKS6_NS0_5tupleIJS9_S6_EEENSD_IJSA_SA_EEENS0_18inequality_wrapperIZN2at6native12_GLOBAL__N_124unique_dim_cuda_templateIhEESt5tupleIJNSH_6TensorESM_SM_EERKSM_lbbbEUlllE0_EEPmJS6_EEE10hipError_tPvRmT3_T4_T5_T6_T7_T9_mT8_P12ihipStream_tbDpT10_ENKUlT_T0_E_clISt17integral_constantIbLb1EES1B_IbLb0EEEEDaS17_S18_EUlS17_E_NS1_11comp_targetILNS1_3genE4ELNS1_11target_archE910ELNS1_3gpuE8ELNS1_3repE0EEENS1_30default_config_static_selectorELNS0_4arch9wavefront6targetE0EEEvT1_,"axG",@progbits,_ZN7rocprim17ROCPRIM_400000_NS6detail17trampoline_kernelINS0_14default_configENS1_25partition_config_selectorILNS1_17partition_subalgoE8ElNS0_10empty_typeEbEEZZNS1_14partition_implILS5_8ELb0ES3_jPlPS6_PKS6_NS0_5tupleIJS9_S6_EEENSD_IJSA_SA_EEENS0_18inequality_wrapperIZN2at6native12_GLOBAL__N_124unique_dim_cuda_templateIhEESt5tupleIJNSH_6TensorESM_SM_EERKSM_lbbbEUlllE0_EEPmJS6_EEE10hipError_tPvRmT3_T4_T5_T6_T7_T9_mT8_P12ihipStream_tbDpT10_ENKUlT_T0_E_clISt17integral_constantIbLb1EES1B_IbLb0EEEEDaS17_S18_EUlS17_E_NS1_11comp_targetILNS1_3genE4ELNS1_11target_archE910ELNS1_3gpuE8ELNS1_3repE0EEENS1_30default_config_static_selectorELNS0_4arch9wavefront6targetE0EEEvT1_,comdat
.Lfunc_end189:
	.size	_ZN7rocprim17ROCPRIM_400000_NS6detail17trampoline_kernelINS0_14default_configENS1_25partition_config_selectorILNS1_17partition_subalgoE8ElNS0_10empty_typeEbEEZZNS1_14partition_implILS5_8ELb0ES3_jPlPS6_PKS6_NS0_5tupleIJS9_S6_EEENSD_IJSA_SA_EEENS0_18inequality_wrapperIZN2at6native12_GLOBAL__N_124unique_dim_cuda_templateIhEESt5tupleIJNSH_6TensorESM_SM_EERKSM_lbbbEUlllE0_EEPmJS6_EEE10hipError_tPvRmT3_T4_T5_T6_T7_T9_mT8_P12ihipStream_tbDpT10_ENKUlT_T0_E_clISt17integral_constantIbLb1EES1B_IbLb0EEEEDaS17_S18_EUlS17_E_NS1_11comp_targetILNS1_3genE4ELNS1_11target_archE910ELNS1_3gpuE8ELNS1_3repE0EEENS1_30default_config_static_selectorELNS0_4arch9wavefront6targetE0EEEvT1_, .Lfunc_end189-_ZN7rocprim17ROCPRIM_400000_NS6detail17trampoline_kernelINS0_14default_configENS1_25partition_config_selectorILNS1_17partition_subalgoE8ElNS0_10empty_typeEbEEZZNS1_14partition_implILS5_8ELb0ES3_jPlPS6_PKS6_NS0_5tupleIJS9_S6_EEENSD_IJSA_SA_EEENS0_18inequality_wrapperIZN2at6native12_GLOBAL__N_124unique_dim_cuda_templateIhEESt5tupleIJNSH_6TensorESM_SM_EERKSM_lbbbEUlllE0_EEPmJS6_EEE10hipError_tPvRmT3_T4_T5_T6_T7_T9_mT8_P12ihipStream_tbDpT10_ENKUlT_T0_E_clISt17integral_constantIbLb1EES1B_IbLb0EEEEDaS17_S18_EUlS17_E_NS1_11comp_targetILNS1_3genE4ELNS1_11target_archE910ELNS1_3gpuE8ELNS1_3repE0EEENS1_30default_config_static_selectorELNS0_4arch9wavefront6targetE0EEEvT1_
                                        ; -- End function
	.set _ZN7rocprim17ROCPRIM_400000_NS6detail17trampoline_kernelINS0_14default_configENS1_25partition_config_selectorILNS1_17partition_subalgoE8ElNS0_10empty_typeEbEEZZNS1_14partition_implILS5_8ELb0ES3_jPlPS6_PKS6_NS0_5tupleIJS9_S6_EEENSD_IJSA_SA_EEENS0_18inequality_wrapperIZN2at6native12_GLOBAL__N_124unique_dim_cuda_templateIhEESt5tupleIJNSH_6TensorESM_SM_EERKSM_lbbbEUlllE0_EEPmJS6_EEE10hipError_tPvRmT3_T4_T5_T6_T7_T9_mT8_P12ihipStream_tbDpT10_ENKUlT_T0_E_clISt17integral_constantIbLb1EES1B_IbLb0EEEEDaS17_S18_EUlS17_E_NS1_11comp_targetILNS1_3genE4ELNS1_11target_archE910ELNS1_3gpuE8ELNS1_3repE0EEENS1_30default_config_static_selectorELNS0_4arch9wavefront6targetE0EEEvT1_.num_vgpr, 0
	.set _ZN7rocprim17ROCPRIM_400000_NS6detail17trampoline_kernelINS0_14default_configENS1_25partition_config_selectorILNS1_17partition_subalgoE8ElNS0_10empty_typeEbEEZZNS1_14partition_implILS5_8ELb0ES3_jPlPS6_PKS6_NS0_5tupleIJS9_S6_EEENSD_IJSA_SA_EEENS0_18inequality_wrapperIZN2at6native12_GLOBAL__N_124unique_dim_cuda_templateIhEESt5tupleIJNSH_6TensorESM_SM_EERKSM_lbbbEUlllE0_EEPmJS6_EEE10hipError_tPvRmT3_T4_T5_T6_T7_T9_mT8_P12ihipStream_tbDpT10_ENKUlT_T0_E_clISt17integral_constantIbLb1EES1B_IbLb0EEEEDaS17_S18_EUlS17_E_NS1_11comp_targetILNS1_3genE4ELNS1_11target_archE910ELNS1_3gpuE8ELNS1_3repE0EEENS1_30default_config_static_selectorELNS0_4arch9wavefront6targetE0EEEvT1_.num_agpr, 0
	.set _ZN7rocprim17ROCPRIM_400000_NS6detail17trampoline_kernelINS0_14default_configENS1_25partition_config_selectorILNS1_17partition_subalgoE8ElNS0_10empty_typeEbEEZZNS1_14partition_implILS5_8ELb0ES3_jPlPS6_PKS6_NS0_5tupleIJS9_S6_EEENSD_IJSA_SA_EEENS0_18inequality_wrapperIZN2at6native12_GLOBAL__N_124unique_dim_cuda_templateIhEESt5tupleIJNSH_6TensorESM_SM_EERKSM_lbbbEUlllE0_EEPmJS6_EEE10hipError_tPvRmT3_T4_T5_T6_T7_T9_mT8_P12ihipStream_tbDpT10_ENKUlT_T0_E_clISt17integral_constantIbLb1EES1B_IbLb0EEEEDaS17_S18_EUlS17_E_NS1_11comp_targetILNS1_3genE4ELNS1_11target_archE910ELNS1_3gpuE8ELNS1_3repE0EEENS1_30default_config_static_selectorELNS0_4arch9wavefront6targetE0EEEvT1_.numbered_sgpr, 0
	.set _ZN7rocprim17ROCPRIM_400000_NS6detail17trampoline_kernelINS0_14default_configENS1_25partition_config_selectorILNS1_17partition_subalgoE8ElNS0_10empty_typeEbEEZZNS1_14partition_implILS5_8ELb0ES3_jPlPS6_PKS6_NS0_5tupleIJS9_S6_EEENSD_IJSA_SA_EEENS0_18inequality_wrapperIZN2at6native12_GLOBAL__N_124unique_dim_cuda_templateIhEESt5tupleIJNSH_6TensorESM_SM_EERKSM_lbbbEUlllE0_EEPmJS6_EEE10hipError_tPvRmT3_T4_T5_T6_T7_T9_mT8_P12ihipStream_tbDpT10_ENKUlT_T0_E_clISt17integral_constantIbLb1EES1B_IbLb0EEEEDaS17_S18_EUlS17_E_NS1_11comp_targetILNS1_3genE4ELNS1_11target_archE910ELNS1_3gpuE8ELNS1_3repE0EEENS1_30default_config_static_selectorELNS0_4arch9wavefront6targetE0EEEvT1_.num_named_barrier, 0
	.set _ZN7rocprim17ROCPRIM_400000_NS6detail17trampoline_kernelINS0_14default_configENS1_25partition_config_selectorILNS1_17partition_subalgoE8ElNS0_10empty_typeEbEEZZNS1_14partition_implILS5_8ELb0ES3_jPlPS6_PKS6_NS0_5tupleIJS9_S6_EEENSD_IJSA_SA_EEENS0_18inequality_wrapperIZN2at6native12_GLOBAL__N_124unique_dim_cuda_templateIhEESt5tupleIJNSH_6TensorESM_SM_EERKSM_lbbbEUlllE0_EEPmJS6_EEE10hipError_tPvRmT3_T4_T5_T6_T7_T9_mT8_P12ihipStream_tbDpT10_ENKUlT_T0_E_clISt17integral_constantIbLb1EES1B_IbLb0EEEEDaS17_S18_EUlS17_E_NS1_11comp_targetILNS1_3genE4ELNS1_11target_archE910ELNS1_3gpuE8ELNS1_3repE0EEENS1_30default_config_static_selectorELNS0_4arch9wavefront6targetE0EEEvT1_.private_seg_size, 0
	.set _ZN7rocprim17ROCPRIM_400000_NS6detail17trampoline_kernelINS0_14default_configENS1_25partition_config_selectorILNS1_17partition_subalgoE8ElNS0_10empty_typeEbEEZZNS1_14partition_implILS5_8ELb0ES3_jPlPS6_PKS6_NS0_5tupleIJS9_S6_EEENSD_IJSA_SA_EEENS0_18inequality_wrapperIZN2at6native12_GLOBAL__N_124unique_dim_cuda_templateIhEESt5tupleIJNSH_6TensorESM_SM_EERKSM_lbbbEUlllE0_EEPmJS6_EEE10hipError_tPvRmT3_T4_T5_T6_T7_T9_mT8_P12ihipStream_tbDpT10_ENKUlT_T0_E_clISt17integral_constantIbLb1EES1B_IbLb0EEEEDaS17_S18_EUlS17_E_NS1_11comp_targetILNS1_3genE4ELNS1_11target_archE910ELNS1_3gpuE8ELNS1_3repE0EEENS1_30default_config_static_selectorELNS0_4arch9wavefront6targetE0EEEvT1_.uses_vcc, 0
	.set _ZN7rocprim17ROCPRIM_400000_NS6detail17trampoline_kernelINS0_14default_configENS1_25partition_config_selectorILNS1_17partition_subalgoE8ElNS0_10empty_typeEbEEZZNS1_14partition_implILS5_8ELb0ES3_jPlPS6_PKS6_NS0_5tupleIJS9_S6_EEENSD_IJSA_SA_EEENS0_18inequality_wrapperIZN2at6native12_GLOBAL__N_124unique_dim_cuda_templateIhEESt5tupleIJNSH_6TensorESM_SM_EERKSM_lbbbEUlllE0_EEPmJS6_EEE10hipError_tPvRmT3_T4_T5_T6_T7_T9_mT8_P12ihipStream_tbDpT10_ENKUlT_T0_E_clISt17integral_constantIbLb1EES1B_IbLb0EEEEDaS17_S18_EUlS17_E_NS1_11comp_targetILNS1_3genE4ELNS1_11target_archE910ELNS1_3gpuE8ELNS1_3repE0EEENS1_30default_config_static_selectorELNS0_4arch9wavefront6targetE0EEEvT1_.uses_flat_scratch, 0
	.set _ZN7rocprim17ROCPRIM_400000_NS6detail17trampoline_kernelINS0_14default_configENS1_25partition_config_selectorILNS1_17partition_subalgoE8ElNS0_10empty_typeEbEEZZNS1_14partition_implILS5_8ELb0ES3_jPlPS6_PKS6_NS0_5tupleIJS9_S6_EEENSD_IJSA_SA_EEENS0_18inequality_wrapperIZN2at6native12_GLOBAL__N_124unique_dim_cuda_templateIhEESt5tupleIJNSH_6TensorESM_SM_EERKSM_lbbbEUlllE0_EEPmJS6_EEE10hipError_tPvRmT3_T4_T5_T6_T7_T9_mT8_P12ihipStream_tbDpT10_ENKUlT_T0_E_clISt17integral_constantIbLb1EES1B_IbLb0EEEEDaS17_S18_EUlS17_E_NS1_11comp_targetILNS1_3genE4ELNS1_11target_archE910ELNS1_3gpuE8ELNS1_3repE0EEENS1_30default_config_static_selectorELNS0_4arch9wavefront6targetE0EEEvT1_.has_dyn_sized_stack, 0
	.set _ZN7rocprim17ROCPRIM_400000_NS6detail17trampoline_kernelINS0_14default_configENS1_25partition_config_selectorILNS1_17partition_subalgoE8ElNS0_10empty_typeEbEEZZNS1_14partition_implILS5_8ELb0ES3_jPlPS6_PKS6_NS0_5tupleIJS9_S6_EEENSD_IJSA_SA_EEENS0_18inequality_wrapperIZN2at6native12_GLOBAL__N_124unique_dim_cuda_templateIhEESt5tupleIJNSH_6TensorESM_SM_EERKSM_lbbbEUlllE0_EEPmJS6_EEE10hipError_tPvRmT3_T4_T5_T6_T7_T9_mT8_P12ihipStream_tbDpT10_ENKUlT_T0_E_clISt17integral_constantIbLb1EES1B_IbLb0EEEEDaS17_S18_EUlS17_E_NS1_11comp_targetILNS1_3genE4ELNS1_11target_archE910ELNS1_3gpuE8ELNS1_3repE0EEENS1_30default_config_static_selectorELNS0_4arch9wavefront6targetE0EEEvT1_.has_recursion, 0
	.set _ZN7rocprim17ROCPRIM_400000_NS6detail17trampoline_kernelINS0_14default_configENS1_25partition_config_selectorILNS1_17partition_subalgoE8ElNS0_10empty_typeEbEEZZNS1_14partition_implILS5_8ELb0ES3_jPlPS6_PKS6_NS0_5tupleIJS9_S6_EEENSD_IJSA_SA_EEENS0_18inequality_wrapperIZN2at6native12_GLOBAL__N_124unique_dim_cuda_templateIhEESt5tupleIJNSH_6TensorESM_SM_EERKSM_lbbbEUlllE0_EEPmJS6_EEE10hipError_tPvRmT3_T4_T5_T6_T7_T9_mT8_P12ihipStream_tbDpT10_ENKUlT_T0_E_clISt17integral_constantIbLb1EES1B_IbLb0EEEEDaS17_S18_EUlS17_E_NS1_11comp_targetILNS1_3genE4ELNS1_11target_archE910ELNS1_3gpuE8ELNS1_3repE0EEENS1_30default_config_static_selectorELNS0_4arch9wavefront6targetE0EEEvT1_.has_indirect_call, 0
	.section	.AMDGPU.csdata,"",@progbits
; Kernel info:
; codeLenInByte = 0
; TotalNumSgprs: 0
; NumVgprs: 0
; ScratchSize: 0
; MemoryBound: 0
; FloatMode: 240
; IeeeMode: 1
; LDSByteSize: 0 bytes/workgroup (compile time only)
; SGPRBlocks: 0
; VGPRBlocks: 0
; NumSGPRsForWavesPerEU: 1
; NumVGPRsForWavesPerEU: 1
; NamedBarCnt: 0
; Occupancy: 16
; WaveLimiterHint : 0
; COMPUTE_PGM_RSRC2:SCRATCH_EN: 0
; COMPUTE_PGM_RSRC2:USER_SGPR: 2
; COMPUTE_PGM_RSRC2:TRAP_HANDLER: 0
; COMPUTE_PGM_RSRC2:TGID_X_EN: 1
; COMPUTE_PGM_RSRC2:TGID_Y_EN: 0
; COMPUTE_PGM_RSRC2:TGID_Z_EN: 0
; COMPUTE_PGM_RSRC2:TIDIG_COMP_CNT: 0
	.section	.text._ZN7rocprim17ROCPRIM_400000_NS6detail17trampoline_kernelINS0_14default_configENS1_25partition_config_selectorILNS1_17partition_subalgoE8ElNS0_10empty_typeEbEEZZNS1_14partition_implILS5_8ELb0ES3_jPlPS6_PKS6_NS0_5tupleIJS9_S6_EEENSD_IJSA_SA_EEENS0_18inequality_wrapperIZN2at6native12_GLOBAL__N_124unique_dim_cuda_templateIhEESt5tupleIJNSH_6TensorESM_SM_EERKSM_lbbbEUlllE0_EEPmJS6_EEE10hipError_tPvRmT3_T4_T5_T6_T7_T9_mT8_P12ihipStream_tbDpT10_ENKUlT_T0_E_clISt17integral_constantIbLb1EES1B_IbLb0EEEEDaS17_S18_EUlS17_E_NS1_11comp_targetILNS1_3genE3ELNS1_11target_archE908ELNS1_3gpuE7ELNS1_3repE0EEENS1_30default_config_static_selectorELNS0_4arch9wavefront6targetE0EEEvT1_,"axG",@progbits,_ZN7rocprim17ROCPRIM_400000_NS6detail17trampoline_kernelINS0_14default_configENS1_25partition_config_selectorILNS1_17partition_subalgoE8ElNS0_10empty_typeEbEEZZNS1_14partition_implILS5_8ELb0ES3_jPlPS6_PKS6_NS0_5tupleIJS9_S6_EEENSD_IJSA_SA_EEENS0_18inequality_wrapperIZN2at6native12_GLOBAL__N_124unique_dim_cuda_templateIhEESt5tupleIJNSH_6TensorESM_SM_EERKSM_lbbbEUlllE0_EEPmJS6_EEE10hipError_tPvRmT3_T4_T5_T6_T7_T9_mT8_P12ihipStream_tbDpT10_ENKUlT_T0_E_clISt17integral_constantIbLb1EES1B_IbLb0EEEEDaS17_S18_EUlS17_E_NS1_11comp_targetILNS1_3genE3ELNS1_11target_archE908ELNS1_3gpuE7ELNS1_3repE0EEENS1_30default_config_static_selectorELNS0_4arch9wavefront6targetE0EEEvT1_,comdat
	.globl	_ZN7rocprim17ROCPRIM_400000_NS6detail17trampoline_kernelINS0_14default_configENS1_25partition_config_selectorILNS1_17partition_subalgoE8ElNS0_10empty_typeEbEEZZNS1_14partition_implILS5_8ELb0ES3_jPlPS6_PKS6_NS0_5tupleIJS9_S6_EEENSD_IJSA_SA_EEENS0_18inequality_wrapperIZN2at6native12_GLOBAL__N_124unique_dim_cuda_templateIhEESt5tupleIJNSH_6TensorESM_SM_EERKSM_lbbbEUlllE0_EEPmJS6_EEE10hipError_tPvRmT3_T4_T5_T6_T7_T9_mT8_P12ihipStream_tbDpT10_ENKUlT_T0_E_clISt17integral_constantIbLb1EES1B_IbLb0EEEEDaS17_S18_EUlS17_E_NS1_11comp_targetILNS1_3genE3ELNS1_11target_archE908ELNS1_3gpuE7ELNS1_3repE0EEENS1_30default_config_static_selectorELNS0_4arch9wavefront6targetE0EEEvT1_ ; -- Begin function _ZN7rocprim17ROCPRIM_400000_NS6detail17trampoline_kernelINS0_14default_configENS1_25partition_config_selectorILNS1_17partition_subalgoE8ElNS0_10empty_typeEbEEZZNS1_14partition_implILS5_8ELb0ES3_jPlPS6_PKS6_NS0_5tupleIJS9_S6_EEENSD_IJSA_SA_EEENS0_18inequality_wrapperIZN2at6native12_GLOBAL__N_124unique_dim_cuda_templateIhEESt5tupleIJNSH_6TensorESM_SM_EERKSM_lbbbEUlllE0_EEPmJS6_EEE10hipError_tPvRmT3_T4_T5_T6_T7_T9_mT8_P12ihipStream_tbDpT10_ENKUlT_T0_E_clISt17integral_constantIbLb1EES1B_IbLb0EEEEDaS17_S18_EUlS17_E_NS1_11comp_targetILNS1_3genE3ELNS1_11target_archE908ELNS1_3gpuE7ELNS1_3repE0EEENS1_30default_config_static_selectorELNS0_4arch9wavefront6targetE0EEEvT1_
	.p2align	8
	.type	_ZN7rocprim17ROCPRIM_400000_NS6detail17trampoline_kernelINS0_14default_configENS1_25partition_config_selectorILNS1_17partition_subalgoE8ElNS0_10empty_typeEbEEZZNS1_14partition_implILS5_8ELb0ES3_jPlPS6_PKS6_NS0_5tupleIJS9_S6_EEENSD_IJSA_SA_EEENS0_18inequality_wrapperIZN2at6native12_GLOBAL__N_124unique_dim_cuda_templateIhEESt5tupleIJNSH_6TensorESM_SM_EERKSM_lbbbEUlllE0_EEPmJS6_EEE10hipError_tPvRmT3_T4_T5_T6_T7_T9_mT8_P12ihipStream_tbDpT10_ENKUlT_T0_E_clISt17integral_constantIbLb1EES1B_IbLb0EEEEDaS17_S18_EUlS17_E_NS1_11comp_targetILNS1_3genE3ELNS1_11target_archE908ELNS1_3gpuE7ELNS1_3repE0EEENS1_30default_config_static_selectorELNS0_4arch9wavefront6targetE0EEEvT1_,@function
_ZN7rocprim17ROCPRIM_400000_NS6detail17trampoline_kernelINS0_14default_configENS1_25partition_config_selectorILNS1_17partition_subalgoE8ElNS0_10empty_typeEbEEZZNS1_14partition_implILS5_8ELb0ES3_jPlPS6_PKS6_NS0_5tupleIJS9_S6_EEENSD_IJSA_SA_EEENS0_18inequality_wrapperIZN2at6native12_GLOBAL__N_124unique_dim_cuda_templateIhEESt5tupleIJNSH_6TensorESM_SM_EERKSM_lbbbEUlllE0_EEPmJS6_EEE10hipError_tPvRmT3_T4_T5_T6_T7_T9_mT8_P12ihipStream_tbDpT10_ENKUlT_T0_E_clISt17integral_constantIbLb1EES1B_IbLb0EEEEDaS17_S18_EUlS17_E_NS1_11comp_targetILNS1_3genE3ELNS1_11target_archE908ELNS1_3gpuE7ELNS1_3repE0EEENS1_30default_config_static_selectorELNS0_4arch9wavefront6targetE0EEEvT1_: ; @_ZN7rocprim17ROCPRIM_400000_NS6detail17trampoline_kernelINS0_14default_configENS1_25partition_config_selectorILNS1_17partition_subalgoE8ElNS0_10empty_typeEbEEZZNS1_14partition_implILS5_8ELb0ES3_jPlPS6_PKS6_NS0_5tupleIJS9_S6_EEENSD_IJSA_SA_EEENS0_18inequality_wrapperIZN2at6native12_GLOBAL__N_124unique_dim_cuda_templateIhEESt5tupleIJNSH_6TensorESM_SM_EERKSM_lbbbEUlllE0_EEPmJS6_EEE10hipError_tPvRmT3_T4_T5_T6_T7_T9_mT8_P12ihipStream_tbDpT10_ENKUlT_T0_E_clISt17integral_constantIbLb1EES1B_IbLb0EEEEDaS17_S18_EUlS17_E_NS1_11comp_targetILNS1_3genE3ELNS1_11target_archE908ELNS1_3gpuE7ELNS1_3repE0EEENS1_30default_config_static_selectorELNS0_4arch9wavefront6targetE0EEEvT1_
; %bb.0:
	.section	.rodata,"a",@progbits
	.p2align	6, 0x0
	.amdhsa_kernel _ZN7rocprim17ROCPRIM_400000_NS6detail17trampoline_kernelINS0_14default_configENS1_25partition_config_selectorILNS1_17partition_subalgoE8ElNS0_10empty_typeEbEEZZNS1_14partition_implILS5_8ELb0ES3_jPlPS6_PKS6_NS0_5tupleIJS9_S6_EEENSD_IJSA_SA_EEENS0_18inequality_wrapperIZN2at6native12_GLOBAL__N_124unique_dim_cuda_templateIhEESt5tupleIJNSH_6TensorESM_SM_EERKSM_lbbbEUlllE0_EEPmJS6_EEE10hipError_tPvRmT3_T4_T5_T6_T7_T9_mT8_P12ihipStream_tbDpT10_ENKUlT_T0_E_clISt17integral_constantIbLb1EES1B_IbLb0EEEEDaS17_S18_EUlS17_E_NS1_11comp_targetILNS1_3genE3ELNS1_11target_archE908ELNS1_3gpuE7ELNS1_3repE0EEENS1_30default_config_static_selectorELNS0_4arch9wavefront6targetE0EEEvT1_
		.amdhsa_group_segment_fixed_size 0
		.amdhsa_private_segment_fixed_size 0
		.amdhsa_kernarg_size 120
		.amdhsa_user_sgpr_count 2
		.amdhsa_user_sgpr_dispatch_ptr 0
		.amdhsa_user_sgpr_queue_ptr 0
		.amdhsa_user_sgpr_kernarg_segment_ptr 1
		.amdhsa_user_sgpr_dispatch_id 0
		.amdhsa_user_sgpr_kernarg_preload_length 0
		.amdhsa_user_sgpr_kernarg_preload_offset 0
		.amdhsa_user_sgpr_private_segment_size 0
		.amdhsa_wavefront_size32 1
		.amdhsa_uses_dynamic_stack 0
		.amdhsa_enable_private_segment 0
		.amdhsa_system_sgpr_workgroup_id_x 1
		.amdhsa_system_sgpr_workgroup_id_y 0
		.amdhsa_system_sgpr_workgroup_id_z 0
		.amdhsa_system_sgpr_workgroup_info 0
		.amdhsa_system_vgpr_workitem_id 0
		.amdhsa_next_free_vgpr 1
		.amdhsa_next_free_sgpr 1
		.amdhsa_named_barrier_count 0
		.amdhsa_reserve_vcc 0
		.amdhsa_float_round_mode_32 0
		.amdhsa_float_round_mode_16_64 0
		.amdhsa_float_denorm_mode_32 3
		.amdhsa_float_denorm_mode_16_64 3
		.amdhsa_fp16_overflow 0
		.amdhsa_memory_ordered 1
		.amdhsa_forward_progress 1
		.amdhsa_inst_pref_size 0
		.amdhsa_round_robin_scheduling 0
		.amdhsa_exception_fp_ieee_invalid_op 0
		.amdhsa_exception_fp_denorm_src 0
		.amdhsa_exception_fp_ieee_div_zero 0
		.amdhsa_exception_fp_ieee_overflow 0
		.amdhsa_exception_fp_ieee_underflow 0
		.amdhsa_exception_fp_ieee_inexact 0
		.amdhsa_exception_int_div_zero 0
	.end_amdhsa_kernel
	.section	.text._ZN7rocprim17ROCPRIM_400000_NS6detail17trampoline_kernelINS0_14default_configENS1_25partition_config_selectorILNS1_17partition_subalgoE8ElNS0_10empty_typeEbEEZZNS1_14partition_implILS5_8ELb0ES3_jPlPS6_PKS6_NS0_5tupleIJS9_S6_EEENSD_IJSA_SA_EEENS0_18inequality_wrapperIZN2at6native12_GLOBAL__N_124unique_dim_cuda_templateIhEESt5tupleIJNSH_6TensorESM_SM_EERKSM_lbbbEUlllE0_EEPmJS6_EEE10hipError_tPvRmT3_T4_T5_T6_T7_T9_mT8_P12ihipStream_tbDpT10_ENKUlT_T0_E_clISt17integral_constantIbLb1EES1B_IbLb0EEEEDaS17_S18_EUlS17_E_NS1_11comp_targetILNS1_3genE3ELNS1_11target_archE908ELNS1_3gpuE7ELNS1_3repE0EEENS1_30default_config_static_selectorELNS0_4arch9wavefront6targetE0EEEvT1_,"axG",@progbits,_ZN7rocprim17ROCPRIM_400000_NS6detail17trampoline_kernelINS0_14default_configENS1_25partition_config_selectorILNS1_17partition_subalgoE8ElNS0_10empty_typeEbEEZZNS1_14partition_implILS5_8ELb0ES3_jPlPS6_PKS6_NS0_5tupleIJS9_S6_EEENSD_IJSA_SA_EEENS0_18inequality_wrapperIZN2at6native12_GLOBAL__N_124unique_dim_cuda_templateIhEESt5tupleIJNSH_6TensorESM_SM_EERKSM_lbbbEUlllE0_EEPmJS6_EEE10hipError_tPvRmT3_T4_T5_T6_T7_T9_mT8_P12ihipStream_tbDpT10_ENKUlT_T0_E_clISt17integral_constantIbLb1EES1B_IbLb0EEEEDaS17_S18_EUlS17_E_NS1_11comp_targetILNS1_3genE3ELNS1_11target_archE908ELNS1_3gpuE7ELNS1_3repE0EEENS1_30default_config_static_selectorELNS0_4arch9wavefront6targetE0EEEvT1_,comdat
.Lfunc_end190:
	.size	_ZN7rocprim17ROCPRIM_400000_NS6detail17trampoline_kernelINS0_14default_configENS1_25partition_config_selectorILNS1_17partition_subalgoE8ElNS0_10empty_typeEbEEZZNS1_14partition_implILS5_8ELb0ES3_jPlPS6_PKS6_NS0_5tupleIJS9_S6_EEENSD_IJSA_SA_EEENS0_18inequality_wrapperIZN2at6native12_GLOBAL__N_124unique_dim_cuda_templateIhEESt5tupleIJNSH_6TensorESM_SM_EERKSM_lbbbEUlllE0_EEPmJS6_EEE10hipError_tPvRmT3_T4_T5_T6_T7_T9_mT8_P12ihipStream_tbDpT10_ENKUlT_T0_E_clISt17integral_constantIbLb1EES1B_IbLb0EEEEDaS17_S18_EUlS17_E_NS1_11comp_targetILNS1_3genE3ELNS1_11target_archE908ELNS1_3gpuE7ELNS1_3repE0EEENS1_30default_config_static_selectorELNS0_4arch9wavefront6targetE0EEEvT1_, .Lfunc_end190-_ZN7rocprim17ROCPRIM_400000_NS6detail17trampoline_kernelINS0_14default_configENS1_25partition_config_selectorILNS1_17partition_subalgoE8ElNS0_10empty_typeEbEEZZNS1_14partition_implILS5_8ELb0ES3_jPlPS6_PKS6_NS0_5tupleIJS9_S6_EEENSD_IJSA_SA_EEENS0_18inequality_wrapperIZN2at6native12_GLOBAL__N_124unique_dim_cuda_templateIhEESt5tupleIJNSH_6TensorESM_SM_EERKSM_lbbbEUlllE0_EEPmJS6_EEE10hipError_tPvRmT3_T4_T5_T6_T7_T9_mT8_P12ihipStream_tbDpT10_ENKUlT_T0_E_clISt17integral_constantIbLb1EES1B_IbLb0EEEEDaS17_S18_EUlS17_E_NS1_11comp_targetILNS1_3genE3ELNS1_11target_archE908ELNS1_3gpuE7ELNS1_3repE0EEENS1_30default_config_static_selectorELNS0_4arch9wavefront6targetE0EEEvT1_
                                        ; -- End function
	.set _ZN7rocprim17ROCPRIM_400000_NS6detail17trampoline_kernelINS0_14default_configENS1_25partition_config_selectorILNS1_17partition_subalgoE8ElNS0_10empty_typeEbEEZZNS1_14partition_implILS5_8ELb0ES3_jPlPS6_PKS6_NS0_5tupleIJS9_S6_EEENSD_IJSA_SA_EEENS0_18inequality_wrapperIZN2at6native12_GLOBAL__N_124unique_dim_cuda_templateIhEESt5tupleIJNSH_6TensorESM_SM_EERKSM_lbbbEUlllE0_EEPmJS6_EEE10hipError_tPvRmT3_T4_T5_T6_T7_T9_mT8_P12ihipStream_tbDpT10_ENKUlT_T0_E_clISt17integral_constantIbLb1EES1B_IbLb0EEEEDaS17_S18_EUlS17_E_NS1_11comp_targetILNS1_3genE3ELNS1_11target_archE908ELNS1_3gpuE7ELNS1_3repE0EEENS1_30default_config_static_selectorELNS0_4arch9wavefront6targetE0EEEvT1_.num_vgpr, 0
	.set _ZN7rocprim17ROCPRIM_400000_NS6detail17trampoline_kernelINS0_14default_configENS1_25partition_config_selectorILNS1_17partition_subalgoE8ElNS0_10empty_typeEbEEZZNS1_14partition_implILS5_8ELb0ES3_jPlPS6_PKS6_NS0_5tupleIJS9_S6_EEENSD_IJSA_SA_EEENS0_18inequality_wrapperIZN2at6native12_GLOBAL__N_124unique_dim_cuda_templateIhEESt5tupleIJNSH_6TensorESM_SM_EERKSM_lbbbEUlllE0_EEPmJS6_EEE10hipError_tPvRmT3_T4_T5_T6_T7_T9_mT8_P12ihipStream_tbDpT10_ENKUlT_T0_E_clISt17integral_constantIbLb1EES1B_IbLb0EEEEDaS17_S18_EUlS17_E_NS1_11comp_targetILNS1_3genE3ELNS1_11target_archE908ELNS1_3gpuE7ELNS1_3repE0EEENS1_30default_config_static_selectorELNS0_4arch9wavefront6targetE0EEEvT1_.num_agpr, 0
	.set _ZN7rocprim17ROCPRIM_400000_NS6detail17trampoline_kernelINS0_14default_configENS1_25partition_config_selectorILNS1_17partition_subalgoE8ElNS0_10empty_typeEbEEZZNS1_14partition_implILS5_8ELb0ES3_jPlPS6_PKS6_NS0_5tupleIJS9_S6_EEENSD_IJSA_SA_EEENS0_18inequality_wrapperIZN2at6native12_GLOBAL__N_124unique_dim_cuda_templateIhEESt5tupleIJNSH_6TensorESM_SM_EERKSM_lbbbEUlllE0_EEPmJS6_EEE10hipError_tPvRmT3_T4_T5_T6_T7_T9_mT8_P12ihipStream_tbDpT10_ENKUlT_T0_E_clISt17integral_constantIbLb1EES1B_IbLb0EEEEDaS17_S18_EUlS17_E_NS1_11comp_targetILNS1_3genE3ELNS1_11target_archE908ELNS1_3gpuE7ELNS1_3repE0EEENS1_30default_config_static_selectorELNS0_4arch9wavefront6targetE0EEEvT1_.numbered_sgpr, 0
	.set _ZN7rocprim17ROCPRIM_400000_NS6detail17trampoline_kernelINS0_14default_configENS1_25partition_config_selectorILNS1_17partition_subalgoE8ElNS0_10empty_typeEbEEZZNS1_14partition_implILS5_8ELb0ES3_jPlPS6_PKS6_NS0_5tupleIJS9_S6_EEENSD_IJSA_SA_EEENS0_18inequality_wrapperIZN2at6native12_GLOBAL__N_124unique_dim_cuda_templateIhEESt5tupleIJNSH_6TensorESM_SM_EERKSM_lbbbEUlllE0_EEPmJS6_EEE10hipError_tPvRmT3_T4_T5_T6_T7_T9_mT8_P12ihipStream_tbDpT10_ENKUlT_T0_E_clISt17integral_constantIbLb1EES1B_IbLb0EEEEDaS17_S18_EUlS17_E_NS1_11comp_targetILNS1_3genE3ELNS1_11target_archE908ELNS1_3gpuE7ELNS1_3repE0EEENS1_30default_config_static_selectorELNS0_4arch9wavefront6targetE0EEEvT1_.num_named_barrier, 0
	.set _ZN7rocprim17ROCPRIM_400000_NS6detail17trampoline_kernelINS0_14default_configENS1_25partition_config_selectorILNS1_17partition_subalgoE8ElNS0_10empty_typeEbEEZZNS1_14partition_implILS5_8ELb0ES3_jPlPS6_PKS6_NS0_5tupleIJS9_S6_EEENSD_IJSA_SA_EEENS0_18inequality_wrapperIZN2at6native12_GLOBAL__N_124unique_dim_cuda_templateIhEESt5tupleIJNSH_6TensorESM_SM_EERKSM_lbbbEUlllE0_EEPmJS6_EEE10hipError_tPvRmT3_T4_T5_T6_T7_T9_mT8_P12ihipStream_tbDpT10_ENKUlT_T0_E_clISt17integral_constantIbLb1EES1B_IbLb0EEEEDaS17_S18_EUlS17_E_NS1_11comp_targetILNS1_3genE3ELNS1_11target_archE908ELNS1_3gpuE7ELNS1_3repE0EEENS1_30default_config_static_selectorELNS0_4arch9wavefront6targetE0EEEvT1_.private_seg_size, 0
	.set _ZN7rocprim17ROCPRIM_400000_NS6detail17trampoline_kernelINS0_14default_configENS1_25partition_config_selectorILNS1_17partition_subalgoE8ElNS0_10empty_typeEbEEZZNS1_14partition_implILS5_8ELb0ES3_jPlPS6_PKS6_NS0_5tupleIJS9_S6_EEENSD_IJSA_SA_EEENS0_18inequality_wrapperIZN2at6native12_GLOBAL__N_124unique_dim_cuda_templateIhEESt5tupleIJNSH_6TensorESM_SM_EERKSM_lbbbEUlllE0_EEPmJS6_EEE10hipError_tPvRmT3_T4_T5_T6_T7_T9_mT8_P12ihipStream_tbDpT10_ENKUlT_T0_E_clISt17integral_constantIbLb1EES1B_IbLb0EEEEDaS17_S18_EUlS17_E_NS1_11comp_targetILNS1_3genE3ELNS1_11target_archE908ELNS1_3gpuE7ELNS1_3repE0EEENS1_30default_config_static_selectorELNS0_4arch9wavefront6targetE0EEEvT1_.uses_vcc, 0
	.set _ZN7rocprim17ROCPRIM_400000_NS6detail17trampoline_kernelINS0_14default_configENS1_25partition_config_selectorILNS1_17partition_subalgoE8ElNS0_10empty_typeEbEEZZNS1_14partition_implILS5_8ELb0ES3_jPlPS6_PKS6_NS0_5tupleIJS9_S6_EEENSD_IJSA_SA_EEENS0_18inequality_wrapperIZN2at6native12_GLOBAL__N_124unique_dim_cuda_templateIhEESt5tupleIJNSH_6TensorESM_SM_EERKSM_lbbbEUlllE0_EEPmJS6_EEE10hipError_tPvRmT3_T4_T5_T6_T7_T9_mT8_P12ihipStream_tbDpT10_ENKUlT_T0_E_clISt17integral_constantIbLb1EES1B_IbLb0EEEEDaS17_S18_EUlS17_E_NS1_11comp_targetILNS1_3genE3ELNS1_11target_archE908ELNS1_3gpuE7ELNS1_3repE0EEENS1_30default_config_static_selectorELNS0_4arch9wavefront6targetE0EEEvT1_.uses_flat_scratch, 0
	.set _ZN7rocprim17ROCPRIM_400000_NS6detail17trampoline_kernelINS0_14default_configENS1_25partition_config_selectorILNS1_17partition_subalgoE8ElNS0_10empty_typeEbEEZZNS1_14partition_implILS5_8ELb0ES3_jPlPS6_PKS6_NS0_5tupleIJS9_S6_EEENSD_IJSA_SA_EEENS0_18inequality_wrapperIZN2at6native12_GLOBAL__N_124unique_dim_cuda_templateIhEESt5tupleIJNSH_6TensorESM_SM_EERKSM_lbbbEUlllE0_EEPmJS6_EEE10hipError_tPvRmT3_T4_T5_T6_T7_T9_mT8_P12ihipStream_tbDpT10_ENKUlT_T0_E_clISt17integral_constantIbLb1EES1B_IbLb0EEEEDaS17_S18_EUlS17_E_NS1_11comp_targetILNS1_3genE3ELNS1_11target_archE908ELNS1_3gpuE7ELNS1_3repE0EEENS1_30default_config_static_selectorELNS0_4arch9wavefront6targetE0EEEvT1_.has_dyn_sized_stack, 0
	.set _ZN7rocprim17ROCPRIM_400000_NS6detail17trampoline_kernelINS0_14default_configENS1_25partition_config_selectorILNS1_17partition_subalgoE8ElNS0_10empty_typeEbEEZZNS1_14partition_implILS5_8ELb0ES3_jPlPS6_PKS6_NS0_5tupleIJS9_S6_EEENSD_IJSA_SA_EEENS0_18inequality_wrapperIZN2at6native12_GLOBAL__N_124unique_dim_cuda_templateIhEESt5tupleIJNSH_6TensorESM_SM_EERKSM_lbbbEUlllE0_EEPmJS6_EEE10hipError_tPvRmT3_T4_T5_T6_T7_T9_mT8_P12ihipStream_tbDpT10_ENKUlT_T0_E_clISt17integral_constantIbLb1EES1B_IbLb0EEEEDaS17_S18_EUlS17_E_NS1_11comp_targetILNS1_3genE3ELNS1_11target_archE908ELNS1_3gpuE7ELNS1_3repE0EEENS1_30default_config_static_selectorELNS0_4arch9wavefront6targetE0EEEvT1_.has_recursion, 0
	.set _ZN7rocprim17ROCPRIM_400000_NS6detail17trampoline_kernelINS0_14default_configENS1_25partition_config_selectorILNS1_17partition_subalgoE8ElNS0_10empty_typeEbEEZZNS1_14partition_implILS5_8ELb0ES3_jPlPS6_PKS6_NS0_5tupleIJS9_S6_EEENSD_IJSA_SA_EEENS0_18inequality_wrapperIZN2at6native12_GLOBAL__N_124unique_dim_cuda_templateIhEESt5tupleIJNSH_6TensorESM_SM_EERKSM_lbbbEUlllE0_EEPmJS6_EEE10hipError_tPvRmT3_T4_T5_T6_T7_T9_mT8_P12ihipStream_tbDpT10_ENKUlT_T0_E_clISt17integral_constantIbLb1EES1B_IbLb0EEEEDaS17_S18_EUlS17_E_NS1_11comp_targetILNS1_3genE3ELNS1_11target_archE908ELNS1_3gpuE7ELNS1_3repE0EEENS1_30default_config_static_selectorELNS0_4arch9wavefront6targetE0EEEvT1_.has_indirect_call, 0
	.section	.AMDGPU.csdata,"",@progbits
; Kernel info:
; codeLenInByte = 0
; TotalNumSgprs: 0
; NumVgprs: 0
; ScratchSize: 0
; MemoryBound: 0
; FloatMode: 240
; IeeeMode: 1
; LDSByteSize: 0 bytes/workgroup (compile time only)
; SGPRBlocks: 0
; VGPRBlocks: 0
; NumSGPRsForWavesPerEU: 1
; NumVGPRsForWavesPerEU: 1
; NamedBarCnt: 0
; Occupancy: 16
; WaveLimiterHint : 0
; COMPUTE_PGM_RSRC2:SCRATCH_EN: 0
; COMPUTE_PGM_RSRC2:USER_SGPR: 2
; COMPUTE_PGM_RSRC2:TRAP_HANDLER: 0
; COMPUTE_PGM_RSRC2:TGID_X_EN: 1
; COMPUTE_PGM_RSRC2:TGID_Y_EN: 0
; COMPUTE_PGM_RSRC2:TGID_Z_EN: 0
; COMPUTE_PGM_RSRC2:TIDIG_COMP_CNT: 0
	.section	.text._ZN7rocprim17ROCPRIM_400000_NS6detail17trampoline_kernelINS0_14default_configENS1_25partition_config_selectorILNS1_17partition_subalgoE8ElNS0_10empty_typeEbEEZZNS1_14partition_implILS5_8ELb0ES3_jPlPS6_PKS6_NS0_5tupleIJS9_S6_EEENSD_IJSA_SA_EEENS0_18inequality_wrapperIZN2at6native12_GLOBAL__N_124unique_dim_cuda_templateIhEESt5tupleIJNSH_6TensorESM_SM_EERKSM_lbbbEUlllE0_EEPmJS6_EEE10hipError_tPvRmT3_T4_T5_T6_T7_T9_mT8_P12ihipStream_tbDpT10_ENKUlT_T0_E_clISt17integral_constantIbLb1EES1B_IbLb0EEEEDaS17_S18_EUlS17_E_NS1_11comp_targetILNS1_3genE2ELNS1_11target_archE906ELNS1_3gpuE6ELNS1_3repE0EEENS1_30default_config_static_selectorELNS0_4arch9wavefront6targetE0EEEvT1_,"axG",@progbits,_ZN7rocprim17ROCPRIM_400000_NS6detail17trampoline_kernelINS0_14default_configENS1_25partition_config_selectorILNS1_17partition_subalgoE8ElNS0_10empty_typeEbEEZZNS1_14partition_implILS5_8ELb0ES3_jPlPS6_PKS6_NS0_5tupleIJS9_S6_EEENSD_IJSA_SA_EEENS0_18inequality_wrapperIZN2at6native12_GLOBAL__N_124unique_dim_cuda_templateIhEESt5tupleIJNSH_6TensorESM_SM_EERKSM_lbbbEUlllE0_EEPmJS6_EEE10hipError_tPvRmT3_T4_T5_T6_T7_T9_mT8_P12ihipStream_tbDpT10_ENKUlT_T0_E_clISt17integral_constantIbLb1EES1B_IbLb0EEEEDaS17_S18_EUlS17_E_NS1_11comp_targetILNS1_3genE2ELNS1_11target_archE906ELNS1_3gpuE6ELNS1_3repE0EEENS1_30default_config_static_selectorELNS0_4arch9wavefront6targetE0EEEvT1_,comdat
	.globl	_ZN7rocprim17ROCPRIM_400000_NS6detail17trampoline_kernelINS0_14default_configENS1_25partition_config_selectorILNS1_17partition_subalgoE8ElNS0_10empty_typeEbEEZZNS1_14partition_implILS5_8ELb0ES3_jPlPS6_PKS6_NS0_5tupleIJS9_S6_EEENSD_IJSA_SA_EEENS0_18inequality_wrapperIZN2at6native12_GLOBAL__N_124unique_dim_cuda_templateIhEESt5tupleIJNSH_6TensorESM_SM_EERKSM_lbbbEUlllE0_EEPmJS6_EEE10hipError_tPvRmT3_T4_T5_T6_T7_T9_mT8_P12ihipStream_tbDpT10_ENKUlT_T0_E_clISt17integral_constantIbLb1EES1B_IbLb0EEEEDaS17_S18_EUlS17_E_NS1_11comp_targetILNS1_3genE2ELNS1_11target_archE906ELNS1_3gpuE6ELNS1_3repE0EEENS1_30default_config_static_selectorELNS0_4arch9wavefront6targetE0EEEvT1_ ; -- Begin function _ZN7rocprim17ROCPRIM_400000_NS6detail17trampoline_kernelINS0_14default_configENS1_25partition_config_selectorILNS1_17partition_subalgoE8ElNS0_10empty_typeEbEEZZNS1_14partition_implILS5_8ELb0ES3_jPlPS6_PKS6_NS0_5tupleIJS9_S6_EEENSD_IJSA_SA_EEENS0_18inequality_wrapperIZN2at6native12_GLOBAL__N_124unique_dim_cuda_templateIhEESt5tupleIJNSH_6TensorESM_SM_EERKSM_lbbbEUlllE0_EEPmJS6_EEE10hipError_tPvRmT3_T4_T5_T6_T7_T9_mT8_P12ihipStream_tbDpT10_ENKUlT_T0_E_clISt17integral_constantIbLb1EES1B_IbLb0EEEEDaS17_S18_EUlS17_E_NS1_11comp_targetILNS1_3genE2ELNS1_11target_archE906ELNS1_3gpuE6ELNS1_3repE0EEENS1_30default_config_static_selectorELNS0_4arch9wavefront6targetE0EEEvT1_
	.p2align	8
	.type	_ZN7rocprim17ROCPRIM_400000_NS6detail17trampoline_kernelINS0_14default_configENS1_25partition_config_selectorILNS1_17partition_subalgoE8ElNS0_10empty_typeEbEEZZNS1_14partition_implILS5_8ELb0ES3_jPlPS6_PKS6_NS0_5tupleIJS9_S6_EEENSD_IJSA_SA_EEENS0_18inequality_wrapperIZN2at6native12_GLOBAL__N_124unique_dim_cuda_templateIhEESt5tupleIJNSH_6TensorESM_SM_EERKSM_lbbbEUlllE0_EEPmJS6_EEE10hipError_tPvRmT3_T4_T5_T6_T7_T9_mT8_P12ihipStream_tbDpT10_ENKUlT_T0_E_clISt17integral_constantIbLb1EES1B_IbLb0EEEEDaS17_S18_EUlS17_E_NS1_11comp_targetILNS1_3genE2ELNS1_11target_archE906ELNS1_3gpuE6ELNS1_3repE0EEENS1_30default_config_static_selectorELNS0_4arch9wavefront6targetE0EEEvT1_,@function
_ZN7rocprim17ROCPRIM_400000_NS6detail17trampoline_kernelINS0_14default_configENS1_25partition_config_selectorILNS1_17partition_subalgoE8ElNS0_10empty_typeEbEEZZNS1_14partition_implILS5_8ELb0ES3_jPlPS6_PKS6_NS0_5tupleIJS9_S6_EEENSD_IJSA_SA_EEENS0_18inequality_wrapperIZN2at6native12_GLOBAL__N_124unique_dim_cuda_templateIhEESt5tupleIJNSH_6TensorESM_SM_EERKSM_lbbbEUlllE0_EEPmJS6_EEE10hipError_tPvRmT3_T4_T5_T6_T7_T9_mT8_P12ihipStream_tbDpT10_ENKUlT_T0_E_clISt17integral_constantIbLb1EES1B_IbLb0EEEEDaS17_S18_EUlS17_E_NS1_11comp_targetILNS1_3genE2ELNS1_11target_archE906ELNS1_3gpuE6ELNS1_3repE0EEENS1_30default_config_static_selectorELNS0_4arch9wavefront6targetE0EEEvT1_: ; @_ZN7rocprim17ROCPRIM_400000_NS6detail17trampoline_kernelINS0_14default_configENS1_25partition_config_selectorILNS1_17partition_subalgoE8ElNS0_10empty_typeEbEEZZNS1_14partition_implILS5_8ELb0ES3_jPlPS6_PKS6_NS0_5tupleIJS9_S6_EEENSD_IJSA_SA_EEENS0_18inequality_wrapperIZN2at6native12_GLOBAL__N_124unique_dim_cuda_templateIhEESt5tupleIJNSH_6TensorESM_SM_EERKSM_lbbbEUlllE0_EEPmJS6_EEE10hipError_tPvRmT3_T4_T5_T6_T7_T9_mT8_P12ihipStream_tbDpT10_ENKUlT_T0_E_clISt17integral_constantIbLb1EES1B_IbLb0EEEEDaS17_S18_EUlS17_E_NS1_11comp_targetILNS1_3genE2ELNS1_11target_archE906ELNS1_3gpuE6ELNS1_3repE0EEENS1_30default_config_static_selectorELNS0_4arch9wavefront6targetE0EEEvT1_
; %bb.0:
	.section	.rodata,"a",@progbits
	.p2align	6, 0x0
	.amdhsa_kernel _ZN7rocprim17ROCPRIM_400000_NS6detail17trampoline_kernelINS0_14default_configENS1_25partition_config_selectorILNS1_17partition_subalgoE8ElNS0_10empty_typeEbEEZZNS1_14partition_implILS5_8ELb0ES3_jPlPS6_PKS6_NS0_5tupleIJS9_S6_EEENSD_IJSA_SA_EEENS0_18inequality_wrapperIZN2at6native12_GLOBAL__N_124unique_dim_cuda_templateIhEESt5tupleIJNSH_6TensorESM_SM_EERKSM_lbbbEUlllE0_EEPmJS6_EEE10hipError_tPvRmT3_T4_T5_T6_T7_T9_mT8_P12ihipStream_tbDpT10_ENKUlT_T0_E_clISt17integral_constantIbLb1EES1B_IbLb0EEEEDaS17_S18_EUlS17_E_NS1_11comp_targetILNS1_3genE2ELNS1_11target_archE906ELNS1_3gpuE6ELNS1_3repE0EEENS1_30default_config_static_selectorELNS0_4arch9wavefront6targetE0EEEvT1_
		.amdhsa_group_segment_fixed_size 0
		.amdhsa_private_segment_fixed_size 0
		.amdhsa_kernarg_size 120
		.amdhsa_user_sgpr_count 2
		.amdhsa_user_sgpr_dispatch_ptr 0
		.amdhsa_user_sgpr_queue_ptr 0
		.amdhsa_user_sgpr_kernarg_segment_ptr 1
		.amdhsa_user_sgpr_dispatch_id 0
		.amdhsa_user_sgpr_kernarg_preload_length 0
		.amdhsa_user_sgpr_kernarg_preload_offset 0
		.amdhsa_user_sgpr_private_segment_size 0
		.amdhsa_wavefront_size32 1
		.amdhsa_uses_dynamic_stack 0
		.amdhsa_enable_private_segment 0
		.amdhsa_system_sgpr_workgroup_id_x 1
		.amdhsa_system_sgpr_workgroup_id_y 0
		.amdhsa_system_sgpr_workgroup_id_z 0
		.amdhsa_system_sgpr_workgroup_info 0
		.amdhsa_system_vgpr_workitem_id 0
		.amdhsa_next_free_vgpr 1
		.amdhsa_next_free_sgpr 1
		.amdhsa_named_barrier_count 0
		.amdhsa_reserve_vcc 0
		.amdhsa_float_round_mode_32 0
		.amdhsa_float_round_mode_16_64 0
		.amdhsa_float_denorm_mode_32 3
		.amdhsa_float_denorm_mode_16_64 3
		.amdhsa_fp16_overflow 0
		.amdhsa_memory_ordered 1
		.amdhsa_forward_progress 1
		.amdhsa_inst_pref_size 0
		.amdhsa_round_robin_scheduling 0
		.amdhsa_exception_fp_ieee_invalid_op 0
		.amdhsa_exception_fp_denorm_src 0
		.amdhsa_exception_fp_ieee_div_zero 0
		.amdhsa_exception_fp_ieee_overflow 0
		.amdhsa_exception_fp_ieee_underflow 0
		.amdhsa_exception_fp_ieee_inexact 0
		.amdhsa_exception_int_div_zero 0
	.end_amdhsa_kernel
	.section	.text._ZN7rocprim17ROCPRIM_400000_NS6detail17trampoline_kernelINS0_14default_configENS1_25partition_config_selectorILNS1_17partition_subalgoE8ElNS0_10empty_typeEbEEZZNS1_14partition_implILS5_8ELb0ES3_jPlPS6_PKS6_NS0_5tupleIJS9_S6_EEENSD_IJSA_SA_EEENS0_18inequality_wrapperIZN2at6native12_GLOBAL__N_124unique_dim_cuda_templateIhEESt5tupleIJNSH_6TensorESM_SM_EERKSM_lbbbEUlllE0_EEPmJS6_EEE10hipError_tPvRmT3_T4_T5_T6_T7_T9_mT8_P12ihipStream_tbDpT10_ENKUlT_T0_E_clISt17integral_constantIbLb1EES1B_IbLb0EEEEDaS17_S18_EUlS17_E_NS1_11comp_targetILNS1_3genE2ELNS1_11target_archE906ELNS1_3gpuE6ELNS1_3repE0EEENS1_30default_config_static_selectorELNS0_4arch9wavefront6targetE0EEEvT1_,"axG",@progbits,_ZN7rocprim17ROCPRIM_400000_NS6detail17trampoline_kernelINS0_14default_configENS1_25partition_config_selectorILNS1_17partition_subalgoE8ElNS0_10empty_typeEbEEZZNS1_14partition_implILS5_8ELb0ES3_jPlPS6_PKS6_NS0_5tupleIJS9_S6_EEENSD_IJSA_SA_EEENS0_18inequality_wrapperIZN2at6native12_GLOBAL__N_124unique_dim_cuda_templateIhEESt5tupleIJNSH_6TensorESM_SM_EERKSM_lbbbEUlllE0_EEPmJS6_EEE10hipError_tPvRmT3_T4_T5_T6_T7_T9_mT8_P12ihipStream_tbDpT10_ENKUlT_T0_E_clISt17integral_constantIbLb1EES1B_IbLb0EEEEDaS17_S18_EUlS17_E_NS1_11comp_targetILNS1_3genE2ELNS1_11target_archE906ELNS1_3gpuE6ELNS1_3repE0EEENS1_30default_config_static_selectorELNS0_4arch9wavefront6targetE0EEEvT1_,comdat
.Lfunc_end191:
	.size	_ZN7rocprim17ROCPRIM_400000_NS6detail17trampoline_kernelINS0_14default_configENS1_25partition_config_selectorILNS1_17partition_subalgoE8ElNS0_10empty_typeEbEEZZNS1_14partition_implILS5_8ELb0ES3_jPlPS6_PKS6_NS0_5tupleIJS9_S6_EEENSD_IJSA_SA_EEENS0_18inequality_wrapperIZN2at6native12_GLOBAL__N_124unique_dim_cuda_templateIhEESt5tupleIJNSH_6TensorESM_SM_EERKSM_lbbbEUlllE0_EEPmJS6_EEE10hipError_tPvRmT3_T4_T5_T6_T7_T9_mT8_P12ihipStream_tbDpT10_ENKUlT_T0_E_clISt17integral_constantIbLb1EES1B_IbLb0EEEEDaS17_S18_EUlS17_E_NS1_11comp_targetILNS1_3genE2ELNS1_11target_archE906ELNS1_3gpuE6ELNS1_3repE0EEENS1_30default_config_static_selectorELNS0_4arch9wavefront6targetE0EEEvT1_, .Lfunc_end191-_ZN7rocprim17ROCPRIM_400000_NS6detail17trampoline_kernelINS0_14default_configENS1_25partition_config_selectorILNS1_17partition_subalgoE8ElNS0_10empty_typeEbEEZZNS1_14partition_implILS5_8ELb0ES3_jPlPS6_PKS6_NS0_5tupleIJS9_S6_EEENSD_IJSA_SA_EEENS0_18inequality_wrapperIZN2at6native12_GLOBAL__N_124unique_dim_cuda_templateIhEESt5tupleIJNSH_6TensorESM_SM_EERKSM_lbbbEUlllE0_EEPmJS6_EEE10hipError_tPvRmT3_T4_T5_T6_T7_T9_mT8_P12ihipStream_tbDpT10_ENKUlT_T0_E_clISt17integral_constantIbLb1EES1B_IbLb0EEEEDaS17_S18_EUlS17_E_NS1_11comp_targetILNS1_3genE2ELNS1_11target_archE906ELNS1_3gpuE6ELNS1_3repE0EEENS1_30default_config_static_selectorELNS0_4arch9wavefront6targetE0EEEvT1_
                                        ; -- End function
	.set _ZN7rocprim17ROCPRIM_400000_NS6detail17trampoline_kernelINS0_14default_configENS1_25partition_config_selectorILNS1_17partition_subalgoE8ElNS0_10empty_typeEbEEZZNS1_14partition_implILS5_8ELb0ES3_jPlPS6_PKS6_NS0_5tupleIJS9_S6_EEENSD_IJSA_SA_EEENS0_18inequality_wrapperIZN2at6native12_GLOBAL__N_124unique_dim_cuda_templateIhEESt5tupleIJNSH_6TensorESM_SM_EERKSM_lbbbEUlllE0_EEPmJS6_EEE10hipError_tPvRmT3_T4_T5_T6_T7_T9_mT8_P12ihipStream_tbDpT10_ENKUlT_T0_E_clISt17integral_constantIbLb1EES1B_IbLb0EEEEDaS17_S18_EUlS17_E_NS1_11comp_targetILNS1_3genE2ELNS1_11target_archE906ELNS1_3gpuE6ELNS1_3repE0EEENS1_30default_config_static_selectorELNS0_4arch9wavefront6targetE0EEEvT1_.num_vgpr, 0
	.set _ZN7rocprim17ROCPRIM_400000_NS6detail17trampoline_kernelINS0_14default_configENS1_25partition_config_selectorILNS1_17partition_subalgoE8ElNS0_10empty_typeEbEEZZNS1_14partition_implILS5_8ELb0ES3_jPlPS6_PKS6_NS0_5tupleIJS9_S6_EEENSD_IJSA_SA_EEENS0_18inequality_wrapperIZN2at6native12_GLOBAL__N_124unique_dim_cuda_templateIhEESt5tupleIJNSH_6TensorESM_SM_EERKSM_lbbbEUlllE0_EEPmJS6_EEE10hipError_tPvRmT3_T4_T5_T6_T7_T9_mT8_P12ihipStream_tbDpT10_ENKUlT_T0_E_clISt17integral_constantIbLb1EES1B_IbLb0EEEEDaS17_S18_EUlS17_E_NS1_11comp_targetILNS1_3genE2ELNS1_11target_archE906ELNS1_3gpuE6ELNS1_3repE0EEENS1_30default_config_static_selectorELNS0_4arch9wavefront6targetE0EEEvT1_.num_agpr, 0
	.set _ZN7rocprim17ROCPRIM_400000_NS6detail17trampoline_kernelINS0_14default_configENS1_25partition_config_selectorILNS1_17partition_subalgoE8ElNS0_10empty_typeEbEEZZNS1_14partition_implILS5_8ELb0ES3_jPlPS6_PKS6_NS0_5tupleIJS9_S6_EEENSD_IJSA_SA_EEENS0_18inequality_wrapperIZN2at6native12_GLOBAL__N_124unique_dim_cuda_templateIhEESt5tupleIJNSH_6TensorESM_SM_EERKSM_lbbbEUlllE0_EEPmJS6_EEE10hipError_tPvRmT3_T4_T5_T6_T7_T9_mT8_P12ihipStream_tbDpT10_ENKUlT_T0_E_clISt17integral_constantIbLb1EES1B_IbLb0EEEEDaS17_S18_EUlS17_E_NS1_11comp_targetILNS1_3genE2ELNS1_11target_archE906ELNS1_3gpuE6ELNS1_3repE0EEENS1_30default_config_static_selectorELNS0_4arch9wavefront6targetE0EEEvT1_.numbered_sgpr, 0
	.set _ZN7rocprim17ROCPRIM_400000_NS6detail17trampoline_kernelINS0_14default_configENS1_25partition_config_selectorILNS1_17partition_subalgoE8ElNS0_10empty_typeEbEEZZNS1_14partition_implILS5_8ELb0ES3_jPlPS6_PKS6_NS0_5tupleIJS9_S6_EEENSD_IJSA_SA_EEENS0_18inequality_wrapperIZN2at6native12_GLOBAL__N_124unique_dim_cuda_templateIhEESt5tupleIJNSH_6TensorESM_SM_EERKSM_lbbbEUlllE0_EEPmJS6_EEE10hipError_tPvRmT3_T4_T5_T6_T7_T9_mT8_P12ihipStream_tbDpT10_ENKUlT_T0_E_clISt17integral_constantIbLb1EES1B_IbLb0EEEEDaS17_S18_EUlS17_E_NS1_11comp_targetILNS1_3genE2ELNS1_11target_archE906ELNS1_3gpuE6ELNS1_3repE0EEENS1_30default_config_static_selectorELNS0_4arch9wavefront6targetE0EEEvT1_.num_named_barrier, 0
	.set _ZN7rocprim17ROCPRIM_400000_NS6detail17trampoline_kernelINS0_14default_configENS1_25partition_config_selectorILNS1_17partition_subalgoE8ElNS0_10empty_typeEbEEZZNS1_14partition_implILS5_8ELb0ES3_jPlPS6_PKS6_NS0_5tupleIJS9_S6_EEENSD_IJSA_SA_EEENS0_18inequality_wrapperIZN2at6native12_GLOBAL__N_124unique_dim_cuda_templateIhEESt5tupleIJNSH_6TensorESM_SM_EERKSM_lbbbEUlllE0_EEPmJS6_EEE10hipError_tPvRmT3_T4_T5_T6_T7_T9_mT8_P12ihipStream_tbDpT10_ENKUlT_T0_E_clISt17integral_constantIbLb1EES1B_IbLb0EEEEDaS17_S18_EUlS17_E_NS1_11comp_targetILNS1_3genE2ELNS1_11target_archE906ELNS1_3gpuE6ELNS1_3repE0EEENS1_30default_config_static_selectorELNS0_4arch9wavefront6targetE0EEEvT1_.private_seg_size, 0
	.set _ZN7rocprim17ROCPRIM_400000_NS6detail17trampoline_kernelINS0_14default_configENS1_25partition_config_selectorILNS1_17partition_subalgoE8ElNS0_10empty_typeEbEEZZNS1_14partition_implILS5_8ELb0ES3_jPlPS6_PKS6_NS0_5tupleIJS9_S6_EEENSD_IJSA_SA_EEENS0_18inequality_wrapperIZN2at6native12_GLOBAL__N_124unique_dim_cuda_templateIhEESt5tupleIJNSH_6TensorESM_SM_EERKSM_lbbbEUlllE0_EEPmJS6_EEE10hipError_tPvRmT3_T4_T5_T6_T7_T9_mT8_P12ihipStream_tbDpT10_ENKUlT_T0_E_clISt17integral_constantIbLb1EES1B_IbLb0EEEEDaS17_S18_EUlS17_E_NS1_11comp_targetILNS1_3genE2ELNS1_11target_archE906ELNS1_3gpuE6ELNS1_3repE0EEENS1_30default_config_static_selectorELNS0_4arch9wavefront6targetE0EEEvT1_.uses_vcc, 0
	.set _ZN7rocprim17ROCPRIM_400000_NS6detail17trampoline_kernelINS0_14default_configENS1_25partition_config_selectorILNS1_17partition_subalgoE8ElNS0_10empty_typeEbEEZZNS1_14partition_implILS5_8ELb0ES3_jPlPS6_PKS6_NS0_5tupleIJS9_S6_EEENSD_IJSA_SA_EEENS0_18inequality_wrapperIZN2at6native12_GLOBAL__N_124unique_dim_cuda_templateIhEESt5tupleIJNSH_6TensorESM_SM_EERKSM_lbbbEUlllE0_EEPmJS6_EEE10hipError_tPvRmT3_T4_T5_T6_T7_T9_mT8_P12ihipStream_tbDpT10_ENKUlT_T0_E_clISt17integral_constantIbLb1EES1B_IbLb0EEEEDaS17_S18_EUlS17_E_NS1_11comp_targetILNS1_3genE2ELNS1_11target_archE906ELNS1_3gpuE6ELNS1_3repE0EEENS1_30default_config_static_selectorELNS0_4arch9wavefront6targetE0EEEvT1_.uses_flat_scratch, 0
	.set _ZN7rocprim17ROCPRIM_400000_NS6detail17trampoline_kernelINS0_14default_configENS1_25partition_config_selectorILNS1_17partition_subalgoE8ElNS0_10empty_typeEbEEZZNS1_14partition_implILS5_8ELb0ES3_jPlPS6_PKS6_NS0_5tupleIJS9_S6_EEENSD_IJSA_SA_EEENS0_18inequality_wrapperIZN2at6native12_GLOBAL__N_124unique_dim_cuda_templateIhEESt5tupleIJNSH_6TensorESM_SM_EERKSM_lbbbEUlllE0_EEPmJS6_EEE10hipError_tPvRmT3_T4_T5_T6_T7_T9_mT8_P12ihipStream_tbDpT10_ENKUlT_T0_E_clISt17integral_constantIbLb1EES1B_IbLb0EEEEDaS17_S18_EUlS17_E_NS1_11comp_targetILNS1_3genE2ELNS1_11target_archE906ELNS1_3gpuE6ELNS1_3repE0EEENS1_30default_config_static_selectorELNS0_4arch9wavefront6targetE0EEEvT1_.has_dyn_sized_stack, 0
	.set _ZN7rocprim17ROCPRIM_400000_NS6detail17trampoline_kernelINS0_14default_configENS1_25partition_config_selectorILNS1_17partition_subalgoE8ElNS0_10empty_typeEbEEZZNS1_14partition_implILS5_8ELb0ES3_jPlPS6_PKS6_NS0_5tupleIJS9_S6_EEENSD_IJSA_SA_EEENS0_18inequality_wrapperIZN2at6native12_GLOBAL__N_124unique_dim_cuda_templateIhEESt5tupleIJNSH_6TensorESM_SM_EERKSM_lbbbEUlllE0_EEPmJS6_EEE10hipError_tPvRmT3_T4_T5_T6_T7_T9_mT8_P12ihipStream_tbDpT10_ENKUlT_T0_E_clISt17integral_constantIbLb1EES1B_IbLb0EEEEDaS17_S18_EUlS17_E_NS1_11comp_targetILNS1_3genE2ELNS1_11target_archE906ELNS1_3gpuE6ELNS1_3repE0EEENS1_30default_config_static_selectorELNS0_4arch9wavefront6targetE0EEEvT1_.has_recursion, 0
	.set _ZN7rocprim17ROCPRIM_400000_NS6detail17trampoline_kernelINS0_14default_configENS1_25partition_config_selectorILNS1_17partition_subalgoE8ElNS0_10empty_typeEbEEZZNS1_14partition_implILS5_8ELb0ES3_jPlPS6_PKS6_NS0_5tupleIJS9_S6_EEENSD_IJSA_SA_EEENS0_18inequality_wrapperIZN2at6native12_GLOBAL__N_124unique_dim_cuda_templateIhEESt5tupleIJNSH_6TensorESM_SM_EERKSM_lbbbEUlllE0_EEPmJS6_EEE10hipError_tPvRmT3_T4_T5_T6_T7_T9_mT8_P12ihipStream_tbDpT10_ENKUlT_T0_E_clISt17integral_constantIbLb1EES1B_IbLb0EEEEDaS17_S18_EUlS17_E_NS1_11comp_targetILNS1_3genE2ELNS1_11target_archE906ELNS1_3gpuE6ELNS1_3repE0EEENS1_30default_config_static_selectorELNS0_4arch9wavefront6targetE0EEEvT1_.has_indirect_call, 0
	.section	.AMDGPU.csdata,"",@progbits
; Kernel info:
; codeLenInByte = 0
; TotalNumSgprs: 0
; NumVgprs: 0
; ScratchSize: 0
; MemoryBound: 0
; FloatMode: 240
; IeeeMode: 1
; LDSByteSize: 0 bytes/workgroup (compile time only)
; SGPRBlocks: 0
; VGPRBlocks: 0
; NumSGPRsForWavesPerEU: 1
; NumVGPRsForWavesPerEU: 1
; NamedBarCnt: 0
; Occupancy: 16
; WaveLimiterHint : 0
; COMPUTE_PGM_RSRC2:SCRATCH_EN: 0
; COMPUTE_PGM_RSRC2:USER_SGPR: 2
; COMPUTE_PGM_RSRC2:TRAP_HANDLER: 0
; COMPUTE_PGM_RSRC2:TGID_X_EN: 1
; COMPUTE_PGM_RSRC2:TGID_Y_EN: 0
; COMPUTE_PGM_RSRC2:TGID_Z_EN: 0
; COMPUTE_PGM_RSRC2:TIDIG_COMP_CNT: 0
	.section	.text._ZN7rocprim17ROCPRIM_400000_NS6detail17trampoline_kernelINS0_14default_configENS1_25partition_config_selectorILNS1_17partition_subalgoE8ElNS0_10empty_typeEbEEZZNS1_14partition_implILS5_8ELb0ES3_jPlPS6_PKS6_NS0_5tupleIJS9_S6_EEENSD_IJSA_SA_EEENS0_18inequality_wrapperIZN2at6native12_GLOBAL__N_124unique_dim_cuda_templateIhEESt5tupleIJNSH_6TensorESM_SM_EERKSM_lbbbEUlllE0_EEPmJS6_EEE10hipError_tPvRmT3_T4_T5_T6_T7_T9_mT8_P12ihipStream_tbDpT10_ENKUlT_T0_E_clISt17integral_constantIbLb1EES1B_IbLb0EEEEDaS17_S18_EUlS17_E_NS1_11comp_targetILNS1_3genE10ELNS1_11target_archE1200ELNS1_3gpuE4ELNS1_3repE0EEENS1_30default_config_static_selectorELNS0_4arch9wavefront6targetE0EEEvT1_,"axG",@progbits,_ZN7rocprim17ROCPRIM_400000_NS6detail17trampoline_kernelINS0_14default_configENS1_25partition_config_selectorILNS1_17partition_subalgoE8ElNS0_10empty_typeEbEEZZNS1_14partition_implILS5_8ELb0ES3_jPlPS6_PKS6_NS0_5tupleIJS9_S6_EEENSD_IJSA_SA_EEENS0_18inequality_wrapperIZN2at6native12_GLOBAL__N_124unique_dim_cuda_templateIhEESt5tupleIJNSH_6TensorESM_SM_EERKSM_lbbbEUlllE0_EEPmJS6_EEE10hipError_tPvRmT3_T4_T5_T6_T7_T9_mT8_P12ihipStream_tbDpT10_ENKUlT_T0_E_clISt17integral_constantIbLb1EES1B_IbLb0EEEEDaS17_S18_EUlS17_E_NS1_11comp_targetILNS1_3genE10ELNS1_11target_archE1200ELNS1_3gpuE4ELNS1_3repE0EEENS1_30default_config_static_selectorELNS0_4arch9wavefront6targetE0EEEvT1_,comdat
	.globl	_ZN7rocprim17ROCPRIM_400000_NS6detail17trampoline_kernelINS0_14default_configENS1_25partition_config_selectorILNS1_17partition_subalgoE8ElNS0_10empty_typeEbEEZZNS1_14partition_implILS5_8ELb0ES3_jPlPS6_PKS6_NS0_5tupleIJS9_S6_EEENSD_IJSA_SA_EEENS0_18inequality_wrapperIZN2at6native12_GLOBAL__N_124unique_dim_cuda_templateIhEESt5tupleIJNSH_6TensorESM_SM_EERKSM_lbbbEUlllE0_EEPmJS6_EEE10hipError_tPvRmT3_T4_T5_T6_T7_T9_mT8_P12ihipStream_tbDpT10_ENKUlT_T0_E_clISt17integral_constantIbLb1EES1B_IbLb0EEEEDaS17_S18_EUlS17_E_NS1_11comp_targetILNS1_3genE10ELNS1_11target_archE1200ELNS1_3gpuE4ELNS1_3repE0EEENS1_30default_config_static_selectorELNS0_4arch9wavefront6targetE0EEEvT1_ ; -- Begin function _ZN7rocprim17ROCPRIM_400000_NS6detail17trampoline_kernelINS0_14default_configENS1_25partition_config_selectorILNS1_17partition_subalgoE8ElNS0_10empty_typeEbEEZZNS1_14partition_implILS5_8ELb0ES3_jPlPS6_PKS6_NS0_5tupleIJS9_S6_EEENSD_IJSA_SA_EEENS0_18inequality_wrapperIZN2at6native12_GLOBAL__N_124unique_dim_cuda_templateIhEESt5tupleIJNSH_6TensorESM_SM_EERKSM_lbbbEUlllE0_EEPmJS6_EEE10hipError_tPvRmT3_T4_T5_T6_T7_T9_mT8_P12ihipStream_tbDpT10_ENKUlT_T0_E_clISt17integral_constantIbLb1EES1B_IbLb0EEEEDaS17_S18_EUlS17_E_NS1_11comp_targetILNS1_3genE10ELNS1_11target_archE1200ELNS1_3gpuE4ELNS1_3repE0EEENS1_30default_config_static_selectorELNS0_4arch9wavefront6targetE0EEEvT1_
	.p2align	8
	.type	_ZN7rocprim17ROCPRIM_400000_NS6detail17trampoline_kernelINS0_14default_configENS1_25partition_config_selectorILNS1_17partition_subalgoE8ElNS0_10empty_typeEbEEZZNS1_14partition_implILS5_8ELb0ES3_jPlPS6_PKS6_NS0_5tupleIJS9_S6_EEENSD_IJSA_SA_EEENS0_18inequality_wrapperIZN2at6native12_GLOBAL__N_124unique_dim_cuda_templateIhEESt5tupleIJNSH_6TensorESM_SM_EERKSM_lbbbEUlllE0_EEPmJS6_EEE10hipError_tPvRmT3_T4_T5_T6_T7_T9_mT8_P12ihipStream_tbDpT10_ENKUlT_T0_E_clISt17integral_constantIbLb1EES1B_IbLb0EEEEDaS17_S18_EUlS17_E_NS1_11comp_targetILNS1_3genE10ELNS1_11target_archE1200ELNS1_3gpuE4ELNS1_3repE0EEENS1_30default_config_static_selectorELNS0_4arch9wavefront6targetE0EEEvT1_,@function
_ZN7rocprim17ROCPRIM_400000_NS6detail17trampoline_kernelINS0_14default_configENS1_25partition_config_selectorILNS1_17partition_subalgoE8ElNS0_10empty_typeEbEEZZNS1_14partition_implILS5_8ELb0ES3_jPlPS6_PKS6_NS0_5tupleIJS9_S6_EEENSD_IJSA_SA_EEENS0_18inequality_wrapperIZN2at6native12_GLOBAL__N_124unique_dim_cuda_templateIhEESt5tupleIJNSH_6TensorESM_SM_EERKSM_lbbbEUlllE0_EEPmJS6_EEE10hipError_tPvRmT3_T4_T5_T6_T7_T9_mT8_P12ihipStream_tbDpT10_ENKUlT_T0_E_clISt17integral_constantIbLb1EES1B_IbLb0EEEEDaS17_S18_EUlS17_E_NS1_11comp_targetILNS1_3genE10ELNS1_11target_archE1200ELNS1_3gpuE4ELNS1_3repE0EEENS1_30default_config_static_selectorELNS0_4arch9wavefront6targetE0EEEvT1_: ; @_ZN7rocprim17ROCPRIM_400000_NS6detail17trampoline_kernelINS0_14default_configENS1_25partition_config_selectorILNS1_17partition_subalgoE8ElNS0_10empty_typeEbEEZZNS1_14partition_implILS5_8ELb0ES3_jPlPS6_PKS6_NS0_5tupleIJS9_S6_EEENSD_IJSA_SA_EEENS0_18inequality_wrapperIZN2at6native12_GLOBAL__N_124unique_dim_cuda_templateIhEESt5tupleIJNSH_6TensorESM_SM_EERKSM_lbbbEUlllE0_EEPmJS6_EEE10hipError_tPvRmT3_T4_T5_T6_T7_T9_mT8_P12ihipStream_tbDpT10_ENKUlT_T0_E_clISt17integral_constantIbLb1EES1B_IbLb0EEEEDaS17_S18_EUlS17_E_NS1_11comp_targetILNS1_3genE10ELNS1_11target_archE1200ELNS1_3gpuE4ELNS1_3repE0EEENS1_30default_config_static_selectorELNS0_4arch9wavefront6targetE0EEEvT1_
; %bb.0:
	.section	.rodata,"a",@progbits
	.p2align	6, 0x0
	.amdhsa_kernel _ZN7rocprim17ROCPRIM_400000_NS6detail17trampoline_kernelINS0_14default_configENS1_25partition_config_selectorILNS1_17partition_subalgoE8ElNS0_10empty_typeEbEEZZNS1_14partition_implILS5_8ELb0ES3_jPlPS6_PKS6_NS0_5tupleIJS9_S6_EEENSD_IJSA_SA_EEENS0_18inequality_wrapperIZN2at6native12_GLOBAL__N_124unique_dim_cuda_templateIhEESt5tupleIJNSH_6TensorESM_SM_EERKSM_lbbbEUlllE0_EEPmJS6_EEE10hipError_tPvRmT3_T4_T5_T6_T7_T9_mT8_P12ihipStream_tbDpT10_ENKUlT_T0_E_clISt17integral_constantIbLb1EES1B_IbLb0EEEEDaS17_S18_EUlS17_E_NS1_11comp_targetILNS1_3genE10ELNS1_11target_archE1200ELNS1_3gpuE4ELNS1_3repE0EEENS1_30default_config_static_selectorELNS0_4arch9wavefront6targetE0EEEvT1_
		.amdhsa_group_segment_fixed_size 0
		.amdhsa_private_segment_fixed_size 0
		.amdhsa_kernarg_size 120
		.amdhsa_user_sgpr_count 2
		.amdhsa_user_sgpr_dispatch_ptr 0
		.amdhsa_user_sgpr_queue_ptr 0
		.amdhsa_user_sgpr_kernarg_segment_ptr 1
		.amdhsa_user_sgpr_dispatch_id 0
		.amdhsa_user_sgpr_kernarg_preload_length 0
		.amdhsa_user_sgpr_kernarg_preload_offset 0
		.amdhsa_user_sgpr_private_segment_size 0
		.amdhsa_wavefront_size32 1
		.amdhsa_uses_dynamic_stack 0
		.amdhsa_enable_private_segment 0
		.amdhsa_system_sgpr_workgroup_id_x 1
		.amdhsa_system_sgpr_workgroup_id_y 0
		.amdhsa_system_sgpr_workgroup_id_z 0
		.amdhsa_system_sgpr_workgroup_info 0
		.amdhsa_system_vgpr_workitem_id 0
		.amdhsa_next_free_vgpr 1
		.amdhsa_next_free_sgpr 1
		.amdhsa_named_barrier_count 0
		.amdhsa_reserve_vcc 0
		.amdhsa_float_round_mode_32 0
		.amdhsa_float_round_mode_16_64 0
		.amdhsa_float_denorm_mode_32 3
		.amdhsa_float_denorm_mode_16_64 3
		.amdhsa_fp16_overflow 0
		.amdhsa_memory_ordered 1
		.amdhsa_forward_progress 1
		.amdhsa_inst_pref_size 0
		.amdhsa_round_robin_scheduling 0
		.amdhsa_exception_fp_ieee_invalid_op 0
		.amdhsa_exception_fp_denorm_src 0
		.amdhsa_exception_fp_ieee_div_zero 0
		.amdhsa_exception_fp_ieee_overflow 0
		.amdhsa_exception_fp_ieee_underflow 0
		.amdhsa_exception_fp_ieee_inexact 0
		.amdhsa_exception_int_div_zero 0
	.end_amdhsa_kernel
	.section	.text._ZN7rocprim17ROCPRIM_400000_NS6detail17trampoline_kernelINS0_14default_configENS1_25partition_config_selectorILNS1_17partition_subalgoE8ElNS0_10empty_typeEbEEZZNS1_14partition_implILS5_8ELb0ES3_jPlPS6_PKS6_NS0_5tupleIJS9_S6_EEENSD_IJSA_SA_EEENS0_18inequality_wrapperIZN2at6native12_GLOBAL__N_124unique_dim_cuda_templateIhEESt5tupleIJNSH_6TensorESM_SM_EERKSM_lbbbEUlllE0_EEPmJS6_EEE10hipError_tPvRmT3_T4_T5_T6_T7_T9_mT8_P12ihipStream_tbDpT10_ENKUlT_T0_E_clISt17integral_constantIbLb1EES1B_IbLb0EEEEDaS17_S18_EUlS17_E_NS1_11comp_targetILNS1_3genE10ELNS1_11target_archE1200ELNS1_3gpuE4ELNS1_3repE0EEENS1_30default_config_static_selectorELNS0_4arch9wavefront6targetE0EEEvT1_,"axG",@progbits,_ZN7rocprim17ROCPRIM_400000_NS6detail17trampoline_kernelINS0_14default_configENS1_25partition_config_selectorILNS1_17partition_subalgoE8ElNS0_10empty_typeEbEEZZNS1_14partition_implILS5_8ELb0ES3_jPlPS6_PKS6_NS0_5tupleIJS9_S6_EEENSD_IJSA_SA_EEENS0_18inequality_wrapperIZN2at6native12_GLOBAL__N_124unique_dim_cuda_templateIhEESt5tupleIJNSH_6TensorESM_SM_EERKSM_lbbbEUlllE0_EEPmJS6_EEE10hipError_tPvRmT3_T4_T5_T6_T7_T9_mT8_P12ihipStream_tbDpT10_ENKUlT_T0_E_clISt17integral_constantIbLb1EES1B_IbLb0EEEEDaS17_S18_EUlS17_E_NS1_11comp_targetILNS1_3genE10ELNS1_11target_archE1200ELNS1_3gpuE4ELNS1_3repE0EEENS1_30default_config_static_selectorELNS0_4arch9wavefront6targetE0EEEvT1_,comdat
.Lfunc_end192:
	.size	_ZN7rocprim17ROCPRIM_400000_NS6detail17trampoline_kernelINS0_14default_configENS1_25partition_config_selectorILNS1_17partition_subalgoE8ElNS0_10empty_typeEbEEZZNS1_14partition_implILS5_8ELb0ES3_jPlPS6_PKS6_NS0_5tupleIJS9_S6_EEENSD_IJSA_SA_EEENS0_18inequality_wrapperIZN2at6native12_GLOBAL__N_124unique_dim_cuda_templateIhEESt5tupleIJNSH_6TensorESM_SM_EERKSM_lbbbEUlllE0_EEPmJS6_EEE10hipError_tPvRmT3_T4_T5_T6_T7_T9_mT8_P12ihipStream_tbDpT10_ENKUlT_T0_E_clISt17integral_constantIbLb1EES1B_IbLb0EEEEDaS17_S18_EUlS17_E_NS1_11comp_targetILNS1_3genE10ELNS1_11target_archE1200ELNS1_3gpuE4ELNS1_3repE0EEENS1_30default_config_static_selectorELNS0_4arch9wavefront6targetE0EEEvT1_, .Lfunc_end192-_ZN7rocprim17ROCPRIM_400000_NS6detail17trampoline_kernelINS0_14default_configENS1_25partition_config_selectorILNS1_17partition_subalgoE8ElNS0_10empty_typeEbEEZZNS1_14partition_implILS5_8ELb0ES3_jPlPS6_PKS6_NS0_5tupleIJS9_S6_EEENSD_IJSA_SA_EEENS0_18inequality_wrapperIZN2at6native12_GLOBAL__N_124unique_dim_cuda_templateIhEESt5tupleIJNSH_6TensorESM_SM_EERKSM_lbbbEUlllE0_EEPmJS6_EEE10hipError_tPvRmT3_T4_T5_T6_T7_T9_mT8_P12ihipStream_tbDpT10_ENKUlT_T0_E_clISt17integral_constantIbLb1EES1B_IbLb0EEEEDaS17_S18_EUlS17_E_NS1_11comp_targetILNS1_3genE10ELNS1_11target_archE1200ELNS1_3gpuE4ELNS1_3repE0EEENS1_30default_config_static_selectorELNS0_4arch9wavefront6targetE0EEEvT1_
                                        ; -- End function
	.set _ZN7rocprim17ROCPRIM_400000_NS6detail17trampoline_kernelINS0_14default_configENS1_25partition_config_selectorILNS1_17partition_subalgoE8ElNS0_10empty_typeEbEEZZNS1_14partition_implILS5_8ELb0ES3_jPlPS6_PKS6_NS0_5tupleIJS9_S6_EEENSD_IJSA_SA_EEENS0_18inequality_wrapperIZN2at6native12_GLOBAL__N_124unique_dim_cuda_templateIhEESt5tupleIJNSH_6TensorESM_SM_EERKSM_lbbbEUlllE0_EEPmJS6_EEE10hipError_tPvRmT3_T4_T5_T6_T7_T9_mT8_P12ihipStream_tbDpT10_ENKUlT_T0_E_clISt17integral_constantIbLb1EES1B_IbLb0EEEEDaS17_S18_EUlS17_E_NS1_11comp_targetILNS1_3genE10ELNS1_11target_archE1200ELNS1_3gpuE4ELNS1_3repE0EEENS1_30default_config_static_selectorELNS0_4arch9wavefront6targetE0EEEvT1_.num_vgpr, 0
	.set _ZN7rocprim17ROCPRIM_400000_NS6detail17trampoline_kernelINS0_14default_configENS1_25partition_config_selectorILNS1_17partition_subalgoE8ElNS0_10empty_typeEbEEZZNS1_14partition_implILS5_8ELb0ES3_jPlPS6_PKS6_NS0_5tupleIJS9_S6_EEENSD_IJSA_SA_EEENS0_18inequality_wrapperIZN2at6native12_GLOBAL__N_124unique_dim_cuda_templateIhEESt5tupleIJNSH_6TensorESM_SM_EERKSM_lbbbEUlllE0_EEPmJS6_EEE10hipError_tPvRmT3_T4_T5_T6_T7_T9_mT8_P12ihipStream_tbDpT10_ENKUlT_T0_E_clISt17integral_constantIbLb1EES1B_IbLb0EEEEDaS17_S18_EUlS17_E_NS1_11comp_targetILNS1_3genE10ELNS1_11target_archE1200ELNS1_3gpuE4ELNS1_3repE0EEENS1_30default_config_static_selectorELNS0_4arch9wavefront6targetE0EEEvT1_.num_agpr, 0
	.set _ZN7rocprim17ROCPRIM_400000_NS6detail17trampoline_kernelINS0_14default_configENS1_25partition_config_selectorILNS1_17partition_subalgoE8ElNS0_10empty_typeEbEEZZNS1_14partition_implILS5_8ELb0ES3_jPlPS6_PKS6_NS0_5tupleIJS9_S6_EEENSD_IJSA_SA_EEENS0_18inequality_wrapperIZN2at6native12_GLOBAL__N_124unique_dim_cuda_templateIhEESt5tupleIJNSH_6TensorESM_SM_EERKSM_lbbbEUlllE0_EEPmJS6_EEE10hipError_tPvRmT3_T4_T5_T6_T7_T9_mT8_P12ihipStream_tbDpT10_ENKUlT_T0_E_clISt17integral_constantIbLb1EES1B_IbLb0EEEEDaS17_S18_EUlS17_E_NS1_11comp_targetILNS1_3genE10ELNS1_11target_archE1200ELNS1_3gpuE4ELNS1_3repE0EEENS1_30default_config_static_selectorELNS0_4arch9wavefront6targetE0EEEvT1_.numbered_sgpr, 0
	.set _ZN7rocprim17ROCPRIM_400000_NS6detail17trampoline_kernelINS0_14default_configENS1_25partition_config_selectorILNS1_17partition_subalgoE8ElNS0_10empty_typeEbEEZZNS1_14partition_implILS5_8ELb0ES3_jPlPS6_PKS6_NS0_5tupleIJS9_S6_EEENSD_IJSA_SA_EEENS0_18inequality_wrapperIZN2at6native12_GLOBAL__N_124unique_dim_cuda_templateIhEESt5tupleIJNSH_6TensorESM_SM_EERKSM_lbbbEUlllE0_EEPmJS6_EEE10hipError_tPvRmT3_T4_T5_T6_T7_T9_mT8_P12ihipStream_tbDpT10_ENKUlT_T0_E_clISt17integral_constantIbLb1EES1B_IbLb0EEEEDaS17_S18_EUlS17_E_NS1_11comp_targetILNS1_3genE10ELNS1_11target_archE1200ELNS1_3gpuE4ELNS1_3repE0EEENS1_30default_config_static_selectorELNS0_4arch9wavefront6targetE0EEEvT1_.num_named_barrier, 0
	.set _ZN7rocprim17ROCPRIM_400000_NS6detail17trampoline_kernelINS0_14default_configENS1_25partition_config_selectorILNS1_17partition_subalgoE8ElNS0_10empty_typeEbEEZZNS1_14partition_implILS5_8ELb0ES3_jPlPS6_PKS6_NS0_5tupleIJS9_S6_EEENSD_IJSA_SA_EEENS0_18inequality_wrapperIZN2at6native12_GLOBAL__N_124unique_dim_cuda_templateIhEESt5tupleIJNSH_6TensorESM_SM_EERKSM_lbbbEUlllE0_EEPmJS6_EEE10hipError_tPvRmT3_T4_T5_T6_T7_T9_mT8_P12ihipStream_tbDpT10_ENKUlT_T0_E_clISt17integral_constantIbLb1EES1B_IbLb0EEEEDaS17_S18_EUlS17_E_NS1_11comp_targetILNS1_3genE10ELNS1_11target_archE1200ELNS1_3gpuE4ELNS1_3repE0EEENS1_30default_config_static_selectorELNS0_4arch9wavefront6targetE0EEEvT1_.private_seg_size, 0
	.set _ZN7rocprim17ROCPRIM_400000_NS6detail17trampoline_kernelINS0_14default_configENS1_25partition_config_selectorILNS1_17partition_subalgoE8ElNS0_10empty_typeEbEEZZNS1_14partition_implILS5_8ELb0ES3_jPlPS6_PKS6_NS0_5tupleIJS9_S6_EEENSD_IJSA_SA_EEENS0_18inequality_wrapperIZN2at6native12_GLOBAL__N_124unique_dim_cuda_templateIhEESt5tupleIJNSH_6TensorESM_SM_EERKSM_lbbbEUlllE0_EEPmJS6_EEE10hipError_tPvRmT3_T4_T5_T6_T7_T9_mT8_P12ihipStream_tbDpT10_ENKUlT_T0_E_clISt17integral_constantIbLb1EES1B_IbLb0EEEEDaS17_S18_EUlS17_E_NS1_11comp_targetILNS1_3genE10ELNS1_11target_archE1200ELNS1_3gpuE4ELNS1_3repE0EEENS1_30default_config_static_selectorELNS0_4arch9wavefront6targetE0EEEvT1_.uses_vcc, 0
	.set _ZN7rocprim17ROCPRIM_400000_NS6detail17trampoline_kernelINS0_14default_configENS1_25partition_config_selectorILNS1_17partition_subalgoE8ElNS0_10empty_typeEbEEZZNS1_14partition_implILS5_8ELb0ES3_jPlPS6_PKS6_NS0_5tupleIJS9_S6_EEENSD_IJSA_SA_EEENS0_18inequality_wrapperIZN2at6native12_GLOBAL__N_124unique_dim_cuda_templateIhEESt5tupleIJNSH_6TensorESM_SM_EERKSM_lbbbEUlllE0_EEPmJS6_EEE10hipError_tPvRmT3_T4_T5_T6_T7_T9_mT8_P12ihipStream_tbDpT10_ENKUlT_T0_E_clISt17integral_constantIbLb1EES1B_IbLb0EEEEDaS17_S18_EUlS17_E_NS1_11comp_targetILNS1_3genE10ELNS1_11target_archE1200ELNS1_3gpuE4ELNS1_3repE0EEENS1_30default_config_static_selectorELNS0_4arch9wavefront6targetE0EEEvT1_.uses_flat_scratch, 0
	.set _ZN7rocprim17ROCPRIM_400000_NS6detail17trampoline_kernelINS0_14default_configENS1_25partition_config_selectorILNS1_17partition_subalgoE8ElNS0_10empty_typeEbEEZZNS1_14partition_implILS5_8ELb0ES3_jPlPS6_PKS6_NS0_5tupleIJS9_S6_EEENSD_IJSA_SA_EEENS0_18inequality_wrapperIZN2at6native12_GLOBAL__N_124unique_dim_cuda_templateIhEESt5tupleIJNSH_6TensorESM_SM_EERKSM_lbbbEUlllE0_EEPmJS6_EEE10hipError_tPvRmT3_T4_T5_T6_T7_T9_mT8_P12ihipStream_tbDpT10_ENKUlT_T0_E_clISt17integral_constantIbLb1EES1B_IbLb0EEEEDaS17_S18_EUlS17_E_NS1_11comp_targetILNS1_3genE10ELNS1_11target_archE1200ELNS1_3gpuE4ELNS1_3repE0EEENS1_30default_config_static_selectorELNS0_4arch9wavefront6targetE0EEEvT1_.has_dyn_sized_stack, 0
	.set _ZN7rocprim17ROCPRIM_400000_NS6detail17trampoline_kernelINS0_14default_configENS1_25partition_config_selectorILNS1_17partition_subalgoE8ElNS0_10empty_typeEbEEZZNS1_14partition_implILS5_8ELb0ES3_jPlPS6_PKS6_NS0_5tupleIJS9_S6_EEENSD_IJSA_SA_EEENS0_18inequality_wrapperIZN2at6native12_GLOBAL__N_124unique_dim_cuda_templateIhEESt5tupleIJNSH_6TensorESM_SM_EERKSM_lbbbEUlllE0_EEPmJS6_EEE10hipError_tPvRmT3_T4_T5_T6_T7_T9_mT8_P12ihipStream_tbDpT10_ENKUlT_T0_E_clISt17integral_constantIbLb1EES1B_IbLb0EEEEDaS17_S18_EUlS17_E_NS1_11comp_targetILNS1_3genE10ELNS1_11target_archE1200ELNS1_3gpuE4ELNS1_3repE0EEENS1_30default_config_static_selectorELNS0_4arch9wavefront6targetE0EEEvT1_.has_recursion, 0
	.set _ZN7rocprim17ROCPRIM_400000_NS6detail17trampoline_kernelINS0_14default_configENS1_25partition_config_selectorILNS1_17partition_subalgoE8ElNS0_10empty_typeEbEEZZNS1_14partition_implILS5_8ELb0ES3_jPlPS6_PKS6_NS0_5tupleIJS9_S6_EEENSD_IJSA_SA_EEENS0_18inequality_wrapperIZN2at6native12_GLOBAL__N_124unique_dim_cuda_templateIhEESt5tupleIJNSH_6TensorESM_SM_EERKSM_lbbbEUlllE0_EEPmJS6_EEE10hipError_tPvRmT3_T4_T5_T6_T7_T9_mT8_P12ihipStream_tbDpT10_ENKUlT_T0_E_clISt17integral_constantIbLb1EES1B_IbLb0EEEEDaS17_S18_EUlS17_E_NS1_11comp_targetILNS1_3genE10ELNS1_11target_archE1200ELNS1_3gpuE4ELNS1_3repE0EEENS1_30default_config_static_selectorELNS0_4arch9wavefront6targetE0EEEvT1_.has_indirect_call, 0
	.section	.AMDGPU.csdata,"",@progbits
; Kernel info:
; codeLenInByte = 0
; TotalNumSgprs: 0
; NumVgprs: 0
; ScratchSize: 0
; MemoryBound: 0
; FloatMode: 240
; IeeeMode: 1
; LDSByteSize: 0 bytes/workgroup (compile time only)
; SGPRBlocks: 0
; VGPRBlocks: 0
; NumSGPRsForWavesPerEU: 1
; NumVGPRsForWavesPerEU: 1
; NamedBarCnt: 0
; Occupancy: 16
; WaveLimiterHint : 0
; COMPUTE_PGM_RSRC2:SCRATCH_EN: 0
; COMPUTE_PGM_RSRC2:USER_SGPR: 2
; COMPUTE_PGM_RSRC2:TRAP_HANDLER: 0
; COMPUTE_PGM_RSRC2:TGID_X_EN: 1
; COMPUTE_PGM_RSRC2:TGID_Y_EN: 0
; COMPUTE_PGM_RSRC2:TGID_Z_EN: 0
; COMPUTE_PGM_RSRC2:TIDIG_COMP_CNT: 0
	.section	.text._ZN7rocprim17ROCPRIM_400000_NS6detail17trampoline_kernelINS0_14default_configENS1_25partition_config_selectorILNS1_17partition_subalgoE8ElNS0_10empty_typeEbEEZZNS1_14partition_implILS5_8ELb0ES3_jPlPS6_PKS6_NS0_5tupleIJS9_S6_EEENSD_IJSA_SA_EEENS0_18inequality_wrapperIZN2at6native12_GLOBAL__N_124unique_dim_cuda_templateIhEESt5tupleIJNSH_6TensorESM_SM_EERKSM_lbbbEUlllE0_EEPmJS6_EEE10hipError_tPvRmT3_T4_T5_T6_T7_T9_mT8_P12ihipStream_tbDpT10_ENKUlT_T0_E_clISt17integral_constantIbLb1EES1B_IbLb0EEEEDaS17_S18_EUlS17_E_NS1_11comp_targetILNS1_3genE9ELNS1_11target_archE1100ELNS1_3gpuE3ELNS1_3repE0EEENS1_30default_config_static_selectorELNS0_4arch9wavefront6targetE0EEEvT1_,"axG",@progbits,_ZN7rocprim17ROCPRIM_400000_NS6detail17trampoline_kernelINS0_14default_configENS1_25partition_config_selectorILNS1_17partition_subalgoE8ElNS0_10empty_typeEbEEZZNS1_14partition_implILS5_8ELb0ES3_jPlPS6_PKS6_NS0_5tupleIJS9_S6_EEENSD_IJSA_SA_EEENS0_18inequality_wrapperIZN2at6native12_GLOBAL__N_124unique_dim_cuda_templateIhEESt5tupleIJNSH_6TensorESM_SM_EERKSM_lbbbEUlllE0_EEPmJS6_EEE10hipError_tPvRmT3_T4_T5_T6_T7_T9_mT8_P12ihipStream_tbDpT10_ENKUlT_T0_E_clISt17integral_constantIbLb1EES1B_IbLb0EEEEDaS17_S18_EUlS17_E_NS1_11comp_targetILNS1_3genE9ELNS1_11target_archE1100ELNS1_3gpuE3ELNS1_3repE0EEENS1_30default_config_static_selectorELNS0_4arch9wavefront6targetE0EEEvT1_,comdat
	.globl	_ZN7rocprim17ROCPRIM_400000_NS6detail17trampoline_kernelINS0_14default_configENS1_25partition_config_selectorILNS1_17partition_subalgoE8ElNS0_10empty_typeEbEEZZNS1_14partition_implILS5_8ELb0ES3_jPlPS6_PKS6_NS0_5tupleIJS9_S6_EEENSD_IJSA_SA_EEENS0_18inequality_wrapperIZN2at6native12_GLOBAL__N_124unique_dim_cuda_templateIhEESt5tupleIJNSH_6TensorESM_SM_EERKSM_lbbbEUlllE0_EEPmJS6_EEE10hipError_tPvRmT3_T4_T5_T6_T7_T9_mT8_P12ihipStream_tbDpT10_ENKUlT_T0_E_clISt17integral_constantIbLb1EES1B_IbLb0EEEEDaS17_S18_EUlS17_E_NS1_11comp_targetILNS1_3genE9ELNS1_11target_archE1100ELNS1_3gpuE3ELNS1_3repE0EEENS1_30default_config_static_selectorELNS0_4arch9wavefront6targetE0EEEvT1_ ; -- Begin function _ZN7rocprim17ROCPRIM_400000_NS6detail17trampoline_kernelINS0_14default_configENS1_25partition_config_selectorILNS1_17partition_subalgoE8ElNS0_10empty_typeEbEEZZNS1_14partition_implILS5_8ELb0ES3_jPlPS6_PKS6_NS0_5tupleIJS9_S6_EEENSD_IJSA_SA_EEENS0_18inequality_wrapperIZN2at6native12_GLOBAL__N_124unique_dim_cuda_templateIhEESt5tupleIJNSH_6TensorESM_SM_EERKSM_lbbbEUlllE0_EEPmJS6_EEE10hipError_tPvRmT3_T4_T5_T6_T7_T9_mT8_P12ihipStream_tbDpT10_ENKUlT_T0_E_clISt17integral_constantIbLb1EES1B_IbLb0EEEEDaS17_S18_EUlS17_E_NS1_11comp_targetILNS1_3genE9ELNS1_11target_archE1100ELNS1_3gpuE3ELNS1_3repE0EEENS1_30default_config_static_selectorELNS0_4arch9wavefront6targetE0EEEvT1_
	.p2align	8
	.type	_ZN7rocprim17ROCPRIM_400000_NS6detail17trampoline_kernelINS0_14default_configENS1_25partition_config_selectorILNS1_17partition_subalgoE8ElNS0_10empty_typeEbEEZZNS1_14partition_implILS5_8ELb0ES3_jPlPS6_PKS6_NS0_5tupleIJS9_S6_EEENSD_IJSA_SA_EEENS0_18inequality_wrapperIZN2at6native12_GLOBAL__N_124unique_dim_cuda_templateIhEESt5tupleIJNSH_6TensorESM_SM_EERKSM_lbbbEUlllE0_EEPmJS6_EEE10hipError_tPvRmT3_T4_T5_T6_T7_T9_mT8_P12ihipStream_tbDpT10_ENKUlT_T0_E_clISt17integral_constantIbLb1EES1B_IbLb0EEEEDaS17_S18_EUlS17_E_NS1_11comp_targetILNS1_3genE9ELNS1_11target_archE1100ELNS1_3gpuE3ELNS1_3repE0EEENS1_30default_config_static_selectorELNS0_4arch9wavefront6targetE0EEEvT1_,@function
_ZN7rocprim17ROCPRIM_400000_NS6detail17trampoline_kernelINS0_14default_configENS1_25partition_config_selectorILNS1_17partition_subalgoE8ElNS0_10empty_typeEbEEZZNS1_14partition_implILS5_8ELb0ES3_jPlPS6_PKS6_NS0_5tupleIJS9_S6_EEENSD_IJSA_SA_EEENS0_18inequality_wrapperIZN2at6native12_GLOBAL__N_124unique_dim_cuda_templateIhEESt5tupleIJNSH_6TensorESM_SM_EERKSM_lbbbEUlllE0_EEPmJS6_EEE10hipError_tPvRmT3_T4_T5_T6_T7_T9_mT8_P12ihipStream_tbDpT10_ENKUlT_T0_E_clISt17integral_constantIbLb1EES1B_IbLb0EEEEDaS17_S18_EUlS17_E_NS1_11comp_targetILNS1_3genE9ELNS1_11target_archE1100ELNS1_3gpuE3ELNS1_3repE0EEENS1_30default_config_static_selectorELNS0_4arch9wavefront6targetE0EEEvT1_: ; @_ZN7rocprim17ROCPRIM_400000_NS6detail17trampoline_kernelINS0_14default_configENS1_25partition_config_selectorILNS1_17partition_subalgoE8ElNS0_10empty_typeEbEEZZNS1_14partition_implILS5_8ELb0ES3_jPlPS6_PKS6_NS0_5tupleIJS9_S6_EEENSD_IJSA_SA_EEENS0_18inequality_wrapperIZN2at6native12_GLOBAL__N_124unique_dim_cuda_templateIhEESt5tupleIJNSH_6TensorESM_SM_EERKSM_lbbbEUlllE0_EEPmJS6_EEE10hipError_tPvRmT3_T4_T5_T6_T7_T9_mT8_P12ihipStream_tbDpT10_ENKUlT_T0_E_clISt17integral_constantIbLb1EES1B_IbLb0EEEEDaS17_S18_EUlS17_E_NS1_11comp_targetILNS1_3genE9ELNS1_11target_archE1100ELNS1_3gpuE3ELNS1_3repE0EEENS1_30default_config_static_selectorELNS0_4arch9wavefront6targetE0EEEvT1_
; %bb.0:
	.section	.rodata,"a",@progbits
	.p2align	6, 0x0
	.amdhsa_kernel _ZN7rocprim17ROCPRIM_400000_NS6detail17trampoline_kernelINS0_14default_configENS1_25partition_config_selectorILNS1_17partition_subalgoE8ElNS0_10empty_typeEbEEZZNS1_14partition_implILS5_8ELb0ES3_jPlPS6_PKS6_NS0_5tupleIJS9_S6_EEENSD_IJSA_SA_EEENS0_18inequality_wrapperIZN2at6native12_GLOBAL__N_124unique_dim_cuda_templateIhEESt5tupleIJNSH_6TensorESM_SM_EERKSM_lbbbEUlllE0_EEPmJS6_EEE10hipError_tPvRmT3_T4_T5_T6_T7_T9_mT8_P12ihipStream_tbDpT10_ENKUlT_T0_E_clISt17integral_constantIbLb1EES1B_IbLb0EEEEDaS17_S18_EUlS17_E_NS1_11comp_targetILNS1_3genE9ELNS1_11target_archE1100ELNS1_3gpuE3ELNS1_3repE0EEENS1_30default_config_static_selectorELNS0_4arch9wavefront6targetE0EEEvT1_
		.amdhsa_group_segment_fixed_size 0
		.amdhsa_private_segment_fixed_size 0
		.amdhsa_kernarg_size 120
		.amdhsa_user_sgpr_count 2
		.amdhsa_user_sgpr_dispatch_ptr 0
		.amdhsa_user_sgpr_queue_ptr 0
		.amdhsa_user_sgpr_kernarg_segment_ptr 1
		.amdhsa_user_sgpr_dispatch_id 0
		.amdhsa_user_sgpr_kernarg_preload_length 0
		.amdhsa_user_sgpr_kernarg_preload_offset 0
		.amdhsa_user_sgpr_private_segment_size 0
		.amdhsa_wavefront_size32 1
		.amdhsa_uses_dynamic_stack 0
		.amdhsa_enable_private_segment 0
		.amdhsa_system_sgpr_workgroup_id_x 1
		.amdhsa_system_sgpr_workgroup_id_y 0
		.amdhsa_system_sgpr_workgroup_id_z 0
		.amdhsa_system_sgpr_workgroup_info 0
		.amdhsa_system_vgpr_workitem_id 0
		.amdhsa_next_free_vgpr 1
		.amdhsa_next_free_sgpr 1
		.amdhsa_named_barrier_count 0
		.amdhsa_reserve_vcc 0
		.amdhsa_float_round_mode_32 0
		.amdhsa_float_round_mode_16_64 0
		.amdhsa_float_denorm_mode_32 3
		.amdhsa_float_denorm_mode_16_64 3
		.amdhsa_fp16_overflow 0
		.amdhsa_memory_ordered 1
		.amdhsa_forward_progress 1
		.amdhsa_inst_pref_size 0
		.amdhsa_round_robin_scheduling 0
		.amdhsa_exception_fp_ieee_invalid_op 0
		.amdhsa_exception_fp_denorm_src 0
		.amdhsa_exception_fp_ieee_div_zero 0
		.amdhsa_exception_fp_ieee_overflow 0
		.amdhsa_exception_fp_ieee_underflow 0
		.amdhsa_exception_fp_ieee_inexact 0
		.amdhsa_exception_int_div_zero 0
	.end_amdhsa_kernel
	.section	.text._ZN7rocprim17ROCPRIM_400000_NS6detail17trampoline_kernelINS0_14default_configENS1_25partition_config_selectorILNS1_17partition_subalgoE8ElNS0_10empty_typeEbEEZZNS1_14partition_implILS5_8ELb0ES3_jPlPS6_PKS6_NS0_5tupleIJS9_S6_EEENSD_IJSA_SA_EEENS0_18inequality_wrapperIZN2at6native12_GLOBAL__N_124unique_dim_cuda_templateIhEESt5tupleIJNSH_6TensorESM_SM_EERKSM_lbbbEUlllE0_EEPmJS6_EEE10hipError_tPvRmT3_T4_T5_T6_T7_T9_mT8_P12ihipStream_tbDpT10_ENKUlT_T0_E_clISt17integral_constantIbLb1EES1B_IbLb0EEEEDaS17_S18_EUlS17_E_NS1_11comp_targetILNS1_3genE9ELNS1_11target_archE1100ELNS1_3gpuE3ELNS1_3repE0EEENS1_30default_config_static_selectorELNS0_4arch9wavefront6targetE0EEEvT1_,"axG",@progbits,_ZN7rocprim17ROCPRIM_400000_NS6detail17trampoline_kernelINS0_14default_configENS1_25partition_config_selectorILNS1_17partition_subalgoE8ElNS0_10empty_typeEbEEZZNS1_14partition_implILS5_8ELb0ES3_jPlPS6_PKS6_NS0_5tupleIJS9_S6_EEENSD_IJSA_SA_EEENS0_18inequality_wrapperIZN2at6native12_GLOBAL__N_124unique_dim_cuda_templateIhEESt5tupleIJNSH_6TensorESM_SM_EERKSM_lbbbEUlllE0_EEPmJS6_EEE10hipError_tPvRmT3_T4_T5_T6_T7_T9_mT8_P12ihipStream_tbDpT10_ENKUlT_T0_E_clISt17integral_constantIbLb1EES1B_IbLb0EEEEDaS17_S18_EUlS17_E_NS1_11comp_targetILNS1_3genE9ELNS1_11target_archE1100ELNS1_3gpuE3ELNS1_3repE0EEENS1_30default_config_static_selectorELNS0_4arch9wavefront6targetE0EEEvT1_,comdat
.Lfunc_end193:
	.size	_ZN7rocprim17ROCPRIM_400000_NS6detail17trampoline_kernelINS0_14default_configENS1_25partition_config_selectorILNS1_17partition_subalgoE8ElNS0_10empty_typeEbEEZZNS1_14partition_implILS5_8ELb0ES3_jPlPS6_PKS6_NS0_5tupleIJS9_S6_EEENSD_IJSA_SA_EEENS0_18inequality_wrapperIZN2at6native12_GLOBAL__N_124unique_dim_cuda_templateIhEESt5tupleIJNSH_6TensorESM_SM_EERKSM_lbbbEUlllE0_EEPmJS6_EEE10hipError_tPvRmT3_T4_T5_T6_T7_T9_mT8_P12ihipStream_tbDpT10_ENKUlT_T0_E_clISt17integral_constantIbLb1EES1B_IbLb0EEEEDaS17_S18_EUlS17_E_NS1_11comp_targetILNS1_3genE9ELNS1_11target_archE1100ELNS1_3gpuE3ELNS1_3repE0EEENS1_30default_config_static_selectorELNS0_4arch9wavefront6targetE0EEEvT1_, .Lfunc_end193-_ZN7rocprim17ROCPRIM_400000_NS6detail17trampoline_kernelINS0_14default_configENS1_25partition_config_selectorILNS1_17partition_subalgoE8ElNS0_10empty_typeEbEEZZNS1_14partition_implILS5_8ELb0ES3_jPlPS6_PKS6_NS0_5tupleIJS9_S6_EEENSD_IJSA_SA_EEENS0_18inequality_wrapperIZN2at6native12_GLOBAL__N_124unique_dim_cuda_templateIhEESt5tupleIJNSH_6TensorESM_SM_EERKSM_lbbbEUlllE0_EEPmJS6_EEE10hipError_tPvRmT3_T4_T5_T6_T7_T9_mT8_P12ihipStream_tbDpT10_ENKUlT_T0_E_clISt17integral_constantIbLb1EES1B_IbLb0EEEEDaS17_S18_EUlS17_E_NS1_11comp_targetILNS1_3genE9ELNS1_11target_archE1100ELNS1_3gpuE3ELNS1_3repE0EEENS1_30default_config_static_selectorELNS0_4arch9wavefront6targetE0EEEvT1_
                                        ; -- End function
	.set _ZN7rocprim17ROCPRIM_400000_NS6detail17trampoline_kernelINS0_14default_configENS1_25partition_config_selectorILNS1_17partition_subalgoE8ElNS0_10empty_typeEbEEZZNS1_14partition_implILS5_8ELb0ES3_jPlPS6_PKS6_NS0_5tupleIJS9_S6_EEENSD_IJSA_SA_EEENS0_18inequality_wrapperIZN2at6native12_GLOBAL__N_124unique_dim_cuda_templateIhEESt5tupleIJNSH_6TensorESM_SM_EERKSM_lbbbEUlllE0_EEPmJS6_EEE10hipError_tPvRmT3_T4_T5_T6_T7_T9_mT8_P12ihipStream_tbDpT10_ENKUlT_T0_E_clISt17integral_constantIbLb1EES1B_IbLb0EEEEDaS17_S18_EUlS17_E_NS1_11comp_targetILNS1_3genE9ELNS1_11target_archE1100ELNS1_3gpuE3ELNS1_3repE0EEENS1_30default_config_static_selectorELNS0_4arch9wavefront6targetE0EEEvT1_.num_vgpr, 0
	.set _ZN7rocprim17ROCPRIM_400000_NS6detail17trampoline_kernelINS0_14default_configENS1_25partition_config_selectorILNS1_17partition_subalgoE8ElNS0_10empty_typeEbEEZZNS1_14partition_implILS5_8ELb0ES3_jPlPS6_PKS6_NS0_5tupleIJS9_S6_EEENSD_IJSA_SA_EEENS0_18inequality_wrapperIZN2at6native12_GLOBAL__N_124unique_dim_cuda_templateIhEESt5tupleIJNSH_6TensorESM_SM_EERKSM_lbbbEUlllE0_EEPmJS6_EEE10hipError_tPvRmT3_T4_T5_T6_T7_T9_mT8_P12ihipStream_tbDpT10_ENKUlT_T0_E_clISt17integral_constantIbLb1EES1B_IbLb0EEEEDaS17_S18_EUlS17_E_NS1_11comp_targetILNS1_3genE9ELNS1_11target_archE1100ELNS1_3gpuE3ELNS1_3repE0EEENS1_30default_config_static_selectorELNS0_4arch9wavefront6targetE0EEEvT1_.num_agpr, 0
	.set _ZN7rocprim17ROCPRIM_400000_NS6detail17trampoline_kernelINS0_14default_configENS1_25partition_config_selectorILNS1_17partition_subalgoE8ElNS0_10empty_typeEbEEZZNS1_14partition_implILS5_8ELb0ES3_jPlPS6_PKS6_NS0_5tupleIJS9_S6_EEENSD_IJSA_SA_EEENS0_18inequality_wrapperIZN2at6native12_GLOBAL__N_124unique_dim_cuda_templateIhEESt5tupleIJNSH_6TensorESM_SM_EERKSM_lbbbEUlllE0_EEPmJS6_EEE10hipError_tPvRmT3_T4_T5_T6_T7_T9_mT8_P12ihipStream_tbDpT10_ENKUlT_T0_E_clISt17integral_constantIbLb1EES1B_IbLb0EEEEDaS17_S18_EUlS17_E_NS1_11comp_targetILNS1_3genE9ELNS1_11target_archE1100ELNS1_3gpuE3ELNS1_3repE0EEENS1_30default_config_static_selectorELNS0_4arch9wavefront6targetE0EEEvT1_.numbered_sgpr, 0
	.set _ZN7rocprim17ROCPRIM_400000_NS6detail17trampoline_kernelINS0_14default_configENS1_25partition_config_selectorILNS1_17partition_subalgoE8ElNS0_10empty_typeEbEEZZNS1_14partition_implILS5_8ELb0ES3_jPlPS6_PKS6_NS0_5tupleIJS9_S6_EEENSD_IJSA_SA_EEENS0_18inequality_wrapperIZN2at6native12_GLOBAL__N_124unique_dim_cuda_templateIhEESt5tupleIJNSH_6TensorESM_SM_EERKSM_lbbbEUlllE0_EEPmJS6_EEE10hipError_tPvRmT3_T4_T5_T6_T7_T9_mT8_P12ihipStream_tbDpT10_ENKUlT_T0_E_clISt17integral_constantIbLb1EES1B_IbLb0EEEEDaS17_S18_EUlS17_E_NS1_11comp_targetILNS1_3genE9ELNS1_11target_archE1100ELNS1_3gpuE3ELNS1_3repE0EEENS1_30default_config_static_selectorELNS0_4arch9wavefront6targetE0EEEvT1_.num_named_barrier, 0
	.set _ZN7rocprim17ROCPRIM_400000_NS6detail17trampoline_kernelINS0_14default_configENS1_25partition_config_selectorILNS1_17partition_subalgoE8ElNS0_10empty_typeEbEEZZNS1_14partition_implILS5_8ELb0ES3_jPlPS6_PKS6_NS0_5tupleIJS9_S6_EEENSD_IJSA_SA_EEENS0_18inequality_wrapperIZN2at6native12_GLOBAL__N_124unique_dim_cuda_templateIhEESt5tupleIJNSH_6TensorESM_SM_EERKSM_lbbbEUlllE0_EEPmJS6_EEE10hipError_tPvRmT3_T4_T5_T6_T7_T9_mT8_P12ihipStream_tbDpT10_ENKUlT_T0_E_clISt17integral_constantIbLb1EES1B_IbLb0EEEEDaS17_S18_EUlS17_E_NS1_11comp_targetILNS1_3genE9ELNS1_11target_archE1100ELNS1_3gpuE3ELNS1_3repE0EEENS1_30default_config_static_selectorELNS0_4arch9wavefront6targetE0EEEvT1_.private_seg_size, 0
	.set _ZN7rocprim17ROCPRIM_400000_NS6detail17trampoline_kernelINS0_14default_configENS1_25partition_config_selectorILNS1_17partition_subalgoE8ElNS0_10empty_typeEbEEZZNS1_14partition_implILS5_8ELb0ES3_jPlPS6_PKS6_NS0_5tupleIJS9_S6_EEENSD_IJSA_SA_EEENS0_18inequality_wrapperIZN2at6native12_GLOBAL__N_124unique_dim_cuda_templateIhEESt5tupleIJNSH_6TensorESM_SM_EERKSM_lbbbEUlllE0_EEPmJS6_EEE10hipError_tPvRmT3_T4_T5_T6_T7_T9_mT8_P12ihipStream_tbDpT10_ENKUlT_T0_E_clISt17integral_constantIbLb1EES1B_IbLb0EEEEDaS17_S18_EUlS17_E_NS1_11comp_targetILNS1_3genE9ELNS1_11target_archE1100ELNS1_3gpuE3ELNS1_3repE0EEENS1_30default_config_static_selectorELNS0_4arch9wavefront6targetE0EEEvT1_.uses_vcc, 0
	.set _ZN7rocprim17ROCPRIM_400000_NS6detail17trampoline_kernelINS0_14default_configENS1_25partition_config_selectorILNS1_17partition_subalgoE8ElNS0_10empty_typeEbEEZZNS1_14partition_implILS5_8ELb0ES3_jPlPS6_PKS6_NS0_5tupleIJS9_S6_EEENSD_IJSA_SA_EEENS0_18inequality_wrapperIZN2at6native12_GLOBAL__N_124unique_dim_cuda_templateIhEESt5tupleIJNSH_6TensorESM_SM_EERKSM_lbbbEUlllE0_EEPmJS6_EEE10hipError_tPvRmT3_T4_T5_T6_T7_T9_mT8_P12ihipStream_tbDpT10_ENKUlT_T0_E_clISt17integral_constantIbLb1EES1B_IbLb0EEEEDaS17_S18_EUlS17_E_NS1_11comp_targetILNS1_3genE9ELNS1_11target_archE1100ELNS1_3gpuE3ELNS1_3repE0EEENS1_30default_config_static_selectorELNS0_4arch9wavefront6targetE0EEEvT1_.uses_flat_scratch, 0
	.set _ZN7rocprim17ROCPRIM_400000_NS6detail17trampoline_kernelINS0_14default_configENS1_25partition_config_selectorILNS1_17partition_subalgoE8ElNS0_10empty_typeEbEEZZNS1_14partition_implILS5_8ELb0ES3_jPlPS6_PKS6_NS0_5tupleIJS9_S6_EEENSD_IJSA_SA_EEENS0_18inequality_wrapperIZN2at6native12_GLOBAL__N_124unique_dim_cuda_templateIhEESt5tupleIJNSH_6TensorESM_SM_EERKSM_lbbbEUlllE0_EEPmJS6_EEE10hipError_tPvRmT3_T4_T5_T6_T7_T9_mT8_P12ihipStream_tbDpT10_ENKUlT_T0_E_clISt17integral_constantIbLb1EES1B_IbLb0EEEEDaS17_S18_EUlS17_E_NS1_11comp_targetILNS1_3genE9ELNS1_11target_archE1100ELNS1_3gpuE3ELNS1_3repE0EEENS1_30default_config_static_selectorELNS0_4arch9wavefront6targetE0EEEvT1_.has_dyn_sized_stack, 0
	.set _ZN7rocprim17ROCPRIM_400000_NS6detail17trampoline_kernelINS0_14default_configENS1_25partition_config_selectorILNS1_17partition_subalgoE8ElNS0_10empty_typeEbEEZZNS1_14partition_implILS5_8ELb0ES3_jPlPS6_PKS6_NS0_5tupleIJS9_S6_EEENSD_IJSA_SA_EEENS0_18inequality_wrapperIZN2at6native12_GLOBAL__N_124unique_dim_cuda_templateIhEESt5tupleIJNSH_6TensorESM_SM_EERKSM_lbbbEUlllE0_EEPmJS6_EEE10hipError_tPvRmT3_T4_T5_T6_T7_T9_mT8_P12ihipStream_tbDpT10_ENKUlT_T0_E_clISt17integral_constantIbLb1EES1B_IbLb0EEEEDaS17_S18_EUlS17_E_NS1_11comp_targetILNS1_3genE9ELNS1_11target_archE1100ELNS1_3gpuE3ELNS1_3repE0EEENS1_30default_config_static_selectorELNS0_4arch9wavefront6targetE0EEEvT1_.has_recursion, 0
	.set _ZN7rocprim17ROCPRIM_400000_NS6detail17trampoline_kernelINS0_14default_configENS1_25partition_config_selectorILNS1_17partition_subalgoE8ElNS0_10empty_typeEbEEZZNS1_14partition_implILS5_8ELb0ES3_jPlPS6_PKS6_NS0_5tupleIJS9_S6_EEENSD_IJSA_SA_EEENS0_18inequality_wrapperIZN2at6native12_GLOBAL__N_124unique_dim_cuda_templateIhEESt5tupleIJNSH_6TensorESM_SM_EERKSM_lbbbEUlllE0_EEPmJS6_EEE10hipError_tPvRmT3_T4_T5_T6_T7_T9_mT8_P12ihipStream_tbDpT10_ENKUlT_T0_E_clISt17integral_constantIbLb1EES1B_IbLb0EEEEDaS17_S18_EUlS17_E_NS1_11comp_targetILNS1_3genE9ELNS1_11target_archE1100ELNS1_3gpuE3ELNS1_3repE0EEENS1_30default_config_static_selectorELNS0_4arch9wavefront6targetE0EEEvT1_.has_indirect_call, 0
	.section	.AMDGPU.csdata,"",@progbits
; Kernel info:
; codeLenInByte = 0
; TotalNumSgprs: 0
; NumVgprs: 0
; ScratchSize: 0
; MemoryBound: 0
; FloatMode: 240
; IeeeMode: 1
; LDSByteSize: 0 bytes/workgroup (compile time only)
; SGPRBlocks: 0
; VGPRBlocks: 0
; NumSGPRsForWavesPerEU: 1
; NumVGPRsForWavesPerEU: 1
; NamedBarCnt: 0
; Occupancy: 16
; WaveLimiterHint : 0
; COMPUTE_PGM_RSRC2:SCRATCH_EN: 0
; COMPUTE_PGM_RSRC2:USER_SGPR: 2
; COMPUTE_PGM_RSRC2:TRAP_HANDLER: 0
; COMPUTE_PGM_RSRC2:TGID_X_EN: 1
; COMPUTE_PGM_RSRC2:TGID_Y_EN: 0
; COMPUTE_PGM_RSRC2:TGID_Z_EN: 0
; COMPUTE_PGM_RSRC2:TIDIG_COMP_CNT: 0
	.section	.text._ZN7rocprim17ROCPRIM_400000_NS6detail17trampoline_kernelINS0_14default_configENS1_25partition_config_selectorILNS1_17partition_subalgoE8ElNS0_10empty_typeEbEEZZNS1_14partition_implILS5_8ELb0ES3_jPlPS6_PKS6_NS0_5tupleIJS9_S6_EEENSD_IJSA_SA_EEENS0_18inequality_wrapperIZN2at6native12_GLOBAL__N_124unique_dim_cuda_templateIhEESt5tupleIJNSH_6TensorESM_SM_EERKSM_lbbbEUlllE0_EEPmJS6_EEE10hipError_tPvRmT3_T4_T5_T6_T7_T9_mT8_P12ihipStream_tbDpT10_ENKUlT_T0_E_clISt17integral_constantIbLb1EES1B_IbLb0EEEEDaS17_S18_EUlS17_E_NS1_11comp_targetILNS1_3genE8ELNS1_11target_archE1030ELNS1_3gpuE2ELNS1_3repE0EEENS1_30default_config_static_selectorELNS0_4arch9wavefront6targetE0EEEvT1_,"axG",@progbits,_ZN7rocprim17ROCPRIM_400000_NS6detail17trampoline_kernelINS0_14default_configENS1_25partition_config_selectorILNS1_17partition_subalgoE8ElNS0_10empty_typeEbEEZZNS1_14partition_implILS5_8ELb0ES3_jPlPS6_PKS6_NS0_5tupleIJS9_S6_EEENSD_IJSA_SA_EEENS0_18inequality_wrapperIZN2at6native12_GLOBAL__N_124unique_dim_cuda_templateIhEESt5tupleIJNSH_6TensorESM_SM_EERKSM_lbbbEUlllE0_EEPmJS6_EEE10hipError_tPvRmT3_T4_T5_T6_T7_T9_mT8_P12ihipStream_tbDpT10_ENKUlT_T0_E_clISt17integral_constantIbLb1EES1B_IbLb0EEEEDaS17_S18_EUlS17_E_NS1_11comp_targetILNS1_3genE8ELNS1_11target_archE1030ELNS1_3gpuE2ELNS1_3repE0EEENS1_30default_config_static_selectorELNS0_4arch9wavefront6targetE0EEEvT1_,comdat
	.globl	_ZN7rocprim17ROCPRIM_400000_NS6detail17trampoline_kernelINS0_14default_configENS1_25partition_config_selectorILNS1_17partition_subalgoE8ElNS0_10empty_typeEbEEZZNS1_14partition_implILS5_8ELb0ES3_jPlPS6_PKS6_NS0_5tupleIJS9_S6_EEENSD_IJSA_SA_EEENS0_18inequality_wrapperIZN2at6native12_GLOBAL__N_124unique_dim_cuda_templateIhEESt5tupleIJNSH_6TensorESM_SM_EERKSM_lbbbEUlllE0_EEPmJS6_EEE10hipError_tPvRmT3_T4_T5_T6_T7_T9_mT8_P12ihipStream_tbDpT10_ENKUlT_T0_E_clISt17integral_constantIbLb1EES1B_IbLb0EEEEDaS17_S18_EUlS17_E_NS1_11comp_targetILNS1_3genE8ELNS1_11target_archE1030ELNS1_3gpuE2ELNS1_3repE0EEENS1_30default_config_static_selectorELNS0_4arch9wavefront6targetE0EEEvT1_ ; -- Begin function _ZN7rocprim17ROCPRIM_400000_NS6detail17trampoline_kernelINS0_14default_configENS1_25partition_config_selectorILNS1_17partition_subalgoE8ElNS0_10empty_typeEbEEZZNS1_14partition_implILS5_8ELb0ES3_jPlPS6_PKS6_NS0_5tupleIJS9_S6_EEENSD_IJSA_SA_EEENS0_18inequality_wrapperIZN2at6native12_GLOBAL__N_124unique_dim_cuda_templateIhEESt5tupleIJNSH_6TensorESM_SM_EERKSM_lbbbEUlllE0_EEPmJS6_EEE10hipError_tPvRmT3_T4_T5_T6_T7_T9_mT8_P12ihipStream_tbDpT10_ENKUlT_T0_E_clISt17integral_constantIbLb1EES1B_IbLb0EEEEDaS17_S18_EUlS17_E_NS1_11comp_targetILNS1_3genE8ELNS1_11target_archE1030ELNS1_3gpuE2ELNS1_3repE0EEENS1_30default_config_static_selectorELNS0_4arch9wavefront6targetE0EEEvT1_
	.p2align	8
	.type	_ZN7rocprim17ROCPRIM_400000_NS6detail17trampoline_kernelINS0_14default_configENS1_25partition_config_selectorILNS1_17partition_subalgoE8ElNS0_10empty_typeEbEEZZNS1_14partition_implILS5_8ELb0ES3_jPlPS6_PKS6_NS0_5tupleIJS9_S6_EEENSD_IJSA_SA_EEENS0_18inequality_wrapperIZN2at6native12_GLOBAL__N_124unique_dim_cuda_templateIhEESt5tupleIJNSH_6TensorESM_SM_EERKSM_lbbbEUlllE0_EEPmJS6_EEE10hipError_tPvRmT3_T4_T5_T6_T7_T9_mT8_P12ihipStream_tbDpT10_ENKUlT_T0_E_clISt17integral_constantIbLb1EES1B_IbLb0EEEEDaS17_S18_EUlS17_E_NS1_11comp_targetILNS1_3genE8ELNS1_11target_archE1030ELNS1_3gpuE2ELNS1_3repE0EEENS1_30default_config_static_selectorELNS0_4arch9wavefront6targetE0EEEvT1_,@function
_ZN7rocprim17ROCPRIM_400000_NS6detail17trampoline_kernelINS0_14default_configENS1_25partition_config_selectorILNS1_17partition_subalgoE8ElNS0_10empty_typeEbEEZZNS1_14partition_implILS5_8ELb0ES3_jPlPS6_PKS6_NS0_5tupleIJS9_S6_EEENSD_IJSA_SA_EEENS0_18inequality_wrapperIZN2at6native12_GLOBAL__N_124unique_dim_cuda_templateIhEESt5tupleIJNSH_6TensorESM_SM_EERKSM_lbbbEUlllE0_EEPmJS6_EEE10hipError_tPvRmT3_T4_T5_T6_T7_T9_mT8_P12ihipStream_tbDpT10_ENKUlT_T0_E_clISt17integral_constantIbLb1EES1B_IbLb0EEEEDaS17_S18_EUlS17_E_NS1_11comp_targetILNS1_3genE8ELNS1_11target_archE1030ELNS1_3gpuE2ELNS1_3repE0EEENS1_30default_config_static_selectorELNS0_4arch9wavefront6targetE0EEEvT1_: ; @_ZN7rocprim17ROCPRIM_400000_NS6detail17trampoline_kernelINS0_14default_configENS1_25partition_config_selectorILNS1_17partition_subalgoE8ElNS0_10empty_typeEbEEZZNS1_14partition_implILS5_8ELb0ES3_jPlPS6_PKS6_NS0_5tupleIJS9_S6_EEENSD_IJSA_SA_EEENS0_18inequality_wrapperIZN2at6native12_GLOBAL__N_124unique_dim_cuda_templateIhEESt5tupleIJNSH_6TensorESM_SM_EERKSM_lbbbEUlllE0_EEPmJS6_EEE10hipError_tPvRmT3_T4_T5_T6_T7_T9_mT8_P12ihipStream_tbDpT10_ENKUlT_T0_E_clISt17integral_constantIbLb1EES1B_IbLb0EEEEDaS17_S18_EUlS17_E_NS1_11comp_targetILNS1_3genE8ELNS1_11target_archE1030ELNS1_3gpuE2ELNS1_3repE0EEENS1_30default_config_static_selectorELNS0_4arch9wavefront6targetE0EEEvT1_
; %bb.0:
	.section	.rodata,"a",@progbits
	.p2align	6, 0x0
	.amdhsa_kernel _ZN7rocprim17ROCPRIM_400000_NS6detail17trampoline_kernelINS0_14default_configENS1_25partition_config_selectorILNS1_17partition_subalgoE8ElNS0_10empty_typeEbEEZZNS1_14partition_implILS5_8ELb0ES3_jPlPS6_PKS6_NS0_5tupleIJS9_S6_EEENSD_IJSA_SA_EEENS0_18inequality_wrapperIZN2at6native12_GLOBAL__N_124unique_dim_cuda_templateIhEESt5tupleIJNSH_6TensorESM_SM_EERKSM_lbbbEUlllE0_EEPmJS6_EEE10hipError_tPvRmT3_T4_T5_T6_T7_T9_mT8_P12ihipStream_tbDpT10_ENKUlT_T0_E_clISt17integral_constantIbLb1EES1B_IbLb0EEEEDaS17_S18_EUlS17_E_NS1_11comp_targetILNS1_3genE8ELNS1_11target_archE1030ELNS1_3gpuE2ELNS1_3repE0EEENS1_30default_config_static_selectorELNS0_4arch9wavefront6targetE0EEEvT1_
		.amdhsa_group_segment_fixed_size 0
		.amdhsa_private_segment_fixed_size 0
		.amdhsa_kernarg_size 120
		.amdhsa_user_sgpr_count 2
		.amdhsa_user_sgpr_dispatch_ptr 0
		.amdhsa_user_sgpr_queue_ptr 0
		.amdhsa_user_sgpr_kernarg_segment_ptr 1
		.amdhsa_user_sgpr_dispatch_id 0
		.amdhsa_user_sgpr_kernarg_preload_length 0
		.amdhsa_user_sgpr_kernarg_preload_offset 0
		.amdhsa_user_sgpr_private_segment_size 0
		.amdhsa_wavefront_size32 1
		.amdhsa_uses_dynamic_stack 0
		.amdhsa_enable_private_segment 0
		.amdhsa_system_sgpr_workgroup_id_x 1
		.amdhsa_system_sgpr_workgroup_id_y 0
		.amdhsa_system_sgpr_workgroup_id_z 0
		.amdhsa_system_sgpr_workgroup_info 0
		.amdhsa_system_vgpr_workitem_id 0
		.amdhsa_next_free_vgpr 1
		.amdhsa_next_free_sgpr 1
		.amdhsa_named_barrier_count 0
		.amdhsa_reserve_vcc 0
		.amdhsa_float_round_mode_32 0
		.amdhsa_float_round_mode_16_64 0
		.amdhsa_float_denorm_mode_32 3
		.amdhsa_float_denorm_mode_16_64 3
		.amdhsa_fp16_overflow 0
		.amdhsa_memory_ordered 1
		.amdhsa_forward_progress 1
		.amdhsa_inst_pref_size 0
		.amdhsa_round_robin_scheduling 0
		.amdhsa_exception_fp_ieee_invalid_op 0
		.amdhsa_exception_fp_denorm_src 0
		.amdhsa_exception_fp_ieee_div_zero 0
		.amdhsa_exception_fp_ieee_overflow 0
		.amdhsa_exception_fp_ieee_underflow 0
		.amdhsa_exception_fp_ieee_inexact 0
		.amdhsa_exception_int_div_zero 0
	.end_amdhsa_kernel
	.section	.text._ZN7rocprim17ROCPRIM_400000_NS6detail17trampoline_kernelINS0_14default_configENS1_25partition_config_selectorILNS1_17partition_subalgoE8ElNS0_10empty_typeEbEEZZNS1_14partition_implILS5_8ELb0ES3_jPlPS6_PKS6_NS0_5tupleIJS9_S6_EEENSD_IJSA_SA_EEENS0_18inequality_wrapperIZN2at6native12_GLOBAL__N_124unique_dim_cuda_templateIhEESt5tupleIJNSH_6TensorESM_SM_EERKSM_lbbbEUlllE0_EEPmJS6_EEE10hipError_tPvRmT3_T4_T5_T6_T7_T9_mT8_P12ihipStream_tbDpT10_ENKUlT_T0_E_clISt17integral_constantIbLb1EES1B_IbLb0EEEEDaS17_S18_EUlS17_E_NS1_11comp_targetILNS1_3genE8ELNS1_11target_archE1030ELNS1_3gpuE2ELNS1_3repE0EEENS1_30default_config_static_selectorELNS0_4arch9wavefront6targetE0EEEvT1_,"axG",@progbits,_ZN7rocprim17ROCPRIM_400000_NS6detail17trampoline_kernelINS0_14default_configENS1_25partition_config_selectorILNS1_17partition_subalgoE8ElNS0_10empty_typeEbEEZZNS1_14partition_implILS5_8ELb0ES3_jPlPS6_PKS6_NS0_5tupleIJS9_S6_EEENSD_IJSA_SA_EEENS0_18inequality_wrapperIZN2at6native12_GLOBAL__N_124unique_dim_cuda_templateIhEESt5tupleIJNSH_6TensorESM_SM_EERKSM_lbbbEUlllE0_EEPmJS6_EEE10hipError_tPvRmT3_T4_T5_T6_T7_T9_mT8_P12ihipStream_tbDpT10_ENKUlT_T0_E_clISt17integral_constantIbLb1EES1B_IbLb0EEEEDaS17_S18_EUlS17_E_NS1_11comp_targetILNS1_3genE8ELNS1_11target_archE1030ELNS1_3gpuE2ELNS1_3repE0EEENS1_30default_config_static_selectorELNS0_4arch9wavefront6targetE0EEEvT1_,comdat
.Lfunc_end194:
	.size	_ZN7rocprim17ROCPRIM_400000_NS6detail17trampoline_kernelINS0_14default_configENS1_25partition_config_selectorILNS1_17partition_subalgoE8ElNS0_10empty_typeEbEEZZNS1_14partition_implILS5_8ELb0ES3_jPlPS6_PKS6_NS0_5tupleIJS9_S6_EEENSD_IJSA_SA_EEENS0_18inequality_wrapperIZN2at6native12_GLOBAL__N_124unique_dim_cuda_templateIhEESt5tupleIJNSH_6TensorESM_SM_EERKSM_lbbbEUlllE0_EEPmJS6_EEE10hipError_tPvRmT3_T4_T5_T6_T7_T9_mT8_P12ihipStream_tbDpT10_ENKUlT_T0_E_clISt17integral_constantIbLb1EES1B_IbLb0EEEEDaS17_S18_EUlS17_E_NS1_11comp_targetILNS1_3genE8ELNS1_11target_archE1030ELNS1_3gpuE2ELNS1_3repE0EEENS1_30default_config_static_selectorELNS0_4arch9wavefront6targetE0EEEvT1_, .Lfunc_end194-_ZN7rocprim17ROCPRIM_400000_NS6detail17trampoline_kernelINS0_14default_configENS1_25partition_config_selectorILNS1_17partition_subalgoE8ElNS0_10empty_typeEbEEZZNS1_14partition_implILS5_8ELb0ES3_jPlPS6_PKS6_NS0_5tupleIJS9_S6_EEENSD_IJSA_SA_EEENS0_18inequality_wrapperIZN2at6native12_GLOBAL__N_124unique_dim_cuda_templateIhEESt5tupleIJNSH_6TensorESM_SM_EERKSM_lbbbEUlllE0_EEPmJS6_EEE10hipError_tPvRmT3_T4_T5_T6_T7_T9_mT8_P12ihipStream_tbDpT10_ENKUlT_T0_E_clISt17integral_constantIbLb1EES1B_IbLb0EEEEDaS17_S18_EUlS17_E_NS1_11comp_targetILNS1_3genE8ELNS1_11target_archE1030ELNS1_3gpuE2ELNS1_3repE0EEENS1_30default_config_static_selectorELNS0_4arch9wavefront6targetE0EEEvT1_
                                        ; -- End function
	.set _ZN7rocprim17ROCPRIM_400000_NS6detail17trampoline_kernelINS0_14default_configENS1_25partition_config_selectorILNS1_17partition_subalgoE8ElNS0_10empty_typeEbEEZZNS1_14partition_implILS5_8ELb0ES3_jPlPS6_PKS6_NS0_5tupleIJS9_S6_EEENSD_IJSA_SA_EEENS0_18inequality_wrapperIZN2at6native12_GLOBAL__N_124unique_dim_cuda_templateIhEESt5tupleIJNSH_6TensorESM_SM_EERKSM_lbbbEUlllE0_EEPmJS6_EEE10hipError_tPvRmT3_T4_T5_T6_T7_T9_mT8_P12ihipStream_tbDpT10_ENKUlT_T0_E_clISt17integral_constantIbLb1EES1B_IbLb0EEEEDaS17_S18_EUlS17_E_NS1_11comp_targetILNS1_3genE8ELNS1_11target_archE1030ELNS1_3gpuE2ELNS1_3repE0EEENS1_30default_config_static_selectorELNS0_4arch9wavefront6targetE0EEEvT1_.num_vgpr, 0
	.set _ZN7rocprim17ROCPRIM_400000_NS6detail17trampoline_kernelINS0_14default_configENS1_25partition_config_selectorILNS1_17partition_subalgoE8ElNS0_10empty_typeEbEEZZNS1_14partition_implILS5_8ELb0ES3_jPlPS6_PKS6_NS0_5tupleIJS9_S6_EEENSD_IJSA_SA_EEENS0_18inequality_wrapperIZN2at6native12_GLOBAL__N_124unique_dim_cuda_templateIhEESt5tupleIJNSH_6TensorESM_SM_EERKSM_lbbbEUlllE0_EEPmJS6_EEE10hipError_tPvRmT3_T4_T5_T6_T7_T9_mT8_P12ihipStream_tbDpT10_ENKUlT_T0_E_clISt17integral_constantIbLb1EES1B_IbLb0EEEEDaS17_S18_EUlS17_E_NS1_11comp_targetILNS1_3genE8ELNS1_11target_archE1030ELNS1_3gpuE2ELNS1_3repE0EEENS1_30default_config_static_selectorELNS0_4arch9wavefront6targetE0EEEvT1_.num_agpr, 0
	.set _ZN7rocprim17ROCPRIM_400000_NS6detail17trampoline_kernelINS0_14default_configENS1_25partition_config_selectorILNS1_17partition_subalgoE8ElNS0_10empty_typeEbEEZZNS1_14partition_implILS5_8ELb0ES3_jPlPS6_PKS6_NS0_5tupleIJS9_S6_EEENSD_IJSA_SA_EEENS0_18inequality_wrapperIZN2at6native12_GLOBAL__N_124unique_dim_cuda_templateIhEESt5tupleIJNSH_6TensorESM_SM_EERKSM_lbbbEUlllE0_EEPmJS6_EEE10hipError_tPvRmT3_T4_T5_T6_T7_T9_mT8_P12ihipStream_tbDpT10_ENKUlT_T0_E_clISt17integral_constantIbLb1EES1B_IbLb0EEEEDaS17_S18_EUlS17_E_NS1_11comp_targetILNS1_3genE8ELNS1_11target_archE1030ELNS1_3gpuE2ELNS1_3repE0EEENS1_30default_config_static_selectorELNS0_4arch9wavefront6targetE0EEEvT1_.numbered_sgpr, 0
	.set _ZN7rocprim17ROCPRIM_400000_NS6detail17trampoline_kernelINS0_14default_configENS1_25partition_config_selectorILNS1_17partition_subalgoE8ElNS0_10empty_typeEbEEZZNS1_14partition_implILS5_8ELb0ES3_jPlPS6_PKS6_NS0_5tupleIJS9_S6_EEENSD_IJSA_SA_EEENS0_18inequality_wrapperIZN2at6native12_GLOBAL__N_124unique_dim_cuda_templateIhEESt5tupleIJNSH_6TensorESM_SM_EERKSM_lbbbEUlllE0_EEPmJS6_EEE10hipError_tPvRmT3_T4_T5_T6_T7_T9_mT8_P12ihipStream_tbDpT10_ENKUlT_T0_E_clISt17integral_constantIbLb1EES1B_IbLb0EEEEDaS17_S18_EUlS17_E_NS1_11comp_targetILNS1_3genE8ELNS1_11target_archE1030ELNS1_3gpuE2ELNS1_3repE0EEENS1_30default_config_static_selectorELNS0_4arch9wavefront6targetE0EEEvT1_.num_named_barrier, 0
	.set _ZN7rocprim17ROCPRIM_400000_NS6detail17trampoline_kernelINS0_14default_configENS1_25partition_config_selectorILNS1_17partition_subalgoE8ElNS0_10empty_typeEbEEZZNS1_14partition_implILS5_8ELb0ES3_jPlPS6_PKS6_NS0_5tupleIJS9_S6_EEENSD_IJSA_SA_EEENS0_18inequality_wrapperIZN2at6native12_GLOBAL__N_124unique_dim_cuda_templateIhEESt5tupleIJNSH_6TensorESM_SM_EERKSM_lbbbEUlllE0_EEPmJS6_EEE10hipError_tPvRmT3_T4_T5_T6_T7_T9_mT8_P12ihipStream_tbDpT10_ENKUlT_T0_E_clISt17integral_constantIbLb1EES1B_IbLb0EEEEDaS17_S18_EUlS17_E_NS1_11comp_targetILNS1_3genE8ELNS1_11target_archE1030ELNS1_3gpuE2ELNS1_3repE0EEENS1_30default_config_static_selectorELNS0_4arch9wavefront6targetE0EEEvT1_.private_seg_size, 0
	.set _ZN7rocprim17ROCPRIM_400000_NS6detail17trampoline_kernelINS0_14default_configENS1_25partition_config_selectorILNS1_17partition_subalgoE8ElNS0_10empty_typeEbEEZZNS1_14partition_implILS5_8ELb0ES3_jPlPS6_PKS6_NS0_5tupleIJS9_S6_EEENSD_IJSA_SA_EEENS0_18inequality_wrapperIZN2at6native12_GLOBAL__N_124unique_dim_cuda_templateIhEESt5tupleIJNSH_6TensorESM_SM_EERKSM_lbbbEUlllE0_EEPmJS6_EEE10hipError_tPvRmT3_T4_T5_T6_T7_T9_mT8_P12ihipStream_tbDpT10_ENKUlT_T0_E_clISt17integral_constantIbLb1EES1B_IbLb0EEEEDaS17_S18_EUlS17_E_NS1_11comp_targetILNS1_3genE8ELNS1_11target_archE1030ELNS1_3gpuE2ELNS1_3repE0EEENS1_30default_config_static_selectorELNS0_4arch9wavefront6targetE0EEEvT1_.uses_vcc, 0
	.set _ZN7rocprim17ROCPRIM_400000_NS6detail17trampoline_kernelINS0_14default_configENS1_25partition_config_selectorILNS1_17partition_subalgoE8ElNS0_10empty_typeEbEEZZNS1_14partition_implILS5_8ELb0ES3_jPlPS6_PKS6_NS0_5tupleIJS9_S6_EEENSD_IJSA_SA_EEENS0_18inequality_wrapperIZN2at6native12_GLOBAL__N_124unique_dim_cuda_templateIhEESt5tupleIJNSH_6TensorESM_SM_EERKSM_lbbbEUlllE0_EEPmJS6_EEE10hipError_tPvRmT3_T4_T5_T6_T7_T9_mT8_P12ihipStream_tbDpT10_ENKUlT_T0_E_clISt17integral_constantIbLb1EES1B_IbLb0EEEEDaS17_S18_EUlS17_E_NS1_11comp_targetILNS1_3genE8ELNS1_11target_archE1030ELNS1_3gpuE2ELNS1_3repE0EEENS1_30default_config_static_selectorELNS0_4arch9wavefront6targetE0EEEvT1_.uses_flat_scratch, 0
	.set _ZN7rocprim17ROCPRIM_400000_NS6detail17trampoline_kernelINS0_14default_configENS1_25partition_config_selectorILNS1_17partition_subalgoE8ElNS0_10empty_typeEbEEZZNS1_14partition_implILS5_8ELb0ES3_jPlPS6_PKS6_NS0_5tupleIJS9_S6_EEENSD_IJSA_SA_EEENS0_18inequality_wrapperIZN2at6native12_GLOBAL__N_124unique_dim_cuda_templateIhEESt5tupleIJNSH_6TensorESM_SM_EERKSM_lbbbEUlllE0_EEPmJS6_EEE10hipError_tPvRmT3_T4_T5_T6_T7_T9_mT8_P12ihipStream_tbDpT10_ENKUlT_T0_E_clISt17integral_constantIbLb1EES1B_IbLb0EEEEDaS17_S18_EUlS17_E_NS1_11comp_targetILNS1_3genE8ELNS1_11target_archE1030ELNS1_3gpuE2ELNS1_3repE0EEENS1_30default_config_static_selectorELNS0_4arch9wavefront6targetE0EEEvT1_.has_dyn_sized_stack, 0
	.set _ZN7rocprim17ROCPRIM_400000_NS6detail17trampoline_kernelINS0_14default_configENS1_25partition_config_selectorILNS1_17partition_subalgoE8ElNS0_10empty_typeEbEEZZNS1_14partition_implILS5_8ELb0ES3_jPlPS6_PKS6_NS0_5tupleIJS9_S6_EEENSD_IJSA_SA_EEENS0_18inequality_wrapperIZN2at6native12_GLOBAL__N_124unique_dim_cuda_templateIhEESt5tupleIJNSH_6TensorESM_SM_EERKSM_lbbbEUlllE0_EEPmJS6_EEE10hipError_tPvRmT3_T4_T5_T6_T7_T9_mT8_P12ihipStream_tbDpT10_ENKUlT_T0_E_clISt17integral_constantIbLb1EES1B_IbLb0EEEEDaS17_S18_EUlS17_E_NS1_11comp_targetILNS1_3genE8ELNS1_11target_archE1030ELNS1_3gpuE2ELNS1_3repE0EEENS1_30default_config_static_selectorELNS0_4arch9wavefront6targetE0EEEvT1_.has_recursion, 0
	.set _ZN7rocprim17ROCPRIM_400000_NS6detail17trampoline_kernelINS0_14default_configENS1_25partition_config_selectorILNS1_17partition_subalgoE8ElNS0_10empty_typeEbEEZZNS1_14partition_implILS5_8ELb0ES3_jPlPS6_PKS6_NS0_5tupleIJS9_S6_EEENSD_IJSA_SA_EEENS0_18inequality_wrapperIZN2at6native12_GLOBAL__N_124unique_dim_cuda_templateIhEESt5tupleIJNSH_6TensorESM_SM_EERKSM_lbbbEUlllE0_EEPmJS6_EEE10hipError_tPvRmT3_T4_T5_T6_T7_T9_mT8_P12ihipStream_tbDpT10_ENKUlT_T0_E_clISt17integral_constantIbLb1EES1B_IbLb0EEEEDaS17_S18_EUlS17_E_NS1_11comp_targetILNS1_3genE8ELNS1_11target_archE1030ELNS1_3gpuE2ELNS1_3repE0EEENS1_30default_config_static_selectorELNS0_4arch9wavefront6targetE0EEEvT1_.has_indirect_call, 0
	.section	.AMDGPU.csdata,"",@progbits
; Kernel info:
; codeLenInByte = 0
; TotalNumSgprs: 0
; NumVgprs: 0
; ScratchSize: 0
; MemoryBound: 0
; FloatMode: 240
; IeeeMode: 1
; LDSByteSize: 0 bytes/workgroup (compile time only)
; SGPRBlocks: 0
; VGPRBlocks: 0
; NumSGPRsForWavesPerEU: 1
; NumVGPRsForWavesPerEU: 1
; NamedBarCnt: 0
; Occupancy: 16
; WaveLimiterHint : 0
; COMPUTE_PGM_RSRC2:SCRATCH_EN: 0
; COMPUTE_PGM_RSRC2:USER_SGPR: 2
; COMPUTE_PGM_RSRC2:TRAP_HANDLER: 0
; COMPUTE_PGM_RSRC2:TGID_X_EN: 1
; COMPUTE_PGM_RSRC2:TGID_Y_EN: 0
; COMPUTE_PGM_RSRC2:TGID_Z_EN: 0
; COMPUTE_PGM_RSRC2:TIDIG_COMP_CNT: 0
	.section	.text._ZN7rocprim17ROCPRIM_400000_NS6detail31init_lookback_scan_state_kernelINS1_19lookback_scan_stateIjLb0ELb1EEENS1_16block_id_wrapperIjLb1EEEEEvT_jT0_jPNS7_10value_typeE,"axG",@progbits,_ZN7rocprim17ROCPRIM_400000_NS6detail31init_lookback_scan_state_kernelINS1_19lookback_scan_stateIjLb0ELb1EEENS1_16block_id_wrapperIjLb1EEEEEvT_jT0_jPNS7_10value_typeE,comdat
	.protected	_ZN7rocprim17ROCPRIM_400000_NS6detail31init_lookback_scan_state_kernelINS1_19lookback_scan_stateIjLb0ELb1EEENS1_16block_id_wrapperIjLb1EEEEEvT_jT0_jPNS7_10value_typeE ; -- Begin function _ZN7rocprim17ROCPRIM_400000_NS6detail31init_lookback_scan_state_kernelINS1_19lookback_scan_stateIjLb0ELb1EEENS1_16block_id_wrapperIjLb1EEEEEvT_jT0_jPNS7_10value_typeE
	.globl	_ZN7rocprim17ROCPRIM_400000_NS6detail31init_lookback_scan_state_kernelINS1_19lookback_scan_stateIjLb0ELb1EEENS1_16block_id_wrapperIjLb1EEEEEvT_jT0_jPNS7_10value_typeE
	.p2align	8
	.type	_ZN7rocprim17ROCPRIM_400000_NS6detail31init_lookback_scan_state_kernelINS1_19lookback_scan_stateIjLb0ELb1EEENS1_16block_id_wrapperIjLb1EEEEEvT_jT0_jPNS7_10value_typeE,@function
_ZN7rocprim17ROCPRIM_400000_NS6detail31init_lookback_scan_state_kernelINS1_19lookback_scan_stateIjLb0ELb1EEENS1_16block_id_wrapperIjLb1EEEEEvT_jT0_jPNS7_10value_typeE: ; @_ZN7rocprim17ROCPRIM_400000_NS6detail31init_lookback_scan_state_kernelINS1_19lookback_scan_stateIjLb0ELb1EEENS1_16block_id_wrapperIjLb1EEEEEvT_jT0_jPNS7_10value_typeE
; %bb.0:
	s_clause 0x2
	s_load_b32 s7, s[0:1], 0x34
	s_load_b96 s[4:6], s[0:1], 0x0
	s_load_b64 s[2:3], s[0:1], 0x20
	s_bfe_u32 s8, ttmp6, 0x4000c
	s_and_b32 s9, ttmp6, 15
	s_add_co_i32 s8, s8, 1
	s_getreg_b32 s10, hwreg(HW_REG_IB_STS2, 6, 4)
	s_mul_i32 s8, ttmp9, s8
	s_delay_alu instid0(SALU_CYCLE_1)
	s_add_co_i32 s9, s9, s8
	s_wait_kmcnt 0x0
	s_and_b32 s7, s7, 0xffff
	s_cmp_eq_u32 s10, 0
	s_cselect_b32 s8, ttmp9, s9
	s_cmp_eq_u64 s[2:3], 0
	v_mad_u32 v4, s8, s7, v0
	s_cbranch_scc1 .LBB195_7
; %bb.1:
	s_load_b32 s8, s[0:1], 0x18
	s_wait_kmcnt 0x0
	s_cmp_lt_u32 s8, s6
	s_cselect_b32 s7, s8, 0
	s_delay_alu instid0(VALU_DEP_1) | instid1(SALU_CYCLE_1)
	v_cmp_eq_u32_e32 vcc_lo, s7, v4
	s_and_saveexec_b32 s7, vcc_lo
	s_cbranch_execz .LBB195_6
; %bb.2:
	s_add_co_i32 s8, s8, 32
	s_delay_alu instid0(SALU_CYCLE_1) | instskip(SKIP_3) | instid1(VALU_DEP_1)
	v_dual_mov_b32 v2, 0 :: v_dual_mov_b32 v0, s8
	global_load_b64 v[0:1], v0, s[4:5] scale_offset scope:SCOPE_DEV
	s_wait_loadcnt 0x0
	v_and_b32_e32 v3, 0xff, v1
	v_cmp_ne_u64_e32 vcc_lo, 0, v[2:3]
	s_cbranch_vccnz .LBB195_5
; %bb.3:
	s_mov_b32 s9, 0
	s_delay_alu instid0(SALU_CYCLE_1) | instskip(NEXT) | instid1(SALU_CYCLE_1)
	s_lshl_b64 s[8:9], s[8:9], 3
	s_add_nc_u64 s[8:9], s[4:5], s[8:9]
.LBB195_4:                              ; =>This Inner Loop Header: Depth=1
	global_load_b64 v[0:1], v2, s[8:9] scope:SCOPE_DEV
	s_wait_loadcnt 0x0
	v_and_b32_e32 v3, 0xff, v1
	s_delay_alu instid0(VALU_DEP_1)
	v_cmp_eq_u64_e32 vcc_lo, 0, v[2:3]
	s_cbranch_vccnz .LBB195_4
.LBB195_5:
	v_mov_b32_e32 v1, 0
	global_store_b32 v1, v0, s[2:3]
.LBB195_6:
	s_wait_xcnt 0x0
	s_or_b32 exec_lo, exec_lo, s7
.LBB195_7:
	s_delay_alu instid0(SALU_CYCLE_1) | instskip(NEXT) | instid1(VALU_DEP_1)
	s_mov_b32 s2, exec_lo
	v_cmpx_eq_u32_e32 0, v4
	s_cbranch_execz .LBB195_9
; %bb.8:
	s_load_b64 s[0:1], s[0:1], 0x10
	v_mov_b32_e32 v0, 0
	s_wait_kmcnt 0x0
	global_store_b32 v0, v0, s[0:1]
.LBB195_9:
	s_wait_xcnt 0x0
	s_or_b32 exec_lo, exec_lo, s2
	s_delay_alu instid0(SALU_CYCLE_1)
	s_mov_b32 s0, exec_lo
	v_cmpx_gt_u32_e64 s6, v4
	s_cbranch_execz .LBB195_11
; %bb.10:
	v_mov_b64_e32 v[0:1], 0
	v_add_nc_u32_e32 v2, 32, v4
	global_store_b64 v2, v[0:1], s[4:5] scale_offset
.LBB195_11:
	s_wait_xcnt 0x0
	s_or_b32 exec_lo, exec_lo, s0
	s_delay_alu instid0(SALU_CYCLE_1)
	s_mov_b32 s0, exec_lo
	v_cmpx_gt_u32_e32 32, v4
	s_cbranch_execz .LBB195_13
; %bb.12:
	v_mov_b64_e32 v[0:1], 0xff00000000
	global_store_b64 v4, v[0:1], s[4:5] scale_offset
.LBB195_13:
	s_endpgm
	.section	.rodata,"a",@progbits
	.p2align	6, 0x0
	.amdhsa_kernel _ZN7rocprim17ROCPRIM_400000_NS6detail31init_lookback_scan_state_kernelINS1_19lookback_scan_stateIjLb0ELb1EEENS1_16block_id_wrapperIjLb1EEEEEvT_jT0_jPNS7_10value_typeE
		.amdhsa_group_segment_fixed_size 0
		.amdhsa_private_segment_fixed_size 0
		.amdhsa_kernarg_size 296
		.amdhsa_user_sgpr_count 2
		.amdhsa_user_sgpr_dispatch_ptr 0
		.amdhsa_user_sgpr_queue_ptr 0
		.amdhsa_user_sgpr_kernarg_segment_ptr 1
		.amdhsa_user_sgpr_dispatch_id 0
		.amdhsa_user_sgpr_kernarg_preload_length 0
		.amdhsa_user_sgpr_kernarg_preload_offset 0
		.amdhsa_user_sgpr_private_segment_size 0
		.amdhsa_wavefront_size32 1
		.amdhsa_uses_dynamic_stack 0
		.amdhsa_enable_private_segment 0
		.amdhsa_system_sgpr_workgroup_id_x 1
		.amdhsa_system_sgpr_workgroup_id_y 0
		.amdhsa_system_sgpr_workgroup_id_z 0
		.amdhsa_system_sgpr_workgroup_info 0
		.amdhsa_system_vgpr_workitem_id 0
		.amdhsa_next_free_vgpr 5
		.amdhsa_next_free_sgpr 11
		.amdhsa_named_barrier_count 0
		.amdhsa_reserve_vcc 1
		.amdhsa_float_round_mode_32 0
		.amdhsa_float_round_mode_16_64 0
		.amdhsa_float_denorm_mode_32 3
		.amdhsa_float_denorm_mode_16_64 3
		.amdhsa_fp16_overflow 0
		.amdhsa_memory_ordered 1
		.amdhsa_forward_progress 1
		.amdhsa_inst_pref_size 4
		.amdhsa_round_robin_scheduling 0
		.amdhsa_exception_fp_ieee_invalid_op 0
		.amdhsa_exception_fp_denorm_src 0
		.amdhsa_exception_fp_ieee_div_zero 0
		.amdhsa_exception_fp_ieee_overflow 0
		.amdhsa_exception_fp_ieee_underflow 0
		.amdhsa_exception_fp_ieee_inexact 0
		.amdhsa_exception_int_div_zero 0
	.end_amdhsa_kernel
	.section	.text._ZN7rocprim17ROCPRIM_400000_NS6detail31init_lookback_scan_state_kernelINS1_19lookback_scan_stateIjLb0ELb1EEENS1_16block_id_wrapperIjLb1EEEEEvT_jT0_jPNS7_10value_typeE,"axG",@progbits,_ZN7rocprim17ROCPRIM_400000_NS6detail31init_lookback_scan_state_kernelINS1_19lookback_scan_stateIjLb0ELb1EEENS1_16block_id_wrapperIjLb1EEEEEvT_jT0_jPNS7_10value_typeE,comdat
.Lfunc_end195:
	.size	_ZN7rocprim17ROCPRIM_400000_NS6detail31init_lookback_scan_state_kernelINS1_19lookback_scan_stateIjLb0ELb1EEENS1_16block_id_wrapperIjLb1EEEEEvT_jT0_jPNS7_10value_typeE, .Lfunc_end195-_ZN7rocprim17ROCPRIM_400000_NS6detail31init_lookback_scan_state_kernelINS1_19lookback_scan_stateIjLb0ELb1EEENS1_16block_id_wrapperIjLb1EEEEEvT_jT0_jPNS7_10value_typeE
                                        ; -- End function
	.set _ZN7rocprim17ROCPRIM_400000_NS6detail31init_lookback_scan_state_kernelINS1_19lookback_scan_stateIjLb0ELb1EEENS1_16block_id_wrapperIjLb1EEEEEvT_jT0_jPNS7_10value_typeE.num_vgpr, 5
	.set _ZN7rocprim17ROCPRIM_400000_NS6detail31init_lookback_scan_state_kernelINS1_19lookback_scan_stateIjLb0ELb1EEENS1_16block_id_wrapperIjLb1EEEEEvT_jT0_jPNS7_10value_typeE.num_agpr, 0
	.set _ZN7rocprim17ROCPRIM_400000_NS6detail31init_lookback_scan_state_kernelINS1_19lookback_scan_stateIjLb0ELb1EEENS1_16block_id_wrapperIjLb1EEEEEvT_jT0_jPNS7_10value_typeE.numbered_sgpr, 11
	.set _ZN7rocprim17ROCPRIM_400000_NS6detail31init_lookback_scan_state_kernelINS1_19lookback_scan_stateIjLb0ELb1EEENS1_16block_id_wrapperIjLb1EEEEEvT_jT0_jPNS7_10value_typeE.num_named_barrier, 0
	.set _ZN7rocprim17ROCPRIM_400000_NS6detail31init_lookback_scan_state_kernelINS1_19lookback_scan_stateIjLb0ELb1EEENS1_16block_id_wrapperIjLb1EEEEEvT_jT0_jPNS7_10value_typeE.private_seg_size, 0
	.set _ZN7rocprim17ROCPRIM_400000_NS6detail31init_lookback_scan_state_kernelINS1_19lookback_scan_stateIjLb0ELb1EEENS1_16block_id_wrapperIjLb1EEEEEvT_jT0_jPNS7_10value_typeE.uses_vcc, 1
	.set _ZN7rocprim17ROCPRIM_400000_NS6detail31init_lookback_scan_state_kernelINS1_19lookback_scan_stateIjLb0ELb1EEENS1_16block_id_wrapperIjLb1EEEEEvT_jT0_jPNS7_10value_typeE.uses_flat_scratch, 0
	.set _ZN7rocprim17ROCPRIM_400000_NS6detail31init_lookback_scan_state_kernelINS1_19lookback_scan_stateIjLb0ELb1EEENS1_16block_id_wrapperIjLb1EEEEEvT_jT0_jPNS7_10value_typeE.has_dyn_sized_stack, 0
	.set _ZN7rocprim17ROCPRIM_400000_NS6detail31init_lookback_scan_state_kernelINS1_19lookback_scan_stateIjLb0ELb1EEENS1_16block_id_wrapperIjLb1EEEEEvT_jT0_jPNS7_10value_typeE.has_recursion, 0
	.set _ZN7rocprim17ROCPRIM_400000_NS6detail31init_lookback_scan_state_kernelINS1_19lookback_scan_stateIjLb0ELb1EEENS1_16block_id_wrapperIjLb1EEEEEvT_jT0_jPNS7_10value_typeE.has_indirect_call, 0
	.section	.AMDGPU.csdata,"",@progbits
; Kernel info:
; codeLenInByte = 404
; TotalNumSgprs: 13
; NumVgprs: 5
; ScratchSize: 0
; MemoryBound: 0
; FloatMode: 240
; IeeeMode: 1
; LDSByteSize: 0 bytes/workgroup (compile time only)
; SGPRBlocks: 0
; VGPRBlocks: 0
; NumSGPRsForWavesPerEU: 13
; NumVGPRsForWavesPerEU: 5
; NamedBarCnt: 0
; Occupancy: 16
; WaveLimiterHint : 0
; COMPUTE_PGM_RSRC2:SCRATCH_EN: 0
; COMPUTE_PGM_RSRC2:USER_SGPR: 2
; COMPUTE_PGM_RSRC2:TRAP_HANDLER: 0
; COMPUTE_PGM_RSRC2:TGID_X_EN: 1
; COMPUTE_PGM_RSRC2:TGID_Y_EN: 0
; COMPUTE_PGM_RSRC2:TGID_Z_EN: 0
; COMPUTE_PGM_RSRC2:TIDIG_COMP_CNT: 0
	.section	.text._ZN7rocprim17ROCPRIM_400000_NS6detail17trampoline_kernelINS0_14default_configENS1_25partition_config_selectorILNS1_17partition_subalgoE8ElNS0_10empty_typeEbEEZZNS1_14partition_implILS5_8ELb0ES3_jPlPS6_PKS6_NS0_5tupleIJS9_S6_EEENSD_IJSA_SA_EEENS0_18inequality_wrapperIZN2at6native12_GLOBAL__N_124unique_dim_cuda_templateIhEESt5tupleIJNSH_6TensorESM_SM_EERKSM_lbbbEUlllE0_EEPmJS6_EEE10hipError_tPvRmT3_T4_T5_T6_T7_T9_mT8_P12ihipStream_tbDpT10_ENKUlT_T0_E_clISt17integral_constantIbLb0EES1B_IbLb1EEEEDaS17_S18_EUlS17_E_NS1_11comp_targetILNS1_3genE0ELNS1_11target_archE4294967295ELNS1_3gpuE0ELNS1_3repE0EEENS1_30default_config_static_selectorELNS0_4arch9wavefront6targetE0EEEvT1_,"axG",@progbits,_ZN7rocprim17ROCPRIM_400000_NS6detail17trampoline_kernelINS0_14default_configENS1_25partition_config_selectorILNS1_17partition_subalgoE8ElNS0_10empty_typeEbEEZZNS1_14partition_implILS5_8ELb0ES3_jPlPS6_PKS6_NS0_5tupleIJS9_S6_EEENSD_IJSA_SA_EEENS0_18inequality_wrapperIZN2at6native12_GLOBAL__N_124unique_dim_cuda_templateIhEESt5tupleIJNSH_6TensorESM_SM_EERKSM_lbbbEUlllE0_EEPmJS6_EEE10hipError_tPvRmT3_T4_T5_T6_T7_T9_mT8_P12ihipStream_tbDpT10_ENKUlT_T0_E_clISt17integral_constantIbLb0EES1B_IbLb1EEEEDaS17_S18_EUlS17_E_NS1_11comp_targetILNS1_3genE0ELNS1_11target_archE4294967295ELNS1_3gpuE0ELNS1_3repE0EEENS1_30default_config_static_selectorELNS0_4arch9wavefront6targetE0EEEvT1_,comdat
	.globl	_ZN7rocprim17ROCPRIM_400000_NS6detail17trampoline_kernelINS0_14default_configENS1_25partition_config_selectorILNS1_17partition_subalgoE8ElNS0_10empty_typeEbEEZZNS1_14partition_implILS5_8ELb0ES3_jPlPS6_PKS6_NS0_5tupleIJS9_S6_EEENSD_IJSA_SA_EEENS0_18inequality_wrapperIZN2at6native12_GLOBAL__N_124unique_dim_cuda_templateIhEESt5tupleIJNSH_6TensorESM_SM_EERKSM_lbbbEUlllE0_EEPmJS6_EEE10hipError_tPvRmT3_T4_T5_T6_T7_T9_mT8_P12ihipStream_tbDpT10_ENKUlT_T0_E_clISt17integral_constantIbLb0EES1B_IbLb1EEEEDaS17_S18_EUlS17_E_NS1_11comp_targetILNS1_3genE0ELNS1_11target_archE4294967295ELNS1_3gpuE0ELNS1_3repE0EEENS1_30default_config_static_selectorELNS0_4arch9wavefront6targetE0EEEvT1_ ; -- Begin function _ZN7rocprim17ROCPRIM_400000_NS6detail17trampoline_kernelINS0_14default_configENS1_25partition_config_selectorILNS1_17partition_subalgoE8ElNS0_10empty_typeEbEEZZNS1_14partition_implILS5_8ELb0ES3_jPlPS6_PKS6_NS0_5tupleIJS9_S6_EEENSD_IJSA_SA_EEENS0_18inequality_wrapperIZN2at6native12_GLOBAL__N_124unique_dim_cuda_templateIhEESt5tupleIJNSH_6TensorESM_SM_EERKSM_lbbbEUlllE0_EEPmJS6_EEE10hipError_tPvRmT3_T4_T5_T6_T7_T9_mT8_P12ihipStream_tbDpT10_ENKUlT_T0_E_clISt17integral_constantIbLb0EES1B_IbLb1EEEEDaS17_S18_EUlS17_E_NS1_11comp_targetILNS1_3genE0ELNS1_11target_archE4294967295ELNS1_3gpuE0ELNS1_3repE0EEENS1_30default_config_static_selectorELNS0_4arch9wavefront6targetE0EEEvT1_
	.p2align	8
	.type	_ZN7rocprim17ROCPRIM_400000_NS6detail17trampoline_kernelINS0_14default_configENS1_25partition_config_selectorILNS1_17partition_subalgoE8ElNS0_10empty_typeEbEEZZNS1_14partition_implILS5_8ELb0ES3_jPlPS6_PKS6_NS0_5tupleIJS9_S6_EEENSD_IJSA_SA_EEENS0_18inequality_wrapperIZN2at6native12_GLOBAL__N_124unique_dim_cuda_templateIhEESt5tupleIJNSH_6TensorESM_SM_EERKSM_lbbbEUlllE0_EEPmJS6_EEE10hipError_tPvRmT3_T4_T5_T6_T7_T9_mT8_P12ihipStream_tbDpT10_ENKUlT_T0_E_clISt17integral_constantIbLb0EES1B_IbLb1EEEEDaS17_S18_EUlS17_E_NS1_11comp_targetILNS1_3genE0ELNS1_11target_archE4294967295ELNS1_3gpuE0ELNS1_3repE0EEENS1_30default_config_static_selectorELNS0_4arch9wavefront6targetE0EEEvT1_,@function
_ZN7rocprim17ROCPRIM_400000_NS6detail17trampoline_kernelINS0_14default_configENS1_25partition_config_selectorILNS1_17partition_subalgoE8ElNS0_10empty_typeEbEEZZNS1_14partition_implILS5_8ELb0ES3_jPlPS6_PKS6_NS0_5tupleIJS9_S6_EEENSD_IJSA_SA_EEENS0_18inequality_wrapperIZN2at6native12_GLOBAL__N_124unique_dim_cuda_templateIhEESt5tupleIJNSH_6TensorESM_SM_EERKSM_lbbbEUlllE0_EEPmJS6_EEE10hipError_tPvRmT3_T4_T5_T6_T7_T9_mT8_P12ihipStream_tbDpT10_ENKUlT_T0_E_clISt17integral_constantIbLb0EES1B_IbLb1EEEEDaS17_S18_EUlS17_E_NS1_11comp_targetILNS1_3genE0ELNS1_11target_archE4294967295ELNS1_3gpuE0ELNS1_3repE0EEENS1_30default_config_static_selectorELNS0_4arch9wavefront6targetE0EEEvT1_: ; @_ZN7rocprim17ROCPRIM_400000_NS6detail17trampoline_kernelINS0_14default_configENS1_25partition_config_selectorILNS1_17partition_subalgoE8ElNS0_10empty_typeEbEEZZNS1_14partition_implILS5_8ELb0ES3_jPlPS6_PKS6_NS0_5tupleIJS9_S6_EEENSD_IJSA_SA_EEENS0_18inequality_wrapperIZN2at6native12_GLOBAL__N_124unique_dim_cuda_templateIhEESt5tupleIJNSH_6TensorESM_SM_EERKSM_lbbbEUlllE0_EEPmJS6_EEE10hipError_tPvRmT3_T4_T5_T6_T7_T9_mT8_P12ihipStream_tbDpT10_ENKUlT_T0_E_clISt17integral_constantIbLb0EES1B_IbLb1EEEEDaS17_S18_EUlS17_E_NS1_11comp_targetILNS1_3genE0ELNS1_11target_archE4294967295ELNS1_3gpuE0ELNS1_3repE0EEENS1_30default_config_static_selectorELNS0_4arch9wavefront6targetE0EEEvT1_
; %bb.0:
	s_clause 0x1
	s_load_b256 s[12:19], s[0:1], 0x40
	s_load_b128 s[8:11], s[0:1], 0x60
	v_cmp_ne_u32_e64 s3, 0, v0
	v_cmp_eq_u32_e64 s2, 0, v0
	s_and_saveexec_b32 s4, s2
	s_cbranch_execz .LBB196_4
; %bb.1:
	s_mov_b32 s6, exec_lo
	s_mov_b32 s5, exec_lo
	v_mbcnt_lo_u32_b32 v1, s6, 0
                                        ; implicit-def: $vgpr2
	s_delay_alu instid0(VALU_DEP_1)
	v_cmpx_eq_u32_e32 0, v1
	s_cbranch_execz .LBB196_3
; %bb.2:
	s_load_b64 s[20:21], s[0:1], 0x78
	s_bcnt1_i32_b32 s6, s6
	s_delay_alu instid0(SALU_CYCLE_1)
	v_dual_mov_b32 v2, 0 :: v_dual_mov_b32 v3, s6
	s_wait_xcnt 0x0
	s_wait_kmcnt 0x0
	global_atomic_add_u32 v2, v2, v3, s[20:21] th:TH_ATOMIC_RETURN scope:SCOPE_DEV
.LBB196_3:
	s_wait_xcnt 0x0
	s_or_b32 exec_lo, exec_lo, s5
	s_wait_loadcnt 0x0
	v_readfirstlane_b32 s5, v2
	s_delay_alu instid0(VALU_DEP_1)
	v_dual_mov_b32 v2, 0 :: v_dual_add_nc_u32 v1, s5, v1
	ds_store_b32 v2, v1
.LBB196_4:
	s_or_b32 exec_lo, exec_lo, s4
	v_dual_mov_b32 v3, 0 :: v_dual_lshlrev_b32 v18, 3, v0
	s_clause 0x2
	s_load_b128 s[4:7], s[0:1], 0x8
	s_load_b64 s[20:21], s[0:1], 0x28
	s_load_b32 s22, s[0:1], 0x70
	s_wait_dscnt 0x0
	s_barrier_signal -1
	s_barrier_wait -1
	ds_load_b32 v1, v3
	s_wait_dscnt 0x0
	s_barrier_signal -1
	s_barrier_wait -1
	s_wait_kmcnt 0x0
	global_load_b64 v[4:5], v3, s[14:15]
	s_wait_xcnt 0x0
	s_mov_b32 s15, 0
	s_lshl_b64 s[0:1], s[6:7], 3
	s_mul_i32 s14, s22, 0xe00
	s_add_co_i32 s26, s22, -1
	s_add_nc_u64 s[24:25], s[6:7], s[14:15]
	s_add_co_i32 s14, s14, s6
	v_cmp_le_u64_e64 s15, s[16:17], s[24:25]
	v_mul_lo_u32 v2, 0xe00, v1
	v_readfirstlane_b32 s22, v1
	s_sub_co_i32 s23, s16, s14
	s_add_nc_u64 s[0:1], s[4:5], s[0:1]
	s_cmp_eq_u32 s22, s26
	s_cselect_b32 s16, -1, 0
	s_delay_alu instid0(SALU_CYCLE_1) | instskip(SKIP_2) | instid1(SALU_CYCLE_1)
	s_and_b32 s24, s15, s16
	v_lshlrev_b64_e32 v[2:3], 3, v[2:3]
	s_xor_b32 s17, s24, -1
	s_and_b32 vcc_lo, exec_lo, s17
	s_delay_alu instid0(VALU_DEP_1)
	v_add_nc_u64_e32 v[20:21], s[0:1], v[2:3]
	s_mov_b32 s0, -1
	s_wait_loadcnt 0x0
	v_readfirstlane_b32 s14, v4
	v_readfirstlane_b32 s15, v5
	s_cbranch_vccz .LBB196_6
; %bb.5:
	v_readfirstlane_b32 s0, v20
	v_readfirstlane_b32 s1, v21
	v_lshlrev_b32_e32 v1, 3, v0
	s_clause 0x6
	global_load_b64 v[2:3], v0, s[0:1] scale_offset
	global_load_b64 v[4:5], v0, s[0:1] offset:4096 scale_offset
	global_load_b64 v[6:7], v0, s[0:1] offset:8192 scale_offset
	;; [unrolled: 1-line block ×6, first 2 shown]
	s_wait_xcnt 0x0
	s_mov_b32 s0, 0
	s_wait_loadcnt 0x5
	ds_store_2addr_stride64_b64 v1, v[2:3], v[4:5] offset1:8
	s_wait_loadcnt 0x3
	ds_store_2addr_stride64_b64 v1, v[6:7], v[8:9] offset0:16 offset1:24
	s_wait_loadcnt 0x1
	ds_store_2addr_stride64_b64 v1, v[10:11], v[12:13] offset0:32 offset1:40
	s_wait_loadcnt 0x0
	ds_store_b64 v1, v[14:15] offset:24576
	s_wait_dscnt 0x0
	s_barrier_signal -1
	s_barrier_wait -1
.LBB196_6:
	s_and_not1_b32 vcc_lo, exec_lo, s0
	s_addk_co_i32 s23, 0xe00
	s_cbranch_vccnz .LBB196_22
; %bb.7:
	v_mov_b32_e32 v2, 0
	s_mov_b32 s0, exec_lo
	s_delay_alu instid0(VALU_DEP_1)
	v_dual_mov_b32 v3, v2 :: v_dual_mov_b32 v4, v2
	v_dual_mov_b32 v5, v2 :: v_dual_mov_b32 v6, v2
	;; [unrolled: 1-line block ×6, first 2 shown]
	v_mov_b32_e32 v15, v2
	v_cmpx_gt_u32_e64 s23, v0
	s_cbranch_execz .LBB196_9
; %bb.8:
	v_readfirstlane_b32 s4, v20
	v_readfirstlane_b32 s5, v21
	v_dual_mov_b32 v6, v2 :: v_dual_mov_b32 v7, v2
	v_dual_mov_b32 v8, v2 :: v_dual_mov_b32 v9, v2
	global_load_b64 v[4:5], v0, s[4:5] scale_offset
	v_dual_mov_b32 v10, v2 :: v_dual_mov_b32 v11, v2
	v_dual_mov_b32 v12, v2 :: v_dual_mov_b32 v13, v2
	;; [unrolled: 1-line block ×4, first 2 shown]
	s_wait_loadcnt 0x0
	v_mov_b64_e32 v[2:3], v[4:5]
	v_mov_b64_e32 v[4:5], v[6:7]
	;; [unrolled: 1-line block ×8, first 2 shown]
.LBB196_9:
	s_or_b32 exec_lo, exec_lo, s0
	v_or_b32_e32 v1, 0x200, v0
	s_mov_b32 s0, exec_lo
	s_delay_alu instid0(VALU_DEP_1)
	v_cmpx_gt_u32_e64 s23, v1
	s_cbranch_execz .LBB196_11
; %bb.10:
	v_readfirstlane_b32 s4, v20
	v_readfirstlane_b32 s5, v21
	global_load_b64 v[4:5], v0, s[4:5] offset:4096 scale_offset
.LBB196_11:
	s_wait_xcnt 0x0
	s_or_b32 exec_lo, exec_lo, s0
	v_or_b32_e32 v1, 0x400, v0
	s_mov_b32 s0, exec_lo
	s_delay_alu instid0(VALU_DEP_1)
	v_cmpx_gt_u32_e64 s23, v1
	s_cbranch_execz .LBB196_13
; %bb.12:
	v_readfirstlane_b32 s4, v20
	v_readfirstlane_b32 s5, v21
	global_load_b64 v[6:7], v0, s[4:5] offset:8192 scale_offset
.LBB196_13:
	s_wait_xcnt 0x0
	;; [unrolled: 12-line block ×6, first 2 shown]
	s_or_b32 exec_lo, exec_lo, s0
	v_lshlrev_b32_e32 v1, 3, v0
	s_wait_loadcnt 0x0
	ds_store_2addr_stride64_b64 v1, v[2:3], v[4:5] offset1:8
	ds_store_2addr_stride64_b64 v1, v[6:7], v[8:9] offset0:16 offset1:24
	ds_store_2addr_stride64_b64 v1, v[10:11], v[12:13] offset0:32 offset1:40
	ds_store_b64 v1, v[14:15] offset:24576
	s_wait_dscnt 0x0
	s_barrier_signal -1
	s_barrier_wait -1
.LBB196_22:
	v_mul_u32_u24_e32 v1, 7, v0
	s_cmp_lg_u32 s22, 0
	s_cselect_b32 s25, -1, 0
	s_delay_alu instid0(VALU_DEP_1)
	v_lshlrev_b32_e32 v28, 3, v1
	s_cmp_lg_u64 s[6:7], 0
	v_cmp_gt_i64_e64 s7, s[18:19], 0
	s_cselect_b32 s0, -1, 0
	s_mov_b32 s6, 0
	ds_load_2addr_b64 v[10:13], v28 offset1:1
	ds_load_2addr_b64 v[6:9], v28 offset0:2 offset1:3
	ds_load_2addr_b64 v[2:5], v28 offset0:4 offset1:5
	ds_load_b64 v[14:15], v28 offset:48
	s_or_b32 s0, s0, s25
	s_wait_dscnt 0x0
	s_and_b32 vcc_lo, exec_lo, s0
	s_barrier_signal -1
	s_barrier_wait -1
	s_cbranch_vccz .LBB196_38
; %bb.23:
	global_load_b64 v[20:21], v[20:21], off offset:-8
	v_cndmask_b32_e64 v29, 0, 1, s7
	v_lshlrev_b32_e32 v31, 3, v0
	s_and_b32 vcc_lo, exec_lo, s17
	s_delay_alu instid0(VALU_DEP_2)
	v_cmp_ne_u32_e64 s0, 1, v29
	ds_store_b64 v31, v[14:15]
	s_cbranch_vccz .LBB196_40
; %bb.24:
	s_and_b32 vcc_lo, exec_lo, s0
	s_cbranch_vccnz .LBB196_41
; %bb.25:
	v_mad_nc_u64_u32 v[16:17], v4, s18, s[8:9]
	v_mad_nc_u64_u32 v[22:23], v14, s18, s[8:9]
	s_add_nc_u64 s[4:5], s[18:19], -1
	s_mov_b32 s26, 0
	s_mov_b64 s[0:1], s[4:5]
                                        ; implicit-def: $sgpr6
	s_delay_alu instid0(VALU_DEP_2) | instskip(NEXT) | instid1(VALU_DEP_2)
	v_mad_u32 v17, v5, s18, v17
	v_mad_u32 v19, v15, s18, v23
	s_delay_alu instid0(VALU_DEP_2) | instskip(NEXT) | instid1(VALU_DEP_2)
	v_mad_u32 v17, v4, s19, v17
	v_mad_u32 v23, v14, s19, v19
	s_delay_alu instid0(VALU_DEP_2)
	v_mov_b64_e32 v[24:25], v[16:17]
.LBB196_26:                             ; =>This Inner Loop Header: Depth=1
	global_load_u8 v19, v[24:25], off
	global_load_u8 v26, v[22:23], off
	s_cmp_eq_u64 s[0:1], 0
	s_add_nc_u64 s[28:29], s[0:1], -1
	s_cselect_b32 s1, -1, 0
	s_wait_xcnt 0x1
	v_add_nc_u64_e32 v[24:25], 1, v[24:25]
	s_wait_xcnt 0x0
	v_add_nc_u64_e32 v[22:23], 1, v[22:23]
	s_wait_loadcnt 0x0
	v_cmp_ne_u16_e32 vcc_lo, v19, v26
	v_cmp_eq_u16_e64 s0, v19, v26
	s_or_b32 s1, vcc_lo, s1
	s_delay_alu instid0(SALU_CYCLE_1) | instskip(NEXT) | instid1(SALU_CYCLE_1)
	s_and_b32 s1, exec_lo, s1
	s_or_b32 s26, s1, s26
	s_and_not1_b32 s6, s6, exec_lo
	s_and_b32 s27, s0, exec_lo
	s_mov_b64 s[0:1], s[28:29]
	s_or_b32 s6, s6, s27
	s_and_not1_b32 exec_lo, exec_lo, s26
	s_cbranch_execnz .LBB196_26
; %bb.27:
	s_or_b32 exec_lo, exec_lo, s26
	v_mad_nc_u64_u32 v[22:23], v2, s18, s[8:9]
	s_mov_b32 s27, 0
	s_mov_b64 s[0:1], s[4:5]
                                        ; implicit-def: $sgpr26
	s_delay_alu instid0(VALU_DEP_1) | instskip(NEXT) | instid1(VALU_DEP_1)
	v_mad_u32 v19, v3, s18, v23
	v_mad_u32 v23, v2, s19, v19
	s_delay_alu instid0(VALU_DEP_1)
	v_mov_b64_e32 v[24:25], v[22:23]
.LBB196_28:                             ; =>This Inner Loop Header: Depth=1
	global_load_u8 v19, v[24:25], off
	global_load_u8 v26, v[16:17], off
	s_cmp_eq_u64 s[0:1], 0
	s_add_nc_u64 s[28:29], s[0:1], -1
	s_cselect_b32 s1, -1, 0
	s_wait_xcnt 0x1
	v_add_nc_u64_e32 v[24:25], 1, v[24:25]
	s_wait_xcnt 0x0
	v_add_nc_u64_e32 v[16:17], 1, v[16:17]
	s_wait_loadcnt 0x0
	v_cmp_ne_u16_e32 vcc_lo, v19, v26
	v_cmp_eq_u16_e64 s0, v19, v26
	s_or_b32 s1, vcc_lo, s1
	s_delay_alu instid0(SALU_CYCLE_1) | instskip(NEXT) | instid1(SALU_CYCLE_1)
	s_and_b32 s1, exec_lo, s1
	s_or_b32 s27, s1, s27
	s_and_not1_b32 s26, s26, exec_lo
	s_and_b32 s30, s0, exec_lo
	s_mov_b64 s[0:1], s[28:29]
	s_or_b32 s26, s26, s30
	s_and_not1_b32 exec_lo, exec_lo, s27
	s_cbranch_execnz .LBB196_28
; %bb.29:
	s_or_b32 exec_lo, exec_lo, s27
	v_mad_nc_u64_u32 v[16:17], v8, s18, s[8:9]
	s_mov_b32 s28, 0
	s_mov_b64 s[0:1], s[4:5]
                                        ; implicit-def: $sgpr27
	s_delay_alu instid0(VALU_DEP_1) | instskip(NEXT) | instid1(VALU_DEP_1)
	v_mad_u32 v17, v9, s18, v17
	v_mad_u32 v17, v8, s19, v17
	s_delay_alu instid0(VALU_DEP_1)
	v_mov_b64_e32 v[24:25], v[16:17]
.LBB196_30:                             ; =>This Inner Loop Header: Depth=1
	global_load_u8 v19, v[24:25], off
	global_load_u8 v26, v[22:23], off
	s_cmp_eq_u64 s[0:1], 0
	s_add_nc_u64 s[30:31], s[0:1], -1
	s_cselect_b32 s1, -1, 0
	s_wait_xcnt 0x1
	v_add_nc_u64_e32 v[24:25], 1, v[24:25]
	s_wait_xcnt 0x0
	v_add_nc_u64_e32 v[22:23], 1, v[22:23]
	s_wait_loadcnt 0x0
	v_cmp_ne_u16_e32 vcc_lo, v19, v26
	v_cmp_eq_u16_e64 s0, v19, v26
	s_or_b32 s1, vcc_lo, s1
	s_delay_alu instid0(SALU_CYCLE_1) | instskip(NEXT) | instid1(SALU_CYCLE_1)
	s_and_b32 s1, exec_lo, s1
	s_or_b32 s28, s1, s28
	s_and_not1_b32 s27, s27, exec_lo
	s_and_b32 s29, s0, exec_lo
	s_mov_b64 s[0:1], s[30:31]
	s_or_b32 s27, s27, s29
	s_and_not1_b32 exec_lo, exec_lo, s28
	s_cbranch_execnz .LBB196_30
; %bb.31:
	s_or_b32 exec_lo, exec_lo, s28
	v_mad_nc_u64_u32 v[22:23], v6, s18, s[8:9]
	s_mov_b32 s29, 0
	s_mov_b64 s[0:1], s[4:5]
                                        ; implicit-def: $sgpr28
	s_delay_alu instid0(VALU_DEP_1) | instskip(NEXT) | instid1(VALU_DEP_1)
	v_mad_u32 v19, v7, s18, v23
	v_mad_u32 v23, v6, s19, v19
	s_delay_alu instid0(VALU_DEP_1)
	v_mov_b64_e32 v[24:25], v[22:23]
.LBB196_32:                             ; =>This Inner Loop Header: Depth=1
	global_load_u8 v19, v[24:25], off
	global_load_u8 v26, v[16:17], off
	s_cmp_eq_u64 s[0:1], 0
	s_add_nc_u64 s[30:31], s[0:1], -1
	s_cselect_b32 s1, -1, 0
	s_wait_xcnt 0x1
	v_add_nc_u64_e32 v[24:25], 1, v[24:25]
	s_wait_xcnt 0x0
	v_add_nc_u64_e32 v[16:17], 1, v[16:17]
	s_wait_loadcnt 0x0
	v_cmp_ne_u16_e32 vcc_lo, v19, v26
	v_cmp_eq_u16_e64 s0, v19, v26
	s_or_b32 s1, vcc_lo, s1
	s_delay_alu instid0(SALU_CYCLE_1) | instskip(NEXT) | instid1(SALU_CYCLE_1)
	s_and_b32 s1, exec_lo, s1
	s_or_b32 s29, s1, s29
	s_and_not1_b32 s28, s28, exec_lo
	s_and_b32 s33, s0, exec_lo
	s_mov_b64 s[0:1], s[30:31]
	s_or_b32 s28, s28, s33
	s_and_not1_b32 exec_lo, exec_lo, s29
	s_cbranch_execnz .LBB196_32
; %bb.33:
	s_or_b32 exec_lo, exec_lo, s29
	v_mad_nc_u64_u32 v[16:17], v12, s18, s[8:9]
	s_mov_b32 s30, 0
	s_mov_b64 s[0:1], s[4:5]
                                        ; implicit-def: $sgpr29
	s_delay_alu instid0(VALU_DEP_1) | instskip(NEXT) | instid1(VALU_DEP_1)
	v_mad_u32 v17, v13, s18, v17
	v_mad_u32 v17, v12, s19, v17
	s_delay_alu instid0(VALU_DEP_1)
	v_mov_b64_e32 v[24:25], v[16:17]
.LBB196_34:                             ; =>This Inner Loop Header: Depth=1
	global_load_u8 v19, v[24:25], off
	global_load_u8 v26, v[22:23], off
	s_cmp_eq_u64 s[0:1], 0
	s_add_nc_u64 s[34:35], s[0:1], -1
	s_cselect_b32 s1, -1, 0
	s_wait_xcnt 0x1
	v_add_nc_u64_e32 v[24:25], 1, v[24:25]
	s_wait_xcnt 0x0
	v_add_nc_u64_e32 v[22:23], 1, v[22:23]
	s_wait_loadcnt 0x0
	v_cmp_ne_u16_e32 vcc_lo, v19, v26
	v_cmp_eq_u16_e64 s0, v19, v26
	s_or_b32 s1, vcc_lo, s1
	s_delay_alu instid0(SALU_CYCLE_1) | instskip(NEXT) | instid1(SALU_CYCLE_1)
	s_and_b32 s1, exec_lo, s1
	s_or_b32 s30, s1, s30
	s_and_not1_b32 s29, s29, exec_lo
	s_and_b32 s31, s0, exec_lo
	s_mov_b64 s[0:1], s[34:35]
	s_or_b32 s29, s29, s31
	s_and_not1_b32 exec_lo, exec_lo, s30
	s_cbranch_execnz .LBB196_34
; %bb.35:
	s_or_b32 exec_lo, exec_lo, s30
	v_mad_nc_u64_u32 v[22:23], v10, s18, s[8:9]
	s_mov_b32 s30, 0
                                        ; implicit-def: $sgpr1
	s_delay_alu instid0(VALU_DEP_1) | instskip(NEXT) | instid1(VALU_DEP_1)
	v_mad_u32 v19, v11, s18, v23
	v_mad_u32 v23, v10, s19, v19
.LBB196_36:                             ; =>This Inner Loop Header: Depth=1
	global_load_u8 v19, v[22:23], off
	global_load_u8 v24, v[16:17], off
	s_cmp_eq_u64 s[4:5], 0
	s_add_nc_u64 s[34:35], s[4:5], -1
	s_cselect_b32 s4, -1, 0
	s_wait_xcnt 0x1
	v_add_nc_u64_e32 v[22:23], 1, v[22:23]
	s_wait_xcnt 0x0
	v_add_nc_u64_e32 v[16:17], 1, v[16:17]
	s_wait_loadcnt 0x0
	v_cmp_ne_u16_e32 vcc_lo, v19, v24
	v_cmp_eq_u16_e64 s0, v19, v24
	s_or_b32 s4, vcc_lo, s4
	s_delay_alu instid0(SALU_CYCLE_1) | instskip(NEXT) | instid1(SALU_CYCLE_1)
	s_and_b32 s4, exec_lo, s4
	s_or_b32 s30, s4, s30
	s_and_not1_b32 s1, s1, exec_lo
	s_and_b32 s0, s0, exec_lo
	s_mov_b64 s[4:5], s[34:35]
	s_or_b32 s1, s1, s0
	s_and_not1_b32 exec_lo, exec_lo, s30
	s_cbranch_execnz .LBB196_36
; %bb.37:
	s_or_b32 exec_lo, exec_lo, s30
	s_xor_b32 s0, s28, -1
	s_delay_alu instid0(SALU_CYCLE_1) | instskip(SKIP_1) | instid1(SALU_CYCLE_1)
	v_cndmask_b32_e64 v16, 0, 1, s0
	s_xor_b32 s0, s29, -1
	v_cndmask_b32_e64 v17, 0, 1, s0
	s_xor_b32 s0, s26, -1
	s_delay_alu instid0(VALU_DEP_2) | instskip(SKIP_2) | instid1(SALU_CYCLE_1)
	v_lshlrev_b16 v16, 8, v16
	v_cndmask_b32_e64 v30, 0, 1, s0
	s_xor_b32 s0, s6, -1
	v_cndmask_b32_e64 v19, 0, 1, s0
	s_delay_alu instid0(VALU_DEP_3) | instskip(SKIP_1) | instid1(VALU_DEP_1)
	v_lshrrev_b32_e32 v16, 8, v16
	s_xor_b32 s0, s27, -1
	v_and_b32_e32 v16, 1, v16
	s_delay_alu instid0(VALU_DEP_1) | instskip(NEXT) | instid1(VALU_DEP_1)
	v_lshlrev_b16 v16, 8, v16
	v_or_b32_e32 v16, v17, v16
	v_cndmask_b32_e64 v17, 0, 1, s0
	s_xor_b32 s0, s1, -1
	s_delay_alu instid0(VALU_DEP_2)
	v_lshlrev_b32_e32 v16, 16, v16
	s_branch .LBB196_42
.LBB196_38:
                                        ; implicit-def: $sgpr0
                                        ; implicit-def: $vgpr19
                                        ; implicit-def: $vgpr30
                                        ; implicit-def: $vgpr17
                                        ; implicit-def: $vgpr22
	s_branch .LBB196_95
.LBB196_39:
                                        ; implicit-def: $vgpr32
                                        ; implicit-def: $vgpr31
                                        ; implicit-def: $vgpr20
	s_branch .LBB196_164
.LBB196_40:
                                        ; implicit-def: $sgpr0
                                        ; implicit-def: $vgpr19
                                        ; implicit-def: $vgpr30
                                        ; implicit-def: $vgpr17
                                        ; implicit-def: $vgpr22
	s_cbranch_execnz .LBB196_49
	s_branch .LBB196_94
.LBB196_41:
	v_dual_mov_b32 v16, 0 :: v_dual_mov_b32 v19, 0
	v_dual_mov_b32 v30, 0 :: v_dual_mov_b32 v17, 0
	s_mov_b32 s0, 0
.LBB196_42:
	s_wait_loadcnt 0x0
	v_mov_b64_e32 v[26:27], v[20:21]
	s_wait_dscnt 0x0
	s_barrier_signal -1
	s_barrier_wait -1
	s_and_saveexec_b32 s1, s3
; %bb.43:
	v_add_nc_u32_e32 v22, -8, v31
	ds_load_b64 v[26:27], v22
; %bb.44:
	s_or_b32 exec_lo, exec_lo, s1
	v_cndmask_b32_e64 v22, 0, 1, s0
	v_lshrrev_b32_e32 v23, 16, v16
	s_mov_b32 s4, 0
	s_and_not1_b32 vcc_lo, exec_lo, s7
	s_mov_b32 s0, 0
	v_lshlrev_b16 v22, 8, v22
	s_delay_alu instid0(VALU_DEP_1) | instskip(SKIP_1) | instid1(VALU_DEP_2)
	v_bitop3_b16 v22, v16, v22, 0xff bitop3:0xec
	v_perm_b32 v16, v23, v16, 0xc0c0304
	v_and_b32_e32 v32, 0xffff, v22
	s_cbranch_vccnz .LBB196_48
; %bb.45:
	s_wait_dscnt 0x0
	v_mad_nc_u64_u32 v[22:23], v26, s18, s[8:9]
	v_mad_nc_u64_u32 v[24:25], v10, s18, s[8:9]
	s_add_nc_u64 s[0:1], s[18:19], -1
	s_mov_b32 s5, 0
                                        ; implicit-def: $sgpr6
	s_delay_alu instid0(VALU_DEP_2) | instskip(NEXT) | instid1(VALU_DEP_2)
	v_mad_u32 v23, v27, s18, v23
	v_mad_u32 v25, v11, s18, v25
	s_delay_alu instid0(VALU_DEP_2) | instskip(NEXT) | instid1(VALU_DEP_2)
	v_mad_u32 v23, v26, s19, v23
	v_mad_u32 v25, v10, s19, v25
.LBB196_46:                             ; =>This Inner Loop Header: Depth=1
	global_load_u8 v26, v[22:23], off
	global_load_u8 v27, v[24:25], off
	s_cmp_eq_u64 s[0:1], 0
	s_add_nc_u64 s[26:27], s[0:1], -1
	s_cselect_b32 s1, -1, 0
	s_wait_xcnt 0x1
	v_add_nc_u64_e32 v[22:23], 1, v[22:23]
	s_wait_xcnt 0x0
	v_add_nc_u64_e32 v[24:25], 1, v[24:25]
	s_wait_loadcnt 0x0
	v_cmp_ne_u16_e32 vcc_lo, v26, v27
	v_cmp_eq_u16_e64 s0, v26, v27
	s_or_b32 s1, vcc_lo, s1
	s_delay_alu instid0(SALU_CYCLE_1) | instskip(NEXT) | instid1(SALU_CYCLE_1)
	s_and_b32 s1, exec_lo, s1
	s_or_b32 s5, s1, s5
	s_and_not1_b32 s6, s6, exec_lo
	s_and_b32 s28, s0, exec_lo
	s_mov_b64 s[0:1], s[26:27]
	s_or_b32 s6, s6, s28
	s_and_not1_b32 exec_lo, exec_lo, s5
	s_cbranch_execnz .LBB196_46
; %bb.47:
	s_or_b32 exec_lo, exec_lo, s5
	s_xor_b32 s0, s6, -1
.LBB196_48:
	s_delay_alu instid0(VALU_DEP_1)
	v_lshl_or_b32 v22, v16, 16, v32
	s_and_b32 vcc_lo, exec_lo, s4
	s_cbranch_vccz .LBB196_94
.LBB196_49:
	v_add_nc_u32_e32 v16, 6, v1
	s_mov_b32 s5, 0
	s_mov_b32 s4, 0
	s_mov_b32 s6, exec_lo
	s_wait_xcnt 0x0
	v_cmpx_gt_u32_e64 s23, v16
	s_cbranch_execz .LBB196_55
; %bb.50:
	s_and_not1_b32 vcc_lo, exec_lo, s7
	s_mov_b32 s0, 0
	s_cbranch_vccnz .LBB196_54
; %bb.51:
	v_mad_nc_u64_u32 v[16:17], v4, s18, s[8:9]
	v_mad_nc_u64_u32 v[22:23], v14, s18, s[8:9]
	s_add_nc_u64 s[0:1], s[18:19], -1
                                        ; implicit-def: $sgpr7
	s_delay_alu instid0(VALU_DEP_2) | instskip(NEXT) | instid1(VALU_DEP_2)
	v_mad_u32 v17, v5, s18, v17
	v_mad_u32 v19, v15, s18, v23
	s_delay_alu instid0(VALU_DEP_2) | instskip(NEXT) | instid1(VALU_DEP_2)
	v_mad_u32 v17, v4, s19, v17
	v_mad_u32 v23, v14, s19, v19
.LBB196_52:                             ; =>This Inner Loop Header: Depth=1
	global_load_u8 v19, v[16:17], off
	global_load_u8 v24, v[22:23], off
	s_cmp_eq_u64 s[0:1], 0
	s_add_nc_u64 s[26:27], s[0:1], -1
	s_cselect_b32 s1, -1, 0
	s_wait_xcnt 0x1
	v_add_nc_u64_e32 v[16:17], 1, v[16:17]
	s_wait_xcnt 0x0
	v_add_nc_u64_e32 v[22:23], 1, v[22:23]
	s_wait_loadcnt 0x0
	v_cmp_ne_u16_e32 vcc_lo, v19, v24
	v_cmp_eq_u16_e64 s0, v19, v24
	s_or_b32 s1, vcc_lo, s1
	s_delay_alu instid0(SALU_CYCLE_1) | instskip(NEXT) | instid1(SALU_CYCLE_1)
	s_and_b32 s1, exec_lo, s1
	s_or_b32 s4, s1, s4
	s_and_not1_b32 s7, s7, exec_lo
	s_and_b32 s28, s0, exec_lo
	s_mov_b64 s[0:1], s[26:27]
	s_or_b32 s7, s7, s28
	s_and_not1_b32 exec_lo, exec_lo, s4
	s_cbranch_execnz .LBB196_52
; %bb.53:
	s_or_b32 exec_lo, exec_lo, s4
	s_xor_b32 s0, s7, -1
.LBB196_54:
	s_delay_alu instid0(SALU_CYCLE_1)
	s_and_b32 s4, s0, exec_lo
.LBB196_55:
	s_or_b32 exec_lo, exec_lo, s6
	v_add_nc_u32_e32 v16, 5, v1
	s_mov_b32 s6, exec_lo
	s_delay_alu instid0(VALU_DEP_1)
	v_cmpx_gt_u32_e64 s23, v16
	s_cbranch_execz .LBB196_61
; %bb.56:
	v_cmp_ne_u32_e32 vcc_lo, 1, v29
	s_mov_b32 s0, 0
	s_cbranch_vccnz .LBB196_60
; %bb.57:
	v_mad_nc_u64_u32 v[16:17], v2, s18, s[8:9]
	v_mad_nc_u64_u32 v[22:23], v4, s18, s[8:9]
	s_add_nc_u64 s[0:1], s[18:19], -1
	s_mov_b32 s5, 0
                                        ; implicit-def: $sgpr7
	s_delay_alu instid0(VALU_DEP_2) | instskip(NEXT) | instid1(VALU_DEP_2)
	v_mad_u32 v17, v3, s18, v17
	v_mad_u32 v19, v5, s18, v23
	s_delay_alu instid0(VALU_DEP_2) | instskip(NEXT) | instid1(VALU_DEP_2)
	v_mad_u32 v17, v2, s19, v17
	v_mad_u32 v23, v4, s19, v19
.LBB196_58:                             ; =>This Inner Loop Header: Depth=1
	global_load_u8 v19, v[16:17], off
	global_load_u8 v24, v[22:23], off
	s_cmp_eq_u64 s[0:1], 0
	s_add_nc_u64 s[26:27], s[0:1], -1
	s_cselect_b32 s1, -1, 0
	s_wait_xcnt 0x1
	v_add_nc_u64_e32 v[16:17], 1, v[16:17]
	s_wait_xcnt 0x0
	v_add_nc_u64_e32 v[22:23], 1, v[22:23]
	s_wait_loadcnt 0x0
	v_cmp_ne_u16_e32 vcc_lo, v19, v24
	v_cmp_eq_u16_e64 s0, v19, v24
	s_or_b32 s1, vcc_lo, s1
	s_delay_alu instid0(SALU_CYCLE_1) | instskip(NEXT) | instid1(SALU_CYCLE_1)
	s_and_b32 s1, exec_lo, s1
	s_or_b32 s5, s1, s5
	s_and_not1_b32 s7, s7, exec_lo
	s_and_b32 s28, s0, exec_lo
	s_mov_b64 s[0:1], s[26:27]
	s_or_b32 s7, s7, s28
	s_and_not1_b32 exec_lo, exec_lo, s5
	s_cbranch_execnz .LBB196_58
; %bb.59:
	s_or_b32 exec_lo, exec_lo, s5
	s_xor_b32 s0, s7, -1
.LBB196_60:
	s_delay_alu instid0(SALU_CYCLE_1)
	s_and_b32 s5, s0, exec_lo
.LBB196_61:
	s_or_b32 exec_lo, exec_lo, s6
	v_add_nc_u32_e32 v16, 4, v1
	s_mov_b32 s7, 0
	s_mov_b32 s6, 0
	s_mov_b32 s26, exec_lo
	s_delay_alu instid0(VALU_DEP_1)
	v_cmpx_gt_u32_e64 s23, v16
	s_cbranch_execz .LBB196_67
; %bb.62:
	v_cmp_ne_u32_e32 vcc_lo, 1, v29
	s_mov_b32 s0, 0
	s_cbranch_vccnz .LBB196_66
; %bb.63:
	v_mad_nc_u64_u32 v[16:17], v8, s18, s[8:9]
	v_mad_nc_u64_u32 v[22:23], v2, s18, s[8:9]
	s_add_nc_u64 s[0:1], s[18:19], -1
                                        ; implicit-def: $sgpr27
	s_delay_alu instid0(VALU_DEP_2) | instskip(NEXT) | instid1(VALU_DEP_2)
	v_mad_u32 v17, v9, s18, v17
	v_mad_u32 v19, v3, s18, v23
	s_delay_alu instid0(VALU_DEP_2) | instskip(NEXT) | instid1(VALU_DEP_2)
	v_mad_u32 v17, v8, s19, v17
	v_mad_u32 v23, v2, s19, v19
.LBB196_64:                             ; =>This Inner Loop Header: Depth=1
	global_load_u8 v19, v[16:17], off
	global_load_u8 v24, v[22:23], off
	s_cmp_eq_u64 s[0:1], 0
	s_add_nc_u64 s[28:29], s[0:1], -1
	s_cselect_b32 s1, -1, 0
	s_wait_xcnt 0x1
	v_add_nc_u64_e32 v[16:17], 1, v[16:17]
	s_wait_xcnt 0x0
	v_add_nc_u64_e32 v[22:23], 1, v[22:23]
	s_wait_loadcnt 0x0
	v_cmp_ne_u16_e32 vcc_lo, v19, v24
	v_cmp_eq_u16_e64 s0, v19, v24
	s_or_b32 s1, vcc_lo, s1
	s_delay_alu instid0(SALU_CYCLE_1) | instskip(NEXT) | instid1(SALU_CYCLE_1)
	s_and_b32 s1, exec_lo, s1
	s_or_b32 s6, s1, s6
	s_and_not1_b32 s27, s27, exec_lo
	s_and_b32 s30, s0, exec_lo
	s_mov_b64 s[0:1], s[28:29]
	s_or_b32 s27, s27, s30
	s_and_not1_b32 exec_lo, exec_lo, s6
	s_cbranch_execnz .LBB196_64
; %bb.65:
	s_or_b32 exec_lo, exec_lo, s6
	s_xor_b32 s0, s27, -1
.LBB196_66:
	s_delay_alu instid0(SALU_CYCLE_1)
	s_and_b32 s6, s0, exec_lo
.LBB196_67:
	s_or_b32 exec_lo, exec_lo, s26
	v_add_nc_u32_e32 v16, 3, v1
	s_mov_b32 s26, exec_lo
	s_delay_alu instid0(VALU_DEP_1)
	v_cmpx_gt_u32_e64 s23, v16
	s_cbranch_execz .LBB196_73
; %bb.68:
	v_cmp_ne_u32_e32 vcc_lo, 1, v29
	s_mov_b32 s0, 0
	s_cbranch_vccnz .LBB196_72
; %bb.69:
	v_mad_nc_u64_u32 v[16:17], v6, s18, s[8:9]
	v_mad_nc_u64_u32 v[22:23], v8, s18, s[8:9]
	s_add_nc_u64 s[0:1], s[18:19], -1
	s_mov_b32 s7, 0
                                        ; implicit-def: $sgpr27
	s_delay_alu instid0(VALU_DEP_2) | instskip(NEXT) | instid1(VALU_DEP_2)
	v_mad_u32 v17, v7, s18, v17
	v_mad_u32 v19, v9, s18, v23
	s_delay_alu instid0(VALU_DEP_2) | instskip(NEXT) | instid1(VALU_DEP_2)
	v_mad_u32 v17, v6, s19, v17
	v_mad_u32 v23, v8, s19, v19
.LBB196_70:                             ; =>This Inner Loop Header: Depth=1
	global_load_u8 v19, v[16:17], off
	global_load_u8 v24, v[22:23], off
	s_cmp_eq_u64 s[0:1], 0
	s_add_nc_u64 s[28:29], s[0:1], -1
	s_cselect_b32 s1, -1, 0
	s_wait_xcnt 0x1
	v_add_nc_u64_e32 v[16:17], 1, v[16:17]
	s_wait_xcnt 0x0
	v_add_nc_u64_e32 v[22:23], 1, v[22:23]
	s_wait_loadcnt 0x0
	v_cmp_ne_u16_e32 vcc_lo, v19, v24
	v_cmp_eq_u16_e64 s0, v19, v24
	s_or_b32 s1, vcc_lo, s1
	s_delay_alu instid0(SALU_CYCLE_1) | instskip(NEXT) | instid1(SALU_CYCLE_1)
	s_and_b32 s1, exec_lo, s1
	s_or_b32 s7, s1, s7
	s_and_not1_b32 s27, s27, exec_lo
	s_and_b32 s30, s0, exec_lo
	s_mov_b64 s[0:1], s[28:29]
	s_or_b32 s27, s27, s30
	s_and_not1_b32 exec_lo, exec_lo, s7
	s_cbranch_execnz .LBB196_70
; %bb.71:
	s_or_b32 exec_lo, exec_lo, s7
	s_xor_b32 s0, s27, -1
.LBB196_72:
	s_delay_alu instid0(SALU_CYCLE_1)
	s_and_b32 s7, s0, exec_lo
.LBB196_73:
	s_or_b32 exec_lo, exec_lo, s26
	v_add_nc_u32_e32 v16, 2, v1
	s_mov_b32 s26, 0
	s_mov_b32 s27, 0
	s_mov_b32 s28, exec_lo
	s_delay_alu instid0(VALU_DEP_1)
	v_cmpx_gt_u32_e64 s23, v16
	s_cbranch_execz .LBB196_79
; %bb.74:
	v_cmp_ne_u32_e32 vcc_lo, 1, v29
	s_mov_b32 s0, 0
	s_cbranch_vccnz .LBB196_78
; %bb.75:
	v_mad_nc_u64_u32 v[16:17], v12, s18, s[8:9]
	v_mad_nc_u64_u32 v[22:23], v6, s18, s[8:9]
	s_add_nc_u64 s[0:1], s[18:19], -1
                                        ; implicit-def: $sgpr29
	s_delay_alu instid0(VALU_DEP_2) | instskip(NEXT) | instid1(VALU_DEP_2)
	v_mad_u32 v17, v13, s18, v17
	v_mad_u32 v19, v7, s18, v23
	s_delay_alu instid0(VALU_DEP_2) | instskip(NEXT) | instid1(VALU_DEP_2)
	v_mad_u32 v17, v12, s19, v17
	v_mad_u32 v23, v6, s19, v19
.LBB196_76:                             ; =>This Inner Loop Header: Depth=1
	global_load_u8 v19, v[16:17], off
	global_load_u8 v24, v[22:23], off
	s_cmp_eq_u64 s[0:1], 0
	s_add_nc_u64 s[30:31], s[0:1], -1
	s_cselect_b32 s1, -1, 0
	s_wait_xcnt 0x1
	v_add_nc_u64_e32 v[16:17], 1, v[16:17]
	s_wait_xcnt 0x0
	v_add_nc_u64_e32 v[22:23], 1, v[22:23]
	s_wait_loadcnt 0x0
	v_cmp_ne_u16_e32 vcc_lo, v19, v24
	v_cmp_eq_u16_e64 s0, v19, v24
	s_or_b32 s1, vcc_lo, s1
	s_delay_alu instid0(SALU_CYCLE_1) | instskip(NEXT) | instid1(SALU_CYCLE_1)
	s_and_b32 s1, exec_lo, s1
	s_or_b32 s27, s1, s27
	s_and_not1_b32 s29, s29, exec_lo
	s_and_b32 s33, s0, exec_lo
	s_mov_b64 s[0:1], s[30:31]
	s_or_b32 s29, s29, s33
	s_and_not1_b32 exec_lo, exec_lo, s27
	s_cbranch_execnz .LBB196_76
; %bb.77:
	s_or_b32 exec_lo, exec_lo, s27
	s_xor_b32 s0, s29, -1
.LBB196_78:
	s_delay_alu instid0(SALU_CYCLE_1)
	s_and_b32 s27, s0, exec_lo
.LBB196_79:
	s_or_b32 exec_lo, exec_lo, s28
	v_add_nc_u32_e32 v16, 1, v1
	s_mov_b32 s28, exec_lo
	s_delay_alu instid0(VALU_DEP_1)
	v_cmpx_gt_u32_e64 s23, v16
	s_cbranch_execz .LBB196_85
; %bb.80:
	v_cmp_ne_u32_e32 vcc_lo, 1, v29
	s_mov_b32 s0, 0
	s_cbranch_vccnz .LBB196_84
; %bb.81:
	v_mad_nc_u64_u32 v[16:17], v10, s18, s[8:9]
	v_mad_nc_u64_u32 v[22:23], v12, s18, s[8:9]
	s_add_nc_u64 s[0:1], s[18:19], -1
	s_mov_b32 s26, 0
                                        ; implicit-def: $sgpr29
	s_delay_alu instid0(VALU_DEP_2) | instskip(NEXT) | instid1(VALU_DEP_2)
	v_mad_u32 v17, v11, s18, v17
	v_mad_u32 v19, v13, s18, v23
	s_delay_alu instid0(VALU_DEP_2) | instskip(NEXT) | instid1(VALU_DEP_2)
	v_mad_u32 v17, v10, s19, v17
	v_mad_u32 v23, v12, s19, v19
.LBB196_82:                             ; =>This Inner Loop Header: Depth=1
	global_load_u8 v19, v[16:17], off
	global_load_u8 v24, v[22:23], off
	s_cmp_eq_u64 s[0:1], 0
	s_add_nc_u64 s[30:31], s[0:1], -1
	s_cselect_b32 s1, -1, 0
	s_wait_xcnt 0x1
	v_add_nc_u64_e32 v[16:17], 1, v[16:17]
	s_wait_xcnt 0x0
	v_add_nc_u64_e32 v[22:23], 1, v[22:23]
	s_wait_loadcnt 0x0
	v_cmp_ne_u16_e32 vcc_lo, v19, v24
	v_cmp_eq_u16_e64 s0, v19, v24
	s_or_b32 s1, vcc_lo, s1
	s_delay_alu instid0(SALU_CYCLE_1) | instskip(NEXT) | instid1(SALU_CYCLE_1)
	s_and_b32 s1, exec_lo, s1
	s_or_b32 s26, s1, s26
	s_and_not1_b32 s29, s29, exec_lo
	s_and_b32 s33, s0, exec_lo
	s_mov_b64 s[0:1], s[30:31]
	s_or_b32 s29, s29, s33
	s_and_not1_b32 exec_lo, exec_lo, s26
	s_cbranch_execnz .LBB196_82
; %bb.83:
	s_or_b32 exec_lo, exec_lo, s26
	s_xor_b32 s0, s29, -1
.LBB196_84:
	s_delay_alu instid0(SALU_CYCLE_1)
	s_and_b32 s26, s0, exec_lo
.LBB196_85:
	s_or_b32 exec_lo, exec_lo, s28
	s_wait_loadcnt_dscnt 0x0
	s_barrier_signal -1
	s_barrier_wait -1
	s_and_saveexec_b32 s0, s3
; %bb.86:
	v_add_nc_u32_e32 v16, -8, v31
	ds_load_b64 v[20:21], v16
; %bb.87:
	s_or_b32 exec_lo, exec_lo, s0
	v_cndmask_b32_e64 v16, 0, 1, s7
	v_cndmask_b32_e64 v17, 0, 1, s27
	;; [unrolled: 1-line block ×3, first 2 shown]
	s_mov_b32 s0, 0
	s_mov_b32 s7, exec_lo
	v_lshlrev_b16 v16, 8, v16
	s_delay_alu instid0(VALU_DEP_2) | instskip(NEXT) | instid1(VALU_DEP_2)
	v_lshlrev_b16 v19, 8, v19
	v_or_b32_e32 v16, v17, v16
	s_delay_alu instid0(VALU_DEP_2) | instskip(NEXT) | instid1(VALU_DEP_2)
	v_and_b32_e32 v24, 0xffff, v19
	v_lshlrev_b32_e32 v25, 16, v16
	v_cmpx_gt_u32_e64 s23, v1
	s_cbranch_execz .LBB196_93
; %bb.88:
	v_cmp_ne_u32_e32 vcc_lo, 1, v29
	s_cbranch_vccnz .LBB196_92
; %bb.89:
	s_wait_dscnt 0x0
	v_mad_nc_u64_u32 v[16:17], v20, s18, s[8:9]
	v_mad_nc_u64_u32 v[22:23], v10, s18, s[8:9]
	s_add_nc_u64 s[0:1], s[18:19], -1
	s_mov_b32 s26, 0
                                        ; implicit-def: $sgpr27
	s_delay_alu instid0(VALU_DEP_2) | instskip(NEXT) | instid1(VALU_DEP_2)
	v_mad_u32 v17, v21, s18, v17
	v_mad_u32 v19, v11, s18, v23
	s_delay_alu instid0(VALU_DEP_2) | instskip(NEXT) | instid1(VALU_DEP_2)
	v_mad_u32 v17, v20, s19, v17
	v_mad_u32 v23, v10, s19, v19
.LBB196_90:                             ; =>This Inner Loop Header: Depth=1
	global_load_u8 v19, v[16:17], off
	global_load_u8 v20, v[22:23], off
	s_cmp_eq_u64 s[0:1], 0
	s_add_nc_u64 s[28:29], s[0:1], -1
	s_cselect_b32 s1, -1, 0
	s_wait_xcnt 0x1
	v_add_nc_u64_e32 v[16:17], 1, v[16:17]
	s_wait_xcnt 0x0
	v_add_nc_u64_e32 v[22:23], 1, v[22:23]
	s_wait_loadcnt 0x0
	v_cmp_ne_u16_e32 vcc_lo, v19, v20
	v_cmp_eq_u16_e64 s0, v19, v20
	s_or_b32 s1, vcc_lo, s1
	s_delay_alu instid0(SALU_CYCLE_1) | instskip(NEXT) | instid1(SALU_CYCLE_1)
	s_and_b32 s1, exec_lo, s1
	s_or_b32 s26, s1, s26
	s_and_not1_b32 s27, s27, exec_lo
	s_and_b32 s30, s0, exec_lo
	s_mov_b64 s[0:1], s[28:29]
	s_or_b32 s27, s27, s30
	s_and_not1_b32 exec_lo, exec_lo, s26
	s_cbranch_execnz .LBB196_90
; %bb.91:
	s_or_b32 exec_lo, exec_lo, s26
	s_xor_b32 s0, s27, -1
.LBB196_92:
	s_delay_alu instid0(SALU_CYCLE_1)
	s_and_b32 s0, s0, exec_lo
.LBB196_93:
	s_or_b32 exec_lo, exec_lo, s7
	v_cndmask_b32_e64 v17, 0, 1, s6
	v_cndmask_b32_e64 v30, 0, 1, s5
	;; [unrolled: 1-line block ×3, first 2 shown]
	v_or_b32_e32 v22, v24, v25
.LBB196_94:
	s_mov_b32 s6, -1
	s_cbranch_execnz .LBB196_39
.LBB196_95:
	v_cmp_gt_i64_e64 s7, s[18:19], 0
	s_wait_dscnt 0x0
	v_mad_i32_i24 v26, 0xffffffd0, v0, v28
	s_and_b32 vcc_lo, exec_lo, s17
	ds_store_b64 v26, v[14:15]
	s_cbranch_vccz .LBB196_110
; %bb.96:
	s_and_not1_b32 vcc_lo, exec_lo, s7
	s_cbranch_vccnz .LBB196_111
; %bb.97:
	v_mad_nc_u64_u32 v[16:17], v4, s18, s[8:9]
	s_wait_loadcnt 0x0
	v_mad_nc_u64_u32 v[20:21], v14, s18, s[8:9]
	s_add_nc_u64 s[4:5], s[18:19], -1
	s_mov_b32 s27, 0
	s_mov_b64 s[0:1], s[4:5]
                                        ; implicit-def: $sgpr26
	s_delay_alu instid0(VALU_DEP_2) | instskip(NEXT) | instid1(VALU_DEP_2)
	v_mad_u32 v17, v5, s18, v17
	v_mad_u32 v19, v15, s18, v21
	s_delay_alu instid0(VALU_DEP_2) | instskip(NEXT) | instid1(VALU_DEP_2)
	v_mad_u32 v17, v4, s19, v17
	v_mad_u32 v21, v14, s19, v19
	s_delay_alu instid0(VALU_DEP_2)
	v_mov_b64_e32 v[22:23], v[16:17]
.LBB196_98:                             ; =>This Inner Loop Header: Depth=1
	global_load_u8 v19, v[22:23], off
	global_load_u8 v24, v[20:21], off
	s_cmp_eq_u64 s[0:1], 0
	s_add_nc_u64 s[28:29], s[0:1], -1
	s_cselect_b32 s1, -1, 0
	s_wait_xcnt 0x1
	v_add_nc_u64_e32 v[22:23], 1, v[22:23]
	s_wait_xcnt 0x0
	v_add_nc_u64_e32 v[20:21], 1, v[20:21]
	s_wait_loadcnt 0x0
	v_cmp_ne_u16_e32 vcc_lo, v19, v24
	v_cmp_eq_u16_e64 s0, v19, v24
	s_or_b32 s1, vcc_lo, s1
	s_delay_alu instid0(SALU_CYCLE_1) | instskip(NEXT) | instid1(SALU_CYCLE_1)
	s_and_b32 s1, exec_lo, s1
	s_or_b32 s27, s1, s27
	s_and_not1_b32 s26, s26, exec_lo
	s_and_b32 s30, s0, exec_lo
	s_mov_b64 s[0:1], s[28:29]
	s_or_b32 s26, s26, s30
	s_and_not1_b32 exec_lo, exec_lo, s27
	s_cbranch_execnz .LBB196_98
; %bb.99:
	s_or_b32 exec_lo, exec_lo, s27
	v_mad_nc_u64_u32 v[20:21], v2, s18, s[8:9]
	s_mov_b32 s28, 0
	s_mov_b64 s[0:1], s[4:5]
                                        ; implicit-def: $sgpr27
	s_delay_alu instid0(VALU_DEP_1) | instskip(NEXT) | instid1(VALU_DEP_1)
	v_mad_u32 v19, v3, s18, v21
	v_mad_u32 v21, v2, s19, v19
	s_delay_alu instid0(VALU_DEP_1)
	v_mov_b64_e32 v[22:23], v[20:21]
.LBB196_100:                            ; =>This Inner Loop Header: Depth=1
	global_load_u8 v19, v[22:23], off
	global_load_u8 v24, v[16:17], off
	s_cmp_eq_u64 s[0:1], 0
	s_add_nc_u64 s[30:31], s[0:1], -1
	s_cselect_b32 s1, -1, 0
	s_wait_xcnt 0x1
	v_add_nc_u64_e32 v[22:23], 1, v[22:23]
	s_wait_xcnt 0x0
	v_add_nc_u64_e32 v[16:17], 1, v[16:17]
	s_wait_loadcnt 0x0
	v_cmp_ne_u16_e32 vcc_lo, v19, v24
	v_cmp_eq_u16_e64 s0, v19, v24
	s_or_b32 s1, vcc_lo, s1
	s_delay_alu instid0(SALU_CYCLE_1) | instskip(NEXT) | instid1(SALU_CYCLE_1)
	s_and_b32 s1, exec_lo, s1
	s_or_b32 s28, s1, s28
	s_and_not1_b32 s27, s27, exec_lo
	s_and_b32 s29, s0, exec_lo
	s_mov_b64 s[0:1], s[30:31]
	s_or_b32 s27, s27, s29
	s_and_not1_b32 exec_lo, exec_lo, s28
	s_cbranch_execnz .LBB196_100
; %bb.101:
	s_or_b32 exec_lo, exec_lo, s28
	v_mad_nc_u64_u32 v[16:17], v8, s18, s[8:9]
	s_mov_b32 s29, 0
	s_mov_b64 s[0:1], s[4:5]
                                        ; implicit-def: $sgpr28
	s_delay_alu instid0(VALU_DEP_1) | instskip(NEXT) | instid1(VALU_DEP_1)
	v_mad_u32 v17, v9, s18, v17
	v_mad_u32 v17, v8, s19, v17
	s_delay_alu instid0(VALU_DEP_1)
	v_mov_b64_e32 v[22:23], v[16:17]
.LBB196_102:                            ; =>This Inner Loop Header: Depth=1
	global_load_u8 v19, v[22:23], off
	global_load_u8 v24, v[20:21], off
	s_cmp_eq_u64 s[0:1], 0
	s_add_nc_u64 s[30:31], s[0:1], -1
	s_cselect_b32 s1, -1, 0
	s_wait_xcnt 0x1
	v_add_nc_u64_e32 v[22:23], 1, v[22:23]
	s_wait_xcnt 0x0
	v_add_nc_u64_e32 v[20:21], 1, v[20:21]
	s_wait_loadcnt 0x0
	v_cmp_ne_u16_e32 vcc_lo, v19, v24
	v_cmp_eq_u16_e64 s0, v19, v24
	s_or_b32 s1, vcc_lo, s1
	s_delay_alu instid0(SALU_CYCLE_1) | instskip(NEXT) | instid1(SALU_CYCLE_1)
	s_and_b32 s1, exec_lo, s1
	s_or_b32 s29, s1, s29
	s_and_not1_b32 s28, s28, exec_lo
	s_and_b32 s33, s0, exec_lo
	s_mov_b64 s[0:1], s[30:31]
	s_or_b32 s28, s28, s33
	s_and_not1_b32 exec_lo, exec_lo, s29
	s_cbranch_execnz .LBB196_102
; %bb.103:
	s_or_b32 exec_lo, exec_lo, s29
	v_mad_nc_u64_u32 v[20:21], v6, s18, s[8:9]
	s_mov_b32 s30, 0
	s_mov_b64 s[0:1], s[4:5]
                                        ; implicit-def: $sgpr29
	s_delay_alu instid0(VALU_DEP_1) | instskip(NEXT) | instid1(VALU_DEP_1)
	v_mad_u32 v19, v7, s18, v21
	v_mad_u32 v21, v6, s19, v19
	s_delay_alu instid0(VALU_DEP_1)
	v_mov_b64_e32 v[22:23], v[20:21]
.LBB196_104:                            ; =>This Inner Loop Header: Depth=1
	global_load_u8 v19, v[22:23], off
	global_load_u8 v24, v[16:17], off
	s_cmp_eq_u64 s[0:1], 0
	s_add_nc_u64 s[34:35], s[0:1], -1
	s_cselect_b32 s1, -1, 0
	s_wait_xcnt 0x1
	v_add_nc_u64_e32 v[22:23], 1, v[22:23]
	s_wait_xcnt 0x0
	v_add_nc_u64_e32 v[16:17], 1, v[16:17]
	s_wait_loadcnt 0x0
	v_cmp_ne_u16_e32 vcc_lo, v19, v24
	v_cmp_eq_u16_e64 s0, v19, v24
	s_or_b32 s1, vcc_lo, s1
	s_delay_alu instid0(SALU_CYCLE_1) | instskip(NEXT) | instid1(SALU_CYCLE_1)
	s_and_b32 s1, exec_lo, s1
	s_or_b32 s30, s1, s30
	s_and_not1_b32 s29, s29, exec_lo
	s_and_b32 s31, s0, exec_lo
	s_mov_b64 s[0:1], s[34:35]
	s_or_b32 s29, s29, s31
	s_and_not1_b32 exec_lo, exec_lo, s30
	s_cbranch_execnz .LBB196_104
; %bb.105:
	s_or_b32 exec_lo, exec_lo, s30
	v_mad_nc_u64_u32 v[16:17], v12, s18, s[8:9]
	s_mov_b32 s31, 0
	s_mov_b64 s[0:1], s[4:5]
                                        ; implicit-def: $sgpr30
	s_delay_alu instid0(VALU_DEP_1) | instskip(NEXT) | instid1(VALU_DEP_1)
	v_mad_u32 v17, v13, s18, v17
	v_mad_u32 v17, v12, s19, v17
	s_delay_alu instid0(VALU_DEP_1)
	v_mov_b64_e32 v[22:23], v[16:17]
.LBB196_106:                            ; =>This Inner Loop Header: Depth=1
	global_load_u8 v19, v[22:23], off
	global_load_u8 v24, v[20:21], off
	s_cmp_eq_u64 s[0:1], 0
	s_add_nc_u64 s[34:35], s[0:1], -1
	s_cselect_b32 s1, -1, 0
	s_wait_xcnt 0x1
	v_add_nc_u64_e32 v[22:23], 1, v[22:23]
	s_wait_xcnt 0x0
	v_add_nc_u64_e32 v[20:21], 1, v[20:21]
	s_wait_loadcnt 0x0
	v_cmp_ne_u16_e32 vcc_lo, v19, v24
	v_cmp_eq_u16_e64 s0, v19, v24
	s_or_b32 s1, vcc_lo, s1
	s_delay_alu instid0(SALU_CYCLE_1) | instskip(NEXT) | instid1(SALU_CYCLE_1)
	s_and_b32 s1, exec_lo, s1
	s_or_b32 s31, s1, s31
	s_and_not1_b32 s30, s30, exec_lo
	s_and_b32 s33, s0, exec_lo
	s_mov_b64 s[0:1], s[34:35]
	s_or_b32 s30, s30, s33
	s_and_not1_b32 exec_lo, exec_lo, s31
	s_cbranch_execnz .LBB196_106
; %bb.107:
	s_or_b32 exec_lo, exec_lo, s31
	v_mad_nc_u64_u32 v[20:21], v10, s18, s[8:9]
	s_mov_b32 s31, 0
                                        ; implicit-def: $sgpr1
	s_delay_alu instid0(VALU_DEP_1) | instskip(NEXT) | instid1(VALU_DEP_1)
	v_mad_u32 v19, v11, s18, v21
	v_mad_u32 v21, v10, s19, v19
.LBB196_108:                            ; =>This Inner Loop Header: Depth=1
	global_load_u8 v19, v[20:21], off
	global_load_u8 v22, v[16:17], off
	s_cmp_eq_u64 s[4:5], 0
	s_add_nc_u64 s[34:35], s[4:5], -1
	s_cselect_b32 s4, -1, 0
	s_wait_xcnt 0x1
	v_add_nc_u64_e32 v[20:21], 1, v[20:21]
	s_wait_xcnt 0x0
	v_add_nc_u64_e32 v[16:17], 1, v[16:17]
	s_wait_loadcnt 0x0
	v_cmp_ne_u16_e32 vcc_lo, v19, v22
	v_cmp_eq_u16_e64 s0, v19, v22
	s_or_b32 s4, vcc_lo, s4
	s_delay_alu instid0(SALU_CYCLE_1) | instskip(NEXT) | instid1(SALU_CYCLE_1)
	s_and_b32 s4, exec_lo, s4
	s_or_b32 s31, s4, s31
	s_and_not1_b32 s1, s1, exec_lo
	s_and_b32 s0, s0, exec_lo
	s_mov_b64 s[4:5], s[34:35]
	s_or_b32 s1, s1, s0
	s_and_not1_b32 exec_lo, exec_lo, s31
	s_cbranch_execnz .LBB196_108
; %bb.109:
	s_or_b32 exec_lo, exec_lo, s31
	s_xor_b32 s0, s29, -1
	s_delay_alu instid0(SALU_CYCLE_1) | instskip(SKIP_1) | instid1(SALU_CYCLE_1)
	v_cndmask_b32_e64 v16, 0, 1, s0
	s_xor_b32 s0, s30, -1
	v_cndmask_b32_e64 v17, 0, 1, s0
	s_xor_b32 s0, s27, -1
	s_delay_alu instid0(VALU_DEP_2) | instskip(SKIP_2) | instid1(SALU_CYCLE_1)
	v_lshlrev_b16 v16, 8, v16
	v_cndmask_b32_e64 v30, 0, 1, s0
	s_xor_b32 s0, s26, -1
	v_cndmask_b32_e64 v19, 0, 1, s0
	s_delay_alu instid0(VALU_DEP_3) | instskip(SKIP_1) | instid1(VALU_DEP_1)
	v_lshrrev_b32_e32 v16, 8, v16
	s_xor_b32 s0, s28, -1
	v_and_b32_e32 v16, 1, v16
	s_delay_alu instid0(VALU_DEP_1) | instskip(NEXT) | instid1(VALU_DEP_1)
	v_lshlrev_b16 v16, 8, v16
	v_or_b32_e32 v16, v17, v16
	v_cndmask_b32_e64 v17, 0, 1, s0
	s_xor_b32 s0, s1, -1
	s_delay_alu instid0(VALU_DEP_2)
	v_lshlrev_b32_e32 v16, 16, v16
	s_branch .LBB196_112
.LBB196_110:
                                        ; implicit-def: $sgpr0
                                        ; implicit-def: $vgpr19
                                        ; implicit-def: $vgpr30
                                        ; implicit-def: $vgpr17
                                        ; implicit-def: $vgpr22
                                        ; implicit-def: $vgpr32
                                        ; implicit-def: $vgpr31
                                        ; implicit-def: $vgpr20
	s_cbranch_execnz .LBB196_119
	s_branch .LBB196_164
.LBB196_111:
	v_dual_mov_b32 v16, 0 :: v_dual_mov_b32 v19, 0
	v_dual_mov_b32 v30, 0 :: v_dual_mov_b32 v17, 0
	s_mov_b32 s0, 0
.LBB196_112:
	s_wait_loadcnt 0x0
	s_delay_alu instid0(VALU_DEP_1)
	v_dual_lshrrev_b32 v31, 16, v16 :: v_dual_lshrrev_b32 v20, 24, v16
	v_cndmask_b32_e64 v32, 0, 1, s0
	v_mov_b32_e32 v16, 1
	s_wait_dscnt 0x0
	s_barrier_signal -1
	s_barrier_wait -1
                                        ; implicit-def: $sgpr0
                                        ; implicit-def: $vgpr22
	s_and_saveexec_b32 s1, s3
	s_delay_alu instid0(SALU_CYCLE_1)
	s_xor_b32 s4, exec_lo, s1
	s_cbranch_execz .LBB196_118
; %bb.113:
	v_lshlrev_b16 v21, 8, v20
	v_lshlrev_b16 v22, 8, v32
	s_and_not1_b32 vcc_lo, exec_lo, s7
	s_mov_b32 s0, 0
	s_delay_alu instid0(VALU_DEP_2) | instskip(NEXT) | instid1(VALU_DEP_1)
	v_bitop3_b16 v21, v31, v21, 0xff bitop3:0xec
	v_dual_lshlrev_b32 v21, 16, v21 :: v_dual_bitop2_b32 v22, 1, v22 bitop3:0x54
	s_delay_alu instid0(VALU_DEP_1) | instskip(NEXT) | instid1(VALU_DEP_1)
	v_and_b32_e32 v22, 0xffff, v22
	v_or_b32_e32 v21, v22, v21
	s_cbranch_vccnz .LBB196_117
; %bb.114:
	v_add_nc_u32_e32 v22, -8, v26
	v_mad_nc_u64_u32 v[24:25], v10, s18, s[8:9]
	s_add_nc_u64 s[0:1], s[18:19], -1
	s_mov_b32 s5, 0
                                        ; implicit-def: $sgpr26
	ds_load_b64 v[28:29], v22
	v_mad_u32 v25, v11, s18, v25
	s_delay_alu instid0(VALU_DEP_1) | instskip(SKIP_2) | instid1(VALU_DEP_1)
	v_mad_u32 v25, v10, s19, v25
	s_wait_dscnt 0x0
	v_mad_nc_u64_u32 v[22:23], v28, s18, s[8:9]
	v_mad_u32 v23, v29, s18, v23
	s_delay_alu instid0(VALU_DEP_1)
	v_mad_u32 v23, v28, s19, v23
.LBB196_115:                            ; =>This Inner Loop Header: Depth=1
	global_load_u8 v27, v[22:23], off
	global_load_u8 v28, v[24:25], off
	s_cmp_eq_u64 s[0:1], 0
	s_add_nc_u64 s[28:29], s[0:1], -1
	s_cselect_b32 s1, -1, 0
	s_wait_xcnt 0x1
	v_add_nc_u64_e32 v[22:23], 1, v[22:23]
	s_wait_xcnt 0x0
	v_add_nc_u64_e32 v[24:25], 1, v[24:25]
	s_wait_loadcnt 0x0
	v_cmp_ne_u16_e32 vcc_lo, v27, v28
	v_cmp_eq_u16_e64 s0, v27, v28
	s_or_b32 s1, vcc_lo, s1
	s_delay_alu instid0(SALU_CYCLE_1) | instskip(NEXT) | instid1(SALU_CYCLE_1)
	s_and_b32 s1, exec_lo, s1
	s_or_b32 s5, s1, s5
	s_and_not1_b32 s26, s26, exec_lo
	s_and_b32 s27, s0, exec_lo
	s_mov_b64 s[0:1], s[28:29]
	s_or_b32 s26, s26, s27
	s_and_not1_b32 exec_lo, exec_lo, s5
	s_cbranch_execnz .LBB196_115
; %bb.116:
	s_or_b32 exec_lo, exec_lo, s5
	s_xor_b32 s0, s26, -1
.LBB196_117:
	s_delay_alu instid0(VALU_DEP_1)
	v_perm_b32 v22, v21, v21, 0x3020104
	s_or_b32 s6, s6, exec_lo
.LBB196_118:
	s_or_b32 exec_lo, exec_lo, s4
	s_branch .LBB196_164
.LBB196_119:
	v_add_nc_u32_e32 v16, 6, v1
	s_mov_b32 s5, 0
	s_mov_b32 s4, 0
	s_mov_b32 s26, exec_lo
	s_wait_xcnt 0x0
	v_cmpx_gt_u32_e64 s23, v16
	s_cbranch_execz .LBB196_125
; %bb.120:
	s_and_not1_b32 vcc_lo, exec_lo, s7
	s_mov_b32 s0, 0
	s_cbranch_vccnz .LBB196_124
; %bb.121:
	v_mad_nc_u64_u32 v[16:17], v4, s18, s[8:9]
	s_wait_loadcnt 0x0
	v_mad_nc_u64_u32 v[20:21], v14, s18, s[8:9]
	s_add_nc_u64 s[0:1], s[18:19], -1
                                        ; implicit-def: $sgpr27
	s_delay_alu instid0(VALU_DEP_2) | instskip(NEXT) | instid1(VALU_DEP_2)
	v_mad_u32 v17, v5, s18, v17
	v_mad_u32 v19, v15, s18, v21
	s_delay_alu instid0(VALU_DEP_2) | instskip(NEXT) | instid1(VALU_DEP_2)
	v_mad_u32 v17, v4, s19, v17
	v_mad_u32 v21, v14, s19, v19
.LBB196_122:                            ; =>This Inner Loop Header: Depth=1
	global_load_u8 v19, v[16:17], off
	global_load_u8 v22, v[20:21], off
	s_cmp_eq_u64 s[0:1], 0
	s_add_nc_u64 s[28:29], s[0:1], -1
	s_cselect_b32 s1, -1, 0
	s_wait_xcnt 0x1
	v_add_nc_u64_e32 v[16:17], 1, v[16:17]
	s_wait_xcnt 0x0
	v_add_nc_u64_e32 v[20:21], 1, v[20:21]
	s_wait_loadcnt 0x0
	v_cmp_ne_u16_e32 vcc_lo, v19, v22
	v_cmp_eq_u16_e64 s0, v19, v22
	s_or_b32 s1, vcc_lo, s1
	s_delay_alu instid0(SALU_CYCLE_1) | instskip(NEXT) | instid1(SALU_CYCLE_1)
	s_and_b32 s1, exec_lo, s1
	s_or_b32 s4, s1, s4
	s_and_not1_b32 s27, s27, exec_lo
	s_and_b32 s30, s0, exec_lo
	s_mov_b64 s[0:1], s[28:29]
	s_or_b32 s27, s27, s30
	s_and_not1_b32 exec_lo, exec_lo, s4
	s_cbranch_execnz .LBB196_122
; %bb.123:
	s_or_b32 exec_lo, exec_lo, s4
	s_xor_b32 s0, s27, -1
.LBB196_124:
	s_delay_alu instid0(SALU_CYCLE_1)
	s_and_b32 s4, s0, exec_lo
.LBB196_125:
	s_or_b32 exec_lo, exec_lo, s26
	v_add_nc_u32_e32 v16, 5, v1
	s_mov_b32 s26, exec_lo
	s_delay_alu instid0(VALU_DEP_1)
	v_cmpx_gt_u32_e64 s23, v16
	s_cbranch_execz .LBB196_131
; %bb.126:
	s_and_not1_b32 vcc_lo, exec_lo, s7
	s_mov_b32 s0, 0
	s_cbranch_vccnz .LBB196_130
; %bb.127:
	v_mad_nc_u64_u32 v[16:17], v2, s18, s[8:9]
	s_wait_loadcnt 0x0
	v_mad_nc_u64_u32 v[20:21], v4, s18, s[8:9]
	s_add_nc_u64 s[0:1], s[18:19], -1
	s_mov_b32 s5, 0
                                        ; implicit-def: $sgpr27
	s_delay_alu instid0(VALU_DEP_2) | instskip(NEXT) | instid1(VALU_DEP_2)
	v_mad_u32 v17, v3, s18, v17
	v_mad_u32 v19, v5, s18, v21
	s_delay_alu instid0(VALU_DEP_2) | instskip(NEXT) | instid1(VALU_DEP_2)
	v_mad_u32 v17, v2, s19, v17
	v_mad_u32 v21, v4, s19, v19
.LBB196_128:                            ; =>This Inner Loop Header: Depth=1
	global_load_u8 v19, v[16:17], off
	global_load_u8 v22, v[20:21], off
	s_cmp_eq_u64 s[0:1], 0
	s_add_nc_u64 s[28:29], s[0:1], -1
	s_cselect_b32 s1, -1, 0
	s_wait_xcnt 0x1
	v_add_nc_u64_e32 v[16:17], 1, v[16:17]
	s_wait_xcnt 0x0
	v_add_nc_u64_e32 v[20:21], 1, v[20:21]
	s_wait_loadcnt 0x0
	v_cmp_ne_u16_e32 vcc_lo, v19, v22
	v_cmp_eq_u16_e64 s0, v19, v22
	s_or_b32 s1, vcc_lo, s1
	s_delay_alu instid0(SALU_CYCLE_1) | instskip(NEXT) | instid1(SALU_CYCLE_1)
	s_and_b32 s1, exec_lo, s1
	s_or_b32 s5, s1, s5
	s_and_not1_b32 s27, s27, exec_lo
	s_and_b32 s30, s0, exec_lo
	s_mov_b64 s[0:1], s[28:29]
	s_or_b32 s27, s27, s30
	s_and_not1_b32 exec_lo, exec_lo, s5
	s_cbranch_execnz .LBB196_128
; %bb.129:
	s_or_b32 exec_lo, exec_lo, s5
	s_xor_b32 s0, s27, -1
.LBB196_130:
	s_delay_alu instid0(SALU_CYCLE_1)
	s_and_b32 s5, s0, exec_lo
.LBB196_131:
	s_or_b32 exec_lo, exec_lo, s26
	v_add_nc_u32_e32 v16, 4, v1
	s_mov_b32 s26, 0
	s_mov_b32 s27, 0
	s_mov_b32 s28, exec_lo
	s_delay_alu instid0(VALU_DEP_1)
	v_cmpx_gt_u32_e64 s23, v16
	s_cbranch_execz .LBB196_137
; %bb.132:
	s_and_not1_b32 vcc_lo, exec_lo, s7
	s_mov_b32 s0, 0
	s_cbranch_vccnz .LBB196_136
; %bb.133:
	v_mad_nc_u64_u32 v[16:17], v8, s18, s[8:9]
	s_wait_loadcnt 0x0
	v_mad_nc_u64_u32 v[20:21], v2, s18, s[8:9]
	s_add_nc_u64 s[0:1], s[18:19], -1
                                        ; implicit-def: $sgpr29
	s_delay_alu instid0(VALU_DEP_2) | instskip(NEXT) | instid1(VALU_DEP_2)
	v_mad_u32 v17, v9, s18, v17
	v_mad_u32 v19, v3, s18, v21
	s_delay_alu instid0(VALU_DEP_2) | instskip(NEXT) | instid1(VALU_DEP_2)
	v_mad_u32 v17, v8, s19, v17
	v_mad_u32 v21, v2, s19, v19
.LBB196_134:                            ; =>This Inner Loop Header: Depth=1
	global_load_u8 v19, v[16:17], off
	global_load_u8 v22, v[20:21], off
	s_cmp_eq_u64 s[0:1], 0
	s_add_nc_u64 s[30:31], s[0:1], -1
	s_cselect_b32 s1, -1, 0
	s_wait_xcnt 0x1
	v_add_nc_u64_e32 v[16:17], 1, v[16:17]
	s_wait_xcnt 0x0
	v_add_nc_u64_e32 v[20:21], 1, v[20:21]
	s_wait_loadcnt 0x0
	v_cmp_ne_u16_e32 vcc_lo, v19, v22
	v_cmp_eq_u16_e64 s0, v19, v22
	s_or_b32 s1, vcc_lo, s1
	s_delay_alu instid0(SALU_CYCLE_1) | instskip(NEXT) | instid1(SALU_CYCLE_1)
	s_and_b32 s1, exec_lo, s1
	s_or_b32 s27, s1, s27
	s_and_not1_b32 s29, s29, exec_lo
	s_and_b32 s33, s0, exec_lo
	s_mov_b64 s[0:1], s[30:31]
	s_or_b32 s29, s29, s33
	s_and_not1_b32 exec_lo, exec_lo, s27
	s_cbranch_execnz .LBB196_134
; %bb.135:
	s_or_b32 exec_lo, exec_lo, s27
	s_xor_b32 s0, s29, -1
.LBB196_136:
	s_delay_alu instid0(SALU_CYCLE_1)
	s_and_b32 s27, s0, exec_lo
.LBB196_137:
	s_or_b32 exec_lo, exec_lo, s28
	v_add_nc_u32_e32 v16, 3, v1
	s_mov_b32 s28, exec_lo
	s_delay_alu instid0(VALU_DEP_1)
	v_cmpx_gt_u32_e64 s23, v16
	s_cbranch_execz .LBB196_143
; %bb.138:
	s_and_not1_b32 vcc_lo, exec_lo, s7
	s_mov_b32 s0, 0
	s_cbranch_vccnz .LBB196_142
; %bb.139:
	v_mad_nc_u64_u32 v[16:17], v6, s18, s[8:9]
	s_wait_loadcnt 0x0
	v_mad_nc_u64_u32 v[20:21], v8, s18, s[8:9]
	s_add_nc_u64 s[0:1], s[18:19], -1
	s_mov_b32 s26, 0
                                        ; implicit-def: $sgpr29
	s_delay_alu instid0(VALU_DEP_2) | instskip(NEXT) | instid1(VALU_DEP_2)
	v_mad_u32 v17, v7, s18, v17
	v_mad_u32 v19, v9, s18, v21
	s_delay_alu instid0(VALU_DEP_2) | instskip(NEXT) | instid1(VALU_DEP_2)
	v_mad_u32 v17, v6, s19, v17
	v_mad_u32 v21, v8, s19, v19
.LBB196_140:                            ; =>This Inner Loop Header: Depth=1
	global_load_u8 v19, v[16:17], off
	global_load_u8 v22, v[20:21], off
	s_cmp_eq_u64 s[0:1], 0
	s_add_nc_u64 s[30:31], s[0:1], -1
	s_cselect_b32 s1, -1, 0
	s_wait_xcnt 0x1
	v_add_nc_u64_e32 v[16:17], 1, v[16:17]
	s_wait_xcnt 0x0
	v_add_nc_u64_e32 v[20:21], 1, v[20:21]
	s_wait_loadcnt 0x0
	v_cmp_ne_u16_e32 vcc_lo, v19, v22
	v_cmp_eq_u16_e64 s0, v19, v22
	s_or_b32 s1, vcc_lo, s1
	s_delay_alu instid0(SALU_CYCLE_1) | instskip(NEXT) | instid1(SALU_CYCLE_1)
	s_and_b32 s1, exec_lo, s1
	s_or_b32 s26, s1, s26
	s_and_not1_b32 s29, s29, exec_lo
	s_and_b32 s33, s0, exec_lo
	s_mov_b64 s[0:1], s[30:31]
	s_or_b32 s29, s29, s33
	s_and_not1_b32 exec_lo, exec_lo, s26
	s_cbranch_execnz .LBB196_140
; %bb.141:
	s_or_b32 exec_lo, exec_lo, s26
	s_xor_b32 s0, s29, -1
.LBB196_142:
	s_delay_alu instid0(SALU_CYCLE_1)
	s_and_b32 s26, s0, exec_lo
.LBB196_143:
	s_or_b32 exec_lo, exec_lo, s28
	v_add_nc_u32_e32 v16, 2, v1
	s_mov_b32 s28, 0
	s_mov_b32 s29, 0
	s_mov_b32 s30, exec_lo
	s_delay_alu instid0(VALU_DEP_1)
	v_cmpx_gt_u32_e64 s23, v16
	s_cbranch_execz .LBB196_149
; %bb.144:
	s_and_not1_b32 vcc_lo, exec_lo, s7
	s_mov_b32 s0, 0
	s_cbranch_vccnz .LBB196_148
; %bb.145:
	v_mad_nc_u64_u32 v[16:17], v12, s18, s[8:9]
	s_wait_loadcnt 0x0
	v_mad_nc_u64_u32 v[20:21], v6, s18, s[8:9]
	s_add_nc_u64 s[0:1], s[18:19], -1
                                        ; implicit-def: $sgpr31
	s_delay_alu instid0(VALU_DEP_2) | instskip(NEXT) | instid1(VALU_DEP_2)
	v_mad_u32 v17, v13, s18, v17
	v_mad_u32 v19, v7, s18, v21
	s_delay_alu instid0(VALU_DEP_2) | instskip(NEXT) | instid1(VALU_DEP_2)
	v_mad_u32 v17, v12, s19, v17
	v_mad_u32 v21, v6, s19, v19
.LBB196_146:                            ; =>This Inner Loop Header: Depth=1
	global_load_u8 v19, v[16:17], off
	global_load_u8 v22, v[20:21], off
	s_cmp_eq_u64 s[0:1], 0
	s_add_nc_u64 s[34:35], s[0:1], -1
	s_cselect_b32 s1, -1, 0
	s_wait_xcnt 0x1
	v_add_nc_u64_e32 v[16:17], 1, v[16:17]
	s_wait_xcnt 0x0
	v_add_nc_u64_e32 v[20:21], 1, v[20:21]
	s_wait_loadcnt 0x0
	v_cmp_ne_u16_e32 vcc_lo, v19, v22
	v_cmp_eq_u16_e64 s0, v19, v22
	s_or_b32 s1, vcc_lo, s1
	s_delay_alu instid0(SALU_CYCLE_1) | instskip(NEXT) | instid1(SALU_CYCLE_1)
	s_and_b32 s1, exec_lo, s1
	s_or_b32 s29, s1, s29
	s_and_not1_b32 s31, s31, exec_lo
	s_and_b32 s33, s0, exec_lo
	s_mov_b64 s[0:1], s[34:35]
	s_or_b32 s31, s31, s33
	s_and_not1_b32 exec_lo, exec_lo, s29
	s_cbranch_execnz .LBB196_146
; %bb.147:
	s_or_b32 exec_lo, exec_lo, s29
	s_xor_b32 s0, s31, -1
.LBB196_148:
	s_delay_alu instid0(SALU_CYCLE_1)
	s_and_b32 s29, s0, exec_lo
.LBB196_149:
	s_or_b32 exec_lo, exec_lo, s30
	v_add_nc_u32_e32 v16, 1, v1
	s_mov_b32 s30, exec_lo
	s_delay_alu instid0(VALU_DEP_1)
	v_cmpx_gt_u32_e64 s23, v16
	s_cbranch_execz .LBB196_155
; %bb.150:
	s_and_not1_b32 vcc_lo, exec_lo, s7
	s_mov_b32 s0, 0
	s_cbranch_vccnz .LBB196_154
; %bb.151:
	v_mad_nc_u64_u32 v[16:17], v10, s18, s[8:9]
	s_wait_loadcnt 0x0
	v_mad_nc_u64_u32 v[20:21], v12, s18, s[8:9]
	s_add_nc_u64 s[0:1], s[18:19], -1
	s_mov_b32 s28, 0
                                        ; implicit-def: $sgpr31
	s_delay_alu instid0(VALU_DEP_2) | instskip(NEXT) | instid1(VALU_DEP_2)
	v_mad_u32 v17, v11, s18, v17
	v_mad_u32 v19, v13, s18, v21
	s_delay_alu instid0(VALU_DEP_2) | instskip(NEXT) | instid1(VALU_DEP_2)
	v_mad_u32 v17, v10, s19, v17
	v_mad_u32 v21, v12, s19, v19
.LBB196_152:                            ; =>This Inner Loop Header: Depth=1
	global_load_u8 v19, v[16:17], off
	global_load_u8 v22, v[20:21], off
	s_cmp_eq_u64 s[0:1], 0
	s_add_nc_u64 s[34:35], s[0:1], -1
	s_cselect_b32 s1, -1, 0
	s_wait_xcnt 0x1
	v_add_nc_u64_e32 v[16:17], 1, v[16:17]
	s_wait_xcnt 0x0
	v_add_nc_u64_e32 v[20:21], 1, v[20:21]
	s_wait_loadcnt 0x0
	v_cmp_ne_u16_e32 vcc_lo, v19, v22
	v_cmp_eq_u16_e64 s0, v19, v22
	s_or_b32 s1, vcc_lo, s1
	s_delay_alu instid0(SALU_CYCLE_1) | instskip(NEXT) | instid1(SALU_CYCLE_1)
	s_and_b32 s1, exec_lo, s1
	s_or_b32 s28, s1, s28
	s_and_not1_b32 s31, s31, exec_lo
	s_and_b32 s33, s0, exec_lo
	s_mov_b64 s[0:1], s[34:35]
	s_or_b32 s31, s31, s33
	s_and_not1_b32 exec_lo, exec_lo, s28
	s_cbranch_execnz .LBB196_152
; %bb.153:
	s_or_b32 exec_lo, exec_lo, s28
	s_xor_b32 s0, s31, -1
.LBB196_154:
	s_delay_alu instid0(SALU_CYCLE_1)
	s_and_b32 s28, s0, exec_lo
.LBB196_155:
	s_or_b32 exec_lo, exec_lo, s30
	v_cndmask_b32_e64 v17, 0, 1, s27
	v_cndmask_b32_e64 v30, 0, 1, s5
	;; [unrolled: 1-line block ×4, first 2 shown]
	s_wait_loadcnt 0x0
	v_cndmask_b32_e64 v20, 0, 1, s26
	v_cndmask_b32_e64 v32, 0, 1, s28
	v_mov_b32_e32 v16, 1
	s_wait_dscnt 0x0
	s_barrier_signal -1
	s_barrier_wait -1
                                        ; implicit-def: $sgpr0
                                        ; implicit-def: $vgpr22
	s_and_saveexec_b32 s4, s3
	s_cbranch_execz .LBB196_163
; %bb.156:
	v_lshlrev_b16 v21, 8, v32
	v_lshlrev_b16 v22, 8, v20
	s_mov_b32 s0, 0
	s_mov_b32 s3, exec_lo
	s_delay_alu instid0(VALU_DEP_1) | instskip(NEXT) | instid1(VALU_DEP_1)
	v_or_b32_e32 v22, v31, v22
	v_dual_lshlrev_b32 v22, 16, v22 :: v_dual_bitop2_b32 v21, 1, v21 bitop3:0x54
	s_delay_alu instid0(VALU_DEP_1) | instskip(NEXT) | instid1(VALU_DEP_1)
	v_and_b32_e32 v21, 0xffff, v21
	v_or_b32_e32 v21, v21, v22
	v_cmpx_gt_u32_e64 s23, v1
	s_cbranch_execz .LBB196_162
; %bb.157:
	s_and_not1_b32 vcc_lo, exec_lo, s7
	s_cbranch_vccnz .LBB196_161
; %bb.158:
	v_add_nc_u32_e32 v22, -8, v26
	v_mad_nc_u64_u32 v[24:25], v10, s18, s[8:9]
	s_add_nc_u64 s[0:1], s[18:19], -1
	s_mov_b32 s5, 0
                                        ; implicit-def: $sgpr7
	ds_load_b64 v[26:27], v22
	v_mad_u32 v25, v11, s18, v25
	s_delay_alu instid0(VALU_DEP_1) | instskip(SKIP_2) | instid1(VALU_DEP_1)
	v_mad_u32 v25, v10, s19, v25
	s_wait_dscnt 0x0
	v_mad_nc_u64_u32 v[22:23], v26, s18, s[8:9]
	v_mad_u32 v23, v27, s18, v23
	s_delay_alu instid0(VALU_DEP_1)
	v_mad_u32 v23, v26, s19, v23
.LBB196_159:                            ; =>This Inner Loop Header: Depth=1
	global_load_u8 v26, v[22:23], off
	global_load_u8 v27, v[24:25], off
	s_cmp_eq_u64 s[0:1], 0
	s_add_nc_u64 s[8:9], s[0:1], -1
	s_cselect_b32 s1, -1, 0
	s_wait_xcnt 0x1
	v_add_nc_u64_e32 v[22:23], 1, v[22:23]
	s_wait_xcnt 0x0
	v_add_nc_u64_e32 v[24:25], 1, v[24:25]
	s_wait_loadcnt 0x0
	v_cmp_ne_u16_e32 vcc_lo, v26, v27
	v_cmp_eq_u16_e64 s0, v26, v27
	s_or_b32 s1, vcc_lo, s1
	s_delay_alu instid0(SALU_CYCLE_1) | instskip(NEXT) | instid1(SALU_CYCLE_1)
	s_and_b32 s1, exec_lo, s1
	s_or_b32 s5, s1, s5
	s_and_not1_b32 s7, s7, exec_lo
	s_and_b32 s18, s0, exec_lo
	s_mov_b64 s[0:1], s[8:9]
	s_or_b32 s7, s7, s18
	s_and_not1_b32 exec_lo, exec_lo, s5
	s_cbranch_execnz .LBB196_159
; %bb.160:
	s_or_b32 exec_lo, exec_lo, s5
	s_xor_b32 s0, s7, -1
.LBB196_161:
	s_delay_alu instid0(SALU_CYCLE_1)
	s_and_b32 s0, s0, exec_lo
.LBB196_162:
	s_or_b32 exec_lo, exec_lo, s3
	s_delay_alu instid0(VALU_DEP_2)
	v_perm_b32 v22, v21, v21, 0x3020104
	s_or_b32 s6, s6, exec_lo
.LBB196_163:
	s_or_b32 exec_lo, exec_lo, s4
.LBB196_164:
	s_wait_xcnt 0x0
	s_and_saveexec_b32 s1, s6
	s_cbranch_execz .LBB196_166
; %bb.165:
	s_wait_loadcnt_dscnt 0x0
	v_dual_lshrrev_b32 v20, 24, v22 :: v_dual_lshrrev_b32 v31, 16, v22
	v_lshrrev_b32_e32 v32, 8, v22
	v_cndmask_b32_e64 v16, 0, 1, s0
.LBB196_166:
	s_or_b32 exec_lo, exec_lo, s1
	s_delay_alu instid0(SALU_CYCLE_1)
	s_and_not1_b32 vcc_lo, exec_lo, s24
	s_cbranch_vccnz .LBB196_170
; %bb.167:
	s_delay_alu instid0(VALU_DEP_1)
	v_perm_b32 v16, v16, v32, 0xc0c0004
	s_wait_loadcnt_dscnt 0x0
	v_perm_b32 v20, v31, v20, 0xc0c0004
	v_cmp_gt_u32_e32 vcc_lo, s23, v1
	v_and_b32_e32 v19, 0xff, v19
	v_perm_b32 v17, v17, v30, 0xc0c0004
	v_add_nc_u32_e32 v21, 1, v1
	v_lshl_or_b32 v16, v20, 16, v16
	s_delay_alu instid0(VALU_DEP_4) | instskip(NEXT) | instid1(VALU_DEP_2)
	v_dual_add_nc_u32 v22, 4, v1 :: v_dual_lshlrev_b32 v19, 16, v19
	v_cndmask_b32_e32 v20, 0, v16, vcc_lo
	s_delay_alu instid0(VALU_DEP_4) | instskip(SKIP_1) | instid1(VALU_DEP_3)
	v_cmp_gt_u32_e32 vcc_lo, s23, v21
	v_add_nc_u32_e32 v21, 2, v1
	v_and_b32_e32 v20, 0xff, v20
	s_delay_alu instid0(VALU_DEP_1) | instskip(NEXT) | instid1(VALU_DEP_3)
	v_cndmask_b32_e32 v20, v20, v16, vcc_lo
	v_cmp_gt_u32_e32 vcc_lo, s23, v21
	s_delay_alu instid0(VALU_DEP_2) | instskip(SKIP_2) | instid1(VALU_DEP_3)
	v_and_b32_e32 v20, 0xffff, v20
	v_or_b32_e32 v23, v17, v19
	v_bitop3_b32 v17, v17, 0xffff00, v19 bitop3:0xc8
	v_cndmask_b32_e32 v19, v20, v16, vcc_lo
	v_cmp_gt_u32_e32 vcc_lo, s23, v22
	v_add_nc_u32_e32 v20, 5, v1
	s_delay_alu instid0(VALU_DEP_3) | instskip(SKIP_1) | instid1(VALU_DEP_3)
	v_and_b32_e32 v19, 0xffffff, v19
	v_dual_add_nc_u32 v21, 3, v1 :: v_dual_cndmask_b32 v17, v17, v23, vcc_lo
	v_cmp_gt_u32_e64 s0, s23, v20
	s_delay_alu instid0(VALU_DEP_2) | instskip(NEXT) | instid1(VALU_DEP_3)
	v_cmp_gt_u32_e64 s1, s23, v21
	v_and_b32_e32 v17, 0xffff00ff, v17
	s_or_b32 vcc_lo, s0, vcc_lo
	s_delay_alu instid0(VALU_DEP_1) | instskip(SKIP_1) | instid1(VALU_DEP_1)
	v_dual_cndmask_b32 v19, v19, v16, s1 :: v_dual_cndmask_b32 v17, v17, v23, s0
	s_mov_b32 s0, exec_lo
	v_dual_cndmask_b32 v16, v19, v16 :: v_dual_add_nc_u32 v1, 6, v1
	s_delay_alu instid0(VALU_DEP_2) | instskip(NEXT) | instid1(VALU_DEP_2)
	v_dual_lshrrev_b32 v30, 8, v17 :: v_dual_lshrrev_b32 v19, 16, v17
	v_lshrrev_b32_e32 v32, 8, v16
	v_lshrrev_b64 v[20:21], 24, v[16:17]
	v_lshrrev_b32_e32 v31, 16, v16
	v_cmpx_le_u32_e64 s23, v1
; %bb.168:
	v_mov_b32_e32 v19, 0
; %bb.169:
	s_or_b32 exec_lo, exec_lo, s0
.LBB196_170:
	s_delay_alu instid0(VALU_DEP_1)
	v_and_b32_e32 v1, 0xff, v16
	s_wait_loadcnt_dscnt 0x0
	v_and_b32_e32 v21, 0xff, v32
	v_and_b32_e32 v33, 0xff, v31
	;; [unrolled: 1-line block ×4, first 2 shown]
	v_mbcnt_lo_u32_b32 v37, -1, 0
	v_and_b32_e32 v36, 0xff, v30
	v_add3_u32 v22, v21, v1, v33
	v_and_b32_e32 v23, 0xff, v19
	s_delay_alu instid0(VALU_DEP_4) | instskip(SKIP_1) | instid1(VALU_DEP_3)
	v_dual_lshrrev_b32 v38, 5, v0 :: v_dual_bitop2_b32 v24, 15, v37 bitop3:0x40
	s_and_b32 vcc_lo, exec_lo, s25
	v_add3_u32 v22, v22, v34, v35
	s_mov_b32 s7, -1
	s_delay_alu instid0(VALU_DEP_2) | instskip(SKIP_1) | instid1(VALU_DEP_3)
	v_cmp_eq_u32_e64 s0, 0, v24
	v_cmp_lt_u32_e64 s3, 1, v24
	v_add3_u32 v39, v22, v36, v23
	v_and_b32_e32 v22, 16, v37
	v_or_b32_e32 v23, 31, v0
	v_cmp_lt_u32_e64 s4, 3, v24
	v_cmp_lt_u32_e64 s1, 7, v24
	s_barrier_signal -1
	v_cmp_eq_u32_e64 s6, 0, v22
	v_cmp_eq_u32_e64 s5, v0, v23
	s_barrier_wait -1
                                        ; implicit-def: $vgpr25
                                        ; implicit-def: $vgpr26
                                        ; implicit-def: $vgpr27
                                        ; implicit-def: $vgpr28
                                        ; implicit-def: $vgpr29
                                        ; implicit-def: $vgpr40
                                        ; implicit-def: $vgpr41
                                        ; implicit-def: $vgpr24
                                        ; implicit-def: $vgpr22
	s_cbranch_vccz .LBB196_197
; %bb.171:
	v_mov_b32_dpp v22, v39 row_shr:1 row_mask:0xf bank_mask:0xf
	s_delay_alu instid0(VALU_DEP_1) | instskip(NEXT) | instid1(VALU_DEP_1)
	v_cndmask_b32_e64 v22, v22, 0, s0
	v_add_nc_u32_e32 v22, v22, v39
	s_delay_alu instid0(VALU_DEP_1) | instskip(NEXT) | instid1(VALU_DEP_1)
	v_mov_b32_dpp v23, v22 row_shr:2 row_mask:0xf bank_mask:0xf
	v_cndmask_b32_e64 v23, 0, v23, s3
	s_delay_alu instid0(VALU_DEP_1) | instskip(NEXT) | instid1(VALU_DEP_1)
	v_add_nc_u32_e32 v22, v22, v23
	v_mov_b32_dpp v23, v22 row_shr:4 row_mask:0xf bank_mask:0xf
	s_delay_alu instid0(VALU_DEP_1) | instskip(NEXT) | instid1(VALU_DEP_1)
	v_cndmask_b32_e64 v23, 0, v23, s4
	v_add_nc_u32_e32 v22, v22, v23
	s_delay_alu instid0(VALU_DEP_1) | instskip(NEXT) | instid1(VALU_DEP_1)
	v_mov_b32_dpp v23, v22 row_shr:8 row_mask:0xf bank_mask:0xf
	v_cndmask_b32_e64 v23, 0, v23, s1
	s_delay_alu instid0(VALU_DEP_1) | instskip(SKIP_3) | instid1(VALU_DEP_1)
	v_add_nc_u32_e32 v22, v22, v23
	ds_swizzle_b32 v23, v22 offset:swizzle(BROADCAST,32,15)
	s_wait_dscnt 0x0
	v_cndmask_b32_e64 v23, v23, 0, s6
	v_add_nc_u32_e32 v22, v22, v23
	s_and_saveexec_b32 s7, s5
; %bb.172:
	v_lshlrev_b32_e32 v23, 2, v38
	ds_store_b32 v23, v22
; %bb.173:
	s_or_b32 exec_lo, exec_lo, s7
	s_delay_alu instid0(SALU_CYCLE_1)
	s_mov_b32 s7, exec_lo
	s_wait_dscnt 0x0
	s_barrier_signal -1
	s_barrier_wait -1
	v_cmpx_gt_u32_e32 16, v0
	s_cbranch_execz .LBB196_175
; %bb.174:
	v_lshlrev_b32_e32 v23, 2, v0
	ds_load_b32 v24, v23
	s_wait_dscnt 0x0
	v_mov_b32_dpp v25, v24 row_shr:1 row_mask:0xf bank_mask:0xf
	s_delay_alu instid0(VALU_DEP_1) | instskip(NEXT) | instid1(VALU_DEP_1)
	v_cndmask_b32_e64 v25, v25, 0, s0
	v_add_nc_u32_e32 v24, v25, v24
	s_delay_alu instid0(VALU_DEP_1) | instskip(NEXT) | instid1(VALU_DEP_1)
	v_mov_b32_dpp v25, v24 row_shr:2 row_mask:0xf bank_mask:0xf
	v_cndmask_b32_e64 v25, 0, v25, s3
	s_delay_alu instid0(VALU_DEP_1) | instskip(NEXT) | instid1(VALU_DEP_1)
	v_add_nc_u32_e32 v24, v24, v25
	v_mov_b32_dpp v25, v24 row_shr:4 row_mask:0xf bank_mask:0xf
	s_delay_alu instid0(VALU_DEP_1) | instskip(NEXT) | instid1(VALU_DEP_1)
	v_cndmask_b32_e64 v25, 0, v25, s4
	v_add_nc_u32_e32 v24, v24, v25
	s_delay_alu instid0(VALU_DEP_1) | instskip(NEXT) | instid1(VALU_DEP_1)
	v_mov_b32_dpp v25, v24 row_shr:8 row_mask:0xf bank_mask:0xf
	v_cndmask_b32_e64 v25, 0, v25, s1
	s_delay_alu instid0(VALU_DEP_1)
	v_add_nc_u32_e32 v24, v24, v25
	ds_store_b32 v23, v24
.LBB196_175:
	s_or_b32 exec_lo, exec_lo, s7
	s_delay_alu instid0(SALU_CYCLE_1)
	s_mov_b32 s8, exec_lo
	v_cmp_gt_u32_e32 vcc_lo, 32, v0
	s_wait_dscnt 0x0
	s_barrier_signal -1
	s_barrier_wait -1
                                        ; implicit-def: $vgpr40
	v_cmpx_lt_u32_e32 31, v0
	s_cbranch_execz .LBB196_177
; %bb.176:
	v_lshl_add_u32 v23, v38, 2, -4
	ds_load_b32 v40, v23
	s_wait_dscnt 0x0
	v_add_nc_u32_e32 v22, v40, v22
.LBB196_177:
	s_or_b32 exec_lo, exec_lo, s8
	v_sub_co_u32 v23, s7, v37, 1
	s_delay_alu instid0(VALU_DEP_1) | instskip(NEXT) | instid1(VALU_DEP_1)
	v_cmp_gt_i32_e64 s8, 0, v23
	v_cndmask_b32_e64 v23, v23, v37, s8
	s_delay_alu instid0(VALU_DEP_1)
	v_lshlrev_b32_e32 v23, 2, v23
	ds_bpermute_b32 v41, v23, v22
	s_and_saveexec_b32 s8, vcc_lo
	s_cbranch_execz .LBB196_196
; %bb.178:
	v_mov_b32_e32 v29, 0
	ds_load_b32 v22, v29 offset:60
	s_and_saveexec_b32 s9, s7
	s_cbranch_execz .LBB196_180
; %bb.179:
	s_add_co_i32 s18, s22, 32
	s_delay_alu instid0(SALU_CYCLE_1)
	v_dual_mov_b32 v23, 1 :: v_dual_mov_b32 v24, s18
	s_wait_dscnt 0x0
	global_store_b64 v24, v[22:23], s[10:11] scale_offset scope:SCOPE_DEV
.LBB196_180:
	s_wait_xcnt 0x0
	s_or_b32 exec_lo, exec_lo, s9
	v_xad_u32 v24, v37, -1, s22
	s_mov_b32 s18, 0
	s_mov_b32 s9, exec_lo
	s_delay_alu instid0(VALU_DEP_1) | instskip(SKIP_4) | instid1(VALU_DEP_1)
	v_add_nc_u32_e32 v28, 32, v24
	global_load_b64 v[26:27], v28, s[10:11] scale_offset scope:SCOPE_DEV
	s_wait_loadcnt 0x0
	v_and_b32_e32 v23, 0xff, v27
	s_wait_xcnt 0x0
	v_cmpx_eq_u16_e32 0, v23
	s_cbranch_execz .LBB196_184
; %bb.181:
	v_lshl_add_u64 v[28:29], v[28:29], 3, s[10:11]
.LBB196_182:                            ; =>This Inner Loop Header: Depth=1
	global_load_b64 v[26:27], v[28:29], off scope:SCOPE_DEV
	s_wait_loadcnt 0x0
	v_and_b32_e32 v23, 0xff, v27
	s_delay_alu instid0(VALU_DEP_1)
	v_cmp_ne_u16_e32 vcc_lo, 0, v23
	s_or_b32 s18, vcc_lo, s18
	s_wait_xcnt 0x0
	s_and_not1_b32 exec_lo, exec_lo, s18
	s_cbranch_execnz .LBB196_182
; %bb.183:
	s_or_b32 exec_lo, exec_lo, s18
.LBB196_184:
	s_delay_alu instid0(SALU_CYCLE_1)
	s_or_b32 exec_lo, exec_lo, s9
	v_cmp_ne_u32_e32 vcc_lo, 31, v37
	v_lshlrev_b32_e64 v43, v37, -1
	v_lshl_or_b32 v50, v37, 2, 64
	v_dual_add_nc_u32 v45, 2, v37 :: v_dual_add_nc_u32 v47, 4, v37
	v_add_co_ci_u32_e64 v23, null, 0, v37, vcc_lo
	v_dual_add_nc_u32 v49, 8, v37 :: v_dual_add_nc_u32 v51, 16, v37
	s_delay_alu instid0(VALU_DEP_2)
	v_lshlrev_b32_e32 v42, 2, v23
	v_and_b32_e32 v23, 0xff, v27
	ds_bpermute_b32 v25, v42, v26
	v_cmp_eq_u16_e32 vcc_lo, 2, v23
	v_and_or_b32 v23, vcc_lo, v43, 0x80000000
	v_cmp_gt_u32_e32 vcc_lo, 30, v37
	s_delay_alu instid0(VALU_DEP_2) | instskip(SKIP_1) | instid1(VALU_DEP_2)
	v_ctz_i32_b32_e32 v23, v23
	v_cndmask_b32_e64 v28, 0, 2, vcc_lo
	v_cmp_lt_u32_e32 vcc_lo, v37, v23
	s_delay_alu instid0(VALU_DEP_2) | instskip(SKIP_3) | instid1(VALU_DEP_2)
	v_add_lshl_u32 v44, v28, v37, 2
	s_wait_dscnt 0x0
	v_cndmask_b32_e32 v25, 0, v25, vcc_lo
	v_cmp_gt_u32_e32 vcc_lo, 28, v37
	v_add_nc_u32_e32 v25, v25, v26
	v_cndmask_b32_e64 v28, 0, 4, vcc_lo
	v_cmp_le_u32_e32 vcc_lo, v45, v23
	ds_bpermute_b32 v26, v44, v25
	v_add_lshl_u32 v46, v28, v37, 2
	s_wait_dscnt 0x0
	v_cndmask_b32_e32 v26, 0, v26, vcc_lo
	v_cmp_gt_u32_e32 vcc_lo, 24, v37
	v_cndmask_b32_e64 v28, 0, 8, vcc_lo
	v_cmp_le_u32_e32 vcc_lo, v47, v23
	s_delay_alu instid0(VALU_DEP_4) | instskip(NEXT) | instid1(VALU_DEP_3)
	v_add_nc_u32_e32 v25, v25, v26
	v_add_lshl_u32 v48, v28, v37, 2
	ds_bpermute_b32 v26, v46, v25
	s_wait_dscnt 0x0
	v_cndmask_b32_e32 v26, 0, v26, vcc_lo
	v_cmp_le_u32_e32 vcc_lo, v49, v23
	s_delay_alu instid0(VALU_DEP_2) | instskip(SKIP_4) | instid1(VALU_DEP_2)
	v_add_nc_u32_e32 v25, v25, v26
	ds_bpermute_b32 v26, v48, v25
	s_wait_dscnt 0x0
	v_cndmask_b32_e32 v26, 0, v26, vcc_lo
	v_cmp_le_u32_e32 vcc_lo, v51, v23
	v_add_nc_u32_e32 v25, v25, v26
	ds_bpermute_b32 v26, v50, v25
	s_wait_dscnt 0x0
	v_cndmask_b32_e32 v23, 0, v26, vcc_lo
	s_delay_alu instid0(VALU_DEP_1)
	v_dual_mov_b32 v25, 0 :: v_dual_add_nc_u32 v26, v25, v23
	s_branch .LBB196_187
.LBB196_185:                            ;   in Loop: Header=BB196_187 Depth=1
	s_or_b32 exec_lo, exec_lo, s9
	v_and_b32_e32 v28, 0xff, v27
	ds_bpermute_b32 v29, v42, v26
	v_subrev_nc_u32_e32 v24, 32, v24
	s_mov_b32 s9, 0
	v_cmp_eq_u16_e32 vcc_lo, 2, v28
	v_and_or_b32 v28, vcc_lo, v43, 0x80000000
	s_delay_alu instid0(VALU_DEP_1) | instskip(NEXT) | instid1(VALU_DEP_1)
	v_ctz_i32_b32_e32 v28, v28
	v_cmp_lt_u32_e32 vcc_lo, v37, v28
	s_wait_dscnt 0x0
	v_cndmask_b32_e32 v29, 0, v29, vcc_lo
	v_cmp_le_u32_e32 vcc_lo, v45, v28
	s_delay_alu instid0(VALU_DEP_2) | instskip(SKIP_4) | instid1(VALU_DEP_2)
	v_add_nc_u32_e32 v26, v29, v26
	ds_bpermute_b32 v29, v44, v26
	s_wait_dscnt 0x0
	v_cndmask_b32_e32 v29, 0, v29, vcc_lo
	v_cmp_le_u32_e32 vcc_lo, v47, v28
	v_add_nc_u32_e32 v26, v26, v29
	ds_bpermute_b32 v29, v46, v26
	s_wait_dscnt 0x0
	v_cndmask_b32_e32 v29, 0, v29, vcc_lo
	v_cmp_le_u32_e32 vcc_lo, v49, v28
	s_delay_alu instid0(VALU_DEP_2) | instskip(SKIP_4) | instid1(VALU_DEP_2)
	v_add_nc_u32_e32 v26, v26, v29
	ds_bpermute_b32 v29, v48, v26
	s_wait_dscnt 0x0
	v_cndmask_b32_e32 v29, 0, v29, vcc_lo
	v_cmp_le_u32_e32 vcc_lo, v51, v28
	v_add_nc_u32_e32 v26, v26, v29
	ds_bpermute_b32 v29, v50, v26
	s_wait_dscnt 0x0
	v_cndmask_b32_e32 v28, 0, v29, vcc_lo
	s_delay_alu instid0(VALU_DEP_1)
	v_add3_u32 v26, v28, v23, v26
.LBB196_186:                            ;   in Loop: Header=BB196_187 Depth=1
	s_and_b32 vcc_lo, exec_lo, s9
	s_cbranch_vccnz .LBB196_192
.LBB196_187:                            ; =>This Loop Header: Depth=1
                                        ;     Child Loop BB196_190 Depth 2
	v_and_b32_e32 v23, 0xff, v27
	s_mov_b32 s9, -1
                                        ; implicit-def: $vgpr27
	s_delay_alu instid0(VALU_DEP_1)
	v_cmp_ne_u16_e32 vcc_lo, 2, v23
	v_mov_b32_e32 v23, v26
                                        ; implicit-def: $vgpr26
	s_cmp_lg_u32 vcc_lo, exec_lo
	s_cbranch_scc1 .LBB196_186
; %bb.188:                              ;   in Loop: Header=BB196_187 Depth=1
	global_load_b64 v[26:27], v24, s[10:11] scale_offset scope:SCOPE_DEV
	s_mov_b32 s9, exec_lo
	s_wait_loadcnt 0x0
	v_and_b32_e32 v28, 0xff, v27
	s_wait_xcnt 0x0
	s_delay_alu instid0(VALU_DEP_1)
	v_cmpx_eq_u16_e32 0, v28
	s_cbranch_execz .LBB196_185
; %bb.189:                              ;   in Loop: Header=BB196_187 Depth=1
	v_lshl_add_u64 v[28:29], v[24:25], 3, s[10:11]
	s_mov_b32 s18, 0
.LBB196_190:                            ;   Parent Loop BB196_187 Depth=1
                                        ; =>  This Inner Loop Header: Depth=2
	global_load_b64 v[26:27], v[28:29], off scope:SCOPE_DEV
	s_wait_loadcnt 0x0
	v_and_b32_e32 v52, 0xff, v27
	s_delay_alu instid0(VALU_DEP_1)
	v_cmp_ne_u16_e32 vcc_lo, 0, v52
	s_or_b32 s18, vcc_lo, s18
	s_wait_xcnt 0x0
	s_and_not1_b32 exec_lo, exec_lo, s18
	s_cbranch_execnz .LBB196_190
; %bb.191:                              ;   in Loop: Header=BB196_187 Depth=1
	s_or_b32 exec_lo, exec_lo, s18
	s_branch .LBB196_185
.LBB196_192:
	s_and_saveexec_b32 s9, s7
	s_cbranch_execz .LBB196_194
; %bb.193:
	s_add_co_i32 s18, s22, 32
	v_dual_mov_b32 v25, 2 :: v_dual_add_nc_u32 v24, v23, v22
	v_dual_mov_b32 v26, s18 :: v_dual_mov_b32 v27, 0
	global_store_b64 v26, v[24:25], s[10:11] scale_offset scope:SCOPE_DEV
	ds_store_b64 v27, v[22:23] offset:28672
.LBB196_194:
	s_wait_xcnt 0x0
	s_or_b32 exec_lo, exec_lo, s9
	s_delay_alu instid0(SALU_CYCLE_1)
	s_and_b32 exec_lo, exec_lo, s2
; %bb.195:
	v_mov_b32_e32 v22, 0
	ds_store_b32 v22, v23 offset:60
.LBB196_196:
	s_or_b32 exec_lo, exec_lo, s8
	s_wait_dscnt 0x0
	v_dual_mov_b32 v22, 0 :: v_dual_cndmask_b32 v24, v41, v40, s7
	s_wait_storecnt 0x0
	s_barrier_signal -1
	s_barrier_wait -1
	ds_load_b32 v23, v22 offset:60
	v_cndmask_b32_e64 v24, v24, 0, s2
	s_wait_dscnt 0x0
	s_barrier_signal -1
	s_barrier_wait -1
	s_mov_b32 s7, 0
	v_add_nc_u32_e32 v41, v23, v24
	ds_load_b64 v[22:23], v22 offset:28672
	v_add_nc_u32_e32 v40, v41, v1
	s_delay_alu instid0(VALU_DEP_1) | instskip(NEXT) | instid1(VALU_DEP_1)
	v_add_nc_u32_e32 v29, v40, v21
	v_add_nc_u32_e32 v28, v29, v33
	s_wait_dscnt 0x0
	s_delay_alu instid0(VALU_DEP_1) | instskip(NEXT) | instid1(VALU_DEP_1)
	v_dual_mov_b32 v24, v23 :: v_dual_add_nc_u32 v27, v28, v34
	v_add_nc_u32_e32 v26, v27, v35
	s_delay_alu instid0(VALU_DEP_1)
	v_add_nc_u32_e32 v25, v26, v36
.LBB196_197:
	s_and_b32 vcc_lo, exec_lo, s7
	s_cbranch_vccz .LBB196_207
; %bb.198:
	v_mov_b32_dpp v22, v39 row_shr:1 row_mask:0xf bank_mask:0xf
	s_delay_alu instid0(VALU_DEP_1) | instskip(NEXT) | instid1(VALU_DEP_1)
	v_cndmask_b32_e64 v22, v22, 0, s0
	v_add_nc_u32_e32 v22, v22, v39
	s_delay_alu instid0(VALU_DEP_1) | instskip(NEXT) | instid1(VALU_DEP_1)
	v_mov_b32_dpp v23, v22 row_shr:2 row_mask:0xf bank_mask:0xf
	v_cndmask_b32_e64 v23, 0, v23, s3
	s_delay_alu instid0(VALU_DEP_1) | instskip(NEXT) | instid1(VALU_DEP_1)
	v_add_nc_u32_e32 v22, v22, v23
	v_mov_b32_dpp v23, v22 row_shr:4 row_mask:0xf bank_mask:0xf
	s_delay_alu instid0(VALU_DEP_1) | instskip(NEXT) | instid1(VALU_DEP_1)
	v_cndmask_b32_e64 v23, 0, v23, s4
	v_add_nc_u32_e32 v22, v22, v23
	s_delay_alu instid0(VALU_DEP_1) | instskip(NEXT) | instid1(VALU_DEP_1)
	v_mov_b32_dpp v23, v22 row_shr:8 row_mask:0xf bank_mask:0xf
	v_cndmask_b32_e64 v23, 0, v23, s1
	s_delay_alu instid0(VALU_DEP_1) | instskip(SKIP_3) | instid1(VALU_DEP_1)
	v_add_nc_u32_e32 v22, v22, v23
	ds_swizzle_b32 v23, v22 offset:swizzle(BROADCAST,32,15)
	s_wait_dscnt 0x0
	v_cndmask_b32_e64 v23, v23, 0, s6
	v_add_nc_u32_e32 v22, v22, v23
	s_and_saveexec_b32 s6, s5
; %bb.199:
	v_lshlrev_b32_e32 v23, 2, v38
	ds_store_b32 v23, v22
; %bb.200:
	s_or_b32 exec_lo, exec_lo, s6
	s_delay_alu instid0(SALU_CYCLE_1)
	s_mov_b32 s5, exec_lo
	s_wait_dscnt 0x0
	s_barrier_signal -1
	s_barrier_wait -1
	v_cmpx_gt_u32_e32 16, v0
	s_cbranch_execz .LBB196_202
; %bb.201:
	v_lshlrev_b32_e32 v23, 2, v0
	ds_load_b32 v24, v23
	s_wait_dscnt 0x0
	v_mov_b32_dpp v25, v24 row_shr:1 row_mask:0xf bank_mask:0xf
	s_delay_alu instid0(VALU_DEP_1) | instskip(NEXT) | instid1(VALU_DEP_1)
	v_cndmask_b32_e64 v25, v25, 0, s0
	v_add_nc_u32_e32 v24, v25, v24
	s_delay_alu instid0(VALU_DEP_1) | instskip(NEXT) | instid1(VALU_DEP_1)
	v_mov_b32_dpp v25, v24 row_shr:2 row_mask:0xf bank_mask:0xf
	v_cndmask_b32_e64 v25, 0, v25, s3
	s_delay_alu instid0(VALU_DEP_1) | instskip(NEXT) | instid1(VALU_DEP_1)
	v_add_nc_u32_e32 v24, v24, v25
	v_mov_b32_dpp v25, v24 row_shr:4 row_mask:0xf bank_mask:0xf
	s_delay_alu instid0(VALU_DEP_1) | instskip(NEXT) | instid1(VALU_DEP_1)
	v_cndmask_b32_e64 v25, 0, v25, s4
	v_add_nc_u32_e32 v24, v24, v25
	s_delay_alu instid0(VALU_DEP_1) | instskip(NEXT) | instid1(VALU_DEP_1)
	v_mov_b32_dpp v25, v24 row_shr:8 row_mask:0xf bank_mask:0xf
	v_cndmask_b32_e64 v25, 0, v25, s1
	s_delay_alu instid0(VALU_DEP_1)
	v_add_nc_u32_e32 v24, v24, v25
	ds_store_b32 v23, v24
.LBB196_202:
	s_or_b32 exec_lo, exec_lo, s5
	v_dual_mov_b32 v23, 0 :: v_dual_mov_b32 v24, 0
	s_mov_b32 s0, exec_lo
	s_wait_dscnt 0x0
	s_barrier_signal -1
	s_barrier_wait -1
	v_cmpx_lt_u32_e32 31, v0
; %bb.203:
	v_lshl_add_u32 v24, v38, 2, -4
	ds_load_b32 v24, v24
; %bb.204:
	s_or_b32 exec_lo, exec_lo, s0
	v_sub_co_u32 v25, vcc_lo, v37, 1
	s_wait_dscnt 0x0
	v_add_nc_u32_e32 v22, v24, v22
	s_delay_alu instid0(VALU_DEP_2) | instskip(NEXT) | instid1(VALU_DEP_1)
	v_cmp_gt_i32_e64 s0, 0, v25
	v_cndmask_b32_e64 v25, v25, v37, s0
	s_delay_alu instid0(VALU_DEP_1)
	v_lshlrev_b32_e32 v25, 2, v25
	ds_bpermute_b32 v25, v25, v22
	ds_load_b32 v22, v23 offset:60
	s_and_saveexec_b32 s0, s2
	s_cbranch_execz .LBB196_206
; %bb.205:
	v_dual_mov_b32 v26, 0 :: v_dual_mov_b32 v23, 2
	s_wait_dscnt 0x0
	global_store_b64 v26, v[22:23], s[10:11] offset:256 scope:SCOPE_DEV
.LBB196_206:
	s_wait_xcnt 0x0
	s_or_b32 exec_lo, exec_lo, s0
	s_wait_dscnt 0x1
	v_cndmask_b32_e32 v23, v25, v24, vcc_lo
	s_wait_storecnt_dscnt 0x0
	s_barrier_signal -1
	s_barrier_wait -1
	s_delay_alu instid0(VALU_DEP_1) | instskip(NEXT) | instid1(VALU_DEP_1)
	v_cndmask_b32_e64 v41, v23, 0, s2
	v_dual_mov_b32 v24, 0 :: v_dual_add_nc_u32 v40, v41, v1
	s_delay_alu instid0(VALU_DEP_1) | instskip(NEXT) | instid1(VALU_DEP_1)
	v_add_nc_u32_e32 v29, v40, v21
	v_add_nc_u32_e32 v28, v29, v33
	s_delay_alu instid0(VALU_DEP_1) | instskip(NEXT) | instid1(VALU_DEP_1)
	v_add_nc_u32_e32 v27, v28, v34
	v_add_nc_u32_e32 v26, v27, v35
	s_delay_alu instid0(VALU_DEP_1)
	v_add_nc_u32_e32 v25, v26, v36
.LBB196_207:
	v_and_b32_e32 v1, 1, v16
	v_cmp_gt_u32_e32 vcc_lo, 0x201, v22
	s_mov_b32 s1, -1
	s_delay_alu instid0(VALU_DEP_2)
	v_cmp_eq_u32_e64 s0, 1, v1
	s_cbranch_vccnz .LBB196_211
; %bb.208:
	s_and_b32 vcc_lo, exec_lo, s1
	s_cbranch_vccnz .LBB196_226
.LBB196_209:
	s_and_b32 s0, s2, s16
	s_delay_alu instid0(SALU_CYCLE_1)
	s_and_saveexec_b32 s1, s0
	s_cbranch_execnz .LBB196_243
.LBB196_210:
	s_endpgm
.LBB196_211:
	v_add_nc_u32_e32 v16, v24, v22
	s_delay_alu instid0(VALU_DEP_1) | instskip(SKIP_1) | instid1(SALU_CYCLE_1)
	v_cmp_lt_u32_e32 vcc_lo, v41, v16
	s_or_b32 s1, s17, vcc_lo
	s_and_b32 s1, s1, s0
	s_delay_alu instid0(SALU_CYCLE_1)
	s_and_saveexec_b32 s0, s1
	s_cbranch_execz .LBB196_213
; %bb.212:
	s_lshl_b64 s[4:5], s[14:15], 3
	s_delay_alu instid0(SALU_CYCLE_1)
	s_add_nc_u64 s[4:5], s[20:21], s[4:5]
	global_store_b64 v41, v[10:11], s[4:5] scale_offset
.LBB196_213:
	s_wait_xcnt 0x0
	s_or_b32 exec_lo, exec_lo, s0
	v_and_b32_e32 v21, 1, v32
	v_cmp_lt_u32_e32 vcc_lo, v40, v16
	s_delay_alu instid0(VALU_DEP_2) | instskip(SKIP_1) | instid1(SALU_CYCLE_1)
	v_cmp_eq_u32_e64 s0, 1, v21
	s_or_b32 s1, s17, vcc_lo
	s_and_b32 s1, s1, s0
	s_delay_alu instid0(SALU_CYCLE_1)
	s_and_saveexec_b32 s0, s1
	s_cbranch_execz .LBB196_215
; %bb.214:
	s_lshl_b64 s[4:5], s[14:15], 3
	s_delay_alu instid0(SALU_CYCLE_1)
	s_add_nc_u64 s[4:5], s[20:21], s[4:5]
	global_store_b64 v40, v[12:13], s[4:5] scale_offset
.LBB196_215:
	s_wait_xcnt 0x0
	s_or_b32 exec_lo, exec_lo, s0
	v_and_b32_e32 v21, 1, v31
	v_cmp_lt_u32_e32 vcc_lo, v29, v16
	s_delay_alu instid0(VALU_DEP_2) | instskip(SKIP_1) | instid1(SALU_CYCLE_1)
	v_cmp_eq_u32_e64 s0, 1, v21
	;; [unrolled: 17-line block ×6, first 2 shown]
	s_or_b32 s1, s17, vcc_lo
	s_and_b32 s1, s1, s0
	s_delay_alu instid0(SALU_CYCLE_1)
	s_and_saveexec_b32 s0, s1
	s_cbranch_execz .LBB196_225
; %bb.224:
	s_lshl_b64 s[4:5], s[14:15], 3
	s_delay_alu instid0(SALU_CYCLE_1)
	s_add_nc_u64 s[4:5], s[20:21], s[4:5]
	global_store_b64 v25, v[14:15], s[4:5] scale_offset
.LBB196_225:
	s_wait_xcnt 0x0
	s_or_b32 exec_lo, exec_lo, s0
	s_branch .LBB196_209
.LBB196_226:
	s_mov_b32 s0, exec_lo
	v_cmpx_eq_u32_e32 1, v1
; %bb.227:
	v_sub_nc_u32_e32 v1, v41, v24
	s_delay_alu instid0(VALU_DEP_1)
	v_lshlrev_b32_e32 v1, 3, v1
	ds_store_b64 v1, v[10:11]
; %bb.228:
	s_or_b32 exec_lo, exec_lo, s0
	v_and_b32_e32 v1, 1, v32
	s_mov_b32 s0, exec_lo
	s_delay_alu instid0(VALU_DEP_1)
	v_cmpx_eq_u32_e32 1, v1
; %bb.229:
	v_sub_nc_u32_e32 v1, v40, v24
	s_delay_alu instid0(VALU_DEP_1)
	v_lshlrev_b32_e32 v1, 3, v1
	ds_store_b64 v1, v[12:13]
; %bb.230:
	s_or_b32 exec_lo, exec_lo, s0
	v_and_b32_e32 v1, 1, v31
	s_mov_b32 s0, exec_lo
	s_delay_alu instid0(VALU_DEP_1)
	;; [unrolled: 11-line block ×6, first 2 shown]
	v_cmpx_eq_u32_e32 1, v1
; %bb.239:
	v_sub_nc_u32_e32 v1, v25, v24
	s_delay_alu instid0(VALU_DEP_1)
	v_lshlrev_b32_e32 v1, 3, v1
	ds_store_b64 v1, v[14:15]
; %bb.240:
	s_or_b32 exec_lo, exec_lo, s0
	v_mov_b32_e32 v25, 0
	s_lshl_b64 s[0:1], s[14:15], 3
	s_wait_storecnt_dscnt 0x0
	s_barrier_signal -1
	s_barrier_wait -1
	v_lshlrev_b64_e32 v[2:3], 3, v[24:25]
	v_mov_b32_e32 v19, v25
	s_delay_alu instid0(VALU_DEP_2) | instskip(SKIP_1) | instid1(VALU_DEP_1)
	v_add_nc_u64_e32 v[2:3], s[0:1], v[2:3]
	s_mov_b32 s0, 0
	v_add_nc_u64_e32 v[2:3], s[20:21], v[2:3]
	s_delay_alu instid0(VALU_DEP_1)
	v_add_nc_u64_e32 v[2:3], v[2:3], v[18:19]
.LBB196_241:                            ; =>This Inner Loop Header: Depth=1
	ds_load_b64 v[4:5], v18
	v_add_nc_u32_e32 v0, 0x200, v0
	v_add_nc_u32_e32 v18, 0x1000, v18
	s_delay_alu instid0(VALU_DEP_2)
	v_cmp_ge_u32_e32 vcc_lo, v0, v22
	s_or_b32 s0, vcc_lo, s0
	s_wait_dscnt 0x0
	global_store_b64 v[2:3], v[4:5], off
	s_wait_xcnt 0x0
	v_add_nc_u64_e32 v[2:3], 0x1000, v[2:3]
	s_and_not1_b32 exec_lo, exec_lo, s0
	s_cbranch_execnz .LBB196_241
; %bb.242:
	s_or_b32 exec_lo, exec_lo, s0
	s_and_b32 s0, s2, s16
	s_delay_alu instid0(SALU_CYCLE_1)
	s_and_saveexec_b32 s1, s0
	s_cbranch_execz .LBB196_210
.LBB196_243:
	v_mov_b32_e32 v23, 0
	s_delay_alu instid0(VALU_DEP_1) | instskip(SKIP_1) | instid1(VALU_DEP_1)
	v_add_nc_u64_e32 v[0:1], s[14:15], v[22:23]
	v_mov_b32_e32 v25, v23
	v_add_nc_u64_e32 v[0:1], v[0:1], v[24:25]
	global_store_b64 v23, v[0:1], s[12:13]
	s_endpgm
	.section	.rodata,"a",@progbits
	.p2align	6, 0x0
	.amdhsa_kernel _ZN7rocprim17ROCPRIM_400000_NS6detail17trampoline_kernelINS0_14default_configENS1_25partition_config_selectorILNS1_17partition_subalgoE8ElNS0_10empty_typeEbEEZZNS1_14partition_implILS5_8ELb0ES3_jPlPS6_PKS6_NS0_5tupleIJS9_S6_EEENSD_IJSA_SA_EEENS0_18inequality_wrapperIZN2at6native12_GLOBAL__N_124unique_dim_cuda_templateIhEESt5tupleIJNSH_6TensorESM_SM_EERKSM_lbbbEUlllE0_EEPmJS6_EEE10hipError_tPvRmT3_T4_T5_T6_T7_T9_mT8_P12ihipStream_tbDpT10_ENKUlT_T0_E_clISt17integral_constantIbLb0EES1B_IbLb1EEEEDaS17_S18_EUlS17_E_NS1_11comp_targetILNS1_3genE0ELNS1_11target_archE4294967295ELNS1_3gpuE0ELNS1_3repE0EEENS1_30default_config_static_selectorELNS0_4arch9wavefront6targetE0EEEvT1_
		.amdhsa_group_segment_fixed_size 28680
		.amdhsa_private_segment_fixed_size 0
		.amdhsa_kernarg_size 136
		.amdhsa_user_sgpr_count 2
		.amdhsa_user_sgpr_dispatch_ptr 0
		.amdhsa_user_sgpr_queue_ptr 0
		.amdhsa_user_sgpr_kernarg_segment_ptr 1
		.amdhsa_user_sgpr_dispatch_id 0
		.amdhsa_user_sgpr_kernarg_preload_length 0
		.amdhsa_user_sgpr_kernarg_preload_offset 0
		.amdhsa_user_sgpr_private_segment_size 0
		.amdhsa_wavefront_size32 1
		.amdhsa_uses_dynamic_stack 0
		.amdhsa_enable_private_segment 0
		.amdhsa_system_sgpr_workgroup_id_x 1
		.amdhsa_system_sgpr_workgroup_id_y 0
		.amdhsa_system_sgpr_workgroup_id_z 0
		.amdhsa_system_sgpr_workgroup_info 0
		.amdhsa_system_vgpr_workitem_id 0
		.amdhsa_next_free_vgpr 53
		.amdhsa_next_free_sgpr 36
		.amdhsa_named_barrier_count 0
		.amdhsa_reserve_vcc 1
		.amdhsa_float_round_mode_32 0
		.amdhsa_float_round_mode_16_64 0
		.amdhsa_float_denorm_mode_32 3
		.amdhsa_float_denorm_mode_16_64 3
		.amdhsa_fp16_overflow 0
		.amdhsa_memory_ordered 1
		.amdhsa_forward_progress 1
		.amdhsa_inst_pref_size 88
		.amdhsa_round_robin_scheduling 0
		.amdhsa_exception_fp_ieee_invalid_op 0
		.amdhsa_exception_fp_denorm_src 0
		.amdhsa_exception_fp_ieee_div_zero 0
		.amdhsa_exception_fp_ieee_overflow 0
		.amdhsa_exception_fp_ieee_underflow 0
		.amdhsa_exception_fp_ieee_inexact 0
		.amdhsa_exception_int_div_zero 0
	.end_amdhsa_kernel
	.section	.text._ZN7rocprim17ROCPRIM_400000_NS6detail17trampoline_kernelINS0_14default_configENS1_25partition_config_selectorILNS1_17partition_subalgoE8ElNS0_10empty_typeEbEEZZNS1_14partition_implILS5_8ELb0ES3_jPlPS6_PKS6_NS0_5tupleIJS9_S6_EEENSD_IJSA_SA_EEENS0_18inequality_wrapperIZN2at6native12_GLOBAL__N_124unique_dim_cuda_templateIhEESt5tupleIJNSH_6TensorESM_SM_EERKSM_lbbbEUlllE0_EEPmJS6_EEE10hipError_tPvRmT3_T4_T5_T6_T7_T9_mT8_P12ihipStream_tbDpT10_ENKUlT_T0_E_clISt17integral_constantIbLb0EES1B_IbLb1EEEEDaS17_S18_EUlS17_E_NS1_11comp_targetILNS1_3genE0ELNS1_11target_archE4294967295ELNS1_3gpuE0ELNS1_3repE0EEENS1_30default_config_static_selectorELNS0_4arch9wavefront6targetE0EEEvT1_,"axG",@progbits,_ZN7rocprim17ROCPRIM_400000_NS6detail17trampoline_kernelINS0_14default_configENS1_25partition_config_selectorILNS1_17partition_subalgoE8ElNS0_10empty_typeEbEEZZNS1_14partition_implILS5_8ELb0ES3_jPlPS6_PKS6_NS0_5tupleIJS9_S6_EEENSD_IJSA_SA_EEENS0_18inequality_wrapperIZN2at6native12_GLOBAL__N_124unique_dim_cuda_templateIhEESt5tupleIJNSH_6TensorESM_SM_EERKSM_lbbbEUlllE0_EEPmJS6_EEE10hipError_tPvRmT3_T4_T5_T6_T7_T9_mT8_P12ihipStream_tbDpT10_ENKUlT_T0_E_clISt17integral_constantIbLb0EES1B_IbLb1EEEEDaS17_S18_EUlS17_E_NS1_11comp_targetILNS1_3genE0ELNS1_11target_archE4294967295ELNS1_3gpuE0ELNS1_3repE0EEENS1_30default_config_static_selectorELNS0_4arch9wavefront6targetE0EEEvT1_,comdat
.Lfunc_end196:
	.size	_ZN7rocprim17ROCPRIM_400000_NS6detail17trampoline_kernelINS0_14default_configENS1_25partition_config_selectorILNS1_17partition_subalgoE8ElNS0_10empty_typeEbEEZZNS1_14partition_implILS5_8ELb0ES3_jPlPS6_PKS6_NS0_5tupleIJS9_S6_EEENSD_IJSA_SA_EEENS0_18inequality_wrapperIZN2at6native12_GLOBAL__N_124unique_dim_cuda_templateIhEESt5tupleIJNSH_6TensorESM_SM_EERKSM_lbbbEUlllE0_EEPmJS6_EEE10hipError_tPvRmT3_T4_T5_T6_T7_T9_mT8_P12ihipStream_tbDpT10_ENKUlT_T0_E_clISt17integral_constantIbLb0EES1B_IbLb1EEEEDaS17_S18_EUlS17_E_NS1_11comp_targetILNS1_3genE0ELNS1_11target_archE4294967295ELNS1_3gpuE0ELNS1_3repE0EEENS1_30default_config_static_selectorELNS0_4arch9wavefront6targetE0EEEvT1_, .Lfunc_end196-_ZN7rocprim17ROCPRIM_400000_NS6detail17trampoline_kernelINS0_14default_configENS1_25partition_config_selectorILNS1_17partition_subalgoE8ElNS0_10empty_typeEbEEZZNS1_14partition_implILS5_8ELb0ES3_jPlPS6_PKS6_NS0_5tupleIJS9_S6_EEENSD_IJSA_SA_EEENS0_18inequality_wrapperIZN2at6native12_GLOBAL__N_124unique_dim_cuda_templateIhEESt5tupleIJNSH_6TensorESM_SM_EERKSM_lbbbEUlllE0_EEPmJS6_EEE10hipError_tPvRmT3_T4_T5_T6_T7_T9_mT8_P12ihipStream_tbDpT10_ENKUlT_T0_E_clISt17integral_constantIbLb0EES1B_IbLb1EEEEDaS17_S18_EUlS17_E_NS1_11comp_targetILNS1_3genE0ELNS1_11target_archE4294967295ELNS1_3gpuE0ELNS1_3repE0EEENS1_30default_config_static_selectorELNS0_4arch9wavefront6targetE0EEEvT1_
                                        ; -- End function
	.set _ZN7rocprim17ROCPRIM_400000_NS6detail17trampoline_kernelINS0_14default_configENS1_25partition_config_selectorILNS1_17partition_subalgoE8ElNS0_10empty_typeEbEEZZNS1_14partition_implILS5_8ELb0ES3_jPlPS6_PKS6_NS0_5tupleIJS9_S6_EEENSD_IJSA_SA_EEENS0_18inequality_wrapperIZN2at6native12_GLOBAL__N_124unique_dim_cuda_templateIhEESt5tupleIJNSH_6TensorESM_SM_EERKSM_lbbbEUlllE0_EEPmJS6_EEE10hipError_tPvRmT3_T4_T5_T6_T7_T9_mT8_P12ihipStream_tbDpT10_ENKUlT_T0_E_clISt17integral_constantIbLb0EES1B_IbLb1EEEEDaS17_S18_EUlS17_E_NS1_11comp_targetILNS1_3genE0ELNS1_11target_archE4294967295ELNS1_3gpuE0ELNS1_3repE0EEENS1_30default_config_static_selectorELNS0_4arch9wavefront6targetE0EEEvT1_.num_vgpr, 53
	.set _ZN7rocprim17ROCPRIM_400000_NS6detail17trampoline_kernelINS0_14default_configENS1_25partition_config_selectorILNS1_17partition_subalgoE8ElNS0_10empty_typeEbEEZZNS1_14partition_implILS5_8ELb0ES3_jPlPS6_PKS6_NS0_5tupleIJS9_S6_EEENSD_IJSA_SA_EEENS0_18inequality_wrapperIZN2at6native12_GLOBAL__N_124unique_dim_cuda_templateIhEESt5tupleIJNSH_6TensorESM_SM_EERKSM_lbbbEUlllE0_EEPmJS6_EEE10hipError_tPvRmT3_T4_T5_T6_T7_T9_mT8_P12ihipStream_tbDpT10_ENKUlT_T0_E_clISt17integral_constantIbLb0EES1B_IbLb1EEEEDaS17_S18_EUlS17_E_NS1_11comp_targetILNS1_3genE0ELNS1_11target_archE4294967295ELNS1_3gpuE0ELNS1_3repE0EEENS1_30default_config_static_selectorELNS0_4arch9wavefront6targetE0EEEvT1_.num_agpr, 0
	.set _ZN7rocprim17ROCPRIM_400000_NS6detail17trampoline_kernelINS0_14default_configENS1_25partition_config_selectorILNS1_17partition_subalgoE8ElNS0_10empty_typeEbEEZZNS1_14partition_implILS5_8ELb0ES3_jPlPS6_PKS6_NS0_5tupleIJS9_S6_EEENSD_IJSA_SA_EEENS0_18inequality_wrapperIZN2at6native12_GLOBAL__N_124unique_dim_cuda_templateIhEESt5tupleIJNSH_6TensorESM_SM_EERKSM_lbbbEUlllE0_EEPmJS6_EEE10hipError_tPvRmT3_T4_T5_T6_T7_T9_mT8_P12ihipStream_tbDpT10_ENKUlT_T0_E_clISt17integral_constantIbLb0EES1B_IbLb1EEEEDaS17_S18_EUlS17_E_NS1_11comp_targetILNS1_3genE0ELNS1_11target_archE4294967295ELNS1_3gpuE0ELNS1_3repE0EEENS1_30default_config_static_selectorELNS0_4arch9wavefront6targetE0EEEvT1_.numbered_sgpr, 36
	.set _ZN7rocprim17ROCPRIM_400000_NS6detail17trampoline_kernelINS0_14default_configENS1_25partition_config_selectorILNS1_17partition_subalgoE8ElNS0_10empty_typeEbEEZZNS1_14partition_implILS5_8ELb0ES3_jPlPS6_PKS6_NS0_5tupleIJS9_S6_EEENSD_IJSA_SA_EEENS0_18inequality_wrapperIZN2at6native12_GLOBAL__N_124unique_dim_cuda_templateIhEESt5tupleIJNSH_6TensorESM_SM_EERKSM_lbbbEUlllE0_EEPmJS6_EEE10hipError_tPvRmT3_T4_T5_T6_T7_T9_mT8_P12ihipStream_tbDpT10_ENKUlT_T0_E_clISt17integral_constantIbLb0EES1B_IbLb1EEEEDaS17_S18_EUlS17_E_NS1_11comp_targetILNS1_3genE0ELNS1_11target_archE4294967295ELNS1_3gpuE0ELNS1_3repE0EEENS1_30default_config_static_selectorELNS0_4arch9wavefront6targetE0EEEvT1_.num_named_barrier, 0
	.set _ZN7rocprim17ROCPRIM_400000_NS6detail17trampoline_kernelINS0_14default_configENS1_25partition_config_selectorILNS1_17partition_subalgoE8ElNS0_10empty_typeEbEEZZNS1_14partition_implILS5_8ELb0ES3_jPlPS6_PKS6_NS0_5tupleIJS9_S6_EEENSD_IJSA_SA_EEENS0_18inequality_wrapperIZN2at6native12_GLOBAL__N_124unique_dim_cuda_templateIhEESt5tupleIJNSH_6TensorESM_SM_EERKSM_lbbbEUlllE0_EEPmJS6_EEE10hipError_tPvRmT3_T4_T5_T6_T7_T9_mT8_P12ihipStream_tbDpT10_ENKUlT_T0_E_clISt17integral_constantIbLb0EES1B_IbLb1EEEEDaS17_S18_EUlS17_E_NS1_11comp_targetILNS1_3genE0ELNS1_11target_archE4294967295ELNS1_3gpuE0ELNS1_3repE0EEENS1_30default_config_static_selectorELNS0_4arch9wavefront6targetE0EEEvT1_.private_seg_size, 0
	.set _ZN7rocprim17ROCPRIM_400000_NS6detail17trampoline_kernelINS0_14default_configENS1_25partition_config_selectorILNS1_17partition_subalgoE8ElNS0_10empty_typeEbEEZZNS1_14partition_implILS5_8ELb0ES3_jPlPS6_PKS6_NS0_5tupleIJS9_S6_EEENSD_IJSA_SA_EEENS0_18inequality_wrapperIZN2at6native12_GLOBAL__N_124unique_dim_cuda_templateIhEESt5tupleIJNSH_6TensorESM_SM_EERKSM_lbbbEUlllE0_EEPmJS6_EEE10hipError_tPvRmT3_T4_T5_T6_T7_T9_mT8_P12ihipStream_tbDpT10_ENKUlT_T0_E_clISt17integral_constantIbLb0EES1B_IbLb1EEEEDaS17_S18_EUlS17_E_NS1_11comp_targetILNS1_3genE0ELNS1_11target_archE4294967295ELNS1_3gpuE0ELNS1_3repE0EEENS1_30default_config_static_selectorELNS0_4arch9wavefront6targetE0EEEvT1_.uses_vcc, 1
	.set _ZN7rocprim17ROCPRIM_400000_NS6detail17trampoline_kernelINS0_14default_configENS1_25partition_config_selectorILNS1_17partition_subalgoE8ElNS0_10empty_typeEbEEZZNS1_14partition_implILS5_8ELb0ES3_jPlPS6_PKS6_NS0_5tupleIJS9_S6_EEENSD_IJSA_SA_EEENS0_18inequality_wrapperIZN2at6native12_GLOBAL__N_124unique_dim_cuda_templateIhEESt5tupleIJNSH_6TensorESM_SM_EERKSM_lbbbEUlllE0_EEPmJS6_EEE10hipError_tPvRmT3_T4_T5_T6_T7_T9_mT8_P12ihipStream_tbDpT10_ENKUlT_T0_E_clISt17integral_constantIbLb0EES1B_IbLb1EEEEDaS17_S18_EUlS17_E_NS1_11comp_targetILNS1_3genE0ELNS1_11target_archE4294967295ELNS1_3gpuE0ELNS1_3repE0EEENS1_30default_config_static_selectorELNS0_4arch9wavefront6targetE0EEEvT1_.uses_flat_scratch, 0
	.set _ZN7rocprim17ROCPRIM_400000_NS6detail17trampoline_kernelINS0_14default_configENS1_25partition_config_selectorILNS1_17partition_subalgoE8ElNS0_10empty_typeEbEEZZNS1_14partition_implILS5_8ELb0ES3_jPlPS6_PKS6_NS0_5tupleIJS9_S6_EEENSD_IJSA_SA_EEENS0_18inequality_wrapperIZN2at6native12_GLOBAL__N_124unique_dim_cuda_templateIhEESt5tupleIJNSH_6TensorESM_SM_EERKSM_lbbbEUlllE0_EEPmJS6_EEE10hipError_tPvRmT3_T4_T5_T6_T7_T9_mT8_P12ihipStream_tbDpT10_ENKUlT_T0_E_clISt17integral_constantIbLb0EES1B_IbLb1EEEEDaS17_S18_EUlS17_E_NS1_11comp_targetILNS1_3genE0ELNS1_11target_archE4294967295ELNS1_3gpuE0ELNS1_3repE0EEENS1_30default_config_static_selectorELNS0_4arch9wavefront6targetE0EEEvT1_.has_dyn_sized_stack, 0
	.set _ZN7rocprim17ROCPRIM_400000_NS6detail17trampoline_kernelINS0_14default_configENS1_25partition_config_selectorILNS1_17partition_subalgoE8ElNS0_10empty_typeEbEEZZNS1_14partition_implILS5_8ELb0ES3_jPlPS6_PKS6_NS0_5tupleIJS9_S6_EEENSD_IJSA_SA_EEENS0_18inequality_wrapperIZN2at6native12_GLOBAL__N_124unique_dim_cuda_templateIhEESt5tupleIJNSH_6TensorESM_SM_EERKSM_lbbbEUlllE0_EEPmJS6_EEE10hipError_tPvRmT3_T4_T5_T6_T7_T9_mT8_P12ihipStream_tbDpT10_ENKUlT_T0_E_clISt17integral_constantIbLb0EES1B_IbLb1EEEEDaS17_S18_EUlS17_E_NS1_11comp_targetILNS1_3genE0ELNS1_11target_archE4294967295ELNS1_3gpuE0ELNS1_3repE0EEENS1_30default_config_static_selectorELNS0_4arch9wavefront6targetE0EEEvT1_.has_recursion, 0
	.set _ZN7rocprim17ROCPRIM_400000_NS6detail17trampoline_kernelINS0_14default_configENS1_25partition_config_selectorILNS1_17partition_subalgoE8ElNS0_10empty_typeEbEEZZNS1_14partition_implILS5_8ELb0ES3_jPlPS6_PKS6_NS0_5tupleIJS9_S6_EEENSD_IJSA_SA_EEENS0_18inequality_wrapperIZN2at6native12_GLOBAL__N_124unique_dim_cuda_templateIhEESt5tupleIJNSH_6TensorESM_SM_EERKSM_lbbbEUlllE0_EEPmJS6_EEE10hipError_tPvRmT3_T4_T5_T6_T7_T9_mT8_P12ihipStream_tbDpT10_ENKUlT_T0_E_clISt17integral_constantIbLb0EES1B_IbLb1EEEEDaS17_S18_EUlS17_E_NS1_11comp_targetILNS1_3genE0ELNS1_11target_archE4294967295ELNS1_3gpuE0ELNS1_3repE0EEENS1_30default_config_static_selectorELNS0_4arch9wavefront6targetE0EEEvT1_.has_indirect_call, 0
	.section	.AMDGPU.csdata,"",@progbits
; Kernel info:
; codeLenInByte = 11260
; TotalNumSgprs: 38
; NumVgprs: 53
; ScratchSize: 0
; MemoryBound: 0
; FloatMode: 240
; IeeeMode: 1
; LDSByteSize: 28680 bytes/workgroup (compile time only)
; SGPRBlocks: 0
; VGPRBlocks: 3
; NumSGPRsForWavesPerEU: 38
; NumVGPRsForWavesPerEU: 53
; NamedBarCnt: 0
; Occupancy: 16
; WaveLimiterHint : 1
; COMPUTE_PGM_RSRC2:SCRATCH_EN: 0
; COMPUTE_PGM_RSRC2:USER_SGPR: 2
; COMPUTE_PGM_RSRC2:TRAP_HANDLER: 0
; COMPUTE_PGM_RSRC2:TGID_X_EN: 1
; COMPUTE_PGM_RSRC2:TGID_Y_EN: 0
; COMPUTE_PGM_RSRC2:TGID_Z_EN: 0
; COMPUTE_PGM_RSRC2:TIDIG_COMP_CNT: 0
	.section	.text._ZN7rocprim17ROCPRIM_400000_NS6detail17trampoline_kernelINS0_14default_configENS1_25partition_config_selectorILNS1_17partition_subalgoE8ElNS0_10empty_typeEbEEZZNS1_14partition_implILS5_8ELb0ES3_jPlPS6_PKS6_NS0_5tupleIJS9_S6_EEENSD_IJSA_SA_EEENS0_18inequality_wrapperIZN2at6native12_GLOBAL__N_124unique_dim_cuda_templateIhEESt5tupleIJNSH_6TensorESM_SM_EERKSM_lbbbEUlllE0_EEPmJS6_EEE10hipError_tPvRmT3_T4_T5_T6_T7_T9_mT8_P12ihipStream_tbDpT10_ENKUlT_T0_E_clISt17integral_constantIbLb0EES1B_IbLb1EEEEDaS17_S18_EUlS17_E_NS1_11comp_targetILNS1_3genE5ELNS1_11target_archE942ELNS1_3gpuE9ELNS1_3repE0EEENS1_30default_config_static_selectorELNS0_4arch9wavefront6targetE0EEEvT1_,"axG",@progbits,_ZN7rocprim17ROCPRIM_400000_NS6detail17trampoline_kernelINS0_14default_configENS1_25partition_config_selectorILNS1_17partition_subalgoE8ElNS0_10empty_typeEbEEZZNS1_14partition_implILS5_8ELb0ES3_jPlPS6_PKS6_NS0_5tupleIJS9_S6_EEENSD_IJSA_SA_EEENS0_18inequality_wrapperIZN2at6native12_GLOBAL__N_124unique_dim_cuda_templateIhEESt5tupleIJNSH_6TensorESM_SM_EERKSM_lbbbEUlllE0_EEPmJS6_EEE10hipError_tPvRmT3_T4_T5_T6_T7_T9_mT8_P12ihipStream_tbDpT10_ENKUlT_T0_E_clISt17integral_constantIbLb0EES1B_IbLb1EEEEDaS17_S18_EUlS17_E_NS1_11comp_targetILNS1_3genE5ELNS1_11target_archE942ELNS1_3gpuE9ELNS1_3repE0EEENS1_30default_config_static_selectorELNS0_4arch9wavefront6targetE0EEEvT1_,comdat
	.globl	_ZN7rocprim17ROCPRIM_400000_NS6detail17trampoline_kernelINS0_14default_configENS1_25partition_config_selectorILNS1_17partition_subalgoE8ElNS0_10empty_typeEbEEZZNS1_14partition_implILS5_8ELb0ES3_jPlPS6_PKS6_NS0_5tupleIJS9_S6_EEENSD_IJSA_SA_EEENS0_18inequality_wrapperIZN2at6native12_GLOBAL__N_124unique_dim_cuda_templateIhEESt5tupleIJNSH_6TensorESM_SM_EERKSM_lbbbEUlllE0_EEPmJS6_EEE10hipError_tPvRmT3_T4_T5_T6_T7_T9_mT8_P12ihipStream_tbDpT10_ENKUlT_T0_E_clISt17integral_constantIbLb0EES1B_IbLb1EEEEDaS17_S18_EUlS17_E_NS1_11comp_targetILNS1_3genE5ELNS1_11target_archE942ELNS1_3gpuE9ELNS1_3repE0EEENS1_30default_config_static_selectorELNS0_4arch9wavefront6targetE0EEEvT1_ ; -- Begin function _ZN7rocprim17ROCPRIM_400000_NS6detail17trampoline_kernelINS0_14default_configENS1_25partition_config_selectorILNS1_17partition_subalgoE8ElNS0_10empty_typeEbEEZZNS1_14partition_implILS5_8ELb0ES3_jPlPS6_PKS6_NS0_5tupleIJS9_S6_EEENSD_IJSA_SA_EEENS0_18inequality_wrapperIZN2at6native12_GLOBAL__N_124unique_dim_cuda_templateIhEESt5tupleIJNSH_6TensorESM_SM_EERKSM_lbbbEUlllE0_EEPmJS6_EEE10hipError_tPvRmT3_T4_T5_T6_T7_T9_mT8_P12ihipStream_tbDpT10_ENKUlT_T0_E_clISt17integral_constantIbLb0EES1B_IbLb1EEEEDaS17_S18_EUlS17_E_NS1_11comp_targetILNS1_3genE5ELNS1_11target_archE942ELNS1_3gpuE9ELNS1_3repE0EEENS1_30default_config_static_selectorELNS0_4arch9wavefront6targetE0EEEvT1_
	.p2align	8
	.type	_ZN7rocprim17ROCPRIM_400000_NS6detail17trampoline_kernelINS0_14default_configENS1_25partition_config_selectorILNS1_17partition_subalgoE8ElNS0_10empty_typeEbEEZZNS1_14partition_implILS5_8ELb0ES3_jPlPS6_PKS6_NS0_5tupleIJS9_S6_EEENSD_IJSA_SA_EEENS0_18inequality_wrapperIZN2at6native12_GLOBAL__N_124unique_dim_cuda_templateIhEESt5tupleIJNSH_6TensorESM_SM_EERKSM_lbbbEUlllE0_EEPmJS6_EEE10hipError_tPvRmT3_T4_T5_T6_T7_T9_mT8_P12ihipStream_tbDpT10_ENKUlT_T0_E_clISt17integral_constantIbLb0EES1B_IbLb1EEEEDaS17_S18_EUlS17_E_NS1_11comp_targetILNS1_3genE5ELNS1_11target_archE942ELNS1_3gpuE9ELNS1_3repE0EEENS1_30default_config_static_selectorELNS0_4arch9wavefront6targetE0EEEvT1_,@function
_ZN7rocprim17ROCPRIM_400000_NS6detail17trampoline_kernelINS0_14default_configENS1_25partition_config_selectorILNS1_17partition_subalgoE8ElNS0_10empty_typeEbEEZZNS1_14partition_implILS5_8ELb0ES3_jPlPS6_PKS6_NS0_5tupleIJS9_S6_EEENSD_IJSA_SA_EEENS0_18inequality_wrapperIZN2at6native12_GLOBAL__N_124unique_dim_cuda_templateIhEESt5tupleIJNSH_6TensorESM_SM_EERKSM_lbbbEUlllE0_EEPmJS6_EEE10hipError_tPvRmT3_T4_T5_T6_T7_T9_mT8_P12ihipStream_tbDpT10_ENKUlT_T0_E_clISt17integral_constantIbLb0EES1B_IbLb1EEEEDaS17_S18_EUlS17_E_NS1_11comp_targetILNS1_3genE5ELNS1_11target_archE942ELNS1_3gpuE9ELNS1_3repE0EEENS1_30default_config_static_selectorELNS0_4arch9wavefront6targetE0EEEvT1_: ; @_ZN7rocprim17ROCPRIM_400000_NS6detail17trampoline_kernelINS0_14default_configENS1_25partition_config_selectorILNS1_17partition_subalgoE8ElNS0_10empty_typeEbEEZZNS1_14partition_implILS5_8ELb0ES3_jPlPS6_PKS6_NS0_5tupleIJS9_S6_EEENSD_IJSA_SA_EEENS0_18inequality_wrapperIZN2at6native12_GLOBAL__N_124unique_dim_cuda_templateIhEESt5tupleIJNSH_6TensorESM_SM_EERKSM_lbbbEUlllE0_EEPmJS6_EEE10hipError_tPvRmT3_T4_T5_T6_T7_T9_mT8_P12ihipStream_tbDpT10_ENKUlT_T0_E_clISt17integral_constantIbLb0EES1B_IbLb1EEEEDaS17_S18_EUlS17_E_NS1_11comp_targetILNS1_3genE5ELNS1_11target_archE942ELNS1_3gpuE9ELNS1_3repE0EEENS1_30default_config_static_selectorELNS0_4arch9wavefront6targetE0EEEvT1_
; %bb.0:
	.section	.rodata,"a",@progbits
	.p2align	6, 0x0
	.amdhsa_kernel _ZN7rocprim17ROCPRIM_400000_NS6detail17trampoline_kernelINS0_14default_configENS1_25partition_config_selectorILNS1_17partition_subalgoE8ElNS0_10empty_typeEbEEZZNS1_14partition_implILS5_8ELb0ES3_jPlPS6_PKS6_NS0_5tupleIJS9_S6_EEENSD_IJSA_SA_EEENS0_18inequality_wrapperIZN2at6native12_GLOBAL__N_124unique_dim_cuda_templateIhEESt5tupleIJNSH_6TensorESM_SM_EERKSM_lbbbEUlllE0_EEPmJS6_EEE10hipError_tPvRmT3_T4_T5_T6_T7_T9_mT8_P12ihipStream_tbDpT10_ENKUlT_T0_E_clISt17integral_constantIbLb0EES1B_IbLb1EEEEDaS17_S18_EUlS17_E_NS1_11comp_targetILNS1_3genE5ELNS1_11target_archE942ELNS1_3gpuE9ELNS1_3repE0EEENS1_30default_config_static_selectorELNS0_4arch9wavefront6targetE0EEEvT1_
		.amdhsa_group_segment_fixed_size 0
		.amdhsa_private_segment_fixed_size 0
		.amdhsa_kernarg_size 136
		.amdhsa_user_sgpr_count 2
		.amdhsa_user_sgpr_dispatch_ptr 0
		.amdhsa_user_sgpr_queue_ptr 0
		.amdhsa_user_sgpr_kernarg_segment_ptr 1
		.amdhsa_user_sgpr_dispatch_id 0
		.amdhsa_user_sgpr_kernarg_preload_length 0
		.amdhsa_user_sgpr_kernarg_preload_offset 0
		.amdhsa_user_sgpr_private_segment_size 0
		.amdhsa_wavefront_size32 1
		.amdhsa_uses_dynamic_stack 0
		.amdhsa_enable_private_segment 0
		.amdhsa_system_sgpr_workgroup_id_x 1
		.amdhsa_system_sgpr_workgroup_id_y 0
		.amdhsa_system_sgpr_workgroup_id_z 0
		.amdhsa_system_sgpr_workgroup_info 0
		.amdhsa_system_vgpr_workitem_id 0
		.amdhsa_next_free_vgpr 1
		.amdhsa_next_free_sgpr 1
		.amdhsa_named_barrier_count 0
		.amdhsa_reserve_vcc 0
		.amdhsa_float_round_mode_32 0
		.amdhsa_float_round_mode_16_64 0
		.amdhsa_float_denorm_mode_32 3
		.amdhsa_float_denorm_mode_16_64 3
		.amdhsa_fp16_overflow 0
		.amdhsa_memory_ordered 1
		.amdhsa_forward_progress 1
		.amdhsa_inst_pref_size 0
		.amdhsa_round_robin_scheduling 0
		.amdhsa_exception_fp_ieee_invalid_op 0
		.amdhsa_exception_fp_denorm_src 0
		.amdhsa_exception_fp_ieee_div_zero 0
		.amdhsa_exception_fp_ieee_overflow 0
		.amdhsa_exception_fp_ieee_underflow 0
		.amdhsa_exception_fp_ieee_inexact 0
		.amdhsa_exception_int_div_zero 0
	.end_amdhsa_kernel
	.section	.text._ZN7rocprim17ROCPRIM_400000_NS6detail17trampoline_kernelINS0_14default_configENS1_25partition_config_selectorILNS1_17partition_subalgoE8ElNS0_10empty_typeEbEEZZNS1_14partition_implILS5_8ELb0ES3_jPlPS6_PKS6_NS0_5tupleIJS9_S6_EEENSD_IJSA_SA_EEENS0_18inequality_wrapperIZN2at6native12_GLOBAL__N_124unique_dim_cuda_templateIhEESt5tupleIJNSH_6TensorESM_SM_EERKSM_lbbbEUlllE0_EEPmJS6_EEE10hipError_tPvRmT3_T4_T5_T6_T7_T9_mT8_P12ihipStream_tbDpT10_ENKUlT_T0_E_clISt17integral_constantIbLb0EES1B_IbLb1EEEEDaS17_S18_EUlS17_E_NS1_11comp_targetILNS1_3genE5ELNS1_11target_archE942ELNS1_3gpuE9ELNS1_3repE0EEENS1_30default_config_static_selectorELNS0_4arch9wavefront6targetE0EEEvT1_,"axG",@progbits,_ZN7rocprim17ROCPRIM_400000_NS6detail17trampoline_kernelINS0_14default_configENS1_25partition_config_selectorILNS1_17partition_subalgoE8ElNS0_10empty_typeEbEEZZNS1_14partition_implILS5_8ELb0ES3_jPlPS6_PKS6_NS0_5tupleIJS9_S6_EEENSD_IJSA_SA_EEENS0_18inequality_wrapperIZN2at6native12_GLOBAL__N_124unique_dim_cuda_templateIhEESt5tupleIJNSH_6TensorESM_SM_EERKSM_lbbbEUlllE0_EEPmJS6_EEE10hipError_tPvRmT3_T4_T5_T6_T7_T9_mT8_P12ihipStream_tbDpT10_ENKUlT_T0_E_clISt17integral_constantIbLb0EES1B_IbLb1EEEEDaS17_S18_EUlS17_E_NS1_11comp_targetILNS1_3genE5ELNS1_11target_archE942ELNS1_3gpuE9ELNS1_3repE0EEENS1_30default_config_static_selectorELNS0_4arch9wavefront6targetE0EEEvT1_,comdat
.Lfunc_end197:
	.size	_ZN7rocprim17ROCPRIM_400000_NS6detail17trampoline_kernelINS0_14default_configENS1_25partition_config_selectorILNS1_17partition_subalgoE8ElNS0_10empty_typeEbEEZZNS1_14partition_implILS5_8ELb0ES3_jPlPS6_PKS6_NS0_5tupleIJS9_S6_EEENSD_IJSA_SA_EEENS0_18inequality_wrapperIZN2at6native12_GLOBAL__N_124unique_dim_cuda_templateIhEESt5tupleIJNSH_6TensorESM_SM_EERKSM_lbbbEUlllE0_EEPmJS6_EEE10hipError_tPvRmT3_T4_T5_T6_T7_T9_mT8_P12ihipStream_tbDpT10_ENKUlT_T0_E_clISt17integral_constantIbLb0EES1B_IbLb1EEEEDaS17_S18_EUlS17_E_NS1_11comp_targetILNS1_3genE5ELNS1_11target_archE942ELNS1_3gpuE9ELNS1_3repE0EEENS1_30default_config_static_selectorELNS0_4arch9wavefront6targetE0EEEvT1_, .Lfunc_end197-_ZN7rocprim17ROCPRIM_400000_NS6detail17trampoline_kernelINS0_14default_configENS1_25partition_config_selectorILNS1_17partition_subalgoE8ElNS0_10empty_typeEbEEZZNS1_14partition_implILS5_8ELb0ES3_jPlPS6_PKS6_NS0_5tupleIJS9_S6_EEENSD_IJSA_SA_EEENS0_18inequality_wrapperIZN2at6native12_GLOBAL__N_124unique_dim_cuda_templateIhEESt5tupleIJNSH_6TensorESM_SM_EERKSM_lbbbEUlllE0_EEPmJS6_EEE10hipError_tPvRmT3_T4_T5_T6_T7_T9_mT8_P12ihipStream_tbDpT10_ENKUlT_T0_E_clISt17integral_constantIbLb0EES1B_IbLb1EEEEDaS17_S18_EUlS17_E_NS1_11comp_targetILNS1_3genE5ELNS1_11target_archE942ELNS1_3gpuE9ELNS1_3repE0EEENS1_30default_config_static_selectorELNS0_4arch9wavefront6targetE0EEEvT1_
                                        ; -- End function
	.set _ZN7rocprim17ROCPRIM_400000_NS6detail17trampoline_kernelINS0_14default_configENS1_25partition_config_selectorILNS1_17partition_subalgoE8ElNS0_10empty_typeEbEEZZNS1_14partition_implILS5_8ELb0ES3_jPlPS6_PKS6_NS0_5tupleIJS9_S6_EEENSD_IJSA_SA_EEENS0_18inequality_wrapperIZN2at6native12_GLOBAL__N_124unique_dim_cuda_templateIhEESt5tupleIJNSH_6TensorESM_SM_EERKSM_lbbbEUlllE0_EEPmJS6_EEE10hipError_tPvRmT3_T4_T5_T6_T7_T9_mT8_P12ihipStream_tbDpT10_ENKUlT_T0_E_clISt17integral_constantIbLb0EES1B_IbLb1EEEEDaS17_S18_EUlS17_E_NS1_11comp_targetILNS1_3genE5ELNS1_11target_archE942ELNS1_3gpuE9ELNS1_3repE0EEENS1_30default_config_static_selectorELNS0_4arch9wavefront6targetE0EEEvT1_.num_vgpr, 0
	.set _ZN7rocprim17ROCPRIM_400000_NS6detail17trampoline_kernelINS0_14default_configENS1_25partition_config_selectorILNS1_17partition_subalgoE8ElNS0_10empty_typeEbEEZZNS1_14partition_implILS5_8ELb0ES3_jPlPS6_PKS6_NS0_5tupleIJS9_S6_EEENSD_IJSA_SA_EEENS0_18inequality_wrapperIZN2at6native12_GLOBAL__N_124unique_dim_cuda_templateIhEESt5tupleIJNSH_6TensorESM_SM_EERKSM_lbbbEUlllE0_EEPmJS6_EEE10hipError_tPvRmT3_T4_T5_T6_T7_T9_mT8_P12ihipStream_tbDpT10_ENKUlT_T0_E_clISt17integral_constantIbLb0EES1B_IbLb1EEEEDaS17_S18_EUlS17_E_NS1_11comp_targetILNS1_3genE5ELNS1_11target_archE942ELNS1_3gpuE9ELNS1_3repE0EEENS1_30default_config_static_selectorELNS0_4arch9wavefront6targetE0EEEvT1_.num_agpr, 0
	.set _ZN7rocprim17ROCPRIM_400000_NS6detail17trampoline_kernelINS0_14default_configENS1_25partition_config_selectorILNS1_17partition_subalgoE8ElNS0_10empty_typeEbEEZZNS1_14partition_implILS5_8ELb0ES3_jPlPS6_PKS6_NS0_5tupleIJS9_S6_EEENSD_IJSA_SA_EEENS0_18inequality_wrapperIZN2at6native12_GLOBAL__N_124unique_dim_cuda_templateIhEESt5tupleIJNSH_6TensorESM_SM_EERKSM_lbbbEUlllE0_EEPmJS6_EEE10hipError_tPvRmT3_T4_T5_T6_T7_T9_mT8_P12ihipStream_tbDpT10_ENKUlT_T0_E_clISt17integral_constantIbLb0EES1B_IbLb1EEEEDaS17_S18_EUlS17_E_NS1_11comp_targetILNS1_3genE5ELNS1_11target_archE942ELNS1_3gpuE9ELNS1_3repE0EEENS1_30default_config_static_selectorELNS0_4arch9wavefront6targetE0EEEvT1_.numbered_sgpr, 0
	.set _ZN7rocprim17ROCPRIM_400000_NS6detail17trampoline_kernelINS0_14default_configENS1_25partition_config_selectorILNS1_17partition_subalgoE8ElNS0_10empty_typeEbEEZZNS1_14partition_implILS5_8ELb0ES3_jPlPS6_PKS6_NS0_5tupleIJS9_S6_EEENSD_IJSA_SA_EEENS0_18inequality_wrapperIZN2at6native12_GLOBAL__N_124unique_dim_cuda_templateIhEESt5tupleIJNSH_6TensorESM_SM_EERKSM_lbbbEUlllE0_EEPmJS6_EEE10hipError_tPvRmT3_T4_T5_T6_T7_T9_mT8_P12ihipStream_tbDpT10_ENKUlT_T0_E_clISt17integral_constantIbLb0EES1B_IbLb1EEEEDaS17_S18_EUlS17_E_NS1_11comp_targetILNS1_3genE5ELNS1_11target_archE942ELNS1_3gpuE9ELNS1_3repE0EEENS1_30default_config_static_selectorELNS0_4arch9wavefront6targetE0EEEvT1_.num_named_barrier, 0
	.set _ZN7rocprim17ROCPRIM_400000_NS6detail17trampoline_kernelINS0_14default_configENS1_25partition_config_selectorILNS1_17partition_subalgoE8ElNS0_10empty_typeEbEEZZNS1_14partition_implILS5_8ELb0ES3_jPlPS6_PKS6_NS0_5tupleIJS9_S6_EEENSD_IJSA_SA_EEENS0_18inequality_wrapperIZN2at6native12_GLOBAL__N_124unique_dim_cuda_templateIhEESt5tupleIJNSH_6TensorESM_SM_EERKSM_lbbbEUlllE0_EEPmJS6_EEE10hipError_tPvRmT3_T4_T5_T6_T7_T9_mT8_P12ihipStream_tbDpT10_ENKUlT_T0_E_clISt17integral_constantIbLb0EES1B_IbLb1EEEEDaS17_S18_EUlS17_E_NS1_11comp_targetILNS1_3genE5ELNS1_11target_archE942ELNS1_3gpuE9ELNS1_3repE0EEENS1_30default_config_static_selectorELNS0_4arch9wavefront6targetE0EEEvT1_.private_seg_size, 0
	.set _ZN7rocprim17ROCPRIM_400000_NS6detail17trampoline_kernelINS0_14default_configENS1_25partition_config_selectorILNS1_17partition_subalgoE8ElNS0_10empty_typeEbEEZZNS1_14partition_implILS5_8ELb0ES3_jPlPS6_PKS6_NS0_5tupleIJS9_S6_EEENSD_IJSA_SA_EEENS0_18inequality_wrapperIZN2at6native12_GLOBAL__N_124unique_dim_cuda_templateIhEESt5tupleIJNSH_6TensorESM_SM_EERKSM_lbbbEUlllE0_EEPmJS6_EEE10hipError_tPvRmT3_T4_T5_T6_T7_T9_mT8_P12ihipStream_tbDpT10_ENKUlT_T0_E_clISt17integral_constantIbLb0EES1B_IbLb1EEEEDaS17_S18_EUlS17_E_NS1_11comp_targetILNS1_3genE5ELNS1_11target_archE942ELNS1_3gpuE9ELNS1_3repE0EEENS1_30default_config_static_selectorELNS0_4arch9wavefront6targetE0EEEvT1_.uses_vcc, 0
	.set _ZN7rocprim17ROCPRIM_400000_NS6detail17trampoline_kernelINS0_14default_configENS1_25partition_config_selectorILNS1_17partition_subalgoE8ElNS0_10empty_typeEbEEZZNS1_14partition_implILS5_8ELb0ES3_jPlPS6_PKS6_NS0_5tupleIJS9_S6_EEENSD_IJSA_SA_EEENS0_18inequality_wrapperIZN2at6native12_GLOBAL__N_124unique_dim_cuda_templateIhEESt5tupleIJNSH_6TensorESM_SM_EERKSM_lbbbEUlllE0_EEPmJS6_EEE10hipError_tPvRmT3_T4_T5_T6_T7_T9_mT8_P12ihipStream_tbDpT10_ENKUlT_T0_E_clISt17integral_constantIbLb0EES1B_IbLb1EEEEDaS17_S18_EUlS17_E_NS1_11comp_targetILNS1_3genE5ELNS1_11target_archE942ELNS1_3gpuE9ELNS1_3repE0EEENS1_30default_config_static_selectorELNS0_4arch9wavefront6targetE0EEEvT1_.uses_flat_scratch, 0
	.set _ZN7rocprim17ROCPRIM_400000_NS6detail17trampoline_kernelINS0_14default_configENS1_25partition_config_selectorILNS1_17partition_subalgoE8ElNS0_10empty_typeEbEEZZNS1_14partition_implILS5_8ELb0ES3_jPlPS6_PKS6_NS0_5tupleIJS9_S6_EEENSD_IJSA_SA_EEENS0_18inequality_wrapperIZN2at6native12_GLOBAL__N_124unique_dim_cuda_templateIhEESt5tupleIJNSH_6TensorESM_SM_EERKSM_lbbbEUlllE0_EEPmJS6_EEE10hipError_tPvRmT3_T4_T5_T6_T7_T9_mT8_P12ihipStream_tbDpT10_ENKUlT_T0_E_clISt17integral_constantIbLb0EES1B_IbLb1EEEEDaS17_S18_EUlS17_E_NS1_11comp_targetILNS1_3genE5ELNS1_11target_archE942ELNS1_3gpuE9ELNS1_3repE0EEENS1_30default_config_static_selectorELNS0_4arch9wavefront6targetE0EEEvT1_.has_dyn_sized_stack, 0
	.set _ZN7rocprim17ROCPRIM_400000_NS6detail17trampoline_kernelINS0_14default_configENS1_25partition_config_selectorILNS1_17partition_subalgoE8ElNS0_10empty_typeEbEEZZNS1_14partition_implILS5_8ELb0ES3_jPlPS6_PKS6_NS0_5tupleIJS9_S6_EEENSD_IJSA_SA_EEENS0_18inequality_wrapperIZN2at6native12_GLOBAL__N_124unique_dim_cuda_templateIhEESt5tupleIJNSH_6TensorESM_SM_EERKSM_lbbbEUlllE0_EEPmJS6_EEE10hipError_tPvRmT3_T4_T5_T6_T7_T9_mT8_P12ihipStream_tbDpT10_ENKUlT_T0_E_clISt17integral_constantIbLb0EES1B_IbLb1EEEEDaS17_S18_EUlS17_E_NS1_11comp_targetILNS1_3genE5ELNS1_11target_archE942ELNS1_3gpuE9ELNS1_3repE0EEENS1_30default_config_static_selectorELNS0_4arch9wavefront6targetE0EEEvT1_.has_recursion, 0
	.set _ZN7rocprim17ROCPRIM_400000_NS6detail17trampoline_kernelINS0_14default_configENS1_25partition_config_selectorILNS1_17partition_subalgoE8ElNS0_10empty_typeEbEEZZNS1_14partition_implILS5_8ELb0ES3_jPlPS6_PKS6_NS0_5tupleIJS9_S6_EEENSD_IJSA_SA_EEENS0_18inequality_wrapperIZN2at6native12_GLOBAL__N_124unique_dim_cuda_templateIhEESt5tupleIJNSH_6TensorESM_SM_EERKSM_lbbbEUlllE0_EEPmJS6_EEE10hipError_tPvRmT3_T4_T5_T6_T7_T9_mT8_P12ihipStream_tbDpT10_ENKUlT_T0_E_clISt17integral_constantIbLb0EES1B_IbLb1EEEEDaS17_S18_EUlS17_E_NS1_11comp_targetILNS1_3genE5ELNS1_11target_archE942ELNS1_3gpuE9ELNS1_3repE0EEENS1_30default_config_static_selectorELNS0_4arch9wavefront6targetE0EEEvT1_.has_indirect_call, 0
	.section	.AMDGPU.csdata,"",@progbits
; Kernel info:
; codeLenInByte = 0
; TotalNumSgprs: 0
; NumVgprs: 0
; ScratchSize: 0
; MemoryBound: 0
; FloatMode: 240
; IeeeMode: 1
; LDSByteSize: 0 bytes/workgroup (compile time only)
; SGPRBlocks: 0
; VGPRBlocks: 0
; NumSGPRsForWavesPerEU: 1
; NumVGPRsForWavesPerEU: 1
; NamedBarCnt: 0
; Occupancy: 16
; WaveLimiterHint : 0
; COMPUTE_PGM_RSRC2:SCRATCH_EN: 0
; COMPUTE_PGM_RSRC2:USER_SGPR: 2
; COMPUTE_PGM_RSRC2:TRAP_HANDLER: 0
; COMPUTE_PGM_RSRC2:TGID_X_EN: 1
; COMPUTE_PGM_RSRC2:TGID_Y_EN: 0
; COMPUTE_PGM_RSRC2:TGID_Z_EN: 0
; COMPUTE_PGM_RSRC2:TIDIG_COMP_CNT: 0
	.section	.text._ZN7rocprim17ROCPRIM_400000_NS6detail17trampoline_kernelINS0_14default_configENS1_25partition_config_selectorILNS1_17partition_subalgoE8ElNS0_10empty_typeEbEEZZNS1_14partition_implILS5_8ELb0ES3_jPlPS6_PKS6_NS0_5tupleIJS9_S6_EEENSD_IJSA_SA_EEENS0_18inequality_wrapperIZN2at6native12_GLOBAL__N_124unique_dim_cuda_templateIhEESt5tupleIJNSH_6TensorESM_SM_EERKSM_lbbbEUlllE0_EEPmJS6_EEE10hipError_tPvRmT3_T4_T5_T6_T7_T9_mT8_P12ihipStream_tbDpT10_ENKUlT_T0_E_clISt17integral_constantIbLb0EES1B_IbLb1EEEEDaS17_S18_EUlS17_E_NS1_11comp_targetILNS1_3genE4ELNS1_11target_archE910ELNS1_3gpuE8ELNS1_3repE0EEENS1_30default_config_static_selectorELNS0_4arch9wavefront6targetE0EEEvT1_,"axG",@progbits,_ZN7rocprim17ROCPRIM_400000_NS6detail17trampoline_kernelINS0_14default_configENS1_25partition_config_selectorILNS1_17partition_subalgoE8ElNS0_10empty_typeEbEEZZNS1_14partition_implILS5_8ELb0ES3_jPlPS6_PKS6_NS0_5tupleIJS9_S6_EEENSD_IJSA_SA_EEENS0_18inequality_wrapperIZN2at6native12_GLOBAL__N_124unique_dim_cuda_templateIhEESt5tupleIJNSH_6TensorESM_SM_EERKSM_lbbbEUlllE0_EEPmJS6_EEE10hipError_tPvRmT3_T4_T5_T6_T7_T9_mT8_P12ihipStream_tbDpT10_ENKUlT_T0_E_clISt17integral_constantIbLb0EES1B_IbLb1EEEEDaS17_S18_EUlS17_E_NS1_11comp_targetILNS1_3genE4ELNS1_11target_archE910ELNS1_3gpuE8ELNS1_3repE0EEENS1_30default_config_static_selectorELNS0_4arch9wavefront6targetE0EEEvT1_,comdat
	.globl	_ZN7rocprim17ROCPRIM_400000_NS6detail17trampoline_kernelINS0_14default_configENS1_25partition_config_selectorILNS1_17partition_subalgoE8ElNS0_10empty_typeEbEEZZNS1_14partition_implILS5_8ELb0ES3_jPlPS6_PKS6_NS0_5tupleIJS9_S6_EEENSD_IJSA_SA_EEENS0_18inequality_wrapperIZN2at6native12_GLOBAL__N_124unique_dim_cuda_templateIhEESt5tupleIJNSH_6TensorESM_SM_EERKSM_lbbbEUlllE0_EEPmJS6_EEE10hipError_tPvRmT3_T4_T5_T6_T7_T9_mT8_P12ihipStream_tbDpT10_ENKUlT_T0_E_clISt17integral_constantIbLb0EES1B_IbLb1EEEEDaS17_S18_EUlS17_E_NS1_11comp_targetILNS1_3genE4ELNS1_11target_archE910ELNS1_3gpuE8ELNS1_3repE0EEENS1_30default_config_static_selectorELNS0_4arch9wavefront6targetE0EEEvT1_ ; -- Begin function _ZN7rocprim17ROCPRIM_400000_NS6detail17trampoline_kernelINS0_14default_configENS1_25partition_config_selectorILNS1_17partition_subalgoE8ElNS0_10empty_typeEbEEZZNS1_14partition_implILS5_8ELb0ES3_jPlPS6_PKS6_NS0_5tupleIJS9_S6_EEENSD_IJSA_SA_EEENS0_18inequality_wrapperIZN2at6native12_GLOBAL__N_124unique_dim_cuda_templateIhEESt5tupleIJNSH_6TensorESM_SM_EERKSM_lbbbEUlllE0_EEPmJS6_EEE10hipError_tPvRmT3_T4_T5_T6_T7_T9_mT8_P12ihipStream_tbDpT10_ENKUlT_T0_E_clISt17integral_constantIbLb0EES1B_IbLb1EEEEDaS17_S18_EUlS17_E_NS1_11comp_targetILNS1_3genE4ELNS1_11target_archE910ELNS1_3gpuE8ELNS1_3repE0EEENS1_30default_config_static_selectorELNS0_4arch9wavefront6targetE0EEEvT1_
	.p2align	8
	.type	_ZN7rocprim17ROCPRIM_400000_NS6detail17trampoline_kernelINS0_14default_configENS1_25partition_config_selectorILNS1_17partition_subalgoE8ElNS0_10empty_typeEbEEZZNS1_14partition_implILS5_8ELb0ES3_jPlPS6_PKS6_NS0_5tupleIJS9_S6_EEENSD_IJSA_SA_EEENS0_18inequality_wrapperIZN2at6native12_GLOBAL__N_124unique_dim_cuda_templateIhEESt5tupleIJNSH_6TensorESM_SM_EERKSM_lbbbEUlllE0_EEPmJS6_EEE10hipError_tPvRmT3_T4_T5_T6_T7_T9_mT8_P12ihipStream_tbDpT10_ENKUlT_T0_E_clISt17integral_constantIbLb0EES1B_IbLb1EEEEDaS17_S18_EUlS17_E_NS1_11comp_targetILNS1_3genE4ELNS1_11target_archE910ELNS1_3gpuE8ELNS1_3repE0EEENS1_30default_config_static_selectorELNS0_4arch9wavefront6targetE0EEEvT1_,@function
_ZN7rocprim17ROCPRIM_400000_NS6detail17trampoline_kernelINS0_14default_configENS1_25partition_config_selectorILNS1_17partition_subalgoE8ElNS0_10empty_typeEbEEZZNS1_14partition_implILS5_8ELb0ES3_jPlPS6_PKS6_NS0_5tupleIJS9_S6_EEENSD_IJSA_SA_EEENS0_18inequality_wrapperIZN2at6native12_GLOBAL__N_124unique_dim_cuda_templateIhEESt5tupleIJNSH_6TensorESM_SM_EERKSM_lbbbEUlllE0_EEPmJS6_EEE10hipError_tPvRmT3_T4_T5_T6_T7_T9_mT8_P12ihipStream_tbDpT10_ENKUlT_T0_E_clISt17integral_constantIbLb0EES1B_IbLb1EEEEDaS17_S18_EUlS17_E_NS1_11comp_targetILNS1_3genE4ELNS1_11target_archE910ELNS1_3gpuE8ELNS1_3repE0EEENS1_30default_config_static_selectorELNS0_4arch9wavefront6targetE0EEEvT1_: ; @_ZN7rocprim17ROCPRIM_400000_NS6detail17trampoline_kernelINS0_14default_configENS1_25partition_config_selectorILNS1_17partition_subalgoE8ElNS0_10empty_typeEbEEZZNS1_14partition_implILS5_8ELb0ES3_jPlPS6_PKS6_NS0_5tupleIJS9_S6_EEENSD_IJSA_SA_EEENS0_18inequality_wrapperIZN2at6native12_GLOBAL__N_124unique_dim_cuda_templateIhEESt5tupleIJNSH_6TensorESM_SM_EERKSM_lbbbEUlllE0_EEPmJS6_EEE10hipError_tPvRmT3_T4_T5_T6_T7_T9_mT8_P12ihipStream_tbDpT10_ENKUlT_T0_E_clISt17integral_constantIbLb0EES1B_IbLb1EEEEDaS17_S18_EUlS17_E_NS1_11comp_targetILNS1_3genE4ELNS1_11target_archE910ELNS1_3gpuE8ELNS1_3repE0EEENS1_30default_config_static_selectorELNS0_4arch9wavefront6targetE0EEEvT1_
; %bb.0:
	.section	.rodata,"a",@progbits
	.p2align	6, 0x0
	.amdhsa_kernel _ZN7rocprim17ROCPRIM_400000_NS6detail17trampoline_kernelINS0_14default_configENS1_25partition_config_selectorILNS1_17partition_subalgoE8ElNS0_10empty_typeEbEEZZNS1_14partition_implILS5_8ELb0ES3_jPlPS6_PKS6_NS0_5tupleIJS9_S6_EEENSD_IJSA_SA_EEENS0_18inequality_wrapperIZN2at6native12_GLOBAL__N_124unique_dim_cuda_templateIhEESt5tupleIJNSH_6TensorESM_SM_EERKSM_lbbbEUlllE0_EEPmJS6_EEE10hipError_tPvRmT3_T4_T5_T6_T7_T9_mT8_P12ihipStream_tbDpT10_ENKUlT_T0_E_clISt17integral_constantIbLb0EES1B_IbLb1EEEEDaS17_S18_EUlS17_E_NS1_11comp_targetILNS1_3genE4ELNS1_11target_archE910ELNS1_3gpuE8ELNS1_3repE0EEENS1_30default_config_static_selectorELNS0_4arch9wavefront6targetE0EEEvT1_
		.amdhsa_group_segment_fixed_size 0
		.amdhsa_private_segment_fixed_size 0
		.amdhsa_kernarg_size 136
		.amdhsa_user_sgpr_count 2
		.amdhsa_user_sgpr_dispatch_ptr 0
		.amdhsa_user_sgpr_queue_ptr 0
		.amdhsa_user_sgpr_kernarg_segment_ptr 1
		.amdhsa_user_sgpr_dispatch_id 0
		.amdhsa_user_sgpr_kernarg_preload_length 0
		.amdhsa_user_sgpr_kernarg_preload_offset 0
		.amdhsa_user_sgpr_private_segment_size 0
		.amdhsa_wavefront_size32 1
		.amdhsa_uses_dynamic_stack 0
		.amdhsa_enable_private_segment 0
		.amdhsa_system_sgpr_workgroup_id_x 1
		.amdhsa_system_sgpr_workgroup_id_y 0
		.amdhsa_system_sgpr_workgroup_id_z 0
		.amdhsa_system_sgpr_workgroup_info 0
		.amdhsa_system_vgpr_workitem_id 0
		.amdhsa_next_free_vgpr 1
		.amdhsa_next_free_sgpr 1
		.amdhsa_named_barrier_count 0
		.amdhsa_reserve_vcc 0
		.amdhsa_float_round_mode_32 0
		.amdhsa_float_round_mode_16_64 0
		.amdhsa_float_denorm_mode_32 3
		.amdhsa_float_denorm_mode_16_64 3
		.amdhsa_fp16_overflow 0
		.amdhsa_memory_ordered 1
		.amdhsa_forward_progress 1
		.amdhsa_inst_pref_size 0
		.amdhsa_round_robin_scheduling 0
		.amdhsa_exception_fp_ieee_invalid_op 0
		.amdhsa_exception_fp_denorm_src 0
		.amdhsa_exception_fp_ieee_div_zero 0
		.amdhsa_exception_fp_ieee_overflow 0
		.amdhsa_exception_fp_ieee_underflow 0
		.amdhsa_exception_fp_ieee_inexact 0
		.amdhsa_exception_int_div_zero 0
	.end_amdhsa_kernel
	.section	.text._ZN7rocprim17ROCPRIM_400000_NS6detail17trampoline_kernelINS0_14default_configENS1_25partition_config_selectorILNS1_17partition_subalgoE8ElNS0_10empty_typeEbEEZZNS1_14partition_implILS5_8ELb0ES3_jPlPS6_PKS6_NS0_5tupleIJS9_S6_EEENSD_IJSA_SA_EEENS0_18inequality_wrapperIZN2at6native12_GLOBAL__N_124unique_dim_cuda_templateIhEESt5tupleIJNSH_6TensorESM_SM_EERKSM_lbbbEUlllE0_EEPmJS6_EEE10hipError_tPvRmT3_T4_T5_T6_T7_T9_mT8_P12ihipStream_tbDpT10_ENKUlT_T0_E_clISt17integral_constantIbLb0EES1B_IbLb1EEEEDaS17_S18_EUlS17_E_NS1_11comp_targetILNS1_3genE4ELNS1_11target_archE910ELNS1_3gpuE8ELNS1_3repE0EEENS1_30default_config_static_selectorELNS0_4arch9wavefront6targetE0EEEvT1_,"axG",@progbits,_ZN7rocprim17ROCPRIM_400000_NS6detail17trampoline_kernelINS0_14default_configENS1_25partition_config_selectorILNS1_17partition_subalgoE8ElNS0_10empty_typeEbEEZZNS1_14partition_implILS5_8ELb0ES3_jPlPS6_PKS6_NS0_5tupleIJS9_S6_EEENSD_IJSA_SA_EEENS0_18inequality_wrapperIZN2at6native12_GLOBAL__N_124unique_dim_cuda_templateIhEESt5tupleIJNSH_6TensorESM_SM_EERKSM_lbbbEUlllE0_EEPmJS6_EEE10hipError_tPvRmT3_T4_T5_T6_T7_T9_mT8_P12ihipStream_tbDpT10_ENKUlT_T0_E_clISt17integral_constantIbLb0EES1B_IbLb1EEEEDaS17_S18_EUlS17_E_NS1_11comp_targetILNS1_3genE4ELNS1_11target_archE910ELNS1_3gpuE8ELNS1_3repE0EEENS1_30default_config_static_selectorELNS0_4arch9wavefront6targetE0EEEvT1_,comdat
.Lfunc_end198:
	.size	_ZN7rocprim17ROCPRIM_400000_NS6detail17trampoline_kernelINS0_14default_configENS1_25partition_config_selectorILNS1_17partition_subalgoE8ElNS0_10empty_typeEbEEZZNS1_14partition_implILS5_8ELb0ES3_jPlPS6_PKS6_NS0_5tupleIJS9_S6_EEENSD_IJSA_SA_EEENS0_18inequality_wrapperIZN2at6native12_GLOBAL__N_124unique_dim_cuda_templateIhEESt5tupleIJNSH_6TensorESM_SM_EERKSM_lbbbEUlllE0_EEPmJS6_EEE10hipError_tPvRmT3_T4_T5_T6_T7_T9_mT8_P12ihipStream_tbDpT10_ENKUlT_T0_E_clISt17integral_constantIbLb0EES1B_IbLb1EEEEDaS17_S18_EUlS17_E_NS1_11comp_targetILNS1_3genE4ELNS1_11target_archE910ELNS1_3gpuE8ELNS1_3repE0EEENS1_30default_config_static_selectorELNS0_4arch9wavefront6targetE0EEEvT1_, .Lfunc_end198-_ZN7rocprim17ROCPRIM_400000_NS6detail17trampoline_kernelINS0_14default_configENS1_25partition_config_selectorILNS1_17partition_subalgoE8ElNS0_10empty_typeEbEEZZNS1_14partition_implILS5_8ELb0ES3_jPlPS6_PKS6_NS0_5tupleIJS9_S6_EEENSD_IJSA_SA_EEENS0_18inequality_wrapperIZN2at6native12_GLOBAL__N_124unique_dim_cuda_templateIhEESt5tupleIJNSH_6TensorESM_SM_EERKSM_lbbbEUlllE0_EEPmJS6_EEE10hipError_tPvRmT3_T4_T5_T6_T7_T9_mT8_P12ihipStream_tbDpT10_ENKUlT_T0_E_clISt17integral_constantIbLb0EES1B_IbLb1EEEEDaS17_S18_EUlS17_E_NS1_11comp_targetILNS1_3genE4ELNS1_11target_archE910ELNS1_3gpuE8ELNS1_3repE0EEENS1_30default_config_static_selectorELNS0_4arch9wavefront6targetE0EEEvT1_
                                        ; -- End function
	.set _ZN7rocprim17ROCPRIM_400000_NS6detail17trampoline_kernelINS0_14default_configENS1_25partition_config_selectorILNS1_17partition_subalgoE8ElNS0_10empty_typeEbEEZZNS1_14partition_implILS5_8ELb0ES3_jPlPS6_PKS6_NS0_5tupleIJS9_S6_EEENSD_IJSA_SA_EEENS0_18inequality_wrapperIZN2at6native12_GLOBAL__N_124unique_dim_cuda_templateIhEESt5tupleIJNSH_6TensorESM_SM_EERKSM_lbbbEUlllE0_EEPmJS6_EEE10hipError_tPvRmT3_T4_T5_T6_T7_T9_mT8_P12ihipStream_tbDpT10_ENKUlT_T0_E_clISt17integral_constantIbLb0EES1B_IbLb1EEEEDaS17_S18_EUlS17_E_NS1_11comp_targetILNS1_3genE4ELNS1_11target_archE910ELNS1_3gpuE8ELNS1_3repE0EEENS1_30default_config_static_selectorELNS0_4arch9wavefront6targetE0EEEvT1_.num_vgpr, 0
	.set _ZN7rocprim17ROCPRIM_400000_NS6detail17trampoline_kernelINS0_14default_configENS1_25partition_config_selectorILNS1_17partition_subalgoE8ElNS0_10empty_typeEbEEZZNS1_14partition_implILS5_8ELb0ES3_jPlPS6_PKS6_NS0_5tupleIJS9_S6_EEENSD_IJSA_SA_EEENS0_18inequality_wrapperIZN2at6native12_GLOBAL__N_124unique_dim_cuda_templateIhEESt5tupleIJNSH_6TensorESM_SM_EERKSM_lbbbEUlllE0_EEPmJS6_EEE10hipError_tPvRmT3_T4_T5_T6_T7_T9_mT8_P12ihipStream_tbDpT10_ENKUlT_T0_E_clISt17integral_constantIbLb0EES1B_IbLb1EEEEDaS17_S18_EUlS17_E_NS1_11comp_targetILNS1_3genE4ELNS1_11target_archE910ELNS1_3gpuE8ELNS1_3repE0EEENS1_30default_config_static_selectorELNS0_4arch9wavefront6targetE0EEEvT1_.num_agpr, 0
	.set _ZN7rocprim17ROCPRIM_400000_NS6detail17trampoline_kernelINS0_14default_configENS1_25partition_config_selectorILNS1_17partition_subalgoE8ElNS0_10empty_typeEbEEZZNS1_14partition_implILS5_8ELb0ES3_jPlPS6_PKS6_NS0_5tupleIJS9_S6_EEENSD_IJSA_SA_EEENS0_18inequality_wrapperIZN2at6native12_GLOBAL__N_124unique_dim_cuda_templateIhEESt5tupleIJNSH_6TensorESM_SM_EERKSM_lbbbEUlllE0_EEPmJS6_EEE10hipError_tPvRmT3_T4_T5_T6_T7_T9_mT8_P12ihipStream_tbDpT10_ENKUlT_T0_E_clISt17integral_constantIbLb0EES1B_IbLb1EEEEDaS17_S18_EUlS17_E_NS1_11comp_targetILNS1_3genE4ELNS1_11target_archE910ELNS1_3gpuE8ELNS1_3repE0EEENS1_30default_config_static_selectorELNS0_4arch9wavefront6targetE0EEEvT1_.numbered_sgpr, 0
	.set _ZN7rocprim17ROCPRIM_400000_NS6detail17trampoline_kernelINS0_14default_configENS1_25partition_config_selectorILNS1_17partition_subalgoE8ElNS0_10empty_typeEbEEZZNS1_14partition_implILS5_8ELb0ES3_jPlPS6_PKS6_NS0_5tupleIJS9_S6_EEENSD_IJSA_SA_EEENS0_18inequality_wrapperIZN2at6native12_GLOBAL__N_124unique_dim_cuda_templateIhEESt5tupleIJNSH_6TensorESM_SM_EERKSM_lbbbEUlllE0_EEPmJS6_EEE10hipError_tPvRmT3_T4_T5_T6_T7_T9_mT8_P12ihipStream_tbDpT10_ENKUlT_T0_E_clISt17integral_constantIbLb0EES1B_IbLb1EEEEDaS17_S18_EUlS17_E_NS1_11comp_targetILNS1_3genE4ELNS1_11target_archE910ELNS1_3gpuE8ELNS1_3repE0EEENS1_30default_config_static_selectorELNS0_4arch9wavefront6targetE0EEEvT1_.num_named_barrier, 0
	.set _ZN7rocprim17ROCPRIM_400000_NS6detail17trampoline_kernelINS0_14default_configENS1_25partition_config_selectorILNS1_17partition_subalgoE8ElNS0_10empty_typeEbEEZZNS1_14partition_implILS5_8ELb0ES3_jPlPS6_PKS6_NS0_5tupleIJS9_S6_EEENSD_IJSA_SA_EEENS0_18inequality_wrapperIZN2at6native12_GLOBAL__N_124unique_dim_cuda_templateIhEESt5tupleIJNSH_6TensorESM_SM_EERKSM_lbbbEUlllE0_EEPmJS6_EEE10hipError_tPvRmT3_T4_T5_T6_T7_T9_mT8_P12ihipStream_tbDpT10_ENKUlT_T0_E_clISt17integral_constantIbLb0EES1B_IbLb1EEEEDaS17_S18_EUlS17_E_NS1_11comp_targetILNS1_3genE4ELNS1_11target_archE910ELNS1_3gpuE8ELNS1_3repE0EEENS1_30default_config_static_selectorELNS0_4arch9wavefront6targetE0EEEvT1_.private_seg_size, 0
	.set _ZN7rocprim17ROCPRIM_400000_NS6detail17trampoline_kernelINS0_14default_configENS1_25partition_config_selectorILNS1_17partition_subalgoE8ElNS0_10empty_typeEbEEZZNS1_14partition_implILS5_8ELb0ES3_jPlPS6_PKS6_NS0_5tupleIJS9_S6_EEENSD_IJSA_SA_EEENS0_18inequality_wrapperIZN2at6native12_GLOBAL__N_124unique_dim_cuda_templateIhEESt5tupleIJNSH_6TensorESM_SM_EERKSM_lbbbEUlllE0_EEPmJS6_EEE10hipError_tPvRmT3_T4_T5_T6_T7_T9_mT8_P12ihipStream_tbDpT10_ENKUlT_T0_E_clISt17integral_constantIbLb0EES1B_IbLb1EEEEDaS17_S18_EUlS17_E_NS1_11comp_targetILNS1_3genE4ELNS1_11target_archE910ELNS1_3gpuE8ELNS1_3repE0EEENS1_30default_config_static_selectorELNS0_4arch9wavefront6targetE0EEEvT1_.uses_vcc, 0
	.set _ZN7rocprim17ROCPRIM_400000_NS6detail17trampoline_kernelINS0_14default_configENS1_25partition_config_selectorILNS1_17partition_subalgoE8ElNS0_10empty_typeEbEEZZNS1_14partition_implILS5_8ELb0ES3_jPlPS6_PKS6_NS0_5tupleIJS9_S6_EEENSD_IJSA_SA_EEENS0_18inequality_wrapperIZN2at6native12_GLOBAL__N_124unique_dim_cuda_templateIhEESt5tupleIJNSH_6TensorESM_SM_EERKSM_lbbbEUlllE0_EEPmJS6_EEE10hipError_tPvRmT3_T4_T5_T6_T7_T9_mT8_P12ihipStream_tbDpT10_ENKUlT_T0_E_clISt17integral_constantIbLb0EES1B_IbLb1EEEEDaS17_S18_EUlS17_E_NS1_11comp_targetILNS1_3genE4ELNS1_11target_archE910ELNS1_3gpuE8ELNS1_3repE0EEENS1_30default_config_static_selectorELNS0_4arch9wavefront6targetE0EEEvT1_.uses_flat_scratch, 0
	.set _ZN7rocprim17ROCPRIM_400000_NS6detail17trampoline_kernelINS0_14default_configENS1_25partition_config_selectorILNS1_17partition_subalgoE8ElNS0_10empty_typeEbEEZZNS1_14partition_implILS5_8ELb0ES3_jPlPS6_PKS6_NS0_5tupleIJS9_S6_EEENSD_IJSA_SA_EEENS0_18inequality_wrapperIZN2at6native12_GLOBAL__N_124unique_dim_cuda_templateIhEESt5tupleIJNSH_6TensorESM_SM_EERKSM_lbbbEUlllE0_EEPmJS6_EEE10hipError_tPvRmT3_T4_T5_T6_T7_T9_mT8_P12ihipStream_tbDpT10_ENKUlT_T0_E_clISt17integral_constantIbLb0EES1B_IbLb1EEEEDaS17_S18_EUlS17_E_NS1_11comp_targetILNS1_3genE4ELNS1_11target_archE910ELNS1_3gpuE8ELNS1_3repE0EEENS1_30default_config_static_selectorELNS0_4arch9wavefront6targetE0EEEvT1_.has_dyn_sized_stack, 0
	.set _ZN7rocprim17ROCPRIM_400000_NS6detail17trampoline_kernelINS0_14default_configENS1_25partition_config_selectorILNS1_17partition_subalgoE8ElNS0_10empty_typeEbEEZZNS1_14partition_implILS5_8ELb0ES3_jPlPS6_PKS6_NS0_5tupleIJS9_S6_EEENSD_IJSA_SA_EEENS0_18inequality_wrapperIZN2at6native12_GLOBAL__N_124unique_dim_cuda_templateIhEESt5tupleIJNSH_6TensorESM_SM_EERKSM_lbbbEUlllE0_EEPmJS6_EEE10hipError_tPvRmT3_T4_T5_T6_T7_T9_mT8_P12ihipStream_tbDpT10_ENKUlT_T0_E_clISt17integral_constantIbLb0EES1B_IbLb1EEEEDaS17_S18_EUlS17_E_NS1_11comp_targetILNS1_3genE4ELNS1_11target_archE910ELNS1_3gpuE8ELNS1_3repE0EEENS1_30default_config_static_selectorELNS0_4arch9wavefront6targetE0EEEvT1_.has_recursion, 0
	.set _ZN7rocprim17ROCPRIM_400000_NS6detail17trampoline_kernelINS0_14default_configENS1_25partition_config_selectorILNS1_17partition_subalgoE8ElNS0_10empty_typeEbEEZZNS1_14partition_implILS5_8ELb0ES3_jPlPS6_PKS6_NS0_5tupleIJS9_S6_EEENSD_IJSA_SA_EEENS0_18inequality_wrapperIZN2at6native12_GLOBAL__N_124unique_dim_cuda_templateIhEESt5tupleIJNSH_6TensorESM_SM_EERKSM_lbbbEUlllE0_EEPmJS6_EEE10hipError_tPvRmT3_T4_T5_T6_T7_T9_mT8_P12ihipStream_tbDpT10_ENKUlT_T0_E_clISt17integral_constantIbLb0EES1B_IbLb1EEEEDaS17_S18_EUlS17_E_NS1_11comp_targetILNS1_3genE4ELNS1_11target_archE910ELNS1_3gpuE8ELNS1_3repE0EEENS1_30default_config_static_selectorELNS0_4arch9wavefront6targetE0EEEvT1_.has_indirect_call, 0
	.section	.AMDGPU.csdata,"",@progbits
; Kernel info:
; codeLenInByte = 0
; TotalNumSgprs: 0
; NumVgprs: 0
; ScratchSize: 0
; MemoryBound: 0
; FloatMode: 240
; IeeeMode: 1
; LDSByteSize: 0 bytes/workgroup (compile time only)
; SGPRBlocks: 0
; VGPRBlocks: 0
; NumSGPRsForWavesPerEU: 1
; NumVGPRsForWavesPerEU: 1
; NamedBarCnt: 0
; Occupancy: 16
; WaveLimiterHint : 0
; COMPUTE_PGM_RSRC2:SCRATCH_EN: 0
; COMPUTE_PGM_RSRC2:USER_SGPR: 2
; COMPUTE_PGM_RSRC2:TRAP_HANDLER: 0
; COMPUTE_PGM_RSRC2:TGID_X_EN: 1
; COMPUTE_PGM_RSRC2:TGID_Y_EN: 0
; COMPUTE_PGM_RSRC2:TGID_Z_EN: 0
; COMPUTE_PGM_RSRC2:TIDIG_COMP_CNT: 0
	.section	.text._ZN7rocprim17ROCPRIM_400000_NS6detail17trampoline_kernelINS0_14default_configENS1_25partition_config_selectorILNS1_17partition_subalgoE8ElNS0_10empty_typeEbEEZZNS1_14partition_implILS5_8ELb0ES3_jPlPS6_PKS6_NS0_5tupleIJS9_S6_EEENSD_IJSA_SA_EEENS0_18inequality_wrapperIZN2at6native12_GLOBAL__N_124unique_dim_cuda_templateIhEESt5tupleIJNSH_6TensorESM_SM_EERKSM_lbbbEUlllE0_EEPmJS6_EEE10hipError_tPvRmT3_T4_T5_T6_T7_T9_mT8_P12ihipStream_tbDpT10_ENKUlT_T0_E_clISt17integral_constantIbLb0EES1B_IbLb1EEEEDaS17_S18_EUlS17_E_NS1_11comp_targetILNS1_3genE3ELNS1_11target_archE908ELNS1_3gpuE7ELNS1_3repE0EEENS1_30default_config_static_selectorELNS0_4arch9wavefront6targetE0EEEvT1_,"axG",@progbits,_ZN7rocprim17ROCPRIM_400000_NS6detail17trampoline_kernelINS0_14default_configENS1_25partition_config_selectorILNS1_17partition_subalgoE8ElNS0_10empty_typeEbEEZZNS1_14partition_implILS5_8ELb0ES3_jPlPS6_PKS6_NS0_5tupleIJS9_S6_EEENSD_IJSA_SA_EEENS0_18inequality_wrapperIZN2at6native12_GLOBAL__N_124unique_dim_cuda_templateIhEESt5tupleIJNSH_6TensorESM_SM_EERKSM_lbbbEUlllE0_EEPmJS6_EEE10hipError_tPvRmT3_T4_T5_T6_T7_T9_mT8_P12ihipStream_tbDpT10_ENKUlT_T0_E_clISt17integral_constantIbLb0EES1B_IbLb1EEEEDaS17_S18_EUlS17_E_NS1_11comp_targetILNS1_3genE3ELNS1_11target_archE908ELNS1_3gpuE7ELNS1_3repE0EEENS1_30default_config_static_selectorELNS0_4arch9wavefront6targetE0EEEvT1_,comdat
	.globl	_ZN7rocprim17ROCPRIM_400000_NS6detail17trampoline_kernelINS0_14default_configENS1_25partition_config_selectorILNS1_17partition_subalgoE8ElNS0_10empty_typeEbEEZZNS1_14partition_implILS5_8ELb0ES3_jPlPS6_PKS6_NS0_5tupleIJS9_S6_EEENSD_IJSA_SA_EEENS0_18inequality_wrapperIZN2at6native12_GLOBAL__N_124unique_dim_cuda_templateIhEESt5tupleIJNSH_6TensorESM_SM_EERKSM_lbbbEUlllE0_EEPmJS6_EEE10hipError_tPvRmT3_T4_T5_T6_T7_T9_mT8_P12ihipStream_tbDpT10_ENKUlT_T0_E_clISt17integral_constantIbLb0EES1B_IbLb1EEEEDaS17_S18_EUlS17_E_NS1_11comp_targetILNS1_3genE3ELNS1_11target_archE908ELNS1_3gpuE7ELNS1_3repE0EEENS1_30default_config_static_selectorELNS0_4arch9wavefront6targetE0EEEvT1_ ; -- Begin function _ZN7rocprim17ROCPRIM_400000_NS6detail17trampoline_kernelINS0_14default_configENS1_25partition_config_selectorILNS1_17partition_subalgoE8ElNS0_10empty_typeEbEEZZNS1_14partition_implILS5_8ELb0ES3_jPlPS6_PKS6_NS0_5tupleIJS9_S6_EEENSD_IJSA_SA_EEENS0_18inequality_wrapperIZN2at6native12_GLOBAL__N_124unique_dim_cuda_templateIhEESt5tupleIJNSH_6TensorESM_SM_EERKSM_lbbbEUlllE0_EEPmJS6_EEE10hipError_tPvRmT3_T4_T5_T6_T7_T9_mT8_P12ihipStream_tbDpT10_ENKUlT_T0_E_clISt17integral_constantIbLb0EES1B_IbLb1EEEEDaS17_S18_EUlS17_E_NS1_11comp_targetILNS1_3genE3ELNS1_11target_archE908ELNS1_3gpuE7ELNS1_3repE0EEENS1_30default_config_static_selectorELNS0_4arch9wavefront6targetE0EEEvT1_
	.p2align	8
	.type	_ZN7rocprim17ROCPRIM_400000_NS6detail17trampoline_kernelINS0_14default_configENS1_25partition_config_selectorILNS1_17partition_subalgoE8ElNS0_10empty_typeEbEEZZNS1_14partition_implILS5_8ELb0ES3_jPlPS6_PKS6_NS0_5tupleIJS9_S6_EEENSD_IJSA_SA_EEENS0_18inequality_wrapperIZN2at6native12_GLOBAL__N_124unique_dim_cuda_templateIhEESt5tupleIJNSH_6TensorESM_SM_EERKSM_lbbbEUlllE0_EEPmJS6_EEE10hipError_tPvRmT3_T4_T5_T6_T7_T9_mT8_P12ihipStream_tbDpT10_ENKUlT_T0_E_clISt17integral_constantIbLb0EES1B_IbLb1EEEEDaS17_S18_EUlS17_E_NS1_11comp_targetILNS1_3genE3ELNS1_11target_archE908ELNS1_3gpuE7ELNS1_3repE0EEENS1_30default_config_static_selectorELNS0_4arch9wavefront6targetE0EEEvT1_,@function
_ZN7rocprim17ROCPRIM_400000_NS6detail17trampoline_kernelINS0_14default_configENS1_25partition_config_selectorILNS1_17partition_subalgoE8ElNS0_10empty_typeEbEEZZNS1_14partition_implILS5_8ELb0ES3_jPlPS6_PKS6_NS0_5tupleIJS9_S6_EEENSD_IJSA_SA_EEENS0_18inequality_wrapperIZN2at6native12_GLOBAL__N_124unique_dim_cuda_templateIhEESt5tupleIJNSH_6TensorESM_SM_EERKSM_lbbbEUlllE0_EEPmJS6_EEE10hipError_tPvRmT3_T4_T5_T6_T7_T9_mT8_P12ihipStream_tbDpT10_ENKUlT_T0_E_clISt17integral_constantIbLb0EES1B_IbLb1EEEEDaS17_S18_EUlS17_E_NS1_11comp_targetILNS1_3genE3ELNS1_11target_archE908ELNS1_3gpuE7ELNS1_3repE0EEENS1_30default_config_static_selectorELNS0_4arch9wavefront6targetE0EEEvT1_: ; @_ZN7rocprim17ROCPRIM_400000_NS6detail17trampoline_kernelINS0_14default_configENS1_25partition_config_selectorILNS1_17partition_subalgoE8ElNS0_10empty_typeEbEEZZNS1_14partition_implILS5_8ELb0ES3_jPlPS6_PKS6_NS0_5tupleIJS9_S6_EEENSD_IJSA_SA_EEENS0_18inequality_wrapperIZN2at6native12_GLOBAL__N_124unique_dim_cuda_templateIhEESt5tupleIJNSH_6TensorESM_SM_EERKSM_lbbbEUlllE0_EEPmJS6_EEE10hipError_tPvRmT3_T4_T5_T6_T7_T9_mT8_P12ihipStream_tbDpT10_ENKUlT_T0_E_clISt17integral_constantIbLb0EES1B_IbLb1EEEEDaS17_S18_EUlS17_E_NS1_11comp_targetILNS1_3genE3ELNS1_11target_archE908ELNS1_3gpuE7ELNS1_3repE0EEENS1_30default_config_static_selectorELNS0_4arch9wavefront6targetE0EEEvT1_
; %bb.0:
	.section	.rodata,"a",@progbits
	.p2align	6, 0x0
	.amdhsa_kernel _ZN7rocprim17ROCPRIM_400000_NS6detail17trampoline_kernelINS0_14default_configENS1_25partition_config_selectorILNS1_17partition_subalgoE8ElNS0_10empty_typeEbEEZZNS1_14partition_implILS5_8ELb0ES3_jPlPS6_PKS6_NS0_5tupleIJS9_S6_EEENSD_IJSA_SA_EEENS0_18inequality_wrapperIZN2at6native12_GLOBAL__N_124unique_dim_cuda_templateIhEESt5tupleIJNSH_6TensorESM_SM_EERKSM_lbbbEUlllE0_EEPmJS6_EEE10hipError_tPvRmT3_T4_T5_T6_T7_T9_mT8_P12ihipStream_tbDpT10_ENKUlT_T0_E_clISt17integral_constantIbLb0EES1B_IbLb1EEEEDaS17_S18_EUlS17_E_NS1_11comp_targetILNS1_3genE3ELNS1_11target_archE908ELNS1_3gpuE7ELNS1_3repE0EEENS1_30default_config_static_selectorELNS0_4arch9wavefront6targetE0EEEvT1_
		.amdhsa_group_segment_fixed_size 0
		.amdhsa_private_segment_fixed_size 0
		.amdhsa_kernarg_size 136
		.amdhsa_user_sgpr_count 2
		.amdhsa_user_sgpr_dispatch_ptr 0
		.amdhsa_user_sgpr_queue_ptr 0
		.amdhsa_user_sgpr_kernarg_segment_ptr 1
		.amdhsa_user_sgpr_dispatch_id 0
		.amdhsa_user_sgpr_kernarg_preload_length 0
		.amdhsa_user_sgpr_kernarg_preload_offset 0
		.amdhsa_user_sgpr_private_segment_size 0
		.amdhsa_wavefront_size32 1
		.amdhsa_uses_dynamic_stack 0
		.amdhsa_enable_private_segment 0
		.amdhsa_system_sgpr_workgroup_id_x 1
		.amdhsa_system_sgpr_workgroup_id_y 0
		.amdhsa_system_sgpr_workgroup_id_z 0
		.amdhsa_system_sgpr_workgroup_info 0
		.amdhsa_system_vgpr_workitem_id 0
		.amdhsa_next_free_vgpr 1
		.amdhsa_next_free_sgpr 1
		.amdhsa_named_barrier_count 0
		.amdhsa_reserve_vcc 0
		.amdhsa_float_round_mode_32 0
		.amdhsa_float_round_mode_16_64 0
		.amdhsa_float_denorm_mode_32 3
		.amdhsa_float_denorm_mode_16_64 3
		.amdhsa_fp16_overflow 0
		.amdhsa_memory_ordered 1
		.amdhsa_forward_progress 1
		.amdhsa_inst_pref_size 0
		.amdhsa_round_robin_scheduling 0
		.amdhsa_exception_fp_ieee_invalid_op 0
		.amdhsa_exception_fp_denorm_src 0
		.amdhsa_exception_fp_ieee_div_zero 0
		.amdhsa_exception_fp_ieee_overflow 0
		.amdhsa_exception_fp_ieee_underflow 0
		.amdhsa_exception_fp_ieee_inexact 0
		.amdhsa_exception_int_div_zero 0
	.end_amdhsa_kernel
	.section	.text._ZN7rocprim17ROCPRIM_400000_NS6detail17trampoline_kernelINS0_14default_configENS1_25partition_config_selectorILNS1_17partition_subalgoE8ElNS0_10empty_typeEbEEZZNS1_14partition_implILS5_8ELb0ES3_jPlPS6_PKS6_NS0_5tupleIJS9_S6_EEENSD_IJSA_SA_EEENS0_18inequality_wrapperIZN2at6native12_GLOBAL__N_124unique_dim_cuda_templateIhEESt5tupleIJNSH_6TensorESM_SM_EERKSM_lbbbEUlllE0_EEPmJS6_EEE10hipError_tPvRmT3_T4_T5_T6_T7_T9_mT8_P12ihipStream_tbDpT10_ENKUlT_T0_E_clISt17integral_constantIbLb0EES1B_IbLb1EEEEDaS17_S18_EUlS17_E_NS1_11comp_targetILNS1_3genE3ELNS1_11target_archE908ELNS1_3gpuE7ELNS1_3repE0EEENS1_30default_config_static_selectorELNS0_4arch9wavefront6targetE0EEEvT1_,"axG",@progbits,_ZN7rocprim17ROCPRIM_400000_NS6detail17trampoline_kernelINS0_14default_configENS1_25partition_config_selectorILNS1_17partition_subalgoE8ElNS0_10empty_typeEbEEZZNS1_14partition_implILS5_8ELb0ES3_jPlPS6_PKS6_NS0_5tupleIJS9_S6_EEENSD_IJSA_SA_EEENS0_18inequality_wrapperIZN2at6native12_GLOBAL__N_124unique_dim_cuda_templateIhEESt5tupleIJNSH_6TensorESM_SM_EERKSM_lbbbEUlllE0_EEPmJS6_EEE10hipError_tPvRmT3_T4_T5_T6_T7_T9_mT8_P12ihipStream_tbDpT10_ENKUlT_T0_E_clISt17integral_constantIbLb0EES1B_IbLb1EEEEDaS17_S18_EUlS17_E_NS1_11comp_targetILNS1_3genE3ELNS1_11target_archE908ELNS1_3gpuE7ELNS1_3repE0EEENS1_30default_config_static_selectorELNS0_4arch9wavefront6targetE0EEEvT1_,comdat
.Lfunc_end199:
	.size	_ZN7rocprim17ROCPRIM_400000_NS6detail17trampoline_kernelINS0_14default_configENS1_25partition_config_selectorILNS1_17partition_subalgoE8ElNS0_10empty_typeEbEEZZNS1_14partition_implILS5_8ELb0ES3_jPlPS6_PKS6_NS0_5tupleIJS9_S6_EEENSD_IJSA_SA_EEENS0_18inequality_wrapperIZN2at6native12_GLOBAL__N_124unique_dim_cuda_templateIhEESt5tupleIJNSH_6TensorESM_SM_EERKSM_lbbbEUlllE0_EEPmJS6_EEE10hipError_tPvRmT3_T4_T5_T6_T7_T9_mT8_P12ihipStream_tbDpT10_ENKUlT_T0_E_clISt17integral_constantIbLb0EES1B_IbLb1EEEEDaS17_S18_EUlS17_E_NS1_11comp_targetILNS1_3genE3ELNS1_11target_archE908ELNS1_3gpuE7ELNS1_3repE0EEENS1_30default_config_static_selectorELNS0_4arch9wavefront6targetE0EEEvT1_, .Lfunc_end199-_ZN7rocprim17ROCPRIM_400000_NS6detail17trampoline_kernelINS0_14default_configENS1_25partition_config_selectorILNS1_17partition_subalgoE8ElNS0_10empty_typeEbEEZZNS1_14partition_implILS5_8ELb0ES3_jPlPS6_PKS6_NS0_5tupleIJS9_S6_EEENSD_IJSA_SA_EEENS0_18inequality_wrapperIZN2at6native12_GLOBAL__N_124unique_dim_cuda_templateIhEESt5tupleIJNSH_6TensorESM_SM_EERKSM_lbbbEUlllE0_EEPmJS6_EEE10hipError_tPvRmT3_T4_T5_T6_T7_T9_mT8_P12ihipStream_tbDpT10_ENKUlT_T0_E_clISt17integral_constantIbLb0EES1B_IbLb1EEEEDaS17_S18_EUlS17_E_NS1_11comp_targetILNS1_3genE3ELNS1_11target_archE908ELNS1_3gpuE7ELNS1_3repE0EEENS1_30default_config_static_selectorELNS0_4arch9wavefront6targetE0EEEvT1_
                                        ; -- End function
	.set _ZN7rocprim17ROCPRIM_400000_NS6detail17trampoline_kernelINS0_14default_configENS1_25partition_config_selectorILNS1_17partition_subalgoE8ElNS0_10empty_typeEbEEZZNS1_14partition_implILS5_8ELb0ES3_jPlPS6_PKS6_NS0_5tupleIJS9_S6_EEENSD_IJSA_SA_EEENS0_18inequality_wrapperIZN2at6native12_GLOBAL__N_124unique_dim_cuda_templateIhEESt5tupleIJNSH_6TensorESM_SM_EERKSM_lbbbEUlllE0_EEPmJS6_EEE10hipError_tPvRmT3_T4_T5_T6_T7_T9_mT8_P12ihipStream_tbDpT10_ENKUlT_T0_E_clISt17integral_constantIbLb0EES1B_IbLb1EEEEDaS17_S18_EUlS17_E_NS1_11comp_targetILNS1_3genE3ELNS1_11target_archE908ELNS1_3gpuE7ELNS1_3repE0EEENS1_30default_config_static_selectorELNS0_4arch9wavefront6targetE0EEEvT1_.num_vgpr, 0
	.set _ZN7rocprim17ROCPRIM_400000_NS6detail17trampoline_kernelINS0_14default_configENS1_25partition_config_selectorILNS1_17partition_subalgoE8ElNS0_10empty_typeEbEEZZNS1_14partition_implILS5_8ELb0ES3_jPlPS6_PKS6_NS0_5tupleIJS9_S6_EEENSD_IJSA_SA_EEENS0_18inequality_wrapperIZN2at6native12_GLOBAL__N_124unique_dim_cuda_templateIhEESt5tupleIJNSH_6TensorESM_SM_EERKSM_lbbbEUlllE0_EEPmJS6_EEE10hipError_tPvRmT3_T4_T5_T6_T7_T9_mT8_P12ihipStream_tbDpT10_ENKUlT_T0_E_clISt17integral_constantIbLb0EES1B_IbLb1EEEEDaS17_S18_EUlS17_E_NS1_11comp_targetILNS1_3genE3ELNS1_11target_archE908ELNS1_3gpuE7ELNS1_3repE0EEENS1_30default_config_static_selectorELNS0_4arch9wavefront6targetE0EEEvT1_.num_agpr, 0
	.set _ZN7rocprim17ROCPRIM_400000_NS6detail17trampoline_kernelINS0_14default_configENS1_25partition_config_selectorILNS1_17partition_subalgoE8ElNS0_10empty_typeEbEEZZNS1_14partition_implILS5_8ELb0ES3_jPlPS6_PKS6_NS0_5tupleIJS9_S6_EEENSD_IJSA_SA_EEENS0_18inequality_wrapperIZN2at6native12_GLOBAL__N_124unique_dim_cuda_templateIhEESt5tupleIJNSH_6TensorESM_SM_EERKSM_lbbbEUlllE0_EEPmJS6_EEE10hipError_tPvRmT3_T4_T5_T6_T7_T9_mT8_P12ihipStream_tbDpT10_ENKUlT_T0_E_clISt17integral_constantIbLb0EES1B_IbLb1EEEEDaS17_S18_EUlS17_E_NS1_11comp_targetILNS1_3genE3ELNS1_11target_archE908ELNS1_3gpuE7ELNS1_3repE0EEENS1_30default_config_static_selectorELNS0_4arch9wavefront6targetE0EEEvT1_.numbered_sgpr, 0
	.set _ZN7rocprim17ROCPRIM_400000_NS6detail17trampoline_kernelINS0_14default_configENS1_25partition_config_selectorILNS1_17partition_subalgoE8ElNS0_10empty_typeEbEEZZNS1_14partition_implILS5_8ELb0ES3_jPlPS6_PKS6_NS0_5tupleIJS9_S6_EEENSD_IJSA_SA_EEENS0_18inequality_wrapperIZN2at6native12_GLOBAL__N_124unique_dim_cuda_templateIhEESt5tupleIJNSH_6TensorESM_SM_EERKSM_lbbbEUlllE0_EEPmJS6_EEE10hipError_tPvRmT3_T4_T5_T6_T7_T9_mT8_P12ihipStream_tbDpT10_ENKUlT_T0_E_clISt17integral_constantIbLb0EES1B_IbLb1EEEEDaS17_S18_EUlS17_E_NS1_11comp_targetILNS1_3genE3ELNS1_11target_archE908ELNS1_3gpuE7ELNS1_3repE0EEENS1_30default_config_static_selectorELNS0_4arch9wavefront6targetE0EEEvT1_.num_named_barrier, 0
	.set _ZN7rocprim17ROCPRIM_400000_NS6detail17trampoline_kernelINS0_14default_configENS1_25partition_config_selectorILNS1_17partition_subalgoE8ElNS0_10empty_typeEbEEZZNS1_14partition_implILS5_8ELb0ES3_jPlPS6_PKS6_NS0_5tupleIJS9_S6_EEENSD_IJSA_SA_EEENS0_18inequality_wrapperIZN2at6native12_GLOBAL__N_124unique_dim_cuda_templateIhEESt5tupleIJNSH_6TensorESM_SM_EERKSM_lbbbEUlllE0_EEPmJS6_EEE10hipError_tPvRmT3_T4_T5_T6_T7_T9_mT8_P12ihipStream_tbDpT10_ENKUlT_T0_E_clISt17integral_constantIbLb0EES1B_IbLb1EEEEDaS17_S18_EUlS17_E_NS1_11comp_targetILNS1_3genE3ELNS1_11target_archE908ELNS1_3gpuE7ELNS1_3repE0EEENS1_30default_config_static_selectorELNS0_4arch9wavefront6targetE0EEEvT1_.private_seg_size, 0
	.set _ZN7rocprim17ROCPRIM_400000_NS6detail17trampoline_kernelINS0_14default_configENS1_25partition_config_selectorILNS1_17partition_subalgoE8ElNS0_10empty_typeEbEEZZNS1_14partition_implILS5_8ELb0ES3_jPlPS6_PKS6_NS0_5tupleIJS9_S6_EEENSD_IJSA_SA_EEENS0_18inequality_wrapperIZN2at6native12_GLOBAL__N_124unique_dim_cuda_templateIhEESt5tupleIJNSH_6TensorESM_SM_EERKSM_lbbbEUlllE0_EEPmJS6_EEE10hipError_tPvRmT3_T4_T5_T6_T7_T9_mT8_P12ihipStream_tbDpT10_ENKUlT_T0_E_clISt17integral_constantIbLb0EES1B_IbLb1EEEEDaS17_S18_EUlS17_E_NS1_11comp_targetILNS1_3genE3ELNS1_11target_archE908ELNS1_3gpuE7ELNS1_3repE0EEENS1_30default_config_static_selectorELNS0_4arch9wavefront6targetE0EEEvT1_.uses_vcc, 0
	.set _ZN7rocprim17ROCPRIM_400000_NS6detail17trampoline_kernelINS0_14default_configENS1_25partition_config_selectorILNS1_17partition_subalgoE8ElNS0_10empty_typeEbEEZZNS1_14partition_implILS5_8ELb0ES3_jPlPS6_PKS6_NS0_5tupleIJS9_S6_EEENSD_IJSA_SA_EEENS0_18inequality_wrapperIZN2at6native12_GLOBAL__N_124unique_dim_cuda_templateIhEESt5tupleIJNSH_6TensorESM_SM_EERKSM_lbbbEUlllE0_EEPmJS6_EEE10hipError_tPvRmT3_T4_T5_T6_T7_T9_mT8_P12ihipStream_tbDpT10_ENKUlT_T0_E_clISt17integral_constantIbLb0EES1B_IbLb1EEEEDaS17_S18_EUlS17_E_NS1_11comp_targetILNS1_3genE3ELNS1_11target_archE908ELNS1_3gpuE7ELNS1_3repE0EEENS1_30default_config_static_selectorELNS0_4arch9wavefront6targetE0EEEvT1_.uses_flat_scratch, 0
	.set _ZN7rocprim17ROCPRIM_400000_NS6detail17trampoline_kernelINS0_14default_configENS1_25partition_config_selectorILNS1_17partition_subalgoE8ElNS0_10empty_typeEbEEZZNS1_14partition_implILS5_8ELb0ES3_jPlPS6_PKS6_NS0_5tupleIJS9_S6_EEENSD_IJSA_SA_EEENS0_18inequality_wrapperIZN2at6native12_GLOBAL__N_124unique_dim_cuda_templateIhEESt5tupleIJNSH_6TensorESM_SM_EERKSM_lbbbEUlllE0_EEPmJS6_EEE10hipError_tPvRmT3_T4_T5_T6_T7_T9_mT8_P12ihipStream_tbDpT10_ENKUlT_T0_E_clISt17integral_constantIbLb0EES1B_IbLb1EEEEDaS17_S18_EUlS17_E_NS1_11comp_targetILNS1_3genE3ELNS1_11target_archE908ELNS1_3gpuE7ELNS1_3repE0EEENS1_30default_config_static_selectorELNS0_4arch9wavefront6targetE0EEEvT1_.has_dyn_sized_stack, 0
	.set _ZN7rocprim17ROCPRIM_400000_NS6detail17trampoline_kernelINS0_14default_configENS1_25partition_config_selectorILNS1_17partition_subalgoE8ElNS0_10empty_typeEbEEZZNS1_14partition_implILS5_8ELb0ES3_jPlPS6_PKS6_NS0_5tupleIJS9_S6_EEENSD_IJSA_SA_EEENS0_18inequality_wrapperIZN2at6native12_GLOBAL__N_124unique_dim_cuda_templateIhEESt5tupleIJNSH_6TensorESM_SM_EERKSM_lbbbEUlllE0_EEPmJS6_EEE10hipError_tPvRmT3_T4_T5_T6_T7_T9_mT8_P12ihipStream_tbDpT10_ENKUlT_T0_E_clISt17integral_constantIbLb0EES1B_IbLb1EEEEDaS17_S18_EUlS17_E_NS1_11comp_targetILNS1_3genE3ELNS1_11target_archE908ELNS1_3gpuE7ELNS1_3repE0EEENS1_30default_config_static_selectorELNS0_4arch9wavefront6targetE0EEEvT1_.has_recursion, 0
	.set _ZN7rocprim17ROCPRIM_400000_NS6detail17trampoline_kernelINS0_14default_configENS1_25partition_config_selectorILNS1_17partition_subalgoE8ElNS0_10empty_typeEbEEZZNS1_14partition_implILS5_8ELb0ES3_jPlPS6_PKS6_NS0_5tupleIJS9_S6_EEENSD_IJSA_SA_EEENS0_18inequality_wrapperIZN2at6native12_GLOBAL__N_124unique_dim_cuda_templateIhEESt5tupleIJNSH_6TensorESM_SM_EERKSM_lbbbEUlllE0_EEPmJS6_EEE10hipError_tPvRmT3_T4_T5_T6_T7_T9_mT8_P12ihipStream_tbDpT10_ENKUlT_T0_E_clISt17integral_constantIbLb0EES1B_IbLb1EEEEDaS17_S18_EUlS17_E_NS1_11comp_targetILNS1_3genE3ELNS1_11target_archE908ELNS1_3gpuE7ELNS1_3repE0EEENS1_30default_config_static_selectorELNS0_4arch9wavefront6targetE0EEEvT1_.has_indirect_call, 0
	.section	.AMDGPU.csdata,"",@progbits
; Kernel info:
; codeLenInByte = 0
; TotalNumSgprs: 0
; NumVgprs: 0
; ScratchSize: 0
; MemoryBound: 0
; FloatMode: 240
; IeeeMode: 1
; LDSByteSize: 0 bytes/workgroup (compile time only)
; SGPRBlocks: 0
; VGPRBlocks: 0
; NumSGPRsForWavesPerEU: 1
; NumVGPRsForWavesPerEU: 1
; NamedBarCnt: 0
; Occupancy: 16
; WaveLimiterHint : 0
; COMPUTE_PGM_RSRC2:SCRATCH_EN: 0
; COMPUTE_PGM_RSRC2:USER_SGPR: 2
; COMPUTE_PGM_RSRC2:TRAP_HANDLER: 0
; COMPUTE_PGM_RSRC2:TGID_X_EN: 1
; COMPUTE_PGM_RSRC2:TGID_Y_EN: 0
; COMPUTE_PGM_RSRC2:TGID_Z_EN: 0
; COMPUTE_PGM_RSRC2:TIDIG_COMP_CNT: 0
	.section	.text._ZN7rocprim17ROCPRIM_400000_NS6detail17trampoline_kernelINS0_14default_configENS1_25partition_config_selectorILNS1_17partition_subalgoE8ElNS0_10empty_typeEbEEZZNS1_14partition_implILS5_8ELb0ES3_jPlPS6_PKS6_NS0_5tupleIJS9_S6_EEENSD_IJSA_SA_EEENS0_18inequality_wrapperIZN2at6native12_GLOBAL__N_124unique_dim_cuda_templateIhEESt5tupleIJNSH_6TensorESM_SM_EERKSM_lbbbEUlllE0_EEPmJS6_EEE10hipError_tPvRmT3_T4_T5_T6_T7_T9_mT8_P12ihipStream_tbDpT10_ENKUlT_T0_E_clISt17integral_constantIbLb0EES1B_IbLb1EEEEDaS17_S18_EUlS17_E_NS1_11comp_targetILNS1_3genE2ELNS1_11target_archE906ELNS1_3gpuE6ELNS1_3repE0EEENS1_30default_config_static_selectorELNS0_4arch9wavefront6targetE0EEEvT1_,"axG",@progbits,_ZN7rocprim17ROCPRIM_400000_NS6detail17trampoline_kernelINS0_14default_configENS1_25partition_config_selectorILNS1_17partition_subalgoE8ElNS0_10empty_typeEbEEZZNS1_14partition_implILS5_8ELb0ES3_jPlPS6_PKS6_NS0_5tupleIJS9_S6_EEENSD_IJSA_SA_EEENS0_18inequality_wrapperIZN2at6native12_GLOBAL__N_124unique_dim_cuda_templateIhEESt5tupleIJNSH_6TensorESM_SM_EERKSM_lbbbEUlllE0_EEPmJS6_EEE10hipError_tPvRmT3_T4_T5_T6_T7_T9_mT8_P12ihipStream_tbDpT10_ENKUlT_T0_E_clISt17integral_constantIbLb0EES1B_IbLb1EEEEDaS17_S18_EUlS17_E_NS1_11comp_targetILNS1_3genE2ELNS1_11target_archE906ELNS1_3gpuE6ELNS1_3repE0EEENS1_30default_config_static_selectorELNS0_4arch9wavefront6targetE0EEEvT1_,comdat
	.globl	_ZN7rocprim17ROCPRIM_400000_NS6detail17trampoline_kernelINS0_14default_configENS1_25partition_config_selectorILNS1_17partition_subalgoE8ElNS0_10empty_typeEbEEZZNS1_14partition_implILS5_8ELb0ES3_jPlPS6_PKS6_NS0_5tupleIJS9_S6_EEENSD_IJSA_SA_EEENS0_18inequality_wrapperIZN2at6native12_GLOBAL__N_124unique_dim_cuda_templateIhEESt5tupleIJNSH_6TensorESM_SM_EERKSM_lbbbEUlllE0_EEPmJS6_EEE10hipError_tPvRmT3_T4_T5_T6_T7_T9_mT8_P12ihipStream_tbDpT10_ENKUlT_T0_E_clISt17integral_constantIbLb0EES1B_IbLb1EEEEDaS17_S18_EUlS17_E_NS1_11comp_targetILNS1_3genE2ELNS1_11target_archE906ELNS1_3gpuE6ELNS1_3repE0EEENS1_30default_config_static_selectorELNS0_4arch9wavefront6targetE0EEEvT1_ ; -- Begin function _ZN7rocprim17ROCPRIM_400000_NS6detail17trampoline_kernelINS0_14default_configENS1_25partition_config_selectorILNS1_17partition_subalgoE8ElNS0_10empty_typeEbEEZZNS1_14partition_implILS5_8ELb0ES3_jPlPS6_PKS6_NS0_5tupleIJS9_S6_EEENSD_IJSA_SA_EEENS0_18inequality_wrapperIZN2at6native12_GLOBAL__N_124unique_dim_cuda_templateIhEESt5tupleIJNSH_6TensorESM_SM_EERKSM_lbbbEUlllE0_EEPmJS6_EEE10hipError_tPvRmT3_T4_T5_T6_T7_T9_mT8_P12ihipStream_tbDpT10_ENKUlT_T0_E_clISt17integral_constantIbLb0EES1B_IbLb1EEEEDaS17_S18_EUlS17_E_NS1_11comp_targetILNS1_3genE2ELNS1_11target_archE906ELNS1_3gpuE6ELNS1_3repE0EEENS1_30default_config_static_selectorELNS0_4arch9wavefront6targetE0EEEvT1_
	.p2align	8
	.type	_ZN7rocprim17ROCPRIM_400000_NS6detail17trampoline_kernelINS0_14default_configENS1_25partition_config_selectorILNS1_17partition_subalgoE8ElNS0_10empty_typeEbEEZZNS1_14partition_implILS5_8ELb0ES3_jPlPS6_PKS6_NS0_5tupleIJS9_S6_EEENSD_IJSA_SA_EEENS0_18inequality_wrapperIZN2at6native12_GLOBAL__N_124unique_dim_cuda_templateIhEESt5tupleIJNSH_6TensorESM_SM_EERKSM_lbbbEUlllE0_EEPmJS6_EEE10hipError_tPvRmT3_T4_T5_T6_T7_T9_mT8_P12ihipStream_tbDpT10_ENKUlT_T0_E_clISt17integral_constantIbLb0EES1B_IbLb1EEEEDaS17_S18_EUlS17_E_NS1_11comp_targetILNS1_3genE2ELNS1_11target_archE906ELNS1_3gpuE6ELNS1_3repE0EEENS1_30default_config_static_selectorELNS0_4arch9wavefront6targetE0EEEvT1_,@function
_ZN7rocprim17ROCPRIM_400000_NS6detail17trampoline_kernelINS0_14default_configENS1_25partition_config_selectorILNS1_17partition_subalgoE8ElNS0_10empty_typeEbEEZZNS1_14partition_implILS5_8ELb0ES3_jPlPS6_PKS6_NS0_5tupleIJS9_S6_EEENSD_IJSA_SA_EEENS0_18inequality_wrapperIZN2at6native12_GLOBAL__N_124unique_dim_cuda_templateIhEESt5tupleIJNSH_6TensorESM_SM_EERKSM_lbbbEUlllE0_EEPmJS6_EEE10hipError_tPvRmT3_T4_T5_T6_T7_T9_mT8_P12ihipStream_tbDpT10_ENKUlT_T0_E_clISt17integral_constantIbLb0EES1B_IbLb1EEEEDaS17_S18_EUlS17_E_NS1_11comp_targetILNS1_3genE2ELNS1_11target_archE906ELNS1_3gpuE6ELNS1_3repE0EEENS1_30default_config_static_selectorELNS0_4arch9wavefront6targetE0EEEvT1_: ; @_ZN7rocprim17ROCPRIM_400000_NS6detail17trampoline_kernelINS0_14default_configENS1_25partition_config_selectorILNS1_17partition_subalgoE8ElNS0_10empty_typeEbEEZZNS1_14partition_implILS5_8ELb0ES3_jPlPS6_PKS6_NS0_5tupleIJS9_S6_EEENSD_IJSA_SA_EEENS0_18inequality_wrapperIZN2at6native12_GLOBAL__N_124unique_dim_cuda_templateIhEESt5tupleIJNSH_6TensorESM_SM_EERKSM_lbbbEUlllE0_EEPmJS6_EEE10hipError_tPvRmT3_T4_T5_T6_T7_T9_mT8_P12ihipStream_tbDpT10_ENKUlT_T0_E_clISt17integral_constantIbLb0EES1B_IbLb1EEEEDaS17_S18_EUlS17_E_NS1_11comp_targetILNS1_3genE2ELNS1_11target_archE906ELNS1_3gpuE6ELNS1_3repE0EEENS1_30default_config_static_selectorELNS0_4arch9wavefront6targetE0EEEvT1_
; %bb.0:
	.section	.rodata,"a",@progbits
	.p2align	6, 0x0
	.amdhsa_kernel _ZN7rocprim17ROCPRIM_400000_NS6detail17trampoline_kernelINS0_14default_configENS1_25partition_config_selectorILNS1_17partition_subalgoE8ElNS0_10empty_typeEbEEZZNS1_14partition_implILS5_8ELb0ES3_jPlPS6_PKS6_NS0_5tupleIJS9_S6_EEENSD_IJSA_SA_EEENS0_18inequality_wrapperIZN2at6native12_GLOBAL__N_124unique_dim_cuda_templateIhEESt5tupleIJNSH_6TensorESM_SM_EERKSM_lbbbEUlllE0_EEPmJS6_EEE10hipError_tPvRmT3_T4_T5_T6_T7_T9_mT8_P12ihipStream_tbDpT10_ENKUlT_T0_E_clISt17integral_constantIbLb0EES1B_IbLb1EEEEDaS17_S18_EUlS17_E_NS1_11comp_targetILNS1_3genE2ELNS1_11target_archE906ELNS1_3gpuE6ELNS1_3repE0EEENS1_30default_config_static_selectorELNS0_4arch9wavefront6targetE0EEEvT1_
		.amdhsa_group_segment_fixed_size 0
		.amdhsa_private_segment_fixed_size 0
		.amdhsa_kernarg_size 136
		.amdhsa_user_sgpr_count 2
		.amdhsa_user_sgpr_dispatch_ptr 0
		.amdhsa_user_sgpr_queue_ptr 0
		.amdhsa_user_sgpr_kernarg_segment_ptr 1
		.amdhsa_user_sgpr_dispatch_id 0
		.amdhsa_user_sgpr_kernarg_preload_length 0
		.amdhsa_user_sgpr_kernarg_preload_offset 0
		.amdhsa_user_sgpr_private_segment_size 0
		.amdhsa_wavefront_size32 1
		.amdhsa_uses_dynamic_stack 0
		.amdhsa_enable_private_segment 0
		.amdhsa_system_sgpr_workgroup_id_x 1
		.amdhsa_system_sgpr_workgroup_id_y 0
		.amdhsa_system_sgpr_workgroup_id_z 0
		.amdhsa_system_sgpr_workgroup_info 0
		.amdhsa_system_vgpr_workitem_id 0
		.amdhsa_next_free_vgpr 1
		.amdhsa_next_free_sgpr 1
		.amdhsa_named_barrier_count 0
		.amdhsa_reserve_vcc 0
		.amdhsa_float_round_mode_32 0
		.amdhsa_float_round_mode_16_64 0
		.amdhsa_float_denorm_mode_32 3
		.amdhsa_float_denorm_mode_16_64 3
		.amdhsa_fp16_overflow 0
		.amdhsa_memory_ordered 1
		.amdhsa_forward_progress 1
		.amdhsa_inst_pref_size 0
		.amdhsa_round_robin_scheduling 0
		.amdhsa_exception_fp_ieee_invalid_op 0
		.amdhsa_exception_fp_denorm_src 0
		.amdhsa_exception_fp_ieee_div_zero 0
		.amdhsa_exception_fp_ieee_overflow 0
		.amdhsa_exception_fp_ieee_underflow 0
		.amdhsa_exception_fp_ieee_inexact 0
		.amdhsa_exception_int_div_zero 0
	.end_amdhsa_kernel
	.section	.text._ZN7rocprim17ROCPRIM_400000_NS6detail17trampoline_kernelINS0_14default_configENS1_25partition_config_selectorILNS1_17partition_subalgoE8ElNS0_10empty_typeEbEEZZNS1_14partition_implILS5_8ELb0ES3_jPlPS6_PKS6_NS0_5tupleIJS9_S6_EEENSD_IJSA_SA_EEENS0_18inequality_wrapperIZN2at6native12_GLOBAL__N_124unique_dim_cuda_templateIhEESt5tupleIJNSH_6TensorESM_SM_EERKSM_lbbbEUlllE0_EEPmJS6_EEE10hipError_tPvRmT3_T4_T5_T6_T7_T9_mT8_P12ihipStream_tbDpT10_ENKUlT_T0_E_clISt17integral_constantIbLb0EES1B_IbLb1EEEEDaS17_S18_EUlS17_E_NS1_11comp_targetILNS1_3genE2ELNS1_11target_archE906ELNS1_3gpuE6ELNS1_3repE0EEENS1_30default_config_static_selectorELNS0_4arch9wavefront6targetE0EEEvT1_,"axG",@progbits,_ZN7rocprim17ROCPRIM_400000_NS6detail17trampoline_kernelINS0_14default_configENS1_25partition_config_selectorILNS1_17partition_subalgoE8ElNS0_10empty_typeEbEEZZNS1_14partition_implILS5_8ELb0ES3_jPlPS6_PKS6_NS0_5tupleIJS9_S6_EEENSD_IJSA_SA_EEENS0_18inequality_wrapperIZN2at6native12_GLOBAL__N_124unique_dim_cuda_templateIhEESt5tupleIJNSH_6TensorESM_SM_EERKSM_lbbbEUlllE0_EEPmJS6_EEE10hipError_tPvRmT3_T4_T5_T6_T7_T9_mT8_P12ihipStream_tbDpT10_ENKUlT_T0_E_clISt17integral_constantIbLb0EES1B_IbLb1EEEEDaS17_S18_EUlS17_E_NS1_11comp_targetILNS1_3genE2ELNS1_11target_archE906ELNS1_3gpuE6ELNS1_3repE0EEENS1_30default_config_static_selectorELNS0_4arch9wavefront6targetE0EEEvT1_,comdat
.Lfunc_end200:
	.size	_ZN7rocprim17ROCPRIM_400000_NS6detail17trampoline_kernelINS0_14default_configENS1_25partition_config_selectorILNS1_17partition_subalgoE8ElNS0_10empty_typeEbEEZZNS1_14partition_implILS5_8ELb0ES3_jPlPS6_PKS6_NS0_5tupleIJS9_S6_EEENSD_IJSA_SA_EEENS0_18inequality_wrapperIZN2at6native12_GLOBAL__N_124unique_dim_cuda_templateIhEESt5tupleIJNSH_6TensorESM_SM_EERKSM_lbbbEUlllE0_EEPmJS6_EEE10hipError_tPvRmT3_T4_T5_T6_T7_T9_mT8_P12ihipStream_tbDpT10_ENKUlT_T0_E_clISt17integral_constantIbLb0EES1B_IbLb1EEEEDaS17_S18_EUlS17_E_NS1_11comp_targetILNS1_3genE2ELNS1_11target_archE906ELNS1_3gpuE6ELNS1_3repE0EEENS1_30default_config_static_selectorELNS0_4arch9wavefront6targetE0EEEvT1_, .Lfunc_end200-_ZN7rocprim17ROCPRIM_400000_NS6detail17trampoline_kernelINS0_14default_configENS1_25partition_config_selectorILNS1_17partition_subalgoE8ElNS0_10empty_typeEbEEZZNS1_14partition_implILS5_8ELb0ES3_jPlPS6_PKS6_NS0_5tupleIJS9_S6_EEENSD_IJSA_SA_EEENS0_18inequality_wrapperIZN2at6native12_GLOBAL__N_124unique_dim_cuda_templateIhEESt5tupleIJNSH_6TensorESM_SM_EERKSM_lbbbEUlllE0_EEPmJS6_EEE10hipError_tPvRmT3_T4_T5_T6_T7_T9_mT8_P12ihipStream_tbDpT10_ENKUlT_T0_E_clISt17integral_constantIbLb0EES1B_IbLb1EEEEDaS17_S18_EUlS17_E_NS1_11comp_targetILNS1_3genE2ELNS1_11target_archE906ELNS1_3gpuE6ELNS1_3repE0EEENS1_30default_config_static_selectorELNS0_4arch9wavefront6targetE0EEEvT1_
                                        ; -- End function
	.set _ZN7rocprim17ROCPRIM_400000_NS6detail17trampoline_kernelINS0_14default_configENS1_25partition_config_selectorILNS1_17partition_subalgoE8ElNS0_10empty_typeEbEEZZNS1_14partition_implILS5_8ELb0ES3_jPlPS6_PKS6_NS0_5tupleIJS9_S6_EEENSD_IJSA_SA_EEENS0_18inequality_wrapperIZN2at6native12_GLOBAL__N_124unique_dim_cuda_templateIhEESt5tupleIJNSH_6TensorESM_SM_EERKSM_lbbbEUlllE0_EEPmJS6_EEE10hipError_tPvRmT3_T4_T5_T6_T7_T9_mT8_P12ihipStream_tbDpT10_ENKUlT_T0_E_clISt17integral_constantIbLb0EES1B_IbLb1EEEEDaS17_S18_EUlS17_E_NS1_11comp_targetILNS1_3genE2ELNS1_11target_archE906ELNS1_3gpuE6ELNS1_3repE0EEENS1_30default_config_static_selectorELNS0_4arch9wavefront6targetE0EEEvT1_.num_vgpr, 0
	.set _ZN7rocprim17ROCPRIM_400000_NS6detail17trampoline_kernelINS0_14default_configENS1_25partition_config_selectorILNS1_17partition_subalgoE8ElNS0_10empty_typeEbEEZZNS1_14partition_implILS5_8ELb0ES3_jPlPS6_PKS6_NS0_5tupleIJS9_S6_EEENSD_IJSA_SA_EEENS0_18inequality_wrapperIZN2at6native12_GLOBAL__N_124unique_dim_cuda_templateIhEESt5tupleIJNSH_6TensorESM_SM_EERKSM_lbbbEUlllE0_EEPmJS6_EEE10hipError_tPvRmT3_T4_T5_T6_T7_T9_mT8_P12ihipStream_tbDpT10_ENKUlT_T0_E_clISt17integral_constantIbLb0EES1B_IbLb1EEEEDaS17_S18_EUlS17_E_NS1_11comp_targetILNS1_3genE2ELNS1_11target_archE906ELNS1_3gpuE6ELNS1_3repE0EEENS1_30default_config_static_selectorELNS0_4arch9wavefront6targetE0EEEvT1_.num_agpr, 0
	.set _ZN7rocprim17ROCPRIM_400000_NS6detail17trampoline_kernelINS0_14default_configENS1_25partition_config_selectorILNS1_17partition_subalgoE8ElNS0_10empty_typeEbEEZZNS1_14partition_implILS5_8ELb0ES3_jPlPS6_PKS6_NS0_5tupleIJS9_S6_EEENSD_IJSA_SA_EEENS0_18inequality_wrapperIZN2at6native12_GLOBAL__N_124unique_dim_cuda_templateIhEESt5tupleIJNSH_6TensorESM_SM_EERKSM_lbbbEUlllE0_EEPmJS6_EEE10hipError_tPvRmT3_T4_T5_T6_T7_T9_mT8_P12ihipStream_tbDpT10_ENKUlT_T0_E_clISt17integral_constantIbLb0EES1B_IbLb1EEEEDaS17_S18_EUlS17_E_NS1_11comp_targetILNS1_3genE2ELNS1_11target_archE906ELNS1_3gpuE6ELNS1_3repE0EEENS1_30default_config_static_selectorELNS0_4arch9wavefront6targetE0EEEvT1_.numbered_sgpr, 0
	.set _ZN7rocprim17ROCPRIM_400000_NS6detail17trampoline_kernelINS0_14default_configENS1_25partition_config_selectorILNS1_17partition_subalgoE8ElNS0_10empty_typeEbEEZZNS1_14partition_implILS5_8ELb0ES3_jPlPS6_PKS6_NS0_5tupleIJS9_S6_EEENSD_IJSA_SA_EEENS0_18inequality_wrapperIZN2at6native12_GLOBAL__N_124unique_dim_cuda_templateIhEESt5tupleIJNSH_6TensorESM_SM_EERKSM_lbbbEUlllE0_EEPmJS6_EEE10hipError_tPvRmT3_T4_T5_T6_T7_T9_mT8_P12ihipStream_tbDpT10_ENKUlT_T0_E_clISt17integral_constantIbLb0EES1B_IbLb1EEEEDaS17_S18_EUlS17_E_NS1_11comp_targetILNS1_3genE2ELNS1_11target_archE906ELNS1_3gpuE6ELNS1_3repE0EEENS1_30default_config_static_selectorELNS0_4arch9wavefront6targetE0EEEvT1_.num_named_barrier, 0
	.set _ZN7rocprim17ROCPRIM_400000_NS6detail17trampoline_kernelINS0_14default_configENS1_25partition_config_selectorILNS1_17partition_subalgoE8ElNS0_10empty_typeEbEEZZNS1_14partition_implILS5_8ELb0ES3_jPlPS6_PKS6_NS0_5tupleIJS9_S6_EEENSD_IJSA_SA_EEENS0_18inequality_wrapperIZN2at6native12_GLOBAL__N_124unique_dim_cuda_templateIhEESt5tupleIJNSH_6TensorESM_SM_EERKSM_lbbbEUlllE0_EEPmJS6_EEE10hipError_tPvRmT3_T4_T5_T6_T7_T9_mT8_P12ihipStream_tbDpT10_ENKUlT_T0_E_clISt17integral_constantIbLb0EES1B_IbLb1EEEEDaS17_S18_EUlS17_E_NS1_11comp_targetILNS1_3genE2ELNS1_11target_archE906ELNS1_3gpuE6ELNS1_3repE0EEENS1_30default_config_static_selectorELNS0_4arch9wavefront6targetE0EEEvT1_.private_seg_size, 0
	.set _ZN7rocprim17ROCPRIM_400000_NS6detail17trampoline_kernelINS0_14default_configENS1_25partition_config_selectorILNS1_17partition_subalgoE8ElNS0_10empty_typeEbEEZZNS1_14partition_implILS5_8ELb0ES3_jPlPS6_PKS6_NS0_5tupleIJS9_S6_EEENSD_IJSA_SA_EEENS0_18inequality_wrapperIZN2at6native12_GLOBAL__N_124unique_dim_cuda_templateIhEESt5tupleIJNSH_6TensorESM_SM_EERKSM_lbbbEUlllE0_EEPmJS6_EEE10hipError_tPvRmT3_T4_T5_T6_T7_T9_mT8_P12ihipStream_tbDpT10_ENKUlT_T0_E_clISt17integral_constantIbLb0EES1B_IbLb1EEEEDaS17_S18_EUlS17_E_NS1_11comp_targetILNS1_3genE2ELNS1_11target_archE906ELNS1_3gpuE6ELNS1_3repE0EEENS1_30default_config_static_selectorELNS0_4arch9wavefront6targetE0EEEvT1_.uses_vcc, 0
	.set _ZN7rocprim17ROCPRIM_400000_NS6detail17trampoline_kernelINS0_14default_configENS1_25partition_config_selectorILNS1_17partition_subalgoE8ElNS0_10empty_typeEbEEZZNS1_14partition_implILS5_8ELb0ES3_jPlPS6_PKS6_NS0_5tupleIJS9_S6_EEENSD_IJSA_SA_EEENS0_18inequality_wrapperIZN2at6native12_GLOBAL__N_124unique_dim_cuda_templateIhEESt5tupleIJNSH_6TensorESM_SM_EERKSM_lbbbEUlllE0_EEPmJS6_EEE10hipError_tPvRmT3_T4_T5_T6_T7_T9_mT8_P12ihipStream_tbDpT10_ENKUlT_T0_E_clISt17integral_constantIbLb0EES1B_IbLb1EEEEDaS17_S18_EUlS17_E_NS1_11comp_targetILNS1_3genE2ELNS1_11target_archE906ELNS1_3gpuE6ELNS1_3repE0EEENS1_30default_config_static_selectorELNS0_4arch9wavefront6targetE0EEEvT1_.uses_flat_scratch, 0
	.set _ZN7rocprim17ROCPRIM_400000_NS6detail17trampoline_kernelINS0_14default_configENS1_25partition_config_selectorILNS1_17partition_subalgoE8ElNS0_10empty_typeEbEEZZNS1_14partition_implILS5_8ELb0ES3_jPlPS6_PKS6_NS0_5tupleIJS9_S6_EEENSD_IJSA_SA_EEENS0_18inequality_wrapperIZN2at6native12_GLOBAL__N_124unique_dim_cuda_templateIhEESt5tupleIJNSH_6TensorESM_SM_EERKSM_lbbbEUlllE0_EEPmJS6_EEE10hipError_tPvRmT3_T4_T5_T6_T7_T9_mT8_P12ihipStream_tbDpT10_ENKUlT_T0_E_clISt17integral_constantIbLb0EES1B_IbLb1EEEEDaS17_S18_EUlS17_E_NS1_11comp_targetILNS1_3genE2ELNS1_11target_archE906ELNS1_3gpuE6ELNS1_3repE0EEENS1_30default_config_static_selectorELNS0_4arch9wavefront6targetE0EEEvT1_.has_dyn_sized_stack, 0
	.set _ZN7rocprim17ROCPRIM_400000_NS6detail17trampoline_kernelINS0_14default_configENS1_25partition_config_selectorILNS1_17partition_subalgoE8ElNS0_10empty_typeEbEEZZNS1_14partition_implILS5_8ELb0ES3_jPlPS6_PKS6_NS0_5tupleIJS9_S6_EEENSD_IJSA_SA_EEENS0_18inequality_wrapperIZN2at6native12_GLOBAL__N_124unique_dim_cuda_templateIhEESt5tupleIJNSH_6TensorESM_SM_EERKSM_lbbbEUlllE0_EEPmJS6_EEE10hipError_tPvRmT3_T4_T5_T6_T7_T9_mT8_P12ihipStream_tbDpT10_ENKUlT_T0_E_clISt17integral_constantIbLb0EES1B_IbLb1EEEEDaS17_S18_EUlS17_E_NS1_11comp_targetILNS1_3genE2ELNS1_11target_archE906ELNS1_3gpuE6ELNS1_3repE0EEENS1_30default_config_static_selectorELNS0_4arch9wavefront6targetE0EEEvT1_.has_recursion, 0
	.set _ZN7rocprim17ROCPRIM_400000_NS6detail17trampoline_kernelINS0_14default_configENS1_25partition_config_selectorILNS1_17partition_subalgoE8ElNS0_10empty_typeEbEEZZNS1_14partition_implILS5_8ELb0ES3_jPlPS6_PKS6_NS0_5tupleIJS9_S6_EEENSD_IJSA_SA_EEENS0_18inequality_wrapperIZN2at6native12_GLOBAL__N_124unique_dim_cuda_templateIhEESt5tupleIJNSH_6TensorESM_SM_EERKSM_lbbbEUlllE0_EEPmJS6_EEE10hipError_tPvRmT3_T4_T5_T6_T7_T9_mT8_P12ihipStream_tbDpT10_ENKUlT_T0_E_clISt17integral_constantIbLb0EES1B_IbLb1EEEEDaS17_S18_EUlS17_E_NS1_11comp_targetILNS1_3genE2ELNS1_11target_archE906ELNS1_3gpuE6ELNS1_3repE0EEENS1_30default_config_static_selectorELNS0_4arch9wavefront6targetE0EEEvT1_.has_indirect_call, 0
	.section	.AMDGPU.csdata,"",@progbits
; Kernel info:
; codeLenInByte = 0
; TotalNumSgprs: 0
; NumVgprs: 0
; ScratchSize: 0
; MemoryBound: 0
; FloatMode: 240
; IeeeMode: 1
; LDSByteSize: 0 bytes/workgroup (compile time only)
; SGPRBlocks: 0
; VGPRBlocks: 0
; NumSGPRsForWavesPerEU: 1
; NumVGPRsForWavesPerEU: 1
; NamedBarCnt: 0
; Occupancy: 16
; WaveLimiterHint : 0
; COMPUTE_PGM_RSRC2:SCRATCH_EN: 0
; COMPUTE_PGM_RSRC2:USER_SGPR: 2
; COMPUTE_PGM_RSRC2:TRAP_HANDLER: 0
; COMPUTE_PGM_RSRC2:TGID_X_EN: 1
; COMPUTE_PGM_RSRC2:TGID_Y_EN: 0
; COMPUTE_PGM_RSRC2:TGID_Z_EN: 0
; COMPUTE_PGM_RSRC2:TIDIG_COMP_CNT: 0
	.section	.text._ZN7rocprim17ROCPRIM_400000_NS6detail17trampoline_kernelINS0_14default_configENS1_25partition_config_selectorILNS1_17partition_subalgoE8ElNS0_10empty_typeEbEEZZNS1_14partition_implILS5_8ELb0ES3_jPlPS6_PKS6_NS0_5tupleIJS9_S6_EEENSD_IJSA_SA_EEENS0_18inequality_wrapperIZN2at6native12_GLOBAL__N_124unique_dim_cuda_templateIhEESt5tupleIJNSH_6TensorESM_SM_EERKSM_lbbbEUlllE0_EEPmJS6_EEE10hipError_tPvRmT3_T4_T5_T6_T7_T9_mT8_P12ihipStream_tbDpT10_ENKUlT_T0_E_clISt17integral_constantIbLb0EES1B_IbLb1EEEEDaS17_S18_EUlS17_E_NS1_11comp_targetILNS1_3genE10ELNS1_11target_archE1200ELNS1_3gpuE4ELNS1_3repE0EEENS1_30default_config_static_selectorELNS0_4arch9wavefront6targetE0EEEvT1_,"axG",@progbits,_ZN7rocprim17ROCPRIM_400000_NS6detail17trampoline_kernelINS0_14default_configENS1_25partition_config_selectorILNS1_17partition_subalgoE8ElNS0_10empty_typeEbEEZZNS1_14partition_implILS5_8ELb0ES3_jPlPS6_PKS6_NS0_5tupleIJS9_S6_EEENSD_IJSA_SA_EEENS0_18inequality_wrapperIZN2at6native12_GLOBAL__N_124unique_dim_cuda_templateIhEESt5tupleIJNSH_6TensorESM_SM_EERKSM_lbbbEUlllE0_EEPmJS6_EEE10hipError_tPvRmT3_T4_T5_T6_T7_T9_mT8_P12ihipStream_tbDpT10_ENKUlT_T0_E_clISt17integral_constantIbLb0EES1B_IbLb1EEEEDaS17_S18_EUlS17_E_NS1_11comp_targetILNS1_3genE10ELNS1_11target_archE1200ELNS1_3gpuE4ELNS1_3repE0EEENS1_30default_config_static_selectorELNS0_4arch9wavefront6targetE0EEEvT1_,comdat
	.globl	_ZN7rocprim17ROCPRIM_400000_NS6detail17trampoline_kernelINS0_14default_configENS1_25partition_config_selectorILNS1_17partition_subalgoE8ElNS0_10empty_typeEbEEZZNS1_14partition_implILS5_8ELb0ES3_jPlPS6_PKS6_NS0_5tupleIJS9_S6_EEENSD_IJSA_SA_EEENS0_18inequality_wrapperIZN2at6native12_GLOBAL__N_124unique_dim_cuda_templateIhEESt5tupleIJNSH_6TensorESM_SM_EERKSM_lbbbEUlllE0_EEPmJS6_EEE10hipError_tPvRmT3_T4_T5_T6_T7_T9_mT8_P12ihipStream_tbDpT10_ENKUlT_T0_E_clISt17integral_constantIbLb0EES1B_IbLb1EEEEDaS17_S18_EUlS17_E_NS1_11comp_targetILNS1_3genE10ELNS1_11target_archE1200ELNS1_3gpuE4ELNS1_3repE0EEENS1_30default_config_static_selectorELNS0_4arch9wavefront6targetE0EEEvT1_ ; -- Begin function _ZN7rocprim17ROCPRIM_400000_NS6detail17trampoline_kernelINS0_14default_configENS1_25partition_config_selectorILNS1_17partition_subalgoE8ElNS0_10empty_typeEbEEZZNS1_14partition_implILS5_8ELb0ES3_jPlPS6_PKS6_NS0_5tupleIJS9_S6_EEENSD_IJSA_SA_EEENS0_18inequality_wrapperIZN2at6native12_GLOBAL__N_124unique_dim_cuda_templateIhEESt5tupleIJNSH_6TensorESM_SM_EERKSM_lbbbEUlllE0_EEPmJS6_EEE10hipError_tPvRmT3_T4_T5_T6_T7_T9_mT8_P12ihipStream_tbDpT10_ENKUlT_T0_E_clISt17integral_constantIbLb0EES1B_IbLb1EEEEDaS17_S18_EUlS17_E_NS1_11comp_targetILNS1_3genE10ELNS1_11target_archE1200ELNS1_3gpuE4ELNS1_3repE0EEENS1_30default_config_static_selectorELNS0_4arch9wavefront6targetE0EEEvT1_
	.p2align	8
	.type	_ZN7rocprim17ROCPRIM_400000_NS6detail17trampoline_kernelINS0_14default_configENS1_25partition_config_selectorILNS1_17partition_subalgoE8ElNS0_10empty_typeEbEEZZNS1_14partition_implILS5_8ELb0ES3_jPlPS6_PKS6_NS0_5tupleIJS9_S6_EEENSD_IJSA_SA_EEENS0_18inequality_wrapperIZN2at6native12_GLOBAL__N_124unique_dim_cuda_templateIhEESt5tupleIJNSH_6TensorESM_SM_EERKSM_lbbbEUlllE0_EEPmJS6_EEE10hipError_tPvRmT3_T4_T5_T6_T7_T9_mT8_P12ihipStream_tbDpT10_ENKUlT_T0_E_clISt17integral_constantIbLb0EES1B_IbLb1EEEEDaS17_S18_EUlS17_E_NS1_11comp_targetILNS1_3genE10ELNS1_11target_archE1200ELNS1_3gpuE4ELNS1_3repE0EEENS1_30default_config_static_selectorELNS0_4arch9wavefront6targetE0EEEvT1_,@function
_ZN7rocprim17ROCPRIM_400000_NS6detail17trampoline_kernelINS0_14default_configENS1_25partition_config_selectorILNS1_17partition_subalgoE8ElNS0_10empty_typeEbEEZZNS1_14partition_implILS5_8ELb0ES3_jPlPS6_PKS6_NS0_5tupleIJS9_S6_EEENSD_IJSA_SA_EEENS0_18inequality_wrapperIZN2at6native12_GLOBAL__N_124unique_dim_cuda_templateIhEESt5tupleIJNSH_6TensorESM_SM_EERKSM_lbbbEUlllE0_EEPmJS6_EEE10hipError_tPvRmT3_T4_T5_T6_T7_T9_mT8_P12ihipStream_tbDpT10_ENKUlT_T0_E_clISt17integral_constantIbLb0EES1B_IbLb1EEEEDaS17_S18_EUlS17_E_NS1_11comp_targetILNS1_3genE10ELNS1_11target_archE1200ELNS1_3gpuE4ELNS1_3repE0EEENS1_30default_config_static_selectorELNS0_4arch9wavefront6targetE0EEEvT1_: ; @_ZN7rocprim17ROCPRIM_400000_NS6detail17trampoline_kernelINS0_14default_configENS1_25partition_config_selectorILNS1_17partition_subalgoE8ElNS0_10empty_typeEbEEZZNS1_14partition_implILS5_8ELb0ES3_jPlPS6_PKS6_NS0_5tupleIJS9_S6_EEENSD_IJSA_SA_EEENS0_18inequality_wrapperIZN2at6native12_GLOBAL__N_124unique_dim_cuda_templateIhEESt5tupleIJNSH_6TensorESM_SM_EERKSM_lbbbEUlllE0_EEPmJS6_EEE10hipError_tPvRmT3_T4_T5_T6_T7_T9_mT8_P12ihipStream_tbDpT10_ENKUlT_T0_E_clISt17integral_constantIbLb0EES1B_IbLb1EEEEDaS17_S18_EUlS17_E_NS1_11comp_targetILNS1_3genE10ELNS1_11target_archE1200ELNS1_3gpuE4ELNS1_3repE0EEENS1_30default_config_static_selectorELNS0_4arch9wavefront6targetE0EEEvT1_
; %bb.0:
	.section	.rodata,"a",@progbits
	.p2align	6, 0x0
	.amdhsa_kernel _ZN7rocprim17ROCPRIM_400000_NS6detail17trampoline_kernelINS0_14default_configENS1_25partition_config_selectorILNS1_17partition_subalgoE8ElNS0_10empty_typeEbEEZZNS1_14partition_implILS5_8ELb0ES3_jPlPS6_PKS6_NS0_5tupleIJS9_S6_EEENSD_IJSA_SA_EEENS0_18inequality_wrapperIZN2at6native12_GLOBAL__N_124unique_dim_cuda_templateIhEESt5tupleIJNSH_6TensorESM_SM_EERKSM_lbbbEUlllE0_EEPmJS6_EEE10hipError_tPvRmT3_T4_T5_T6_T7_T9_mT8_P12ihipStream_tbDpT10_ENKUlT_T0_E_clISt17integral_constantIbLb0EES1B_IbLb1EEEEDaS17_S18_EUlS17_E_NS1_11comp_targetILNS1_3genE10ELNS1_11target_archE1200ELNS1_3gpuE4ELNS1_3repE0EEENS1_30default_config_static_selectorELNS0_4arch9wavefront6targetE0EEEvT1_
		.amdhsa_group_segment_fixed_size 0
		.amdhsa_private_segment_fixed_size 0
		.amdhsa_kernarg_size 136
		.amdhsa_user_sgpr_count 2
		.amdhsa_user_sgpr_dispatch_ptr 0
		.amdhsa_user_sgpr_queue_ptr 0
		.amdhsa_user_sgpr_kernarg_segment_ptr 1
		.amdhsa_user_sgpr_dispatch_id 0
		.amdhsa_user_sgpr_kernarg_preload_length 0
		.amdhsa_user_sgpr_kernarg_preload_offset 0
		.amdhsa_user_sgpr_private_segment_size 0
		.amdhsa_wavefront_size32 1
		.amdhsa_uses_dynamic_stack 0
		.amdhsa_enable_private_segment 0
		.amdhsa_system_sgpr_workgroup_id_x 1
		.amdhsa_system_sgpr_workgroup_id_y 0
		.amdhsa_system_sgpr_workgroup_id_z 0
		.amdhsa_system_sgpr_workgroup_info 0
		.amdhsa_system_vgpr_workitem_id 0
		.amdhsa_next_free_vgpr 1
		.amdhsa_next_free_sgpr 1
		.amdhsa_named_barrier_count 0
		.amdhsa_reserve_vcc 0
		.amdhsa_float_round_mode_32 0
		.amdhsa_float_round_mode_16_64 0
		.amdhsa_float_denorm_mode_32 3
		.amdhsa_float_denorm_mode_16_64 3
		.amdhsa_fp16_overflow 0
		.amdhsa_memory_ordered 1
		.amdhsa_forward_progress 1
		.amdhsa_inst_pref_size 0
		.amdhsa_round_robin_scheduling 0
		.amdhsa_exception_fp_ieee_invalid_op 0
		.amdhsa_exception_fp_denorm_src 0
		.amdhsa_exception_fp_ieee_div_zero 0
		.amdhsa_exception_fp_ieee_overflow 0
		.amdhsa_exception_fp_ieee_underflow 0
		.amdhsa_exception_fp_ieee_inexact 0
		.amdhsa_exception_int_div_zero 0
	.end_amdhsa_kernel
	.section	.text._ZN7rocprim17ROCPRIM_400000_NS6detail17trampoline_kernelINS0_14default_configENS1_25partition_config_selectorILNS1_17partition_subalgoE8ElNS0_10empty_typeEbEEZZNS1_14partition_implILS5_8ELb0ES3_jPlPS6_PKS6_NS0_5tupleIJS9_S6_EEENSD_IJSA_SA_EEENS0_18inequality_wrapperIZN2at6native12_GLOBAL__N_124unique_dim_cuda_templateIhEESt5tupleIJNSH_6TensorESM_SM_EERKSM_lbbbEUlllE0_EEPmJS6_EEE10hipError_tPvRmT3_T4_T5_T6_T7_T9_mT8_P12ihipStream_tbDpT10_ENKUlT_T0_E_clISt17integral_constantIbLb0EES1B_IbLb1EEEEDaS17_S18_EUlS17_E_NS1_11comp_targetILNS1_3genE10ELNS1_11target_archE1200ELNS1_3gpuE4ELNS1_3repE0EEENS1_30default_config_static_selectorELNS0_4arch9wavefront6targetE0EEEvT1_,"axG",@progbits,_ZN7rocprim17ROCPRIM_400000_NS6detail17trampoline_kernelINS0_14default_configENS1_25partition_config_selectorILNS1_17partition_subalgoE8ElNS0_10empty_typeEbEEZZNS1_14partition_implILS5_8ELb0ES3_jPlPS6_PKS6_NS0_5tupleIJS9_S6_EEENSD_IJSA_SA_EEENS0_18inequality_wrapperIZN2at6native12_GLOBAL__N_124unique_dim_cuda_templateIhEESt5tupleIJNSH_6TensorESM_SM_EERKSM_lbbbEUlllE0_EEPmJS6_EEE10hipError_tPvRmT3_T4_T5_T6_T7_T9_mT8_P12ihipStream_tbDpT10_ENKUlT_T0_E_clISt17integral_constantIbLb0EES1B_IbLb1EEEEDaS17_S18_EUlS17_E_NS1_11comp_targetILNS1_3genE10ELNS1_11target_archE1200ELNS1_3gpuE4ELNS1_3repE0EEENS1_30default_config_static_selectorELNS0_4arch9wavefront6targetE0EEEvT1_,comdat
.Lfunc_end201:
	.size	_ZN7rocprim17ROCPRIM_400000_NS6detail17trampoline_kernelINS0_14default_configENS1_25partition_config_selectorILNS1_17partition_subalgoE8ElNS0_10empty_typeEbEEZZNS1_14partition_implILS5_8ELb0ES3_jPlPS6_PKS6_NS0_5tupleIJS9_S6_EEENSD_IJSA_SA_EEENS0_18inequality_wrapperIZN2at6native12_GLOBAL__N_124unique_dim_cuda_templateIhEESt5tupleIJNSH_6TensorESM_SM_EERKSM_lbbbEUlllE0_EEPmJS6_EEE10hipError_tPvRmT3_T4_T5_T6_T7_T9_mT8_P12ihipStream_tbDpT10_ENKUlT_T0_E_clISt17integral_constantIbLb0EES1B_IbLb1EEEEDaS17_S18_EUlS17_E_NS1_11comp_targetILNS1_3genE10ELNS1_11target_archE1200ELNS1_3gpuE4ELNS1_3repE0EEENS1_30default_config_static_selectorELNS0_4arch9wavefront6targetE0EEEvT1_, .Lfunc_end201-_ZN7rocprim17ROCPRIM_400000_NS6detail17trampoline_kernelINS0_14default_configENS1_25partition_config_selectorILNS1_17partition_subalgoE8ElNS0_10empty_typeEbEEZZNS1_14partition_implILS5_8ELb0ES3_jPlPS6_PKS6_NS0_5tupleIJS9_S6_EEENSD_IJSA_SA_EEENS0_18inequality_wrapperIZN2at6native12_GLOBAL__N_124unique_dim_cuda_templateIhEESt5tupleIJNSH_6TensorESM_SM_EERKSM_lbbbEUlllE0_EEPmJS6_EEE10hipError_tPvRmT3_T4_T5_T6_T7_T9_mT8_P12ihipStream_tbDpT10_ENKUlT_T0_E_clISt17integral_constantIbLb0EES1B_IbLb1EEEEDaS17_S18_EUlS17_E_NS1_11comp_targetILNS1_3genE10ELNS1_11target_archE1200ELNS1_3gpuE4ELNS1_3repE0EEENS1_30default_config_static_selectorELNS0_4arch9wavefront6targetE0EEEvT1_
                                        ; -- End function
	.set _ZN7rocprim17ROCPRIM_400000_NS6detail17trampoline_kernelINS0_14default_configENS1_25partition_config_selectorILNS1_17partition_subalgoE8ElNS0_10empty_typeEbEEZZNS1_14partition_implILS5_8ELb0ES3_jPlPS6_PKS6_NS0_5tupleIJS9_S6_EEENSD_IJSA_SA_EEENS0_18inequality_wrapperIZN2at6native12_GLOBAL__N_124unique_dim_cuda_templateIhEESt5tupleIJNSH_6TensorESM_SM_EERKSM_lbbbEUlllE0_EEPmJS6_EEE10hipError_tPvRmT3_T4_T5_T6_T7_T9_mT8_P12ihipStream_tbDpT10_ENKUlT_T0_E_clISt17integral_constantIbLb0EES1B_IbLb1EEEEDaS17_S18_EUlS17_E_NS1_11comp_targetILNS1_3genE10ELNS1_11target_archE1200ELNS1_3gpuE4ELNS1_3repE0EEENS1_30default_config_static_selectorELNS0_4arch9wavefront6targetE0EEEvT1_.num_vgpr, 0
	.set _ZN7rocprim17ROCPRIM_400000_NS6detail17trampoline_kernelINS0_14default_configENS1_25partition_config_selectorILNS1_17partition_subalgoE8ElNS0_10empty_typeEbEEZZNS1_14partition_implILS5_8ELb0ES3_jPlPS6_PKS6_NS0_5tupleIJS9_S6_EEENSD_IJSA_SA_EEENS0_18inequality_wrapperIZN2at6native12_GLOBAL__N_124unique_dim_cuda_templateIhEESt5tupleIJNSH_6TensorESM_SM_EERKSM_lbbbEUlllE0_EEPmJS6_EEE10hipError_tPvRmT3_T4_T5_T6_T7_T9_mT8_P12ihipStream_tbDpT10_ENKUlT_T0_E_clISt17integral_constantIbLb0EES1B_IbLb1EEEEDaS17_S18_EUlS17_E_NS1_11comp_targetILNS1_3genE10ELNS1_11target_archE1200ELNS1_3gpuE4ELNS1_3repE0EEENS1_30default_config_static_selectorELNS0_4arch9wavefront6targetE0EEEvT1_.num_agpr, 0
	.set _ZN7rocprim17ROCPRIM_400000_NS6detail17trampoline_kernelINS0_14default_configENS1_25partition_config_selectorILNS1_17partition_subalgoE8ElNS0_10empty_typeEbEEZZNS1_14partition_implILS5_8ELb0ES3_jPlPS6_PKS6_NS0_5tupleIJS9_S6_EEENSD_IJSA_SA_EEENS0_18inequality_wrapperIZN2at6native12_GLOBAL__N_124unique_dim_cuda_templateIhEESt5tupleIJNSH_6TensorESM_SM_EERKSM_lbbbEUlllE0_EEPmJS6_EEE10hipError_tPvRmT3_T4_T5_T6_T7_T9_mT8_P12ihipStream_tbDpT10_ENKUlT_T0_E_clISt17integral_constantIbLb0EES1B_IbLb1EEEEDaS17_S18_EUlS17_E_NS1_11comp_targetILNS1_3genE10ELNS1_11target_archE1200ELNS1_3gpuE4ELNS1_3repE0EEENS1_30default_config_static_selectorELNS0_4arch9wavefront6targetE0EEEvT1_.numbered_sgpr, 0
	.set _ZN7rocprim17ROCPRIM_400000_NS6detail17trampoline_kernelINS0_14default_configENS1_25partition_config_selectorILNS1_17partition_subalgoE8ElNS0_10empty_typeEbEEZZNS1_14partition_implILS5_8ELb0ES3_jPlPS6_PKS6_NS0_5tupleIJS9_S6_EEENSD_IJSA_SA_EEENS0_18inequality_wrapperIZN2at6native12_GLOBAL__N_124unique_dim_cuda_templateIhEESt5tupleIJNSH_6TensorESM_SM_EERKSM_lbbbEUlllE0_EEPmJS6_EEE10hipError_tPvRmT3_T4_T5_T6_T7_T9_mT8_P12ihipStream_tbDpT10_ENKUlT_T0_E_clISt17integral_constantIbLb0EES1B_IbLb1EEEEDaS17_S18_EUlS17_E_NS1_11comp_targetILNS1_3genE10ELNS1_11target_archE1200ELNS1_3gpuE4ELNS1_3repE0EEENS1_30default_config_static_selectorELNS0_4arch9wavefront6targetE0EEEvT1_.num_named_barrier, 0
	.set _ZN7rocprim17ROCPRIM_400000_NS6detail17trampoline_kernelINS0_14default_configENS1_25partition_config_selectorILNS1_17partition_subalgoE8ElNS0_10empty_typeEbEEZZNS1_14partition_implILS5_8ELb0ES3_jPlPS6_PKS6_NS0_5tupleIJS9_S6_EEENSD_IJSA_SA_EEENS0_18inequality_wrapperIZN2at6native12_GLOBAL__N_124unique_dim_cuda_templateIhEESt5tupleIJNSH_6TensorESM_SM_EERKSM_lbbbEUlllE0_EEPmJS6_EEE10hipError_tPvRmT3_T4_T5_T6_T7_T9_mT8_P12ihipStream_tbDpT10_ENKUlT_T0_E_clISt17integral_constantIbLb0EES1B_IbLb1EEEEDaS17_S18_EUlS17_E_NS1_11comp_targetILNS1_3genE10ELNS1_11target_archE1200ELNS1_3gpuE4ELNS1_3repE0EEENS1_30default_config_static_selectorELNS0_4arch9wavefront6targetE0EEEvT1_.private_seg_size, 0
	.set _ZN7rocprim17ROCPRIM_400000_NS6detail17trampoline_kernelINS0_14default_configENS1_25partition_config_selectorILNS1_17partition_subalgoE8ElNS0_10empty_typeEbEEZZNS1_14partition_implILS5_8ELb0ES3_jPlPS6_PKS6_NS0_5tupleIJS9_S6_EEENSD_IJSA_SA_EEENS0_18inequality_wrapperIZN2at6native12_GLOBAL__N_124unique_dim_cuda_templateIhEESt5tupleIJNSH_6TensorESM_SM_EERKSM_lbbbEUlllE0_EEPmJS6_EEE10hipError_tPvRmT3_T4_T5_T6_T7_T9_mT8_P12ihipStream_tbDpT10_ENKUlT_T0_E_clISt17integral_constantIbLb0EES1B_IbLb1EEEEDaS17_S18_EUlS17_E_NS1_11comp_targetILNS1_3genE10ELNS1_11target_archE1200ELNS1_3gpuE4ELNS1_3repE0EEENS1_30default_config_static_selectorELNS0_4arch9wavefront6targetE0EEEvT1_.uses_vcc, 0
	.set _ZN7rocprim17ROCPRIM_400000_NS6detail17trampoline_kernelINS0_14default_configENS1_25partition_config_selectorILNS1_17partition_subalgoE8ElNS0_10empty_typeEbEEZZNS1_14partition_implILS5_8ELb0ES3_jPlPS6_PKS6_NS0_5tupleIJS9_S6_EEENSD_IJSA_SA_EEENS0_18inequality_wrapperIZN2at6native12_GLOBAL__N_124unique_dim_cuda_templateIhEESt5tupleIJNSH_6TensorESM_SM_EERKSM_lbbbEUlllE0_EEPmJS6_EEE10hipError_tPvRmT3_T4_T5_T6_T7_T9_mT8_P12ihipStream_tbDpT10_ENKUlT_T0_E_clISt17integral_constantIbLb0EES1B_IbLb1EEEEDaS17_S18_EUlS17_E_NS1_11comp_targetILNS1_3genE10ELNS1_11target_archE1200ELNS1_3gpuE4ELNS1_3repE0EEENS1_30default_config_static_selectorELNS0_4arch9wavefront6targetE0EEEvT1_.uses_flat_scratch, 0
	.set _ZN7rocprim17ROCPRIM_400000_NS6detail17trampoline_kernelINS0_14default_configENS1_25partition_config_selectorILNS1_17partition_subalgoE8ElNS0_10empty_typeEbEEZZNS1_14partition_implILS5_8ELb0ES3_jPlPS6_PKS6_NS0_5tupleIJS9_S6_EEENSD_IJSA_SA_EEENS0_18inequality_wrapperIZN2at6native12_GLOBAL__N_124unique_dim_cuda_templateIhEESt5tupleIJNSH_6TensorESM_SM_EERKSM_lbbbEUlllE0_EEPmJS6_EEE10hipError_tPvRmT3_T4_T5_T6_T7_T9_mT8_P12ihipStream_tbDpT10_ENKUlT_T0_E_clISt17integral_constantIbLb0EES1B_IbLb1EEEEDaS17_S18_EUlS17_E_NS1_11comp_targetILNS1_3genE10ELNS1_11target_archE1200ELNS1_3gpuE4ELNS1_3repE0EEENS1_30default_config_static_selectorELNS0_4arch9wavefront6targetE0EEEvT1_.has_dyn_sized_stack, 0
	.set _ZN7rocprim17ROCPRIM_400000_NS6detail17trampoline_kernelINS0_14default_configENS1_25partition_config_selectorILNS1_17partition_subalgoE8ElNS0_10empty_typeEbEEZZNS1_14partition_implILS5_8ELb0ES3_jPlPS6_PKS6_NS0_5tupleIJS9_S6_EEENSD_IJSA_SA_EEENS0_18inequality_wrapperIZN2at6native12_GLOBAL__N_124unique_dim_cuda_templateIhEESt5tupleIJNSH_6TensorESM_SM_EERKSM_lbbbEUlllE0_EEPmJS6_EEE10hipError_tPvRmT3_T4_T5_T6_T7_T9_mT8_P12ihipStream_tbDpT10_ENKUlT_T0_E_clISt17integral_constantIbLb0EES1B_IbLb1EEEEDaS17_S18_EUlS17_E_NS1_11comp_targetILNS1_3genE10ELNS1_11target_archE1200ELNS1_3gpuE4ELNS1_3repE0EEENS1_30default_config_static_selectorELNS0_4arch9wavefront6targetE0EEEvT1_.has_recursion, 0
	.set _ZN7rocprim17ROCPRIM_400000_NS6detail17trampoline_kernelINS0_14default_configENS1_25partition_config_selectorILNS1_17partition_subalgoE8ElNS0_10empty_typeEbEEZZNS1_14partition_implILS5_8ELb0ES3_jPlPS6_PKS6_NS0_5tupleIJS9_S6_EEENSD_IJSA_SA_EEENS0_18inequality_wrapperIZN2at6native12_GLOBAL__N_124unique_dim_cuda_templateIhEESt5tupleIJNSH_6TensorESM_SM_EERKSM_lbbbEUlllE0_EEPmJS6_EEE10hipError_tPvRmT3_T4_T5_T6_T7_T9_mT8_P12ihipStream_tbDpT10_ENKUlT_T0_E_clISt17integral_constantIbLb0EES1B_IbLb1EEEEDaS17_S18_EUlS17_E_NS1_11comp_targetILNS1_3genE10ELNS1_11target_archE1200ELNS1_3gpuE4ELNS1_3repE0EEENS1_30default_config_static_selectorELNS0_4arch9wavefront6targetE0EEEvT1_.has_indirect_call, 0
	.section	.AMDGPU.csdata,"",@progbits
; Kernel info:
; codeLenInByte = 0
; TotalNumSgprs: 0
; NumVgprs: 0
; ScratchSize: 0
; MemoryBound: 0
; FloatMode: 240
; IeeeMode: 1
; LDSByteSize: 0 bytes/workgroup (compile time only)
; SGPRBlocks: 0
; VGPRBlocks: 0
; NumSGPRsForWavesPerEU: 1
; NumVGPRsForWavesPerEU: 1
; NamedBarCnt: 0
; Occupancy: 16
; WaveLimiterHint : 0
; COMPUTE_PGM_RSRC2:SCRATCH_EN: 0
; COMPUTE_PGM_RSRC2:USER_SGPR: 2
; COMPUTE_PGM_RSRC2:TRAP_HANDLER: 0
; COMPUTE_PGM_RSRC2:TGID_X_EN: 1
; COMPUTE_PGM_RSRC2:TGID_Y_EN: 0
; COMPUTE_PGM_RSRC2:TGID_Z_EN: 0
; COMPUTE_PGM_RSRC2:TIDIG_COMP_CNT: 0
	.section	.text._ZN7rocprim17ROCPRIM_400000_NS6detail17trampoline_kernelINS0_14default_configENS1_25partition_config_selectorILNS1_17partition_subalgoE8ElNS0_10empty_typeEbEEZZNS1_14partition_implILS5_8ELb0ES3_jPlPS6_PKS6_NS0_5tupleIJS9_S6_EEENSD_IJSA_SA_EEENS0_18inequality_wrapperIZN2at6native12_GLOBAL__N_124unique_dim_cuda_templateIhEESt5tupleIJNSH_6TensorESM_SM_EERKSM_lbbbEUlllE0_EEPmJS6_EEE10hipError_tPvRmT3_T4_T5_T6_T7_T9_mT8_P12ihipStream_tbDpT10_ENKUlT_T0_E_clISt17integral_constantIbLb0EES1B_IbLb1EEEEDaS17_S18_EUlS17_E_NS1_11comp_targetILNS1_3genE9ELNS1_11target_archE1100ELNS1_3gpuE3ELNS1_3repE0EEENS1_30default_config_static_selectorELNS0_4arch9wavefront6targetE0EEEvT1_,"axG",@progbits,_ZN7rocprim17ROCPRIM_400000_NS6detail17trampoline_kernelINS0_14default_configENS1_25partition_config_selectorILNS1_17partition_subalgoE8ElNS0_10empty_typeEbEEZZNS1_14partition_implILS5_8ELb0ES3_jPlPS6_PKS6_NS0_5tupleIJS9_S6_EEENSD_IJSA_SA_EEENS0_18inequality_wrapperIZN2at6native12_GLOBAL__N_124unique_dim_cuda_templateIhEESt5tupleIJNSH_6TensorESM_SM_EERKSM_lbbbEUlllE0_EEPmJS6_EEE10hipError_tPvRmT3_T4_T5_T6_T7_T9_mT8_P12ihipStream_tbDpT10_ENKUlT_T0_E_clISt17integral_constantIbLb0EES1B_IbLb1EEEEDaS17_S18_EUlS17_E_NS1_11comp_targetILNS1_3genE9ELNS1_11target_archE1100ELNS1_3gpuE3ELNS1_3repE0EEENS1_30default_config_static_selectorELNS0_4arch9wavefront6targetE0EEEvT1_,comdat
	.globl	_ZN7rocprim17ROCPRIM_400000_NS6detail17trampoline_kernelINS0_14default_configENS1_25partition_config_selectorILNS1_17partition_subalgoE8ElNS0_10empty_typeEbEEZZNS1_14partition_implILS5_8ELb0ES3_jPlPS6_PKS6_NS0_5tupleIJS9_S6_EEENSD_IJSA_SA_EEENS0_18inequality_wrapperIZN2at6native12_GLOBAL__N_124unique_dim_cuda_templateIhEESt5tupleIJNSH_6TensorESM_SM_EERKSM_lbbbEUlllE0_EEPmJS6_EEE10hipError_tPvRmT3_T4_T5_T6_T7_T9_mT8_P12ihipStream_tbDpT10_ENKUlT_T0_E_clISt17integral_constantIbLb0EES1B_IbLb1EEEEDaS17_S18_EUlS17_E_NS1_11comp_targetILNS1_3genE9ELNS1_11target_archE1100ELNS1_3gpuE3ELNS1_3repE0EEENS1_30default_config_static_selectorELNS0_4arch9wavefront6targetE0EEEvT1_ ; -- Begin function _ZN7rocprim17ROCPRIM_400000_NS6detail17trampoline_kernelINS0_14default_configENS1_25partition_config_selectorILNS1_17partition_subalgoE8ElNS0_10empty_typeEbEEZZNS1_14partition_implILS5_8ELb0ES3_jPlPS6_PKS6_NS0_5tupleIJS9_S6_EEENSD_IJSA_SA_EEENS0_18inequality_wrapperIZN2at6native12_GLOBAL__N_124unique_dim_cuda_templateIhEESt5tupleIJNSH_6TensorESM_SM_EERKSM_lbbbEUlllE0_EEPmJS6_EEE10hipError_tPvRmT3_T4_T5_T6_T7_T9_mT8_P12ihipStream_tbDpT10_ENKUlT_T0_E_clISt17integral_constantIbLb0EES1B_IbLb1EEEEDaS17_S18_EUlS17_E_NS1_11comp_targetILNS1_3genE9ELNS1_11target_archE1100ELNS1_3gpuE3ELNS1_3repE0EEENS1_30default_config_static_selectorELNS0_4arch9wavefront6targetE0EEEvT1_
	.p2align	8
	.type	_ZN7rocprim17ROCPRIM_400000_NS6detail17trampoline_kernelINS0_14default_configENS1_25partition_config_selectorILNS1_17partition_subalgoE8ElNS0_10empty_typeEbEEZZNS1_14partition_implILS5_8ELb0ES3_jPlPS6_PKS6_NS0_5tupleIJS9_S6_EEENSD_IJSA_SA_EEENS0_18inequality_wrapperIZN2at6native12_GLOBAL__N_124unique_dim_cuda_templateIhEESt5tupleIJNSH_6TensorESM_SM_EERKSM_lbbbEUlllE0_EEPmJS6_EEE10hipError_tPvRmT3_T4_T5_T6_T7_T9_mT8_P12ihipStream_tbDpT10_ENKUlT_T0_E_clISt17integral_constantIbLb0EES1B_IbLb1EEEEDaS17_S18_EUlS17_E_NS1_11comp_targetILNS1_3genE9ELNS1_11target_archE1100ELNS1_3gpuE3ELNS1_3repE0EEENS1_30default_config_static_selectorELNS0_4arch9wavefront6targetE0EEEvT1_,@function
_ZN7rocprim17ROCPRIM_400000_NS6detail17trampoline_kernelINS0_14default_configENS1_25partition_config_selectorILNS1_17partition_subalgoE8ElNS0_10empty_typeEbEEZZNS1_14partition_implILS5_8ELb0ES3_jPlPS6_PKS6_NS0_5tupleIJS9_S6_EEENSD_IJSA_SA_EEENS0_18inequality_wrapperIZN2at6native12_GLOBAL__N_124unique_dim_cuda_templateIhEESt5tupleIJNSH_6TensorESM_SM_EERKSM_lbbbEUlllE0_EEPmJS6_EEE10hipError_tPvRmT3_T4_T5_T6_T7_T9_mT8_P12ihipStream_tbDpT10_ENKUlT_T0_E_clISt17integral_constantIbLb0EES1B_IbLb1EEEEDaS17_S18_EUlS17_E_NS1_11comp_targetILNS1_3genE9ELNS1_11target_archE1100ELNS1_3gpuE3ELNS1_3repE0EEENS1_30default_config_static_selectorELNS0_4arch9wavefront6targetE0EEEvT1_: ; @_ZN7rocprim17ROCPRIM_400000_NS6detail17trampoline_kernelINS0_14default_configENS1_25partition_config_selectorILNS1_17partition_subalgoE8ElNS0_10empty_typeEbEEZZNS1_14partition_implILS5_8ELb0ES3_jPlPS6_PKS6_NS0_5tupleIJS9_S6_EEENSD_IJSA_SA_EEENS0_18inequality_wrapperIZN2at6native12_GLOBAL__N_124unique_dim_cuda_templateIhEESt5tupleIJNSH_6TensorESM_SM_EERKSM_lbbbEUlllE0_EEPmJS6_EEE10hipError_tPvRmT3_T4_T5_T6_T7_T9_mT8_P12ihipStream_tbDpT10_ENKUlT_T0_E_clISt17integral_constantIbLb0EES1B_IbLb1EEEEDaS17_S18_EUlS17_E_NS1_11comp_targetILNS1_3genE9ELNS1_11target_archE1100ELNS1_3gpuE3ELNS1_3repE0EEENS1_30default_config_static_selectorELNS0_4arch9wavefront6targetE0EEEvT1_
; %bb.0:
	.section	.rodata,"a",@progbits
	.p2align	6, 0x0
	.amdhsa_kernel _ZN7rocprim17ROCPRIM_400000_NS6detail17trampoline_kernelINS0_14default_configENS1_25partition_config_selectorILNS1_17partition_subalgoE8ElNS0_10empty_typeEbEEZZNS1_14partition_implILS5_8ELb0ES3_jPlPS6_PKS6_NS0_5tupleIJS9_S6_EEENSD_IJSA_SA_EEENS0_18inequality_wrapperIZN2at6native12_GLOBAL__N_124unique_dim_cuda_templateIhEESt5tupleIJNSH_6TensorESM_SM_EERKSM_lbbbEUlllE0_EEPmJS6_EEE10hipError_tPvRmT3_T4_T5_T6_T7_T9_mT8_P12ihipStream_tbDpT10_ENKUlT_T0_E_clISt17integral_constantIbLb0EES1B_IbLb1EEEEDaS17_S18_EUlS17_E_NS1_11comp_targetILNS1_3genE9ELNS1_11target_archE1100ELNS1_3gpuE3ELNS1_3repE0EEENS1_30default_config_static_selectorELNS0_4arch9wavefront6targetE0EEEvT1_
		.amdhsa_group_segment_fixed_size 0
		.amdhsa_private_segment_fixed_size 0
		.amdhsa_kernarg_size 136
		.amdhsa_user_sgpr_count 2
		.amdhsa_user_sgpr_dispatch_ptr 0
		.amdhsa_user_sgpr_queue_ptr 0
		.amdhsa_user_sgpr_kernarg_segment_ptr 1
		.amdhsa_user_sgpr_dispatch_id 0
		.amdhsa_user_sgpr_kernarg_preload_length 0
		.amdhsa_user_sgpr_kernarg_preload_offset 0
		.amdhsa_user_sgpr_private_segment_size 0
		.amdhsa_wavefront_size32 1
		.amdhsa_uses_dynamic_stack 0
		.amdhsa_enable_private_segment 0
		.amdhsa_system_sgpr_workgroup_id_x 1
		.amdhsa_system_sgpr_workgroup_id_y 0
		.amdhsa_system_sgpr_workgroup_id_z 0
		.amdhsa_system_sgpr_workgroup_info 0
		.amdhsa_system_vgpr_workitem_id 0
		.amdhsa_next_free_vgpr 1
		.amdhsa_next_free_sgpr 1
		.amdhsa_named_barrier_count 0
		.amdhsa_reserve_vcc 0
		.amdhsa_float_round_mode_32 0
		.amdhsa_float_round_mode_16_64 0
		.amdhsa_float_denorm_mode_32 3
		.amdhsa_float_denorm_mode_16_64 3
		.amdhsa_fp16_overflow 0
		.amdhsa_memory_ordered 1
		.amdhsa_forward_progress 1
		.amdhsa_inst_pref_size 0
		.amdhsa_round_robin_scheduling 0
		.amdhsa_exception_fp_ieee_invalid_op 0
		.amdhsa_exception_fp_denorm_src 0
		.amdhsa_exception_fp_ieee_div_zero 0
		.amdhsa_exception_fp_ieee_overflow 0
		.amdhsa_exception_fp_ieee_underflow 0
		.amdhsa_exception_fp_ieee_inexact 0
		.amdhsa_exception_int_div_zero 0
	.end_amdhsa_kernel
	.section	.text._ZN7rocprim17ROCPRIM_400000_NS6detail17trampoline_kernelINS0_14default_configENS1_25partition_config_selectorILNS1_17partition_subalgoE8ElNS0_10empty_typeEbEEZZNS1_14partition_implILS5_8ELb0ES3_jPlPS6_PKS6_NS0_5tupleIJS9_S6_EEENSD_IJSA_SA_EEENS0_18inequality_wrapperIZN2at6native12_GLOBAL__N_124unique_dim_cuda_templateIhEESt5tupleIJNSH_6TensorESM_SM_EERKSM_lbbbEUlllE0_EEPmJS6_EEE10hipError_tPvRmT3_T4_T5_T6_T7_T9_mT8_P12ihipStream_tbDpT10_ENKUlT_T0_E_clISt17integral_constantIbLb0EES1B_IbLb1EEEEDaS17_S18_EUlS17_E_NS1_11comp_targetILNS1_3genE9ELNS1_11target_archE1100ELNS1_3gpuE3ELNS1_3repE0EEENS1_30default_config_static_selectorELNS0_4arch9wavefront6targetE0EEEvT1_,"axG",@progbits,_ZN7rocprim17ROCPRIM_400000_NS6detail17trampoline_kernelINS0_14default_configENS1_25partition_config_selectorILNS1_17partition_subalgoE8ElNS0_10empty_typeEbEEZZNS1_14partition_implILS5_8ELb0ES3_jPlPS6_PKS6_NS0_5tupleIJS9_S6_EEENSD_IJSA_SA_EEENS0_18inequality_wrapperIZN2at6native12_GLOBAL__N_124unique_dim_cuda_templateIhEESt5tupleIJNSH_6TensorESM_SM_EERKSM_lbbbEUlllE0_EEPmJS6_EEE10hipError_tPvRmT3_T4_T5_T6_T7_T9_mT8_P12ihipStream_tbDpT10_ENKUlT_T0_E_clISt17integral_constantIbLb0EES1B_IbLb1EEEEDaS17_S18_EUlS17_E_NS1_11comp_targetILNS1_3genE9ELNS1_11target_archE1100ELNS1_3gpuE3ELNS1_3repE0EEENS1_30default_config_static_selectorELNS0_4arch9wavefront6targetE0EEEvT1_,comdat
.Lfunc_end202:
	.size	_ZN7rocprim17ROCPRIM_400000_NS6detail17trampoline_kernelINS0_14default_configENS1_25partition_config_selectorILNS1_17partition_subalgoE8ElNS0_10empty_typeEbEEZZNS1_14partition_implILS5_8ELb0ES3_jPlPS6_PKS6_NS0_5tupleIJS9_S6_EEENSD_IJSA_SA_EEENS0_18inequality_wrapperIZN2at6native12_GLOBAL__N_124unique_dim_cuda_templateIhEESt5tupleIJNSH_6TensorESM_SM_EERKSM_lbbbEUlllE0_EEPmJS6_EEE10hipError_tPvRmT3_T4_T5_T6_T7_T9_mT8_P12ihipStream_tbDpT10_ENKUlT_T0_E_clISt17integral_constantIbLb0EES1B_IbLb1EEEEDaS17_S18_EUlS17_E_NS1_11comp_targetILNS1_3genE9ELNS1_11target_archE1100ELNS1_3gpuE3ELNS1_3repE0EEENS1_30default_config_static_selectorELNS0_4arch9wavefront6targetE0EEEvT1_, .Lfunc_end202-_ZN7rocprim17ROCPRIM_400000_NS6detail17trampoline_kernelINS0_14default_configENS1_25partition_config_selectorILNS1_17partition_subalgoE8ElNS0_10empty_typeEbEEZZNS1_14partition_implILS5_8ELb0ES3_jPlPS6_PKS6_NS0_5tupleIJS9_S6_EEENSD_IJSA_SA_EEENS0_18inequality_wrapperIZN2at6native12_GLOBAL__N_124unique_dim_cuda_templateIhEESt5tupleIJNSH_6TensorESM_SM_EERKSM_lbbbEUlllE0_EEPmJS6_EEE10hipError_tPvRmT3_T4_T5_T6_T7_T9_mT8_P12ihipStream_tbDpT10_ENKUlT_T0_E_clISt17integral_constantIbLb0EES1B_IbLb1EEEEDaS17_S18_EUlS17_E_NS1_11comp_targetILNS1_3genE9ELNS1_11target_archE1100ELNS1_3gpuE3ELNS1_3repE0EEENS1_30default_config_static_selectorELNS0_4arch9wavefront6targetE0EEEvT1_
                                        ; -- End function
	.set _ZN7rocprim17ROCPRIM_400000_NS6detail17trampoline_kernelINS0_14default_configENS1_25partition_config_selectorILNS1_17partition_subalgoE8ElNS0_10empty_typeEbEEZZNS1_14partition_implILS5_8ELb0ES3_jPlPS6_PKS6_NS0_5tupleIJS9_S6_EEENSD_IJSA_SA_EEENS0_18inequality_wrapperIZN2at6native12_GLOBAL__N_124unique_dim_cuda_templateIhEESt5tupleIJNSH_6TensorESM_SM_EERKSM_lbbbEUlllE0_EEPmJS6_EEE10hipError_tPvRmT3_T4_T5_T6_T7_T9_mT8_P12ihipStream_tbDpT10_ENKUlT_T0_E_clISt17integral_constantIbLb0EES1B_IbLb1EEEEDaS17_S18_EUlS17_E_NS1_11comp_targetILNS1_3genE9ELNS1_11target_archE1100ELNS1_3gpuE3ELNS1_3repE0EEENS1_30default_config_static_selectorELNS0_4arch9wavefront6targetE0EEEvT1_.num_vgpr, 0
	.set _ZN7rocprim17ROCPRIM_400000_NS6detail17trampoline_kernelINS0_14default_configENS1_25partition_config_selectorILNS1_17partition_subalgoE8ElNS0_10empty_typeEbEEZZNS1_14partition_implILS5_8ELb0ES3_jPlPS6_PKS6_NS0_5tupleIJS9_S6_EEENSD_IJSA_SA_EEENS0_18inequality_wrapperIZN2at6native12_GLOBAL__N_124unique_dim_cuda_templateIhEESt5tupleIJNSH_6TensorESM_SM_EERKSM_lbbbEUlllE0_EEPmJS6_EEE10hipError_tPvRmT3_T4_T5_T6_T7_T9_mT8_P12ihipStream_tbDpT10_ENKUlT_T0_E_clISt17integral_constantIbLb0EES1B_IbLb1EEEEDaS17_S18_EUlS17_E_NS1_11comp_targetILNS1_3genE9ELNS1_11target_archE1100ELNS1_3gpuE3ELNS1_3repE0EEENS1_30default_config_static_selectorELNS0_4arch9wavefront6targetE0EEEvT1_.num_agpr, 0
	.set _ZN7rocprim17ROCPRIM_400000_NS6detail17trampoline_kernelINS0_14default_configENS1_25partition_config_selectorILNS1_17partition_subalgoE8ElNS0_10empty_typeEbEEZZNS1_14partition_implILS5_8ELb0ES3_jPlPS6_PKS6_NS0_5tupleIJS9_S6_EEENSD_IJSA_SA_EEENS0_18inequality_wrapperIZN2at6native12_GLOBAL__N_124unique_dim_cuda_templateIhEESt5tupleIJNSH_6TensorESM_SM_EERKSM_lbbbEUlllE0_EEPmJS6_EEE10hipError_tPvRmT3_T4_T5_T6_T7_T9_mT8_P12ihipStream_tbDpT10_ENKUlT_T0_E_clISt17integral_constantIbLb0EES1B_IbLb1EEEEDaS17_S18_EUlS17_E_NS1_11comp_targetILNS1_3genE9ELNS1_11target_archE1100ELNS1_3gpuE3ELNS1_3repE0EEENS1_30default_config_static_selectorELNS0_4arch9wavefront6targetE0EEEvT1_.numbered_sgpr, 0
	.set _ZN7rocprim17ROCPRIM_400000_NS6detail17trampoline_kernelINS0_14default_configENS1_25partition_config_selectorILNS1_17partition_subalgoE8ElNS0_10empty_typeEbEEZZNS1_14partition_implILS5_8ELb0ES3_jPlPS6_PKS6_NS0_5tupleIJS9_S6_EEENSD_IJSA_SA_EEENS0_18inequality_wrapperIZN2at6native12_GLOBAL__N_124unique_dim_cuda_templateIhEESt5tupleIJNSH_6TensorESM_SM_EERKSM_lbbbEUlllE0_EEPmJS6_EEE10hipError_tPvRmT3_T4_T5_T6_T7_T9_mT8_P12ihipStream_tbDpT10_ENKUlT_T0_E_clISt17integral_constantIbLb0EES1B_IbLb1EEEEDaS17_S18_EUlS17_E_NS1_11comp_targetILNS1_3genE9ELNS1_11target_archE1100ELNS1_3gpuE3ELNS1_3repE0EEENS1_30default_config_static_selectorELNS0_4arch9wavefront6targetE0EEEvT1_.num_named_barrier, 0
	.set _ZN7rocprim17ROCPRIM_400000_NS6detail17trampoline_kernelINS0_14default_configENS1_25partition_config_selectorILNS1_17partition_subalgoE8ElNS0_10empty_typeEbEEZZNS1_14partition_implILS5_8ELb0ES3_jPlPS6_PKS6_NS0_5tupleIJS9_S6_EEENSD_IJSA_SA_EEENS0_18inequality_wrapperIZN2at6native12_GLOBAL__N_124unique_dim_cuda_templateIhEESt5tupleIJNSH_6TensorESM_SM_EERKSM_lbbbEUlllE0_EEPmJS6_EEE10hipError_tPvRmT3_T4_T5_T6_T7_T9_mT8_P12ihipStream_tbDpT10_ENKUlT_T0_E_clISt17integral_constantIbLb0EES1B_IbLb1EEEEDaS17_S18_EUlS17_E_NS1_11comp_targetILNS1_3genE9ELNS1_11target_archE1100ELNS1_3gpuE3ELNS1_3repE0EEENS1_30default_config_static_selectorELNS0_4arch9wavefront6targetE0EEEvT1_.private_seg_size, 0
	.set _ZN7rocprim17ROCPRIM_400000_NS6detail17trampoline_kernelINS0_14default_configENS1_25partition_config_selectorILNS1_17partition_subalgoE8ElNS0_10empty_typeEbEEZZNS1_14partition_implILS5_8ELb0ES3_jPlPS6_PKS6_NS0_5tupleIJS9_S6_EEENSD_IJSA_SA_EEENS0_18inequality_wrapperIZN2at6native12_GLOBAL__N_124unique_dim_cuda_templateIhEESt5tupleIJNSH_6TensorESM_SM_EERKSM_lbbbEUlllE0_EEPmJS6_EEE10hipError_tPvRmT3_T4_T5_T6_T7_T9_mT8_P12ihipStream_tbDpT10_ENKUlT_T0_E_clISt17integral_constantIbLb0EES1B_IbLb1EEEEDaS17_S18_EUlS17_E_NS1_11comp_targetILNS1_3genE9ELNS1_11target_archE1100ELNS1_3gpuE3ELNS1_3repE0EEENS1_30default_config_static_selectorELNS0_4arch9wavefront6targetE0EEEvT1_.uses_vcc, 0
	.set _ZN7rocprim17ROCPRIM_400000_NS6detail17trampoline_kernelINS0_14default_configENS1_25partition_config_selectorILNS1_17partition_subalgoE8ElNS0_10empty_typeEbEEZZNS1_14partition_implILS5_8ELb0ES3_jPlPS6_PKS6_NS0_5tupleIJS9_S6_EEENSD_IJSA_SA_EEENS0_18inequality_wrapperIZN2at6native12_GLOBAL__N_124unique_dim_cuda_templateIhEESt5tupleIJNSH_6TensorESM_SM_EERKSM_lbbbEUlllE0_EEPmJS6_EEE10hipError_tPvRmT3_T4_T5_T6_T7_T9_mT8_P12ihipStream_tbDpT10_ENKUlT_T0_E_clISt17integral_constantIbLb0EES1B_IbLb1EEEEDaS17_S18_EUlS17_E_NS1_11comp_targetILNS1_3genE9ELNS1_11target_archE1100ELNS1_3gpuE3ELNS1_3repE0EEENS1_30default_config_static_selectorELNS0_4arch9wavefront6targetE0EEEvT1_.uses_flat_scratch, 0
	.set _ZN7rocprim17ROCPRIM_400000_NS6detail17trampoline_kernelINS0_14default_configENS1_25partition_config_selectorILNS1_17partition_subalgoE8ElNS0_10empty_typeEbEEZZNS1_14partition_implILS5_8ELb0ES3_jPlPS6_PKS6_NS0_5tupleIJS9_S6_EEENSD_IJSA_SA_EEENS0_18inequality_wrapperIZN2at6native12_GLOBAL__N_124unique_dim_cuda_templateIhEESt5tupleIJNSH_6TensorESM_SM_EERKSM_lbbbEUlllE0_EEPmJS6_EEE10hipError_tPvRmT3_T4_T5_T6_T7_T9_mT8_P12ihipStream_tbDpT10_ENKUlT_T0_E_clISt17integral_constantIbLb0EES1B_IbLb1EEEEDaS17_S18_EUlS17_E_NS1_11comp_targetILNS1_3genE9ELNS1_11target_archE1100ELNS1_3gpuE3ELNS1_3repE0EEENS1_30default_config_static_selectorELNS0_4arch9wavefront6targetE0EEEvT1_.has_dyn_sized_stack, 0
	.set _ZN7rocprim17ROCPRIM_400000_NS6detail17trampoline_kernelINS0_14default_configENS1_25partition_config_selectorILNS1_17partition_subalgoE8ElNS0_10empty_typeEbEEZZNS1_14partition_implILS5_8ELb0ES3_jPlPS6_PKS6_NS0_5tupleIJS9_S6_EEENSD_IJSA_SA_EEENS0_18inequality_wrapperIZN2at6native12_GLOBAL__N_124unique_dim_cuda_templateIhEESt5tupleIJNSH_6TensorESM_SM_EERKSM_lbbbEUlllE0_EEPmJS6_EEE10hipError_tPvRmT3_T4_T5_T6_T7_T9_mT8_P12ihipStream_tbDpT10_ENKUlT_T0_E_clISt17integral_constantIbLb0EES1B_IbLb1EEEEDaS17_S18_EUlS17_E_NS1_11comp_targetILNS1_3genE9ELNS1_11target_archE1100ELNS1_3gpuE3ELNS1_3repE0EEENS1_30default_config_static_selectorELNS0_4arch9wavefront6targetE0EEEvT1_.has_recursion, 0
	.set _ZN7rocprim17ROCPRIM_400000_NS6detail17trampoline_kernelINS0_14default_configENS1_25partition_config_selectorILNS1_17partition_subalgoE8ElNS0_10empty_typeEbEEZZNS1_14partition_implILS5_8ELb0ES3_jPlPS6_PKS6_NS0_5tupleIJS9_S6_EEENSD_IJSA_SA_EEENS0_18inequality_wrapperIZN2at6native12_GLOBAL__N_124unique_dim_cuda_templateIhEESt5tupleIJNSH_6TensorESM_SM_EERKSM_lbbbEUlllE0_EEPmJS6_EEE10hipError_tPvRmT3_T4_T5_T6_T7_T9_mT8_P12ihipStream_tbDpT10_ENKUlT_T0_E_clISt17integral_constantIbLb0EES1B_IbLb1EEEEDaS17_S18_EUlS17_E_NS1_11comp_targetILNS1_3genE9ELNS1_11target_archE1100ELNS1_3gpuE3ELNS1_3repE0EEENS1_30default_config_static_selectorELNS0_4arch9wavefront6targetE0EEEvT1_.has_indirect_call, 0
	.section	.AMDGPU.csdata,"",@progbits
; Kernel info:
; codeLenInByte = 0
; TotalNumSgprs: 0
; NumVgprs: 0
; ScratchSize: 0
; MemoryBound: 0
; FloatMode: 240
; IeeeMode: 1
; LDSByteSize: 0 bytes/workgroup (compile time only)
; SGPRBlocks: 0
; VGPRBlocks: 0
; NumSGPRsForWavesPerEU: 1
; NumVGPRsForWavesPerEU: 1
; NamedBarCnt: 0
; Occupancy: 16
; WaveLimiterHint : 0
; COMPUTE_PGM_RSRC2:SCRATCH_EN: 0
; COMPUTE_PGM_RSRC2:USER_SGPR: 2
; COMPUTE_PGM_RSRC2:TRAP_HANDLER: 0
; COMPUTE_PGM_RSRC2:TGID_X_EN: 1
; COMPUTE_PGM_RSRC2:TGID_Y_EN: 0
; COMPUTE_PGM_RSRC2:TGID_Z_EN: 0
; COMPUTE_PGM_RSRC2:TIDIG_COMP_CNT: 0
	.section	.text._ZN7rocprim17ROCPRIM_400000_NS6detail17trampoline_kernelINS0_14default_configENS1_25partition_config_selectorILNS1_17partition_subalgoE8ElNS0_10empty_typeEbEEZZNS1_14partition_implILS5_8ELb0ES3_jPlPS6_PKS6_NS0_5tupleIJS9_S6_EEENSD_IJSA_SA_EEENS0_18inequality_wrapperIZN2at6native12_GLOBAL__N_124unique_dim_cuda_templateIhEESt5tupleIJNSH_6TensorESM_SM_EERKSM_lbbbEUlllE0_EEPmJS6_EEE10hipError_tPvRmT3_T4_T5_T6_T7_T9_mT8_P12ihipStream_tbDpT10_ENKUlT_T0_E_clISt17integral_constantIbLb0EES1B_IbLb1EEEEDaS17_S18_EUlS17_E_NS1_11comp_targetILNS1_3genE8ELNS1_11target_archE1030ELNS1_3gpuE2ELNS1_3repE0EEENS1_30default_config_static_selectorELNS0_4arch9wavefront6targetE0EEEvT1_,"axG",@progbits,_ZN7rocprim17ROCPRIM_400000_NS6detail17trampoline_kernelINS0_14default_configENS1_25partition_config_selectorILNS1_17partition_subalgoE8ElNS0_10empty_typeEbEEZZNS1_14partition_implILS5_8ELb0ES3_jPlPS6_PKS6_NS0_5tupleIJS9_S6_EEENSD_IJSA_SA_EEENS0_18inequality_wrapperIZN2at6native12_GLOBAL__N_124unique_dim_cuda_templateIhEESt5tupleIJNSH_6TensorESM_SM_EERKSM_lbbbEUlllE0_EEPmJS6_EEE10hipError_tPvRmT3_T4_T5_T6_T7_T9_mT8_P12ihipStream_tbDpT10_ENKUlT_T0_E_clISt17integral_constantIbLb0EES1B_IbLb1EEEEDaS17_S18_EUlS17_E_NS1_11comp_targetILNS1_3genE8ELNS1_11target_archE1030ELNS1_3gpuE2ELNS1_3repE0EEENS1_30default_config_static_selectorELNS0_4arch9wavefront6targetE0EEEvT1_,comdat
	.globl	_ZN7rocprim17ROCPRIM_400000_NS6detail17trampoline_kernelINS0_14default_configENS1_25partition_config_selectorILNS1_17partition_subalgoE8ElNS0_10empty_typeEbEEZZNS1_14partition_implILS5_8ELb0ES3_jPlPS6_PKS6_NS0_5tupleIJS9_S6_EEENSD_IJSA_SA_EEENS0_18inequality_wrapperIZN2at6native12_GLOBAL__N_124unique_dim_cuda_templateIhEESt5tupleIJNSH_6TensorESM_SM_EERKSM_lbbbEUlllE0_EEPmJS6_EEE10hipError_tPvRmT3_T4_T5_T6_T7_T9_mT8_P12ihipStream_tbDpT10_ENKUlT_T0_E_clISt17integral_constantIbLb0EES1B_IbLb1EEEEDaS17_S18_EUlS17_E_NS1_11comp_targetILNS1_3genE8ELNS1_11target_archE1030ELNS1_3gpuE2ELNS1_3repE0EEENS1_30default_config_static_selectorELNS0_4arch9wavefront6targetE0EEEvT1_ ; -- Begin function _ZN7rocprim17ROCPRIM_400000_NS6detail17trampoline_kernelINS0_14default_configENS1_25partition_config_selectorILNS1_17partition_subalgoE8ElNS0_10empty_typeEbEEZZNS1_14partition_implILS5_8ELb0ES3_jPlPS6_PKS6_NS0_5tupleIJS9_S6_EEENSD_IJSA_SA_EEENS0_18inequality_wrapperIZN2at6native12_GLOBAL__N_124unique_dim_cuda_templateIhEESt5tupleIJNSH_6TensorESM_SM_EERKSM_lbbbEUlllE0_EEPmJS6_EEE10hipError_tPvRmT3_T4_T5_T6_T7_T9_mT8_P12ihipStream_tbDpT10_ENKUlT_T0_E_clISt17integral_constantIbLb0EES1B_IbLb1EEEEDaS17_S18_EUlS17_E_NS1_11comp_targetILNS1_3genE8ELNS1_11target_archE1030ELNS1_3gpuE2ELNS1_3repE0EEENS1_30default_config_static_selectorELNS0_4arch9wavefront6targetE0EEEvT1_
	.p2align	8
	.type	_ZN7rocprim17ROCPRIM_400000_NS6detail17trampoline_kernelINS0_14default_configENS1_25partition_config_selectorILNS1_17partition_subalgoE8ElNS0_10empty_typeEbEEZZNS1_14partition_implILS5_8ELb0ES3_jPlPS6_PKS6_NS0_5tupleIJS9_S6_EEENSD_IJSA_SA_EEENS0_18inequality_wrapperIZN2at6native12_GLOBAL__N_124unique_dim_cuda_templateIhEESt5tupleIJNSH_6TensorESM_SM_EERKSM_lbbbEUlllE0_EEPmJS6_EEE10hipError_tPvRmT3_T4_T5_T6_T7_T9_mT8_P12ihipStream_tbDpT10_ENKUlT_T0_E_clISt17integral_constantIbLb0EES1B_IbLb1EEEEDaS17_S18_EUlS17_E_NS1_11comp_targetILNS1_3genE8ELNS1_11target_archE1030ELNS1_3gpuE2ELNS1_3repE0EEENS1_30default_config_static_selectorELNS0_4arch9wavefront6targetE0EEEvT1_,@function
_ZN7rocprim17ROCPRIM_400000_NS6detail17trampoline_kernelINS0_14default_configENS1_25partition_config_selectorILNS1_17partition_subalgoE8ElNS0_10empty_typeEbEEZZNS1_14partition_implILS5_8ELb0ES3_jPlPS6_PKS6_NS0_5tupleIJS9_S6_EEENSD_IJSA_SA_EEENS0_18inequality_wrapperIZN2at6native12_GLOBAL__N_124unique_dim_cuda_templateIhEESt5tupleIJNSH_6TensorESM_SM_EERKSM_lbbbEUlllE0_EEPmJS6_EEE10hipError_tPvRmT3_T4_T5_T6_T7_T9_mT8_P12ihipStream_tbDpT10_ENKUlT_T0_E_clISt17integral_constantIbLb0EES1B_IbLb1EEEEDaS17_S18_EUlS17_E_NS1_11comp_targetILNS1_3genE8ELNS1_11target_archE1030ELNS1_3gpuE2ELNS1_3repE0EEENS1_30default_config_static_selectorELNS0_4arch9wavefront6targetE0EEEvT1_: ; @_ZN7rocprim17ROCPRIM_400000_NS6detail17trampoline_kernelINS0_14default_configENS1_25partition_config_selectorILNS1_17partition_subalgoE8ElNS0_10empty_typeEbEEZZNS1_14partition_implILS5_8ELb0ES3_jPlPS6_PKS6_NS0_5tupleIJS9_S6_EEENSD_IJSA_SA_EEENS0_18inequality_wrapperIZN2at6native12_GLOBAL__N_124unique_dim_cuda_templateIhEESt5tupleIJNSH_6TensorESM_SM_EERKSM_lbbbEUlllE0_EEPmJS6_EEE10hipError_tPvRmT3_T4_T5_T6_T7_T9_mT8_P12ihipStream_tbDpT10_ENKUlT_T0_E_clISt17integral_constantIbLb0EES1B_IbLb1EEEEDaS17_S18_EUlS17_E_NS1_11comp_targetILNS1_3genE8ELNS1_11target_archE1030ELNS1_3gpuE2ELNS1_3repE0EEENS1_30default_config_static_selectorELNS0_4arch9wavefront6targetE0EEEvT1_
; %bb.0:
	.section	.rodata,"a",@progbits
	.p2align	6, 0x0
	.amdhsa_kernel _ZN7rocprim17ROCPRIM_400000_NS6detail17trampoline_kernelINS0_14default_configENS1_25partition_config_selectorILNS1_17partition_subalgoE8ElNS0_10empty_typeEbEEZZNS1_14partition_implILS5_8ELb0ES3_jPlPS6_PKS6_NS0_5tupleIJS9_S6_EEENSD_IJSA_SA_EEENS0_18inequality_wrapperIZN2at6native12_GLOBAL__N_124unique_dim_cuda_templateIhEESt5tupleIJNSH_6TensorESM_SM_EERKSM_lbbbEUlllE0_EEPmJS6_EEE10hipError_tPvRmT3_T4_T5_T6_T7_T9_mT8_P12ihipStream_tbDpT10_ENKUlT_T0_E_clISt17integral_constantIbLb0EES1B_IbLb1EEEEDaS17_S18_EUlS17_E_NS1_11comp_targetILNS1_3genE8ELNS1_11target_archE1030ELNS1_3gpuE2ELNS1_3repE0EEENS1_30default_config_static_selectorELNS0_4arch9wavefront6targetE0EEEvT1_
		.amdhsa_group_segment_fixed_size 0
		.amdhsa_private_segment_fixed_size 0
		.amdhsa_kernarg_size 136
		.amdhsa_user_sgpr_count 2
		.amdhsa_user_sgpr_dispatch_ptr 0
		.amdhsa_user_sgpr_queue_ptr 0
		.amdhsa_user_sgpr_kernarg_segment_ptr 1
		.amdhsa_user_sgpr_dispatch_id 0
		.amdhsa_user_sgpr_kernarg_preload_length 0
		.amdhsa_user_sgpr_kernarg_preload_offset 0
		.amdhsa_user_sgpr_private_segment_size 0
		.amdhsa_wavefront_size32 1
		.amdhsa_uses_dynamic_stack 0
		.amdhsa_enable_private_segment 0
		.amdhsa_system_sgpr_workgroup_id_x 1
		.amdhsa_system_sgpr_workgroup_id_y 0
		.amdhsa_system_sgpr_workgroup_id_z 0
		.amdhsa_system_sgpr_workgroup_info 0
		.amdhsa_system_vgpr_workitem_id 0
		.amdhsa_next_free_vgpr 1
		.amdhsa_next_free_sgpr 1
		.amdhsa_named_barrier_count 0
		.amdhsa_reserve_vcc 0
		.amdhsa_float_round_mode_32 0
		.amdhsa_float_round_mode_16_64 0
		.amdhsa_float_denorm_mode_32 3
		.amdhsa_float_denorm_mode_16_64 3
		.amdhsa_fp16_overflow 0
		.amdhsa_memory_ordered 1
		.amdhsa_forward_progress 1
		.amdhsa_inst_pref_size 0
		.amdhsa_round_robin_scheduling 0
		.amdhsa_exception_fp_ieee_invalid_op 0
		.amdhsa_exception_fp_denorm_src 0
		.amdhsa_exception_fp_ieee_div_zero 0
		.amdhsa_exception_fp_ieee_overflow 0
		.amdhsa_exception_fp_ieee_underflow 0
		.amdhsa_exception_fp_ieee_inexact 0
		.amdhsa_exception_int_div_zero 0
	.end_amdhsa_kernel
	.section	.text._ZN7rocprim17ROCPRIM_400000_NS6detail17trampoline_kernelINS0_14default_configENS1_25partition_config_selectorILNS1_17partition_subalgoE8ElNS0_10empty_typeEbEEZZNS1_14partition_implILS5_8ELb0ES3_jPlPS6_PKS6_NS0_5tupleIJS9_S6_EEENSD_IJSA_SA_EEENS0_18inequality_wrapperIZN2at6native12_GLOBAL__N_124unique_dim_cuda_templateIhEESt5tupleIJNSH_6TensorESM_SM_EERKSM_lbbbEUlllE0_EEPmJS6_EEE10hipError_tPvRmT3_T4_T5_T6_T7_T9_mT8_P12ihipStream_tbDpT10_ENKUlT_T0_E_clISt17integral_constantIbLb0EES1B_IbLb1EEEEDaS17_S18_EUlS17_E_NS1_11comp_targetILNS1_3genE8ELNS1_11target_archE1030ELNS1_3gpuE2ELNS1_3repE0EEENS1_30default_config_static_selectorELNS0_4arch9wavefront6targetE0EEEvT1_,"axG",@progbits,_ZN7rocprim17ROCPRIM_400000_NS6detail17trampoline_kernelINS0_14default_configENS1_25partition_config_selectorILNS1_17partition_subalgoE8ElNS0_10empty_typeEbEEZZNS1_14partition_implILS5_8ELb0ES3_jPlPS6_PKS6_NS0_5tupleIJS9_S6_EEENSD_IJSA_SA_EEENS0_18inequality_wrapperIZN2at6native12_GLOBAL__N_124unique_dim_cuda_templateIhEESt5tupleIJNSH_6TensorESM_SM_EERKSM_lbbbEUlllE0_EEPmJS6_EEE10hipError_tPvRmT3_T4_T5_T6_T7_T9_mT8_P12ihipStream_tbDpT10_ENKUlT_T0_E_clISt17integral_constantIbLb0EES1B_IbLb1EEEEDaS17_S18_EUlS17_E_NS1_11comp_targetILNS1_3genE8ELNS1_11target_archE1030ELNS1_3gpuE2ELNS1_3repE0EEENS1_30default_config_static_selectorELNS0_4arch9wavefront6targetE0EEEvT1_,comdat
.Lfunc_end203:
	.size	_ZN7rocprim17ROCPRIM_400000_NS6detail17trampoline_kernelINS0_14default_configENS1_25partition_config_selectorILNS1_17partition_subalgoE8ElNS0_10empty_typeEbEEZZNS1_14partition_implILS5_8ELb0ES3_jPlPS6_PKS6_NS0_5tupleIJS9_S6_EEENSD_IJSA_SA_EEENS0_18inequality_wrapperIZN2at6native12_GLOBAL__N_124unique_dim_cuda_templateIhEESt5tupleIJNSH_6TensorESM_SM_EERKSM_lbbbEUlllE0_EEPmJS6_EEE10hipError_tPvRmT3_T4_T5_T6_T7_T9_mT8_P12ihipStream_tbDpT10_ENKUlT_T0_E_clISt17integral_constantIbLb0EES1B_IbLb1EEEEDaS17_S18_EUlS17_E_NS1_11comp_targetILNS1_3genE8ELNS1_11target_archE1030ELNS1_3gpuE2ELNS1_3repE0EEENS1_30default_config_static_selectorELNS0_4arch9wavefront6targetE0EEEvT1_, .Lfunc_end203-_ZN7rocprim17ROCPRIM_400000_NS6detail17trampoline_kernelINS0_14default_configENS1_25partition_config_selectorILNS1_17partition_subalgoE8ElNS0_10empty_typeEbEEZZNS1_14partition_implILS5_8ELb0ES3_jPlPS6_PKS6_NS0_5tupleIJS9_S6_EEENSD_IJSA_SA_EEENS0_18inequality_wrapperIZN2at6native12_GLOBAL__N_124unique_dim_cuda_templateIhEESt5tupleIJNSH_6TensorESM_SM_EERKSM_lbbbEUlllE0_EEPmJS6_EEE10hipError_tPvRmT3_T4_T5_T6_T7_T9_mT8_P12ihipStream_tbDpT10_ENKUlT_T0_E_clISt17integral_constantIbLb0EES1B_IbLb1EEEEDaS17_S18_EUlS17_E_NS1_11comp_targetILNS1_3genE8ELNS1_11target_archE1030ELNS1_3gpuE2ELNS1_3repE0EEENS1_30default_config_static_selectorELNS0_4arch9wavefront6targetE0EEEvT1_
                                        ; -- End function
	.set _ZN7rocprim17ROCPRIM_400000_NS6detail17trampoline_kernelINS0_14default_configENS1_25partition_config_selectorILNS1_17partition_subalgoE8ElNS0_10empty_typeEbEEZZNS1_14partition_implILS5_8ELb0ES3_jPlPS6_PKS6_NS0_5tupleIJS9_S6_EEENSD_IJSA_SA_EEENS0_18inequality_wrapperIZN2at6native12_GLOBAL__N_124unique_dim_cuda_templateIhEESt5tupleIJNSH_6TensorESM_SM_EERKSM_lbbbEUlllE0_EEPmJS6_EEE10hipError_tPvRmT3_T4_T5_T6_T7_T9_mT8_P12ihipStream_tbDpT10_ENKUlT_T0_E_clISt17integral_constantIbLb0EES1B_IbLb1EEEEDaS17_S18_EUlS17_E_NS1_11comp_targetILNS1_3genE8ELNS1_11target_archE1030ELNS1_3gpuE2ELNS1_3repE0EEENS1_30default_config_static_selectorELNS0_4arch9wavefront6targetE0EEEvT1_.num_vgpr, 0
	.set _ZN7rocprim17ROCPRIM_400000_NS6detail17trampoline_kernelINS0_14default_configENS1_25partition_config_selectorILNS1_17partition_subalgoE8ElNS0_10empty_typeEbEEZZNS1_14partition_implILS5_8ELb0ES3_jPlPS6_PKS6_NS0_5tupleIJS9_S6_EEENSD_IJSA_SA_EEENS0_18inequality_wrapperIZN2at6native12_GLOBAL__N_124unique_dim_cuda_templateIhEESt5tupleIJNSH_6TensorESM_SM_EERKSM_lbbbEUlllE0_EEPmJS6_EEE10hipError_tPvRmT3_T4_T5_T6_T7_T9_mT8_P12ihipStream_tbDpT10_ENKUlT_T0_E_clISt17integral_constantIbLb0EES1B_IbLb1EEEEDaS17_S18_EUlS17_E_NS1_11comp_targetILNS1_3genE8ELNS1_11target_archE1030ELNS1_3gpuE2ELNS1_3repE0EEENS1_30default_config_static_selectorELNS0_4arch9wavefront6targetE0EEEvT1_.num_agpr, 0
	.set _ZN7rocprim17ROCPRIM_400000_NS6detail17trampoline_kernelINS0_14default_configENS1_25partition_config_selectorILNS1_17partition_subalgoE8ElNS0_10empty_typeEbEEZZNS1_14partition_implILS5_8ELb0ES3_jPlPS6_PKS6_NS0_5tupleIJS9_S6_EEENSD_IJSA_SA_EEENS0_18inequality_wrapperIZN2at6native12_GLOBAL__N_124unique_dim_cuda_templateIhEESt5tupleIJNSH_6TensorESM_SM_EERKSM_lbbbEUlllE0_EEPmJS6_EEE10hipError_tPvRmT3_T4_T5_T6_T7_T9_mT8_P12ihipStream_tbDpT10_ENKUlT_T0_E_clISt17integral_constantIbLb0EES1B_IbLb1EEEEDaS17_S18_EUlS17_E_NS1_11comp_targetILNS1_3genE8ELNS1_11target_archE1030ELNS1_3gpuE2ELNS1_3repE0EEENS1_30default_config_static_selectorELNS0_4arch9wavefront6targetE0EEEvT1_.numbered_sgpr, 0
	.set _ZN7rocprim17ROCPRIM_400000_NS6detail17trampoline_kernelINS0_14default_configENS1_25partition_config_selectorILNS1_17partition_subalgoE8ElNS0_10empty_typeEbEEZZNS1_14partition_implILS5_8ELb0ES3_jPlPS6_PKS6_NS0_5tupleIJS9_S6_EEENSD_IJSA_SA_EEENS0_18inequality_wrapperIZN2at6native12_GLOBAL__N_124unique_dim_cuda_templateIhEESt5tupleIJNSH_6TensorESM_SM_EERKSM_lbbbEUlllE0_EEPmJS6_EEE10hipError_tPvRmT3_T4_T5_T6_T7_T9_mT8_P12ihipStream_tbDpT10_ENKUlT_T0_E_clISt17integral_constantIbLb0EES1B_IbLb1EEEEDaS17_S18_EUlS17_E_NS1_11comp_targetILNS1_3genE8ELNS1_11target_archE1030ELNS1_3gpuE2ELNS1_3repE0EEENS1_30default_config_static_selectorELNS0_4arch9wavefront6targetE0EEEvT1_.num_named_barrier, 0
	.set _ZN7rocprim17ROCPRIM_400000_NS6detail17trampoline_kernelINS0_14default_configENS1_25partition_config_selectorILNS1_17partition_subalgoE8ElNS0_10empty_typeEbEEZZNS1_14partition_implILS5_8ELb0ES3_jPlPS6_PKS6_NS0_5tupleIJS9_S6_EEENSD_IJSA_SA_EEENS0_18inequality_wrapperIZN2at6native12_GLOBAL__N_124unique_dim_cuda_templateIhEESt5tupleIJNSH_6TensorESM_SM_EERKSM_lbbbEUlllE0_EEPmJS6_EEE10hipError_tPvRmT3_T4_T5_T6_T7_T9_mT8_P12ihipStream_tbDpT10_ENKUlT_T0_E_clISt17integral_constantIbLb0EES1B_IbLb1EEEEDaS17_S18_EUlS17_E_NS1_11comp_targetILNS1_3genE8ELNS1_11target_archE1030ELNS1_3gpuE2ELNS1_3repE0EEENS1_30default_config_static_selectorELNS0_4arch9wavefront6targetE0EEEvT1_.private_seg_size, 0
	.set _ZN7rocprim17ROCPRIM_400000_NS6detail17trampoline_kernelINS0_14default_configENS1_25partition_config_selectorILNS1_17partition_subalgoE8ElNS0_10empty_typeEbEEZZNS1_14partition_implILS5_8ELb0ES3_jPlPS6_PKS6_NS0_5tupleIJS9_S6_EEENSD_IJSA_SA_EEENS0_18inequality_wrapperIZN2at6native12_GLOBAL__N_124unique_dim_cuda_templateIhEESt5tupleIJNSH_6TensorESM_SM_EERKSM_lbbbEUlllE0_EEPmJS6_EEE10hipError_tPvRmT3_T4_T5_T6_T7_T9_mT8_P12ihipStream_tbDpT10_ENKUlT_T0_E_clISt17integral_constantIbLb0EES1B_IbLb1EEEEDaS17_S18_EUlS17_E_NS1_11comp_targetILNS1_3genE8ELNS1_11target_archE1030ELNS1_3gpuE2ELNS1_3repE0EEENS1_30default_config_static_selectorELNS0_4arch9wavefront6targetE0EEEvT1_.uses_vcc, 0
	.set _ZN7rocprim17ROCPRIM_400000_NS6detail17trampoline_kernelINS0_14default_configENS1_25partition_config_selectorILNS1_17partition_subalgoE8ElNS0_10empty_typeEbEEZZNS1_14partition_implILS5_8ELb0ES3_jPlPS6_PKS6_NS0_5tupleIJS9_S6_EEENSD_IJSA_SA_EEENS0_18inequality_wrapperIZN2at6native12_GLOBAL__N_124unique_dim_cuda_templateIhEESt5tupleIJNSH_6TensorESM_SM_EERKSM_lbbbEUlllE0_EEPmJS6_EEE10hipError_tPvRmT3_T4_T5_T6_T7_T9_mT8_P12ihipStream_tbDpT10_ENKUlT_T0_E_clISt17integral_constantIbLb0EES1B_IbLb1EEEEDaS17_S18_EUlS17_E_NS1_11comp_targetILNS1_3genE8ELNS1_11target_archE1030ELNS1_3gpuE2ELNS1_3repE0EEENS1_30default_config_static_selectorELNS0_4arch9wavefront6targetE0EEEvT1_.uses_flat_scratch, 0
	.set _ZN7rocprim17ROCPRIM_400000_NS6detail17trampoline_kernelINS0_14default_configENS1_25partition_config_selectorILNS1_17partition_subalgoE8ElNS0_10empty_typeEbEEZZNS1_14partition_implILS5_8ELb0ES3_jPlPS6_PKS6_NS0_5tupleIJS9_S6_EEENSD_IJSA_SA_EEENS0_18inequality_wrapperIZN2at6native12_GLOBAL__N_124unique_dim_cuda_templateIhEESt5tupleIJNSH_6TensorESM_SM_EERKSM_lbbbEUlllE0_EEPmJS6_EEE10hipError_tPvRmT3_T4_T5_T6_T7_T9_mT8_P12ihipStream_tbDpT10_ENKUlT_T0_E_clISt17integral_constantIbLb0EES1B_IbLb1EEEEDaS17_S18_EUlS17_E_NS1_11comp_targetILNS1_3genE8ELNS1_11target_archE1030ELNS1_3gpuE2ELNS1_3repE0EEENS1_30default_config_static_selectorELNS0_4arch9wavefront6targetE0EEEvT1_.has_dyn_sized_stack, 0
	.set _ZN7rocprim17ROCPRIM_400000_NS6detail17trampoline_kernelINS0_14default_configENS1_25partition_config_selectorILNS1_17partition_subalgoE8ElNS0_10empty_typeEbEEZZNS1_14partition_implILS5_8ELb0ES3_jPlPS6_PKS6_NS0_5tupleIJS9_S6_EEENSD_IJSA_SA_EEENS0_18inequality_wrapperIZN2at6native12_GLOBAL__N_124unique_dim_cuda_templateIhEESt5tupleIJNSH_6TensorESM_SM_EERKSM_lbbbEUlllE0_EEPmJS6_EEE10hipError_tPvRmT3_T4_T5_T6_T7_T9_mT8_P12ihipStream_tbDpT10_ENKUlT_T0_E_clISt17integral_constantIbLb0EES1B_IbLb1EEEEDaS17_S18_EUlS17_E_NS1_11comp_targetILNS1_3genE8ELNS1_11target_archE1030ELNS1_3gpuE2ELNS1_3repE0EEENS1_30default_config_static_selectorELNS0_4arch9wavefront6targetE0EEEvT1_.has_recursion, 0
	.set _ZN7rocprim17ROCPRIM_400000_NS6detail17trampoline_kernelINS0_14default_configENS1_25partition_config_selectorILNS1_17partition_subalgoE8ElNS0_10empty_typeEbEEZZNS1_14partition_implILS5_8ELb0ES3_jPlPS6_PKS6_NS0_5tupleIJS9_S6_EEENSD_IJSA_SA_EEENS0_18inequality_wrapperIZN2at6native12_GLOBAL__N_124unique_dim_cuda_templateIhEESt5tupleIJNSH_6TensorESM_SM_EERKSM_lbbbEUlllE0_EEPmJS6_EEE10hipError_tPvRmT3_T4_T5_T6_T7_T9_mT8_P12ihipStream_tbDpT10_ENKUlT_T0_E_clISt17integral_constantIbLb0EES1B_IbLb1EEEEDaS17_S18_EUlS17_E_NS1_11comp_targetILNS1_3genE8ELNS1_11target_archE1030ELNS1_3gpuE2ELNS1_3repE0EEENS1_30default_config_static_selectorELNS0_4arch9wavefront6targetE0EEEvT1_.has_indirect_call, 0
	.section	.AMDGPU.csdata,"",@progbits
; Kernel info:
; codeLenInByte = 0
; TotalNumSgprs: 0
; NumVgprs: 0
; ScratchSize: 0
; MemoryBound: 0
; FloatMode: 240
; IeeeMode: 1
; LDSByteSize: 0 bytes/workgroup (compile time only)
; SGPRBlocks: 0
; VGPRBlocks: 0
; NumSGPRsForWavesPerEU: 1
; NumVGPRsForWavesPerEU: 1
; NamedBarCnt: 0
; Occupancy: 16
; WaveLimiterHint : 0
; COMPUTE_PGM_RSRC2:SCRATCH_EN: 0
; COMPUTE_PGM_RSRC2:USER_SGPR: 2
; COMPUTE_PGM_RSRC2:TRAP_HANDLER: 0
; COMPUTE_PGM_RSRC2:TGID_X_EN: 1
; COMPUTE_PGM_RSRC2:TGID_Y_EN: 0
; COMPUTE_PGM_RSRC2:TGID_Z_EN: 0
; COMPUTE_PGM_RSRC2:TIDIG_COMP_CNT: 0
	.section	.text._ZN7rocprim17ROCPRIM_400000_NS6detail17trampoline_kernelINS0_14default_configENS1_25partition_config_selectorILNS1_17partition_subalgoE9EllbEEZZNS1_14partition_implILS5_9ELb0ES3_jPlS8_PNS0_10empty_typeENS0_5tupleIJS8_S9_EEENSB_IJS8_SA_EEENS0_18inequality_wrapperIZN2at6native12_GLOBAL__N_124unique_dim_cuda_templateIhEESt5tupleIJNSF_6TensorESK_SK_EERKSK_lbbbEUlllE0_EEPmJS9_EEE10hipError_tPvRmT3_T4_T5_T6_T7_T9_mT8_P12ihipStream_tbDpT10_ENKUlT_T0_E_clISt17integral_constantIbLb0EES1A_EEDaS15_S16_EUlS15_E_NS1_11comp_targetILNS1_3genE0ELNS1_11target_archE4294967295ELNS1_3gpuE0ELNS1_3repE0EEENS1_30default_config_static_selectorELNS0_4arch9wavefront6targetE0EEEvT1_,"axG",@progbits,_ZN7rocprim17ROCPRIM_400000_NS6detail17trampoline_kernelINS0_14default_configENS1_25partition_config_selectorILNS1_17partition_subalgoE9EllbEEZZNS1_14partition_implILS5_9ELb0ES3_jPlS8_PNS0_10empty_typeENS0_5tupleIJS8_S9_EEENSB_IJS8_SA_EEENS0_18inequality_wrapperIZN2at6native12_GLOBAL__N_124unique_dim_cuda_templateIhEESt5tupleIJNSF_6TensorESK_SK_EERKSK_lbbbEUlllE0_EEPmJS9_EEE10hipError_tPvRmT3_T4_T5_T6_T7_T9_mT8_P12ihipStream_tbDpT10_ENKUlT_T0_E_clISt17integral_constantIbLb0EES1A_EEDaS15_S16_EUlS15_E_NS1_11comp_targetILNS1_3genE0ELNS1_11target_archE4294967295ELNS1_3gpuE0ELNS1_3repE0EEENS1_30default_config_static_selectorELNS0_4arch9wavefront6targetE0EEEvT1_,comdat
	.globl	_ZN7rocprim17ROCPRIM_400000_NS6detail17trampoline_kernelINS0_14default_configENS1_25partition_config_selectorILNS1_17partition_subalgoE9EllbEEZZNS1_14partition_implILS5_9ELb0ES3_jPlS8_PNS0_10empty_typeENS0_5tupleIJS8_S9_EEENSB_IJS8_SA_EEENS0_18inequality_wrapperIZN2at6native12_GLOBAL__N_124unique_dim_cuda_templateIhEESt5tupleIJNSF_6TensorESK_SK_EERKSK_lbbbEUlllE0_EEPmJS9_EEE10hipError_tPvRmT3_T4_T5_T6_T7_T9_mT8_P12ihipStream_tbDpT10_ENKUlT_T0_E_clISt17integral_constantIbLb0EES1A_EEDaS15_S16_EUlS15_E_NS1_11comp_targetILNS1_3genE0ELNS1_11target_archE4294967295ELNS1_3gpuE0ELNS1_3repE0EEENS1_30default_config_static_selectorELNS0_4arch9wavefront6targetE0EEEvT1_ ; -- Begin function _ZN7rocprim17ROCPRIM_400000_NS6detail17trampoline_kernelINS0_14default_configENS1_25partition_config_selectorILNS1_17partition_subalgoE9EllbEEZZNS1_14partition_implILS5_9ELb0ES3_jPlS8_PNS0_10empty_typeENS0_5tupleIJS8_S9_EEENSB_IJS8_SA_EEENS0_18inequality_wrapperIZN2at6native12_GLOBAL__N_124unique_dim_cuda_templateIhEESt5tupleIJNSF_6TensorESK_SK_EERKSK_lbbbEUlllE0_EEPmJS9_EEE10hipError_tPvRmT3_T4_T5_T6_T7_T9_mT8_P12ihipStream_tbDpT10_ENKUlT_T0_E_clISt17integral_constantIbLb0EES1A_EEDaS15_S16_EUlS15_E_NS1_11comp_targetILNS1_3genE0ELNS1_11target_archE4294967295ELNS1_3gpuE0ELNS1_3repE0EEENS1_30default_config_static_selectorELNS0_4arch9wavefront6targetE0EEEvT1_
	.p2align	8
	.type	_ZN7rocprim17ROCPRIM_400000_NS6detail17trampoline_kernelINS0_14default_configENS1_25partition_config_selectorILNS1_17partition_subalgoE9EllbEEZZNS1_14partition_implILS5_9ELb0ES3_jPlS8_PNS0_10empty_typeENS0_5tupleIJS8_S9_EEENSB_IJS8_SA_EEENS0_18inequality_wrapperIZN2at6native12_GLOBAL__N_124unique_dim_cuda_templateIhEESt5tupleIJNSF_6TensorESK_SK_EERKSK_lbbbEUlllE0_EEPmJS9_EEE10hipError_tPvRmT3_T4_T5_T6_T7_T9_mT8_P12ihipStream_tbDpT10_ENKUlT_T0_E_clISt17integral_constantIbLb0EES1A_EEDaS15_S16_EUlS15_E_NS1_11comp_targetILNS1_3genE0ELNS1_11target_archE4294967295ELNS1_3gpuE0ELNS1_3repE0EEENS1_30default_config_static_selectorELNS0_4arch9wavefront6targetE0EEEvT1_,@function
_ZN7rocprim17ROCPRIM_400000_NS6detail17trampoline_kernelINS0_14default_configENS1_25partition_config_selectorILNS1_17partition_subalgoE9EllbEEZZNS1_14partition_implILS5_9ELb0ES3_jPlS8_PNS0_10empty_typeENS0_5tupleIJS8_S9_EEENSB_IJS8_SA_EEENS0_18inequality_wrapperIZN2at6native12_GLOBAL__N_124unique_dim_cuda_templateIhEESt5tupleIJNSF_6TensorESK_SK_EERKSK_lbbbEUlllE0_EEPmJS9_EEE10hipError_tPvRmT3_T4_T5_T6_T7_T9_mT8_P12ihipStream_tbDpT10_ENKUlT_T0_E_clISt17integral_constantIbLb0EES1A_EEDaS15_S16_EUlS15_E_NS1_11comp_targetILNS1_3genE0ELNS1_11target_archE4294967295ELNS1_3gpuE0ELNS1_3repE0EEENS1_30default_config_static_selectorELNS0_4arch9wavefront6targetE0EEEvT1_: ; @_ZN7rocprim17ROCPRIM_400000_NS6detail17trampoline_kernelINS0_14default_configENS1_25partition_config_selectorILNS1_17partition_subalgoE9EllbEEZZNS1_14partition_implILS5_9ELb0ES3_jPlS8_PNS0_10empty_typeENS0_5tupleIJS8_S9_EEENSB_IJS8_SA_EEENS0_18inequality_wrapperIZN2at6native12_GLOBAL__N_124unique_dim_cuda_templateIhEESt5tupleIJNSF_6TensorESK_SK_EERKSK_lbbbEUlllE0_EEPmJS9_EEE10hipError_tPvRmT3_T4_T5_T6_T7_T9_mT8_P12ihipStream_tbDpT10_ENKUlT_T0_E_clISt17integral_constantIbLb0EES1A_EEDaS15_S16_EUlS15_E_NS1_11comp_targetILNS1_3genE0ELNS1_11target_archE4294967295ELNS1_3gpuE0ELNS1_3repE0EEENS1_30default_config_static_selectorELNS0_4arch9wavefront6targetE0EEEvT1_
; %bb.0:
	s_clause 0x2
	s_load_b128 s[4:7], s[0:1], 0x8
	s_load_b256 s[12:19], s[0:1], 0x40
	s_load_b32 s2, s[0:1], 0x70
	s_bfe_u32 s10, ttmp6, 0x4000c
	s_and_b32 s8, ttmp6, 15
	s_add_co_i32 s10, s10, 1
	s_load_b64 s[20:21], s[0:1], 0x18
	s_mul_i32 s10, ttmp9, s10
	s_getreg_b32 s24, hwreg(HW_REG_IB_STS2, 6, 4)
	s_add_co_i32 s10, s8, s10
	s_mov_b32 s9, 0
	v_dual_mov_b32 v1, v0 :: v_dual_lshlrev_b32 v34, 3, v0
	s_mov_b32 s11, s9
	s_mov_b32 s3, -1
	s_wait_kmcnt 0x0
	s_lshl_b64 s[22:23], s[6:7], 3
	s_load_b64 s[14:15], s[14:15], 0x0
	s_mul_i32 s8, s2, 0x280
	s_cmp_eq_u32 s24, 0
	s_add_nc_u64 s[24:25], s[6:7], s[8:9]
	s_cselect_b32 s26, ttmp9, s10
	s_add_co_i32 s8, s8, s6
	v_cmp_le_u64_e64 s9, s[16:17], s[24:25]
	s_sub_co_i32 s27, s16, s8
	s_add_co_i32 s2, s2, -1
	s_addk_co_i32 s27, 0x280
	s_cmp_eq_u32 s26, s2
	s_mul_i32 s10, s26, 0x280
	s_cselect_b32 s24, -1, 0
	s_add_nc_u64 s[4:5], s[4:5], s[22:23]
	s_and_b32 s28, s24, s9
	s_lshl_b64 s[16:17], s[10:11], 3
	s_xor_b32 s25, s28, -1
	s_add_nc_u64 s[4:5], s[4:5], s[16:17]
	s_and_b32 vcc_lo, exec_lo, s25
	s_cbranch_vccz .LBB204_2
; %bb.1:
	s_clause 0x4
	global_load_b64 v[2:3], v0, s[4:5] scale_offset
	global_load_b64 v[4:5], v0, s[4:5] offset:1024 scale_offset
	global_load_b64 v[6:7], v0, s[4:5] offset:2048 scale_offset
	;; [unrolled: 1-line block ×4, first 2 shown]
	v_lshlrev_b32_e32 v12, 3, v0
	s_mov_b32 s3, 0
	s_wait_loadcnt 0x3
	ds_store_2addr_stride64_b64 v12, v[2:3], v[4:5] offset1:2
	s_wait_loadcnt 0x1
	ds_store_2addr_stride64_b64 v12, v[6:7], v[8:9] offset0:4 offset1:6
	s_wait_loadcnt 0x0
	ds_store_b64 v12, v[10:11] offset:4096
	s_wait_dscnt 0x0
	s_barrier_signal -1
	s_barrier_wait -1
.LBB204_2:
	s_load_b128 s[8:11], s[0:1], 0x60
	v_cmp_gt_u32_e64 s2, s27, v0
	s_and_not1_b32 vcc_lo, exec_lo, s3
	s_cbranch_vccnz .LBB204_14
; %bb.3:
	v_mov_b32_e32 v2, 0
	s_delay_alu instid0(VALU_DEP_1)
	v_dual_mov_b32 v3, v2 :: v_dual_mov_b32 v4, v2
	v_dual_mov_b32 v5, v2 :: v_dual_mov_b32 v6, v2
	;; [unrolled: 1-line block ×4, first 2 shown]
	v_mov_b32_e32 v11, v2
	s_and_saveexec_b32 s3, s2
	s_cbranch_execz .LBB204_5
; %bb.4:
	global_load_b64 v[4:5], v0, s[4:5] scale_offset
	v_dual_mov_b32 v6, v2 :: v_dual_mov_b32 v7, v2
	v_dual_mov_b32 v8, v2 :: v_dual_mov_b32 v9, v2
	;; [unrolled: 1-line block ×4, first 2 shown]
	s_wait_loadcnt 0x0
	v_mov_b64_e32 v[2:3], v[4:5]
	v_mov_b64_e32 v[4:5], v[6:7]
	;; [unrolled: 1-line block ×8, first 2 shown]
.LBB204_5:
	s_or_b32 exec_lo, exec_lo, s3
	v_or_b32_e32 v12, 0x80, v0
	s_mov_b32 s2, exec_lo
	s_delay_alu instid0(VALU_DEP_1)
	v_cmpx_gt_u32_e64 s27, v12
	s_cbranch_execz .LBB204_7
; %bb.6:
	global_load_b64 v[4:5], v0, s[4:5] offset:1024 scale_offset
.LBB204_7:
	s_wait_xcnt 0x0
	s_or_b32 exec_lo, exec_lo, s2
	v_or_b32_e32 v12, 0x100, v0
	s_mov_b32 s2, exec_lo
	s_delay_alu instid0(VALU_DEP_1)
	v_cmpx_gt_u32_e64 s27, v12
	s_cbranch_execz .LBB204_9
; %bb.8:
	global_load_b64 v[6:7], v0, s[4:5] offset:2048 scale_offset
.LBB204_9:
	s_wait_xcnt 0x0
	;; [unrolled: 10-line block ×4, first 2 shown]
	s_or_b32 exec_lo, exec_lo, s2
	v_lshlrev_b32_e32 v12, 3, v0
	s_wait_loadcnt 0x0
	ds_store_2addr_stride64_b64 v12, v[2:3], v[4:5] offset1:2
	ds_store_2addr_stride64_b64 v12, v[6:7], v[8:9] offset0:4 offset1:6
	ds_store_b64 v12, v[10:11] offset:4096
	s_wait_dscnt 0x0
	s_barrier_signal -1
	s_barrier_wait -1
.LBB204_14:
	v_mul_u32_u24_e32 v30, 5, v0
	s_add_nc_u64 s[2:3], s[20:21], s[22:23]
	s_and_b32 vcc_lo, exec_lo, s25
	s_add_nc_u64 s[2:3], s[2:3], s[16:17]
	s_delay_alu instid0(VALU_DEP_1)
	v_lshlrev_b32_e32 v28, 3, v30
	s_mov_b32 s16, -1
	ds_load_2addr_b64 v[14:17], v28 offset1:1
	ds_load_2addr_b64 v[10:13], v28 offset0:2 offset1:3
	ds_load_b64 v[20:21], v28 offset:32
	s_wait_dscnt 0x0
	s_barrier_signal -1
	s_barrier_wait -1
	s_cbranch_vccz .LBB204_16
; %bb.15:
	s_clause 0x4
	global_load_b64 v[2:3], v0, s[2:3] scale_offset
	global_load_b64 v[4:5], v0, s[2:3] offset:1024 scale_offset
	global_load_b64 v[6:7], v0, s[2:3] offset:2048 scale_offset
	;; [unrolled: 1-line block ×4, first 2 shown]
	v_lshlrev_b32_e32 v22, 3, v0
	s_mov_b32 s16, 0
	s_wait_loadcnt 0x3
	ds_store_2addr_stride64_b64 v22, v[2:3], v[4:5] offset1:2
	s_wait_loadcnt 0x1
	ds_store_2addr_stride64_b64 v22, v[6:7], v[8:9] offset0:4 offset1:6
	s_wait_loadcnt 0x0
	ds_store_b64 v22, v[18:19] offset:4096
	s_wait_dscnt 0x0
	s_barrier_signal -1
	s_barrier_wait -1
.LBB204_16:
	s_and_not1_b32 vcc_lo, exec_lo, s16
	s_cbranch_vccnz .LBB204_28
; %bb.17:
	s_mov_b32 s16, exec_lo
                                        ; implicit-def: $vgpr2_vgpr3
	v_cmpx_gt_u32_e64 s27, v0
	s_cbranch_execz .LBB204_19
; %bb.18:
	global_load_b64 v[2:3], v0, s[2:3] scale_offset
.LBB204_19:
	s_wait_xcnt 0x0
	s_or_b32 exec_lo, exec_lo, s16
	v_or_b32_e32 v4, 0x80, v0
	s_delay_alu instid0(VALU_DEP_1)
	v_cmp_gt_u32_e32 vcc_lo, s27, v4
                                        ; implicit-def: $vgpr4_vgpr5
	s_and_saveexec_b32 s16, vcc_lo
	s_cbranch_execz .LBB204_21
; %bb.20:
	global_load_b64 v[4:5], v0, s[2:3] offset:1024 scale_offset
.LBB204_21:
	s_wait_xcnt 0x0
	s_or_b32 exec_lo, exec_lo, s16
	v_or_b32_e32 v6, 0x100, v0
	s_delay_alu instid0(VALU_DEP_1)
	v_cmp_gt_u32_e32 vcc_lo, s27, v6
                                        ; implicit-def: $vgpr6_vgpr7
	s_and_saveexec_b32 s16, vcc_lo
	s_cbranch_execz .LBB204_23
; %bb.22:
	global_load_b64 v[6:7], v0, s[2:3] offset:2048 scale_offset
.LBB204_23:
	s_wait_xcnt 0x0
	s_or_b32 exec_lo, exec_lo, s16
	v_or_b32_e32 v8, 0x180, v0
	s_delay_alu instid0(VALU_DEP_1)
	v_cmp_gt_u32_e32 vcc_lo, s27, v8
                                        ; implicit-def: $vgpr8_vgpr9
	s_and_saveexec_b32 s16, vcc_lo
	s_cbranch_execz .LBB204_25
; %bb.24:
	global_load_b64 v[8:9], v0, s[2:3] offset:3072 scale_offset
.LBB204_25:
	s_wait_xcnt 0x0
	s_or_b32 exec_lo, exec_lo, s16
	v_or_b32_e32 v18, 0x200, v0
	s_delay_alu instid0(VALU_DEP_1)
	v_cmp_gt_u32_e32 vcc_lo, s27, v18
                                        ; implicit-def: $vgpr18_vgpr19
	s_and_saveexec_b32 s16, vcc_lo
	s_cbranch_execz .LBB204_27
; %bb.26:
	global_load_b64 v[18:19], v0, s[2:3] offset:4096 scale_offset
.LBB204_27:
	s_wait_xcnt 0x0
	s_or_b32 exec_lo, exec_lo, s16
	v_lshlrev_b32_e32 v22, 5, v0
	s_delay_alu instid0(VALU_DEP_1)
	v_sub_nc_u32_e32 v22, v28, v22
	s_wait_loadcnt 0x0
	ds_store_2addr_stride64_b64 v22, v[2:3], v[4:5] offset1:2
	ds_store_2addr_stride64_b64 v22, v[6:7], v[8:9] offset0:4 offset1:6
	ds_store_b64 v22, v[18:19] offset:4096
	s_wait_dscnt 0x0
	s_barrier_signal -1
	s_barrier_wait -1
.LBB204_28:
	ds_load_b64 v[18:19], v28 offset:32
	ds_load_2addr_b64 v[2:5], v28 offset0:2 offset1:3
	ds_load_2addr_b64 v[6:9], v28 offset1:1
	s_cmp_lg_u32 s26, 0
	v_cmp_gt_i64_e64 s17, s[18:19], 0
	s_cselect_b32 s16, -1, 0
	s_cmp_lg_u64 s[6:7], 0
	s_mov_b32 s6, 0
	s_cselect_b32 s2, -1, 0
	s_wait_dscnt 0x0
	s_or_b32 s2, s16, s2
	s_barrier_signal -1
	s_and_b32 vcc_lo, exec_lo, s2
	s_barrier_wait -1
	s_cbranch_vccz .LBB204_40
; %bb.29:
	s_add_nc_u64 s[2:3], s[4:5], -8
	v_cndmask_b32_e64 v29, 0, 1, s17
	s_load_b64 s[4:5], s[2:3], 0x0
	v_lshlrev_b32_e32 v31, 3, v0
	s_and_b32 vcc_lo, exec_lo, s25
	s_wait_xcnt 0x0
	v_cmp_ne_u32_e64 s2, 1, v29
	ds_store_b64 v31, v[20:21]
	s_cbranch_vccz .LBB204_42
; %bb.30:
	s_and_b32 vcc_lo, exec_lo, s2
	s_cbranch_vccnz .LBB204_43
; %bb.31:
	s_wait_kmcnt 0x0
	v_mad_nc_u64_u32 v[22:23], v12, s18, s[8:9]
	v_mad_nc_u64_u32 v[24:25], v20, s18, s[8:9]
	s_add_nc_u64 s[6:7], s[18:19], -1
	s_mov_b32 s21, 0
	s_mov_b64 s[2:3], s[6:7]
                                        ; implicit-def: $sgpr20
	s_delay_alu instid0(VALU_DEP_2) | instskip(NEXT) | instid1(VALU_DEP_2)
	v_mad_u32 v23, v13, s18, v23
	v_mad_u32 v25, v21, s18, v25
	s_delay_alu instid0(VALU_DEP_2) | instskip(NEXT) | instid1(VALU_DEP_2)
	v_mad_u32 v23, v12, s19, v23
	v_mad_u32 v25, v20, s19, v25
	s_delay_alu instid0(VALU_DEP_2)
	v_mov_b64_e32 v[26:27], v[22:23]
.LBB204_32:                             ; =>This Inner Loop Header: Depth=1
	global_load_u8 v32, v[26:27], off
	global_load_u8 v33, v[24:25], off
	s_cmp_eq_u64 s[2:3], 0
	s_add_nc_u64 s[22:23], s[2:3], -1
	s_cselect_b32 s3, -1, 0
	s_wait_xcnt 0x1
	v_add_nc_u64_e32 v[26:27], 1, v[26:27]
	s_wait_xcnt 0x0
	v_add_nc_u64_e32 v[24:25], 1, v[24:25]
	s_wait_loadcnt 0x0
	v_cmp_ne_u16_e32 vcc_lo, v32, v33
	v_cmp_eq_u16_e64 s2, v32, v33
	s_or_b32 s3, vcc_lo, s3
	s_delay_alu instid0(SALU_CYCLE_1) | instskip(NEXT) | instid1(SALU_CYCLE_1)
	s_and_b32 s3, exec_lo, s3
	s_or_b32 s21, s3, s21
	s_and_not1_b32 s20, s20, exec_lo
	s_and_b32 s29, s2, exec_lo
	s_mov_b64 s[2:3], s[22:23]
	s_or_b32 s20, s20, s29
	s_and_not1_b32 exec_lo, exec_lo, s21
	s_cbranch_execnz .LBB204_32
; %bb.33:
	s_or_b32 exec_lo, exec_lo, s21
	v_mad_nc_u64_u32 v[24:25], v10, s18, s[8:9]
	s_mov_b32 s22, 0
	s_mov_b64 s[2:3], s[6:7]
                                        ; implicit-def: $sgpr21
	s_delay_alu instid0(VALU_DEP_1) | instskip(NEXT) | instid1(VALU_DEP_1)
	v_mad_u32 v25, v11, s18, v25
	v_mad_u32 v25, v10, s19, v25
	s_delay_alu instid0(VALU_DEP_1)
	v_mov_b64_e32 v[26:27], v[24:25]
.LBB204_34:                             ; =>This Inner Loop Header: Depth=1
	global_load_u8 v32, v[26:27], off
	global_load_u8 v33, v[22:23], off
	s_cmp_eq_u64 s[2:3], 0
	s_add_nc_u64 s[30:31], s[2:3], -1
	s_cselect_b32 s3, -1, 0
	s_wait_xcnt 0x1
	v_add_nc_u64_e32 v[26:27], 1, v[26:27]
	s_wait_xcnt 0x0
	v_add_nc_u64_e32 v[22:23], 1, v[22:23]
	s_wait_loadcnt 0x0
	v_cmp_ne_u16_e32 vcc_lo, v32, v33
	v_cmp_eq_u16_e64 s2, v32, v33
	s_or_b32 s3, vcc_lo, s3
	s_delay_alu instid0(SALU_CYCLE_1) | instskip(NEXT) | instid1(SALU_CYCLE_1)
	s_and_b32 s3, exec_lo, s3
	s_or_b32 s22, s3, s22
	s_and_not1_b32 s21, s21, exec_lo
	s_and_b32 s23, s2, exec_lo
	s_mov_b64 s[2:3], s[30:31]
	s_or_b32 s21, s21, s23
	s_and_not1_b32 exec_lo, exec_lo, s22
	s_cbranch_execnz .LBB204_34
; %bb.35:
	s_or_b32 exec_lo, exec_lo, s22
	v_mad_nc_u64_u32 v[22:23], v16, s18, s[8:9]
	s_mov_b32 s23, 0
	s_mov_b64 s[2:3], s[6:7]
                                        ; implicit-def: $sgpr22
	s_delay_alu instid0(VALU_DEP_1) | instskip(NEXT) | instid1(VALU_DEP_1)
	v_mad_u32 v23, v17, s18, v23
	v_mad_u32 v23, v16, s19, v23
	s_delay_alu instid0(VALU_DEP_1)
	v_mov_b64_e32 v[26:27], v[22:23]
.LBB204_36:                             ; =>This Inner Loop Header: Depth=1
	global_load_u8 v32, v[26:27], off
	global_load_u8 v33, v[24:25], off
	s_cmp_eq_u64 s[2:3], 0
	s_add_nc_u64 s[30:31], s[2:3], -1
	s_cselect_b32 s3, -1, 0
	s_wait_xcnt 0x1
	v_add_nc_u64_e32 v[26:27], 1, v[26:27]
	s_wait_xcnt 0x0
	v_add_nc_u64_e32 v[24:25], 1, v[24:25]
	s_wait_loadcnt 0x0
	v_cmp_ne_u16_e32 vcc_lo, v32, v33
	v_cmp_eq_u16_e64 s2, v32, v33
	s_or_b32 s3, vcc_lo, s3
	s_delay_alu instid0(SALU_CYCLE_1) | instskip(NEXT) | instid1(SALU_CYCLE_1)
	s_and_b32 s3, exec_lo, s3
	s_or_b32 s23, s3, s23
	s_and_not1_b32 s22, s22, exec_lo
	s_and_b32 s29, s2, exec_lo
	s_mov_b64 s[2:3], s[30:31]
	s_or_b32 s22, s22, s29
	s_and_not1_b32 exec_lo, exec_lo, s23
	s_cbranch_execnz .LBB204_36
; %bb.37:
	s_or_b32 exec_lo, exec_lo, s23
	v_mad_nc_u64_u32 v[24:25], v14, s18, s[8:9]
	s_mov_b32 s23, 0
                                        ; implicit-def: $sgpr3
	s_delay_alu instid0(VALU_DEP_1) | instskip(NEXT) | instid1(VALU_DEP_1)
	v_mad_u32 v25, v15, s18, v25
	v_mad_u32 v25, v14, s19, v25
.LBB204_38:                             ; =>This Inner Loop Header: Depth=1
	global_load_u8 v26, v[24:25], off
	global_load_u8 v27, v[22:23], off
	s_cmp_eq_u64 s[6:7], 0
	s_add_nc_u64 s[30:31], s[6:7], -1
	s_cselect_b32 s6, -1, 0
	s_wait_xcnt 0x1
	v_add_nc_u64_e32 v[24:25], 1, v[24:25]
	s_wait_xcnt 0x0
	v_add_nc_u64_e32 v[22:23], 1, v[22:23]
	s_wait_loadcnt 0x0
	v_cmp_ne_u16_e32 vcc_lo, v26, v27
	v_cmp_eq_u16_e64 s2, v26, v27
	s_or_b32 s6, vcc_lo, s6
	s_delay_alu instid0(SALU_CYCLE_1) | instskip(NEXT) | instid1(SALU_CYCLE_1)
	s_and_b32 s6, exec_lo, s6
	s_or_b32 s23, s6, s23
	s_and_not1_b32 s3, s3, exec_lo
	s_and_b32 s2, s2, exec_lo
	s_mov_b64 s[6:7], s[30:31]
	s_or_b32 s3, s3, s2
	s_and_not1_b32 exec_lo, exec_lo, s23
	s_cbranch_execnz .LBB204_38
; %bb.39:
	s_or_b32 exec_lo, exec_lo, s23
	s_xor_b32 s2, s21, -1
	s_xor_b32 s3, s3, -1
	v_cndmask_b32_e64 v22, 0, 1, s2
	s_xor_b32 s2, s22, -1
	s_delay_alu instid0(SALU_CYCLE_1) | instskip(SKIP_1) | instid1(VALU_DEP_2)
	v_cndmask_b32_e64 v23, 0, 1, s2
	s_xor_b32 s2, s20, -1
	v_lshlrev_b16 v22, 8, v22
	v_cndmask_b32_e64 v35, 0, 1, s2
	s_delay_alu instid0(VALU_DEP_2) | instskip(NEXT) | instid1(VALU_DEP_1)
	v_lshrrev_b32_e32 v22, 8, v22
	v_lshlrev_b16 v22, 8, v22
	s_delay_alu instid0(VALU_DEP_1) | instskip(NEXT) | instid1(VALU_DEP_1)
	v_or_b32_e32 v22, v23, v22
	v_lshlrev_b32_e32 v22, 16, v22
	s_branch .LBB204_44
.LBB204_40:
                                        ; implicit-def: $sgpr2
                                        ; implicit-def: $vgpr35
                                        ; implicit-def: $vgpr25
	s_branch .LBB204_85
.LBB204_41:
                                        ; implicit-def: $vgpr24
                                        ; implicit-def: $vgpr23
                                        ; implicit-def: $vgpr36
                                        ; implicit-def: $vgpr22
	s_branch .LBB204_138
.LBB204_42:
                                        ; implicit-def: $sgpr2
                                        ; implicit-def: $vgpr35
                                        ; implicit-def: $vgpr25
	s_cbranch_execnz .LBB204_51
	s_branch .LBB204_84
.LBB204_43:
	v_dual_mov_b32 v22, 0 :: v_dual_mov_b32 v35, 0
	s_mov_b32 s3, 0
.LBB204_44:
	s_wait_kmcnt 0x0
	v_mov_b64_e32 v[26:27], s[4:5]
	s_mov_b32 s2, 0
	s_mov_b32 s6, exec_lo
	s_wait_dscnt 0x0
	s_barrier_signal -1
	s_barrier_wait -1
	v_cmpx_ne_u32_e32 0, v0
; %bb.45:
	v_add_nc_u32_e32 v23, -8, v31
	ds_load_b64 v[26:27], v23
; %bb.46:
	s_or_b32 exec_lo, exec_lo, s6
	v_cndmask_b32_e64 v23, 0, 1, s3
	v_lshrrev_b32_e32 v24, 16, v22
	s_and_not1_b32 vcc_lo, exec_lo, s17
	s_delay_alu instid0(VALU_DEP_2) | instskip(NEXT) | instid1(VALU_DEP_2)
	v_lshlrev_b16 v23, 8, v23
	v_perm_b32 v32, v24, v22, 0xc0c0304
	s_delay_alu instid0(VALU_DEP_2) | instskip(NEXT) | instid1(VALU_DEP_1)
	v_bitop3_b16 v23, v22, v23, 0xff bitop3:0xec
	v_and_b32_e32 v33, 0xffff, v23
	s_cbranch_vccnz .LBB204_50
; %bb.47:
	s_wait_dscnt 0x0
	v_mad_nc_u64_u32 v[22:23], v26, s18, s[8:9]
	v_mad_nc_u64_u32 v[24:25], v14, s18, s[8:9]
	s_add_nc_u64 s[2:3], s[18:19], -1
	s_mov_b32 s6, 0
                                        ; implicit-def: $sgpr7
	s_delay_alu instid0(VALU_DEP_2) | instskip(NEXT) | instid1(VALU_DEP_2)
	v_mad_u32 v23, v27, s18, v23
	v_mad_u32 v25, v15, s18, v25
	s_delay_alu instid0(VALU_DEP_2) | instskip(NEXT) | instid1(VALU_DEP_2)
	v_mad_u32 v23, v26, s19, v23
	v_mad_u32 v25, v14, s19, v25
.LBB204_48:                             ; =>This Inner Loop Header: Depth=1
	global_load_u8 v26, v[22:23], off
	global_load_u8 v27, v[24:25], off
	s_cmp_eq_u64 s[2:3], 0
	s_add_nc_u64 s[20:21], s[2:3], -1
	s_cselect_b32 s3, -1, 0
	s_wait_xcnt 0x1
	v_add_nc_u64_e32 v[22:23], 1, v[22:23]
	s_wait_xcnt 0x0
	v_add_nc_u64_e32 v[24:25], 1, v[24:25]
	s_wait_loadcnt 0x0
	v_cmp_ne_u16_e32 vcc_lo, v26, v27
	v_cmp_eq_u16_e64 s2, v26, v27
	s_or_b32 s3, vcc_lo, s3
	s_delay_alu instid0(SALU_CYCLE_1) | instskip(NEXT) | instid1(SALU_CYCLE_1)
	s_and_b32 s3, exec_lo, s3
	s_or_b32 s6, s3, s6
	s_and_not1_b32 s7, s7, exec_lo
	s_and_b32 s22, s2, exec_lo
	s_mov_b64 s[2:3], s[20:21]
	s_or_b32 s7, s7, s22
	s_and_not1_b32 exec_lo, exec_lo, s6
	s_cbranch_execnz .LBB204_48
; %bb.49:
	s_or_b32 exec_lo, exec_lo, s6
	s_xor_b32 s2, s7, -1
.LBB204_50:
	s_delay_alu instid0(VALU_DEP_1)
	v_lshl_or_b32 v25, v32, 16, v33
	s_branch .LBB204_84
.LBB204_51:
	v_add_nc_u32_e32 v22, 4, v30
	s_mov_b32 s7, 0
	s_mov_b32 s6, 0
	s_mov_b32 s20, exec_lo
	s_delay_alu instid0(VALU_DEP_1)
	v_cmpx_gt_u32_e64 s27, v22
	s_cbranch_execz .LBB204_57
; %bb.52:
	s_and_not1_b32 vcc_lo, exec_lo, s17
	s_mov_b32 s2, 0
	s_cbranch_vccnz .LBB204_56
; %bb.53:
	s_wait_kmcnt 0x0
	v_mad_nc_u64_u32 v[22:23], v12, s18, s[8:9]
	v_mad_nc_u64_u32 v[24:25], v20, s18, s[8:9]
	s_add_nc_u64 s[2:3], s[18:19], -1
                                        ; implicit-def: $sgpr17
	s_delay_alu instid0(VALU_DEP_2) | instskip(NEXT) | instid1(VALU_DEP_2)
	v_mad_u32 v23, v13, s18, v23
	v_mad_u32 v25, v21, s18, v25
	s_delay_alu instid0(VALU_DEP_2) | instskip(NEXT) | instid1(VALU_DEP_2)
	v_mad_u32 v23, v12, s19, v23
	v_mad_u32 v25, v20, s19, v25
.LBB204_54:                             ; =>This Inner Loop Header: Depth=1
	s_wait_dscnt 0x0
	global_load_u8 v26, v[22:23], off
	global_load_u8 v27, v[24:25], off
	s_cmp_eq_u64 s[2:3], 0
	s_add_nc_u64 s[22:23], s[2:3], -1
	s_cselect_b32 s3, -1, 0
	s_wait_xcnt 0x1
	v_add_nc_u64_e32 v[22:23], 1, v[22:23]
	s_wait_xcnt 0x0
	v_add_nc_u64_e32 v[24:25], 1, v[24:25]
	s_wait_loadcnt 0x0
	v_cmp_ne_u16_e32 vcc_lo, v26, v27
	v_cmp_eq_u16_e64 s2, v26, v27
	s_or_b32 s3, vcc_lo, s3
	s_delay_alu instid0(SALU_CYCLE_1) | instskip(NEXT) | instid1(SALU_CYCLE_1)
	s_and_b32 s3, exec_lo, s3
	s_or_b32 s6, s3, s6
	s_and_not1_b32 s17, s17, exec_lo
	s_and_b32 s21, s2, exec_lo
	s_mov_b64 s[2:3], s[22:23]
	s_or_b32 s17, s17, s21
	s_and_not1_b32 exec_lo, exec_lo, s6
	s_cbranch_execnz .LBB204_54
; %bb.55:
	s_or_b32 exec_lo, exec_lo, s6
	s_xor_b32 s2, s17, -1
.LBB204_56:
	s_delay_alu instid0(SALU_CYCLE_1)
	s_and_b32 s6, s2, exec_lo
.LBB204_57:
	s_or_b32 exec_lo, exec_lo, s20
	v_add_nc_u32_e32 v22, 3, v30
	s_mov_b32 s17, exec_lo
	s_delay_alu instid0(VALU_DEP_1)
	v_cmpx_gt_u32_e64 s27, v22
	s_cbranch_execz .LBB204_63
; %bb.58:
	v_cmp_ne_u32_e32 vcc_lo, 1, v29
	s_mov_b32 s2, 0
	s_cbranch_vccnz .LBB204_62
; %bb.59:
	s_wait_kmcnt 0x0
	v_mad_nc_u64_u32 v[22:23], v10, s18, s[8:9]
	v_mad_nc_u64_u32 v[24:25], v12, s18, s[8:9]
	s_add_nc_u64 s[2:3], s[18:19], -1
	s_mov_b32 s7, 0
                                        ; implicit-def: $sgpr20
	s_delay_alu instid0(VALU_DEP_2) | instskip(NEXT) | instid1(VALU_DEP_2)
	v_mad_u32 v23, v11, s18, v23
	v_mad_u32 v25, v13, s18, v25
	s_delay_alu instid0(VALU_DEP_2) | instskip(NEXT) | instid1(VALU_DEP_2)
	v_mad_u32 v23, v10, s19, v23
	v_mad_u32 v25, v12, s19, v25
.LBB204_60:                             ; =>This Inner Loop Header: Depth=1
	s_wait_dscnt 0x0
	global_load_u8 v26, v[22:23], off
	global_load_u8 v27, v[24:25], off
	s_cmp_eq_u64 s[2:3], 0
	s_add_nc_u64 s[22:23], s[2:3], -1
	s_cselect_b32 s3, -1, 0
	s_wait_xcnt 0x1
	v_add_nc_u64_e32 v[22:23], 1, v[22:23]
	s_wait_xcnt 0x0
	v_add_nc_u64_e32 v[24:25], 1, v[24:25]
	s_wait_loadcnt 0x0
	v_cmp_ne_u16_e32 vcc_lo, v26, v27
	v_cmp_eq_u16_e64 s2, v26, v27
	s_or_b32 s3, vcc_lo, s3
	s_delay_alu instid0(SALU_CYCLE_1) | instskip(NEXT) | instid1(SALU_CYCLE_1)
	s_and_b32 s3, exec_lo, s3
	s_or_b32 s7, s3, s7
	s_and_not1_b32 s20, s20, exec_lo
	s_and_b32 s21, s2, exec_lo
	s_mov_b64 s[2:3], s[22:23]
	s_or_b32 s20, s20, s21
	s_and_not1_b32 exec_lo, exec_lo, s7
	s_cbranch_execnz .LBB204_60
; %bb.61:
	s_or_b32 exec_lo, exec_lo, s7
	s_xor_b32 s2, s20, -1
.LBB204_62:
	s_delay_alu instid0(SALU_CYCLE_1)
	s_and_b32 s7, s2, exec_lo
.LBB204_63:
	s_or_b32 exec_lo, exec_lo, s17
	v_add_nc_u32_e32 v22, 2, v30
	s_mov_b32 s17, 0
	s_mov_b32 s20, 0
	s_mov_b32 s21, exec_lo
	s_delay_alu instid0(VALU_DEP_1)
	v_cmpx_gt_u32_e64 s27, v22
	s_cbranch_execz .LBB204_69
; %bb.64:
	v_cmp_ne_u32_e32 vcc_lo, 1, v29
	s_mov_b32 s2, 0
	s_cbranch_vccnz .LBB204_68
; %bb.65:
	s_wait_kmcnt 0x0
	v_mad_nc_u64_u32 v[22:23], v16, s18, s[8:9]
	v_mad_nc_u64_u32 v[24:25], v10, s18, s[8:9]
	s_add_nc_u64 s[2:3], s[18:19], -1
                                        ; implicit-def: $sgpr22
	s_delay_alu instid0(VALU_DEP_2) | instskip(NEXT) | instid1(VALU_DEP_2)
	v_mad_u32 v23, v17, s18, v23
	v_mad_u32 v25, v11, s18, v25
	s_delay_alu instid0(VALU_DEP_2) | instskip(NEXT) | instid1(VALU_DEP_2)
	v_mad_u32 v23, v16, s19, v23
	v_mad_u32 v25, v10, s19, v25
.LBB204_66:                             ; =>This Inner Loop Header: Depth=1
	s_wait_dscnt 0x0
	global_load_u8 v26, v[22:23], off
	global_load_u8 v27, v[24:25], off
	s_cmp_eq_u64 s[2:3], 0
	s_add_nc_u64 s[30:31], s[2:3], -1
	s_cselect_b32 s3, -1, 0
	s_wait_xcnt 0x1
	v_add_nc_u64_e32 v[22:23], 1, v[22:23]
	s_wait_xcnt 0x0
	v_add_nc_u64_e32 v[24:25], 1, v[24:25]
	s_wait_loadcnt 0x0
	v_cmp_ne_u16_e32 vcc_lo, v26, v27
	v_cmp_eq_u16_e64 s2, v26, v27
	s_or_b32 s3, vcc_lo, s3
	s_delay_alu instid0(SALU_CYCLE_1) | instskip(NEXT) | instid1(SALU_CYCLE_1)
	s_and_b32 s3, exec_lo, s3
	s_or_b32 s20, s3, s20
	s_and_not1_b32 s22, s22, exec_lo
	s_and_b32 s23, s2, exec_lo
	s_mov_b64 s[2:3], s[30:31]
	s_or_b32 s22, s22, s23
	s_and_not1_b32 exec_lo, exec_lo, s20
	s_cbranch_execnz .LBB204_66
; %bb.67:
	s_or_b32 exec_lo, exec_lo, s20
	s_xor_b32 s2, s22, -1
.LBB204_68:
	s_delay_alu instid0(SALU_CYCLE_1)
	s_and_b32 s20, s2, exec_lo
.LBB204_69:
	s_or_b32 exec_lo, exec_lo, s21
	v_add_nc_u32_e32 v22, 1, v30
	s_mov_b32 s21, exec_lo
	s_delay_alu instid0(VALU_DEP_1)
	v_cmpx_gt_u32_e64 s27, v22
	s_cbranch_execz .LBB204_75
; %bb.70:
	v_cmp_ne_u32_e32 vcc_lo, 1, v29
	s_mov_b32 s2, 0
	s_cbranch_vccnz .LBB204_74
; %bb.71:
	s_wait_kmcnt 0x0
	v_mad_nc_u64_u32 v[22:23], v14, s18, s[8:9]
	v_mad_nc_u64_u32 v[24:25], v16, s18, s[8:9]
	s_add_nc_u64 s[2:3], s[18:19], -1
	s_mov_b32 s17, 0
                                        ; implicit-def: $sgpr22
	s_delay_alu instid0(VALU_DEP_2) | instskip(NEXT) | instid1(VALU_DEP_2)
	v_mad_u32 v23, v15, s18, v23
	v_mad_u32 v25, v17, s18, v25
	s_delay_alu instid0(VALU_DEP_2) | instskip(NEXT) | instid1(VALU_DEP_2)
	v_mad_u32 v23, v14, s19, v23
	v_mad_u32 v25, v16, s19, v25
.LBB204_72:                             ; =>This Inner Loop Header: Depth=1
	s_wait_dscnt 0x0
	global_load_u8 v26, v[22:23], off
	global_load_u8 v27, v[24:25], off
	s_cmp_eq_u64 s[2:3], 0
	s_add_nc_u64 s[30:31], s[2:3], -1
	s_cselect_b32 s3, -1, 0
	s_wait_xcnt 0x1
	v_add_nc_u64_e32 v[22:23], 1, v[22:23]
	s_wait_xcnt 0x0
	v_add_nc_u64_e32 v[24:25], 1, v[24:25]
	s_wait_loadcnt 0x0
	v_cmp_ne_u16_e32 vcc_lo, v26, v27
	v_cmp_eq_u16_e64 s2, v26, v27
	s_or_b32 s3, vcc_lo, s3
	s_delay_alu instid0(SALU_CYCLE_1) | instskip(NEXT) | instid1(SALU_CYCLE_1)
	s_and_b32 s3, exec_lo, s3
	s_or_b32 s17, s3, s17
	s_and_not1_b32 s22, s22, exec_lo
	s_and_b32 s23, s2, exec_lo
	s_mov_b64 s[2:3], s[30:31]
	s_or_b32 s22, s22, s23
	s_and_not1_b32 exec_lo, exec_lo, s17
	s_cbranch_execnz .LBB204_72
; %bb.73:
	s_or_b32 exec_lo, exec_lo, s17
	s_xor_b32 s2, s22, -1
.LBB204_74:
	s_delay_alu instid0(SALU_CYCLE_1)
	s_and_b32 s17, s2, exec_lo
.LBB204_75:
	s_or_b32 exec_lo, exec_lo, s21
	s_wait_kmcnt 0x0
	v_mov_b64_e32 v[24:25], s[4:5]
	s_mov_b32 s2, 0
	s_mov_b32 s3, exec_lo
	s_wait_dscnt 0x0
	s_barrier_signal -1
	s_barrier_wait -1
	v_cmpx_ne_u32_e32 0, v0
; %bb.76:
	v_add_nc_u32_e32 v22, -8, v31
	ds_load_b64 v[24:25], v22
; %bb.77:
	s_or_b32 exec_lo, exec_lo, s3
	v_cndmask_b32_e64 v22, 0, 1, s7
	v_cndmask_b32_e64 v23, 0, 1, s20
	;; [unrolled: 1-line block ×3, first 2 shown]
	s_mov_b32 s4, exec_lo
	s_delay_alu instid0(VALU_DEP_3) | instskip(NEXT) | instid1(VALU_DEP_2)
	v_lshlrev_b16 v22, 8, v22
	v_lshlrev_b16 v26, 8, v26
	s_delay_alu instid0(VALU_DEP_2) | instskip(NEXT) | instid1(VALU_DEP_2)
	v_or_b32_e32 v22, v23, v22
	v_and_b32_e32 v31, 0xffff, v26
	s_delay_alu instid0(VALU_DEP_2)
	v_lshlrev_b32_e32 v32, 16, v22
	v_cmpx_gt_u32_e64 s27, v30
	s_cbranch_execz .LBB204_83
; %bb.78:
	v_cmp_ne_u32_e32 vcc_lo, 1, v29
	s_cbranch_vccnz .LBB204_82
; %bb.79:
	s_wait_dscnt 0x0
	v_mad_nc_u64_u32 v[22:23], v24, s18, s[8:9]
	v_mad_nc_u64_u32 v[26:27], v14, s18, s[8:9]
	s_add_nc_u64 s[2:3], s[18:19], -1
	s_mov_b32 s5, 0
                                        ; implicit-def: $sgpr7
	s_delay_alu instid0(VALU_DEP_2) | instskip(NEXT) | instid1(VALU_DEP_2)
	v_mad_u32 v23, v25, s18, v23
	v_mad_u32 v25, v15, s18, v27
	s_delay_alu instid0(VALU_DEP_2) | instskip(NEXT) | instid1(VALU_DEP_2)
	v_mad_u32 v23, v24, s19, v23
	v_mad_u32 v27, v14, s19, v25
.LBB204_80:                             ; =>This Inner Loop Header: Depth=1
	global_load_u8 v24, v[22:23], off
	global_load_u8 v25, v[26:27], off
	s_cmp_eq_u64 s[2:3], 0
	s_add_nc_u64 s[20:21], s[2:3], -1
	s_cselect_b32 s3, -1, 0
	s_wait_xcnt 0x1
	v_add_nc_u64_e32 v[22:23], 1, v[22:23]
	s_wait_xcnt 0x0
	v_add_nc_u64_e32 v[26:27], 1, v[26:27]
	s_wait_loadcnt 0x0
	v_cmp_ne_u16_e32 vcc_lo, v24, v25
	v_cmp_eq_u16_e64 s2, v24, v25
	s_or_b32 s3, vcc_lo, s3
	s_delay_alu instid0(SALU_CYCLE_1) | instskip(NEXT) | instid1(SALU_CYCLE_1)
	s_and_b32 s3, exec_lo, s3
	s_or_b32 s5, s3, s5
	s_and_not1_b32 s7, s7, exec_lo
	s_and_b32 s17, s2, exec_lo
	s_mov_b64 s[2:3], s[20:21]
	s_or_b32 s7, s7, s17
	s_and_not1_b32 exec_lo, exec_lo, s5
	s_cbranch_execnz .LBB204_80
; %bb.81:
	s_or_b32 exec_lo, exec_lo, s5
	s_xor_b32 s2, s7, -1
.LBB204_82:
	s_delay_alu instid0(SALU_CYCLE_1)
	s_and_b32 s2, s2, exec_lo
.LBB204_83:
	s_or_b32 exec_lo, exec_lo, s4
	v_cndmask_b32_e64 v35, 0, 1, s6
	s_wait_dscnt 0x0
	v_or_b32_e32 v25, v31, v32
.LBB204_84:
	s_mov_b32 s6, -1
	s_cbranch_execnz .LBB204_41
.LBB204_85:
	v_lshlrev_b32_e32 v22, 5, v0
	v_cmp_gt_i64_e64 s7, s[18:19], 0
	s_and_b32 vcc_lo, exec_lo, s25
	v_sub_nc_u32_e32 v31, v28, v22
	ds_store_b64 v31, v[20:21]
	s_cbranch_vccz .LBB204_96
; %bb.86:
	s_and_not1_b32 vcc_lo, exec_lo, s7
	s_cbranch_vccnz .LBB204_97
; %bb.87:
	s_wait_kmcnt 0x0
	v_mad_nc_u64_u32 v[22:23], v12, s18, s[8:9]
	v_mad_nc_u64_u32 v[24:25], v20, s18, s[8:9]
	s_add_nc_u64 s[4:5], s[18:19], -1
	s_mov_b32 s20, 0
	s_mov_b64 s[2:3], s[4:5]
                                        ; implicit-def: $sgpr17
	s_delay_alu instid0(VALU_DEP_2) | instskip(NEXT) | instid1(VALU_DEP_2)
	v_mad_u32 v23, v13, s18, v23
	v_mad_u32 v25, v21, s18, v25
	s_delay_alu instid0(VALU_DEP_2) | instskip(NEXT) | instid1(VALU_DEP_2)
	v_mad_u32 v23, v12, s19, v23
	v_mad_u32 v25, v20, s19, v25
	s_wait_dscnt 0x1
	s_delay_alu instid0(VALU_DEP_2)
	v_mov_b64_e32 v[26:27], v[22:23]
.LBB204_88:                             ; =>This Inner Loop Header: Depth=1
	global_load_u8 v28, v[26:27], off
	global_load_u8 v29, v[24:25], off
	s_cmp_eq_u64 s[2:3], 0
	s_add_nc_u64 s[22:23], s[2:3], -1
	s_cselect_b32 s3, -1, 0
	s_wait_xcnt 0x1
	v_add_nc_u64_e32 v[26:27], 1, v[26:27]
	s_wait_xcnt 0x0
	v_add_nc_u64_e32 v[24:25], 1, v[24:25]
	s_wait_loadcnt 0x0
	v_cmp_ne_u16_e32 vcc_lo, v28, v29
	v_cmp_eq_u16_e64 s2, v28, v29
	s_or_b32 s3, vcc_lo, s3
	s_delay_alu instid0(SALU_CYCLE_1) | instskip(NEXT) | instid1(SALU_CYCLE_1)
	s_and_b32 s3, exec_lo, s3
	s_or_b32 s20, s3, s20
	s_and_not1_b32 s17, s17, exec_lo
	s_and_b32 s21, s2, exec_lo
	s_mov_b64 s[2:3], s[22:23]
	s_or_b32 s17, s17, s21
	s_and_not1_b32 exec_lo, exec_lo, s20
	s_cbranch_execnz .LBB204_88
; %bb.89:
	s_or_b32 exec_lo, exec_lo, s20
	v_mad_nc_u64_u32 v[24:25], v10, s18, s[8:9]
	s_mov_b32 s21, 0
	s_mov_b64 s[2:3], s[4:5]
                                        ; implicit-def: $sgpr20
	s_delay_alu instid0(VALU_DEP_1) | instskip(NEXT) | instid1(VALU_DEP_1)
	v_mad_u32 v25, v11, s18, v25
	v_mad_u32 v25, v10, s19, v25
	s_delay_alu instid0(VALU_DEP_1)
	v_mov_b64_e32 v[26:27], v[24:25]
.LBB204_90:                             ; =>This Inner Loop Header: Depth=1
	global_load_u8 v28, v[26:27], off
	global_load_u8 v29, v[22:23], off
	s_cmp_eq_u64 s[2:3], 0
	s_add_nc_u64 s[22:23], s[2:3], -1
	s_cselect_b32 s3, -1, 0
	s_wait_xcnt 0x1
	v_add_nc_u64_e32 v[26:27], 1, v[26:27]
	s_wait_xcnt 0x0
	v_add_nc_u64_e32 v[22:23], 1, v[22:23]
	s_wait_loadcnt 0x0
	v_cmp_ne_u16_e32 vcc_lo, v28, v29
	v_cmp_eq_u16_e64 s2, v28, v29
	s_or_b32 s3, vcc_lo, s3
	s_delay_alu instid0(SALU_CYCLE_1) | instskip(NEXT) | instid1(SALU_CYCLE_1)
	s_and_b32 s3, exec_lo, s3
	s_or_b32 s21, s3, s21
	s_and_not1_b32 s20, s20, exec_lo
	s_and_b32 s29, s2, exec_lo
	s_mov_b64 s[2:3], s[22:23]
	s_or_b32 s20, s20, s29
	s_and_not1_b32 exec_lo, exec_lo, s21
	s_cbranch_execnz .LBB204_90
; %bb.91:
	s_or_b32 exec_lo, exec_lo, s21
	v_mad_nc_u64_u32 v[22:23], v16, s18, s[8:9]
	s_mov_b32 s22, 0
	s_mov_b64 s[2:3], s[4:5]
                                        ; implicit-def: $sgpr21
	s_delay_alu instid0(VALU_DEP_1) | instskip(NEXT) | instid1(VALU_DEP_1)
	v_mad_u32 v23, v17, s18, v23
	v_mad_u32 v23, v16, s19, v23
	s_delay_alu instid0(VALU_DEP_1)
	v_mov_b64_e32 v[26:27], v[22:23]
.LBB204_92:                             ; =>This Inner Loop Header: Depth=1
	global_load_u8 v28, v[26:27], off
	global_load_u8 v29, v[24:25], off
	s_cmp_eq_u64 s[2:3], 0
	s_add_nc_u64 s[30:31], s[2:3], -1
	s_cselect_b32 s3, -1, 0
	s_wait_xcnt 0x1
	v_add_nc_u64_e32 v[26:27], 1, v[26:27]
	s_wait_xcnt 0x0
	v_add_nc_u64_e32 v[24:25], 1, v[24:25]
	s_wait_loadcnt 0x0
	v_cmp_ne_u16_e32 vcc_lo, v28, v29
	v_cmp_eq_u16_e64 s2, v28, v29
	s_or_b32 s3, vcc_lo, s3
	s_delay_alu instid0(SALU_CYCLE_1) | instskip(NEXT) | instid1(SALU_CYCLE_1)
	s_and_b32 s3, exec_lo, s3
	s_or_b32 s22, s3, s22
	s_and_not1_b32 s21, s21, exec_lo
	s_and_b32 s23, s2, exec_lo
	s_mov_b64 s[2:3], s[30:31]
	s_or_b32 s21, s21, s23
	s_and_not1_b32 exec_lo, exec_lo, s22
	s_cbranch_execnz .LBB204_92
; %bb.93:
	s_or_b32 exec_lo, exec_lo, s22
	v_mad_nc_u64_u32 v[24:25], v14, s18, s[8:9]
	s_mov_b32 s22, 0
                                        ; implicit-def: $sgpr3
	s_delay_alu instid0(VALU_DEP_1) | instskip(NEXT) | instid1(VALU_DEP_1)
	v_mad_u32 v25, v15, s18, v25
	v_mad_u32 v25, v14, s19, v25
.LBB204_94:                             ; =>This Inner Loop Header: Depth=1
	global_load_u8 v26, v[24:25], off
	global_load_u8 v27, v[22:23], off
	s_cmp_eq_u64 s[4:5], 0
	s_add_nc_u64 s[30:31], s[4:5], -1
	s_cselect_b32 s4, -1, 0
	s_wait_xcnt 0x1
	v_add_nc_u64_e32 v[24:25], 1, v[24:25]
	s_wait_xcnt 0x0
	v_add_nc_u64_e32 v[22:23], 1, v[22:23]
	s_wait_loadcnt 0x0
	v_cmp_ne_u16_e32 vcc_lo, v26, v27
	v_cmp_eq_u16_e64 s2, v26, v27
	s_or_b32 s4, vcc_lo, s4
	s_delay_alu instid0(SALU_CYCLE_1) | instskip(NEXT) | instid1(SALU_CYCLE_1)
	s_and_b32 s4, exec_lo, s4
	s_or_b32 s22, s4, s22
	s_and_not1_b32 s3, s3, exec_lo
	s_and_b32 s2, s2, exec_lo
	s_mov_b64 s[4:5], s[30:31]
	s_or_b32 s3, s3, s2
	s_and_not1_b32 exec_lo, exec_lo, s22
	s_cbranch_execnz .LBB204_94
; %bb.95:
	s_or_b32 exec_lo, exec_lo, s22
	s_xor_b32 s2, s20, -1
	s_delay_alu instid0(SALU_CYCLE_1) | instskip(SKIP_1) | instid1(SALU_CYCLE_1)
	v_cndmask_b32_e64 v22, 0, 1, s2
	s_xor_b32 s2, s21, -1
	v_cndmask_b32_e64 v23, 0, 1, s2
	s_xor_b32 s2, s17, -1
	s_delay_alu instid0(VALU_DEP_2) | instskip(SKIP_2) | instid1(VALU_DEP_2)
	v_lshlrev_b16 v22, 8, v22
	v_cndmask_b32_e64 v35, 0, 1, s2
	s_xor_b32 s2, s3, -1
	v_lshrrev_b32_e32 v22, 8, v22
	s_delay_alu instid0(VALU_DEP_1) | instskip(NEXT) | instid1(VALU_DEP_1)
	v_lshlrev_b16 v22, 8, v22
	v_or_b32_e32 v22, v23, v22
	s_delay_alu instid0(VALU_DEP_1)
	v_lshlrev_b32_e32 v22, 16, v22
	s_branch .LBB204_98
.LBB204_96:
	s_wait_kmcnt 0x0
                                        ; implicit-def: $sgpr2
                                        ; implicit-def: $vgpr35
                                        ; implicit-def: $vgpr25
                                        ; implicit-def: $vgpr24
                                        ; implicit-def: $vgpr23
                                        ; implicit-def: $vgpr36
                                        ; implicit-def: $vgpr22
	s_cbranch_execnz .LBB204_105
	s_branch .LBB204_138
.LBB204_97:
	v_dual_mov_b32 v22, 0 :: v_dual_mov_b32 v35, 0
	s_mov_b32 s2, 0
.LBB204_98:
	s_delay_alu instid0(VALU_DEP_1)
	v_dual_lshrrev_b32 v36, 16, v22 :: v_dual_lshrrev_b32 v22, 24, v22
	v_cndmask_b32_e64 v23, 0, 1, s2
	v_mov_b32_e32 v24, 1
	s_wait_kmcnt 0x0
	s_mov_b32 s4, 0
	s_wait_dscnt 0x0
	s_barrier_signal -1
	s_barrier_wait -1
                                        ; implicit-def: $sgpr2
                                        ; implicit-def: $vgpr25
	s_mov_b32 s3, exec_lo
	v_cmpx_ne_u32_e32 0, v0
	s_xor_b32 s5, exec_lo, s3
	s_cbranch_execz .LBB204_104
; %bb.99:
	v_lshlrev_b16 v25, 8, v22
	v_lshlrev_b16 v26, 8, v23
	s_and_not1_b32 vcc_lo, exec_lo, s7
	s_mov_b32 s2, 0
	s_delay_alu instid0(VALU_DEP_2) | instskip(NEXT) | instid1(VALU_DEP_1)
	v_bitop3_b16 v25, v36, v25, 0xff bitop3:0xec
	v_dual_lshlrev_b32 v25, 16, v25 :: v_dual_bitop2_b32 v26, 1, v26 bitop3:0x54
	s_delay_alu instid0(VALU_DEP_1) | instskip(NEXT) | instid1(VALU_DEP_1)
	v_and_b32_e32 v26, 0xffff, v26
	v_or_b32_e32 v25, v26, v25
	s_cbranch_vccnz .LBB204_103
; %bb.100:
	v_add_nc_u32_e32 v26, -8, v31
	v_mad_nc_u64_u32 v[28:29], v14, s18, s[8:9]
	s_add_nc_u64 s[2:3], s[18:19], -1
	s_mov_b32 s17, 0
                                        ; implicit-def: $sgpr20
	ds_load_b64 v[32:33], v26
	v_mad_u32 v29, v15, s18, v29
	s_delay_alu instid0(VALU_DEP_1) | instskip(SKIP_2) | instid1(VALU_DEP_1)
	v_mad_u32 v29, v14, s19, v29
	s_wait_dscnt 0x0
	v_mad_nc_u64_u32 v[26:27], v32, s18, s[8:9]
	v_mad_u32 v27, v33, s18, v27
	s_delay_alu instid0(VALU_DEP_1)
	v_mad_u32 v27, v32, s19, v27
.LBB204_101:                            ; =>This Inner Loop Header: Depth=1
	global_load_u8 v32, v[26:27], off
	global_load_u8 v33, v[28:29], off
	s_cmp_eq_u64 s[2:3], 0
	s_add_nc_u64 s[22:23], s[2:3], -1
	s_cselect_b32 s3, -1, 0
	s_wait_xcnt 0x1
	v_add_nc_u64_e32 v[26:27], 1, v[26:27]
	s_wait_xcnt 0x0
	v_add_nc_u64_e32 v[28:29], 1, v[28:29]
	s_wait_loadcnt 0x0
	v_cmp_ne_u16_e32 vcc_lo, v32, v33
	v_cmp_eq_u16_e64 s2, v32, v33
	s_or_b32 s3, vcc_lo, s3
	s_delay_alu instid0(SALU_CYCLE_1) | instskip(NEXT) | instid1(SALU_CYCLE_1)
	s_and_b32 s3, exec_lo, s3
	s_or_b32 s17, s3, s17
	s_and_not1_b32 s20, s20, exec_lo
	s_and_b32 s21, s2, exec_lo
	s_mov_b64 s[2:3], s[22:23]
	s_or_b32 s20, s20, s21
	s_and_not1_b32 exec_lo, exec_lo, s17
	s_cbranch_execnz .LBB204_101
; %bb.102:
	s_or_b32 exec_lo, exec_lo, s17
	s_xor_b32 s2, s20, -1
.LBB204_103:
	s_delay_alu instid0(VALU_DEP_1)
	v_perm_b32 v25, v25, v25, 0x3020104
	s_or_b32 s6, s6, exec_lo
.LBB204_104:
	s_or_b32 exec_lo, exec_lo, s5
	s_delay_alu instid0(SALU_CYCLE_1)
	s_and_b32 vcc_lo, exec_lo, s4
	s_cbranch_vccz .LBB204_138
.LBB204_105:
	v_add_nc_u32_e32 v22, 4, v30
	s_mov_b32 s4, 0
	s_mov_b32 s5, 0
	s_mov_b32 s17, exec_lo
	s_delay_alu instid0(VALU_DEP_1)
	v_cmpx_gt_u32_e64 s27, v22
	s_cbranch_execz .LBB204_111
; %bb.106:
	s_and_not1_b32 vcc_lo, exec_lo, s7
	s_mov_b32 s2, 0
	s_cbranch_vccnz .LBB204_110
; %bb.107:
	v_mad_nc_u64_u32 v[22:23], v12, s18, s[8:9]
	v_mad_nc_u64_u32 v[24:25], v20, s18, s[8:9]
	s_add_nc_u64 s[2:3], s[18:19], -1
                                        ; implicit-def: $sgpr20
	s_delay_alu instid0(VALU_DEP_2) | instskip(NEXT) | instid1(VALU_DEP_2)
	v_mad_u32 v23, v13, s18, v23
	v_mad_u32 v25, v21, s18, v25
	s_delay_alu instid0(VALU_DEP_2) | instskip(NEXT) | instid1(VALU_DEP_2)
	v_mad_u32 v23, v12, s19, v23
	v_mad_u32 v25, v20, s19, v25
.LBB204_108:                            ; =>This Inner Loop Header: Depth=1
	s_wait_dscnt 0x1
	global_load_u8 v26, v[22:23], off
	global_load_u8 v27, v[24:25], off
	s_cmp_eq_u64 s[2:3], 0
	s_add_nc_u64 s[22:23], s[2:3], -1
	s_cselect_b32 s3, -1, 0
	s_wait_xcnt 0x1
	v_add_nc_u64_e32 v[22:23], 1, v[22:23]
	s_wait_xcnt 0x0
	v_add_nc_u64_e32 v[24:25], 1, v[24:25]
	s_wait_loadcnt 0x0
	v_cmp_ne_u16_e32 vcc_lo, v26, v27
	v_cmp_eq_u16_e64 s2, v26, v27
	s_or_b32 s3, vcc_lo, s3
	s_delay_alu instid0(SALU_CYCLE_1) | instskip(NEXT) | instid1(SALU_CYCLE_1)
	s_and_b32 s3, exec_lo, s3
	s_or_b32 s5, s3, s5
	s_and_not1_b32 s20, s20, exec_lo
	s_and_b32 s21, s2, exec_lo
	s_mov_b64 s[2:3], s[22:23]
	s_or_b32 s20, s20, s21
	s_and_not1_b32 exec_lo, exec_lo, s5
	s_cbranch_execnz .LBB204_108
; %bb.109:
	s_or_b32 exec_lo, exec_lo, s5
	s_xor_b32 s2, s20, -1
.LBB204_110:
	s_delay_alu instid0(SALU_CYCLE_1)
	s_and_b32 s5, s2, exec_lo
.LBB204_111:
	s_or_b32 exec_lo, exec_lo, s17
	v_add_nc_u32_e32 v22, 3, v30
	s_mov_b32 s17, exec_lo
	s_delay_alu instid0(VALU_DEP_1)
	v_cmpx_gt_u32_e64 s27, v22
	s_cbranch_execz .LBB204_117
; %bb.112:
	s_and_not1_b32 vcc_lo, exec_lo, s7
	s_mov_b32 s2, 0
	s_cbranch_vccnz .LBB204_116
; %bb.113:
	v_mad_nc_u64_u32 v[22:23], v10, s18, s[8:9]
	v_mad_nc_u64_u32 v[24:25], v12, s18, s[8:9]
	s_add_nc_u64 s[2:3], s[18:19], -1
	s_mov_b32 s4, 0
                                        ; implicit-def: $sgpr20
	s_delay_alu instid0(VALU_DEP_2) | instskip(NEXT) | instid1(VALU_DEP_2)
	v_mad_u32 v23, v11, s18, v23
	v_mad_u32 v25, v13, s18, v25
	s_delay_alu instid0(VALU_DEP_2) | instskip(NEXT) | instid1(VALU_DEP_2)
	v_mad_u32 v23, v10, s19, v23
	v_mad_u32 v25, v12, s19, v25
.LBB204_114:                            ; =>This Inner Loop Header: Depth=1
	s_wait_dscnt 0x1
	global_load_u8 v26, v[22:23], off
	global_load_u8 v27, v[24:25], off
	s_cmp_eq_u64 s[2:3], 0
	s_add_nc_u64 s[22:23], s[2:3], -1
	s_cselect_b32 s3, -1, 0
	s_wait_xcnt 0x1
	v_add_nc_u64_e32 v[22:23], 1, v[22:23]
	s_wait_xcnt 0x0
	v_add_nc_u64_e32 v[24:25], 1, v[24:25]
	s_wait_loadcnt 0x0
	v_cmp_ne_u16_e32 vcc_lo, v26, v27
	v_cmp_eq_u16_e64 s2, v26, v27
	s_or_b32 s3, vcc_lo, s3
	s_delay_alu instid0(SALU_CYCLE_1) | instskip(NEXT) | instid1(SALU_CYCLE_1)
	s_and_b32 s3, exec_lo, s3
	s_or_b32 s4, s3, s4
	s_and_not1_b32 s20, s20, exec_lo
	s_and_b32 s21, s2, exec_lo
	s_mov_b64 s[2:3], s[22:23]
	s_or_b32 s20, s20, s21
	s_and_not1_b32 exec_lo, exec_lo, s4
	s_cbranch_execnz .LBB204_114
; %bb.115:
	s_or_b32 exec_lo, exec_lo, s4
	s_xor_b32 s2, s20, -1
.LBB204_116:
	s_delay_alu instid0(SALU_CYCLE_1)
	s_and_b32 s4, s2, exec_lo
.LBB204_117:
	s_or_b32 exec_lo, exec_lo, s17
	v_add_nc_u32_e32 v22, 2, v30
	s_mov_b32 s17, 0
	s_mov_b32 s20, 0
	s_mov_b32 s21, exec_lo
	s_delay_alu instid0(VALU_DEP_1)
	v_cmpx_gt_u32_e64 s27, v22
	s_cbranch_execz .LBB204_123
; %bb.118:
	s_and_not1_b32 vcc_lo, exec_lo, s7
	s_mov_b32 s2, 0
	s_cbranch_vccnz .LBB204_122
; %bb.119:
	v_mad_nc_u64_u32 v[22:23], v16, s18, s[8:9]
	v_mad_nc_u64_u32 v[24:25], v10, s18, s[8:9]
	s_add_nc_u64 s[2:3], s[18:19], -1
                                        ; implicit-def: $sgpr22
	s_delay_alu instid0(VALU_DEP_2) | instskip(NEXT) | instid1(VALU_DEP_2)
	v_mad_u32 v23, v17, s18, v23
	v_mad_u32 v25, v11, s18, v25
	s_delay_alu instid0(VALU_DEP_2) | instskip(NEXT) | instid1(VALU_DEP_2)
	v_mad_u32 v23, v16, s19, v23
	v_mad_u32 v25, v10, s19, v25
.LBB204_120:                            ; =>This Inner Loop Header: Depth=1
	s_wait_dscnt 0x1
	global_load_u8 v26, v[22:23], off
	global_load_u8 v27, v[24:25], off
	s_cmp_eq_u64 s[2:3], 0
	s_add_nc_u64 s[30:31], s[2:3], -1
	s_cselect_b32 s3, -1, 0
	s_wait_xcnt 0x1
	v_add_nc_u64_e32 v[22:23], 1, v[22:23]
	s_wait_xcnt 0x0
	v_add_nc_u64_e32 v[24:25], 1, v[24:25]
	s_wait_loadcnt 0x0
	v_cmp_ne_u16_e32 vcc_lo, v26, v27
	v_cmp_eq_u16_e64 s2, v26, v27
	s_or_b32 s3, vcc_lo, s3
	s_delay_alu instid0(SALU_CYCLE_1) | instskip(NEXT) | instid1(SALU_CYCLE_1)
	s_and_b32 s3, exec_lo, s3
	s_or_b32 s20, s3, s20
	s_and_not1_b32 s22, s22, exec_lo
	s_and_b32 s23, s2, exec_lo
	s_mov_b64 s[2:3], s[30:31]
	s_or_b32 s22, s22, s23
	s_and_not1_b32 exec_lo, exec_lo, s20
	s_cbranch_execnz .LBB204_120
; %bb.121:
	s_or_b32 exec_lo, exec_lo, s20
	s_xor_b32 s2, s22, -1
.LBB204_122:
	s_delay_alu instid0(SALU_CYCLE_1)
	s_and_b32 s20, s2, exec_lo
.LBB204_123:
	s_or_b32 exec_lo, exec_lo, s21
	v_add_nc_u32_e32 v22, 1, v30
	s_mov_b32 s21, exec_lo
	s_delay_alu instid0(VALU_DEP_1)
	v_cmpx_gt_u32_e64 s27, v22
	s_cbranch_execz .LBB204_129
; %bb.124:
	s_and_not1_b32 vcc_lo, exec_lo, s7
	s_mov_b32 s2, 0
	s_cbranch_vccnz .LBB204_128
; %bb.125:
	v_mad_nc_u64_u32 v[22:23], v14, s18, s[8:9]
	v_mad_nc_u64_u32 v[24:25], v16, s18, s[8:9]
	s_add_nc_u64 s[2:3], s[18:19], -1
	s_mov_b32 s17, 0
                                        ; implicit-def: $sgpr22
	s_delay_alu instid0(VALU_DEP_2) | instskip(NEXT) | instid1(VALU_DEP_2)
	v_mad_u32 v23, v15, s18, v23
	v_mad_u32 v25, v17, s18, v25
	s_delay_alu instid0(VALU_DEP_2) | instskip(NEXT) | instid1(VALU_DEP_2)
	v_mad_u32 v23, v14, s19, v23
	v_mad_u32 v25, v16, s19, v25
.LBB204_126:                            ; =>This Inner Loop Header: Depth=1
	s_wait_dscnt 0x1
	global_load_u8 v26, v[22:23], off
	global_load_u8 v27, v[24:25], off
	s_cmp_eq_u64 s[2:3], 0
	s_add_nc_u64 s[30:31], s[2:3], -1
	s_cselect_b32 s3, -1, 0
	s_wait_xcnt 0x1
	v_add_nc_u64_e32 v[22:23], 1, v[22:23]
	s_wait_xcnt 0x0
	v_add_nc_u64_e32 v[24:25], 1, v[24:25]
	s_wait_loadcnt 0x0
	v_cmp_ne_u16_e32 vcc_lo, v26, v27
	v_cmp_eq_u16_e64 s2, v26, v27
	s_or_b32 s3, vcc_lo, s3
	s_delay_alu instid0(SALU_CYCLE_1) | instskip(NEXT) | instid1(SALU_CYCLE_1)
	s_and_b32 s3, exec_lo, s3
	s_or_b32 s17, s3, s17
	s_and_not1_b32 s22, s22, exec_lo
	s_and_b32 s23, s2, exec_lo
	s_mov_b64 s[2:3], s[30:31]
	s_or_b32 s22, s22, s23
	s_and_not1_b32 exec_lo, exec_lo, s17
	s_cbranch_execnz .LBB204_126
; %bb.127:
	s_or_b32 exec_lo, exec_lo, s17
	s_xor_b32 s2, s22, -1
.LBB204_128:
	s_delay_alu instid0(SALU_CYCLE_1)
	s_and_b32 s17, s2, exec_lo
.LBB204_129:
	s_or_b32 exec_lo, exec_lo, s21
	v_cndmask_b32_e64 v35, 0, 1, s5
	v_cndmask_b32_e64 v36, 0, 1, s20
	;; [unrolled: 1-line block ×4, first 2 shown]
	v_mov_b32_e32 v24, 1
	s_mov_b32 s2, 0
	s_mov_b32 s4, exec_lo
	s_wait_dscnt 0x0
	s_barrier_signal -1
	s_barrier_wait -1
                                        ; implicit-def: $vgpr25
	v_cmpx_ne_u32_e32 0, v0
	s_cbranch_execz .LBB204_137
; %bb.130:
	v_lshlrev_b16 v25, 8, v23
	v_lshlrev_b16 v26, 8, v22
	s_mov_b32 s5, exec_lo
	s_delay_alu instid0(VALU_DEP_1) | instskip(NEXT) | instid1(VALU_DEP_1)
	v_or_b32_e32 v26, v36, v26
	v_dual_lshlrev_b32 v26, 16, v26 :: v_dual_bitop2_b32 v25, 1, v25 bitop3:0x54
	s_delay_alu instid0(VALU_DEP_1) | instskip(NEXT) | instid1(VALU_DEP_1)
	v_and_b32_e32 v25, 0xffff, v25
	v_or_b32_e32 v25, v25, v26
	v_cmpx_gt_u32_e64 s27, v30
	s_cbranch_execz .LBB204_136
; %bb.131:
	s_and_not1_b32 vcc_lo, exec_lo, s7
	s_cbranch_vccnz .LBB204_135
; %bb.132:
	v_add_nc_u32_e32 v26, -8, v31
	v_mad_nc_u64_u32 v[28:29], v14, s18, s[8:9]
	s_add_nc_u64 s[2:3], s[18:19], -1
	s_mov_b32 s7, 0
	ds_load_b64 v[32:33], v26
	v_mad_u32 v29, v15, s18, v29
	s_delay_alu instid0(VALU_DEP_1) | instskip(SKIP_2) | instid1(VALU_DEP_1)
	v_mad_u32 v29, v14, s19, v29
	s_wait_dscnt 0x0
	v_mad_nc_u64_u32 v[26:27], v32, s18, s[8:9]
                                        ; implicit-def: $sgpr8
	v_mad_u32 v27, v33, s18, v27
	s_delay_alu instid0(VALU_DEP_1)
	v_mad_u32 v27, v32, s19, v27
.LBB204_133:                            ; =>This Inner Loop Header: Depth=1
	global_load_u8 v31, v[26:27], off
	global_load_u8 v32, v[28:29], off
	s_cmp_eq_u64 s[2:3], 0
	s_add_nc_u64 s[18:19], s[2:3], -1
	s_cselect_b32 s3, -1, 0
	s_wait_xcnt 0x1
	v_add_nc_u64_e32 v[26:27], 1, v[26:27]
	s_wait_xcnt 0x0
	v_add_nc_u64_e32 v[28:29], 1, v[28:29]
	s_wait_loadcnt 0x0
	v_cmp_ne_u16_e32 vcc_lo, v31, v32
	v_cmp_eq_u16_e64 s2, v31, v32
	s_or_b32 s3, vcc_lo, s3
	s_delay_alu instid0(SALU_CYCLE_1) | instskip(NEXT) | instid1(SALU_CYCLE_1)
	s_and_b32 s3, exec_lo, s3
	s_or_b32 s7, s3, s7
	s_and_not1_b32 s8, s8, exec_lo
	s_and_b32 s9, s2, exec_lo
	s_mov_b64 s[2:3], s[18:19]
	s_or_b32 s8, s8, s9
	s_and_not1_b32 exec_lo, exec_lo, s7
	s_cbranch_execnz .LBB204_133
; %bb.134:
	s_or_b32 exec_lo, exec_lo, s7
	s_xor_b32 s2, s8, -1
.LBB204_135:
	s_delay_alu instid0(SALU_CYCLE_1)
	s_and_b32 s2, s2, exec_lo
.LBB204_136:
	s_or_b32 exec_lo, exec_lo, s5
	s_delay_alu instid0(VALU_DEP_2)
	v_perm_b32 v25, v25, v25, 0x3020104
	s_or_b32 s6, s6, exec_lo
.LBB204_137:
	s_or_b32 exec_lo, exec_lo, s4
.LBB204_138:
	s_and_saveexec_b32 s3, s6
; %bb.139:
	s_delay_alu instid0(VALU_DEP_1)
	v_dual_lshrrev_b32 v22, 24, v25 :: v_dual_lshrrev_b32 v36, 16, v25
	v_lshrrev_b32_e32 v23, 8, v25
	v_cndmask_b32_e64 v24, 0, 1, s2
; %bb.140:
	s_or_b32 exec_lo, exec_lo, s3
	s_delay_alu instid0(SALU_CYCLE_1)
	s_and_not1_b32 vcc_lo, exec_lo, s28
	s_cbranch_vccnz .LBB204_144
; %bb.141:
	s_delay_alu instid0(VALU_DEP_1)
	v_perm_b32 v23, v24, v23, 0xc0c0004
	v_perm_b32 v22, v36, v22, 0xc0c0004
	v_cmp_gt_u32_e32 vcc_lo, s27, v30
	s_wait_dscnt 0x0
	v_dual_add_nc_u32 v24, 1, v30 :: v_dual_add_nc_u32 v26, 4, v30
	v_and_b32_e32 v35, 0xff, v35
	v_lshl_or_b32 v22, v22, 16, v23
	s_mov_b32 s2, exec_lo
	s_delay_alu instid0(VALU_DEP_2) | instskip(NEXT) | instid1(VALU_DEP_2)
	v_and_b32_e32 v25, 0xffff, v35
	v_cndmask_b32_e32 v23, 0, v22, vcc_lo
	v_cmp_gt_u32_e32 vcc_lo, s27, v24
	v_add_nc_u32_e32 v24, 2, v30
	s_delay_alu instid0(VALU_DEP_3) | instskip(NEXT) | instid1(VALU_DEP_1)
	v_and_b32_e32 v23, 0xff, v23
	v_cndmask_b32_e32 v23, v23, v22, vcc_lo
	s_delay_alu instid0(VALU_DEP_3) | instskip(SKIP_1) | instid1(VALU_DEP_3)
	v_cmp_gt_u32_e32 vcc_lo, s27, v24
	v_add_nc_u32_e32 v24, 3, v30
	v_and_b32_e32 v23, 0xffff, v23
	s_delay_alu instid0(VALU_DEP_1) | instskip(NEXT) | instid1(VALU_DEP_3)
	v_cndmask_b32_e32 v23, v23, v22, vcc_lo
	v_cmp_gt_u32_e32 vcc_lo, s27, v24
	s_delay_alu instid0(VALU_DEP_2) | instskip(NEXT) | instid1(VALU_DEP_1)
	v_and_b32_e32 v23, 0xffffff, v23
	v_cndmask_b32_e32 v24, v23, v22, vcc_lo
	s_delay_alu instid0(VALU_DEP_1)
	v_lshrrev_b64 v[22:23], 24, v[24:25]
	v_dual_lshrrev_b32 v36, 16, v24 :: v_dual_lshrrev_b32 v23, 8, v24
	v_cmpx_le_u32_e64 s27, v26
; %bb.142:
	v_mov_b32_e32 v35, 0
; %bb.143:
	s_or_b32 exec_lo, exec_lo, s2
.LBB204_144:
	s_delay_alu instid0(VALU_DEP_1)
	v_and_b32_e32 v25, 0xff, v24
	v_and_b32_e32 v37, 0xff, v23
	;; [unrolled: 1-line block ×3, first 2 shown]
	v_mbcnt_lo_u32_b32 v40, -1, 0
	v_and_b32_e32 v39, 0xff, v22
	s_wait_dscnt 0x0
	v_and_b32_e32 v26, 0xff, v35
	s_wait_kmcnt 0x0
	v_readfirstlane_b32 s8, v0
	v_add3_u32 v27, v37, v25, v38
	v_and_b32_e32 v28, 15, v40
	s_and_b32 vcc_lo, exec_lo, s16
	v_lshrrev_b32_e32 v41, 5, v0
	s_mov_b32 s9, -1
	v_add3_u32 v42, v27, v39, v26
	v_and_b32_e32 v26, 16, v40
	v_or_b32_e32 v27, 31, v0
	v_cmp_eq_u32_e64 s4, 0, v28
	v_cmp_lt_u32_e64 s6, 1, v28
	v_cmp_lt_u32_e64 s7, 3, v28
	;; [unrolled: 1-line block ×3, first 2 shown]
	v_cmp_eq_u32_e64 s3, 0, v26
	v_cmp_eq_u32_e64 s2, v0, v27
	s_barrier_signal -1
	s_barrier_wait -1
                                        ; implicit-def: $vgpr28
                                        ; implicit-def: $vgpr29
                                        ; implicit-def: $vgpr30
                                        ; implicit-def: $vgpr31
                                        ; implicit-def: $vgpr32
                                        ; implicit-def: $vgpr26
	s_cbranch_vccz .LBB204_171
; %bb.145:
	v_mov_b32_dpp v26, v42 row_shr:1 row_mask:0xf bank_mask:0xf
	s_delay_alu instid0(VALU_DEP_1) | instskip(NEXT) | instid1(VALU_DEP_1)
	v_cndmask_b32_e64 v26, v26, 0, s4
	v_add_nc_u32_e32 v26, v26, v42
	s_delay_alu instid0(VALU_DEP_1) | instskip(NEXT) | instid1(VALU_DEP_1)
	v_mov_b32_dpp v27, v26 row_shr:2 row_mask:0xf bank_mask:0xf
	v_cndmask_b32_e64 v27, 0, v27, s6
	s_delay_alu instid0(VALU_DEP_1) | instskip(NEXT) | instid1(VALU_DEP_1)
	v_add_nc_u32_e32 v26, v26, v27
	v_mov_b32_dpp v27, v26 row_shr:4 row_mask:0xf bank_mask:0xf
	s_delay_alu instid0(VALU_DEP_1) | instskip(NEXT) | instid1(VALU_DEP_1)
	v_cndmask_b32_e64 v27, 0, v27, s7
	v_add_nc_u32_e32 v26, v26, v27
	s_delay_alu instid0(VALU_DEP_1) | instskip(NEXT) | instid1(VALU_DEP_1)
	v_mov_b32_dpp v27, v26 row_shr:8 row_mask:0xf bank_mask:0xf
	v_cndmask_b32_e64 v27, 0, v27, s5
	s_delay_alu instid0(VALU_DEP_1) | instskip(SKIP_3) | instid1(VALU_DEP_1)
	v_add_nc_u32_e32 v26, v26, v27
	ds_swizzle_b32 v27, v26 offset:swizzle(BROADCAST,32,15)
	s_wait_dscnt 0x0
	v_cndmask_b32_e64 v27, v27, 0, s3
	v_add_nc_u32_e32 v26, v26, v27
	s_and_saveexec_b32 s8, s2
; %bb.146:
	v_lshlrev_b32_e32 v27, 2, v41
	ds_store_b32 v27, v26
; %bb.147:
	s_or_b32 exec_lo, exec_lo, s8
	s_delay_alu instid0(SALU_CYCLE_1)
	s_mov_b32 s8, exec_lo
	s_wait_dscnt 0x0
	s_barrier_signal -1
	s_barrier_wait -1
	v_cmpx_gt_u32_e32 4, v0
	s_cbranch_execz .LBB204_149
; %bb.148:
	v_and_b32_e32 v29, 3, v40
	s_delay_alu instid0(VALU_DEP_1) | instskip(SKIP_4) | instid1(VALU_DEP_1)
	v_cmp_ne_u32_e32 vcc_lo, 0, v29
	v_lshlrev_b32_e32 v27, 2, v0
	ds_load_b32 v28, v27
	s_wait_dscnt 0x0
	v_mov_b32_dpp v30, v28 row_shr:1 row_mask:0xf bank_mask:0xf
	v_cndmask_b32_e32 v30, 0, v30, vcc_lo
	v_cmp_lt_u32_e32 vcc_lo, 1, v29
	s_delay_alu instid0(VALU_DEP_2) | instskip(NEXT) | instid1(VALU_DEP_1)
	v_add_nc_u32_e32 v28, v30, v28
	v_mov_b32_dpp v30, v28 row_shr:2 row_mask:0xf bank_mask:0xf
	s_delay_alu instid0(VALU_DEP_1) | instskip(NEXT) | instid1(VALU_DEP_1)
	v_cndmask_b32_e32 v29, 0, v30, vcc_lo
	v_add_nc_u32_e32 v28, v28, v29
	ds_store_b32 v27, v28
.LBB204_149:
	s_or_b32 exec_lo, exec_lo, s8
	s_delay_alu instid0(SALU_CYCLE_1)
	s_mov_b32 s9, exec_lo
	v_cmp_gt_u32_e32 vcc_lo, 32, v0
	s_wait_dscnt 0x0
	s_barrier_signal -1
	s_barrier_wait -1
                                        ; implicit-def: $vgpr43
	v_cmpx_lt_u32_e32 31, v0
	s_cbranch_execz .LBB204_151
; %bb.150:
	v_lshl_add_u32 v27, v41, 2, -4
	ds_load_b32 v43, v27
	s_wait_dscnt 0x0
	v_add_nc_u32_e32 v26, v43, v26
.LBB204_151:
	s_or_b32 exec_lo, exec_lo, s9
	v_sub_co_u32 v27, s8, v40, 1
	s_delay_alu instid0(VALU_DEP_1) | instskip(NEXT) | instid1(VALU_DEP_1)
	v_cmp_gt_i32_e64 s9, 0, v27
	v_cndmask_b32_e64 v27, v27, v40, s9
	s_delay_alu instid0(VALU_DEP_1)
	v_lshlrev_b32_e32 v27, 2, v27
	ds_bpermute_b32 v44, v27, v26
	s_and_saveexec_b32 s9, vcc_lo
	s_cbranch_execz .LBB204_170
; %bb.152:
	v_mov_b32_e32 v33, 0
	ds_load_b32 v26, v33 offset:12
	s_and_saveexec_b32 s16, s8
	s_cbranch_execz .LBB204_154
; %bb.153:
	s_add_co_i32 s17, s26, 32
	s_delay_alu instid0(SALU_CYCLE_1)
	v_dual_mov_b32 v27, 1 :: v_dual_mov_b32 v28, s17
	s_wait_dscnt 0x0
	global_store_b64 v28, v[26:27], s[10:11] scale_offset scope:SCOPE_DEV
.LBB204_154:
	s_wait_xcnt 0x0
	s_or_b32 exec_lo, exec_lo, s16
	v_xad_u32 v28, v40, -1, s26
	s_mov_b32 s17, 0
	s_mov_b32 s16, exec_lo
	s_delay_alu instid0(VALU_DEP_1) | instskip(SKIP_4) | instid1(VALU_DEP_1)
	v_add_nc_u32_e32 v32, 32, v28
	global_load_b64 v[30:31], v32, s[10:11] scale_offset scope:SCOPE_DEV
	s_wait_loadcnt 0x0
	v_and_b32_e32 v27, 0xff, v31
	s_wait_xcnt 0x0
	v_cmpx_eq_u16_e32 0, v27
	s_cbranch_execz .LBB204_158
; %bb.155:
	v_lshl_add_u64 v[32:33], v[32:33], 3, s[10:11]
.LBB204_156:                            ; =>This Inner Loop Header: Depth=1
	global_load_b64 v[30:31], v[32:33], off scope:SCOPE_DEV
	s_wait_loadcnt 0x0
	v_and_b32_e32 v27, 0xff, v31
	s_delay_alu instid0(VALU_DEP_1)
	v_cmp_ne_u16_e32 vcc_lo, 0, v27
	s_or_b32 s17, vcc_lo, s17
	s_wait_xcnt 0x0
	s_and_not1_b32 exec_lo, exec_lo, s17
	s_cbranch_execnz .LBB204_156
; %bb.157:
	s_or_b32 exec_lo, exec_lo, s17
.LBB204_158:
	s_delay_alu instid0(SALU_CYCLE_1)
	s_or_b32 exec_lo, exec_lo, s16
	v_cmp_ne_u32_e32 vcc_lo, 31, v40
	v_lshlrev_b32_e64 v46, v40, -1
	v_lshl_or_b32 v53, v40, 2, 64
	v_dual_add_nc_u32 v48, 2, v40 :: v_dual_add_nc_u32 v50, 4, v40
	v_add_co_ci_u32_e64 v27, null, 0, v40, vcc_lo
	v_dual_add_nc_u32 v52, 8, v40 :: v_dual_add_nc_u32 v54, 16, v40
	s_delay_alu instid0(VALU_DEP_2)
	v_lshlrev_b32_e32 v45, 2, v27
	v_and_b32_e32 v27, 0xff, v31
	ds_bpermute_b32 v29, v45, v30
	v_cmp_eq_u16_e32 vcc_lo, 2, v27
	v_and_or_b32 v27, vcc_lo, v46, 0x80000000
	v_cmp_gt_u32_e32 vcc_lo, 30, v40
	s_delay_alu instid0(VALU_DEP_2) | instskip(SKIP_1) | instid1(VALU_DEP_2)
	v_ctz_i32_b32_e32 v27, v27
	v_cndmask_b32_e64 v32, 0, 2, vcc_lo
	v_cmp_lt_u32_e32 vcc_lo, v40, v27
	s_delay_alu instid0(VALU_DEP_2) | instskip(SKIP_3) | instid1(VALU_DEP_2)
	v_add_lshl_u32 v47, v32, v40, 2
	s_wait_dscnt 0x0
	v_cndmask_b32_e32 v29, 0, v29, vcc_lo
	v_cmp_gt_u32_e32 vcc_lo, 28, v40
	v_add_nc_u32_e32 v29, v29, v30
	v_cndmask_b32_e64 v32, 0, 4, vcc_lo
	v_cmp_le_u32_e32 vcc_lo, v48, v27
	ds_bpermute_b32 v30, v47, v29
	v_add_lshl_u32 v49, v32, v40, 2
	s_wait_dscnt 0x0
	v_cndmask_b32_e32 v30, 0, v30, vcc_lo
	v_cmp_gt_u32_e32 vcc_lo, 24, v40
	v_cndmask_b32_e64 v32, 0, 8, vcc_lo
	v_cmp_le_u32_e32 vcc_lo, v50, v27
	s_delay_alu instid0(VALU_DEP_4) | instskip(NEXT) | instid1(VALU_DEP_3)
	v_add_nc_u32_e32 v29, v29, v30
	v_add_lshl_u32 v51, v32, v40, 2
	ds_bpermute_b32 v30, v49, v29
	s_wait_dscnt 0x0
	v_cndmask_b32_e32 v30, 0, v30, vcc_lo
	v_cmp_le_u32_e32 vcc_lo, v52, v27
	s_delay_alu instid0(VALU_DEP_2) | instskip(SKIP_4) | instid1(VALU_DEP_2)
	v_add_nc_u32_e32 v29, v29, v30
	ds_bpermute_b32 v30, v51, v29
	s_wait_dscnt 0x0
	v_cndmask_b32_e32 v30, 0, v30, vcc_lo
	v_cmp_le_u32_e32 vcc_lo, v54, v27
	v_add_nc_u32_e32 v29, v29, v30
	ds_bpermute_b32 v30, v53, v29
	s_wait_dscnt 0x0
	v_cndmask_b32_e32 v27, 0, v30, vcc_lo
	s_delay_alu instid0(VALU_DEP_1)
	v_dual_mov_b32 v29, 0 :: v_dual_add_nc_u32 v30, v29, v27
	s_branch .LBB204_161
.LBB204_159:                            ;   in Loop: Header=BB204_161 Depth=1
	s_or_b32 exec_lo, exec_lo, s16
	v_and_b32_e32 v32, 0xff, v31
	ds_bpermute_b32 v33, v45, v30
	v_subrev_nc_u32_e32 v28, 32, v28
	s_mov_b32 s16, 0
	v_cmp_eq_u16_e32 vcc_lo, 2, v32
	v_and_or_b32 v32, vcc_lo, v46, 0x80000000
	s_delay_alu instid0(VALU_DEP_1) | instskip(NEXT) | instid1(VALU_DEP_1)
	v_ctz_i32_b32_e32 v32, v32
	v_cmp_lt_u32_e32 vcc_lo, v40, v32
	s_wait_dscnt 0x0
	v_cndmask_b32_e32 v33, 0, v33, vcc_lo
	v_cmp_le_u32_e32 vcc_lo, v48, v32
	s_delay_alu instid0(VALU_DEP_2) | instskip(SKIP_4) | instid1(VALU_DEP_2)
	v_add_nc_u32_e32 v30, v33, v30
	ds_bpermute_b32 v33, v47, v30
	s_wait_dscnt 0x0
	v_cndmask_b32_e32 v33, 0, v33, vcc_lo
	v_cmp_le_u32_e32 vcc_lo, v50, v32
	v_add_nc_u32_e32 v30, v30, v33
	ds_bpermute_b32 v33, v49, v30
	s_wait_dscnt 0x0
	v_cndmask_b32_e32 v33, 0, v33, vcc_lo
	v_cmp_le_u32_e32 vcc_lo, v52, v32
	s_delay_alu instid0(VALU_DEP_2) | instskip(SKIP_4) | instid1(VALU_DEP_2)
	v_add_nc_u32_e32 v30, v30, v33
	ds_bpermute_b32 v33, v51, v30
	s_wait_dscnt 0x0
	v_cndmask_b32_e32 v33, 0, v33, vcc_lo
	v_cmp_le_u32_e32 vcc_lo, v54, v32
	v_add_nc_u32_e32 v30, v30, v33
	ds_bpermute_b32 v33, v53, v30
	s_wait_dscnt 0x0
	v_cndmask_b32_e32 v32, 0, v33, vcc_lo
	s_delay_alu instid0(VALU_DEP_1)
	v_add3_u32 v30, v32, v27, v30
.LBB204_160:                            ;   in Loop: Header=BB204_161 Depth=1
	s_and_b32 vcc_lo, exec_lo, s16
	s_cbranch_vccnz .LBB204_166
.LBB204_161:                            ; =>This Loop Header: Depth=1
                                        ;     Child Loop BB204_164 Depth 2
	v_and_b32_e32 v27, 0xff, v31
	s_mov_b32 s16, -1
                                        ; implicit-def: $vgpr31
	s_delay_alu instid0(VALU_DEP_1)
	v_cmp_ne_u16_e32 vcc_lo, 2, v27
	v_mov_b32_e32 v27, v30
                                        ; implicit-def: $vgpr30
	s_cmp_lg_u32 vcc_lo, exec_lo
	s_cbranch_scc1 .LBB204_160
; %bb.162:                              ;   in Loop: Header=BB204_161 Depth=1
	global_load_b64 v[30:31], v28, s[10:11] scale_offset scope:SCOPE_DEV
	s_mov_b32 s16, exec_lo
	s_wait_loadcnt 0x0
	v_and_b32_e32 v32, 0xff, v31
	s_wait_xcnt 0x0
	s_delay_alu instid0(VALU_DEP_1)
	v_cmpx_eq_u16_e32 0, v32
	s_cbranch_execz .LBB204_159
; %bb.163:                              ;   in Loop: Header=BB204_161 Depth=1
	v_lshl_add_u64 v[32:33], v[28:29], 3, s[10:11]
	s_mov_b32 s17, 0
.LBB204_164:                            ;   Parent Loop BB204_161 Depth=1
                                        ; =>  This Inner Loop Header: Depth=2
	global_load_b64 v[30:31], v[32:33], off scope:SCOPE_DEV
	s_wait_loadcnt 0x0
	v_and_b32_e32 v55, 0xff, v31
	s_delay_alu instid0(VALU_DEP_1)
	v_cmp_ne_u16_e32 vcc_lo, 0, v55
	s_or_b32 s17, vcc_lo, s17
	s_wait_xcnt 0x0
	s_and_not1_b32 exec_lo, exec_lo, s17
	s_cbranch_execnz .LBB204_164
; %bb.165:                              ;   in Loop: Header=BB204_161 Depth=1
	s_or_b32 exec_lo, exec_lo, s17
	s_branch .LBB204_159
.LBB204_166:
	s_and_saveexec_b32 s16, s8
	s_cbranch_execz .LBB204_168
; %bb.167:
	s_add_co_i32 s17, s26, 32
	v_dual_mov_b32 v29, 2 :: v_dual_add_nc_u32 v28, v27, v26
	v_dual_mov_b32 v30, s17 :: v_dual_mov_b32 v31, 0
	global_store_b64 v30, v[28:29], s[10:11] scale_offset scope:SCOPE_DEV
	ds_store_b64 v31, v[26:27] offset:5120
.LBB204_168:
	s_wait_xcnt 0x0
	s_or_b32 exec_lo, exec_lo, s16
	v_cmp_eq_u32_e32 vcc_lo, 0, v0
	s_and_b32 exec_lo, exec_lo, vcc_lo
; %bb.169:
	v_mov_b32_e32 v26, 0
	ds_store_b32 v26, v27 offset:12
.LBB204_170:
	s_or_b32 exec_lo, exec_lo, s9
	s_wait_dscnt 0x0
	v_dual_mov_b32 v26, 0 :: v_dual_cndmask_b32 v28, v44, v43, s8
	s_wait_storecnt 0x0
	s_barrier_signal -1
	s_barrier_wait -1
	ds_load_b32 v27, v26 offset:12
	v_cmp_ne_u32_e32 vcc_lo, 0, v0
	s_wait_dscnt 0x0
	s_barrier_signal -1
	s_barrier_wait -1
	v_cndmask_b32_e32 v28, 0, v28, vcc_lo
	s_mov_b32 s9, 0
	s_delay_alu instid0(VALU_DEP_1) | instskip(SKIP_2) | instid1(VALU_DEP_1)
	v_add_nc_u32_e32 v32, v27, v28
	ds_load_b64 v[26:27], v26 offset:5120
	v_add_nc_u32_e32 v31, v32, v25
	v_add_nc_u32_e32 v30, v31, v37
	s_delay_alu instid0(VALU_DEP_1) | instskip(NEXT) | instid1(VALU_DEP_1)
	v_add_nc_u32_e32 v29, v30, v38
	v_add_nc_u32_e32 v28, v29, v39
	s_wait_dscnt 0x0
	v_readfirstlane_b32 s8, v27
.LBB204_171:
	s_and_b32 vcc_lo, exec_lo, s9
	s_cbranch_vccz .LBB204_181
; %bb.172:
	v_mov_b32_dpp v26, v42 row_shr:1 row_mask:0xf bank_mask:0xf
	s_delay_alu instid0(VALU_DEP_1) | instskip(NEXT) | instid1(VALU_DEP_1)
	v_cndmask_b32_e64 v26, v26, 0, s4
	v_add_nc_u32_e32 v26, v26, v42
	s_delay_alu instid0(VALU_DEP_1) | instskip(NEXT) | instid1(VALU_DEP_1)
	v_mov_b32_dpp v27, v26 row_shr:2 row_mask:0xf bank_mask:0xf
	v_cndmask_b32_e64 v27, 0, v27, s6
	s_delay_alu instid0(VALU_DEP_1) | instskip(NEXT) | instid1(VALU_DEP_1)
	v_add_nc_u32_e32 v26, v26, v27
	v_mov_b32_dpp v27, v26 row_shr:4 row_mask:0xf bank_mask:0xf
	s_delay_alu instid0(VALU_DEP_1) | instskip(NEXT) | instid1(VALU_DEP_1)
	v_cndmask_b32_e64 v27, 0, v27, s7
	v_add_nc_u32_e32 v26, v26, v27
	s_delay_alu instid0(VALU_DEP_1) | instskip(NEXT) | instid1(VALU_DEP_1)
	v_mov_b32_dpp v27, v26 row_shr:8 row_mask:0xf bank_mask:0xf
	v_cndmask_b32_e64 v27, 0, v27, s5
	s_delay_alu instid0(VALU_DEP_1) | instskip(SKIP_3) | instid1(VALU_DEP_1)
	v_add_nc_u32_e32 v26, v26, v27
	ds_swizzle_b32 v27, v26 offset:swizzle(BROADCAST,32,15)
	s_wait_dscnt 0x0
	v_cndmask_b32_e64 v27, v27, 0, s3
	v_add_nc_u32_e32 v26, v26, v27
	s_and_saveexec_b32 s3, s2
; %bb.173:
	v_lshlrev_b32_e32 v27, 2, v41
	ds_store_b32 v27, v26
; %bb.174:
	s_or_b32 exec_lo, exec_lo, s3
	s_delay_alu instid0(SALU_CYCLE_1)
	s_mov_b32 s2, exec_lo
	s_wait_dscnt 0x0
	s_barrier_signal -1
	s_barrier_wait -1
	v_cmpx_gt_u32_e32 4, v0
	s_cbranch_execz .LBB204_176
; %bb.175:
	v_and_b32_e32 v29, 3, v40
	s_delay_alu instid0(VALU_DEP_1) | instskip(SKIP_4) | instid1(VALU_DEP_1)
	v_cmp_ne_u32_e32 vcc_lo, 0, v29
	v_lshlrev_b32_e32 v27, 2, v0
	ds_load_b32 v28, v27
	s_wait_dscnt 0x0
	v_mov_b32_dpp v30, v28 row_shr:1 row_mask:0xf bank_mask:0xf
	v_cndmask_b32_e32 v30, 0, v30, vcc_lo
	v_cmp_lt_u32_e32 vcc_lo, 1, v29
	s_delay_alu instid0(VALU_DEP_2) | instskip(NEXT) | instid1(VALU_DEP_1)
	v_add_nc_u32_e32 v28, v30, v28
	v_mov_b32_dpp v30, v28 row_shr:2 row_mask:0xf bank_mask:0xf
	s_delay_alu instid0(VALU_DEP_1) | instskip(NEXT) | instid1(VALU_DEP_1)
	v_cndmask_b32_e32 v29, 0, v30, vcc_lo
	v_add_nc_u32_e32 v28, v28, v29
	ds_store_b32 v27, v28
.LBB204_176:
	s_or_b32 exec_lo, exec_lo, s2
	v_dual_mov_b32 v27, 0 :: v_dual_mov_b32 v28, 0
	s_mov_b32 s2, exec_lo
	s_wait_dscnt 0x0
	s_barrier_signal -1
	s_barrier_wait -1
	v_cmpx_lt_u32_e32 31, v0
; %bb.177:
	v_lshl_add_u32 v28, v41, 2, -4
	ds_load_b32 v28, v28
; %bb.178:
	s_or_b32 exec_lo, exec_lo, s2
	v_sub_co_u32 v29, vcc_lo, v40, 1
	s_mov_b32 s8, 0
	s_wait_dscnt 0x0
	v_add_nc_u32_e32 v26, v28, v26
	v_cmp_gt_i32_e64 s2, 0, v29
	s_delay_alu instid0(VALU_DEP_1) | instskip(SKIP_1) | instid1(VALU_DEP_2)
	v_cndmask_b32_e64 v29, v29, v40, s2
	v_cmp_eq_u32_e64 s2, 0, v0
	v_lshlrev_b32_e32 v29, 2, v29
	ds_bpermute_b32 v29, v29, v26
	ds_load_b32 v26, v27 offset:12
	s_and_saveexec_b32 s3, s2
	s_cbranch_execz .LBB204_180
; %bb.179:
	v_dual_mov_b32 v30, 0 :: v_dual_mov_b32 v27, 2
	s_wait_dscnt 0x0
	global_store_b64 v30, v[26:27], s[10:11] offset:256 scope:SCOPE_DEV
.LBB204_180:
	s_wait_xcnt 0x0
	s_or_b32 exec_lo, exec_lo, s3
	s_wait_dscnt 0x1
	v_cndmask_b32_e32 v27, v29, v28, vcc_lo
	s_wait_storecnt_dscnt 0x0
	s_barrier_signal -1
	s_barrier_wait -1
	s_delay_alu instid0(VALU_DEP_1) | instskip(NEXT) | instid1(VALU_DEP_1)
	v_cndmask_b32_e64 v32, v27, 0, s2
	v_add_nc_u32_e32 v31, v32, v25
	s_delay_alu instid0(VALU_DEP_1) | instskip(NEXT) | instid1(VALU_DEP_1)
	v_add_nc_u32_e32 v30, v31, v37
	v_add_nc_u32_e32 v29, v30, v38
	s_delay_alu instid0(VALU_DEP_1)
	v_add_nc_u32_e32 v28, v29, v39
.LBB204_181:
	s_load_b128 s[4:7], s[0:1], 0x28
	s_delay_alu instid0(VALU_DEP_1)
	v_dual_add_nc_u32 v25, s8, v26 :: v_dual_bitop2_b32 v24, 1, v24 bitop3:0x40
	s_wait_xcnt 0x0
	v_cmp_gt_u32_e64 s0, 0x81, v26
	s_mov_b32 s3, -1
	v_cmp_lt_u32_e64 s1, v32, v25
	v_cmp_eq_u32_e64 s2, 1, v24
	s_and_b32 vcc_lo, exec_lo, s0
	s_cbranch_vccz .LBB204_193
; %bb.182:
	s_or_b32 s1, s25, s1
	s_delay_alu instid0(SALU_CYCLE_1) | instskip(NEXT) | instid1(SALU_CYCLE_1)
	s_and_b32 s2, s1, s2
	s_and_saveexec_b32 s1, s2
	s_cbranch_execz .LBB204_184
; %bb.183:
	s_lshl_b64 s[2:3], s[14:15], 3
	s_wait_kmcnt 0x0
	s_add_nc_u64 s[2:3], s[4:5], s[2:3]
	global_store_b64 v32, v[14:15], s[2:3] scale_offset
.LBB204_184:
	s_wait_xcnt 0x0
	s_or_b32 exec_lo, exec_lo, s1
	v_and_b32_e32 v27, 1, v23
	v_cmp_lt_u32_e32 vcc_lo, v31, v25
	s_delay_alu instid0(VALU_DEP_2) | instskip(SKIP_1) | instid1(SALU_CYCLE_1)
	v_cmp_eq_u32_e64 s1, 1, v27
	s_or_b32 s2, s25, vcc_lo
	s_and_b32 s2, s2, s1
	s_delay_alu instid0(SALU_CYCLE_1)
	s_and_saveexec_b32 s1, s2
	s_cbranch_execz .LBB204_186
; %bb.185:
	s_lshl_b64 s[2:3], s[14:15], 3
	s_wait_kmcnt 0x0
	s_add_nc_u64 s[2:3], s[4:5], s[2:3]
	global_store_b64 v31, v[16:17], s[2:3] scale_offset
.LBB204_186:
	s_wait_xcnt 0x0
	s_or_b32 exec_lo, exec_lo, s1
	v_and_b32_e32 v27, 1, v36
	v_cmp_lt_u32_e32 vcc_lo, v30, v25
	s_delay_alu instid0(VALU_DEP_2) | instskip(SKIP_1) | instid1(SALU_CYCLE_1)
	v_cmp_eq_u32_e64 s1, 1, v27
	s_or_b32 s2, s25, vcc_lo
	s_and_b32 s2, s2, s1
	s_delay_alu instid0(SALU_CYCLE_1)
	;; [unrolled: 17-line block ×4, first 2 shown]
	s_and_saveexec_b32 s1, s2
	s_cbranch_execz .LBB204_192
; %bb.191:
	s_lshl_b64 s[2:3], s[14:15], 3
	s_wait_kmcnt 0x0
	s_add_nc_u64 s[2:3], s[4:5], s[2:3]
	global_store_b64 v28, v[20:21], s[2:3] scale_offset
.LBB204_192:
	s_wait_xcnt 0x0
	s_or_b32 exec_lo, exec_lo, s1
	s_mov_b32 s3, 0
.LBB204_193:
	s_delay_alu instid0(SALU_CYCLE_1)
	s_and_b32 vcc_lo, exec_lo, s3
	s_cbranch_vccz .LBB204_207
; %bb.194:
	s_mov_b32 s1, exec_lo
	v_cmpx_eq_u32_e32 1, v24
; %bb.195:
	v_subrev_nc_u32_e32 v27, s8, v32
	s_delay_alu instid0(VALU_DEP_1)
	v_lshlrev_b32_e32 v27, 3, v27
	ds_store_b64 v27, v[14:15]
; %bb.196:
	s_or_b32 exec_lo, exec_lo, s1
	v_and_b32_e32 v14, 1, v23
	s_mov_b32 s1, exec_lo
	s_delay_alu instid0(VALU_DEP_1)
	v_cmpx_eq_u32_e32 1, v14
; %bb.197:
	v_subrev_nc_u32_e32 v14, s8, v31
	s_delay_alu instid0(VALU_DEP_1)
	v_lshlrev_b32_e32 v14, 3, v14
	ds_store_b64 v14, v[16:17]
; %bb.198:
	s_or_b32 exec_lo, exec_lo, s1
	v_and_b32_e32 v14, 1, v36
	s_mov_b32 s1, exec_lo
	s_delay_alu instid0(VALU_DEP_1)
	;; [unrolled: 11-line block ×4, first 2 shown]
	v_cmpx_eq_u32_e32 1, v10
; %bb.203:
	v_subrev_nc_u32_e32 v10, s8, v28
	s_delay_alu instid0(VALU_DEP_1)
	v_lshlrev_b32_e32 v10, 3, v10
	ds_store_b64 v10, v[20:21]
; %bb.204:
	s_or_b32 exec_lo, exec_lo, s1
	s_mov_b32 s9, 0
	v_dual_mov_b32 v11, v1 :: v_dual_lshlrev_b32 v10, 3, v0
	s_lshl_b64 s[2:3], s[8:9], 3
	s_wait_storecnt_dscnt 0x0
	s_wait_kmcnt 0x0
	s_add_nc_u64 s[2:3], s[4:5], s[2:3]
	s_lshl_b64 s[4:5], s[14:15], 3
	s_barrier_signal -1
	s_add_nc_u64 s[2:3], s[2:3], s[4:5]
	s_barrier_wait -1
.LBB204_205:                            ; =>This Inner Loop Header: Depth=1
	ds_load_b64 v[12:13], v10
	v_add_nc_u32_e32 v10, 0x400, v10
	s_wait_dscnt 0x0
	global_store_b64 v11, v[12:13], s[2:3] scale_offset
	s_wait_xcnt 0x0
	v_add_nc_u32_e32 v11, 0x80, v11
	s_delay_alu instid0(VALU_DEP_1) | instskip(SKIP_1) | instid1(SALU_CYCLE_1)
	v_cmp_ge_u32_e32 vcc_lo, v11, v26
	s_or_b32 s9, vcc_lo, s9
	s_and_not1_b32 exec_lo, exec_lo, s9
	s_cbranch_execnz .LBB204_205
; %bb.206:
	s_or_b32 exec_lo, exec_lo, s9
.LBB204_207:
	s_delay_alu instid0(SALU_CYCLE_1)
	s_and_b32 vcc_lo, exec_lo, s0
	s_mov_b32 s0, -1
	s_wait_storecnt 0x0
	s_barrier_signal -1
	s_barrier_wait -1
	s_cbranch_vccz .LBB204_219
; %bb.208:
	v_cmp_lt_u32_e32 vcc_lo, v32, v25
	v_cmp_eq_u32_e64 s0, 1, v24
	s_or_b32 s1, s25, vcc_lo
	s_delay_alu instid0(SALU_CYCLE_1) | instskip(NEXT) | instid1(SALU_CYCLE_1)
	s_and_b32 s1, s1, s0
	s_and_saveexec_b32 s0, s1
	s_cbranch_execz .LBB204_210
; %bb.209:
	s_lshl_b64 s[2:3], s[14:15], 3
	s_wait_kmcnt 0x0
	s_add_nc_u64 s[2:3], s[6:7], s[2:3]
	global_store_b64 v32, v[6:7], s[2:3] scale_offset
.LBB204_210:
	s_wait_xcnt 0x0
	s_or_b32 exec_lo, exec_lo, s0
	v_and_b32_e32 v10, 1, v23
	v_cmp_lt_u32_e32 vcc_lo, v31, v25
	s_delay_alu instid0(VALU_DEP_2) | instskip(SKIP_1) | instid1(SALU_CYCLE_1)
	v_cmp_eq_u32_e64 s0, 1, v10
	s_or_b32 s1, s25, vcc_lo
	s_and_b32 s1, s1, s0
	s_delay_alu instid0(SALU_CYCLE_1)
	s_and_saveexec_b32 s0, s1
	s_cbranch_execz .LBB204_212
; %bb.211:
	s_lshl_b64 s[2:3], s[14:15], 3
	s_wait_kmcnt 0x0
	s_add_nc_u64 s[2:3], s[6:7], s[2:3]
	global_store_b64 v31, v[8:9], s[2:3] scale_offset
.LBB204_212:
	s_wait_xcnt 0x0
	s_or_b32 exec_lo, exec_lo, s0
	v_and_b32_e32 v10, 1, v36
	v_cmp_lt_u32_e32 vcc_lo, v30, v25
	s_delay_alu instid0(VALU_DEP_2) | instskip(SKIP_1) | instid1(SALU_CYCLE_1)
	v_cmp_eq_u32_e64 s0, 1, v10
	s_or_b32 s1, s25, vcc_lo
	s_and_b32 s1, s1, s0
	s_delay_alu instid0(SALU_CYCLE_1)
	;; [unrolled: 17-line block ×4, first 2 shown]
	s_and_saveexec_b32 s0, s1
	s_cbranch_execz .LBB204_218
; %bb.217:
	s_lshl_b64 s[2:3], s[14:15], 3
	s_wait_kmcnt 0x0
	s_add_nc_u64 s[2:3], s[6:7], s[2:3]
	global_store_b64 v28, v[18:19], s[2:3] scale_offset
.LBB204_218:
	s_wait_xcnt 0x0
	s_or_b32 exec_lo, exec_lo, s0
	s_mov_b32 s0, 0
.LBB204_219:
	s_delay_alu instid0(SALU_CYCLE_1)
	s_and_b32 vcc_lo, exec_lo, s0
	s_cbranch_vccz .LBB204_233
; %bb.220:
	s_mov_b32 s0, exec_lo
	v_cmpx_eq_u32_e32 1, v24
; %bb.221:
	v_subrev_nc_u32_e32 v10, s8, v32
	s_delay_alu instid0(VALU_DEP_1)
	v_lshlrev_b32_e32 v10, 3, v10
	ds_store_b64 v10, v[6:7]
; %bb.222:
	s_or_b32 exec_lo, exec_lo, s0
	v_and_b32_e32 v6, 1, v23
	s_mov_b32 s0, exec_lo
	s_delay_alu instid0(VALU_DEP_1)
	v_cmpx_eq_u32_e32 1, v6
; %bb.223:
	v_subrev_nc_u32_e32 v6, s8, v31
	s_delay_alu instid0(VALU_DEP_1)
	v_lshlrev_b32_e32 v6, 3, v6
	ds_store_b64 v6, v[8:9]
; %bb.224:
	s_or_b32 exec_lo, exec_lo, s0
	v_and_b32_e32 v6, 1, v36
	s_mov_b32 s0, exec_lo
	s_delay_alu instid0(VALU_DEP_1)
	;; [unrolled: 11-line block ×4, first 2 shown]
	v_cmpx_eq_u32_e32 1, v2
; %bb.229:
	v_subrev_nc_u32_e32 v2, s8, v28
	s_delay_alu instid0(VALU_DEP_1)
	v_lshlrev_b32_e32 v2, 3, v2
	ds_store_b64 v2, v[18:19]
; %bb.230:
	s_or_b32 exec_lo, exec_lo, s0
	s_mov_b32 s9, 0
	s_lshl_b64 s[2:3], s[14:15], 3
	s_lshl_b64 s[0:1], s[8:9], 3
	s_wait_storecnt_dscnt 0x0
	s_wait_kmcnt 0x0
	s_add_nc_u64 s[0:1], s[6:7], s[0:1]
	s_barrier_signal -1
	s_add_nc_u64 s[0:1], s[0:1], s[2:3]
	s_barrier_wait -1
.LBB204_231:                            ; =>This Inner Loop Header: Depth=1
	ds_load_b64 v[2:3], v34
	v_add_nc_u32_e32 v34, 0x400, v34
	s_wait_dscnt 0x0
	global_store_b64 v1, v[2:3], s[0:1] scale_offset
	s_wait_xcnt 0x0
	v_add_nc_u32_e32 v1, 0x80, v1
	s_delay_alu instid0(VALU_DEP_1) | instskip(SKIP_1) | instid1(SALU_CYCLE_1)
	v_cmp_ge_u32_e32 vcc_lo, v1, v26
	s_or_b32 s9, vcc_lo, s9
	s_and_not1_b32 exec_lo, exec_lo, s9
	s_cbranch_execnz .LBB204_231
; %bb.232:
	s_or_b32 exec_lo, exec_lo, s9
.LBB204_233:
	v_cmp_eq_u32_e32 vcc_lo, 0, v0
	s_mov_b32 s9, 0
	s_and_b32 s0, vcc_lo, s24
	s_delay_alu instid0(SALU_CYCLE_1)
	s_and_saveexec_b32 s1, s0
	s_cbranch_execz .LBB204_235
; %bb.234:
	v_mov_b32_e32 v27, 0
	s_delay_alu instid0(VALU_DEP_1) | instskip(NEXT) | instid1(VALU_DEP_1)
	v_add_nc_u64_e32 v[0:1], s[14:15], v[26:27]
	v_add_nc_u64_e32 v[0:1], s[8:9], v[0:1]
	global_store_b64 v27, v[0:1], s[12:13]
.LBB204_235:
	s_endpgm
	.section	.rodata,"a",@progbits
	.p2align	6, 0x0
	.amdhsa_kernel _ZN7rocprim17ROCPRIM_400000_NS6detail17trampoline_kernelINS0_14default_configENS1_25partition_config_selectorILNS1_17partition_subalgoE9EllbEEZZNS1_14partition_implILS5_9ELb0ES3_jPlS8_PNS0_10empty_typeENS0_5tupleIJS8_S9_EEENSB_IJS8_SA_EEENS0_18inequality_wrapperIZN2at6native12_GLOBAL__N_124unique_dim_cuda_templateIhEESt5tupleIJNSF_6TensorESK_SK_EERKSK_lbbbEUlllE0_EEPmJS9_EEE10hipError_tPvRmT3_T4_T5_T6_T7_T9_mT8_P12ihipStream_tbDpT10_ENKUlT_T0_E_clISt17integral_constantIbLb0EES1A_EEDaS15_S16_EUlS15_E_NS1_11comp_targetILNS1_3genE0ELNS1_11target_archE4294967295ELNS1_3gpuE0ELNS1_3repE0EEENS1_30default_config_static_selectorELNS0_4arch9wavefront6targetE0EEEvT1_
		.amdhsa_group_segment_fixed_size 5128
		.amdhsa_private_segment_fixed_size 0
		.amdhsa_kernarg_size 120
		.amdhsa_user_sgpr_count 2
		.amdhsa_user_sgpr_dispatch_ptr 0
		.amdhsa_user_sgpr_queue_ptr 0
		.amdhsa_user_sgpr_kernarg_segment_ptr 1
		.amdhsa_user_sgpr_dispatch_id 0
		.amdhsa_user_sgpr_kernarg_preload_length 0
		.amdhsa_user_sgpr_kernarg_preload_offset 0
		.amdhsa_user_sgpr_private_segment_size 0
		.amdhsa_wavefront_size32 1
		.amdhsa_uses_dynamic_stack 0
		.amdhsa_enable_private_segment 0
		.amdhsa_system_sgpr_workgroup_id_x 1
		.amdhsa_system_sgpr_workgroup_id_y 0
		.amdhsa_system_sgpr_workgroup_id_z 0
		.amdhsa_system_sgpr_workgroup_info 0
		.amdhsa_system_vgpr_workitem_id 0
		.amdhsa_next_free_vgpr 56
		.amdhsa_next_free_sgpr 32
		.amdhsa_named_barrier_count 0
		.amdhsa_reserve_vcc 1
		.amdhsa_float_round_mode_32 0
		.amdhsa_float_round_mode_16_64 0
		.amdhsa_float_denorm_mode_32 3
		.amdhsa_float_denorm_mode_16_64 3
		.amdhsa_fp16_overflow 0
		.amdhsa_memory_ordered 1
		.amdhsa_forward_progress 1
		.amdhsa_inst_pref_size 78
		.amdhsa_round_robin_scheduling 0
		.amdhsa_exception_fp_ieee_invalid_op 0
		.amdhsa_exception_fp_denorm_src 0
		.amdhsa_exception_fp_ieee_div_zero 0
		.amdhsa_exception_fp_ieee_overflow 0
		.amdhsa_exception_fp_ieee_underflow 0
		.amdhsa_exception_fp_ieee_inexact 0
		.amdhsa_exception_int_div_zero 0
	.end_amdhsa_kernel
	.section	.text._ZN7rocprim17ROCPRIM_400000_NS6detail17trampoline_kernelINS0_14default_configENS1_25partition_config_selectorILNS1_17partition_subalgoE9EllbEEZZNS1_14partition_implILS5_9ELb0ES3_jPlS8_PNS0_10empty_typeENS0_5tupleIJS8_S9_EEENSB_IJS8_SA_EEENS0_18inequality_wrapperIZN2at6native12_GLOBAL__N_124unique_dim_cuda_templateIhEESt5tupleIJNSF_6TensorESK_SK_EERKSK_lbbbEUlllE0_EEPmJS9_EEE10hipError_tPvRmT3_T4_T5_T6_T7_T9_mT8_P12ihipStream_tbDpT10_ENKUlT_T0_E_clISt17integral_constantIbLb0EES1A_EEDaS15_S16_EUlS15_E_NS1_11comp_targetILNS1_3genE0ELNS1_11target_archE4294967295ELNS1_3gpuE0ELNS1_3repE0EEENS1_30default_config_static_selectorELNS0_4arch9wavefront6targetE0EEEvT1_,"axG",@progbits,_ZN7rocprim17ROCPRIM_400000_NS6detail17trampoline_kernelINS0_14default_configENS1_25partition_config_selectorILNS1_17partition_subalgoE9EllbEEZZNS1_14partition_implILS5_9ELb0ES3_jPlS8_PNS0_10empty_typeENS0_5tupleIJS8_S9_EEENSB_IJS8_SA_EEENS0_18inequality_wrapperIZN2at6native12_GLOBAL__N_124unique_dim_cuda_templateIhEESt5tupleIJNSF_6TensorESK_SK_EERKSK_lbbbEUlllE0_EEPmJS9_EEE10hipError_tPvRmT3_T4_T5_T6_T7_T9_mT8_P12ihipStream_tbDpT10_ENKUlT_T0_E_clISt17integral_constantIbLb0EES1A_EEDaS15_S16_EUlS15_E_NS1_11comp_targetILNS1_3genE0ELNS1_11target_archE4294967295ELNS1_3gpuE0ELNS1_3repE0EEENS1_30default_config_static_selectorELNS0_4arch9wavefront6targetE0EEEvT1_,comdat
.Lfunc_end204:
	.size	_ZN7rocprim17ROCPRIM_400000_NS6detail17trampoline_kernelINS0_14default_configENS1_25partition_config_selectorILNS1_17partition_subalgoE9EllbEEZZNS1_14partition_implILS5_9ELb0ES3_jPlS8_PNS0_10empty_typeENS0_5tupleIJS8_S9_EEENSB_IJS8_SA_EEENS0_18inequality_wrapperIZN2at6native12_GLOBAL__N_124unique_dim_cuda_templateIhEESt5tupleIJNSF_6TensorESK_SK_EERKSK_lbbbEUlllE0_EEPmJS9_EEE10hipError_tPvRmT3_T4_T5_T6_T7_T9_mT8_P12ihipStream_tbDpT10_ENKUlT_T0_E_clISt17integral_constantIbLb0EES1A_EEDaS15_S16_EUlS15_E_NS1_11comp_targetILNS1_3genE0ELNS1_11target_archE4294967295ELNS1_3gpuE0ELNS1_3repE0EEENS1_30default_config_static_selectorELNS0_4arch9wavefront6targetE0EEEvT1_, .Lfunc_end204-_ZN7rocprim17ROCPRIM_400000_NS6detail17trampoline_kernelINS0_14default_configENS1_25partition_config_selectorILNS1_17partition_subalgoE9EllbEEZZNS1_14partition_implILS5_9ELb0ES3_jPlS8_PNS0_10empty_typeENS0_5tupleIJS8_S9_EEENSB_IJS8_SA_EEENS0_18inequality_wrapperIZN2at6native12_GLOBAL__N_124unique_dim_cuda_templateIhEESt5tupleIJNSF_6TensorESK_SK_EERKSK_lbbbEUlllE0_EEPmJS9_EEE10hipError_tPvRmT3_T4_T5_T6_T7_T9_mT8_P12ihipStream_tbDpT10_ENKUlT_T0_E_clISt17integral_constantIbLb0EES1A_EEDaS15_S16_EUlS15_E_NS1_11comp_targetILNS1_3genE0ELNS1_11target_archE4294967295ELNS1_3gpuE0ELNS1_3repE0EEENS1_30default_config_static_selectorELNS0_4arch9wavefront6targetE0EEEvT1_
                                        ; -- End function
	.set _ZN7rocprim17ROCPRIM_400000_NS6detail17trampoline_kernelINS0_14default_configENS1_25partition_config_selectorILNS1_17partition_subalgoE9EllbEEZZNS1_14partition_implILS5_9ELb0ES3_jPlS8_PNS0_10empty_typeENS0_5tupleIJS8_S9_EEENSB_IJS8_SA_EEENS0_18inequality_wrapperIZN2at6native12_GLOBAL__N_124unique_dim_cuda_templateIhEESt5tupleIJNSF_6TensorESK_SK_EERKSK_lbbbEUlllE0_EEPmJS9_EEE10hipError_tPvRmT3_T4_T5_T6_T7_T9_mT8_P12ihipStream_tbDpT10_ENKUlT_T0_E_clISt17integral_constantIbLb0EES1A_EEDaS15_S16_EUlS15_E_NS1_11comp_targetILNS1_3genE0ELNS1_11target_archE4294967295ELNS1_3gpuE0ELNS1_3repE0EEENS1_30default_config_static_selectorELNS0_4arch9wavefront6targetE0EEEvT1_.num_vgpr, 56
	.set _ZN7rocprim17ROCPRIM_400000_NS6detail17trampoline_kernelINS0_14default_configENS1_25partition_config_selectorILNS1_17partition_subalgoE9EllbEEZZNS1_14partition_implILS5_9ELb0ES3_jPlS8_PNS0_10empty_typeENS0_5tupleIJS8_S9_EEENSB_IJS8_SA_EEENS0_18inequality_wrapperIZN2at6native12_GLOBAL__N_124unique_dim_cuda_templateIhEESt5tupleIJNSF_6TensorESK_SK_EERKSK_lbbbEUlllE0_EEPmJS9_EEE10hipError_tPvRmT3_T4_T5_T6_T7_T9_mT8_P12ihipStream_tbDpT10_ENKUlT_T0_E_clISt17integral_constantIbLb0EES1A_EEDaS15_S16_EUlS15_E_NS1_11comp_targetILNS1_3genE0ELNS1_11target_archE4294967295ELNS1_3gpuE0ELNS1_3repE0EEENS1_30default_config_static_selectorELNS0_4arch9wavefront6targetE0EEEvT1_.num_agpr, 0
	.set _ZN7rocprim17ROCPRIM_400000_NS6detail17trampoline_kernelINS0_14default_configENS1_25partition_config_selectorILNS1_17partition_subalgoE9EllbEEZZNS1_14partition_implILS5_9ELb0ES3_jPlS8_PNS0_10empty_typeENS0_5tupleIJS8_S9_EEENSB_IJS8_SA_EEENS0_18inequality_wrapperIZN2at6native12_GLOBAL__N_124unique_dim_cuda_templateIhEESt5tupleIJNSF_6TensorESK_SK_EERKSK_lbbbEUlllE0_EEPmJS9_EEE10hipError_tPvRmT3_T4_T5_T6_T7_T9_mT8_P12ihipStream_tbDpT10_ENKUlT_T0_E_clISt17integral_constantIbLb0EES1A_EEDaS15_S16_EUlS15_E_NS1_11comp_targetILNS1_3genE0ELNS1_11target_archE4294967295ELNS1_3gpuE0ELNS1_3repE0EEENS1_30default_config_static_selectorELNS0_4arch9wavefront6targetE0EEEvT1_.numbered_sgpr, 32
	.set _ZN7rocprim17ROCPRIM_400000_NS6detail17trampoline_kernelINS0_14default_configENS1_25partition_config_selectorILNS1_17partition_subalgoE9EllbEEZZNS1_14partition_implILS5_9ELb0ES3_jPlS8_PNS0_10empty_typeENS0_5tupleIJS8_S9_EEENSB_IJS8_SA_EEENS0_18inequality_wrapperIZN2at6native12_GLOBAL__N_124unique_dim_cuda_templateIhEESt5tupleIJNSF_6TensorESK_SK_EERKSK_lbbbEUlllE0_EEPmJS9_EEE10hipError_tPvRmT3_T4_T5_T6_T7_T9_mT8_P12ihipStream_tbDpT10_ENKUlT_T0_E_clISt17integral_constantIbLb0EES1A_EEDaS15_S16_EUlS15_E_NS1_11comp_targetILNS1_3genE0ELNS1_11target_archE4294967295ELNS1_3gpuE0ELNS1_3repE0EEENS1_30default_config_static_selectorELNS0_4arch9wavefront6targetE0EEEvT1_.num_named_barrier, 0
	.set _ZN7rocprim17ROCPRIM_400000_NS6detail17trampoline_kernelINS0_14default_configENS1_25partition_config_selectorILNS1_17partition_subalgoE9EllbEEZZNS1_14partition_implILS5_9ELb0ES3_jPlS8_PNS0_10empty_typeENS0_5tupleIJS8_S9_EEENSB_IJS8_SA_EEENS0_18inequality_wrapperIZN2at6native12_GLOBAL__N_124unique_dim_cuda_templateIhEESt5tupleIJNSF_6TensorESK_SK_EERKSK_lbbbEUlllE0_EEPmJS9_EEE10hipError_tPvRmT3_T4_T5_T6_T7_T9_mT8_P12ihipStream_tbDpT10_ENKUlT_T0_E_clISt17integral_constantIbLb0EES1A_EEDaS15_S16_EUlS15_E_NS1_11comp_targetILNS1_3genE0ELNS1_11target_archE4294967295ELNS1_3gpuE0ELNS1_3repE0EEENS1_30default_config_static_selectorELNS0_4arch9wavefront6targetE0EEEvT1_.private_seg_size, 0
	.set _ZN7rocprim17ROCPRIM_400000_NS6detail17trampoline_kernelINS0_14default_configENS1_25partition_config_selectorILNS1_17partition_subalgoE9EllbEEZZNS1_14partition_implILS5_9ELb0ES3_jPlS8_PNS0_10empty_typeENS0_5tupleIJS8_S9_EEENSB_IJS8_SA_EEENS0_18inequality_wrapperIZN2at6native12_GLOBAL__N_124unique_dim_cuda_templateIhEESt5tupleIJNSF_6TensorESK_SK_EERKSK_lbbbEUlllE0_EEPmJS9_EEE10hipError_tPvRmT3_T4_T5_T6_T7_T9_mT8_P12ihipStream_tbDpT10_ENKUlT_T0_E_clISt17integral_constantIbLb0EES1A_EEDaS15_S16_EUlS15_E_NS1_11comp_targetILNS1_3genE0ELNS1_11target_archE4294967295ELNS1_3gpuE0ELNS1_3repE0EEENS1_30default_config_static_selectorELNS0_4arch9wavefront6targetE0EEEvT1_.uses_vcc, 1
	.set _ZN7rocprim17ROCPRIM_400000_NS6detail17trampoline_kernelINS0_14default_configENS1_25partition_config_selectorILNS1_17partition_subalgoE9EllbEEZZNS1_14partition_implILS5_9ELb0ES3_jPlS8_PNS0_10empty_typeENS0_5tupleIJS8_S9_EEENSB_IJS8_SA_EEENS0_18inequality_wrapperIZN2at6native12_GLOBAL__N_124unique_dim_cuda_templateIhEESt5tupleIJNSF_6TensorESK_SK_EERKSK_lbbbEUlllE0_EEPmJS9_EEE10hipError_tPvRmT3_T4_T5_T6_T7_T9_mT8_P12ihipStream_tbDpT10_ENKUlT_T0_E_clISt17integral_constantIbLb0EES1A_EEDaS15_S16_EUlS15_E_NS1_11comp_targetILNS1_3genE0ELNS1_11target_archE4294967295ELNS1_3gpuE0ELNS1_3repE0EEENS1_30default_config_static_selectorELNS0_4arch9wavefront6targetE0EEEvT1_.uses_flat_scratch, 0
	.set _ZN7rocprim17ROCPRIM_400000_NS6detail17trampoline_kernelINS0_14default_configENS1_25partition_config_selectorILNS1_17partition_subalgoE9EllbEEZZNS1_14partition_implILS5_9ELb0ES3_jPlS8_PNS0_10empty_typeENS0_5tupleIJS8_S9_EEENSB_IJS8_SA_EEENS0_18inequality_wrapperIZN2at6native12_GLOBAL__N_124unique_dim_cuda_templateIhEESt5tupleIJNSF_6TensorESK_SK_EERKSK_lbbbEUlllE0_EEPmJS9_EEE10hipError_tPvRmT3_T4_T5_T6_T7_T9_mT8_P12ihipStream_tbDpT10_ENKUlT_T0_E_clISt17integral_constantIbLb0EES1A_EEDaS15_S16_EUlS15_E_NS1_11comp_targetILNS1_3genE0ELNS1_11target_archE4294967295ELNS1_3gpuE0ELNS1_3repE0EEENS1_30default_config_static_selectorELNS0_4arch9wavefront6targetE0EEEvT1_.has_dyn_sized_stack, 0
	.set _ZN7rocprim17ROCPRIM_400000_NS6detail17trampoline_kernelINS0_14default_configENS1_25partition_config_selectorILNS1_17partition_subalgoE9EllbEEZZNS1_14partition_implILS5_9ELb0ES3_jPlS8_PNS0_10empty_typeENS0_5tupleIJS8_S9_EEENSB_IJS8_SA_EEENS0_18inequality_wrapperIZN2at6native12_GLOBAL__N_124unique_dim_cuda_templateIhEESt5tupleIJNSF_6TensorESK_SK_EERKSK_lbbbEUlllE0_EEPmJS9_EEE10hipError_tPvRmT3_T4_T5_T6_T7_T9_mT8_P12ihipStream_tbDpT10_ENKUlT_T0_E_clISt17integral_constantIbLb0EES1A_EEDaS15_S16_EUlS15_E_NS1_11comp_targetILNS1_3genE0ELNS1_11target_archE4294967295ELNS1_3gpuE0ELNS1_3repE0EEENS1_30default_config_static_selectorELNS0_4arch9wavefront6targetE0EEEvT1_.has_recursion, 0
	.set _ZN7rocprim17ROCPRIM_400000_NS6detail17trampoline_kernelINS0_14default_configENS1_25partition_config_selectorILNS1_17partition_subalgoE9EllbEEZZNS1_14partition_implILS5_9ELb0ES3_jPlS8_PNS0_10empty_typeENS0_5tupleIJS8_S9_EEENSB_IJS8_SA_EEENS0_18inequality_wrapperIZN2at6native12_GLOBAL__N_124unique_dim_cuda_templateIhEESt5tupleIJNSF_6TensorESK_SK_EERKSK_lbbbEUlllE0_EEPmJS9_EEE10hipError_tPvRmT3_T4_T5_T6_T7_T9_mT8_P12ihipStream_tbDpT10_ENKUlT_T0_E_clISt17integral_constantIbLb0EES1A_EEDaS15_S16_EUlS15_E_NS1_11comp_targetILNS1_3genE0ELNS1_11target_archE4294967295ELNS1_3gpuE0ELNS1_3repE0EEENS1_30default_config_static_selectorELNS0_4arch9wavefront6targetE0EEEvT1_.has_indirect_call, 0
	.section	.AMDGPU.csdata,"",@progbits
; Kernel info:
; codeLenInByte = 9904
; TotalNumSgprs: 34
; NumVgprs: 56
; ScratchSize: 0
; MemoryBound: 0
; FloatMode: 240
; IeeeMode: 1
; LDSByteSize: 5128 bytes/workgroup (compile time only)
; SGPRBlocks: 0
; VGPRBlocks: 3
; NumSGPRsForWavesPerEU: 34
; NumVGPRsForWavesPerEU: 56
; NamedBarCnt: 0
; Occupancy: 16
; WaveLimiterHint : 1
; COMPUTE_PGM_RSRC2:SCRATCH_EN: 0
; COMPUTE_PGM_RSRC2:USER_SGPR: 2
; COMPUTE_PGM_RSRC2:TRAP_HANDLER: 0
; COMPUTE_PGM_RSRC2:TGID_X_EN: 1
; COMPUTE_PGM_RSRC2:TGID_Y_EN: 0
; COMPUTE_PGM_RSRC2:TGID_Z_EN: 0
; COMPUTE_PGM_RSRC2:TIDIG_COMP_CNT: 0
	.section	.text._ZN7rocprim17ROCPRIM_400000_NS6detail17trampoline_kernelINS0_14default_configENS1_25partition_config_selectorILNS1_17partition_subalgoE9EllbEEZZNS1_14partition_implILS5_9ELb0ES3_jPlS8_PNS0_10empty_typeENS0_5tupleIJS8_S9_EEENSB_IJS8_SA_EEENS0_18inequality_wrapperIZN2at6native12_GLOBAL__N_124unique_dim_cuda_templateIhEESt5tupleIJNSF_6TensorESK_SK_EERKSK_lbbbEUlllE0_EEPmJS9_EEE10hipError_tPvRmT3_T4_T5_T6_T7_T9_mT8_P12ihipStream_tbDpT10_ENKUlT_T0_E_clISt17integral_constantIbLb0EES1A_EEDaS15_S16_EUlS15_E_NS1_11comp_targetILNS1_3genE5ELNS1_11target_archE942ELNS1_3gpuE9ELNS1_3repE0EEENS1_30default_config_static_selectorELNS0_4arch9wavefront6targetE0EEEvT1_,"axG",@progbits,_ZN7rocprim17ROCPRIM_400000_NS6detail17trampoline_kernelINS0_14default_configENS1_25partition_config_selectorILNS1_17partition_subalgoE9EllbEEZZNS1_14partition_implILS5_9ELb0ES3_jPlS8_PNS0_10empty_typeENS0_5tupleIJS8_S9_EEENSB_IJS8_SA_EEENS0_18inequality_wrapperIZN2at6native12_GLOBAL__N_124unique_dim_cuda_templateIhEESt5tupleIJNSF_6TensorESK_SK_EERKSK_lbbbEUlllE0_EEPmJS9_EEE10hipError_tPvRmT3_T4_T5_T6_T7_T9_mT8_P12ihipStream_tbDpT10_ENKUlT_T0_E_clISt17integral_constantIbLb0EES1A_EEDaS15_S16_EUlS15_E_NS1_11comp_targetILNS1_3genE5ELNS1_11target_archE942ELNS1_3gpuE9ELNS1_3repE0EEENS1_30default_config_static_selectorELNS0_4arch9wavefront6targetE0EEEvT1_,comdat
	.globl	_ZN7rocprim17ROCPRIM_400000_NS6detail17trampoline_kernelINS0_14default_configENS1_25partition_config_selectorILNS1_17partition_subalgoE9EllbEEZZNS1_14partition_implILS5_9ELb0ES3_jPlS8_PNS0_10empty_typeENS0_5tupleIJS8_S9_EEENSB_IJS8_SA_EEENS0_18inequality_wrapperIZN2at6native12_GLOBAL__N_124unique_dim_cuda_templateIhEESt5tupleIJNSF_6TensorESK_SK_EERKSK_lbbbEUlllE0_EEPmJS9_EEE10hipError_tPvRmT3_T4_T5_T6_T7_T9_mT8_P12ihipStream_tbDpT10_ENKUlT_T0_E_clISt17integral_constantIbLb0EES1A_EEDaS15_S16_EUlS15_E_NS1_11comp_targetILNS1_3genE5ELNS1_11target_archE942ELNS1_3gpuE9ELNS1_3repE0EEENS1_30default_config_static_selectorELNS0_4arch9wavefront6targetE0EEEvT1_ ; -- Begin function _ZN7rocprim17ROCPRIM_400000_NS6detail17trampoline_kernelINS0_14default_configENS1_25partition_config_selectorILNS1_17partition_subalgoE9EllbEEZZNS1_14partition_implILS5_9ELb0ES3_jPlS8_PNS0_10empty_typeENS0_5tupleIJS8_S9_EEENSB_IJS8_SA_EEENS0_18inequality_wrapperIZN2at6native12_GLOBAL__N_124unique_dim_cuda_templateIhEESt5tupleIJNSF_6TensorESK_SK_EERKSK_lbbbEUlllE0_EEPmJS9_EEE10hipError_tPvRmT3_T4_T5_T6_T7_T9_mT8_P12ihipStream_tbDpT10_ENKUlT_T0_E_clISt17integral_constantIbLb0EES1A_EEDaS15_S16_EUlS15_E_NS1_11comp_targetILNS1_3genE5ELNS1_11target_archE942ELNS1_3gpuE9ELNS1_3repE0EEENS1_30default_config_static_selectorELNS0_4arch9wavefront6targetE0EEEvT1_
	.p2align	8
	.type	_ZN7rocprim17ROCPRIM_400000_NS6detail17trampoline_kernelINS0_14default_configENS1_25partition_config_selectorILNS1_17partition_subalgoE9EllbEEZZNS1_14partition_implILS5_9ELb0ES3_jPlS8_PNS0_10empty_typeENS0_5tupleIJS8_S9_EEENSB_IJS8_SA_EEENS0_18inequality_wrapperIZN2at6native12_GLOBAL__N_124unique_dim_cuda_templateIhEESt5tupleIJNSF_6TensorESK_SK_EERKSK_lbbbEUlllE0_EEPmJS9_EEE10hipError_tPvRmT3_T4_T5_T6_T7_T9_mT8_P12ihipStream_tbDpT10_ENKUlT_T0_E_clISt17integral_constantIbLb0EES1A_EEDaS15_S16_EUlS15_E_NS1_11comp_targetILNS1_3genE5ELNS1_11target_archE942ELNS1_3gpuE9ELNS1_3repE0EEENS1_30default_config_static_selectorELNS0_4arch9wavefront6targetE0EEEvT1_,@function
_ZN7rocprim17ROCPRIM_400000_NS6detail17trampoline_kernelINS0_14default_configENS1_25partition_config_selectorILNS1_17partition_subalgoE9EllbEEZZNS1_14partition_implILS5_9ELb0ES3_jPlS8_PNS0_10empty_typeENS0_5tupleIJS8_S9_EEENSB_IJS8_SA_EEENS0_18inequality_wrapperIZN2at6native12_GLOBAL__N_124unique_dim_cuda_templateIhEESt5tupleIJNSF_6TensorESK_SK_EERKSK_lbbbEUlllE0_EEPmJS9_EEE10hipError_tPvRmT3_T4_T5_T6_T7_T9_mT8_P12ihipStream_tbDpT10_ENKUlT_T0_E_clISt17integral_constantIbLb0EES1A_EEDaS15_S16_EUlS15_E_NS1_11comp_targetILNS1_3genE5ELNS1_11target_archE942ELNS1_3gpuE9ELNS1_3repE0EEENS1_30default_config_static_selectorELNS0_4arch9wavefront6targetE0EEEvT1_: ; @_ZN7rocprim17ROCPRIM_400000_NS6detail17trampoline_kernelINS0_14default_configENS1_25partition_config_selectorILNS1_17partition_subalgoE9EllbEEZZNS1_14partition_implILS5_9ELb0ES3_jPlS8_PNS0_10empty_typeENS0_5tupleIJS8_S9_EEENSB_IJS8_SA_EEENS0_18inequality_wrapperIZN2at6native12_GLOBAL__N_124unique_dim_cuda_templateIhEESt5tupleIJNSF_6TensorESK_SK_EERKSK_lbbbEUlllE0_EEPmJS9_EEE10hipError_tPvRmT3_T4_T5_T6_T7_T9_mT8_P12ihipStream_tbDpT10_ENKUlT_T0_E_clISt17integral_constantIbLb0EES1A_EEDaS15_S16_EUlS15_E_NS1_11comp_targetILNS1_3genE5ELNS1_11target_archE942ELNS1_3gpuE9ELNS1_3repE0EEENS1_30default_config_static_selectorELNS0_4arch9wavefront6targetE0EEEvT1_
; %bb.0:
	.section	.rodata,"a",@progbits
	.p2align	6, 0x0
	.amdhsa_kernel _ZN7rocprim17ROCPRIM_400000_NS6detail17trampoline_kernelINS0_14default_configENS1_25partition_config_selectorILNS1_17partition_subalgoE9EllbEEZZNS1_14partition_implILS5_9ELb0ES3_jPlS8_PNS0_10empty_typeENS0_5tupleIJS8_S9_EEENSB_IJS8_SA_EEENS0_18inequality_wrapperIZN2at6native12_GLOBAL__N_124unique_dim_cuda_templateIhEESt5tupleIJNSF_6TensorESK_SK_EERKSK_lbbbEUlllE0_EEPmJS9_EEE10hipError_tPvRmT3_T4_T5_T6_T7_T9_mT8_P12ihipStream_tbDpT10_ENKUlT_T0_E_clISt17integral_constantIbLb0EES1A_EEDaS15_S16_EUlS15_E_NS1_11comp_targetILNS1_3genE5ELNS1_11target_archE942ELNS1_3gpuE9ELNS1_3repE0EEENS1_30default_config_static_selectorELNS0_4arch9wavefront6targetE0EEEvT1_
		.amdhsa_group_segment_fixed_size 0
		.amdhsa_private_segment_fixed_size 0
		.amdhsa_kernarg_size 120
		.amdhsa_user_sgpr_count 2
		.amdhsa_user_sgpr_dispatch_ptr 0
		.amdhsa_user_sgpr_queue_ptr 0
		.amdhsa_user_sgpr_kernarg_segment_ptr 1
		.amdhsa_user_sgpr_dispatch_id 0
		.amdhsa_user_sgpr_kernarg_preload_length 0
		.amdhsa_user_sgpr_kernarg_preload_offset 0
		.amdhsa_user_sgpr_private_segment_size 0
		.amdhsa_wavefront_size32 1
		.amdhsa_uses_dynamic_stack 0
		.amdhsa_enable_private_segment 0
		.amdhsa_system_sgpr_workgroup_id_x 1
		.amdhsa_system_sgpr_workgroup_id_y 0
		.amdhsa_system_sgpr_workgroup_id_z 0
		.amdhsa_system_sgpr_workgroup_info 0
		.amdhsa_system_vgpr_workitem_id 0
		.amdhsa_next_free_vgpr 1
		.amdhsa_next_free_sgpr 1
		.amdhsa_named_barrier_count 0
		.amdhsa_reserve_vcc 0
		.amdhsa_float_round_mode_32 0
		.amdhsa_float_round_mode_16_64 0
		.amdhsa_float_denorm_mode_32 3
		.amdhsa_float_denorm_mode_16_64 3
		.amdhsa_fp16_overflow 0
		.amdhsa_memory_ordered 1
		.amdhsa_forward_progress 1
		.amdhsa_inst_pref_size 0
		.amdhsa_round_robin_scheduling 0
		.amdhsa_exception_fp_ieee_invalid_op 0
		.amdhsa_exception_fp_denorm_src 0
		.amdhsa_exception_fp_ieee_div_zero 0
		.amdhsa_exception_fp_ieee_overflow 0
		.amdhsa_exception_fp_ieee_underflow 0
		.amdhsa_exception_fp_ieee_inexact 0
		.amdhsa_exception_int_div_zero 0
	.end_amdhsa_kernel
	.section	.text._ZN7rocprim17ROCPRIM_400000_NS6detail17trampoline_kernelINS0_14default_configENS1_25partition_config_selectorILNS1_17partition_subalgoE9EllbEEZZNS1_14partition_implILS5_9ELb0ES3_jPlS8_PNS0_10empty_typeENS0_5tupleIJS8_S9_EEENSB_IJS8_SA_EEENS0_18inequality_wrapperIZN2at6native12_GLOBAL__N_124unique_dim_cuda_templateIhEESt5tupleIJNSF_6TensorESK_SK_EERKSK_lbbbEUlllE0_EEPmJS9_EEE10hipError_tPvRmT3_T4_T5_T6_T7_T9_mT8_P12ihipStream_tbDpT10_ENKUlT_T0_E_clISt17integral_constantIbLb0EES1A_EEDaS15_S16_EUlS15_E_NS1_11comp_targetILNS1_3genE5ELNS1_11target_archE942ELNS1_3gpuE9ELNS1_3repE0EEENS1_30default_config_static_selectorELNS0_4arch9wavefront6targetE0EEEvT1_,"axG",@progbits,_ZN7rocprim17ROCPRIM_400000_NS6detail17trampoline_kernelINS0_14default_configENS1_25partition_config_selectorILNS1_17partition_subalgoE9EllbEEZZNS1_14partition_implILS5_9ELb0ES3_jPlS8_PNS0_10empty_typeENS0_5tupleIJS8_S9_EEENSB_IJS8_SA_EEENS0_18inequality_wrapperIZN2at6native12_GLOBAL__N_124unique_dim_cuda_templateIhEESt5tupleIJNSF_6TensorESK_SK_EERKSK_lbbbEUlllE0_EEPmJS9_EEE10hipError_tPvRmT3_T4_T5_T6_T7_T9_mT8_P12ihipStream_tbDpT10_ENKUlT_T0_E_clISt17integral_constantIbLb0EES1A_EEDaS15_S16_EUlS15_E_NS1_11comp_targetILNS1_3genE5ELNS1_11target_archE942ELNS1_3gpuE9ELNS1_3repE0EEENS1_30default_config_static_selectorELNS0_4arch9wavefront6targetE0EEEvT1_,comdat
.Lfunc_end205:
	.size	_ZN7rocprim17ROCPRIM_400000_NS6detail17trampoline_kernelINS0_14default_configENS1_25partition_config_selectorILNS1_17partition_subalgoE9EllbEEZZNS1_14partition_implILS5_9ELb0ES3_jPlS8_PNS0_10empty_typeENS0_5tupleIJS8_S9_EEENSB_IJS8_SA_EEENS0_18inequality_wrapperIZN2at6native12_GLOBAL__N_124unique_dim_cuda_templateIhEESt5tupleIJNSF_6TensorESK_SK_EERKSK_lbbbEUlllE0_EEPmJS9_EEE10hipError_tPvRmT3_T4_T5_T6_T7_T9_mT8_P12ihipStream_tbDpT10_ENKUlT_T0_E_clISt17integral_constantIbLb0EES1A_EEDaS15_S16_EUlS15_E_NS1_11comp_targetILNS1_3genE5ELNS1_11target_archE942ELNS1_3gpuE9ELNS1_3repE0EEENS1_30default_config_static_selectorELNS0_4arch9wavefront6targetE0EEEvT1_, .Lfunc_end205-_ZN7rocprim17ROCPRIM_400000_NS6detail17trampoline_kernelINS0_14default_configENS1_25partition_config_selectorILNS1_17partition_subalgoE9EllbEEZZNS1_14partition_implILS5_9ELb0ES3_jPlS8_PNS0_10empty_typeENS0_5tupleIJS8_S9_EEENSB_IJS8_SA_EEENS0_18inequality_wrapperIZN2at6native12_GLOBAL__N_124unique_dim_cuda_templateIhEESt5tupleIJNSF_6TensorESK_SK_EERKSK_lbbbEUlllE0_EEPmJS9_EEE10hipError_tPvRmT3_T4_T5_T6_T7_T9_mT8_P12ihipStream_tbDpT10_ENKUlT_T0_E_clISt17integral_constantIbLb0EES1A_EEDaS15_S16_EUlS15_E_NS1_11comp_targetILNS1_3genE5ELNS1_11target_archE942ELNS1_3gpuE9ELNS1_3repE0EEENS1_30default_config_static_selectorELNS0_4arch9wavefront6targetE0EEEvT1_
                                        ; -- End function
	.set _ZN7rocprim17ROCPRIM_400000_NS6detail17trampoline_kernelINS0_14default_configENS1_25partition_config_selectorILNS1_17partition_subalgoE9EllbEEZZNS1_14partition_implILS5_9ELb0ES3_jPlS8_PNS0_10empty_typeENS0_5tupleIJS8_S9_EEENSB_IJS8_SA_EEENS0_18inequality_wrapperIZN2at6native12_GLOBAL__N_124unique_dim_cuda_templateIhEESt5tupleIJNSF_6TensorESK_SK_EERKSK_lbbbEUlllE0_EEPmJS9_EEE10hipError_tPvRmT3_T4_T5_T6_T7_T9_mT8_P12ihipStream_tbDpT10_ENKUlT_T0_E_clISt17integral_constantIbLb0EES1A_EEDaS15_S16_EUlS15_E_NS1_11comp_targetILNS1_3genE5ELNS1_11target_archE942ELNS1_3gpuE9ELNS1_3repE0EEENS1_30default_config_static_selectorELNS0_4arch9wavefront6targetE0EEEvT1_.num_vgpr, 0
	.set _ZN7rocprim17ROCPRIM_400000_NS6detail17trampoline_kernelINS0_14default_configENS1_25partition_config_selectorILNS1_17partition_subalgoE9EllbEEZZNS1_14partition_implILS5_9ELb0ES3_jPlS8_PNS0_10empty_typeENS0_5tupleIJS8_S9_EEENSB_IJS8_SA_EEENS0_18inequality_wrapperIZN2at6native12_GLOBAL__N_124unique_dim_cuda_templateIhEESt5tupleIJNSF_6TensorESK_SK_EERKSK_lbbbEUlllE0_EEPmJS9_EEE10hipError_tPvRmT3_T4_T5_T6_T7_T9_mT8_P12ihipStream_tbDpT10_ENKUlT_T0_E_clISt17integral_constantIbLb0EES1A_EEDaS15_S16_EUlS15_E_NS1_11comp_targetILNS1_3genE5ELNS1_11target_archE942ELNS1_3gpuE9ELNS1_3repE0EEENS1_30default_config_static_selectorELNS0_4arch9wavefront6targetE0EEEvT1_.num_agpr, 0
	.set _ZN7rocprim17ROCPRIM_400000_NS6detail17trampoline_kernelINS0_14default_configENS1_25partition_config_selectorILNS1_17partition_subalgoE9EllbEEZZNS1_14partition_implILS5_9ELb0ES3_jPlS8_PNS0_10empty_typeENS0_5tupleIJS8_S9_EEENSB_IJS8_SA_EEENS0_18inequality_wrapperIZN2at6native12_GLOBAL__N_124unique_dim_cuda_templateIhEESt5tupleIJNSF_6TensorESK_SK_EERKSK_lbbbEUlllE0_EEPmJS9_EEE10hipError_tPvRmT3_T4_T5_T6_T7_T9_mT8_P12ihipStream_tbDpT10_ENKUlT_T0_E_clISt17integral_constantIbLb0EES1A_EEDaS15_S16_EUlS15_E_NS1_11comp_targetILNS1_3genE5ELNS1_11target_archE942ELNS1_3gpuE9ELNS1_3repE0EEENS1_30default_config_static_selectorELNS0_4arch9wavefront6targetE0EEEvT1_.numbered_sgpr, 0
	.set _ZN7rocprim17ROCPRIM_400000_NS6detail17trampoline_kernelINS0_14default_configENS1_25partition_config_selectorILNS1_17partition_subalgoE9EllbEEZZNS1_14partition_implILS5_9ELb0ES3_jPlS8_PNS0_10empty_typeENS0_5tupleIJS8_S9_EEENSB_IJS8_SA_EEENS0_18inequality_wrapperIZN2at6native12_GLOBAL__N_124unique_dim_cuda_templateIhEESt5tupleIJNSF_6TensorESK_SK_EERKSK_lbbbEUlllE0_EEPmJS9_EEE10hipError_tPvRmT3_T4_T5_T6_T7_T9_mT8_P12ihipStream_tbDpT10_ENKUlT_T0_E_clISt17integral_constantIbLb0EES1A_EEDaS15_S16_EUlS15_E_NS1_11comp_targetILNS1_3genE5ELNS1_11target_archE942ELNS1_3gpuE9ELNS1_3repE0EEENS1_30default_config_static_selectorELNS0_4arch9wavefront6targetE0EEEvT1_.num_named_barrier, 0
	.set _ZN7rocprim17ROCPRIM_400000_NS6detail17trampoline_kernelINS0_14default_configENS1_25partition_config_selectorILNS1_17partition_subalgoE9EllbEEZZNS1_14partition_implILS5_9ELb0ES3_jPlS8_PNS0_10empty_typeENS0_5tupleIJS8_S9_EEENSB_IJS8_SA_EEENS0_18inequality_wrapperIZN2at6native12_GLOBAL__N_124unique_dim_cuda_templateIhEESt5tupleIJNSF_6TensorESK_SK_EERKSK_lbbbEUlllE0_EEPmJS9_EEE10hipError_tPvRmT3_T4_T5_T6_T7_T9_mT8_P12ihipStream_tbDpT10_ENKUlT_T0_E_clISt17integral_constantIbLb0EES1A_EEDaS15_S16_EUlS15_E_NS1_11comp_targetILNS1_3genE5ELNS1_11target_archE942ELNS1_3gpuE9ELNS1_3repE0EEENS1_30default_config_static_selectorELNS0_4arch9wavefront6targetE0EEEvT1_.private_seg_size, 0
	.set _ZN7rocprim17ROCPRIM_400000_NS6detail17trampoline_kernelINS0_14default_configENS1_25partition_config_selectorILNS1_17partition_subalgoE9EllbEEZZNS1_14partition_implILS5_9ELb0ES3_jPlS8_PNS0_10empty_typeENS0_5tupleIJS8_S9_EEENSB_IJS8_SA_EEENS0_18inequality_wrapperIZN2at6native12_GLOBAL__N_124unique_dim_cuda_templateIhEESt5tupleIJNSF_6TensorESK_SK_EERKSK_lbbbEUlllE0_EEPmJS9_EEE10hipError_tPvRmT3_T4_T5_T6_T7_T9_mT8_P12ihipStream_tbDpT10_ENKUlT_T0_E_clISt17integral_constantIbLb0EES1A_EEDaS15_S16_EUlS15_E_NS1_11comp_targetILNS1_3genE5ELNS1_11target_archE942ELNS1_3gpuE9ELNS1_3repE0EEENS1_30default_config_static_selectorELNS0_4arch9wavefront6targetE0EEEvT1_.uses_vcc, 0
	.set _ZN7rocprim17ROCPRIM_400000_NS6detail17trampoline_kernelINS0_14default_configENS1_25partition_config_selectorILNS1_17partition_subalgoE9EllbEEZZNS1_14partition_implILS5_9ELb0ES3_jPlS8_PNS0_10empty_typeENS0_5tupleIJS8_S9_EEENSB_IJS8_SA_EEENS0_18inequality_wrapperIZN2at6native12_GLOBAL__N_124unique_dim_cuda_templateIhEESt5tupleIJNSF_6TensorESK_SK_EERKSK_lbbbEUlllE0_EEPmJS9_EEE10hipError_tPvRmT3_T4_T5_T6_T7_T9_mT8_P12ihipStream_tbDpT10_ENKUlT_T0_E_clISt17integral_constantIbLb0EES1A_EEDaS15_S16_EUlS15_E_NS1_11comp_targetILNS1_3genE5ELNS1_11target_archE942ELNS1_3gpuE9ELNS1_3repE0EEENS1_30default_config_static_selectorELNS0_4arch9wavefront6targetE0EEEvT1_.uses_flat_scratch, 0
	.set _ZN7rocprim17ROCPRIM_400000_NS6detail17trampoline_kernelINS0_14default_configENS1_25partition_config_selectorILNS1_17partition_subalgoE9EllbEEZZNS1_14partition_implILS5_9ELb0ES3_jPlS8_PNS0_10empty_typeENS0_5tupleIJS8_S9_EEENSB_IJS8_SA_EEENS0_18inequality_wrapperIZN2at6native12_GLOBAL__N_124unique_dim_cuda_templateIhEESt5tupleIJNSF_6TensorESK_SK_EERKSK_lbbbEUlllE0_EEPmJS9_EEE10hipError_tPvRmT3_T4_T5_T6_T7_T9_mT8_P12ihipStream_tbDpT10_ENKUlT_T0_E_clISt17integral_constantIbLb0EES1A_EEDaS15_S16_EUlS15_E_NS1_11comp_targetILNS1_3genE5ELNS1_11target_archE942ELNS1_3gpuE9ELNS1_3repE0EEENS1_30default_config_static_selectorELNS0_4arch9wavefront6targetE0EEEvT1_.has_dyn_sized_stack, 0
	.set _ZN7rocprim17ROCPRIM_400000_NS6detail17trampoline_kernelINS0_14default_configENS1_25partition_config_selectorILNS1_17partition_subalgoE9EllbEEZZNS1_14partition_implILS5_9ELb0ES3_jPlS8_PNS0_10empty_typeENS0_5tupleIJS8_S9_EEENSB_IJS8_SA_EEENS0_18inequality_wrapperIZN2at6native12_GLOBAL__N_124unique_dim_cuda_templateIhEESt5tupleIJNSF_6TensorESK_SK_EERKSK_lbbbEUlllE0_EEPmJS9_EEE10hipError_tPvRmT3_T4_T5_T6_T7_T9_mT8_P12ihipStream_tbDpT10_ENKUlT_T0_E_clISt17integral_constantIbLb0EES1A_EEDaS15_S16_EUlS15_E_NS1_11comp_targetILNS1_3genE5ELNS1_11target_archE942ELNS1_3gpuE9ELNS1_3repE0EEENS1_30default_config_static_selectorELNS0_4arch9wavefront6targetE0EEEvT1_.has_recursion, 0
	.set _ZN7rocprim17ROCPRIM_400000_NS6detail17trampoline_kernelINS0_14default_configENS1_25partition_config_selectorILNS1_17partition_subalgoE9EllbEEZZNS1_14partition_implILS5_9ELb0ES3_jPlS8_PNS0_10empty_typeENS0_5tupleIJS8_S9_EEENSB_IJS8_SA_EEENS0_18inequality_wrapperIZN2at6native12_GLOBAL__N_124unique_dim_cuda_templateIhEESt5tupleIJNSF_6TensorESK_SK_EERKSK_lbbbEUlllE0_EEPmJS9_EEE10hipError_tPvRmT3_T4_T5_T6_T7_T9_mT8_P12ihipStream_tbDpT10_ENKUlT_T0_E_clISt17integral_constantIbLb0EES1A_EEDaS15_S16_EUlS15_E_NS1_11comp_targetILNS1_3genE5ELNS1_11target_archE942ELNS1_3gpuE9ELNS1_3repE0EEENS1_30default_config_static_selectorELNS0_4arch9wavefront6targetE0EEEvT1_.has_indirect_call, 0
	.section	.AMDGPU.csdata,"",@progbits
; Kernel info:
; codeLenInByte = 0
; TotalNumSgprs: 0
; NumVgprs: 0
; ScratchSize: 0
; MemoryBound: 0
; FloatMode: 240
; IeeeMode: 1
; LDSByteSize: 0 bytes/workgroup (compile time only)
; SGPRBlocks: 0
; VGPRBlocks: 0
; NumSGPRsForWavesPerEU: 1
; NumVGPRsForWavesPerEU: 1
; NamedBarCnt: 0
; Occupancy: 16
; WaveLimiterHint : 0
; COMPUTE_PGM_RSRC2:SCRATCH_EN: 0
; COMPUTE_PGM_RSRC2:USER_SGPR: 2
; COMPUTE_PGM_RSRC2:TRAP_HANDLER: 0
; COMPUTE_PGM_RSRC2:TGID_X_EN: 1
; COMPUTE_PGM_RSRC2:TGID_Y_EN: 0
; COMPUTE_PGM_RSRC2:TGID_Z_EN: 0
; COMPUTE_PGM_RSRC2:TIDIG_COMP_CNT: 0
	.section	.text._ZN7rocprim17ROCPRIM_400000_NS6detail17trampoline_kernelINS0_14default_configENS1_25partition_config_selectorILNS1_17partition_subalgoE9EllbEEZZNS1_14partition_implILS5_9ELb0ES3_jPlS8_PNS0_10empty_typeENS0_5tupleIJS8_S9_EEENSB_IJS8_SA_EEENS0_18inequality_wrapperIZN2at6native12_GLOBAL__N_124unique_dim_cuda_templateIhEESt5tupleIJNSF_6TensorESK_SK_EERKSK_lbbbEUlllE0_EEPmJS9_EEE10hipError_tPvRmT3_T4_T5_T6_T7_T9_mT8_P12ihipStream_tbDpT10_ENKUlT_T0_E_clISt17integral_constantIbLb0EES1A_EEDaS15_S16_EUlS15_E_NS1_11comp_targetILNS1_3genE4ELNS1_11target_archE910ELNS1_3gpuE8ELNS1_3repE0EEENS1_30default_config_static_selectorELNS0_4arch9wavefront6targetE0EEEvT1_,"axG",@progbits,_ZN7rocprim17ROCPRIM_400000_NS6detail17trampoline_kernelINS0_14default_configENS1_25partition_config_selectorILNS1_17partition_subalgoE9EllbEEZZNS1_14partition_implILS5_9ELb0ES3_jPlS8_PNS0_10empty_typeENS0_5tupleIJS8_S9_EEENSB_IJS8_SA_EEENS0_18inequality_wrapperIZN2at6native12_GLOBAL__N_124unique_dim_cuda_templateIhEESt5tupleIJNSF_6TensorESK_SK_EERKSK_lbbbEUlllE0_EEPmJS9_EEE10hipError_tPvRmT3_T4_T5_T6_T7_T9_mT8_P12ihipStream_tbDpT10_ENKUlT_T0_E_clISt17integral_constantIbLb0EES1A_EEDaS15_S16_EUlS15_E_NS1_11comp_targetILNS1_3genE4ELNS1_11target_archE910ELNS1_3gpuE8ELNS1_3repE0EEENS1_30default_config_static_selectorELNS0_4arch9wavefront6targetE0EEEvT1_,comdat
	.globl	_ZN7rocprim17ROCPRIM_400000_NS6detail17trampoline_kernelINS0_14default_configENS1_25partition_config_selectorILNS1_17partition_subalgoE9EllbEEZZNS1_14partition_implILS5_9ELb0ES3_jPlS8_PNS0_10empty_typeENS0_5tupleIJS8_S9_EEENSB_IJS8_SA_EEENS0_18inequality_wrapperIZN2at6native12_GLOBAL__N_124unique_dim_cuda_templateIhEESt5tupleIJNSF_6TensorESK_SK_EERKSK_lbbbEUlllE0_EEPmJS9_EEE10hipError_tPvRmT3_T4_T5_T6_T7_T9_mT8_P12ihipStream_tbDpT10_ENKUlT_T0_E_clISt17integral_constantIbLb0EES1A_EEDaS15_S16_EUlS15_E_NS1_11comp_targetILNS1_3genE4ELNS1_11target_archE910ELNS1_3gpuE8ELNS1_3repE0EEENS1_30default_config_static_selectorELNS0_4arch9wavefront6targetE0EEEvT1_ ; -- Begin function _ZN7rocprim17ROCPRIM_400000_NS6detail17trampoline_kernelINS0_14default_configENS1_25partition_config_selectorILNS1_17partition_subalgoE9EllbEEZZNS1_14partition_implILS5_9ELb0ES3_jPlS8_PNS0_10empty_typeENS0_5tupleIJS8_S9_EEENSB_IJS8_SA_EEENS0_18inequality_wrapperIZN2at6native12_GLOBAL__N_124unique_dim_cuda_templateIhEESt5tupleIJNSF_6TensorESK_SK_EERKSK_lbbbEUlllE0_EEPmJS9_EEE10hipError_tPvRmT3_T4_T5_T6_T7_T9_mT8_P12ihipStream_tbDpT10_ENKUlT_T0_E_clISt17integral_constantIbLb0EES1A_EEDaS15_S16_EUlS15_E_NS1_11comp_targetILNS1_3genE4ELNS1_11target_archE910ELNS1_3gpuE8ELNS1_3repE0EEENS1_30default_config_static_selectorELNS0_4arch9wavefront6targetE0EEEvT1_
	.p2align	8
	.type	_ZN7rocprim17ROCPRIM_400000_NS6detail17trampoline_kernelINS0_14default_configENS1_25partition_config_selectorILNS1_17partition_subalgoE9EllbEEZZNS1_14partition_implILS5_9ELb0ES3_jPlS8_PNS0_10empty_typeENS0_5tupleIJS8_S9_EEENSB_IJS8_SA_EEENS0_18inequality_wrapperIZN2at6native12_GLOBAL__N_124unique_dim_cuda_templateIhEESt5tupleIJNSF_6TensorESK_SK_EERKSK_lbbbEUlllE0_EEPmJS9_EEE10hipError_tPvRmT3_T4_T5_T6_T7_T9_mT8_P12ihipStream_tbDpT10_ENKUlT_T0_E_clISt17integral_constantIbLb0EES1A_EEDaS15_S16_EUlS15_E_NS1_11comp_targetILNS1_3genE4ELNS1_11target_archE910ELNS1_3gpuE8ELNS1_3repE0EEENS1_30default_config_static_selectorELNS0_4arch9wavefront6targetE0EEEvT1_,@function
_ZN7rocprim17ROCPRIM_400000_NS6detail17trampoline_kernelINS0_14default_configENS1_25partition_config_selectorILNS1_17partition_subalgoE9EllbEEZZNS1_14partition_implILS5_9ELb0ES3_jPlS8_PNS0_10empty_typeENS0_5tupleIJS8_S9_EEENSB_IJS8_SA_EEENS0_18inequality_wrapperIZN2at6native12_GLOBAL__N_124unique_dim_cuda_templateIhEESt5tupleIJNSF_6TensorESK_SK_EERKSK_lbbbEUlllE0_EEPmJS9_EEE10hipError_tPvRmT3_T4_T5_T6_T7_T9_mT8_P12ihipStream_tbDpT10_ENKUlT_T0_E_clISt17integral_constantIbLb0EES1A_EEDaS15_S16_EUlS15_E_NS1_11comp_targetILNS1_3genE4ELNS1_11target_archE910ELNS1_3gpuE8ELNS1_3repE0EEENS1_30default_config_static_selectorELNS0_4arch9wavefront6targetE0EEEvT1_: ; @_ZN7rocprim17ROCPRIM_400000_NS6detail17trampoline_kernelINS0_14default_configENS1_25partition_config_selectorILNS1_17partition_subalgoE9EllbEEZZNS1_14partition_implILS5_9ELb0ES3_jPlS8_PNS0_10empty_typeENS0_5tupleIJS8_S9_EEENSB_IJS8_SA_EEENS0_18inequality_wrapperIZN2at6native12_GLOBAL__N_124unique_dim_cuda_templateIhEESt5tupleIJNSF_6TensorESK_SK_EERKSK_lbbbEUlllE0_EEPmJS9_EEE10hipError_tPvRmT3_T4_T5_T6_T7_T9_mT8_P12ihipStream_tbDpT10_ENKUlT_T0_E_clISt17integral_constantIbLb0EES1A_EEDaS15_S16_EUlS15_E_NS1_11comp_targetILNS1_3genE4ELNS1_11target_archE910ELNS1_3gpuE8ELNS1_3repE0EEENS1_30default_config_static_selectorELNS0_4arch9wavefront6targetE0EEEvT1_
; %bb.0:
	.section	.rodata,"a",@progbits
	.p2align	6, 0x0
	.amdhsa_kernel _ZN7rocprim17ROCPRIM_400000_NS6detail17trampoline_kernelINS0_14default_configENS1_25partition_config_selectorILNS1_17partition_subalgoE9EllbEEZZNS1_14partition_implILS5_9ELb0ES3_jPlS8_PNS0_10empty_typeENS0_5tupleIJS8_S9_EEENSB_IJS8_SA_EEENS0_18inequality_wrapperIZN2at6native12_GLOBAL__N_124unique_dim_cuda_templateIhEESt5tupleIJNSF_6TensorESK_SK_EERKSK_lbbbEUlllE0_EEPmJS9_EEE10hipError_tPvRmT3_T4_T5_T6_T7_T9_mT8_P12ihipStream_tbDpT10_ENKUlT_T0_E_clISt17integral_constantIbLb0EES1A_EEDaS15_S16_EUlS15_E_NS1_11comp_targetILNS1_3genE4ELNS1_11target_archE910ELNS1_3gpuE8ELNS1_3repE0EEENS1_30default_config_static_selectorELNS0_4arch9wavefront6targetE0EEEvT1_
		.amdhsa_group_segment_fixed_size 0
		.amdhsa_private_segment_fixed_size 0
		.amdhsa_kernarg_size 120
		.amdhsa_user_sgpr_count 2
		.amdhsa_user_sgpr_dispatch_ptr 0
		.amdhsa_user_sgpr_queue_ptr 0
		.amdhsa_user_sgpr_kernarg_segment_ptr 1
		.amdhsa_user_sgpr_dispatch_id 0
		.amdhsa_user_sgpr_kernarg_preload_length 0
		.amdhsa_user_sgpr_kernarg_preload_offset 0
		.amdhsa_user_sgpr_private_segment_size 0
		.amdhsa_wavefront_size32 1
		.amdhsa_uses_dynamic_stack 0
		.amdhsa_enable_private_segment 0
		.amdhsa_system_sgpr_workgroup_id_x 1
		.amdhsa_system_sgpr_workgroup_id_y 0
		.amdhsa_system_sgpr_workgroup_id_z 0
		.amdhsa_system_sgpr_workgroup_info 0
		.amdhsa_system_vgpr_workitem_id 0
		.amdhsa_next_free_vgpr 1
		.amdhsa_next_free_sgpr 1
		.amdhsa_named_barrier_count 0
		.amdhsa_reserve_vcc 0
		.amdhsa_float_round_mode_32 0
		.amdhsa_float_round_mode_16_64 0
		.amdhsa_float_denorm_mode_32 3
		.amdhsa_float_denorm_mode_16_64 3
		.amdhsa_fp16_overflow 0
		.amdhsa_memory_ordered 1
		.amdhsa_forward_progress 1
		.amdhsa_inst_pref_size 0
		.amdhsa_round_robin_scheduling 0
		.amdhsa_exception_fp_ieee_invalid_op 0
		.amdhsa_exception_fp_denorm_src 0
		.amdhsa_exception_fp_ieee_div_zero 0
		.amdhsa_exception_fp_ieee_overflow 0
		.amdhsa_exception_fp_ieee_underflow 0
		.amdhsa_exception_fp_ieee_inexact 0
		.amdhsa_exception_int_div_zero 0
	.end_amdhsa_kernel
	.section	.text._ZN7rocprim17ROCPRIM_400000_NS6detail17trampoline_kernelINS0_14default_configENS1_25partition_config_selectorILNS1_17partition_subalgoE9EllbEEZZNS1_14partition_implILS5_9ELb0ES3_jPlS8_PNS0_10empty_typeENS0_5tupleIJS8_S9_EEENSB_IJS8_SA_EEENS0_18inequality_wrapperIZN2at6native12_GLOBAL__N_124unique_dim_cuda_templateIhEESt5tupleIJNSF_6TensorESK_SK_EERKSK_lbbbEUlllE0_EEPmJS9_EEE10hipError_tPvRmT3_T4_T5_T6_T7_T9_mT8_P12ihipStream_tbDpT10_ENKUlT_T0_E_clISt17integral_constantIbLb0EES1A_EEDaS15_S16_EUlS15_E_NS1_11comp_targetILNS1_3genE4ELNS1_11target_archE910ELNS1_3gpuE8ELNS1_3repE0EEENS1_30default_config_static_selectorELNS0_4arch9wavefront6targetE0EEEvT1_,"axG",@progbits,_ZN7rocprim17ROCPRIM_400000_NS6detail17trampoline_kernelINS0_14default_configENS1_25partition_config_selectorILNS1_17partition_subalgoE9EllbEEZZNS1_14partition_implILS5_9ELb0ES3_jPlS8_PNS0_10empty_typeENS0_5tupleIJS8_S9_EEENSB_IJS8_SA_EEENS0_18inequality_wrapperIZN2at6native12_GLOBAL__N_124unique_dim_cuda_templateIhEESt5tupleIJNSF_6TensorESK_SK_EERKSK_lbbbEUlllE0_EEPmJS9_EEE10hipError_tPvRmT3_T4_T5_T6_T7_T9_mT8_P12ihipStream_tbDpT10_ENKUlT_T0_E_clISt17integral_constantIbLb0EES1A_EEDaS15_S16_EUlS15_E_NS1_11comp_targetILNS1_3genE4ELNS1_11target_archE910ELNS1_3gpuE8ELNS1_3repE0EEENS1_30default_config_static_selectorELNS0_4arch9wavefront6targetE0EEEvT1_,comdat
.Lfunc_end206:
	.size	_ZN7rocprim17ROCPRIM_400000_NS6detail17trampoline_kernelINS0_14default_configENS1_25partition_config_selectorILNS1_17partition_subalgoE9EllbEEZZNS1_14partition_implILS5_9ELb0ES3_jPlS8_PNS0_10empty_typeENS0_5tupleIJS8_S9_EEENSB_IJS8_SA_EEENS0_18inequality_wrapperIZN2at6native12_GLOBAL__N_124unique_dim_cuda_templateIhEESt5tupleIJNSF_6TensorESK_SK_EERKSK_lbbbEUlllE0_EEPmJS9_EEE10hipError_tPvRmT3_T4_T5_T6_T7_T9_mT8_P12ihipStream_tbDpT10_ENKUlT_T0_E_clISt17integral_constantIbLb0EES1A_EEDaS15_S16_EUlS15_E_NS1_11comp_targetILNS1_3genE4ELNS1_11target_archE910ELNS1_3gpuE8ELNS1_3repE0EEENS1_30default_config_static_selectorELNS0_4arch9wavefront6targetE0EEEvT1_, .Lfunc_end206-_ZN7rocprim17ROCPRIM_400000_NS6detail17trampoline_kernelINS0_14default_configENS1_25partition_config_selectorILNS1_17partition_subalgoE9EllbEEZZNS1_14partition_implILS5_9ELb0ES3_jPlS8_PNS0_10empty_typeENS0_5tupleIJS8_S9_EEENSB_IJS8_SA_EEENS0_18inequality_wrapperIZN2at6native12_GLOBAL__N_124unique_dim_cuda_templateIhEESt5tupleIJNSF_6TensorESK_SK_EERKSK_lbbbEUlllE0_EEPmJS9_EEE10hipError_tPvRmT3_T4_T5_T6_T7_T9_mT8_P12ihipStream_tbDpT10_ENKUlT_T0_E_clISt17integral_constantIbLb0EES1A_EEDaS15_S16_EUlS15_E_NS1_11comp_targetILNS1_3genE4ELNS1_11target_archE910ELNS1_3gpuE8ELNS1_3repE0EEENS1_30default_config_static_selectorELNS0_4arch9wavefront6targetE0EEEvT1_
                                        ; -- End function
	.set _ZN7rocprim17ROCPRIM_400000_NS6detail17trampoline_kernelINS0_14default_configENS1_25partition_config_selectorILNS1_17partition_subalgoE9EllbEEZZNS1_14partition_implILS5_9ELb0ES3_jPlS8_PNS0_10empty_typeENS0_5tupleIJS8_S9_EEENSB_IJS8_SA_EEENS0_18inequality_wrapperIZN2at6native12_GLOBAL__N_124unique_dim_cuda_templateIhEESt5tupleIJNSF_6TensorESK_SK_EERKSK_lbbbEUlllE0_EEPmJS9_EEE10hipError_tPvRmT3_T4_T5_T6_T7_T9_mT8_P12ihipStream_tbDpT10_ENKUlT_T0_E_clISt17integral_constantIbLb0EES1A_EEDaS15_S16_EUlS15_E_NS1_11comp_targetILNS1_3genE4ELNS1_11target_archE910ELNS1_3gpuE8ELNS1_3repE0EEENS1_30default_config_static_selectorELNS0_4arch9wavefront6targetE0EEEvT1_.num_vgpr, 0
	.set _ZN7rocprim17ROCPRIM_400000_NS6detail17trampoline_kernelINS0_14default_configENS1_25partition_config_selectorILNS1_17partition_subalgoE9EllbEEZZNS1_14partition_implILS5_9ELb0ES3_jPlS8_PNS0_10empty_typeENS0_5tupleIJS8_S9_EEENSB_IJS8_SA_EEENS0_18inequality_wrapperIZN2at6native12_GLOBAL__N_124unique_dim_cuda_templateIhEESt5tupleIJNSF_6TensorESK_SK_EERKSK_lbbbEUlllE0_EEPmJS9_EEE10hipError_tPvRmT3_T4_T5_T6_T7_T9_mT8_P12ihipStream_tbDpT10_ENKUlT_T0_E_clISt17integral_constantIbLb0EES1A_EEDaS15_S16_EUlS15_E_NS1_11comp_targetILNS1_3genE4ELNS1_11target_archE910ELNS1_3gpuE8ELNS1_3repE0EEENS1_30default_config_static_selectorELNS0_4arch9wavefront6targetE0EEEvT1_.num_agpr, 0
	.set _ZN7rocprim17ROCPRIM_400000_NS6detail17trampoline_kernelINS0_14default_configENS1_25partition_config_selectorILNS1_17partition_subalgoE9EllbEEZZNS1_14partition_implILS5_9ELb0ES3_jPlS8_PNS0_10empty_typeENS0_5tupleIJS8_S9_EEENSB_IJS8_SA_EEENS0_18inequality_wrapperIZN2at6native12_GLOBAL__N_124unique_dim_cuda_templateIhEESt5tupleIJNSF_6TensorESK_SK_EERKSK_lbbbEUlllE0_EEPmJS9_EEE10hipError_tPvRmT3_T4_T5_T6_T7_T9_mT8_P12ihipStream_tbDpT10_ENKUlT_T0_E_clISt17integral_constantIbLb0EES1A_EEDaS15_S16_EUlS15_E_NS1_11comp_targetILNS1_3genE4ELNS1_11target_archE910ELNS1_3gpuE8ELNS1_3repE0EEENS1_30default_config_static_selectorELNS0_4arch9wavefront6targetE0EEEvT1_.numbered_sgpr, 0
	.set _ZN7rocprim17ROCPRIM_400000_NS6detail17trampoline_kernelINS0_14default_configENS1_25partition_config_selectorILNS1_17partition_subalgoE9EllbEEZZNS1_14partition_implILS5_9ELb0ES3_jPlS8_PNS0_10empty_typeENS0_5tupleIJS8_S9_EEENSB_IJS8_SA_EEENS0_18inequality_wrapperIZN2at6native12_GLOBAL__N_124unique_dim_cuda_templateIhEESt5tupleIJNSF_6TensorESK_SK_EERKSK_lbbbEUlllE0_EEPmJS9_EEE10hipError_tPvRmT3_T4_T5_T6_T7_T9_mT8_P12ihipStream_tbDpT10_ENKUlT_T0_E_clISt17integral_constantIbLb0EES1A_EEDaS15_S16_EUlS15_E_NS1_11comp_targetILNS1_3genE4ELNS1_11target_archE910ELNS1_3gpuE8ELNS1_3repE0EEENS1_30default_config_static_selectorELNS0_4arch9wavefront6targetE0EEEvT1_.num_named_barrier, 0
	.set _ZN7rocprim17ROCPRIM_400000_NS6detail17trampoline_kernelINS0_14default_configENS1_25partition_config_selectorILNS1_17partition_subalgoE9EllbEEZZNS1_14partition_implILS5_9ELb0ES3_jPlS8_PNS0_10empty_typeENS0_5tupleIJS8_S9_EEENSB_IJS8_SA_EEENS0_18inequality_wrapperIZN2at6native12_GLOBAL__N_124unique_dim_cuda_templateIhEESt5tupleIJNSF_6TensorESK_SK_EERKSK_lbbbEUlllE0_EEPmJS9_EEE10hipError_tPvRmT3_T4_T5_T6_T7_T9_mT8_P12ihipStream_tbDpT10_ENKUlT_T0_E_clISt17integral_constantIbLb0EES1A_EEDaS15_S16_EUlS15_E_NS1_11comp_targetILNS1_3genE4ELNS1_11target_archE910ELNS1_3gpuE8ELNS1_3repE0EEENS1_30default_config_static_selectorELNS0_4arch9wavefront6targetE0EEEvT1_.private_seg_size, 0
	.set _ZN7rocprim17ROCPRIM_400000_NS6detail17trampoline_kernelINS0_14default_configENS1_25partition_config_selectorILNS1_17partition_subalgoE9EllbEEZZNS1_14partition_implILS5_9ELb0ES3_jPlS8_PNS0_10empty_typeENS0_5tupleIJS8_S9_EEENSB_IJS8_SA_EEENS0_18inequality_wrapperIZN2at6native12_GLOBAL__N_124unique_dim_cuda_templateIhEESt5tupleIJNSF_6TensorESK_SK_EERKSK_lbbbEUlllE0_EEPmJS9_EEE10hipError_tPvRmT3_T4_T5_T6_T7_T9_mT8_P12ihipStream_tbDpT10_ENKUlT_T0_E_clISt17integral_constantIbLb0EES1A_EEDaS15_S16_EUlS15_E_NS1_11comp_targetILNS1_3genE4ELNS1_11target_archE910ELNS1_3gpuE8ELNS1_3repE0EEENS1_30default_config_static_selectorELNS0_4arch9wavefront6targetE0EEEvT1_.uses_vcc, 0
	.set _ZN7rocprim17ROCPRIM_400000_NS6detail17trampoline_kernelINS0_14default_configENS1_25partition_config_selectorILNS1_17partition_subalgoE9EllbEEZZNS1_14partition_implILS5_9ELb0ES3_jPlS8_PNS0_10empty_typeENS0_5tupleIJS8_S9_EEENSB_IJS8_SA_EEENS0_18inequality_wrapperIZN2at6native12_GLOBAL__N_124unique_dim_cuda_templateIhEESt5tupleIJNSF_6TensorESK_SK_EERKSK_lbbbEUlllE0_EEPmJS9_EEE10hipError_tPvRmT3_T4_T5_T6_T7_T9_mT8_P12ihipStream_tbDpT10_ENKUlT_T0_E_clISt17integral_constantIbLb0EES1A_EEDaS15_S16_EUlS15_E_NS1_11comp_targetILNS1_3genE4ELNS1_11target_archE910ELNS1_3gpuE8ELNS1_3repE0EEENS1_30default_config_static_selectorELNS0_4arch9wavefront6targetE0EEEvT1_.uses_flat_scratch, 0
	.set _ZN7rocprim17ROCPRIM_400000_NS6detail17trampoline_kernelINS0_14default_configENS1_25partition_config_selectorILNS1_17partition_subalgoE9EllbEEZZNS1_14partition_implILS5_9ELb0ES3_jPlS8_PNS0_10empty_typeENS0_5tupleIJS8_S9_EEENSB_IJS8_SA_EEENS0_18inequality_wrapperIZN2at6native12_GLOBAL__N_124unique_dim_cuda_templateIhEESt5tupleIJNSF_6TensorESK_SK_EERKSK_lbbbEUlllE0_EEPmJS9_EEE10hipError_tPvRmT3_T4_T5_T6_T7_T9_mT8_P12ihipStream_tbDpT10_ENKUlT_T0_E_clISt17integral_constantIbLb0EES1A_EEDaS15_S16_EUlS15_E_NS1_11comp_targetILNS1_3genE4ELNS1_11target_archE910ELNS1_3gpuE8ELNS1_3repE0EEENS1_30default_config_static_selectorELNS0_4arch9wavefront6targetE0EEEvT1_.has_dyn_sized_stack, 0
	.set _ZN7rocprim17ROCPRIM_400000_NS6detail17trampoline_kernelINS0_14default_configENS1_25partition_config_selectorILNS1_17partition_subalgoE9EllbEEZZNS1_14partition_implILS5_9ELb0ES3_jPlS8_PNS0_10empty_typeENS0_5tupleIJS8_S9_EEENSB_IJS8_SA_EEENS0_18inequality_wrapperIZN2at6native12_GLOBAL__N_124unique_dim_cuda_templateIhEESt5tupleIJNSF_6TensorESK_SK_EERKSK_lbbbEUlllE0_EEPmJS9_EEE10hipError_tPvRmT3_T4_T5_T6_T7_T9_mT8_P12ihipStream_tbDpT10_ENKUlT_T0_E_clISt17integral_constantIbLb0EES1A_EEDaS15_S16_EUlS15_E_NS1_11comp_targetILNS1_3genE4ELNS1_11target_archE910ELNS1_3gpuE8ELNS1_3repE0EEENS1_30default_config_static_selectorELNS0_4arch9wavefront6targetE0EEEvT1_.has_recursion, 0
	.set _ZN7rocprim17ROCPRIM_400000_NS6detail17trampoline_kernelINS0_14default_configENS1_25partition_config_selectorILNS1_17partition_subalgoE9EllbEEZZNS1_14partition_implILS5_9ELb0ES3_jPlS8_PNS0_10empty_typeENS0_5tupleIJS8_S9_EEENSB_IJS8_SA_EEENS0_18inequality_wrapperIZN2at6native12_GLOBAL__N_124unique_dim_cuda_templateIhEESt5tupleIJNSF_6TensorESK_SK_EERKSK_lbbbEUlllE0_EEPmJS9_EEE10hipError_tPvRmT3_T4_T5_T6_T7_T9_mT8_P12ihipStream_tbDpT10_ENKUlT_T0_E_clISt17integral_constantIbLb0EES1A_EEDaS15_S16_EUlS15_E_NS1_11comp_targetILNS1_3genE4ELNS1_11target_archE910ELNS1_3gpuE8ELNS1_3repE0EEENS1_30default_config_static_selectorELNS0_4arch9wavefront6targetE0EEEvT1_.has_indirect_call, 0
	.section	.AMDGPU.csdata,"",@progbits
; Kernel info:
; codeLenInByte = 0
; TotalNumSgprs: 0
; NumVgprs: 0
; ScratchSize: 0
; MemoryBound: 0
; FloatMode: 240
; IeeeMode: 1
; LDSByteSize: 0 bytes/workgroup (compile time only)
; SGPRBlocks: 0
; VGPRBlocks: 0
; NumSGPRsForWavesPerEU: 1
; NumVGPRsForWavesPerEU: 1
; NamedBarCnt: 0
; Occupancy: 16
; WaveLimiterHint : 0
; COMPUTE_PGM_RSRC2:SCRATCH_EN: 0
; COMPUTE_PGM_RSRC2:USER_SGPR: 2
; COMPUTE_PGM_RSRC2:TRAP_HANDLER: 0
; COMPUTE_PGM_RSRC2:TGID_X_EN: 1
; COMPUTE_PGM_RSRC2:TGID_Y_EN: 0
; COMPUTE_PGM_RSRC2:TGID_Z_EN: 0
; COMPUTE_PGM_RSRC2:TIDIG_COMP_CNT: 0
	.section	.text._ZN7rocprim17ROCPRIM_400000_NS6detail17trampoline_kernelINS0_14default_configENS1_25partition_config_selectorILNS1_17partition_subalgoE9EllbEEZZNS1_14partition_implILS5_9ELb0ES3_jPlS8_PNS0_10empty_typeENS0_5tupleIJS8_S9_EEENSB_IJS8_SA_EEENS0_18inequality_wrapperIZN2at6native12_GLOBAL__N_124unique_dim_cuda_templateIhEESt5tupleIJNSF_6TensorESK_SK_EERKSK_lbbbEUlllE0_EEPmJS9_EEE10hipError_tPvRmT3_T4_T5_T6_T7_T9_mT8_P12ihipStream_tbDpT10_ENKUlT_T0_E_clISt17integral_constantIbLb0EES1A_EEDaS15_S16_EUlS15_E_NS1_11comp_targetILNS1_3genE3ELNS1_11target_archE908ELNS1_3gpuE7ELNS1_3repE0EEENS1_30default_config_static_selectorELNS0_4arch9wavefront6targetE0EEEvT1_,"axG",@progbits,_ZN7rocprim17ROCPRIM_400000_NS6detail17trampoline_kernelINS0_14default_configENS1_25partition_config_selectorILNS1_17partition_subalgoE9EllbEEZZNS1_14partition_implILS5_9ELb0ES3_jPlS8_PNS0_10empty_typeENS0_5tupleIJS8_S9_EEENSB_IJS8_SA_EEENS0_18inequality_wrapperIZN2at6native12_GLOBAL__N_124unique_dim_cuda_templateIhEESt5tupleIJNSF_6TensorESK_SK_EERKSK_lbbbEUlllE0_EEPmJS9_EEE10hipError_tPvRmT3_T4_T5_T6_T7_T9_mT8_P12ihipStream_tbDpT10_ENKUlT_T0_E_clISt17integral_constantIbLb0EES1A_EEDaS15_S16_EUlS15_E_NS1_11comp_targetILNS1_3genE3ELNS1_11target_archE908ELNS1_3gpuE7ELNS1_3repE0EEENS1_30default_config_static_selectorELNS0_4arch9wavefront6targetE0EEEvT1_,comdat
	.globl	_ZN7rocprim17ROCPRIM_400000_NS6detail17trampoline_kernelINS0_14default_configENS1_25partition_config_selectorILNS1_17partition_subalgoE9EllbEEZZNS1_14partition_implILS5_9ELb0ES3_jPlS8_PNS0_10empty_typeENS0_5tupleIJS8_S9_EEENSB_IJS8_SA_EEENS0_18inequality_wrapperIZN2at6native12_GLOBAL__N_124unique_dim_cuda_templateIhEESt5tupleIJNSF_6TensorESK_SK_EERKSK_lbbbEUlllE0_EEPmJS9_EEE10hipError_tPvRmT3_T4_T5_T6_T7_T9_mT8_P12ihipStream_tbDpT10_ENKUlT_T0_E_clISt17integral_constantIbLb0EES1A_EEDaS15_S16_EUlS15_E_NS1_11comp_targetILNS1_3genE3ELNS1_11target_archE908ELNS1_3gpuE7ELNS1_3repE0EEENS1_30default_config_static_selectorELNS0_4arch9wavefront6targetE0EEEvT1_ ; -- Begin function _ZN7rocprim17ROCPRIM_400000_NS6detail17trampoline_kernelINS0_14default_configENS1_25partition_config_selectorILNS1_17partition_subalgoE9EllbEEZZNS1_14partition_implILS5_9ELb0ES3_jPlS8_PNS0_10empty_typeENS0_5tupleIJS8_S9_EEENSB_IJS8_SA_EEENS0_18inequality_wrapperIZN2at6native12_GLOBAL__N_124unique_dim_cuda_templateIhEESt5tupleIJNSF_6TensorESK_SK_EERKSK_lbbbEUlllE0_EEPmJS9_EEE10hipError_tPvRmT3_T4_T5_T6_T7_T9_mT8_P12ihipStream_tbDpT10_ENKUlT_T0_E_clISt17integral_constantIbLb0EES1A_EEDaS15_S16_EUlS15_E_NS1_11comp_targetILNS1_3genE3ELNS1_11target_archE908ELNS1_3gpuE7ELNS1_3repE0EEENS1_30default_config_static_selectorELNS0_4arch9wavefront6targetE0EEEvT1_
	.p2align	8
	.type	_ZN7rocprim17ROCPRIM_400000_NS6detail17trampoline_kernelINS0_14default_configENS1_25partition_config_selectorILNS1_17partition_subalgoE9EllbEEZZNS1_14partition_implILS5_9ELb0ES3_jPlS8_PNS0_10empty_typeENS0_5tupleIJS8_S9_EEENSB_IJS8_SA_EEENS0_18inequality_wrapperIZN2at6native12_GLOBAL__N_124unique_dim_cuda_templateIhEESt5tupleIJNSF_6TensorESK_SK_EERKSK_lbbbEUlllE0_EEPmJS9_EEE10hipError_tPvRmT3_T4_T5_T6_T7_T9_mT8_P12ihipStream_tbDpT10_ENKUlT_T0_E_clISt17integral_constantIbLb0EES1A_EEDaS15_S16_EUlS15_E_NS1_11comp_targetILNS1_3genE3ELNS1_11target_archE908ELNS1_3gpuE7ELNS1_3repE0EEENS1_30default_config_static_selectorELNS0_4arch9wavefront6targetE0EEEvT1_,@function
_ZN7rocprim17ROCPRIM_400000_NS6detail17trampoline_kernelINS0_14default_configENS1_25partition_config_selectorILNS1_17partition_subalgoE9EllbEEZZNS1_14partition_implILS5_9ELb0ES3_jPlS8_PNS0_10empty_typeENS0_5tupleIJS8_S9_EEENSB_IJS8_SA_EEENS0_18inequality_wrapperIZN2at6native12_GLOBAL__N_124unique_dim_cuda_templateIhEESt5tupleIJNSF_6TensorESK_SK_EERKSK_lbbbEUlllE0_EEPmJS9_EEE10hipError_tPvRmT3_T4_T5_T6_T7_T9_mT8_P12ihipStream_tbDpT10_ENKUlT_T0_E_clISt17integral_constantIbLb0EES1A_EEDaS15_S16_EUlS15_E_NS1_11comp_targetILNS1_3genE3ELNS1_11target_archE908ELNS1_3gpuE7ELNS1_3repE0EEENS1_30default_config_static_selectorELNS0_4arch9wavefront6targetE0EEEvT1_: ; @_ZN7rocprim17ROCPRIM_400000_NS6detail17trampoline_kernelINS0_14default_configENS1_25partition_config_selectorILNS1_17partition_subalgoE9EllbEEZZNS1_14partition_implILS5_9ELb0ES3_jPlS8_PNS0_10empty_typeENS0_5tupleIJS8_S9_EEENSB_IJS8_SA_EEENS0_18inequality_wrapperIZN2at6native12_GLOBAL__N_124unique_dim_cuda_templateIhEESt5tupleIJNSF_6TensorESK_SK_EERKSK_lbbbEUlllE0_EEPmJS9_EEE10hipError_tPvRmT3_T4_T5_T6_T7_T9_mT8_P12ihipStream_tbDpT10_ENKUlT_T0_E_clISt17integral_constantIbLb0EES1A_EEDaS15_S16_EUlS15_E_NS1_11comp_targetILNS1_3genE3ELNS1_11target_archE908ELNS1_3gpuE7ELNS1_3repE0EEENS1_30default_config_static_selectorELNS0_4arch9wavefront6targetE0EEEvT1_
; %bb.0:
	.section	.rodata,"a",@progbits
	.p2align	6, 0x0
	.amdhsa_kernel _ZN7rocprim17ROCPRIM_400000_NS6detail17trampoline_kernelINS0_14default_configENS1_25partition_config_selectorILNS1_17partition_subalgoE9EllbEEZZNS1_14partition_implILS5_9ELb0ES3_jPlS8_PNS0_10empty_typeENS0_5tupleIJS8_S9_EEENSB_IJS8_SA_EEENS0_18inequality_wrapperIZN2at6native12_GLOBAL__N_124unique_dim_cuda_templateIhEESt5tupleIJNSF_6TensorESK_SK_EERKSK_lbbbEUlllE0_EEPmJS9_EEE10hipError_tPvRmT3_T4_T5_T6_T7_T9_mT8_P12ihipStream_tbDpT10_ENKUlT_T0_E_clISt17integral_constantIbLb0EES1A_EEDaS15_S16_EUlS15_E_NS1_11comp_targetILNS1_3genE3ELNS1_11target_archE908ELNS1_3gpuE7ELNS1_3repE0EEENS1_30default_config_static_selectorELNS0_4arch9wavefront6targetE0EEEvT1_
		.amdhsa_group_segment_fixed_size 0
		.amdhsa_private_segment_fixed_size 0
		.amdhsa_kernarg_size 120
		.amdhsa_user_sgpr_count 2
		.amdhsa_user_sgpr_dispatch_ptr 0
		.amdhsa_user_sgpr_queue_ptr 0
		.amdhsa_user_sgpr_kernarg_segment_ptr 1
		.amdhsa_user_sgpr_dispatch_id 0
		.amdhsa_user_sgpr_kernarg_preload_length 0
		.amdhsa_user_sgpr_kernarg_preload_offset 0
		.amdhsa_user_sgpr_private_segment_size 0
		.amdhsa_wavefront_size32 1
		.amdhsa_uses_dynamic_stack 0
		.amdhsa_enable_private_segment 0
		.amdhsa_system_sgpr_workgroup_id_x 1
		.amdhsa_system_sgpr_workgroup_id_y 0
		.amdhsa_system_sgpr_workgroup_id_z 0
		.amdhsa_system_sgpr_workgroup_info 0
		.amdhsa_system_vgpr_workitem_id 0
		.amdhsa_next_free_vgpr 1
		.amdhsa_next_free_sgpr 1
		.amdhsa_named_barrier_count 0
		.amdhsa_reserve_vcc 0
		.amdhsa_float_round_mode_32 0
		.amdhsa_float_round_mode_16_64 0
		.amdhsa_float_denorm_mode_32 3
		.amdhsa_float_denorm_mode_16_64 3
		.amdhsa_fp16_overflow 0
		.amdhsa_memory_ordered 1
		.amdhsa_forward_progress 1
		.amdhsa_inst_pref_size 0
		.amdhsa_round_robin_scheduling 0
		.amdhsa_exception_fp_ieee_invalid_op 0
		.amdhsa_exception_fp_denorm_src 0
		.amdhsa_exception_fp_ieee_div_zero 0
		.amdhsa_exception_fp_ieee_overflow 0
		.amdhsa_exception_fp_ieee_underflow 0
		.amdhsa_exception_fp_ieee_inexact 0
		.amdhsa_exception_int_div_zero 0
	.end_amdhsa_kernel
	.section	.text._ZN7rocprim17ROCPRIM_400000_NS6detail17trampoline_kernelINS0_14default_configENS1_25partition_config_selectorILNS1_17partition_subalgoE9EllbEEZZNS1_14partition_implILS5_9ELb0ES3_jPlS8_PNS0_10empty_typeENS0_5tupleIJS8_S9_EEENSB_IJS8_SA_EEENS0_18inequality_wrapperIZN2at6native12_GLOBAL__N_124unique_dim_cuda_templateIhEESt5tupleIJNSF_6TensorESK_SK_EERKSK_lbbbEUlllE0_EEPmJS9_EEE10hipError_tPvRmT3_T4_T5_T6_T7_T9_mT8_P12ihipStream_tbDpT10_ENKUlT_T0_E_clISt17integral_constantIbLb0EES1A_EEDaS15_S16_EUlS15_E_NS1_11comp_targetILNS1_3genE3ELNS1_11target_archE908ELNS1_3gpuE7ELNS1_3repE0EEENS1_30default_config_static_selectorELNS0_4arch9wavefront6targetE0EEEvT1_,"axG",@progbits,_ZN7rocprim17ROCPRIM_400000_NS6detail17trampoline_kernelINS0_14default_configENS1_25partition_config_selectorILNS1_17partition_subalgoE9EllbEEZZNS1_14partition_implILS5_9ELb0ES3_jPlS8_PNS0_10empty_typeENS0_5tupleIJS8_S9_EEENSB_IJS8_SA_EEENS0_18inequality_wrapperIZN2at6native12_GLOBAL__N_124unique_dim_cuda_templateIhEESt5tupleIJNSF_6TensorESK_SK_EERKSK_lbbbEUlllE0_EEPmJS9_EEE10hipError_tPvRmT3_T4_T5_T6_T7_T9_mT8_P12ihipStream_tbDpT10_ENKUlT_T0_E_clISt17integral_constantIbLb0EES1A_EEDaS15_S16_EUlS15_E_NS1_11comp_targetILNS1_3genE3ELNS1_11target_archE908ELNS1_3gpuE7ELNS1_3repE0EEENS1_30default_config_static_selectorELNS0_4arch9wavefront6targetE0EEEvT1_,comdat
.Lfunc_end207:
	.size	_ZN7rocprim17ROCPRIM_400000_NS6detail17trampoline_kernelINS0_14default_configENS1_25partition_config_selectorILNS1_17partition_subalgoE9EllbEEZZNS1_14partition_implILS5_9ELb0ES3_jPlS8_PNS0_10empty_typeENS0_5tupleIJS8_S9_EEENSB_IJS8_SA_EEENS0_18inequality_wrapperIZN2at6native12_GLOBAL__N_124unique_dim_cuda_templateIhEESt5tupleIJNSF_6TensorESK_SK_EERKSK_lbbbEUlllE0_EEPmJS9_EEE10hipError_tPvRmT3_T4_T5_T6_T7_T9_mT8_P12ihipStream_tbDpT10_ENKUlT_T0_E_clISt17integral_constantIbLb0EES1A_EEDaS15_S16_EUlS15_E_NS1_11comp_targetILNS1_3genE3ELNS1_11target_archE908ELNS1_3gpuE7ELNS1_3repE0EEENS1_30default_config_static_selectorELNS0_4arch9wavefront6targetE0EEEvT1_, .Lfunc_end207-_ZN7rocprim17ROCPRIM_400000_NS6detail17trampoline_kernelINS0_14default_configENS1_25partition_config_selectorILNS1_17partition_subalgoE9EllbEEZZNS1_14partition_implILS5_9ELb0ES3_jPlS8_PNS0_10empty_typeENS0_5tupleIJS8_S9_EEENSB_IJS8_SA_EEENS0_18inequality_wrapperIZN2at6native12_GLOBAL__N_124unique_dim_cuda_templateIhEESt5tupleIJNSF_6TensorESK_SK_EERKSK_lbbbEUlllE0_EEPmJS9_EEE10hipError_tPvRmT3_T4_T5_T6_T7_T9_mT8_P12ihipStream_tbDpT10_ENKUlT_T0_E_clISt17integral_constantIbLb0EES1A_EEDaS15_S16_EUlS15_E_NS1_11comp_targetILNS1_3genE3ELNS1_11target_archE908ELNS1_3gpuE7ELNS1_3repE0EEENS1_30default_config_static_selectorELNS0_4arch9wavefront6targetE0EEEvT1_
                                        ; -- End function
	.set _ZN7rocprim17ROCPRIM_400000_NS6detail17trampoline_kernelINS0_14default_configENS1_25partition_config_selectorILNS1_17partition_subalgoE9EllbEEZZNS1_14partition_implILS5_9ELb0ES3_jPlS8_PNS0_10empty_typeENS0_5tupleIJS8_S9_EEENSB_IJS8_SA_EEENS0_18inequality_wrapperIZN2at6native12_GLOBAL__N_124unique_dim_cuda_templateIhEESt5tupleIJNSF_6TensorESK_SK_EERKSK_lbbbEUlllE0_EEPmJS9_EEE10hipError_tPvRmT3_T4_T5_T6_T7_T9_mT8_P12ihipStream_tbDpT10_ENKUlT_T0_E_clISt17integral_constantIbLb0EES1A_EEDaS15_S16_EUlS15_E_NS1_11comp_targetILNS1_3genE3ELNS1_11target_archE908ELNS1_3gpuE7ELNS1_3repE0EEENS1_30default_config_static_selectorELNS0_4arch9wavefront6targetE0EEEvT1_.num_vgpr, 0
	.set _ZN7rocprim17ROCPRIM_400000_NS6detail17trampoline_kernelINS0_14default_configENS1_25partition_config_selectorILNS1_17partition_subalgoE9EllbEEZZNS1_14partition_implILS5_9ELb0ES3_jPlS8_PNS0_10empty_typeENS0_5tupleIJS8_S9_EEENSB_IJS8_SA_EEENS0_18inequality_wrapperIZN2at6native12_GLOBAL__N_124unique_dim_cuda_templateIhEESt5tupleIJNSF_6TensorESK_SK_EERKSK_lbbbEUlllE0_EEPmJS9_EEE10hipError_tPvRmT3_T4_T5_T6_T7_T9_mT8_P12ihipStream_tbDpT10_ENKUlT_T0_E_clISt17integral_constantIbLb0EES1A_EEDaS15_S16_EUlS15_E_NS1_11comp_targetILNS1_3genE3ELNS1_11target_archE908ELNS1_3gpuE7ELNS1_3repE0EEENS1_30default_config_static_selectorELNS0_4arch9wavefront6targetE0EEEvT1_.num_agpr, 0
	.set _ZN7rocprim17ROCPRIM_400000_NS6detail17trampoline_kernelINS0_14default_configENS1_25partition_config_selectorILNS1_17partition_subalgoE9EllbEEZZNS1_14partition_implILS5_9ELb0ES3_jPlS8_PNS0_10empty_typeENS0_5tupleIJS8_S9_EEENSB_IJS8_SA_EEENS0_18inequality_wrapperIZN2at6native12_GLOBAL__N_124unique_dim_cuda_templateIhEESt5tupleIJNSF_6TensorESK_SK_EERKSK_lbbbEUlllE0_EEPmJS9_EEE10hipError_tPvRmT3_T4_T5_T6_T7_T9_mT8_P12ihipStream_tbDpT10_ENKUlT_T0_E_clISt17integral_constantIbLb0EES1A_EEDaS15_S16_EUlS15_E_NS1_11comp_targetILNS1_3genE3ELNS1_11target_archE908ELNS1_3gpuE7ELNS1_3repE0EEENS1_30default_config_static_selectorELNS0_4arch9wavefront6targetE0EEEvT1_.numbered_sgpr, 0
	.set _ZN7rocprim17ROCPRIM_400000_NS6detail17trampoline_kernelINS0_14default_configENS1_25partition_config_selectorILNS1_17partition_subalgoE9EllbEEZZNS1_14partition_implILS5_9ELb0ES3_jPlS8_PNS0_10empty_typeENS0_5tupleIJS8_S9_EEENSB_IJS8_SA_EEENS0_18inequality_wrapperIZN2at6native12_GLOBAL__N_124unique_dim_cuda_templateIhEESt5tupleIJNSF_6TensorESK_SK_EERKSK_lbbbEUlllE0_EEPmJS9_EEE10hipError_tPvRmT3_T4_T5_T6_T7_T9_mT8_P12ihipStream_tbDpT10_ENKUlT_T0_E_clISt17integral_constantIbLb0EES1A_EEDaS15_S16_EUlS15_E_NS1_11comp_targetILNS1_3genE3ELNS1_11target_archE908ELNS1_3gpuE7ELNS1_3repE0EEENS1_30default_config_static_selectorELNS0_4arch9wavefront6targetE0EEEvT1_.num_named_barrier, 0
	.set _ZN7rocprim17ROCPRIM_400000_NS6detail17trampoline_kernelINS0_14default_configENS1_25partition_config_selectorILNS1_17partition_subalgoE9EllbEEZZNS1_14partition_implILS5_9ELb0ES3_jPlS8_PNS0_10empty_typeENS0_5tupleIJS8_S9_EEENSB_IJS8_SA_EEENS0_18inequality_wrapperIZN2at6native12_GLOBAL__N_124unique_dim_cuda_templateIhEESt5tupleIJNSF_6TensorESK_SK_EERKSK_lbbbEUlllE0_EEPmJS9_EEE10hipError_tPvRmT3_T4_T5_T6_T7_T9_mT8_P12ihipStream_tbDpT10_ENKUlT_T0_E_clISt17integral_constantIbLb0EES1A_EEDaS15_S16_EUlS15_E_NS1_11comp_targetILNS1_3genE3ELNS1_11target_archE908ELNS1_3gpuE7ELNS1_3repE0EEENS1_30default_config_static_selectorELNS0_4arch9wavefront6targetE0EEEvT1_.private_seg_size, 0
	.set _ZN7rocprim17ROCPRIM_400000_NS6detail17trampoline_kernelINS0_14default_configENS1_25partition_config_selectorILNS1_17partition_subalgoE9EllbEEZZNS1_14partition_implILS5_9ELb0ES3_jPlS8_PNS0_10empty_typeENS0_5tupleIJS8_S9_EEENSB_IJS8_SA_EEENS0_18inequality_wrapperIZN2at6native12_GLOBAL__N_124unique_dim_cuda_templateIhEESt5tupleIJNSF_6TensorESK_SK_EERKSK_lbbbEUlllE0_EEPmJS9_EEE10hipError_tPvRmT3_T4_T5_T6_T7_T9_mT8_P12ihipStream_tbDpT10_ENKUlT_T0_E_clISt17integral_constantIbLb0EES1A_EEDaS15_S16_EUlS15_E_NS1_11comp_targetILNS1_3genE3ELNS1_11target_archE908ELNS1_3gpuE7ELNS1_3repE0EEENS1_30default_config_static_selectorELNS0_4arch9wavefront6targetE0EEEvT1_.uses_vcc, 0
	.set _ZN7rocprim17ROCPRIM_400000_NS6detail17trampoline_kernelINS0_14default_configENS1_25partition_config_selectorILNS1_17partition_subalgoE9EllbEEZZNS1_14partition_implILS5_9ELb0ES3_jPlS8_PNS0_10empty_typeENS0_5tupleIJS8_S9_EEENSB_IJS8_SA_EEENS0_18inequality_wrapperIZN2at6native12_GLOBAL__N_124unique_dim_cuda_templateIhEESt5tupleIJNSF_6TensorESK_SK_EERKSK_lbbbEUlllE0_EEPmJS9_EEE10hipError_tPvRmT3_T4_T5_T6_T7_T9_mT8_P12ihipStream_tbDpT10_ENKUlT_T0_E_clISt17integral_constantIbLb0EES1A_EEDaS15_S16_EUlS15_E_NS1_11comp_targetILNS1_3genE3ELNS1_11target_archE908ELNS1_3gpuE7ELNS1_3repE0EEENS1_30default_config_static_selectorELNS0_4arch9wavefront6targetE0EEEvT1_.uses_flat_scratch, 0
	.set _ZN7rocprim17ROCPRIM_400000_NS6detail17trampoline_kernelINS0_14default_configENS1_25partition_config_selectorILNS1_17partition_subalgoE9EllbEEZZNS1_14partition_implILS5_9ELb0ES3_jPlS8_PNS0_10empty_typeENS0_5tupleIJS8_S9_EEENSB_IJS8_SA_EEENS0_18inequality_wrapperIZN2at6native12_GLOBAL__N_124unique_dim_cuda_templateIhEESt5tupleIJNSF_6TensorESK_SK_EERKSK_lbbbEUlllE0_EEPmJS9_EEE10hipError_tPvRmT3_T4_T5_T6_T7_T9_mT8_P12ihipStream_tbDpT10_ENKUlT_T0_E_clISt17integral_constantIbLb0EES1A_EEDaS15_S16_EUlS15_E_NS1_11comp_targetILNS1_3genE3ELNS1_11target_archE908ELNS1_3gpuE7ELNS1_3repE0EEENS1_30default_config_static_selectorELNS0_4arch9wavefront6targetE0EEEvT1_.has_dyn_sized_stack, 0
	.set _ZN7rocprim17ROCPRIM_400000_NS6detail17trampoline_kernelINS0_14default_configENS1_25partition_config_selectorILNS1_17partition_subalgoE9EllbEEZZNS1_14partition_implILS5_9ELb0ES3_jPlS8_PNS0_10empty_typeENS0_5tupleIJS8_S9_EEENSB_IJS8_SA_EEENS0_18inequality_wrapperIZN2at6native12_GLOBAL__N_124unique_dim_cuda_templateIhEESt5tupleIJNSF_6TensorESK_SK_EERKSK_lbbbEUlllE0_EEPmJS9_EEE10hipError_tPvRmT3_T4_T5_T6_T7_T9_mT8_P12ihipStream_tbDpT10_ENKUlT_T0_E_clISt17integral_constantIbLb0EES1A_EEDaS15_S16_EUlS15_E_NS1_11comp_targetILNS1_3genE3ELNS1_11target_archE908ELNS1_3gpuE7ELNS1_3repE0EEENS1_30default_config_static_selectorELNS0_4arch9wavefront6targetE0EEEvT1_.has_recursion, 0
	.set _ZN7rocprim17ROCPRIM_400000_NS6detail17trampoline_kernelINS0_14default_configENS1_25partition_config_selectorILNS1_17partition_subalgoE9EllbEEZZNS1_14partition_implILS5_9ELb0ES3_jPlS8_PNS0_10empty_typeENS0_5tupleIJS8_S9_EEENSB_IJS8_SA_EEENS0_18inequality_wrapperIZN2at6native12_GLOBAL__N_124unique_dim_cuda_templateIhEESt5tupleIJNSF_6TensorESK_SK_EERKSK_lbbbEUlllE0_EEPmJS9_EEE10hipError_tPvRmT3_T4_T5_T6_T7_T9_mT8_P12ihipStream_tbDpT10_ENKUlT_T0_E_clISt17integral_constantIbLb0EES1A_EEDaS15_S16_EUlS15_E_NS1_11comp_targetILNS1_3genE3ELNS1_11target_archE908ELNS1_3gpuE7ELNS1_3repE0EEENS1_30default_config_static_selectorELNS0_4arch9wavefront6targetE0EEEvT1_.has_indirect_call, 0
	.section	.AMDGPU.csdata,"",@progbits
; Kernel info:
; codeLenInByte = 0
; TotalNumSgprs: 0
; NumVgprs: 0
; ScratchSize: 0
; MemoryBound: 0
; FloatMode: 240
; IeeeMode: 1
; LDSByteSize: 0 bytes/workgroup (compile time only)
; SGPRBlocks: 0
; VGPRBlocks: 0
; NumSGPRsForWavesPerEU: 1
; NumVGPRsForWavesPerEU: 1
; NamedBarCnt: 0
; Occupancy: 16
; WaveLimiterHint : 0
; COMPUTE_PGM_RSRC2:SCRATCH_EN: 0
; COMPUTE_PGM_RSRC2:USER_SGPR: 2
; COMPUTE_PGM_RSRC2:TRAP_HANDLER: 0
; COMPUTE_PGM_RSRC2:TGID_X_EN: 1
; COMPUTE_PGM_RSRC2:TGID_Y_EN: 0
; COMPUTE_PGM_RSRC2:TGID_Z_EN: 0
; COMPUTE_PGM_RSRC2:TIDIG_COMP_CNT: 0
	.section	.text._ZN7rocprim17ROCPRIM_400000_NS6detail17trampoline_kernelINS0_14default_configENS1_25partition_config_selectorILNS1_17partition_subalgoE9EllbEEZZNS1_14partition_implILS5_9ELb0ES3_jPlS8_PNS0_10empty_typeENS0_5tupleIJS8_S9_EEENSB_IJS8_SA_EEENS0_18inequality_wrapperIZN2at6native12_GLOBAL__N_124unique_dim_cuda_templateIhEESt5tupleIJNSF_6TensorESK_SK_EERKSK_lbbbEUlllE0_EEPmJS9_EEE10hipError_tPvRmT3_T4_T5_T6_T7_T9_mT8_P12ihipStream_tbDpT10_ENKUlT_T0_E_clISt17integral_constantIbLb0EES1A_EEDaS15_S16_EUlS15_E_NS1_11comp_targetILNS1_3genE2ELNS1_11target_archE906ELNS1_3gpuE6ELNS1_3repE0EEENS1_30default_config_static_selectorELNS0_4arch9wavefront6targetE0EEEvT1_,"axG",@progbits,_ZN7rocprim17ROCPRIM_400000_NS6detail17trampoline_kernelINS0_14default_configENS1_25partition_config_selectorILNS1_17partition_subalgoE9EllbEEZZNS1_14partition_implILS5_9ELb0ES3_jPlS8_PNS0_10empty_typeENS0_5tupleIJS8_S9_EEENSB_IJS8_SA_EEENS0_18inequality_wrapperIZN2at6native12_GLOBAL__N_124unique_dim_cuda_templateIhEESt5tupleIJNSF_6TensorESK_SK_EERKSK_lbbbEUlllE0_EEPmJS9_EEE10hipError_tPvRmT3_T4_T5_T6_T7_T9_mT8_P12ihipStream_tbDpT10_ENKUlT_T0_E_clISt17integral_constantIbLb0EES1A_EEDaS15_S16_EUlS15_E_NS1_11comp_targetILNS1_3genE2ELNS1_11target_archE906ELNS1_3gpuE6ELNS1_3repE0EEENS1_30default_config_static_selectorELNS0_4arch9wavefront6targetE0EEEvT1_,comdat
	.globl	_ZN7rocprim17ROCPRIM_400000_NS6detail17trampoline_kernelINS0_14default_configENS1_25partition_config_selectorILNS1_17partition_subalgoE9EllbEEZZNS1_14partition_implILS5_9ELb0ES3_jPlS8_PNS0_10empty_typeENS0_5tupleIJS8_S9_EEENSB_IJS8_SA_EEENS0_18inequality_wrapperIZN2at6native12_GLOBAL__N_124unique_dim_cuda_templateIhEESt5tupleIJNSF_6TensorESK_SK_EERKSK_lbbbEUlllE0_EEPmJS9_EEE10hipError_tPvRmT3_T4_T5_T6_T7_T9_mT8_P12ihipStream_tbDpT10_ENKUlT_T0_E_clISt17integral_constantIbLb0EES1A_EEDaS15_S16_EUlS15_E_NS1_11comp_targetILNS1_3genE2ELNS1_11target_archE906ELNS1_3gpuE6ELNS1_3repE0EEENS1_30default_config_static_selectorELNS0_4arch9wavefront6targetE0EEEvT1_ ; -- Begin function _ZN7rocprim17ROCPRIM_400000_NS6detail17trampoline_kernelINS0_14default_configENS1_25partition_config_selectorILNS1_17partition_subalgoE9EllbEEZZNS1_14partition_implILS5_9ELb0ES3_jPlS8_PNS0_10empty_typeENS0_5tupleIJS8_S9_EEENSB_IJS8_SA_EEENS0_18inequality_wrapperIZN2at6native12_GLOBAL__N_124unique_dim_cuda_templateIhEESt5tupleIJNSF_6TensorESK_SK_EERKSK_lbbbEUlllE0_EEPmJS9_EEE10hipError_tPvRmT3_T4_T5_T6_T7_T9_mT8_P12ihipStream_tbDpT10_ENKUlT_T0_E_clISt17integral_constantIbLb0EES1A_EEDaS15_S16_EUlS15_E_NS1_11comp_targetILNS1_3genE2ELNS1_11target_archE906ELNS1_3gpuE6ELNS1_3repE0EEENS1_30default_config_static_selectorELNS0_4arch9wavefront6targetE0EEEvT1_
	.p2align	8
	.type	_ZN7rocprim17ROCPRIM_400000_NS6detail17trampoline_kernelINS0_14default_configENS1_25partition_config_selectorILNS1_17partition_subalgoE9EllbEEZZNS1_14partition_implILS5_9ELb0ES3_jPlS8_PNS0_10empty_typeENS0_5tupleIJS8_S9_EEENSB_IJS8_SA_EEENS0_18inequality_wrapperIZN2at6native12_GLOBAL__N_124unique_dim_cuda_templateIhEESt5tupleIJNSF_6TensorESK_SK_EERKSK_lbbbEUlllE0_EEPmJS9_EEE10hipError_tPvRmT3_T4_T5_T6_T7_T9_mT8_P12ihipStream_tbDpT10_ENKUlT_T0_E_clISt17integral_constantIbLb0EES1A_EEDaS15_S16_EUlS15_E_NS1_11comp_targetILNS1_3genE2ELNS1_11target_archE906ELNS1_3gpuE6ELNS1_3repE0EEENS1_30default_config_static_selectorELNS0_4arch9wavefront6targetE0EEEvT1_,@function
_ZN7rocprim17ROCPRIM_400000_NS6detail17trampoline_kernelINS0_14default_configENS1_25partition_config_selectorILNS1_17partition_subalgoE9EllbEEZZNS1_14partition_implILS5_9ELb0ES3_jPlS8_PNS0_10empty_typeENS0_5tupleIJS8_S9_EEENSB_IJS8_SA_EEENS0_18inequality_wrapperIZN2at6native12_GLOBAL__N_124unique_dim_cuda_templateIhEESt5tupleIJNSF_6TensorESK_SK_EERKSK_lbbbEUlllE0_EEPmJS9_EEE10hipError_tPvRmT3_T4_T5_T6_T7_T9_mT8_P12ihipStream_tbDpT10_ENKUlT_T0_E_clISt17integral_constantIbLb0EES1A_EEDaS15_S16_EUlS15_E_NS1_11comp_targetILNS1_3genE2ELNS1_11target_archE906ELNS1_3gpuE6ELNS1_3repE0EEENS1_30default_config_static_selectorELNS0_4arch9wavefront6targetE0EEEvT1_: ; @_ZN7rocprim17ROCPRIM_400000_NS6detail17trampoline_kernelINS0_14default_configENS1_25partition_config_selectorILNS1_17partition_subalgoE9EllbEEZZNS1_14partition_implILS5_9ELb0ES3_jPlS8_PNS0_10empty_typeENS0_5tupleIJS8_S9_EEENSB_IJS8_SA_EEENS0_18inequality_wrapperIZN2at6native12_GLOBAL__N_124unique_dim_cuda_templateIhEESt5tupleIJNSF_6TensorESK_SK_EERKSK_lbbbEUlllE0_EEPmJS9_EEE10hipError_tPvRmT3_T4_T5_T6_T7_T9_mT8_P12ihipStream_tbDpT10_ENKUlT_T0_E_clISt17integral_constantIbLb0EES1A_EEDaS15_S16_EUlS15_E_NS1_11comp_targetILNS1_3genE2ELNS1_11target_archE906ELNS1_3gpuE6ELNS1_3repE0EEENS1_30default_config_static_selectorELNS0_4arch9wavefront6targetE0EEEvT1_
; %bb.0:
	.section	.rodata,"a",@progbits
	.p2align	6, 0x0
	.amdhsa_kernel _ZN7rocprim17ROCPRIM_400000_NS6detail17trampoline_kernelINS0_14default_configENS1_25partition_config_selectorILNS1_17partition_subalgoE9EllbEEZZNS1_14partition_implILS5_9ELb0ES3_jPlS8_PNS0_10empty_typeENS0_5tupleIJS8_S9_EEENSB_IJS8_SA_EEENS0_18inequality_wrapperIZN2at6native12_GLOBAL__N_124unique_dim_cuda_templateIhEESt5tupleIJNSF_6TensorESK_SK_EERKSK_lbbbEUlllE0_EEPmJS9_EEE10hipError_tPvRmT3_T4_T5_T6_T7_T9_mT8_P12ihipStream_tbDpT10_ENKUlT_T0_E_clISt17integral_constantIbLb0EES1A_EEDaS15_S16_EUlS15_E_NS1_11comp_targetILNS1_3genE2ELNS1_11target_archE906ELNS1_3gpuE6ELNS1_3repE0EEENS1_30default_config_static_selectorELNS0_4arch9wavefront6targetE0EEEvT1_
		.amdhsa_group_segment_fixed_size 0
		.amdhsa_private_segment_fixed_size 0
		.amdhsa_kernarg_size 120
		.amdhsa_user_sgpr_count 2
		.amdhsa_user_sgpr_dispatch_ptr 0
		.amdhsa_user_sgpr_queue_ptr 0
		.amdhsa_user_sgpr_kernarg_segment_ptr 1
		.amdhsa_user_sgpr_dispatch_id 0
		.amdhsa_user_sgpr_kernarg_preload_length 0
		.amdhsa_user_sgpr_kernarg_preload_offset 0
		.amdhsa_user_sgpr_private_segment_size 0
		.amdhsa_wavefront_size32 1
		.amdhsa_uses_dynamic_stack 0
		.amdhsa_enable_private_segment 0
		.amdhsa_system_sgpr_workgroup_id_x 1
		.amdhsa_system_sgpr_workgroup_id_y 0
		.amdhsa_system_sgpr_workgroup_id_z 0
		.amdhsa_system_sgpr_workgroup_info 0
		.amdhsa_system_vgpr_workitem_id 0
		.amdhsa_next_free_vgpr 1
		.amdhsa_next_free_sgpr 1
		.amdhsa_named_barrier_count 0
		.amdhsa_reserve_vcc 0
		.amdhsa_float_round_mode_32 0
		.amdhsa_float_round_mode_16_64 0
		.amdhsa_float_denorm_mode_32 3
		.amdhsa_float_denorm_mode_16_64 3
		.amdhsa_fp16_overflow 0
		.amdhsa_memory_ordered 1
		.amdhsa_forward_progress 1
		.amdhsa_inst_pref_size 0
		.amdhsa_round_robin_scheduling 0
		.amdhsa_exception_fp_ieee_invalid_op 0
		.amdhsa_exception_fp_denorm_src 0
		.amdhsa_exception_fp_ieee_div_zero 0
		.amdhsa_exception_fp_ieee_overflow 0
		.amdhsa_exception_fp_ieee_underflow 0
		.amdhsa_exception_fp_ieee_inexact 0
		.amdhsa_exception_int_div_zero 0
	.end_amdhsa_kernel
	.section	.text._ZN7rocprim17ROCPRIM_400000_NS6detail17trampoline_kernelINS0_14default_configENS1_25partition_config_selectorILNS1_17partition_subalgoE9EllbEEZZNS1_14partition_implILS5_9ELb0ES3_jPlS8_PNS0_10empty_typeENS0_5tupleIJS8_S9_EEENSB_IJS8_SA_EEENS0_18inequality_wrapperIZN2at6native12_GLOBAL__N_124unique_dim_cuda_templateIhEESt5tupleIJNSF_6TensorESK_SK_EERKSK_lbbbEUlllE0_EEPmJS9_EEE10hipError_tPvRmT3_T4_T5_T6_T7_T9_mT8_P12ihipStream_tbDpT10_ENKUlT_T0_E_clISt17integral_constantIbLb0EES1A_EEDaS15_S16_EUlS15_E_NS1_11comp_targetILNS1_3genE2ELNS1_11target_archE906ELNS1_3gpuE6ELNS1_3repE0EEENS1_30default_config_static_selectorELNS0_4arch9wavefront6targetE0EEEvT1_,"axG",@progbits,_ZN7rocprim17ROCPRIM_400000_NS6detail17trampoline_kernelINS0_14default_configENS1_25partition_config_selectorILNS1_17partition_subalgoE9EllbEEZZNS1_14partition_implILS5_9ELb0ES3_jPlS8_PNS0_10empty_typeENS0_5tupleIJS8_S9_EEENSB_IJS8_SA_EEENS0_18inequality_wrapperIZN2at6native12_GLOBAL__N_124unique_dim_cuda_templateIhEESt5tupleIJNSF_6TensorESK_SK_EERKSK_lbbbEUlllE0_EEPmJS9_EEE10hipError_tPvRmT3_T4_T5_T6_T7_T9_mT8_P12ihipStream_tbDpT10_ENKUlT_T0_E_clISt17integral_constantIbLb0EES1A_EEDaS15_S16_EUlS15_E_NS1_11comp_targetILNS1_3genE2ELNS1_11target_archE906ELNS1_3gpuE6ELNS1_3repE0EEENS1_30default_config_static_selectorELNS0_4arch9wavefront6targetE0EEEvT1_,comdat
.Lfunc_end208:
	.size	_ZN7rocprim17ROCPRIM_400000_NS6detail17trampoline_kernelINS0_14default_configENS1_25partition_config_selectorILNS1_17partition_subalgoE9EllbEEZZNS1_14partition_implILS5_9ELb0ES3_jPlS8_PNS0_10empty_typeENS0_5tupleIJS8_S9_EEENSB_IJS8_SA_EEENS0_18inequality_wrapperIZN2at6native12_GLOBAL__N_124unique_dim_cuda_templateIhEESt5tupleIJNSF_6TensorESK_SK_EERKSK_lbbbEUlllE0_EEPmJS9_EEE10hipError_tPvRmT3_T4_T5_T6_T7_T9_mT8_P12ihipStream_tbDpT10_ENKUlT_T0_E_clISt17integral_constantIbLb0EES1A_EEDaS15_S16_EUlS15_E_NS1_11comp_targetILNS1_3genE2ELNS1_11target_archE906ELNS1_3gpuE6ELNS1_3repE0EEENS1_30default_config_static_selectorELNS0_4arch9wavefront6targetE0EEEvT1_, .Lfunc_end208-_ZN7rocprim17ROCPRIM_400000_NS6detail17trampoline_kernelINS0_14default_configENS1_25partition_config_selectorILNS1_17partition_subalgoE9EllbEEZZNS1_14partition_implILS5_9ELb0ES3_jPlS8_PNS0_10empty_typeENS0_5tupleIJS8_S9_EEENSB_IJS8_SA_EEENS0_18inequality_wrapperIZN2at6native12_GLOBAL__N_124unique_dim_cuda_templateIhEESt5tupleIJNSF_6TensorESK_SK_EERKSK_lbbbEUlllE0_EEPmJS9_EEE10hipError_tPvRmT3_T4_T5_T6_T7_T9_mT8_P12ihipStream_tbDpT10_ENKUlT_T0_E_clISt17integral_constantIbLb0EES1A_EEDaS15_S16_EUlS15_E_NS1_11comp_targetILNS1_3genE2ELNS1_11target_archE906ELNS1_3gpuE6ELNS1_3repE0EEENS1_30default_config_static_selectorELNS0_4arch9wavefront6targetE0EEEvT1_
                                        ; -- End function
	.set _ZN7rocprim17ROCPRIM_400000_NS6detail17trampoline_kernelINS0_14default_configENS1_25partition_config_selectorILNS1_17partition_subalgoE9EllbEEZZNS1_14partition_implILS5_9ELb0ES3_jPlS8_PNS0_10empty_typeENS0_5tupleIJS8_S9_EEENSB_IJS8_SA_EEENS0_18inequality_wrapperIZN2at6native12_GLOBAL__N_124unique_dim_cuda_templateIhEESt5tupleIJNSF_6TensorESK_SK_EERKSK_lbbbEUlllE0_EEPmJS9_EEE10hipError_tPvRmT3_T4_T5_T6_T7_T9_mT8_P12ihipStream_tbDpT10_ENKUlT_T0_E_clISt17integral_constantIbLb0EES1A_EEDaS15_S16_EUlS15_E_NS1_11comp_targetILNS1_3genE2ELNS1_11target_archE906ELNS1_3gpuE6ELNS1_3repE0EEENS1_30default_config_static_selectorELNS0_4arch9wavefront6targetE0EEEvT1_.num_vgpr, 0
	.set _ZN7rocprim17ROCPRIM_400000_NS6detail17trampoline_kernelINS0_14default_configENS1_25partition_config_selectorILNS1_17partition_subalgoE9EllbEEZZNS1_14partition_implILS5_9ELb0ES3_jPlS8_PNS0_10empty_typeENS0_5tupleIJS8_S9_EEENSB_IJS8_SA_EEENS0_18inequality_wrapperIZN2at6native12_GLOBAL__N_124unique_dim_cuda_templateIhEESt5tupleIJNSF_6TensorESK_SK_EERKSK_lbbbEUlllE0_EEPmJS9_EEE10hipError_tPvRmT3_T4_T5_T6_T7_T9_mT8_P12ihipStream_tbDpT10_ENKUlT_T0_E_clISt17integral_constantIbLb0EES1A_EEDaS15_S16_EUlS15_E_NS1_11comp_targetILNS1_3genE2ELNS1_11target_archE906ELNS1_3gpuE6ELNS1_3repE0EEENS1_30default_config_static_selectorELNS0_4arch9wavefront6targetE0EEEvT1_.num_agpr, 0
	.set _ZN7rocprim17ROCPRIM_400000_NS6detail17trampoline_kernelINS0_14default_configENS1_25partition_config_selectorILNS1_17partition_subalgoE9EllbEEZZNS1_14partition_implILS5_9ELb0ES3_jPlS8_PNS0_10empty_typeENS0_5tupleIJS8_S9_EEENSB_IJS8_SA_EEENS0_18inequality_wrapperIZN2at6native12_GLOBAL__N_124unique_dim_cuda_templateIhEESt5tupleIJNSF_6TensorESK_SK_EERKSK_lbbbEUlllE0_EEPmJS9_EEE10hipError_tPvRmT3_T4_T5_T6_T7_T9_mT8_P12ihipStream_tbDpT10_ENKUlT_T0_E_clISt17integral_constantIbLb0EES1A_EEDaS15_S16_EUlS15_E_NS1_11comp_targetILNS1_3genE2ELNS1_11target_archE906ELNS1_3gpuE6ELNS1_3repE0EEENS1_30default_config_static_selectorELNS0_4arch9wavefront6targetE0EEEvT1_.numbered_sgpr, 0
	.set _ZN7rocprim17ROCPRIM_400000_NS6detail17trampoline_kernelINS0_14default_configENS1_25partition_config_selectorILNS1_17partition_subalgoE9EllbEEZZNS1_14partition_implILS5_9ELb0ES3_jPlS8_PNS0_10empty_typeENS0_5tupleIJS8_S9_EEENSB_IJS8_SA_EEENS0_18inequality_wrapperIZN2at6native12_GLOBAL__N_124unique_dim_cuda_templateIhEESt5tupleIJNSF_6TensorESK_SK_EERKSK_lbbbEUlllE0_EEPmJS9_EEE10hipError_tPvRmT3_T4_T5_T6_T7_T9_mT8_P12ihipStream_tbDpT10_ENKUlT_T0_E_clISt17integral_constantIbLb0EES1A_EEDaS15_S16_EUlS15_E_NS1_11comp_targetILNS1_3genE2ELNS1_11target_archE906ELNS1_3gpuE6ELNS1_3repE0EEENS1_30default_config_static_selectorELNS0_4arch9wavefront6targetE0EEEvT1_.num_named_barrier, 0
	.set _ZN7rocprim17ROCPRIM_400000_NS6detail17trampoline_kernelINS0_14default_configENS1_25partition_config_selectorILNS1_17partition_subalgoE9EllbEEZZNS1_14partition_implILS5_9ELb0ES3_jPlS8_PNS0_10empty_typeENS0_5tupleIJS8_S9_EEENSB_IJS8_SA_EEENS0_18inequality_wrapperIZN2at6native12_GLOBAL__N_124unique_dim_cuda_templateIhEESt5tupleIJNSF_6TensorESK_SK_EERKSK_lbbbEUlllE0_EEPmJS9_EEE10hipError_tPvRmT3_T4_T5_T6_T7_T9_mT8_P12ihipStream_tbDpT10_ENKUlT_T0_E_clISt17integral_constantIbLb0EES1A_EEDaS15_S16_EUlS15_E_NS1_11comp_targetILNS1_3genE2ELNS1_11target_archE906ELNS1_3gpuE6ELNS1_3repE0EEENS1_30default_config_static_selectorELNS0_4arch9wavefront6targetE0EEEvT1_.private_seg_size, 0
	.set _ZN7rocprim17ROCPRIM_400000_NS6detail17trampoline_kernelINS0_14default_configENS1_25partition_config_selectorILNS1_17partition_subalgoE9EllbEEZZNS1_14partition_implILS5_9ELb0ES3_jPlS8_PNS0_10empty_typeENS0_5tupleIJS8_S9_EEENSB_IJS8_SA_EEENS0_18inequality_wrapperIZN2at6native12_GLOBAL__N_124unique_dim_cuda_templateIhEESt5tupleIJNSF_6TensorESK_SK_EERKSK_lbbbEUlllE0_EEPmJS9_EEE10hipError_tPvRmT3_T4_T5_T6_T7_T9_mT8_P12ihipStream_tbDpT10_ENKUlT_T0_E_clISt17integral_constantIbLb0EES1A_EEDaS15_S16_EUlS15_E_NS1_11comp_targetILNS1_3genE2ELNS1_11target_archE906ELNS1_3gpuE6ELNS1_3repE0EEENS1_30default_config_static_selectorELNS0_4arch9wavefront6targetE0EEEvT1_.uses_vcc, 0
	.set _ZN7rocprim17ROCPRIM_400000_NS6detail17trampoline_kernelINS0_14default_configENS1_25partition_config_selectorILNS1_17partition_subalgoE9EllbEEZZNS1_14partition_implILS5_9ELb0ES3_jPlS8_PNS0_10empty_typeENS0_5tupleIJS8_S9_EEENSB_IJS8_SA_EEENS0_18inequality_wrapperIZN2at6native12_GLOBAL__N_124unique_dim_cuda_templateIhEESt5tupleIJNSF_6TensorESK_SK_EERKSK_lbbbEUlllE0_EEPmJS9_EEE10hipError_tPvRmT3_T4_T5_T6_T7_T9_mT8_P12ihipStream_tbDpT10_ENKUlT_T0_E_clISt17integral_constantIbLb0EES1A_EEDaS15_S16_EUlS15_E_NS1_11comp_targetILNS1_3genE2ELNS1_11target_archE906ELNS1_3gpuE6ELNS1_3repE0EEENS1_30default_config_static_selectorELNS0_4arch9wavefront6targetE0EEEvT1_.uses_flat_scratch, 0
	.set _ZN7rocprim17ROCPRIM_400000_NS6detail17trampoline_kernelINS0_14default_configENS1_25partition_config_selectorILNS1_17partition_subalgoE9EllbEEZZNS1_14partition_implILS5_9ELb0ES3_jPlS8_PNS0_10empty_typeENS0_5tupleIJS8_S9_EEENSB_IJS8_SA_EEENS0_18inequality_wrapperIZN2at6native12_GLOBAL__N_124unique_dim_cuda_templateIhEESt5tupleIJNSF_6TensorESK_SK_EERKSK_lbbbEUlllE0_EEPmJS9_EEE10hipError_tPvRmT3_T4_T5_T6_T7_T9_mT8_P12ihipStream_tbDpT10_ENKUlT_T0_E_clISt17integral_constantIbLb0EES1A_EEDaS15_S16_EUlS15_E_NS1_11comp_targetILNS1_3genE2ELNS1_11target_archE906ELNS1_3gpuE6ELNS1_3repE0EEENS1_30default_config_static_selectorELNS0_4arch9wavefront6targetE0EEEvT1_.has_dyn_sized_stack, 0
	.set _ZN7rocprim17ROCPRIM_400000_NS6detail17trampoline_kernelINS0_14default_configENS1_25partition_config_selectorILNS1_17partition_subalgoE9EllbEEZZNS1_14partition_implILS5_9ELb0ES3_jPlS8_PNS0_10empty_typeENS0_5tupleIJS8_S9_EEENSB_IJS8_SA_EEENS0_18inequality_wrapperIZN2at6native12_GLOBAL__N_124unique_dim_cuda_templateIhEESt5tupleIJNSF_6TensorESK_SK_EERKSK_lbbbEUlllE0_EEPmJS9_EEE10hipError_tPvRmT3_T4_T5_T6_T7_T9_mT8_P12ihipStream_tbDpT10_ENKUlT_T0_E_clISt17integral_constantIbLb0EES1A_EEDaS15_S16_EUlS15_E_NS1_11comp_targetILNS1_3genE2ELNS1_11target_archE906ELNS1_3gpuE6ELNS1_3repE0EEENS1_30default_config_static_selectorELNS0_4arch9wavefront6targetE0EEEvT1_.has_recursion, 0
	.set _ZN7rocprim17ROCPRIM_400000_NS6detail17trampoline_kernelINS0_14default_configENS1_25partition_config_selectorILNS1_17partition_subalgoE9EllbEEZZNS1_14partition_implILS5_9ELb0ES3_jPlS8_PNS0_10empty_typeENS0_5tupleIJS8_S9_EEENSB_IJS8_SA_EEENS0_18inequality_wrapperIZN2at6native12_GLOBAL__N_124unique_dim_cuda_templateIhEESt5tupleIJNSF_6TensorESK_SK_EERKSK_lbbbEUlllE0_EEPmJS9_EEE10hipError_tPvRmT3_T4_T5_T6_T7_T9_mT8_P12ihipStream_tbDpT10_ENKUlT_T0_E_clISt17integral_constantIbLb0EES1A_EEDaS15_S16_EUlS15_E_NS1_11comp_targetILNS1_3genE2ELNS1_11target_archE906ELNS1_3gpuE6ELNS1_3repE0EEENS1_30default_config_static_selectorELNS0_4arch9wavefront6targetE0EEEvT1_.has_indirect_call, 0
	.section	.AMDGPU.csdata,"",@progbits
; Kernel info:
; codeLenInByte = 0
; TotalNumSgprs: 0
; NumVgprs: 0
; ScratchSize: 0
; MemoryBound: 0
; FloatMode: 240
; IeeeMode: 1
; LDSByteSize: 0 bytes/workgroup (compile time only)
; SGPRBlocks: 0
; VGPRBlocks: 0
; NumSGPRsForWavesPerEU: 1
; NumVGPRsForWavesPerEU: 1
; NamedBarCnt: 0
; Occupancy: 16
; WaveLimiterHint : 0
; COMPUTE_PGM_RSRC2:SCRATCH_EN: 0
; COMPUTE_PGM_RSRC2:USER_SGPR: 2
; COMPUTE_PGM_RSRC2:TRAP_HANDLER: 0
; COMPUTE_PGM_RSRC2:TGID_X_EN: 1
; COMPUTE_PGM_RSRC2:TGID_Y_EN: 0
; COMPUTE_PGM_RSRC2:TGID_Z_EN: 0
; COMPUTE_PGM_RSRC2:TIDIG_COMP_CNT: 0
	.section	.text._ZN7rocprim17ROCPRIM_400000_NS6detail17trampoline_kernelINS0_14default_configENS1_25partition_config_selectorILNS1_17partition_subalgoE9EllbEEZZNS1_14partition_implILS5_9ELb0ES3_jPlS8_PNS0_10empty_typeENS0_5tupleIJS8_S9_EEENSB_IJS8_SA_EEENS0_18inequality_wrapperIZN2at6native12_GLOBAL__N_124unique_dim_cuda_templateIhEESt5tupleIJNSF_6TensorESK_SK_EERKSK_lbbbEUlllE0_EEPmJS9_EEE10hipError_tPvRmT3_T4_T5_T6_T7_T9_mT8_P12ihipStream_tbDpT10_ENKUlT_T0_E_clISt17integral_constantIbLb0EES1A_EEDaS15_S16_EUlS15_E_NS1_11comp_targetILNS1_3genE10ELNS1_11target_archE1200ELNS1_3gpuE4ELNS1_3repE0EEENS1_30default_config_static_selectorELNS0_4arch9wavefront6targetE0EEEvT1_,"axG",@progbits,_ZN7rocprim17ROCPRIM_400000_NS6detail17trampoline_kernelINS0_14default_configENS1_25partition_config_selectorILNS1_17partition_subalgoE9EllbEEZZNS1_14partition_implILS5_9ELb0ES3_jPlS8_PNS0_10empty_typeENS0_5tupleIJS8_S9_EEENSB_IJS8_SA_EEENS0_18inequality_wrapperIZN2at6native12_GLOBAL__N_124unique_dim_cuda_templateIhEESt5tupleIJNSF_6TensorESK_SK_EERKSK_lbbbEUlllE0_EEPmJS9_EEE10hipError_tPvRmT3_T4_T5_T6_T7_T9_mT8_P12ihipStream_tbDpT10_ENKUlT_T0_E_clISt17integral_constantIbLb0EES1A_EEDaS15_S16_EUlS15_E_NS1_11comp_targetILNS1_3genE10ELNS1_11target_archE1200ELNS1_3gpuE4ELNS1_3repE0EEENS1_30default_config_static_selectorELNS0_4arch9wavefront6targetE0EEEvT1_,comdat
	.globl	_ZN7rocprim17ROCPRIM_400000_NS6detail17trampoline_kernelINS0_14default_configENS1_25partition_config_selectorILNS1_17partition_subalgoE9EllbEEZZNS1_14partition_implILS5_9ELb0ES3_jPlS8_PNS0_10empty_typeENS0_5tupleIJS8_S9_EEENSB_IJS8_SA_EEENS0_18inequality_wrapperIZN2at6native12_GLOBAL__N_124unique_dim_cuda_templateIhEESt5tupleIJNSF_6TensorESK_SK_EERKSK_lbbbEUlllE0_EEPmJS9_EEE10hipError_tPvRmT3_T4_T5_T6_T7_T9_mT8_P12ihipStream_tbDpT10_ENKUlT_T0_E_clISt17integral_constantIbLb0EES1A_EEDaS15_S16_EUlS15_E_NS1_11comp_targetILNS1_3genE10ELNS1_11target_archE1200ELNS1_3gpuE4ELNS1_3repE0EEENS1_30default_config_static_selectorELNS0_4arch9wavefront6targetE0EEEvT1_ ; -- Begin function _ZN7rocprim17ROCPRIM_400000_NS6detail17trampoline_kernelINS0_14default_configENS1_25partition_config_selectorILNS1_17partition_subalgoE9EllbEEZZNS1_14partition_implILS5_9ELb0ES3_jPlS8_PNS0_10empty_typeENS0_5tupleIJS8_S9_EEENSB_IJS8_SA_EEENS0_18inequality_wrapperIZN2at6native12_GLOBAL__N_124unique_dim_cuda_templateIhEESt5tupleIJNSF_6TensorESK_SK_EERKSK_lbbbEUlllE0_EEPmJS9_EEE10hipError_tPvRmT3_T4_T5_T6_T7_T9_mT8_P12ihipStream_tbDpT10_ENKUlT_T0_E_clISt17integral_constantIbLb0EES1A_EEDaS15_S16_EUlS15_E_NS1_11comp_targetILNS1_3genE10ELNS1_11target_archE1200ELNS1_3gpuE4ELNS1_3repE0EEENS1_30default_config_static_selectorELNS0_4arch9wavefront6targetE0EEEvT1_
	.p2align	8
	.type	_ZN7rocprim17ROCPRIM_400000_NS6detail17trampoline_kernelINS0_14default_configENS1_25partition_config_selectorILNS1_17partition_subalgoE9EllbEEZZNS1_14partition_implILS5_9ELb0ES3_jPlS8_PNS0_10empty_typeENS0_5tupleIJS8_S9_EEENSB_IJS8_SA_EEENS0_18inequality_wrapperIZN2at6native12_GLOBAL__N_124unique_dim_cuda_templateIhEESt5tupleIJNSF_6TensorESK_SK_EERKSK_lbbbEUlllE0_EEPmJS9_EEE10hipError_tPvRmT3_T4_T5_T6_T7_T9_mT8_P12ihipStream_tbDpT10_ENKUlT_T0_E_clISt17integral_constantIbLb0EES1A_EEDaS15_S16_EUlS15_E_NS1_11comp_targetILNS1_3genE10ELNS1_11target_archE1200ELNS1_3gpuE4ELNS1_3repE0EEENS1_30default_config_static_selectorELNS0_4arch9wavefront6targetE0EEEvT1_,@function
_ZN7rocprim17ROCPRIM_400000_NS6detail17trampoline_kernelINS0_14default_configENS1_25partition_config_selectorILNS1_17partition_subalgoE9EllbEEZZNS1_14partition_implILS5_9ELb0ES3_jPlS8_PNS0_10empty_typeENS0_5tupleIJS8_S9_EEENSB_IJS8_SA_EEENS0_18inequality_wrapperIZN2at6native12_GLOBAL__N_124unique_dim_cuda_templateIhEESt5tupleIJNSF_6TensorESK_SK_EERKSK_lbbbEUlllE0_EEPmJS9_EEE10hipError_tPvRmT3_T4_T5_T6_T7_T9_mT8_P12ihipStream_tbDpT10_ENKUlT_T0_E_clISt17integral_constantIbLb0EES1A_EEDaS15_S16_EUlS15_E_NS1_11comp_targetILNS1_3genE10ELNS1_11target_archE1200ELNS1_3gpuE4ELNS1_3repE0EEENS1_30default_config_static_selectorELNS0_4arch9wavefront6targetE0EEEvT1_: ; @_ZN7rocprim17ROCPRIM_400000_NS6detail17trampoline_kernelINS0_14default_configENS1_25partition_config_selectorILNS1_17partition_subalgoE9EllbEEZZNS1_14partition_implILS5_9ELb0ES3_jPlS8_PNS0_10empty_typeENS0_5tupleIJS8_S9_EEENSB_IJS8_SA_EEENS0_18inequality_wrapperIZN2at6native12_GLOBAL__N_124unique_dim_cuda_templateIhEESt5tupleIJNSF_6TensorESK_SK_EERKSK_lbbbEUlllE0_EEPmJS9_EEE10hipError_tPvRmT3_T4_T5_T6_T7_T9_mT8_P12ihipStream_tbDpT10_ENKUlT_T0_E_clISt17integral_constantIbLb0EES1A_EEDaS15_S16_EUlS15_E_NS1_11comp_targetILNS1_3genE10ELNS1_11target_archE1200ELNS1_3gpuE4ELNS1_3repE0EEENS1_30default_config_static_selectorELNS0_4arch9wavefront6targetE0EEEvT1_
; %bb.0:
	.section	.rodata,"a",@progbits
	.p2align	6, 0x0
	.amdhsa_kernel _ZN7rocprim17ROCPRIM_400000_NS6detail17trampoline_kernelINS0_14default_configENS1_25partition_config_selectorILNS1_17partition_subalgoE9EllbEEZZNS1_14partition_implILS5_9ELb0ES3_jPlS8_PNS0_10empty_typeENS0_5tupleIJS8_S9_EEENSB_IJS8_SA_EEENS0_18inequality_wrapperIZN2at6native12_GLOBAL__N_124unique_dim_cuda_templateIhEESt5tupleIJNSF_6TensorESK_SK_EERKSK_lbbbEUlllE0_EEPmJS9_EEE10hipError_tPvRmT3_T4_T5_T6_T7_T9_mT8_P12ihipStream_tbDpT10_ENKUlT_T0_E_clISt17integral_constantIbLb0EES1A_EEDaS15_S16_EUlS15_E_NS1_11comp_targetILNS1_3genE10ELNS1_11target_archE1200ELNS1_3gpuE4ELNS1_3repE0EEENS1_30default_config_static_selectorELNS0_4arch9wavefront6targetE0EEEvT1_
		.amdhsa_group_segment_fixed_size 0
		.amdhsa_private_segment_fixed_size 0
		.amdhsa_kernarg_size 120
		.amdhsa_user_sgpr_count 2
		.amdhsa_user_sgpr_dispatch_ptr 0
		.amdhsa_user_sgpr_queue_ptr 0
		.amdhsa_user_sgpr_kernarg_segment_ptr 1
		.amdhsa_user_sgpr_dispatch_id 0
		.amdhsa_user_sgpr_kernarg_preload_length 0
		.amdhsa_user_sgpr_kernarg_preload_offset 0
		.amdhsa_user_sgpr_private_segment_size 0
		.amdhsa_wavefront_size32 1
		.amdhsa_uses_dynamic_stack 0
		.amdhsa_enable_private_segment 0
		.amdhsa_system_sgpr_workgroup_id_x 1
		.amdhsa_system_sgpr_workgroup_id_y 0
		.amdhsa_system_sgpr_workgroup_id_z 0
		.amdhsa_system_sgpr_workgroup_info 0
		.amdhsa_system_vgpr_workitem_id 0
		.amdhsa_next_free_vgpr 1
		.amdhsa_next_free_sgpr 1
		.amdhsa_named_barrier_count 0
		.amdhsa_reserve_vcc 0
		.amdhsa_float_round_mode_32 0
		.amdhsa_float_round_mode_16_64 0
		.amdhsa_float_denorm_mode_32 3
		.amdhsa_float_denorm_mode_16_64 3
		.amdhsa_fp16_overflow 0
		.amdhsa_memory_ordered 1
		.amdhsa_forward_progress 1
		.amdhsa_inst_pref_size 0
		.amdhsa_round_robin_scheduling 0
		.amdhsa_exception_fp_ieee_invalid_op 0
		.amdhsa_exception_fp_denorm_src 0
		.amdhsa_exception_fp_ieee_div_zero 0
		.amdhsa_exception_fp_ieee_overflow 0
		.amdhsa_exception_fp_ieee_underflow 0
		.amdhsa_exception_fp_ieee_inexact 0
		.amdhsa_exception_int_div_zero 0
	.end_amdhsa_kernel
	.section	.text._ZN7rocprim17ROCPRIM_400000_NS6detail17trampoline_kernelINS0_14default_configENS1_25partition_config_selectorILNS1_17partition_subalgoE9EllbEEZZNS1_14partition_implILS5_9ELb0ES3_jPlS8_PNS0_10empty_typeENS0_5tupleIJS8_S9_EEENSB_IJS8_SA_EEENS0_18inequality_wrapperIZN2at6native12_GLOBAL__N_124unique_dim_cuda_templateIhEESt5tupleIJNSF_6TensorESK_SK_EERKSK_lbbbEUlllE0_EEPmJS9_EEE10hipError_tPvRmT3_T4_T5_T6_T7_T9_mT8_P12ihipStream_tbDpT10_ENKUlT_T0_E_clISt17integral_constantIbLb0EES1A_EEDaS15_S16_EUlS15_E_NS1_11comp_targetILNS1_3genE10ELNS1_11target_archE1200ELNS1_3gpuE4ELNS1_3repE0EEENS1_30default_config_static_selectorELNS0_4arch9wavefront6targetE0EEEvT1_,"axG",@progbits,_ZN7rocprim17ROCPRIM_400000_NS6detail17trampoline_kernelINS0_14default_configENS1_25partition_config_selectorILNS1_17partition_subalgoE9EllbEEZZNS1_14partition_implILS5_9ELb0ES3_jPlS8_PNS0_10empty_typeENS0_5tupleIJS8_S9_EEENSB_IJS8_SA_EEENS0_18inequality_wrapperIZN2at6native12_GLOBAL__N_124unique_dim_cuda_templateIhEESt5tupleIJNSF_6TensorESK_SK_EERKSK_lbbbEUlllE0_EEPmJS9_EEE10hipError_tPvRmT3_T4_T5_T6_T7_T9_mT8_P12ihipStream_tbDpT10_ENKUlT_T0_E_clISt17integral_constantIbLb0EES1A_EEDaS15_S16_EUlS15_E_NS1_11comp_targetILNS1_3genE10ELNS1_11target_archE1200ELNS1_3gpuE4ELNS1_3repE0EEENS1_30default_config_static_selectorELNS0_4arch9wavefront6targetE0EEEvT1_,comdat
.Lfunc_end209:
	.size	_ZN7rocprim17ROCPRIM_400000_NS6detail17trampoline_kernelINS0_14default_configENS1_25partition_config_selectorILNS1_17partition_subalgoE9EllbEEZZNS1_14partition_implILS5_9ELb0ES3_jPlS8_PNS0_10empty_typeENS0_5tupleIJS8_S9_EEENSB_IJS8_SA_EEENS0_18inequality_wrapperIZN2at6native12_GLOBAL__N_124unique_dim_cuda_templateIhEESt5tupleIJNSF_6TensorESK_SK_EERKSK_lbbbEUlllE0_EEPmJS9_EEE10hipError_tPvRmT3_T4_T5_T6_T7_T9_mT8_P12ihipStream_tbDpT10_ENKUlT_T0_E_clISt17integral_constantIbLb0EES1A_EEDaS15_S16_EUlS15_E_NS1_11comp_targetILNS1_3genE10ELNS1_11target_archE1200ELNS1_3gpuE4ELNS1_3repE0EEENS1_30default_config_static_selectorELNS0_4arch9wavefront6targetE0EEEvT1_, .Lfunc_end209-_ZN7rocprim17ROCPRIM_400000_NS6detail17trampoline_kernelINS0_14default_configENS1_25partition_config_selectorILNS1_17partition_subalgoE9EllbEEZZNS1_14partition_implILS5_9ELb0ES3_jPlS8_PNS0_10empty_typeENS0_5tupleIJS8_S9_EEENSB_IJS8_SA_EEENS0_18inequality_wrapperIZN2at6native12_GLOBAL__N_124unique_dim_cuda_templateIhEESt5tupleIJNSF_6TensorESK_SK_EERKSK_lbbbEUlllE0_EEPmJS9_EEE10hipError_tPvRmT3_T4_T5_T6_T7_T9_mT8_P12ihipStream_tbDpT10_ENKUlT_T0_E_clISt17integral_constantIbLb0EES1A_EEDaS15_S16_EUlS15_E_NS1_11comp_targetILNS1_3genE10ELNS1_11target_archE1200ELNS1_3gpuE4ELNS1_3repE0EEENS1_30default_config_static_selectorELNS0_4arch9wavefront6targetE0EEEvT1_
                                        ; -- End function
	.set _ZN7rocprim17ROCPRIM_400000_NS6detail17trampoline_kernelINS0_14default_configENS1_25partition_config_selectorILNS1_17partition_subalgoE9EllbEEZZNS1_14partition_implILS5_9ELb0ES3_jPlS8_PNS0_10empty_typeENS0_5tupleIJS8_S9_EEENSB_IJS8_SA_EEENS0_18inequality_wrapperIZN2at6native12_GLOBAL__N_124unique_dim_cuda_templateIhEESt5tupleIJNSF_6TensorESK_SK_EERKSK_lbbbEUlllE0_EEPmJS9_EEE10hipError_tPvRmT3_T4_T5_T6_T7_T9_mT8_P12ihipStream_tbDpT10_ENKUlT_T0_E_clISt17integral_constantIbLb0EES1A_EEDaS15_S16_EUlS15_E_NS1_11comp_targetILNS1_3genE10ELNS1_11target_archE1200ELNS1_3gpuE4ELNS1_3repE0EEENS1_30default_config_static_selectorELNS0_4arch9wavefront6targetE0EEEvT1_.num_vgpr, 0
	.set _ZN7rocprim17ROCPRIM_400000_NS6detail17trampoline_kernelINS0_14default_configENS1_25partition_config_selectorILNS1_17partition_subalgoE9EllbEEZZNS1_14partition_implILS5_9ELb0ES3_jPlS8_PNS0_10empty_typeENS0_5tupleIJS8_S9_EEENSB_IJS8_SA_EEENS0_18inequality_wrapperIZN2at6native12_GLOBAL__N_124unique_dim_cuda_templateIhEESt5tupleIJNSF_6TensorESK_SK_EERKSK_lbbbEUlllE0_EEPmJS9_EEE10hipError_tPvRmT3_T4_T5_T6_T7_T9_mT8_P12ihipStream_tbDpT10_ENKUlT_T0_E_clISt17integral_constantIbLb0EES1A_EEDaS15_S16_EUlS15_E_NS1_11comp_targetILNS1_3genE10ELNS1_11target_archE1200ELNS1_3gpuE4ELNS1_3repE0EEENS1_30default_config_static_selectorELNS0_4arch9wavefront6targetE0EEEvT1_.num_agpr, 0
	.set _ZN7rocprim17ROCPRIM_400000_NS6detail17trampoline_kernelINS0_14default_configENS1_25partition_config_selectorILNS1_17partition_subalgoE9EllbEEZZNS1_14partition_implILS5_9ELb0ES3_jPlS8_PNS0_10empty_typeENS0_5tupleIJS8_S9_EEENSB_IJS8_SA_EEENS0_18inequality_wrapperIZN2at6native12_GLOBAL__N_124unique_dim_cuda_templateIhEESt5tupleIJNSF_6TensorESK_SK_EERKSK_lbbbEUlllE0_EEPmJS9_EEE10hipError_tPvRmT3_T4_T5_T6_T7_T9_mT8_P12ihipStream_tbDpT10_ENKUlT_T0_E_clISt17integral_constantIbLb0EES1A_EEDaS15_S16_EUlS15_E_NS1_11comp_targetILNS1_3genE10ELNS1_11target_archE1200ELNS1_3gpuE4ELNS1_3repE0EEENS1_30default_config_static_selectorELNS0_4arch9wavefront6targetE0EEEvT1_.numbered_sgpr, 0
	.set _ZN7rocprim17ROCPRIM_400000_NS6detail17trampoline_kernelINS0_14default_configENS1_25partition_config_selectorILNS1_17partition_subalgoE9EllbEEZZNS1_14partition_implILS5_9ELb0ES3_jPlS8_PNS0_10empty_typeENS0_5tupleIJS8_S9_EEENSB_IJS8_SA_EEENS0_18inequality_wrapperIZN2at6native12_GLOBAL__N_124unique_dim_cuda_templateIhEESt5tupleIJNSF_6TensorESK_SK_EERKSK_lbbbEUlllE0_EEPmJS9_EEE10hipError_tPvRmT3_T4_T5_T6_T7_T9_mT8_P12ihipStream_tbDpT10_ENKUlT_T0_E_clISt17integral_constantIbLb0EES1A_EEDaS15_S16_EUlS15_E_NS1_11comp_targetILNS1_3genE10ELNS1_11target_archE1200ELNS1_3gpuE4ELNS1_3repE0EEENS1_30default_config_static_selectorELNS0_4arch9wavefront6targetE0EEEvT1_.num_named_barrier, 0
	.set _ZN7rocprim17ROCPRIM_400000_NS6detail17trampoline_kernelINS0_14default_configENS1_25partition_config_selectorILNS1_17partition_subalgoE9EllbEEZZNS1_14partition_implILS5_9ELb0ES3_jPlS8_PNS0_10empty_typeENS0_5tupleIJS8_S9_EEENSB_IJS8_SA_EEENS0_18inequality_wrapperIZN2at6native12_GLOBAL__N_124unique_dim_cuda_templateIhEESt5tupleIJNSF_6TensorESK_SK_EERKSK_lbbbEUlllE0_EEPmJS9_EEE10hipError_tPvRmT3_T4_T5_T6_T7_T9_mT8_P12ihipStream_tbDpT10_ENKUlT_T0_E_clISt17integral_constantIbLb0EES1A_EEDaS15_S16_EUlS15_E_NS1_11comp_targetILNS1_3genE10ELNS1_11target_archE1200ELNS1_3gpuE4ELNS1_3repE0EEENS1_30default_config_static_selectorELNS0_4arch9wavefront6targetE0EEEvT1_.private_seg_size, 0
	.set _ZN7rocprim17ROCPRIM_400000_NS6detail17trampoline_kernelINS0_14default_configENS1_25partition_config_selectorILNS1_17partition_subalgoE9EllbEEZZNS1_14partition_implILS5_9ELb0ES3_jPlS8_PNS0_10empty_typeENS0_5tupleIJS8_S9_EEENSB_IJS8_SA_EEENS0_18inequality_wrapperIZN2at6native12_GLOBAL__N_124unique_dim_cuda_templateIhEESt5tupleIJNSF_6TensorESK_SK_EERKSK_lbbbEUlllE0_EEPmJS9_EEE10hipError_tPvRmT3_T4_T5_T6_T7_T9_mT8_P12ihipStream_tbDpT10_ENKUlT_T0_E_clISt17integral_constantIbLb0EES1A_EEDaS15_S16_EUlS15_E_NS1_11comp_targetILNS1_3genE10ELNS1_11target_archE1200ELNS1_3gpuE4ELNS1_3repE0EEENS1_30default_config_static_selectorELNS0_4arch9wavefront6targetE0EEEvT1_.uses_vcc, 0
	.set _ZN7rocprim17ROCPRIM_400000_NS6detail17trampoline_kernelINS0_14default_configENS1_25partition_config_selectorILNS1_17partition_subalgoE9EllbEEZZNS1_14partition_implILS5_9ELb0ES3_jPlS8_PNS0_10empty_typeENS0_5tupleIJS8_S9_EEENSB_IJS8_SA_EEENS0_18inequality_wrapperIZN2at6native12_GLOBAL__N_124unique_dim_cuda_templateIhEESt5tupleIJNSF_6TensorESK_SK_EERKSK_lbbbEUlllE0_EEPmJS9_EEE10hipError_tPvRmT3_T4_T5_T6_T7_T9_mT8_P12ihipStream_tbDpT10_ENKUlT_T0_E_clISt17integral_constantIbLb0EES1A_EEDaS15_S16_EUlS15_E_NS1_11comp_targetILNS1_3genE10ELNS1_11target_archE1200ELNS1_3gpuE4ELNS1_3repE0EEENS1_30default_config_static_selectorELNS0_4arch9wavefront6targetE0EEEvT1_.uses_flat_scratch, 0
	.set _ZN7rocprim17ROCPRIM_400000_NS6detail17trampoline_kernelINS0_14default_configENS1_25partition_config_selectorILNS1_17partition_subalgoE9EllbEEZZNS1_14partition_implILS5_9ELb0ES3_jPlS8_PNS0_10empty_typeENS0_5tupleIJS8_S9_EEENSB_IJS8_SA_EEENS0_18inequality_wrapperIZN2at6native12_GLOBAL__N_124unique_dim_cuda_templateIhEESt5tupleIJNSF_6TensorESK_SK_EERKSK_lbbbEUlllE0_EEPmJS9_EEE10hipError_tPvRmT3_T4_T5_T6_T7_T9_mT8_P12ihipStream_tbDpT10_ENKUlT_T0_E_clISt17integral_constantIbLb0EES1A_EEDaS15_S16_EUlS15_E_NS1_11comp_targetILNS1_3genE10ELNS1_11target_archE1200ELNS1_3gpuE4ELNS1_3repE0EEENS1_30default_config_static_selectorELNS0_4arch9wavefront6targetE0EEEvT1_.has_dyn_sized_stack, 0
	.set _ZN7rocprim17ROCPRIM_400000_NS6detail17trampoline_kernelINS0_14default_configENS1_25partition_config_selectorILNS1_17partition_subalgoE9EllbEEZZNS1_14partition_implILS5_9ELb0ES3_jPlS8_PNS0_10empty_typeENS0_5tupleIJS8_S9_EEENSB_IJS8_SA_EEENS0_18inequality_wrapperIZN2at6native12_GLOBAL__N_124unique_dim_cuda_templateIhEESt5tupleIJNSF_6TensorESK_SK_EERKSK_lbbbEUlllE0_EEPmJS9_EEE10hipError_tPvRmT3_T4_T5_T6_T7_T9_mT8_P12ihipStream_tbDpT10_ENKUlT_T0_E_clISt17integral_constantIbLb0EES1A_EEDaS15_S16_EUlS15_E_NS1_11comp_targetILNS1_3genE10ELNS1_11target_archE1200ELNS1_3gpuE4ELNS1_3repE0EEENS1_30default_config_static_selectorELNS0_4arch9wavefront6targetE0EEEvT1_.has_recursion, 0
	.set _ZN7rocprim17ROCPRIM_400000_NS6detail17trampoline_kernelINS0_14default_configENS1_25partition_config_selectorILNS1_17partition_subalgoE9EllbEEZZNS1_14partition_implILS5_9ELb0ES3_jPlS8_PNS0_10empty_typeENS0_5tupleIJS8_S9_EEENSB_IJS8_SA_EEENS0_18inequality_wrapperIZN2at6native12_GLOBAL__N_124unique_dim_cuda_templateIhEESt5tupleIJNSF_6TensorESK_SK_EERKSK_lbbbEUlllE0_EEPmJS9_EEE10hipError_tPvRmT3_T4_T5_T6_T7_T9_mT8_P12ihipStream_tbDpT10_ENKUlT_T0_E_clISt17integral_constantIbLb0EES1A_EEDaS15_S16_EUlS15_E_NS1_11comp_targetILNS1_3genE10ELNS1_11target_archE1200ELNS1_3gpuE4ELNS1_3repE0EEENS1_30default_config_static_selectorELNS0_4arch9wavefront6targetE0EEEvT1_.has_indirect_call, 0
	.section	.AMDGPU.csdata,"",@progbits
; Kernel info:
; codeLenInByte = 0
; TotalNumSgprs: 0
; NumVgprs: 0
; ScratchSize: 0
; MemoryBound: 0
; FloatMode: 240
; IeeeMode: 1
; LDSByteSize: 0 bytes/workgroup (compile time only)
; SGPRBlocks: 0
; VGPRBlocks: 0
; NumSGPRsForWavesPerEU: 1
; NumVGPRsForWavesPerEU: 1
; NamedBarCnt: 0
; Occupancy: 16
; WaveLimiterHint : 0
; COMPUTE_PGM_RSRC2:SCRATCH_EN: 0
; COMPUTE_PGM_RSRC2:USER_SGPR: 2
; COMPUTE_PGM_RSRC2:TRAP_HANDLER: 0
; COMPUTE_PGM_RSRC2:TGID_X_EN: 1
; COMPUTE_PGM_RSRC2:TGID_Y_EN: 0
; COMPUTE_PGM_RSRC2:TGID_Z_EN: 0
; COMPUTE_PGM_RSRC2:TIDIG_COMP_CNT: 0
	.section	.text._ZN7rocprim17ROCPRIM_400000_NS6detail17trampoline_kernelINS0_14default_configENS1_25partition_config_selectorILNS1_17partition_subalgoE9EllbEEZZNS1_14partition_implILS5_9ELb0ES3_jPlS8_PNS0_10empty_typeENS0_5tupleIJS8_S9_EEENSB_IJS8_SA_EEENS0_18inequality_wrapperIZN2at6native12_GLOBAL__N_124unique_dim_cuda_templateIhEESt5tupleIJNSF_6TensorESK_SK_EERKSK_lbbbEUlllE0_EEPmJS9_EEE10hipError_tPvRmT3_T4_T5_T6_T7_T9_mT8_P12ihipStream_tbDpT10_ENKUlT_T0_E_clISt17integral_constantIbLb0EES1A_EEDaS15_S16_EUlS15_E_NS1_11comp_targetILNS1_3genE9ELNS1_11target_archE1100ELNS1_3gpuE3ELNS1_3repE0EEENS1_30default_config_static_selectorELNS0_4arch9wavefront6targetE0EEEvT1_,"axG",@progbits,_ZN7rocprim17ROCPRIM_400000_NS6detail17trampoline_kernelINS0_14default_configENS1_25partition_config_selectorILNS1_17partition_subalgoE9EllbEEZZNS1_14partition_implILS5_9ELb0ES3_jPlS8_PNS0_10empty_typeENS0_5tupleIJS8_S9_EEENSB_IJS8_SA_EEENS0_18inequality_wrapperIZN2at6native12_GLOBAL__N_124unique_dim_cuda_templateIhEESt5tupleIJNSF_6TensorESK_SK_EERKSK_lbbbEUlllE0_EEPmJS9_EEE10hipError_tPvRmT3_T4_T5_T6_T7_T9_mT8_P12ihipStream_tbDpT10_ENKUlT_T0_E_clISt17integral_constantIbLb0EES1A_EEDaS15_S16_EUlS15_E_NS1_11comp_targetILNS1_3genE9ELNS1_11target_archE1100ELNS1_3gpuE3ELNS1_3repE0EEENS1_30default_config_static_selectorELNS0_4arch9wavefront6targetE0EEEvT1_,comdat
	.globl	_ZN7rocprim17ROCPRIM_400000_NS6detail17trampoline_kernelINS0_14default_configENS1_25partition_config_selectorILNS1_17partition_subalgoE9EllbEEZZNS1_14partition_implILS5_9ELb0ES3_jPlS8_PNS0_10empty_typeENS0_5tupleIJS8_S9_EEENSB_IJS8_SA_EEENS0_18inequality_wrapperIZN2at6native12_GLOBAL__N_124unique_dim_cuda_templateIhEESt5tupleIJNSF_6TensorESK_SK_EERKSK_lbbbEUlllE0_EEPmJS9_EEE10hipError_tPvRmT3_T4_T5_T6_T7_T9_mT8_P12ihipStream_tbDpT10_ENKUlT_T0_E_clISt17integral_constantIbLb0EES1A_EEDaS15_S16_EUlS15_E_NS1_11comp_targetILNS1_3genE9ELNS1_11target_archE1100ELNS1_3gpuE3ELNS1_3repE0EEENS1_30default_config_static_selectorELNS0_4arch9wavefront6targetE0EEEvT1_ ; -- Begin function _ZN7rocprim17ROCPRIM_400000_NS6detail17trampoline_kernelINS0_14default_configENS1_25partition_config_selectorILNS1_17partition_subalgoE9EllbEEZZNS1_14partition_implILS5_9ELb0ES3_jPlS8_PNS0_10empty_typeENS0_5tupleIJS8_S9_EEENSB_IJS8_SA_EEENS0_18inequality_wrapperIZN2at6native12_GLOBAL__N_124unique_dim_cuda_templateIhEESt5tupleIJNSF_6TensorESK_SK_EERKSK_lbbbEUlllE0_EEPmJS9_EEE10hipError_tPvRmT3_T4_T5_T6_T7_T9_mT8_P12ihipStream_tbDpT10_ENKUlT_T0_E_clISt17integral_constantIbLb0EES1A_EEDaS15_S16_EUlS15_E_NS1_11comp_targetILNS1_3genE9ELNS1_11target_archE1100ELNS1_3gpuE3ELNS1_3repE0EEENS1_30default_config_static_selectorELNS0_4arch9wavefront6targetE0EEEvT1_
	.p2align	8
	.type	_ZN7rocprim17ROCPRIM_400000_NS6detail17trampoline_kernelINS0_14default_configENS1_25partition_config_selectorILNS1_17partition_subalgoE9EllbEEZZNS1_14partition_implILS5_9ELb0ES3_jPlS8_PNS0_10empty_typeENS0_5tupleIJS8_S9_EEENSB_IJS8_SA_EEENS0_18inequality_wrapperIZN2at6native12_GLOBAL__N_124unique_dim_cuda_templateIhEESt5tupleIJNSF_6TensorESK_SK_EERKSK_lbbbEUlllE0_EEPmJS9_EEE10hipError_tPvRmT3_T4_T5_T6_T7_T9_mT8_P12ihipStream_tbDpT10_ENKUlT_T0_E_clISt17integral_constantIbLb0EES1A_EEDaS15_S16_EUlS15_E_NS1_11comp_targetILNS1_3genE9ELNS1_11target_archE1100ELNS1_3gpuE3ELNS1_3repE0EEENS1_30default_config_static_selectorELNS0_4arch9wavefront6targetE0EEEvT1_,@function
_ZN7rocprim17ROCPRIM_400000_NS6detail17trampoline_kernelINS0_14default_configENS1_25partition_config_selectorILNS1_17partition_subalgoE9EllbEEZZNS1_14partition_implILS5_9ELb0ES3_jPlS8_PNS0_10empty_typeENS0_5tupleIJS8_S9_EEENSB_IJS8_SA_EEENS0_18inequality_wrapperIZN2at6native12_GLOBAL__N_124unique_dim_cuda_templateIhEESt5tupleIJNSF_6TensorESK_SK_EERKSK_lbbbEUlllE0_EEPmJS9_EEE10hipError_tPvRmT3_T4_T5_T6_T7_T9_mT8_P12ihipStream_tbDpT10_ENKUlT_T0_E_clISt17integral_constantIbLb0EES1A_EEDaS15_S16_EUlS15_E_NS1_11comp_targetILNS1_3genE9ELNS1_11target_archE1100ELNS1_3gpuE3ELNS1_3repE0EEENS1_30default_config_static_selectorELNS0_4arch9wavefront6targetE0EEEvT1_: ; @_ZN7rocprim17ROCPRIM_400000_NS6detail17trampoline_kernelINS0_14default_configENS1_25partition_config_selectorILNS1_17partition_subalgoE9EllbEEZZNS1_14partition_implILS5_9ELb0ES3_jPlS8_PNS0_10empty_typeENS0_5tupleIJS8_S9_EEENSB_IJS8_SA_EEENS0_18inequality_wrapperIZN2at6native12_GLOBAL__N_124unique_dim_cuda_templateIhEESt5tupleIJNSF_6TensorESK_SK_EERKSK_lbbbEUlllE0_EEPmJS9_EEE10hipError_tPvRmT3_T4_T5_T6_T7_T9_mT8_P12ihipStream_tbDpT10_ENKUlT_T0_E_clISt17integral_constantIbLb0EES1A_EEDaS15_S16_EUlS15_E_NS1_11comp_targetILNS1_3genE9ELNS1_11target_archE1100ELNS1_3gpuE3ELNS1_3repE0EEENS1_30default_config_static_selectorELNS0_4arch9wavefront6targetE0EEEvT1_
; %bb.0:
	.section	.rodata,"a",@progbits
	.p2align	6, 0x0
	.amdhsa_kernel _ZN7rocprim17ROCPRIM_400000_NS6detail17trampoline_kernelINS0_14default_configENS1_25partition_config_selectorILNS1_17partition_subalgoE9EllbEEZZNS1_14partition_implILS5_9ELb0ES3_jPlS8_PNS0_10empty_typeENS0_5tupleIJS8_S9_EEENSB_IJS8_SA_EEENS0_18inequality_wrapperIZN2at6native12_GLOBAL__N_124unique_dim_cuda_templateIhEESt5tupleIJNSF_6TensorESK_SK_EERKSK_lbbbEUlllE0_EEPmJS9_EEE10hipError_tPvRmT3_T4_T5_T6_T7_T9_mT8_P12ihipStream_tbDpT10_ENKUlT_T0_E_clISt17integral_constantIbLb0EES1A_EEDaS15_S16_EUlS15_E_NS1_11comp_targetILNS1_3genE9ELNS1_11target_archE1100ELNS1_3gpuE3ELNS1_3repE0EEENS1_30default_config_static_selectorELNS0_4arch9wavefront6targetE0EEEvT1_
		.amdhsa_group_segment_fixed_size 0
		.amdhsa_private_segment_fixed_size 0
		.amdhsa_kernarg_size 120
		.amdhsa_user_sgpr_count 2
		.amdhsa_user_sgpr_dispatch_ptr 0
		.amdhsa_user_sgpr_queue_ptr 0
		.amdhsa_user_sgpr_kernarg_segment_ptr 1
		.amdhsa_user_sgpr_dispatch_id 0
		.amdhsa_user_sgpr_kernarg_preload_length 0
		.amdhsa_user_sgpr_kernarg_preload_offset 0
		.amdhsa_user_sgpr_private_segment_size 0
		.amdhsa_wavefront_size32 1
		.amdhsa_uses_dynamic_stack 0
		.amdhsa_enable_private_segment 0
		.amdhsa_system_sgpr_workgroup_id_x 1
		.amdhsa_system_sgpr_workgroup_id_y 0
		.amdhsa_system_sgpr_workgroup_id_z 0
		.amdhsa_system_sgpr_workgroup_info 0
		.amdhsa_system_vgpr_workitem_id 0
		.amdhsa_next_free_vgpr 1
		.amdhsa_next_free_sgpr 1
		.amdhsa_named_barrier_count 0
		.amdhsa_reserve_vcc 0
		.amdhsa_float_round_mode_32 0
		.amdhsa_float_round_mode_16_64 0
		.amdhsa_float_denorm_mode_32 3
		.amdhsa_float_denorm_mode_16_64 3
		.amdhsa_fp16_overflow 0
		.amdhsa_memory_ordered 1
		.amdhsa_forward_progress 1
		.amdhsa_inst_pref_size 0
		.amdhsa_round_robin_scheduling 0
		.amdhsa_exception_fp_ieee_invalid_op 0
		.amdhsa_exception_fp_denorm_src 0
		.amdhsa_exception_fp_ieee_div_zero 0
		.amdhsa_exception_fp_ieee_overflow 0
		.amdhsa_exception_fp_ieee_underflow 0
		.amdhsa_exception_fp_ieee_inexact 0
		.amdhsa_exception_int_div_zero 0
	.end_amdhsa_kernel
	.section	.text._ZN7rocprim17ROCPRIM_400000_NS6detail17trampoline_kernelINS0_14default_configENS1_25partition_config_selectorILNS1_17partition_subalgoE9EllbEEZZNS1_14partition_implILS5_9ELb0ES3_jPlS8_PNS0_10empty_typeENS0_5tupleIJS8_S9_EEENSB_IJS8_SA_EEENS0_18inequality_wrapperIZN2at6native12_GLOBAL__N_124unique_dim_cuda_templateIhEESt5tupleIJNSF_6TensorESK_SK_EERKSK_lbbbEUlllE0_EEPmJS9_EEE10hipError_tPvRmT3_T4_T5_T6_T7_T9_mT8_P12ihipStream_tbDpT10_ENKUlT_T0_E_clISt17integral_constantIbLb0EES1A_EEDaS15_S16_EUlS15_E_NS1_11comp_targetILNS1_3genE9ELNS1_11target_archE1100ELNS1_3gpuE3ELNS1_3repE0EEENS1_30default_config_static_selectorELNS0_4arch9wavefront6targetE0EEEvT1_,"axG",@progbits,_ZN7rocprim17ROCPRIM_400000_NS6detail17trampoline_kernelINS0_14default_configENS1_25partition_config_selectorILNS1_17partition_subalgoE9EllbEEZZNS1_14partition_implILS5_9ELb0ES3_jPlS8_PNS0_10empty_typeENS0_5tupleIJS8_S9_EEENSB_IJS8_SA_EEENS0_18inequality_wrapperIZN2at6native12_GLOBAL__N_124unique_dim_cuda_templateIhEESt5tupleIJNSF_6TensorESK_SK_EERKSK_lbbbEUlllE0_EEPmJS9_EEE10hipError_tPvRmT3_T4_T5_T6_T7_T9_mT8_P12ihipStream_tbDpT10_ENKUlT_T0_E_clISt17integral_constantIbLb0EES1A_EEDaS15_S16_EUlS15_E_NS1_11comp_targetILNS1_3genE9ELNS1_11target_archE1100ELNS1_3gpuE3ELNS1_3repE0EEENS1_30default_config_static_selectorELNS0_4arch9wavefront6targetE0EEEvT1_,comdat
.Lfunc_end210:
	.size	_ZN7rocprim17ROCPRIM_400000_NS6detail17trampoline_kernelINS0_14default_configENS1_25partition_config_selectorILNS1_17partition_subalgoE9EllbEEZZNS1_14partition_implILS5_9ELb0ES3_jPlS8_PNS0_10empty_typeENS0_5tupleIJS8_S9_EEENSB_IJS8_SA_EEENS0_18inequality_wrapperIZN2at6native12_GLOBAL__N_124unique_dim_cuda_templateIhEESt5tupleIJNSF_6TensorESK_SK_EERKSK_lbbbEUlllE0_EEPmJS9_EEE10hipError_tPvRmT3_T4_T5_T6_T7_T9_mT8_P12ihipStream_tbDpT10_ENKUlT_T0_E_clISt17integral_constantIbLb0EES1A_EEDaS15_S16_EUlS15_E_NS1_11comp_targetILNS1_3genE9ELNS1_11target_archE1100ELNS1_3gpuE3ELNS1_3repE0EEENS1_30default_config_static_selectorELNS0_4arch9wavefront6targetE0EEEvT1_, .Lfunc_end210-_ZN7rocprim17ROCPRIM_400000_NS6detail17trampoline_kernelINS0_14default_configENS1_25partition_config_selectorILNS1_17partition_subalgoE9EllbEEZZNS1_14partition_implILS5_9ELb0ES3_jPlS8_PNS0_10empty_typeENS0_5tupleIJS8_S9_EEENSB_IJS8_SA_EEENS0_18inequality_wrapperIZN2at6native12_GLOBAL__N_124unique_dim_cuda_templateIhEESt5tupleIJNSF_6TensorESK_SK_EERKSK_lbbbEUlllE0_EEPmJS9_EEE10hipError_tPvRmT3_T4_T5_T6_T7_T9_mT8_P12ihipStream_tbDpT10_ENKUlT_T0_E_clISt17integral_constantIbLb0EES1A_EEDaS15_S16_EUlS15_E_NS1_11comp_targetILNS1_3genE9ELNS1_11target_archE1100ELNS1_3gpuE3ELNS1_3repE0EEENS1_30default_config_static_selectorELNS0_4arch9wavefront6targetE0EEEvT1_
                                        ; -- End function
	.set _ZN7rocprim17ROCPRIM_400000_NS6detail17trampoline_kernelINS0_14default_configENS1_25partition_config_selectorILNS1_17partition_subalgoE9EllbEEZZNS1_14partition_implILS5_9ELb0ES3_jPlS8_PNS0_10empty_typeENS0_5tupleIJS8_S9_EEENSB_IJS8_SA_EEENS0_18inequality_wrapperIZN2at6native12_GLOBAL__N_124unique_dim_cuda_templateIhEESt5tupleIJNSF_6TensorESK_SK_EERKSK_lbbbEUlllE0_EEPmJS9_EEE10hipError_tPvRmT3_T4_T5_T6_T7_T9_mT8_P12ihipStream_tbDpT10_ENKUlT_T0_E_clISt17integral_constantIbLb0EES1A_EEDaS15_S16_EUlS15_E_NS1_11comp_targetILNS1_3genE9ELNS1_11target_archE1100ELNS1_3gpuE3ELNS1_3repE0EEENS1_30default_config_static_selectorELNS0_4arch9wavefront6targetE0EEEvT1_.num_vgpr, 0
	.set _ZN7rocprim17ROCPRIM_400000_NS6detail17trampoline_kernelINS0_14default_configENS1_25partition_config_selectorILNS1_17partition_subalgoE9EllbEEZZNS1_14partition_implILS5_9ELb0ES3_jPlS8_PNS0_10empty_typeENS0_5tupleIJS8_S9_EEENSB_IJS8_SA_EEENS0_18inequality_wrapperIZN2at6native12_GLOBAL__N_124unique_dim_cuda_templateIhEESt5tupleIJNSF_6TensorESK_SK_EERKSK_lbbbEUlllE0_EEPmJS9_EEE10hipError_tPvRmT3_T4_T5_T6_T7_T9_mT8_P12ihipStream_tbDpT10_ENKUlT_T0_E_clISt17integral_constantIbLb0EES1A_EEDaS15_S16_EUlS15_E_NS1_11comp_targetILNS1_3genE9ELNS1_11target_archE1100ELNS1_3gpuE3ELNS1_3repE0EEENS1_30default_config_static_selectorELNS0_4arch9wavefront6targetE0EEEvT1_.num_agpr, 0
	.set _ZN7rocprim17ROCPRIM_400000_NS6detail17trampoline_kernelINS0_14default_configENS1_25partition_config_selectorILNS1_17partition_subalgoE9EllbEEZZNS1_14partition_implILS5_9ELb0ES3_jPlS8_PNS0_10empty_typeENS0_5tupleIJS8_S9_EEENSB_IJS8_SA_EEENS0_18inequality_wrapperIZN2at6native12_GLOBAL__N_124unique_dim_cuda_templateIhEESt5tupleIJNSF_6TensorESK_SK_EERKSK_lbbbEUlllE0_EEPmJS9_EEE10hipError_tPvRmT3_T4_T5_T6_T7_T9_mT8_P12ihipStream_tbDpT10_ENKUlT_T0_E_clISt17integral_constantIbLb0EES1A_EEDaS15_S16_EUlS15_E_NS1_11comp_targetILNS1_3genE9ELNS1_11target_archE1100ELNS1_3gpuE3ELNS1_3repE0EEENS1_30default_config_static_selectorELNS0_4arch9wavefront6targetE0EEEvT1_.numbered_sgpr, 0
	.set _ZN7rocprim17ROCPRIM_400000_NS6detail17trampoline_kernelINS0_14default_configENS1_25partition_config_selectorILNS1_17partition_subalgoE9EllbEEZZNS1_14partition_implILS5_9ELb0ES3_jPlS8_PNS0_10empty_typeENS0_5tupleIJS8_S9_EEENSB_IJS8_SA_EEENS0_18inequality_wrapperIZN2at6native12_GLOBAL__N_124unique_dim_cuda_templateIhEESt5tupleIJNSF_6TensorESK_SK_EERKSK_lbbbEUlllE0_EEPmJS9_EEE10hipError_tPvRmT3_T4_T5_T6_T7_T9_mT8_P12ihipStream_tbDpT10_ENKUlT_T0_E_clISt17integral_constantIbLb0EES1A_EEDaS15_S16_EUlS15_E_NS1_11comp_targetILNS1_3genE9ELNS1_11target_archE1100ELNS1_3gpuE3ELNS1_3repE0EEENS1_30default_config_static_selectorELNS0_4arch9wavefront6targetE0EEEvT1_.num_named_barrier, 0
	.set _ZN7rocprim17ROCPRIM_400000_NS6detail17trampoline_kernelINS0_14default_configENS1_25partition_config_selectorILNS1_17partition_subalgoE9EllbEEZZNS1_14partition_implILS5_9ELb0ES3_jPlS8_PNS0_10empty_typeENS0_5tupleIJS8_S9_EEENSB_IJS8_SA_EEENS0_18inequality_wrapperIZN2at6native12_GLOBAL__N_124unique_dim_cuda_templateIhEESt5tupleIJNSF_6TensorESK_SK_EERKSK_lbbbEUlllE0_EEPmJS9_EEE10hipError_tPvRmT3_T4_T5_T6_T7_T9_mT8_P12ihipStream_tbDpT10_ENKUlT_T0_E_clISt17integral_constantIbLb0EES1A_EEDaS15_S16_EUlS15_E_NS1_11comp_targetILNS1_3genE9ELNS1_11target_archE1100ELNS1_3gpuE3ELNS1_3repE0EEENS1_30default_config_static_selectorELNS0_4arch9wavefront6targetE0EEEvT1_.private_seg_size, 0
	.set _ZN7rocprim17ROCPRIM_400000_NS6detail17trampoline_kernelINS0_14default_configENS1_25partition_config_selectorILNS1_17partition_subalgoE9EllbEEZZNS1_14partition_implILS5_9ELb0ES3_jPlS8_PNS0_10empty_typeENS0_5tupleIJS8_S9_EEENSB_IJS8_SA_EEENS0_18inequality_wrapperIZN2at6native12_GLOBAL__N_124unique_dim_cuda_templateIhEESt5tupleIJNSF_6TensorESK_SK_EERKSK_lbbbEUlllE0_EEPmJS9_EEE10hipError_tPvRmT3_T4_T5_T6_T7_T9_mT8_P12ihipStream_tbDpT10_ENKUlT_T0_E_clISt17integral_constantIbLb0EES1A_EEDaS15_S16_EUlS15_E_NS1_11comp_targetILNS1_3genE9ELNS1_11target_archE1100ELNS1_3gpuE3ELNS1_3repE0EEENS1_30default_config_static_selectorELNS0_4arch9wavefront6targetE0EEEvT1_.uses_vcc, 0
	.set _ZN7rocprim17ROCPRIM_400000_NS6detail17trampoline_kernelINS0_14default_configENS1_25partition_config_selectorILNS1_17partition_subalgoE9EllbEEZZNS1_14partition_implILS5_9ELb0ES3_jPlS8_PNS0_10empty_typeENS0_5tupleIJS8_S9_EEENSB_IJS8_SA_EEENS0_18inequality_wrapperIZN2at6native12_GLOBAL__N_124unique_dim_cuda_templateIhEESt5tupleIJNSF_6TensorESK_SK_EERKSK_lbbbEUlllE0_EEPmJS9_EEE10hipError_tPvRmT3_T4_T5_T6_T7_T9_mT8_P12ihipStream_tbDpT10_ENKUlT_T0_E_clISt17integral_constantIbLb0EES1A_EEDaS15_S16_EUlS15_E_NS1_11comp_targetILNS1_3genE9ELNS1_11target_archE1100ELNS1_3gpuE3ELNS1_3repE0EEENS1_30default_config_static_selectorELNS0_4arch9wavefront6targetE0EEEvT1_.uses_flat_scratch, 0
	.set _ZN7rocprim17ROCPRIM_400000_NS6detail17trampoline_kernelINS0_14default_configENS1_25partition_config_selectorILNS1_17partition_subalgoE9EllbEEZZNS1_14partition_implILS5_9ELb0ES3_jPlS8_PNS0_10empty_typeENS0_5tupleIJS8_S9_EEENSB_IJS8_SA_EEENS0_18inequality_wrapperIZN2at6native12_GLOBAL__N_124unique_dim_cuda_templateIhEESt5tupleIJNSF_6TensorESK_SK_EERKSK_lbbbEUlllE0_EEPmJS9_EEE10hipError_tPvRmT3_T4_T5_T6_T7_T9_mT8_P12ihipStream_tbDpT10_ENKUlT_T0_E_clISt17integral_constantIbLb0EES1A_EEDaS15_S16_EUlS15_E_NS1_11comp_targetILNS1_3genE9ELNS1_11target_archE1100ELNS1_3gpuE3ELNS1_3repE0EEENS1_30default_config_static_selectorELNS0_4arch9wavefront6targetE0EEEvT1_.has_dyn_sized_stack, 0
	.set _ZN7rocprim17ROCPRIM_400000_NS6detail17trampoline_kernelINS0_14default_configENS1_25partition_config_selectorILNS1_17partition_subalgoE9EllbEEZZNS1_14partition_implILS5_9ELb0ES3_jPlS8_PNS0_10empty_typeENS0_5tupleIJS8_S9_EEENSB_IJS8_SA_EEENS0_18inequality_wrapperIZN2at6native12_GLOBAL__N_124unique_dim_cuda_templateIhEESt5tupleIJNSF_6TensorESK_SK_EERKSK_lbbbEUlllE0_EEPmJS9_EEE10hipError_tPvRmT3_T4_T5_T6_T7_T9_mT8_P12ihipStream_tbDpT10_ENKUlT_T0_E_clISt17integral_constantIbLb0EES1A_EEDaS15_S16_EUlS15_E_NS1_11comp_targetILNS1_3genE9ELNS1_11target_archE1100ELNS1_3gpuE3ELNS1_3repE0EEENS1_30default_config_static_selectorELNS0_4arch9wavefront6targetE0EEEvT1_.has_recursion, 0
	.set _ZN7rocprim17ROCPRIM_400000_NS6detail17trampoline_kernelINS0_14default_configENS1_25partition_config_selectorILNS1_17partition_subalgoE9EllbEEZZNS1_14partition_implILS5_9ELb0ES3_jPlS8_PNS0_10empty_typeENS0_5tupleIJS8_S9_EEENSB_IJS8_SA_EEENS0_18inequality_wrapperIZN2at6native12_GLOBAL__N_124unique_dim_cuda_templateIhEESt5tupleIJNSF_6TensorESK_SK_EERKSK_lbbbEUlllE0_EEPmJS9_EEE10hipError_tPvRmT3_T4_T5_T6_T7_T9_mT8_P12ihipStream_tbDpT10_ENKUlT_T0_E_clISt17integral_constantIbLb0EES1A_EEDaS15_S16_EUlS15_E_NS1_11comp_targetILNS1_3genE9ELNS1_11target_archE1100ELNS1_3gpuE3ELNS1_3repE0EEENS1_30default_config_static_selectorELNS0_4arch9wavefront6targetE0EEEvT1_.has_indirect_call, 0
	.section	.AMDGPU.csdata,"",@progbits
; Kernel info:
; codeLenInByte = 0
; TotalNumSgprs: 0
; NumVgprs: 0
; ScratchSize: 0
; MemoryBound: 0
; FloatMode: 240
; IeeeMode: 1
; LDSByteSize: 0 bytes/workgroup (compile time only)
; SGPRBlocks: 0
; VGPRBlocks: 0
; NumSGPRsForWavesPerEU: 1
; NumVGPRsForWavesPerEU: 1
; NamedBarCnt: 0
; Occupancy: 16
; WaveLimiterHint : 0
; COMPUTE_PGM_RSRC2:SCRATCH_EN: 0
; COMPUTE_PGM_RSRC2:USER_SGPR: 2
; COMPUTE_PGM_RSRC2:TRAP_HANDLER: 0
; COMPUTE_PGM_RSRC2:TGID_X_EN: 1
; COMPUTE_PGM_RSRC2:TGID_Y_EN: 0
; COMPUTE_PGM_RSRC2:TGID_Z_EN: 0
; COMPUTE_PGM_RSRC2:TIDIG_COMP_CNT: 0
	.section	.text._ZN7rocprim17ROCPRIM_400000_NS6detail17trampoline_kernelINS0_14default_configENS1_25partition_config_selectorILNS1_17partition_subalgoE9EllbEEZZNS1_14partition_implILS5_9ELb0ES3_jPlS8_PNS0_10empty_typeENS0_5tupleIJS8_S9_EEENSB_IJS8_SA_EEENS0_18inequality_wrapperIZN2at6native12_GLOBAL__N_124unique_dim_cuda_templateIhEESt5tupleIJNSF_6TensorESK_SK_EERKSK_lbbbEUlllE0_EEPmJS9_EEE10hipError_tPvRmT3_T4_T5_T6_T7_T9_mT8_P12ihipStream_tbDpT10_ENKUlT_T0_E_clISt17integral_constantIbLb0EES1A_EEDaS15_S16_EUlS15_E_NS1_11comp_targetILNS1_3genE8ELNS1_11target_archE1030ELNS1_3gpuE2ELNS1_3repE0EEENS1_30default_config_static_selectorELNS0_4arch9wavefront6targetE0EEEvT1_,"axG",@progbits,_ZN7rocprim17ROCPRIM_400000_NS6detail17trampoline_kernelINS0_14default_configENS1_25partition_config_selectorILNS1_17partition_subalgoE9EllbEEZZNS1_14partition_implILS5_9ELb0ES3_jPlS8_PNS0_10empty_typeENS0_5tupleIJS8_S9_EEENSB_IJS8_SA_EEENS0_18inequality_wrapperIZN2at6native12_GLOBAL__N_124unique_dim_cuda_templateIhEESt5tupleIJNSF_6TensorESK_SK_EERKSK_lbbbEUlllE0_EEPmJS9_EEE10hipError_tPvRmT3_T4_T5_T6_T7_T9_mT8_P12ihipStream_tbDpT10_ENKUlT_T0_E_clISt17integral_constantIbLb0EES1A_EEDaS15_S16_EUlS15_E_NS1_11comp_targetILNS1_3genE8ELNS1_11target_archE1030ELNS1_3gpuE2ELNS1_3repE0EEENS1_30default_config_static_selectorELNS0_4arch9wavefront6targetE0EEEvT1_,comdat
	.globl	_ZN7rocprim17ROCPRIM_400000_NS6detail17trampoline_kernelINS0_14default_configENS1_25partition_config_selectorILNS1_17partition_subalgoE9EllbEEZZNS1_14partition_implILS5_9ELb0ES3_jPlS8_PNS0_10empty_typeENS0_5tupleIJS8_S9_EEENSB_IJS8_SA_EEENS0_18inequality_wrapperIZN2at6native12_GLOBAL__N_124unique_dim_cuda_templateIhEESt5tupleIJNSF_6TensorESK_SK_EERKSK_lbbbEUlllE0_EEPmJS9_EEE10hipError_tPvRmT3_T4_T5_T6_T7_T9_mT8_P12ihipStream_tbDpT10_ENKUlT_T0_E_clISt17integral_constantIbLb0EES1A_EEDaS15_S16_EUlS15_E_NS1_11comp_targetILNS1_3genE8ELNS1_11target_archE1030ELNS1_3gpuE2ELNS1_3repE0EEENS1_30default_config_static_selectorELNS0_4arch9wavefront6targetE0EEEvT1_ ; -- Begin function _ZN7rocprim17ROCPRIM_400000_NS6detail17trampoline_kernelINS0_14default_configENS1_25partition_config_selectorILNS1_17partition_subalgoE9EllbEEZZNS1_14partition_implILS5_9ELb0ES3_jPlS8_PNS0_10empty_typeENS0_5tupleIJS8_S9_EEENSB_IJS8_SA_EEENS0_18inequality_wrapperIZN2at6native12_GLOBAL__N_124unique_dim_cuda_templateIhEESt5tupleIJNSF_6TensorESK_SK_EERKSK_lbbbEUlllE0_EEPmJS9_EEE10hipError_tPvRmT3_T4_T5_T6_T7_T9_mT8_P12ihipStream_tbDpT10_ENKUlT_T0_E_clISt17integral_constantIbLb0EES1A_EEDaS15_S16_EUlS15_E_NS1_11comp_targetILNS1_3genE8ELNS1_11target_archE1030ELNS1_3gpuE2ELNS1_3repE0EEENS1_30default_config_static_selectorELNS0_4arch9wavefront6targetE0EEEvT1_
	.p2align	8
	.type	_ZN7rocprim17ROCPRIM_400000_NS6detail17trampoline_kernelINS0_14default_configENS1_25partition_config_selectorILNS1_17partition_subalgoE9EllbEEZZNS1_14partition_implILS5_9ELb0ES3_jPlS8_PNS0_10empty_typeENS0_5tupleIJS8_S9_EEENSB_IJS8_SA_EEENS0_18inequality_wrapperIZN2at6native12_GLOBAL__N_124unique_dim_cuda_templateIhEESt5tupleIJNSF_6TensorESK_SK_EERKSK_lbbbEUlllE0_EEPmJS9_EEE10hipError_tPvRmT3_T4_T5_T6_T7_T9_mT8_P12ihipStream_tbDpT10_ENKUlT_T0_E_clISt17integral_constantIbLb0EES1A_EEDaS15_S16_EUlS15_E_NS1_11comp_targetILNS1_3genE8ELNS1_11target_archE1030ELNS1_3gpuE2ELNS1_3repE0EEENS1_30default_config_static_selectorELNS0_4arch9wavefront6targetE0EEEvT1_,@function
_ZN7rocprim17ROCPRIM_400000_NS6detail17trampoline_kernelINS0_14default_configENS1_25partition_config_selectorILNS1_17partition_subalgoE9EllbEEZZNS1_14partition_implILS5_9ELb0ES3_jPlS8_PNS0_10empty_typeENS0_5tupleIJS8_S9_EEENSB_IJS8_SA_EEENS0_18inequality_wrapperIZN2at6native12_GLOBAL__N_124unique_dim_cuda_templateIhEESt5tupleIJNSF_6TensorESK_SK_EERKSK_lbbbEUlllE0_EEPmJS9_EEE10hipError_tPvRmT3_T4_T5_T6_T7_T9_mT8_P12ihipStream_tbDpT10_ENKUlT_T0_E_clISt17integral_constantIbLb0EES1A_EEDaS15_S16_EUlS15_E_NS1_11comp_targetILNS1_3genE8ELNS1_11target_archE1030ELNS1_3gpuE2ELNS1_3repE0EEENS1_30default_config_static_selectorELNS0_4arch9wavefront6targetE0EEEvT1_: ; @_ZN7rocprim17ROCPRIM_400000_NS6detail17trampoline_kernelINS0_14default_configENS1_25partition_config_selectorILNS1_17partition_subalgoE9EllbEEZZNS1_14partition_implILS5_9ELb0ES3_jPlS8_PNS0_10empty_typeENS0_5tupleIJS8_S9_EEENSB_IJS8_SA_EEENS0_18inequality_wrapperIZN2at6native12_GLOBAL__N_124unique_dim_cuda_templateIhEESt5tupleIJNSF_6TensorESK_SK_EERKSK_lbbbEUlllE0_EEPmJS9_EEE10hipError_tPvRmT3_T4_T5_T6_T7_T9_mT8_P12ihipStream_tbDpT10_ENKUlT_T0_E_clISt17integral_constantIbLb0EES1A_EEDaS15_S16_EUlS15_E_NS1_11comp_targetILNS1_3genE8ELNS1_11target_archE1030ELNS1_3gpuE2ELNS1_3repE0EEENS1_30default_config_static_selectorELNS0_4arch9wavefront6targetE0EEEvT1_
; %bb.0:
	.section	.rodata,"a",@progbits
	.p2align	6, 0x0
	.amdhsa_kernel _ZN7rocprim17ROCPRIM_400000_NS6detail17trampoline_kernelINS0_14default_configENS1_25partition_config_selectorILNS1_17partition_subalgoE9EllbEEZZNS1_14partition_implILS5_9ELb0ES3_jPlS8_PNS0_10empty_typeENS0_5tupleIJS8_S9_EEENSB_IJS8_SA_EEENS0_18inequality_wrapperIZN2at6native12_GLOBAL__N_124unique_dim_cuda_templateIhEESt5tupleIJNSF_6TensorESK_SK_EERKSK_lbbbEUlllE0_EEPmJS9_EEE10hipError_tPvRmT3_T4_T5_T6_T7_T9_mT8_P12ihipStream_tbDpT10_ENKUlT_T0_E_clISt17integral_constantIbLb0EES1A_EEDaS15_S16_EUlS15_E_NS1_11comp_targetILNS1_3genE8ELNS1_11target_archE1030ELNS1_3gpuE2ELNS1_3repE0EEENS1_30default_config_static_selectorELNS0_4arch9wavefront6targetE0EEEvT1_
		.amdhsa_group_segment_fixed_size 0
		.amdhsa_private_segment_fixed_size 0
		.amdhsa_kernarg_size 120
		.amdhsa_user_sgpr_count 2
		.amdhsa_user_sgpr_dispatch_ptr 0
		.amdhsa_user_sgpr_queue_ptr 0
		.amdhsa_user_sgpr_kernarg_segment_ptr 1
		.amdhsa_user_sgpr_dispatch_id 0
		.amdhsa_user_sgpr_kernarg_preload_length 0
		.amdhsa_user_sgpr_kernarg_preload_offset 0
		.amdhsa_user_sgpr_private_segment_size 0
		.amdhsa_wavefront_size32 1
		.amdhsa_uses_dynamic_stack 0
		.amdhsa_enable_private_segment 0
		.amdhsa_system_sgpr_workgroup_id_x 1
		.amdhsa_system_sgpr_workgroup_id_y 0
		.amdhsa_system_sgpr_workgroup_id_z 0
		.amdhsa_system_sgpr_workgroup_info 0
		.amdhsa_system_vgpr_workitem_id 0
		.amdhsa_next_free_vgpr 1
		.amdhsa_next_free_sgpr 1
		.amdhsa_named_barrier_count 0
		.amdhsa_reserve_vcc 0
		.amdhsa_float_round_mode_32 0
		.amdhsa_float_round_mode_16_64 0
		.amdhsa_float_denorm_mode_32 3
		.amdhsa_float_denorm_mode_16_64 3
		.amdhsa_fp16_overflow 0
		.amdhsa_memory_ordered 1
		.amdhsa_forward_progress 1
		.amdhsa_inst_pref_size 0
		.amdhsa_round_robin_scheduling 0
		.amdhsa_exception_fp_ieee_invalid_op 0
		.amdhsa_exception_fp_denorm_src 0
		.amdhsa_exception_fp_ieee_div_zero 0
		.amdhsa_exception_fp_ieee_overflow 0
		.amdhsa_exception_fp_ieee_underflow 0
		.amdhsa_exception_fp_ieee_inexact 0
		.amdhsa_exception_int_div_zero 0
	.end_amdhsa_kernel
	.section	.text._ZN7rocprim17ROCPRIM_400000_NS6detail17trampoline_kernelINS0_14default_configENS1_25partition_config_selectorILNS1_17partition_subalgoE9EllbEEZZNS1_14partition_implILS5_9ELb0ES3_jPlS8_PNS0_10empty_typeENS0_5tupleIJS8_S9_EEENSB_IJS8_SA_EEENS0_18inequality_wrapperIZN2at6native12_GLOBAL__N_124unique_dim_cuda_templateIhEESt5tupleIJNSF_6TensorESK_SK_EERKSK_lbbbEUlllE0_EEPmJS9_EEE10hipError_tPvRmT3_T4_T5_T6_T7_T9_mT8_P12ihipStream_tbDpT10_ENKUlT_T0_E_clISt17integral_constantIbLb0EES1A_EEDaS15_S16_EUlS15_E_NS1_11comp_targetILNS1_3genE8ELNS1_11target_archE1030ELNS1_3gpuE2ELNS1_3repE0EEENS1_30default_config_static_selectorELNS0_4arch9wavefront6targetE0EEEvT1_,"axG",@progbits,_ZN7rocprim17ROCPRIM_400000_NS6detail17trampoline_kernelINS0_14default_configENS1_25partition_config_selectorILNS1_17partition_subalgoE9EllbEEZZNS1_14partition_implILS5_9ELb0ES3_jPlS8_PNS0_10empty_typeENS0_5tupleIJS8_S9_EEENSB_IJS8_SA_EEENS0_18inequality_wrapperIZN2at6native12_GLOBAL__N_124unique_dim_cuda_templateIhEESt5tupleIJNSF_6TensorESK_SK_EERKSK_lbbbEUlllE0_EEPmJS9_EEE10hipError_tPvRmT3_T4_T5_T6_T7_T9_mT8_P12ihipStream_tbDpT10_ENKUlT_T0_E_clISt17integral_constantIbLb0EES1A_EEDaS15_S16_EUlS15_E_NS1_11comp_targetILNS1_3genE8ELNS1_11target_archE1030ELNS1_3gpuE2ELNS1_3repE0EEENS1_30default_config_static_selectorELNS0_4arch9wavefront6targetE0EEEvT1_,comdat
.Lfunc_end211:
	.size	_ZN7rocprim17ROCPRIM_400000_NS6detail17trampoline_kernelINS0_14default_configENS1_25partition_config_selectorILNS1_17partition_subalgoE9EllbEEZZNS1_14partition_implILS5_9ELb0ES3_jPlS8_PNS0_10empty_typeENS0_5tupleIJS8_S9_EEENSB_IJS8_SA_EEENS0_18inequality_wrapperIZN2at6native12_GLOBAL__N_124unique_dim_cuda_templateIhEESt5tupleIJNSF_6TensorESK_SK_EERKSK_lbbbEUlllE0_EEPmJS9_EEE10hipError_tPvRmT3_T4_T5_T6_T7_T9_mT8_P12ihipStream_tbDpT10_ENKUlT_T0_E_clISt17integral_constantIbLb0EES1A_EEDaS15_S16_EUlS15_E_NS1_11comp_targetILNS1_3genE8ELNS1_11target_archE1030ELNS1_3gpuE2ELNS1_3repE0EEENS1_30default_config_static_selectorELNS0_4arch9wavefront6targetE0EEEvT1_, .Lfunc_end211-_ZN7rocprim17ROCPRIM_400000_NS6detail17trampoline_kernelINS0_14default_configENS1_25partition_config_selectorILNS1_17partition_subalgoE9EllbEEZZNS1_14partition_implILS5_9ELb0ES3_jPlS8_PNS0_10empty_typeENS0_5tupleIJS8_S9_EEENSB_IJS8_SA_EEENS0_18inequality_wrapperIZN2at6native12_GLOBAL__N_124unique_dim_cuda_templateIhEESt5tupleIJNSF_6TensorESK_SK_EERKSK_lbbbEUlllE0_EEPmJS9_EEE10hipError_tPvRmT3_T4_T5_T6_T7_T9_mT8_P12ihipStream_tbDpT10_ENKUlT_T0_E_clISt17integral_constantIbLb0EES1A_EEDaS15_S16_EUlS15_E_NS1_11comp_targetILNS1_3genE8ELNS1_11target_archE1030ELNS1_3gpuE2ELNS1_3repE0EEENS1_30default_config_static_selectorELNS0_4arch9wavefront6targetE0EEEvT1_
                                        ; -- End function
	.set _ZN7rocprim17ROCPRIM_400000_NS6detail17trampoline_kernelINS0_14default_configENS1_25partition_config_selectorILNS1_17partition_subalgoE9EllbEEZZNS1_14partition_implILS5_9ELb0ES3_jPlS8_PNS0_10empty_typeENS0_5tupleIJS8_S9_EEENSB_IJS8_SA_EEENS0_18inequality_wrapperIZN2at6native12_GLOBAL__N_124unique_dim_cuda_templateIhEESt5tupleIJNSF_6TensorESK_SK_EERKSK_lbbbEUlllE0_EEPmJS9_EEE10hipError_tPvRmT3_T4_T5_T6_T7_T9_mT8_P12ihipStream_tbDpT10_ENKUlT_T0_E_clISt17integral_constantIbLb0EES1A_EEDaS15_S16_EUlS15_E_NS1_11comp_targetILNS1_3genE8ELNS1_11target_archE1030ELNS1_3gpuE2ELNS1_3repE0EEENS1_30default_config_static_selectorELNS0_4arch9wavefront6targetE0EEEvT1_.num_vgpr, 0
	.set _ZN7rocprim17ROCPRIM_400000_NS6detail17trampoline_kernelINS0_14default_configENS1_25partition_config_selectorILNS1_17partition_subalgoE9EllbEEZZNS1_14partition_implILS5_9ELb0ES3_jPlS8_PNS0_10empty_typeENS0_5tupleIJS8_S9_EEENSB_IJS8_SA_EEENS0_18inequality_wrapperIZN2at6native12_GLOBAL__N_124unique_dim_cuda_templateIhEESt5tupleIJNSF_6TensorESK_SK_EERKSK_lbbbEUlllE0_EEPmJS9_EEE10hipError_tPvRmT3_T4_T5_T6_T7_T9_mT8_P12ihipStream_tbDpT10_ENKUlT_T0_E_clISt17integral_constantIbLb0EES1A_EEDaS15_S16_EUlS15_E_NS1_11comp_targetILNS1_3genE8ELNS1_11target_archE1030ELNS1_3gpuE2ELNS1_3repE0EEENS1_30default_config_static_selectorELNS0_4arch9wavefront6targetE0EEEvT1_.num_agpr, 0
	.set _ZN7rocprim17ROCPRIM_400000_NS6detail17trampoline_kernelINS0_14default_configENS1_25partition_config_selectorILNS1_17partition_subalgoE9EllbEEZZNS1_14partition_implILS5_9ELb0ES3_jPlS8_PNS0_10empty_typeENS0_5tupleIJS8_S9_EEENSB_IJS8_SA_EEENS0_18inequality_wrapperIZN2at6native12_GLOBAL__N_124unique_dim_cuda_templateIhEESt5tupleIJNSF_6TensorESK_SK_EERKSK_lbbbEUlllE0_EEPmJS9_EEE10hipError_tPvRmT3_T4_T5_T6_T7_T9_mT8_P12ihipStream_tbDpT10_ENKUlT_T0_E_clISt17integral_constantIbLb0EES1A_EEDaS15_S16_EUlS15_E_NS1_11comp_targetILNS1_3genE8ELNS1_11target_archE1030ELNS1_3gpuE2ELNS1_3repE0EEENS1_30default_config_static_selectorELNS0_4arch9wavefront6targetE0EEEvT1_.numbered_sgpr, 0
	.set _ZN7rocprim17ROCPRIM_400000_NS6detail17trampoline_kernelINS0_14default_configENS1_25partition_config_selectorILNS1_17partition_subalgoE9EllbEEZZNS1_14partition_implILS5_9ELb0ES3_jPlS8_PNS0_10empty_typeENS0_5tupleIJS8_S9_EEENSB_IJS8_SA_EEENS0_18inequality_wrapperIZN2at6native12_GLOBAL__N_124unique_dim_cuda_templateIhEESt5tupleIJNSF_6TensorESK_SK_EERKSK_lbbbEUlllE0_EEPmJS9_EEE10hipError_tPvRmT3_T4_T5_T6_T7_T9_mT8_P12ihipStream_tbDpT10_ENKUlT_T0_E_clISt17integral_constantIbLb0EES1A_EEDaS15_S16_EUlS15_E_NS1_11comp_targetILNS1_3genE8ELNS1_11target_archE1030ELNS1_3gpuE2ELNS1_3repE0EEENS1_30default_config_static_selectorELNS0_4arch9wavefront6targetE0EEEvT1_.num_named_barrier, 0
	.set _ZN7rocprim17ROCPRIM_400000_NS6detail17trampoline_kernelINS0_14default_configENS1_25partition_config_selectorILNS1_17partition_subalgoE9EllbEEZZNS1_14partition_implILS5_9ELb0ES3_jPlS8_PNS0_10empty_typeENS0_5tupleIJS8_S9_EEENSB_IJS8_SA_EEENS0_18inequality_wrapperIZN2at6native12_GLOBAL__N_124unique_dim_cuda_templateIhEESt5tupleIJNSF_6TensorESK_SK_EERKSK_lbbbEUlllE0_EEPmJS9_EEE10hipError_tPvRmT3_T4_T5_T6_T7_T9_mT8_P12ihipStream_tbDpT10_ENKUlT_T0_E_clISt17integral_constantIbLb0EES1A_EEDaS15_S16_EUlS15_E_NS1_11comp_targetILNS1_3genE8ELNS1_11target_archE1030ELNS1_3gpuE2ELNS1_3repE0EEENS1_30default_config_static_selectorELNS0_4arch9wavefront6targetE0EEEvT1_.private_seg_size, 0
	.set _ZN7rocprim17ROCPRIM_400000_NS6detail17trampoline_kernelINS0_14default_configENS1_25partition_config_selectorILNS1_17partition_subalgoE9EllbEEZZNS1_14partition_implILS5_9ELb0ES3_jPlS8_PNS0_10empty_typeENS0_5tupleIJS8_S9_EEENSB_IJS8_SA_EEENS0_18inequality_wrapperIZN2at6native12_GLOBAL__N_124unique_dim_cuda_templateIhEESt5tupleIJNSF_6TensorESK_SK_EERKSK_lbbbEUlllE0_EEPmJS9_EEE10hipError_tPvRmT3_T4_T5_T6_T7_T9_mT8_P12ihipStream_tbDpT10_ENKUlT_T0_E_clISt17integral_constantIbLb0EES1A_EEDaS15_S16_EUlS15_E_NS1_11comp_targetILNS1_3genE8ELNS1_11target_archE1030ELNS1_3gpuE2ELNS1_3repE0EEENS1_30default_config_static_selectorELNS0_4arch9wavefront6targetE0EEEvT1_.uses_vcc, 0
	.set _ZN7rocprim17ROCPRIM_400000_NS6detail17trampoline_kernelINS0_14default_configENS1_25partition_config_selectorILNS1_17partition_subalgoE9EllbEEZZNS1_14partition_implILS5_9ELb0ES3_jPlS8_PNS0_10empty_typeENS0_5tupleIJS8_S9_EEENSB_IJS8_SA_EEENS0_18inequality_wrapperIZN2at6native12_GLOBAL__N_124unique_dim_cuda_templateIhEESt5tupleIJNSF_6TensorESK_SK_EERKSK_lbbbEUlllE0_EEPmJS9_EEE10hipError_tPvRmT3_T4_T5_T6_T7_T9_mT8_P12ihipStream_tbDpT10_ENKUlT_T0_E_clISt17integral_constantIbLb0EES1A_EEDaS15_S16_EUlS15_E_NS1_11comp_targetILNS1_3genE8ELNS1_11target_archE1030ELNS1_3gpuE2ELNS1_3repE0EEENS1_30default_config_static_selectorELNS0_4arch9wavefront6targetE0EEEvT1_.uses_flat_scratch, 0
	.set _ZN7rocprim17ROCPRIM_400000_NS6detail17trampoline_kernelINS0_14default_configENS1_25partition_config_selectorILNS1_17partition_subalgoE9EllbEEZZNS1_14partition_implILS5_9ELb0ES3_jPlS8_PNS0_10empty_typeENS0_5tupleIJS8_S9_EEENSB_IJS8_SA_EEENS0_18inequality_wrapperIZN2at6native12_GLOBAL__N_124unique_dim_cuda_templateIhEESt5tupleIJNSF_6TensorESK_SK_EERKSK_lbbbEUlllE0_EEPmJS9_EEE10hipError_tPvRmT3_T4_T5_T6_T7_T9_mT8_P12ihipStream_tbDpT10_ENKUlT_T0_E_clISt17integral_constantIbLb0EES1A_EEDaS15_S16_EUlS15_E_NS1_11comp_targetILNS1_3genE8ELNS1_11target_archE1030ELNS1_3gpuE2ELNS1_3repE0EEENS1_30default_config_static_selectorELNS0_4arch9wavefront6targetE0EEEvT1_.has_dyn_sized_stack, 0
	.set _ZN7rocprim17ROCPRIM_400000_NS6detail17trampoline_kernelINS0_14default_configENS1_25partition_config_selectorILNS1_17partition_subalgoE9EllbEEZZNS1_14partition_implILS5_9ELb0ES3_jPlS8_PNS0_10empty_typeENS0_5tupleIJS8_S9_EEENSB_IJS8_SA_EEENS0_18inequality_wrapperIZN2at6native12_GLOBAL__N_124unique_dim_cuda_templateIhEESt5tupleIJNSF_6TensorESK_SK_EERKSK_lbbbEUlllE0_EEPmJS9_EEE10hipError_tPvRmT3_T4_T5_T6_T7_T9_mT8_P12ihipStream_tbDpT10_ENKUlT_T0_E_clISt17integral_constantIbLb0EES1A_EEDaS15_S16_EUlS15_E_NS1_11comp_targetILNS1_3genE8ELNS1_11target_archE1030ELNS1_3gpuE2ELNS1_3repE0EEENS1_30default_config_static_selectorELNS0_4arch9wavefront6targetE0EEEvT1_.has_recursion, 0
	.set _ZN7rocprim17ROCPRIM_400000_NS6detail17trampoline_kernelINS0_14default_configENS1_25partition_config_selectorILNS1_17partition_subalgoE9EllbEEZZNS1_14partition_implILS5_9ELb0ES3_jPlS8_PNS0_10empty_typeENS0_5tupleIJS8_S9_EEENSB_IJS8_SA_EEENS0_18inequality_wrapperIZN2at6native12_GLOBAL__N_124unique_dim_cuda_templateIhEESt5tupleIJNSF_6TensorESK_SK_EERKSK_lbbbEUlllE0_EEPmJS9_EEE10hipError_tPvRmT3_T4_T5_T6_T7_T9_mT8_P12ihipStream_tbDpT10_ENKUlT_T0_E_clISt17integral_constantIbLb0EES1A_EEDaS15_S16_EUlS15_E_NS1_11comp_targetILNS1_3genE8ELNS1_11target_archE1030ELNS1_3gpuE2ELNS1_3repE0EEENS1_30default_config_static_selectorELNS0_4arch9wavefront6targetE0EEEvT1_.has_indirect_call, 0
	.section	.AMDGPU.csdata,"",@progbits
; Kernel info:
; codeLenInByte = 0
; TotalNumSgprs: 0
; NumVgprs: 0
; ScratchSize: 0
; MemoryBound: 0
; FloatMode: 240
; IeeeMode: 1
; LDSByteSize: 0 bytes/workgroup (compile time only)
; SGPRBlocks: 0
; VGPRBlocks: 0
; NumSGPRsForWavesPerEU: 1
; NumVGPRsForWavesPerEU: 1
; NamedBarCnt: 0
; Occupancy: 16
; WaveLimiterHint : 0
; COMPUTE_PGM_RSRC2:SCRATCH_EN: 0
; COMPUTE_PGM_RSRC2:USER_SGPR: 2
; COMPUTE_PGM_RSRC2:TRAP_HANDLER: 0
; COMPUTE_PGM_RSRC2:TGID_X_EN: 1
; COMPUTE_PGM_RSRC2:TGID_Y_EN: 0
; COMPUTE_PGM_RSRC2:TGID_Z_EN: 0
; COMPUTE_PGM_RSRC2:TIDIG_COMP_CNT: 0
	.section	.text._ZN7rocprim17ROCPRIM_400000_NS6detail17trampoline_kernelINS0_14default_configENS1_25partition_config_selectorILNS1_17partition_subalgoE9EllbEEZZNS1_14partition_implILS5_9ELb0ES3_jPlS8_PNS0_10empty_typeENS0_5tupleIJS8_S9_EEENSB_IJS8_SA_EEENS0_18inequality_wrapperIZN2at6native12_GLOBAL__N_124unique_dim_cuda_templateIhEESt5tupleIJNSF_6TensorESK_SK_EERKSK_lbbbEUlllE0_EEPmJS9_EEE10hipError_tPvRmT3_T4_T5_T6_T7_T9_mT8_P12ihipStream_tbDpT10_ENKUlT_T0_E_clISt17integral_constantIbLb1EES1A_EEDaS15_S16_EUlS15_E_NS1_11comp_targetILNS1_3genE0ELNS1_11target_archE4294967295ELNS1_3gpuE0ELNS1_3repE0EEENS1_30default_config_static_selectorELNS0_4arch9wavefront6targetE0EEEvT1_,"axG",@progbits,_ZN7rocprim17ROCPRIM_400000_NS6detail17trampoline_kernelINS0_14default_configENS1_25partition_config_selectorILNS1_17partition_subalgoE9EllbEEZZNS1_14partition_implILS5_9ELb0ES3_jPlS8_PNS0_10empty_typeENS0_5tupleIJS8_S9_EEENSB_IJS8_SA_EEENS0_18inequality_wrapperIZN2at6native12_GLOBAL__N_124unique_dim_cuda_templateIhEESt5tupleIJNSF_6TensorESK_SK_EERKSK_lbbbEUlllE0_EEPmJS9_EEE10hipError_tPvRmT3_T4_T5_T6_T7_T9_mT8_P12ihipStream_tbDpT10_ENKUlT_T0_E_clISt17integral_constantIbLb1EES1A_EEDaS15_S16_EUlS15_E_NS1_11comp_targetILNS1_3genE0ELNS1_11target_archE4294967295ELNS1_3gpuE0ELNS1_3repE0EEENS1_30default_config_static_selectorELNS0_4arch9wavefront6targetE0EEEvT1_,comdat
	.globl	_ZN7rocprim17ROCPRIM_400000_NS6detail17trampoline_kernelINS0_14default_configENS1_25partition_config_selectorILNS1_17partition_subalgoE9EllbEEZZNS1_14partition_implILS5_9ELb0ES3_jPlS8_PNS0_10empty_typeENS0_5tupleIJS8_S9_EEENSB_IJS8_SA_EEENS0_18inequality_wrapperIZN2at6native12_GLOBAL__N_124unique_dim_cuda_templateIhEESt5tupleIJNSF_6TensorESK_SK_EERKSK_lbbbEUlllE0_EEPmJS9_EEE10hipError_tPvRmT3_T4_T5_T6_T7_T9_mT8_P12ihipStream_tbDpT10_ENKUlT_T0_E_clISt17integral_constantIbLb1EES1A_EEDaS15_S16_EUlS15_E_NS1_11comp_targetILNS1_3genE0ELNS1_11target_archE4294967295ELNS1_3gpuE0ELNS1_3repE0EEENS1_30default_config_static_selectorELNS0_4arch9wavefront6targetE0EEEvT1_ ; -- Begin function _ZN7rocprim17ROCPRIM_400000_NS6detail17trampoline_kernelINS0_14default_configENS1_25partition_config_selectorILNS1_17partition_subalgoE9EllbEEZZNS1_14partition_implILS5_9ELb0ES3_jPlS8_PNS0_10empty_typeENS0_5tupleIJS8_S9_EEENSB_IJS8_SA_EEENS0_18inequality_wrapperIZN2at6native12_GLOBAL__N_124unique_dim_cuda_templateIhEESt5tupleIJNSF_6TensorESK_SK_EERKSK_lbbbEUlllE0_EEPmJS9_EEE10hipError_tPvRmT3_T4_T5_T6_T7_T9_mT8_P12ihipStream_tbDpT10_ENKUlT_T0_E_clISt17integral_constantIbLb1EES1A_EEDaS15_S16_EUlS15_E_NS1_11comp_targetILNS1_3genE0ELNS1_11target_archE4294967295ELNS1_3gpuE0ELNS1_3repE0EEENS1_30default_config_static_selectorELNS0_4arch9wavefront6targetE0EEEvT1_
	.p2align	8
	.type	_ZN7rocprim17ROCPRIM_400000_NS6detail17trampoline_kernelINS0_14default_configENS1_25partition_config_selectorILNS1_17partition_subalgoE9EllbEEZZNS1_14partition_implILS5_9ELb0ES3_jPlS8_PNS0_10empty_typeENS0_5tupleIJS8_S9_EEENSB_IJS8_SA_EEENS0_18inequality_wrapperIZN2at6native12_GLOBAL__N_124unique_dim_cuda_templateIhEESt5tupleIJNSF_6TensorESK_SK_EERKSK_lbbbEUlllE0_EEPmJS9_EEE10hipError_tPvRmT3_T4_T5_T6_T7_T9_mT8_P12ihipStream_tbDpT10_ENKUlT_T0_E_clISt17integral_constantIbLb1EES1A_EEDaS15_S16_EUlS15_E_NS1_11comp_targetILNS1_3genE0ELNS1_11target_archE4294967295ELNS1_3gpuE0ELNS1_3repE0EEENS1_30default_config_static_selectorELNS0_4arch9wavefront6targetE0EEEvT1_,@function
_ZN7rocprim17ROCPRIM_400000_NS6detail17trampoline_kernelINS0_14default_configENS1_25partition_config_selectorILNS1_17partition_subalgoE9EllbEEZZNS1_14partition_implILS5_9ELb0ES3_jPlS8_PNS0_10empty_typeENS0_5tupleIJS8_S9_EEENSB_IJS8_SA_EEENS0_18inequality_wrapperIZN2at6native12_GLOBAL__N_124unique_dim_cuda_templateIhEESt5tupleIJNSF_6TensorESK_SK_EERKSK_lbbbEUlllE0_EEPmJS9_EEE10hipError_tPvRmT3_T4_T5_T6_T7_T9_mT8_P12ihipStream_tbDpT10_ENKUlT_T0_E_clISt17integral_constantIbLb1EES1A_EEDaS15_S16_EUlS15_E_NS1_11comp_targetILNS1_3genE0ELNS1_11target_archE4294967295ELNS1_3gpuE0ELNS1_3repE0EEENS1_30default_config_static_selectorELNS0_4arch9wavefront6targetE0EEEvT1_: ; @_ZN7rocprim17ROCPRIM_400000_NS6detail17trampoline_kernelINS0_14default_configENS1_25partition_config_selectorILNS1_17partition_subalgoE9EllbEEZZNS1_14partition_implILS5_9ELb0ES3_jPlS8_PNS0_10empty_typeENS0_5tupleIJS8_S9_EEENSB_IJS8_SA_EEENS0_18inequality_wrapperIZN2at6native12_GLOBAL__N_124unique_dim_cuda_templateIhEESt5tupleIJNSF_6TensorESK_SK_EERKSK_lbbbEUlllE0_EEPmJS9_EEE10hipError_tPvRmT3_T4_T5_T6_T7_T9_mT8_P12ihipStream_tbDpT10_ENKUlT_T0_E_clISt17integral_constantIbLb1EES1A_EEDaS15_S16_EUlS15_E_NS1_11comp_targetILNS1_3genE0ELNS1_11target_archE4294967295ELNS1_3gpuE0ELNS1_3repE0EEENS1_30default_config_static_selectorELNS0_4arch9wavefront6targetE0EEEvT1_
; %bb.0:
	s_endpgm
	.section	.rodata,"a",@progbits
	.p2align	6, 0x0
	.amdhsa_kernel _ZN7rocprim17ROCPRIM_400000_NS6detail17trampoline_kernelINS0_14default_configENS1_25partition_config_selectorILNS1_17partition_subalgoE9EllbEEZZNS1_14partition_implILS5_9ELb0ES3_jPlS8_PNS0_10empty_typeENS0_5tupleIJS8_S9_EEENSB_IJS8_SA_EEENS0_18inequality_wrapperIZN2at6native12_GLOBAL__N_124unique_dim_cuda_templateIhEESt5tupleIJNSF_6TensorESK_SK_EERKSK_lbbbEUlllE0_EEPmJS9_EEE10hipError_tPvRmT3_T4_T5_T6_T7_T9_mT8_P12ihipStream_tbDpT10_ENKUlT_T0_E_clISt17integral_constantIbLb1EES1A_EEDaS15_S16_EUlS15_E_NS1_11comp_targetILNS1_3genE0ELNS1_11target_archE4294967295ELNS1_3gpuE0ELNS1_3repE0EEENS1_30default_config_static_selectorELNS0_4arch9wavefront6targetE0EEEvT1_
		.amdhsa_group_segment_fixed_size 0
		.amdhsa_private_segment_fixed_size 0
		.amdhsa_kernarg_size 136
		.amdhsa_user_sgpr_count 2
		.amdhsa_user_sgpr_dispatch_ptr 0
		.amdhsa_user_sgpr_queue_ptr 0
		.amdhsa_user_sgpr_kernarg_segment_ptr 1
		.amdhsa_user_sgpr_dispatch_id 0
		.amdhsa_user_sgpr_kernarg_preload_length 0
		.amdhsa_user_sgpr_kernarg_preload_offset 0
		.amdhsa_user_sgpr_private_segment_size 0
		.amdhsa_wavefront_size32 1
		.amdhsa_uses_dynamic_stack 0
		.amdhsa_enable_private_segment 0
		.amdhsa_system_sgpr_workgroup_id_x 1
		.amdhsa_system_sgpr_workgroup_id_y 0
		.amdhsa_system_sgpr_workgroup_id_z 0
		.amdhsa_system_sgpr_workgroup_info 0
		.amdhsa_system_vgpr_workitem_id 0
		.amdhsa_next_free_vgpr 1
		.amdhsa_next_free_sgpr 1
		.amdhsa_named_barrier_count 0
		.amdhsa_reserve_vcc 0
		.amdhsa_float_round_mode_32 0
		.amdhsa_float_round_mode_16_64 0
		.amdhsa_float_denorm_mode_32 3
		.amdhsa_float_denorm_mode_16_64 3
		.amdhsa_fp16_overflow 0
		.amdhsa_memory_ordered 1
		.amdhsa_forward_progress 1
		.amdhsa_inst_pref_size 1
		.amdhsa_round_robin_scheduling 0
		.amdhsa_exception_fp_ieee_invalid_op 0
		.amdhsa_exception_fp_denorm_src 0
		.amdhsa_exception_fp_ieee_div_zero 0
		.amdhsa_exception_fp_ieee_overflow 0
		.amdhsa_exception_fp_ieee_underflow 0
		.amdhsa_exception_fp_ieee_inexact 0
		.amdhsa_exception_int_div_zero 0
	.end_amdhsa_kernel
	.section	.text._ZN7rocprim17ROCPRIM_400000_NS6detail17trampoline_kernelINS0_14default_configENS1_25partition_config_selectorILNS1_17partition_subalgoE9EllbEEZZNS1_14partition_implILS5_9ELb0ES3_jPlS8_PNS0_10empty_typeENS0_5tupleIJS8_S9_EEENSB_IJS8_SA_EEENS0_18inequality_wrapperIZN2at6native12_GLOBAL__N_124unique_dim_cuda_templateIhEESt5tupleIJNSF_6TensorESK_SK_EERKSK_lbbbEUlllE0_EEPmJS9_EEE10hipError_tPvRmT3_T4_T5_T6_T7_T9_mT8_P12ihipStream_tbDpT10_ENKUlT_T0_E_clISt17integral_constantIbLb1EES1A_EEDaS15_S16_EUlS15_E_NS1_11comp_targetILNS1_3genE0ELNS1_11target_archE4294967295ELNS1_3gpuE0ELNS1_3repE0EEENS1_30default_config_static_selectorELNS0_4arch9wavefront6targetE0EEEvT1_,"axG",@progbits,_ZN7rocprim17ROCPRIM_400000_NS6detail17trampoline_kernelINS0_14default_configENS1_25partition_config_selectorILNS1_17partition_subalgoE9EllbEEZZNS1_14partition_implILS5_9ELb0ES3_jPlS8_PNS0_10empty_typeENS0_5tupleIJS8_S9_EEENSB_IJS8_SA_EEENS0_18inequality_wrapperIZN2at6native12_GLOBAL__N_124unique_dim_cuda_templateIhEESt5tupleIJNSF_6TensorESK_SK_EERKSK_lbbbEUlllE0_EEPmJS9_EEE10hipError_tPvRmT3_T4_T5_T6_T7_T9_mT8_P12ihipStream_tbDpT10_ENKUlT_T0_E_clISt17integral_constantIbLb1EES1A_EEDaS15_S16_EUlS15_E_NS1_11comp_targetILNS1_3genE0ELNS1_11target_archE4294967295ELNS1_3gpuE0ELNS1_3repE0EEENS1_30default_config_static_selectorELNS0_4arch9wavefront6targetE0EEEvT1_,comdat
.Lfunc_end212:
	.size	_ZN7rocprim17ROCPRIM_400000_NS6detail17trampoline_kernelINS0_14default_configENS1_25partition_config_selectorILNS1_17partition_subalgoE9EllbEEZZNS1_14partition_implILS5_9ELb0ES3_jPlS8_PNS0_10empty_typeENS0_5tupleIJS8_S9_EEENSB_IJS8_SA_EEENS0_18inequality_wrapperIZN2at6native12_GLOBAL__N_124unique_dim_cuda_templateIhEESt5tupleIJNSF_6TensorESK_SK_EERKSK_lbbbEUlllE0_EEPmJS9_EEE10hipError_tPvRmT3_T4_T5_T6_T7_T9_mT8_P12ihipStream_tbDpT10_ENKUlT_T0_E_clISt17integral_constantIbLb1EES1A_EEDaS15_S16_EUlS15_E_NS1_11comp_targetILNS1_3genE0ELNS1_11target_archE4294967295ELNS1_3gpuE0ELNS1_3repE0EEENS1_30default_config_static_selectorELNS0_4arch9wavefront6targetE0EEEvT1_, .Lfunc_end212-_ZN7rocprim17ROCPRIM_400000_NS6detail17trampoline_kernelINS0_14default_configENS1_25partition_config_selectorILNS1_17partition_subalgoE9EllbEEZZNS1_14partition_implILS5_9ELb0ES3_jPlS8_PNS0_10empty_typeENS0_5tupleIJS8_S9_EEENSB_IJS8_SA_EEENS0_18inequality_wrapperIZN2at6native12_GLOBAL__N_124unique_dim_cuda_templateIhEESt5tupleIJNSF_6TensorESK_SK_EERKSK_lbbbEUlllE0_EEPmJS9_EEE10hipError_tPvRmT3_T4_T5_T6_T7_T9_mT8_P12ihipStream_tbDpT10_ENKUlT_T0_E_clISt17integral_constantIbLb1EES1A_EEDaS15_S16_EUlS15_E_NS1_11comp_targetILNS1_3genE0ELNS1_11target_archE4294967295ELNS1_3gpuE0ELNS1_3repE0EEENS1_30default_config_static_selectorELNS0_4arch9wavefront6targetE0EEEvT1_
                                        ; -- End function
	.set _ZN7rocprim17ROCPRIM_400000_NS6detail17trampoline_kernelINS0_14default_configENS1_25partition_config_selectorILNS1_17partition_subalgoE9EllbEEZZNS1_14partition_implILS5_9ELb0ES3_jPlS8_PNS0_10empty_typeENS0_5tupleIJS8_S9_EEENSB_IJS8_SA_EEENS0_18inequality_wrapperIZN2at6native12_GLOBAL__N_124unique_dim_cuda_templateIhEESt5tupleIJNSF_6TensorESK_SK_EERKSK_lbbbEUlllE0_EEPmJS9_EEE10hipError_tPvRmT3_T4_T5_T6_T7_T9_mT8_P12ihipStream_tbDpT10_ENKUlT_T0_E_clISt17integral_constantIbLb1EES1A_EEDaS15_S16_EUlS15_E_NS1_11comp_targetILNS1_3genE0ELNS1_11target_archE4294967295ELNS1_3gpuE0ELNS1_3repE0EEENS1_30default_config_static_selectorELNS0_4arch9wavefront6targetE0EEEvT1_.num_vgpr, 0
	.set _ZN7rocprim17ROCPRIM_400000_NS6detail17trampoline_kernelINS0_14default_configENS1_25partition_config_selectorILNS1_17partition_subalgoE9EllbEEZZNS1_14partition_implILS5_9ELb0ES3_jPlS8_PNS0_10empty_typeENS0_5tupleIJS8_S9_EEENSB_IJS8_SA_EEENS0_18inequality_wrapperIZN2at6native12_GLOBAL__N_124unique_dim_cuda_templateIhEESt5tupleIJNSF_6TensorESK_SK_EERKSK_lbbbEUlllE0_EEPmJS9_EEE10hipError_tPvRmT3_T4_T5_T6_T7_T9_mT8_P12ihipStream_tbDpT10_ENKUlT_T0_E_clISt17integral_constantIbLb1EES1A_EEDaS15_S16_EUlS15_E_NS1_11comp_targetILNS1_3genE0ELNS1_11target_archE4294967295ELNS1_3gpuE0ELNS1_3repE0EEENS1_30default_config_static_selectorELNS0_4arch9wavefront6targetE0EEEvT1_.num_agpr, 0
	.set _ZN7rocprim17ROCPRIM_400000_NS6detail17trampoline_kernelINS0_14default_configENS1_25partition_config_selectorILNS1_17partition_subalgoE9EllbEEZZNS1_14partition_implILS5_9ELb0ES3_jPlS8_PNS0_10empty_typeENS0_5tupleIJS8_S9_EEENSB_IJS8_SA_EEENS0_18inequality_wrapperIZN2at6native12_GLOBAL__N_124unique_dim_cuda_templateIhEESt5tupleIJNSF_6TensorESK_SK_EERKSK_lbbbEUlllE0_EEPmJS9_EEE10hipError_tPvRmT3_T4_T5_T6_T7_T9_mT8_P12ihipStream_tbDpT10_ENKUlT_T0_E_clISt17integral_constantIbLb1EES1A_EEDaS15_S16_EUlS15_E_NS1_11comp_targetILNS1_3genE0ELNS1_11target_archE4294967295ELNS1_3gpuE0ELNS1_3repE0EEENS1_30default_config_static_selectorELNS0_4arch9wavefront6targetE0EEEvT1_.numbered_sgpr, 0
	.set _ZN7rocprim17ROCPRIM_400000_NS6detail17trampoline_kernelINS0_14default_configENS1_25partition_config_selectorILNS1_17partition_subalgoE9EllbEEZZNS1_14partition_implILS5_9ELb0ES3_jPlS8_PNS0_10empty_typeENS0_5tupleIJS8_S9_EEENSB_IJS8_SA_EEENS0_18inequality_wrapperIZN2at6native12_GLOBAL__N_124unique_dim_cuda_templateIhEESt5tupleIJNSF_6TensorESK_SK_EERKSK_lbbbEUlllE0_EEPmJS9_EEE10hipError_tPvRmT3_T4_T5_T6_T7_T9_mT8_P12ihipStream_tbDpT10_ENKUlT_T0_E_clISt17integral_constantIbLb1EES1A_EEDaS15_S16_EUlS15_E_NS1_11comp_targetILNS1_3genE0ELNS1_11target_archE4294967295ELNS1_3gpuE0ELNS1_3repE0EEENS1_30default_config_static_selectorELNS0_4arch9wavefront6targetE0EEEvT1_.num_named_barrier, 0
	.set _ZN7rocprim17ROCPRIM_400000_NS6detail17trampoline_kernelINS0_14default_configENS1_25partition_config_selectorILNS1_17partition_subalgoE9EllbEEZZNS1_14partition_implILS5_9ELb0ES3_jPlS8_PNS0_10empty_typeENS0_5tupleIJS8_S9_EEENSB_IJS8_SA_EEENS0_18inequality_wrapperIZN2at6native12_GLOBAL__N_124unique_dim_cuda_templateIhEESt5tupleIJNSF_6TensorESK_SK_EERKSK_lbbbEUlllE0_EEPmJS9_EEE10hipError_tPvRmT3_T4_T5_T6_T7_T9_mT8_P12ihipStream_tbDpT10_ENKUlT_T0_E_clISt17integral_constantIbLb1EES1A_EEDaS15_S16_EUlS15_E_NS1_11comp_targetILNS1_3genE0ELNS1_11target_archE4294967295ELNS1_3gpuE0ELNS1_3repE0EEENS1_30default_config_static_selectorELNS0_4arch9wavefront6targetE0EEEvT1_.private_seg_size, 0
	.set _ZN7rocprim17ROCPRIM_400000_NS6detail17trampoline_kernelINS0_14default_configENS1_25partition_config_selectorILNS1_17partition_subalgoE9EllbEEZZNS1_14partition_implILS5_9ELb0ES3_jPlS8_PNS0_10empty_typeENS0_5tupleIJS8_S9_EEENSB_IJS8_SA_EEENS0_18inequality_wrapperIZN2at6native12_GLOBAL__N_124unique_dim_cuda_templateIhEESt5tupleIJNSF_6TensorESK_SK_EERKSK_lbbbEUlllE0_EEPmJS9_EEE10hipError_tPvRmT3_T4_T5_T6_T7_T9_mT8_P12ihipStream_tbDpT10_ENKUlT_T0_E_clISt17integral_constantIbLb1EES1A_EEDaS15_S16_EUlS15_E_NS1_11comp_targetILNS1_3genE0ELNS1_11target_archE4294967295ELNS1_3gpuE0ELNS1_3repE0EEENS1_30default_config_static_selectorELNS0_4arch9wavefront6targetE0EEEvT1_.uses_vcc, 0
	.set _ZN7rocprim17ROCPRIM_400000_NS6detail17trampoline_kernelINS0_14default_configENS1_25partition_config_selectorILNS1_17partition_subalgoE9EllbEEZZNS1_14partition_implILS5_9ELb0ES3_jPlS8_PNS0_10empty_typeENS0_5tupleIJS8_S9_EEENSB_IJS8_SA_EEENS0_18inequality_wrapperIZN2at6native12_GLOBAL__N_124unique_dim_cuda_templateIhEESt5tupleIJNSF_6TensorESK_SK_EERKSK_lbbbEUlllE0_EEPmJS9_EEE10hipError_tPvRmT3_T4_T5_T6_T7_T9_mT8_P12ihipStream_tbDpT10_ENKUlT_T0_E_clISt17integral_constantIbLb1EES1A_EEDaS15_S16_EUlS15_E_NS1_11comp_targetILNS1_3genE0ELNS1_11target_archE4294967295ELNS1_3gpuE0ELNS1_3repE0EEENS1_30default_config_static_selectorELNS0_4arch9wavefront6targetE0EEEvT1_.uses_flat_scratch, 0
	.set _ZN7rocprim17ROCPRIM_400000_NS6detail17trampoline_kernelINS0_14default_configENS1_25partition_config_selectorILNS1_17partition_subalgoE9EllbEEZZNS1_14partition_implILS5_9ELb0ES3_jPlS8_PNS0_10empty_typeENS0_5tupleIJS8_S9_EEENSB_IJS8_SA_EEENS0_18inequality_wrapperIZN2at6native12_GLOBAL__N_124unique_dim_cuda_templateIhEESt5tupleIJNSF_6TensorESK_SK_EERKSK_lbbbEUlllE0_EEPmJS9_EEE10hipError_tPvRmT3_T4_T5_T6_T7_T9_mT8_P12ihipStream_tbDpT10_ENKUlT_T0_E_clISt17integral_constantIbLb1EES1A_EEDaS15_S16_EUlS15_E_NS1_11comp_targetILNS1_3genE0ELNS1_11target_archE4294967295ELNS1_3gpuE0ELNS1_3repE0EEENS1_30default_config_static_selectorELNS0_4arch9wavefront6targetE0EEEvT1_.has_dyn_sized_stack, 0
	.set _ZN7rocprim17ROCPRIM_400000_NS6detail17trampoline_kernelINS0_14default_configENS1_25partition_config_selectorILNS1_17partition_subalgoE9EllbEEZZNS1_14partition_implILS5_9ELb0ES3_jPlS8_PNS0_10empty_typeENS0_5tupleIJS8_S9_EEENSB_IJS8_SA_EEENS0_18inequality_wrapperIZN2at6native12_GLOBAL__N_124unique_dim_cuda_templateIhEESt5tupleIJNSF_6TensorESK_SK_EERKSK_lbbbEUlllE0_EEPmJS9_EEE10hipError_tPvRmT3_T4_T5_T6_T7_T9_mT8_P12ihipStream_tbDpT10_ENKUlT_T0_E_clISt17integral_constantIbLb1EES1A_EEDaS15_S16_EUlS15_E_NS1_11comp_targetILNS1_3genE0ELNS1_11target_archE4294967295ELNS1_3gpuE0ELNS1_3repE0EEENS1_30default_config_static_selectorELNS0_4arch9wavefront6targetE0EEEvT1_.has_recursion, 0
	.set _ZN7rocprim17ROCPRIM_400000_NS6detail17trampoline_kernelINS0_14default_configENS1_25partition_config_selectorILNS1_17partition_subalgoE9EllbEEZZNS1_14partition_implILS5_9ELb0ES3_jPlS8_PNS0_10empty_typeENS0_5tupleIJS8_S9_EEENSB_IJS8_SA_EEENS0_18inequality_wrapperIZN2at6native12_GLOBAL__N_124unique_dim_cuda_templateIhEESt5tupleIJNSF_6TensorESK_SK_EERKSK_lbbbEUlllE0_EEPmJS9_EEE10hipError_tPvRmT3_T4_T5_T6_T7_T9_mT8_P12ihipStream_tbDpT10_ENKUlT_T0_E_clISt17integral_constantIbLb1EES1A_EEDaS15_S16_EUlS15_E_NS1_11comp_targetILNS1_3genE0ELNS1_11target_archE4294967295ELNS1_3gpuE0ELNS1_3repE0EEENS1_30default_config_static_selectorELNS0_4arch9wavefront6targetE0EEEvT1_.has_indirect_call, 0
	.section	.AMDGPU.csdata,"",@progbits
; Kernel info:
; codeLenInByte = 4
; TotalNumSgprs: 0
; NumVgprs: 0
; ScratchSize: 0
; MemoryBound: 0
; FloatMode: 240
; IeeeMode: 1
; LDSByteSize: 0 bytes/workgroup (compile time only)
; SGPRBlocks: 0
; VGPRBlocks: 0
; NumSGPRsForWavesPerEU: 1
; NumVGPRsForWavesPerEU: 1
; NamedBarCnt: 0
; Occupancy: 16
; WaveLimiterHint : 0
; COMPUTE_PGM_RSRC2:SCRATCH_EN: 0
; COMPUTE_PGM_RSRC2:USER_SGPR: 2
; COMPUTE_PGM_RSRC2:TRAP_HANDLER: 0
; COMPUTE_PGM_RSRC2:TGID_X_EN: 1
; COMPUTE_PGM_RSRC2:TGID_Y_EN: 0
; COMPUTE_PGM_RSRC2:TGID_Z_EN: 0
; COMPUTE_PGM_RSRC2:TIDIG_COMP_CNT: 0
	.section	.text._ZN7rocprim17ROCPRIM_400000_NS6detail17trampoline_kernelINS0_14default_configENS1_25partition_config_selectorILNS1_17partition_subalgoE9EllbEEZZNS1_14partition_implILS5_9ELb0ES3_jPlS8_PNS0_10empty_typeENS0_5tupleIJS8_S9_EEENSB_IJS8_SA_EEENS0_18inequality_wrapperIZN2at6native12_GLOBAL__N_124unique_dim_cuda_templateIhEESt5tupleIJNSF_6TensorESK_SK_EERKSK_lbbbEUlllE0_EEPmJS9_EEE10hipError_tPvRmT3_T4_T5_T6_T7_T9_mT8_P12ihipStream_tbDpT10_ENKUlT_T0_E_clISt17integral_constantIbLb1EES1A_EEDaS15_S16_EUlS15_E_NS1_11comp_targetILNS1_3genE5ELNS1_11target_archE942ELNS1_3gpuE9ELNS1_3repE0EEENS1_30default_config_static_selectorELNS0_4arch9wavefront6targetE0EEEvT1_,"axG",@progbits,_ZN7rocprim17ROCPRIM_400000_NS6detail17trampoline_kernelINS0_14default_configENS1_25partition_config_selectorILNS1_17partition_subalgoE9EllbEEZZNS1_14partition_implILS5_9ELb0ES3_jPlS8_PNS0_10empty_typeENS0_5tupleIJS8_S9_EEENSB_IJS8_SA_EEENS0_18inequality_wrapperIZN2at6native12_GLOBAL__N_124unique_dim_cuda_templateIhEESt5tupleIJNSF_6TensorESK_SK_EERKSK_lbbbEUlllE0_EEPmJS9_EEE10hipError_tPvRmT3_T4_T5_T6_T7_T9_mT8_P12ihipStream_tbDpT10_ENKUlT_T0_E_clISt17integral_constantIbLb1EES1A_EEDaS15_S16_EUlS15_E_NS1_11comp_targetILNS1_3genE5ELNS1_11target_archE942ELNS1_3gpuE9ELNS1_3repE0EEENS1_30default_config_static_selectorELNS0_4arch9wavefront6targetE0EEEvT1_,comdat
	.globl	_ZN7rocprim17ROCPRIM_400000_NS6detail17trampoline_kernelINS0_14default_configENS1_25partition_config_selectorILNS1_17partition_subalgoE9EllbEEZZNS1_14partition_implILS5_9ELb0ES3_jPlS8_PNS0_10empty_typeENS0_5tupleIJS8_S9_EEENSB_IJS8_SA_EEENS0_18inequality_wrapperIZN2at6native12_GLOBAL__N_124unique_dim_cuda_templateIhEESt5tupleIJNSF_6TensorESK_SK_EERKSK_lbbbEUlllE0_EEPmJS9_EEE10hipError_tPvRmT3_T4_T5_T6_T7_T9_mT8_P12ihipStream_tbDpT10_ENKUlT_T0_E_clISt17integral_constantIbLb1EES1A_EEDaS15_S16_EUlS15_E_NS1_11comp_targetILNS1_3genE5ELNS1_11target_archE942ELNS1_3gpuE9ELNS1_3repE0EEENS1_30default_config_static_selectorELNS0_4arch9wavefront6targetE0EEEvT1_ ; -- Begin function _ZN7rocprim17ROCPRIM_400000_NS6detail17trampoline_kernelINS0_14default_configENS1_25partition_config_selectorILNS1_17partition_subalgoE9EllbEEZZNS1_14partition_implILS5_9ELb0ES3_jPlS8_PNS0_10empty_typeENS0_5tupleIJS8_S9_EEENSB_IJS8_SA_EEENS0_18inequality_wrapperIZN2at6native12_GLOBAL__N_124unique_dim_cuda_templateIhEESt5tupleIJNSF_6TensorESK_SK_EERKSK_lbbbEUlllE0_EEPmJS9_EEE10hipError_tPvRmT3_T4_T5_T6_T7_T9_mT8_P12ihipStream_tbDpT10_ENKUlT_T0_E_clISt17integral_constantIbLb1EES1A_EEDaS15_S16_EUlS15_E_NS1_11comp_targetILNS1_3genE5ELNS1_11target_archE942ELNS1_3gpuE9ELNS1_3repE0EEENS1_30default_config_static_selectorELNS0_4arch9wavefront6targetE0EEEvT1_
	.p2align	8
	.type	_ZN7rocprim17ROCPRIM_400000_NS6detail17trampoline_kernelINS0_14default_configENS1_25partition_config_selectorILNS1_17partition_subalgoE9EllbEEZZNS1_14partition_implILS5_9ELb0ES3_jPlS8_PNS0_10empty_typeENS0_5tupleIJS8_S9_EEENSB_IJS8_SA_EEENS0_18inequality_wrapperIZN2at6native12_GLOBAL__N_124unique_dim_cuda_templateIhEESt5tupleIJNSF_6TensorESK_SK_EERKSK_lbbbEUlllE0_EEPmJS9_EEE10hipError_tPvRmT3_T4_T5_T6_T7_T9_mT8_P12ihipStream_tbDpT10_ENKUlT_T0_E_clISt17integral_constantIbLb1EES1A_EEDaS15_S16_EUlS15_E_NS1_11comp_targetILNS1_3genE5ELNS1_11target_archE942ELNS1_3gpuE9ELNS1_3repE0EEENS1_30default_config_static_selectorELNS0_4arch9wavefront6targetE0EEEvT1_,@function
_ZN7rocprim17ROCPRIM_400000_NS6detail17trampoline_kernelINS0_14default_configENS1_25partition_config_selectorILNS1_17partition_subalgoE9EllbEEZZNS1_14partition_implILS5_9ELb0ES3_jPlS8_PNS0_10empty_typeENS0_5tupleIJS8_S9_EEENSB_IJS8_SA_EEENS0_18inequality_wrapperIZN2at6native12_GLOBAL__N_124unique_dim_cuda_templateIhEESt5tupleIJNSF_6TensorESK_SK_EERKSK_lbbbEUlllE0_EEPmJS9_EEE10hipError_tPvRmT3_T4_T5_T6_T7_T9_mT8_P12ihipStream_tbDpT10_ENKUlT_T0_E_clISt17integral_constantIbLb1EES1A_EEDaS15_S16_EUlS15_E_NS1_11comp_targetILNS1_3genE5ELNS1_11target_archE942ELNS1_3gpuE9ELNS1_3repE0EEENS1_30default_config_static_selectorELNS0_4arch9wavefront6targetE0EEEvT1_: ; @_ZN7rocprim17ROCPRIM_400000_NS6detail17trampoline_kernelINS0_14default_configENS1_25partition_config_selectorILNS1_17partition_subalgoE9EllbEEZZNS1_14partition_implILS5_9ELb0ES3_jPlS8_PNS0_10empty_typeENS0_5tupleIJS8_S9_EEENSB_IJS8_SA_EEENS0_18inequality_wrapperIZN2at6native12_GLOBAL__N_124unique_dim_cuda_templateIhEESt5tupleIJNSF_6TensorESK_SK_EERKSK_lbbbEUlllE0_EEPmJS9_EEE10hipError_tPvRmT3_T4_T5_T6_T7_T9_mT8_P12ihipStream_tbDpT10_ENKUlT_T0_E_clISt17integral_constantIbLb1EES1A_EEDaS15_S16_EUlS15_E_NS1_11comp_targetILNS1_3genE5ELNS1_11target_archE942ELNS1_3gpuE9ELNS1_3repE0EEENS1_30default_config_static_selectorELNS0_4arch9wavefront6targetE0EEEvT1_
; %bb.0:
	.section	.rodata,"a",@progbits
	.p2align	6, 0x0
	.amdhsa_kernel _ZN7rocprim17ROCPRIM_400000_NS6detail17trampoline_kernelINS0_14default_configENS1_25partition_config_selectorILNS1_17partition_subalgoE9EllbEEZZNS1_14partition_implILS5_9ELb0ES3_jPlS8_PNS0_10empty_typeENS0_5tupleIJS8_S9_EEENSB_IJS8_SA_EEENS0_18inequality_wrapperIZN2at6native12_GLOBAL__N_124unique_dim_cuda_templateIhEESt5tupleIJNSF_6TensorESK_SK_EERKSK_lbbbEUlllE0_EEPmJS9_EEE10hipError_tPvRmT3_T4_T5_T6_T7_T9_mT8_P12ihipStream_tbDpT10_ENKUlT_T0_E_clISt17integral_constantIbLb1EES1A_EEDaS15_S16_EUlS15_E_NS1_11comp_targetILNS1_3genE5ELNS1_11target_archE942ELNS1_3gpuE9ELNS1_3repE0EEENS1_30default_config_static_selectorELNS0_4arch9wavefront6targetE0EEEvT1_
		.amdhsa_group_segment_fixed_size 0
		.amdhsa_private_segment_fixed_size 0
		.amdhsa_kernarg_size 136
		.amdhsa_user_sgpr_count 2
		.amdhsa_user_sgpr_dispatch_ptr 0
		.amdhsa_user_sgpr_queue_ptr 0
		.amdhsa_user_sgpr_kernarg_segment_ptr 1
		.amdhsa_user_sgpr_dispatch_id 0
		.amdhsa_user_sgpr_kernarg_preload_length 0
		.amdhsa_user_sgpr_kernarg_preload_offset 0
		.amdhsa_user_sgpr_private_segment_size 0
		.amdhsa_wavefront_size32 1
		.amdhsa_uses_dynamic_stack 0
		.amdhsa_enable_private_segment 0
		.amdhsa_system_sgpr_workgroup_id_x 1
		.amdhsa_system_sgpr_workgroup_id_y 0
		.amdhsa_system_sgpr_workgroup_id_z 0
		.amdhsa_system_sgpr_workgroup_info 0
		.amdhsa_system_vgpr_workitem_id 0
		.amdhsa_next_free_vgpr 1
		.amdhsa_next_free_sgpr 1
		.amdhsa_named_barrier_count 0
		.amdhsa_reserve_vcc 0
		.amdhsa_float_round_mode_32 0
		.amdhsa_float_round_mode_16_64 0
		.amdhsa_float_denorm_mode_32 3
		.amdhsa_float_denorm_mode_16_64 3
		.amdhsa_fp16_overflow 0
		.amdhsa_memory_ordered 1
		.amdhsa_forward_progress 1
		.amdhsa_inst_pref_size 0
		.amdhsa_round_robin_scheduling 0
		.amdhsa_exception_fp_ieee_invalid_op 0
		.amdhsa_exception_fp_denorm_src 0
		.amdhsa_exception_fp_ieee_div_zero 0
		.amdhsa_exception_fp_ieee_overflow 0
		.amdhsa_exception_fp_ieee_underflow 0
		.amdhsa_exception_fp_ieee_inexact 0
		.amdhsa_exception_int_div_zero 0
	.end_amdhsa_kernel
	.section	.text._ZN7rocprim17ROCPRIM_400000_NS6detail17trampoline_kernelINS0_14default_configENS1_25partition_config_selectorILNS1_17partition_subalgoE9EllbEEZZNS1_14partition_implILS5_9ELb0ES3_jPlS8_PNS0_10empty_typeENS0_5tupleIJS8_S9_EEENSB_IJS8_SA_EEENS0_18inequality_wrapperIZN2at6native12_GLOBAL__N_124unique_dim_cuda_templateIhEESt5tupleIJNSF_6TensorESK_SK_EERKSK_lbbbEUlllE0_EEPmJS9_EEE10hipError_tPvRmT3_T4_T5_T6_T7_T9_mT8_P12ihipStream_tbDpT10_ENKUlT_T0_E_clISt17integral_constantIbLb1EES1A_EEDaS15_S16_EUlS15_E_NS1_11comp_targetILNS1_3genE5ELNS1_11target_archE942ELNS1_3gpuE9ELNS1_3repE0EEENS1_30default_config_static_selectorELNS0_4arch9wavefront6targetE0EEEvT1_,"axG",@progbits,_ZN7rocprim17ROCPRIM_400000_NS6detail17trampoline_kernelINS0_14default_configENS1_25partition_config_selectorILNS1_17partition_subalgoE9EllbEEZZNS1_14partition_implILS5_9ELb0ES3_jPlS8_PNS0_10empty_typeENS0_5tupleIJS8_S9_EEENSB_IJS8_SA_EEENS0_18inequality_wrapperIZN2at6native12_GLOBAL__N_124unique_dim_cuda_templateIhEESt5tupleIJNSF_6TensorESK_SK_EERKSK_lbbbEUlllE0_EEPmJS9_EEE10hipError_tPvRmT3_T4_T5_T6_T7_T9_mT8_P12ihipStream_tbDpT10_ENKUlT_T0_E_clISt17integral_constantIbLb1EES1A_EEDaS15_S16_EUlS15_E_NS1_11comp_targetILNS1_3genE5ELNS1_11target_archE942ELNS1_3gpuE9ELNS1_3repE0EEENS1_30default_config_static_selectorELNS0_4arch9wavefront6targetE0EEEvT1_,comdat
.Lfunc_end213:
	.size	_ZN7rocprim17ROCPRIM_400000_NS6detail17trampoline_kernelINS0_14default_configENS1_25partition_config_selectorILNS1_17partition_subalgoE9EllbEEZZNS1_14partition_implILS5_9ELb0ES3_jPlS8_PNS0_10empty_typeENS0_5tupleIJS8_S9_EEENSB_IJS8_SA_EEENS0_18inequality_wrapperIZN2at6native12_GLOBAL__N_124unique_dim_cuda_templateIhEESt5tupleIJNSF_6TensorESK_SK_EERKSK_lbbbEUlllE0_EEPmJS9_EEE10hipError_tPvRmT3_T4_T5_T6_T7_T9_mT8_P12ihipStream_tbDpT10_ENKUlT_T0_E_clISt17integral_constantIbLb1EES1A_EEDaS15_S16_EUlS15_E_NS1_11comp_targetILNS1_3genE5ELNS1_11target_archE942ELNS1_3gpuE9ELNS1_3repE0EEENS1_30default_config_static_selectorELNS0_4arch9wavefront6targetE0EEEvT1_, .Lfunc_end213-_ZN7rocprim17ROCPRIM_400000_NS6detail17trampoline_kernelINS0_14default_configENS1_25partition_config_selectorILNS1_17partition_subalgoE9EllbEEZZNS1_14partition_implILS5_9ELb0ES3_jPlS8_PNS0_10empty_typeENS0_5tupleIJS8_S9_EEENSB_IJS8_SA_EEENS0_18inequality_wrapperIZN2at6native12_GLOBAL__N_124unique_dim_cuda_templateIhEESt5tupleIJNSF_6TensorESK_SK_EERKSK_lbbbEUlllE0_EEPmJS9_EEE10hipError_tPvRmT3_T4_T5_T6_T7_T9_mT8_P12ihipStream_tbDpT10_ENKUlT_T0_E_clISt17integral_constantIbLb1EES1A_EEDaS15_S16_EUlS15_E_NS1_11comp_targetILNS1_3genE5ELNS1_11target_archE942ELNS1_3gpuE9ELNS1_3repE0EEENS1_30default_config_static_selectorELNS0_4arch9wavefront6targetE0EEEvT1_
                                        ; -- End function
	.set _ZN7rocprim17ROCPRIM_400000_NS6detail17trampoline_kernelINS0_14default_configENS1_25partition_config_selectorILNS1_17partition_subalgoE9EllbEEZZNS1_14partition_implILS5_9ELb0ES3_jPlS8_PNS0_10empty_typeENS0_5tupleIJS8_S9_EEENSB_IJS8_SA_EEENS0_18inequality_wrapperIZN2at6native12_GLOBAL__N_124unique_dim_cuda_templateIhEESt5tupleIJNSF_6TensorESK_SK_EERKSK_lbbbEUlllE0_EEPmJS9_EEE10hipError_tPvRmT3_T4_T5_T6_T7_T9_mT8_P12ihipStream_tbDpT10_ENKUlT_T0_E_clISt17integral_constantIbLb1EES1A_EEDaS15_S16_EUlS15_E_NS1_11comp_targetILNS1_3genE5ELNS1_11target_archE942ELNS1_3gpuE9ELNS1_3repE0EEENS1_30default_config_static_selectorELNS0_4arch9wavefront6targetE0EEEvT1_.num_vgpr, 0
	.set _ZN7rocprim17ROCPRIM_400000_NS6detail17trampoline_kernelINS0_14default_configENS1_25partition_config_selectorILNS1_17partition_subalgoE9EllbEEZZNS1_14partition_implILS5_9ELb0ES3_jPlS8_PNS0_10empty_typeENS0_5tupleIJS8_S9_EEENSB_IJS8_SA_EEENS0_18inequality_wrapperIZN2at6native12_GLOBAL__N_124unique_dim_cuda_templateIhEESt5tupleIJNSF_6TensorESK_SK_EERKSK_lbbbEUlllE0_EEPmJS9_EEE10hipError_tPvRmT3_T4_T5_T6_T7_T9_mT8_P12ihipStream_tbDpT10_ENKUlT_T0_E_clISt17integral_constantIbLb1EES1A_EEDaS15_S16_EUlS15_E_NS1_11comp_targetILNS1_3genE5ELNS1_11target_archE942ELNS1_3gpuE9ELNS1_3repE0EEENS1_30default_config_static_selectorELNS0_4arch9wavefront6targetE0EEEvT1_.num_agpr, 0
	.set _ZN7rocprim17ROCPRIM_400000_NS6detail17trampoline_kernelINS0_14default_configENS1_25partition_config_selectorILNS1_17partition_subalgoE9EllbEEZZNS1_14partition_implILS5_9ELb0ES3_jPlS8_PNS0_10empty_typeENS0_5tupleIJS8_S9_EEENSB_IJS8_SA_EEENS0_18inequality_wrapperIZN2at6native12_GLOBAL__N_124unique_dim_cuda_templateIhEESt5tupleIJNSF_6TensorESK_SK_EERKSK_lbbbEUlllE0_EEPmJS9_EEE10hipError_tPvRmT3_T4_T5_T6_T7_T9_mT8_P12ihipStream_tbDpT10_ENKUlT_T0_E_clISt17integral_constantIbLb1EES1A_EEDaS15_S16_EUlS15_E_NS1_11comp_targetILNS1_3genE5ELNS1_11target_archE942ELNS1_3gpuE9ELNS1_3repE0EEENS1_30default_config_static_selectorELNS0_4arch9wavefront6targetE0EEEvT1_.numbered_sgpr, 0
	.set _ZN7rocprim17ROCPRIM_400000_NS6detail17trampoline_kernelINS0_14default_configENS1_25partition_config_selectorILNS1_17partition_subalgoE9EllbEEZZNS1_14partition_implILS5_9ELb0ES3_jPlS8_PNS0_10empty_typeENS0_5tupleIJS8_S9_EEENSB_IJS8_SA_EEENS0_18inequality_wrapperIZN2at6native12_GLOBAL__N_124unique_dim_cuda_templateIhEESt5tupleIJNSF_6TensorESK_SK_EERKSK_lbbbEUlllE0_EEPmJS9_EEE10hipError_tPvRmT3_T4_T5_T6_T7_T9_mT8_P12ihipStream_tbDpT10_ENKUlT_T0_E_clISt17integral_constantIbLb1EES1A_EEDaS15_S16_EUlS15_E_NS1_11comp_targetILNS1_3genE5ELNS1_11target_archE942ELNS1_3gpuE9ELNS1_3repE0EEENS1_30default_config_static_selectorELNS0_4arch9wavefront6targetE0EEEvT1_.num_named_barrier, 0
	.set _ZN7rocprim17ROCPRIM_400000_NS6detail17trampoline_kernelINS0_14default_configENS1_25partition_config_selectorILNS1_17partition_subalgoE9EllbEEZZNS1_14partition_implILS5_9ELb0ES3_jPlS8_PNS0_10empty_typeENS0_5tupleIJS8_S9_EEENSB_IJS8_SA_EEENS0_18inequality_wrapperIZN2at6native12_GLOBAL__N_124unique_dim_cuda_templateIhEESt5tupleIJNSF_6TensorESK_SK_EERKSK_lbbbEUlllE0_EEPmJS9_EEE10hipError_tPvRmT3_T4_T5_T6_T7_T9_mT8_P12ihipStream_tbDpT10_ENKUlT_T0_E_clISt17integral_constantIbLb1EES1A_EEDaS15_S16_EUlS15_E_NS1_11comp_targetILNS1_3genE5ELNS1_11target_archE942ELNS1_3gpuE9ELNS1_3repE0EEENS1_30default_config_static_selectorELNS0_4arch9wavefront6targetE0EEEvT1_.private_seg_size, 0
	.set _ZN7rocprim17ROCPRIM_400000_NS6detail17trampoline_kernelINS0_14default_configENS1_25partition_config_selectorILNS1_17partition_subalgoE9EllbEEZZNS1_14partition_implILS5_9ELb0ES3_jPlS8_PNS0_10empty_typeENS0_5tupleIJS8_S9_EEENSB_IJS8_SA_EEENS0_18inequality_wrapperIZN2at6native12_GLOBAL__N_124unique_dim_cuda_templateIhEESt5tupleIJNSF_6TensorESK_SK_EERKSK_lbbbEUlllE0_EEPmJS9_EEE10hipError_tPvRmT3_T4_T5_T6_T7_T9_mT8_P12ihipStream_tbDpT10_ENKUlT_T0_E_clISt17integral_constantIbLb1EES1A_EEDaS15_S16_EUlS15_E_NS1_11comp_targetILNS1_3genE5ELNS1_11target_archE942ELNS1_3gpuE9ELNS1_3repE0EEENS1_30default_config_static_selectorELNS0_4arch9wavefront6targetE0EEEvT1_.uses_vcc, 0
	.set _ZN7rocprim17ROCPRIM_400000_NS6detail17trampoline_kernelINS0_14default_configENS1_25partition_config_selectorILNS1_17partition_subalgoE9EllbEEZZNS1_14partition_implILS5_9ELb0ES3_jPlS8_PNS0_10empty_typeENS0_5tupleIJS8_S9_EEENSB_IJS8_SA_EEENS0_18inequality_wrapperIZN2at6native12_GLOBAL__N_124unique_dim_cuda_templateIhEESt5tupleIJNSF_6TensorESK_SK_EERKSK_lbbbEUlllE0_EEPmJS9_EEE10hipError_tPvRmT3_T4_T5_T6_T7_T9_mT8_P12ihipStream_tbDpT10_ENKUlT_T0_E_clISt17integral_constantIbLb1EES1A_EEDaS15_S16_EUlS15_E_NS1_11comp_targetILNS1_3genE5ELNS1_11target_archE942ELNS1_3gpuE9ELNS1_3repE0EEENS1_30default_config_static_selectorELNS0_4arch9wavefront6targetE0EEEvT1_.uses_flat_scratch, 0
	.set _ZN7rocprim17ROCPRIM_400000_NS6detail17trampoline_kernelINS0_14default_configENS1_25partition_config_selectorILNS1_17partition_subalgoE9EllbEEZZNS1_14partition_implILS5_9ELb0ES3_jPlS8_PNS0_10empty_typeENS0_5tupleIJS8_S9_EEENSB_IJS8_SA_EEENS0_18inequality_wrapperIZN2at6native12_GLOBAL__N_124unique_dim_cuda_templateIhEESt5tupleIJNSF_6TensorESK_SK_EERKSK_lbbbEUlllE0_EEPmJS9_EEE10hipError_tPvRmT3_T4_T5_T6_T7_T9_mT8_P12ihipStream_tbDpT10_ENKUlT_T0_E_clISt17integral_constantIbLb1EES1A_EEDaS15_S16_EUlS15_E_NS1_11comp_targetILNS1_3genE5ELNS1_11target_archE942ELNS1_3gpuE9ELNS1_3repE0EEENS1_30default_config_static_selectorELNS0_4arch9wavefront6targetE0EEEvT1_.has_dyn_sized_stack, 0
	.set _ZN7rocprim17ROCPRIM_400000_NS6detail17trampoline_kernelINS0_14default_configENS1_25partition_config_selectorILNS1_17partition_subalgoE9EllbEEZZNS1_14partition_implILS5_9ELb0ES3_jPlS8_PNS0_10empty_typeENS0_5tupleIJS8_S9_EEENSB_IJS8_SA_EEENS0_18inequality_wrapperIZN2at6native12_GLOBAL__N_124unique_dim_cuda_templateIhEESt5tupleIJNSF_6TensorESK_SK_EERKSK_lbbbEUlllE0_EEPmJS9_EEE10hipError_tPvRmT3_T4_T5_T6_T7_T9_mT8_P12ihipStream_tbDpT10_ENKUlT_T0_E_clISt17integral_constantIbLb1EES1A_EEDaS15_S16_EUlS15_E_NS1_11comp_targetILNS1_3genE5ELNS1_11target_archE942ELNS1_3gpuE9ELNS1_3repE0EEENS1_30default_config_static_selectorELNS0_4arch9wavefront6targetE0EEEvT1_.has_recursion, 0
	.set _ZN7rocprim17ROCPRIM_400000_NS6detail17trampoline_kernelINS0_14default_configENS1_25partition_config_selectorILNS1_17partition_subalgoE9EllbEEZZNS1_14partition_implILS5_9ELb0ES3_jPlS8_PNS0_10empty_typeENS0_5tupleIJS8_S9_EEENSB_IJS8_SA_EEENS0_18inequality_wrapperIZN2at6native12_GLOBAL__N_124unique_dim_cuda_templateIhEESt5tupleIJNSF_6TensorESK_SK_EERKSK_lbbbEUlllE0_EEPmJS9_EEE10hipError_tPvRmT3_T4_T5_T6_T7_T9_mT8_P12ihipStream_tbDpT10_ENKUlT_T0_E_clISt17integral_constantIbLb1EES1A_EEDaS15_S16_EUlS15_E_NS1_11comp_targetILNS1_3genE5ELNS1_11target_archE942ELNS1_3gpuE9ELNS1_3repE0EEENS1_30default_config_static_selectorELNS0_4arch9wavefront6targetE0EEEvT1_.has_indirect_call, 0
	.section	.AMDGPU.csdata,"",@progbits
; Kernel info:
; codeLenInByte = 0
; TotalNumSgprs: 0
; NumVgprs: 0
; ScratchSize: 0
; MemoryBound: 0
; FloatMode: 240
; IeeeMode: 1
; LDSByteSize: 0 bytes/workgroup (compile time only)
; SGPRBlocks: 0
; VGPRBlocks: 0
; NumSGPRsForWavesPerEU: 1
; NumVGPRsForWavesPerEU: 1
; NamedBarCnt: 0
; Occupancy: 16
; WaveLimiterHint : 0
; COMPUTE_PGM_RSRC2:SCRATCH_EN: 0
; COMPUTE_PGM_RSRC2:USER_SGPR: 2
; COMPUTE_PGM_RSRC2:TRAP_HANDLER: 0
; COMPUTE_PGM_RSRC2:TGID_X_EN: 1
; COMPUTE_PGM_RSRC2:TGID_Y_EN: 0
; COMPUTE_PGM_RSRC2:TGID_Z_EN: 0
; COMPUTE_PGM_RSRC2:TIDIG_COMP_CNT: 0
	.section	.text._ZN7rocprim17ROCPRIM_400000_NS6detail17trampoline_kernelINS0_14default_configENS1_25partition_config_selectorILNS1_17partition_subalgoE9EllbEEZZNS1_14partition_implILS5_9ELb0ES3_jPlS8_PNS0_10empty_typeENS0_5tupleIJS8_S9_EEENSB_IJS8_SA_EEENS0_18inequality_wrapperIZN2at6native12_GLOBAL__N_124unique_dim_cuda_templateIhEESt5tupleIJNSF_6TensorESK_SK_EERKSK_lbbbEUlllE0_EEPmJS9_EEE10hipError_tPvRmT3_T4_T5_T6_T7_T9_mT8_P12ihipStream_tbDpT10_ENKUlT_T0_E_clISt17integral_constantIbLb1EES1A_EEDaS15_S16_EUlS15_E_NS1_11comp_targetILNS1_3genE4ELNS1_11target_archE910ELNS1_3gpuE8ELNS1_3repE0EEENS1_30default_config_static_selectorELNS0_4arch9wavefront6targetE0EEEvT1_,"axG",@progbits,_ZN7rocprim17ROCPRIM_400000_NS6detail17trampoline_kernelINS0_14default_configENS1_25partition_config_selectorILNS1_17partition_subalgoE9EllbEEZZNS1_14partition_implILS5_9ELb0ES3_jPlS8_PNS0_10empty_typeENS0_5tupleIJS8_S9_EEENSB_IJS8_SA_EEENS0_18inequality_wrapperIZN2at6native12_GLOBAL__N_124unique_dim_cuda_templateIhEESt5tupleIJNSF_6TensorESK_SK_EERKSK_lbbbEUlllE0_EEPmJS9_EEE10hipError_tPvRmT3_T4_T5_T6_T7_T9_mT8_P12ihipStream_tbDpT10_ENKUlT_T0_E_clISt17integral_constantIbLb1EES1A_EEDaS15_S16_EUlS15_E_NS1_11comp_targetILNS1_3genE4ELNS1_11target_archE910ELNS1_3gpuE8ELNS1_3repE0EEENS1_30default_config_static_selectorELNS0_4arch9wavefront6targetE0EEEvT1_,comdat
	.globl	_ZN7rocprim17ROCPRIM_400000_NS6detail17trampoline_kernelINS0_14default_configENS1_25partition_config_selectorILNS1_17partition_subalgoE9EllbEEZZNS1_14partition_implILS5_9ELb0ES3_jPlS8_PNS0_10empty_typeENS0_5tupleIJS8_S9_EEENSB_IJS8_SA_EEENS0_18inequality_wrapperIZN2at6native12_GLOBAL__N_124unique_dim_cuda_templateIhEESt5tupleIJNSF_6TensorESK_SK_EERKSK_lbbbEUlllE0_EEPmJS9_EEE10hipError_tPvRmT3_T4_T5_T6_T7_T9_mT8_P12ihipStream_tbDpT10_ENKUlT_T0_E_clISt17integral_constantIbLb1EES1A_EEDaS15_S16_EUlS15_E_NS1_11comp_targetILNS1_3genE4ELNS1_11target_archE910ELNS1_3gpuE8ELNS1_3repE0EEENS1_30default_config_static_selectorELNS0_4arch9wavefront6targetE0EEEvT1_ ; -- Begin function _ZN7rocprim17ROCPRIM_400000_NS6detail17trampoline_kernelINS0_14default_configENS1_25partition_config_selectorILNS1_17partition_subalgoE9EllbEEZZNS1_14partition_implILS5_9ELb0ES3_jPlS8_PNS0_10empty_typeENS0_5tupleIJS8_S9_EEENSB_IJS8_SA_EEENS0_18inequality_wrapperIZN2at6native12_GLOBAL__N_124unique_dim_cuda_templateIhEESt5tupleIJNSF_6TensorESK_SK_EERKSK_lbbbEUlllE0_EEPmJS9_EEE10hipError_tPvRmT3_T4_T5_T6_T7_T9_mT8_P12ihipStream_tbDpT10_ENKUlT_T0_E_clISt17integral_constantIbLb1EES1A_EEDaS15_S16_EUlS15_E_NS1_11comp_targetILNS1_3genE4ELNS1_11target_archE910ELNS1_3gpuE8ELNS1_3repE0EEENS1_30default_config_static_selectorELNS0_4arch9wavefront6targetE0EEEvT1_
	.p2align	8
	.type	_ZN7rocprim17ROCPRIM_400000_NS6detail17trampoline_kernelINS0_14default_configENS1_25partition_config_selectorILNS1_17partition_subalgoE9EllbEEZZNS1_14partition_implILS5_9ELb0ES3_jPlS8_PNS0_10empty_typeENS0_5tupleIJS8_S9_EEENSB_IJS8_SA_EEENS0_18inequality_wrapperIZN2at6native12_GLOBAL__N_124unique_dim_cuda_templateIhEESt5tupleIJNSF_6TensorESK_SK_EERKSK_lbbbEUlllE0_EEPmJS9_EEE10hipError_tPvRmT3_T4_T5_T6_T7_T9_mT8_P12ihipStream_tbDpT10_ENKUlT_T0_E_clISt17integral_constantIbLb1EES1A_EEDaS15_S16_EUlS15_E_NS1_11comp_targetILNS1_3genE4ELNS1_11target_archE910ELNS1_3gpuE8ELNS1_3repE0EEENS1_30default_config_static_selectorELNS0_4arch9wavefront6targetE0EEEvT1_,@function
_ZN7rocprim17ROCPRIM_400000_NS6detail17trampoline_kernelINS0_14default_configENS1_25partition_config_selectorILNS1_17partition_subalgoE9EllbEEZZNS1_14partition_implILS5_9ELb0ES3_jPlS8_PNS0_10empty_typeENS0_5tupleIJS8_S9_EEENSB_IJS8_SA_EEENS0_18inequality_wrapperIZN2at6native12_GLOBAL__N_124unique_dim_cuda_templateIhEESt5tupleIJNSF_6TensorESK_SK_EERKSK_lbbbEUlllE0_EEPmJS9_EEE10hipError_tPvRmT3_T4_T5_T6_T7_T9_mT8_P12ihipStream_tbDpT10_ENKUlT_T0_E_clISt17integral_constantIbLb1EES1A_EEDaS15_S16_EUlS15_E_NS1_11comp_targetILNS1_3genE4ELNS1_11target_archE910ELNS1_3gpuE8ELNS1_3repE0EEENS1_30default_config_static_selectorELNS0_4arch9wavefront6targetE0EEEvT1_: ; @_ZN7rocprim17ROCPRIM_400000_NS6detail17trampoline_kernelINS0_14default_configENS1_25partition_config_selectorILNS1_17partition_subalgoE9EllbEEZZNS1_14partition_implILS5_9ELb0ES3_jPlS8_PNS0_10empty_typeENS0_5tupleIJS8_S9_EEENSB_IJS8_SA_EEENS0_18inequality_wrapperIZN2at6native12_GLOBAL__N_124unique_dim_cuda_templateIhEESt5tupleIJNSF_6TensorESK_SK_EERKSK_lbbbEUlllE0_EEPmJS9_EEE10hipError_tPvRmT3_T4_T5_T6_T7_T9_mT8_P12ihipStream_tbDpT10_ENKUlT_T0_E_clISt17integral_constantIbLb1EES1A_EEDaS15_S16_EUlS15_E_NS1_11comp_targetILNS1_3genE4ELNS1_11target_archE910ELNS1_3gpuE8ELNS1_3repE0EEENS1_30default_config_static_selectorELNS0_4arch9wavefront6targetE0EEEvT1_
; %bb.0:
	.section	.rodata,"a",@progbits
	.p2align	6, 0x0
	.amdhsa_kernel _ZN7rocprim17ROCPRIM_400000_NS6detail17trampoline_kernelINS0_14default_configENS1_25partition_config_selectorILNS1_17partition_subalgoE9EllbEEZZNS1_14partition_implILS5_9ELb0ES3_jPlS8_PNS0_10empty_typeENS0_5tupleIJS8_S9_EEENSB_IJS8_SA_EEENS0_18inequality_wrapperIZN2at6native12_GLOBAL__N_124unique_dim_cuda_templateIhEESt5tupleIJNSF_6TensorESK_SK_EERKSK_lbbbEUlllE0_EEPmJS9_EEE10hipError_tPvRmT3_T4_T5_T6_T7_T9_mT8_P12ihipStream_tbDpT10_ENKUlT_T0_E_clISt17integral_constantIbLb1EES1A_EEDaS15_S16_EUlS15_E_NS1_11comp_targetILNS1_3genE4ELNS1_11target_archE910ELNS1_3gpuE8ELNS1_3repE0EEENS1_30default_config_static_selectorELNS0_4arch9wavefront6targetE0EEEvT1_
		.amdhsa_group_segment_fixed_size 0
		.amdhsa_private_segment_fixed_size 0
		.amdhsa_kernarg_size 136
		.amdhsa_user_sgpr_count 2
		.amdhsa_user_sgpr_dispatch_ptr 0
		.amdhsa_user_sgpr_queue_ptr 0
		.amdhsa_user_sgpr_kernarg_segment_ptr 1
		.amdhsa_user_sgpr_dispatch_id 0
		.amdhsa_user_sgpr_kernarg_preload_length 0
		.amdhsa_user_sgpr_kernarg_preload_offset 0
		.amdhsa_user_sgpr_private_segment_size 0
		.amdhsa_wavefront_size32 1
		.amdhsa_uses_dynamic_stack 0
		.amdhsa_enable_private_segment 0
		.amdhsa_system_sgpr_workgroup_id_x 1
		.amdhsa_system_sgpr_workgroup_id_y 0
		.amdhsa_system_sgpr_workgroup_id_z 0
		.amdhsa_system_sgpr_workgroup_info 0
		.amdhsa_system_vgpr_workitem_id 0
		.amdhsa_next_free_vgpr 1
		.amdhsa_next_free_sgpr 1
		.amdhsa_named_barrier_count 0
		.amdhsa_reserve_vcc 0
		.amdhsa_float_round_mode_32 0
		.amdhsa_float_round_mode_16_64 0
		.amdhsa_float_denorm_mode_32 3
		.amdhsa_float_denorm_mode_16_64 3
		.amdhsa_fp16_overflow 0
		.amdhsa_memory_ordered 1
		.amdhsa_forward_progress 1
		.amdhsa_inst_pref_size 0
		.amdhsa_round_robin_scheduling 0
		.amdhsa_exception_fp_ieee_invalid_op 0
		.amdhsa_exception_fp_denorm_src 0
		.amdhsa_exception_fp_ieee_div_zero 0
		.amdhsa_exception_fp_ieee_overflow 0
		.amdhsa_exception_fp_ieee_underflow 0
		.amdhsa_exception_fp_ieee_inexact 0
		.amdhsa_exception_int_div_zero 0
	.end_amdhsa_kernel
	.section	.text._ZN7rocprim17ROCPRIM_400000_NS6detail17trampoline_kernelINS0_14default_configENS1_25partition_config_selectorILNS1_17partition_subalgoE9EllbEEZZNS1_14partition_implILS5_9ELb0ES3_jPlS8_PNS0_10empty_typeENS0_5tupleIJS8_S9_EEENSB_IJS8_SA_EEENS0_18inequality_wrapperIZN2at6native12_GLOBAL__N_124unique_dim_cuda_templateIhEESt5tupleIJNSF_6TensorESK_SK_EERKSK_lbbbEUlllE0_EEPmJS9_EEE10hipError_tPvRmT3_T4_T5_T6_T7_T9_mT8_P12ihipStream_tbDpT10_ENKUlT_T0_E_clISt17integral_constantIbLb1EES1A_EEDaS15_S16_EUlS15_E_NS1_11comp_targetILNS1_3genE4ELNS1_11target_archE910ELNS1_3gpuE8ELNS1_3repE0EEENS1_30default_config_static_selectorELNS0_4arch9wavefront6targetE0EEEvT1_,"axG",@progbits,_ZN7rocprim17ROCPRIM_400000_NS6detail17trampoline_kernelINS0_14default_configENS1_25partition_config_selectorILNS1_17partition_subalgoE9EllbEEZZNS1_14partition_implILS5_9ELb0ES3_jPlS8_PNS0_10empty_typeENS0_5tupleIJS8_S9_EEENSB_IJS8_SA_EEENS0_18inequality_wrapperIZN2at6native12_GLOBAL__N_124unique_dim_cuda_templateIhEESt5tupleIJNSF_6TensorESK_SK_EERKSK_lbbbEUlllE0_EEPmJS9_EEE10hipError_tPvRmT3_T4_T5_T6_T7_T9_mT8_P12ihipStream_tbDpT10_ENKUlT_T0_E_clISt17integral_constantIbLb1EES1A_EEDaS15_S16_EUlS15_E_NS1_11comp_targetILNS1_3genE4ELNS1_11target_archE910ELNS1_3gpuE8ELNS1_3repE0EEENS1_30default_config_static_selectorELNS0_4arch9wavefront6targetE0EEEvT1_,comdat
.Lfunc_end214:
	.size	_ZN7rocprim17ROCPRIM_400000_NS6detail17trampoline_kernelINS0_14default_configENS1_25partition_config_selectorILNS1_17partition_subalgoE9EllbEEZZNS1_14partition_implILS5_9ELb0ES3_jPlS8_PNS0_10empty_typeENS0_5tupleIJS8_S9_EEENSB_IJS8_SA_EEENS0_18inequality_wrapperIZN2at6native12_GLOBAL__N_124unique_dim_cuda_templateIhEESt5tupleIJNSF_6TensorESK_SK_EERKSK_lbbbEUlllE0_EEPmJS9_EEE10hipError_tPvRmT3_T4_T5_T6_T7_T9_mT8_P12ihipStream_tbDpT10_ENKUlT_T0_E_clISt17integral_constantIbLb1EES1A_EEDaS15_S16_EUlS15_E_NS1_11comp_targetILNS1_3genE4ELNS1_11target_archE910ELNS1_3gpuE8ELNS1_3repE0EEENS1_30default_config_static_selectorELNS0_4arch9wavefront6targetE0EEEvT1_, .Lfunc_end214-_ZN7rocprim17ROCPRIM_400000_NS6detail17trampoline_kernelINS0_14default_configENS1_25partition_config_selectorILNS1_17partition_subalgoE9EllbEEZZNS1_14partition_implILS5_9ELb0ES3_jPlS8_PNS0_10empty_typeENS0_5tupleIJS8_S9_EEENSB_IJS8_SA_EEENS0_18inequality_wrapperIZN2at6native12_GLOBAL__N_124unique_dim_cuda_templateIhEESt5tupleIJNSF_6TensorESK_SK_EERKSK_lbbbEUlllE0_EEPmJS9_EEE10hipError_tPvRmT3_T4_T5_T6_T7_T9_mT8_P12ihipStream_tbDpT10_ENKUlT_T0_E_clISt17integral_constantIbLb1EES1A_EEDaS15_S16_EUlS15_E_NS1_11comp_targetILNS1_3genE4ELNS1_11target_archE910ELNS1_3gpuE8ELNS1_3repE0EEENS1_30default_config_static_selectorELNS0_4arch9wavefront6targetE0EEEvT1_
                                        ; -- End function
	.set _ZN7rocprim17ROCPRIM_400000_NS6detail17trampoline_kernelINS0_14default_configENS1_25partition_config_selectorILNS1_17partition_subalgoE9EllbEEZZNS1_14partition_implILS5_9ELb0ES3_jPlS8_PNS0_10empty_typeENS0_5tupleIJS8_S9_EEENSB_IJS8_SA_EEENS0_18inequality_wrapperIZN2at6native12_GLOBAL__N_124unique_dim_cuda_templateIhEESt5tupleIJNSF_6TensorESK_SK_EERKSK_lbbbEUlllE0_EEPmJS9_EEE10hipError_tPvRmT3_T4_T5_T6_T7_T9_mT8_P12ihipStream_tbDpT10_ENKUlT_T0_E_clISt17integral_constantIbLb1EES1A_EEDaS15_S16_EUlS15_E_NS1_11comp_targetILNS1_3genE4ELNS1_11target_archE910ELNS1_3gpuE8ELNS1_3repE0EEENS1_30default_config_static_selectorELNS0_4arch9wavefront6targetE0EEEvT1_.num_vgpr, 0
	.set _ZN7rocprim17ROCPRIM_400000_NS6detail17trampoline_kernelINS0_14default_configENS1_25partition_config_selectorILNS1_17partition_subalgoE9EllbEEZZNS1_14partition_implILS5_9ELb0ES3_jPlS8_PNS0_10empty_typeENS0_5tupleIJS8_S9_EEENSB_IJS8_SA_EEENS0_18inequality_wrapperIZN2at6native12_GLOBAL__N_124unique_dim_cuda_templateIhEESt5tupleIJNSF_6TensorESK_SK_EERKSK_lbbbEUlllE0_EEPmJS9_EEE10hipError_tPvRmT3_T4_T5_T6_T7_T9_mT8_P12ihipStream_tbDpT10_ENKUlT_T0_E_clISt17integral_constantIbLb1EES1A_EEDaS15_S16_EUlS15_E_NS1_11comp_targetILNS1_3genE4ELNS1_11target_archE910ELNS1_3gpuE8ELNS1_3repE0EEENS1_30default_config_static_selectorELNS0_4arch9wavefront6targetE0EEEvT1_.num_agpr, 0
	.set _ZN7rocprim17ROCPRIM_400000_NS6detail17trampoline_kernelINS0_14default_configENS1_25partition_config_selectorILNS1_17partition_subalgoE9EllbEEZZNS1_14partition_implILS5_9ELb0ES3_jPlS8_PNS0_10empty_typeENS0_5tupleIJS8_S9_EEENSB_IJS8_SA_EEENS0_18inequality_wrapperIZN2at6native12_GLOBAL__N_124unique_dim_cuda_templateIhEESt5tupleIJNSF_6TensorESK_SK_EERKSK_lbbbEUlllE0_EEPmJS9_EEE10hipError_tPvRmT3_T4_T5_T6_T7_T9_mT8_P12ihipStream_tbDpT10_ENKUlT_T0_E_clISt17integral_constantIbLb1EES1A_EEDaS15_S16_EUlS15_E_NS1_11comp_targetILNS1_3genE4ELNS1_11target_archE910ELNS1_3gpuE8ELNS1_3repE0EEENS1_30default_config_static_selectorELNS0_4arch9wavefront6targetE0EEEvT1_.numbered_sgpr, 0
	.set _ZN7rocprim17ROCPRIM_400000_NS6detail17trampoline_kernelINS0_14default_configENS1_25partition_config_selectorILNS1_17partition_subalgoE9EllbEEZZNS1_14partition_implILS5_9ELb0ES3_jPlS8_PNS0_10empty_typeENS0_5tupleIJS8_S9_EEENSB_IJS8_SA_EEENS0_18inequality_wrapperIZN2at6native12_GLOBAL__N_124unique_dim_cuda_templateIhEESt5tupleIJNSF_6TensorESK_SK_EERKSK_lbbbEUlllE0_EEPmJS9_EEE10hipError_tPvRmT3_T4_T5_T6_T7_T9_mT8_P12ihipStream_tbDpT10_ENKUlT_T0_E_clISt17integral_constantIbLb1EES1A_EEDaS15_S16_EUlS15_E_NS1_11comp_targetILNS1_3genE4ELNS1_11target_archE910ELNS1_3gpuE8ELNS1_3repE0EEENS1_30default_config_static_selectorELNS0_4arch9wavefront6targetE0EEEvT1_.num_named_barrier, 0
	.set _ZN7rocprim17ROCPRIM_400000_NS6detail17trampoline_kernelINS0_14default_configENS1_25partition_config_selectorILNS1_17partition_subalgoE9EllbEEZZNS1_14partition_implILS5_9ELb0ES3_jPlS8_PNS0_10empty_typeENS0_5tupleIJS8_S9_EEENSB_IJS8_SA_EEENS0_18inequality_wrapperIZN2at6native12_GLOBAL__N_124unique_dim_cuda_templateIhEESt5tupleIJNSF_6TensorESK_SK_EERKSK_lbbbEUlllE0_EEPmJS9_EEE10hipError_tPvRmT3_T4_T5_T6_T7_T9_mT8_P12ihipStream_tbDpT10_ENKUlT_T0_E_clISt17integral_constantIbLb1EES1A_EEDaS15_S16_EUlS15_E_NS1_11comp_targetILNS1_3genE4ELNS1_11target_archE910ELNS1_3gpuE8ELNS1_3repE0EEENS1_30default_config_static_selectorELNS0_4arch9wavefront6targetE0EEEvT1_.private_seg_size, 0
	.set _ZN7rocprim17ROCPRIM_400000_NS6detail17trampoline_kernelINS0_14default_configENS1_25partition_config_selectorILNS1_17partition_subalgoE9EllbEEZZNS1_14partition_implILS5_9ELb0ES3_jPlS8_PNS0_10empty_typeENS0_5tupleIJS8_S9_EEENSB_IJS8_SA_EEENS0_18inequality_wrapperIZN2at6native12_GLOBAL__N_124unique_dim_cuda_templateIhEESt5tupleIJNSF_6TensorESK_SK_EERKSK_lbbbEUlllE0_EEPmJS9_EEE10hipError_tPvRmT3_T4_T5_T6_T7_T9_mT8_P12ihipStream_tbDpT10_ENKUlT_T0_E_clISt17integral_constantIbLb1EES1A_EEDaS15_S16_EUlS15_E_NS1_11comp_targetILNS1_3genE4ELNS1_11target_archE910ELNS1_3gpuE8ELNS1_3repE0EEENS1_30default_config_static_selectorELNS0_4arch9wavefront6targetE0EEEvT1_.uses_vcc, 0
	.set _ZN7rocprim17ROCPRIM_400000_NS6detail17trampoline_kernelINS0_14default_configENS1_25partition_config_selectorILNS1_17partition_subalgoE9EllbEEZZNS1_14partition_implILS5_9ELb0ES3_jPlS8_PNS0_10empty_typeENS0_5tupleIJS8_S9_EEENSB_IJS8_SA_EEENS0_18inequality_wrapperIZN2at6native12_GLOBAL__N_124unique_dim_cuda_templateIhEESt5tupleIJNSF_6TensorESK_SK_EERKSK_lbbbEUlllE0_EEPmJS9_EEE10hipError_tPvRmT3_T4_T5_T6_T7_T9_mT8_P12ihipStream_tbDpT10_ENKUlT_T0_E_clISt17integral_constantIbLb1EES1A_EEDaS15_S16_EUlS15_E_NS1_11comp_targetILNS1_3genE4ELNS1_11target_archE910ELNS1_3gpuE8ELNS1_3repE0EEENS1_30default_config_static_selectorELNS0_4arch9wavefront6targetE0EEEvT1_.uses_flat_scratch, 0
	.set _ZN7rocprim17ROCPRIM_400000_NS6detail17trampoline_kernelINS0_14default_configENS1_25partition_config_selectorILNS1_17partition_subalgoE9EllbEEZZNS1_14partition_implILS5_9ELb0ES3_jPlS8_PNS0_10empty_typeENS0_5tupleIJS8_S9_EEENSB_IJS8_SA_EEENS0_18inequality_wrapperIZN2at6native12_GLOBAL__N_124unique_dim_cuda_templateIhEESt5tupleIJNSF_6TensorESK_SK_EERKSK_lbbbEUlllE0_EEPmJS9_EEE10hipError_tPvRmT3_T4_T5_T6_T7_T9_mT8_P12ihipStream_tbDpT10_ENKUlT_T0_E_clISt17integral_constantIbLb1EES1A_EEDaS15_S16_EUlS15_E_NS1_11comp_targetILNS1_3genE4ELNS1_11target_archE910ELNS1_3gpuE8ELNS1_3repE0EEENS1_30default_config_static_selectorELNS0_4arch9wavefront6targetE0EEEvT1_.has_dyn_sized_stack, 0
	.set _ZN7rocprim17ROCPRIM_400000_NS6detail17trampoline_kernelINS0_14default_configENS1_25partition_config_selectorILNS1_17partition_subalgoE9EllbEEZZNS1_14partition_implILS5_9ELb0ES3_jPlS8_PNS0_10empty_typeENS0_5tupleIJS8_S9_EEENSB_IJS8_SA_EEENS0_18inequality_wrapperIZN2at6native12_GLOBAL__N_124unique_dim_cuda_templateIhEESt5tupleIJNSF_6TensorESK_SK_EERKSK_lbbbEUlllE0_EEPmJS9_EEE10hipError_tPvRmT3_T4_T5_T6_T7_T9_mT8_P12ihipStream_tbDpT10_ENKUlT_T0_E_clISt17integral_constantIbLb1EES1A_EEDaS15_S16_EUlS15_E_NS1_11comp_targetILNS1_3genE4ELNS1_11target_archE910ELNS1_3gpuE8ELNS1_3repE0EEENS1_30default_config_static_selectorELNS0_4arch9wavefront6targetE0EEEvT1_.has_recursion, 0
	.set _ZN7rocprim17ROCPRIM_400000_NS6detail17trampoline_kernelINS0_14default_configENS1_25partition_config_selectorILNS1_17partition_subalgoE9EllbEEZZNS1_14partition_implILS5_9ELb0ES3_jPlS8_PNS0_10empty_typeENS0_5tupleIJS8_S9_EEENSB_IJS8_SA_EEENS0_18inequality_wrapperIZN2at6native12_GLOBAL__N_124unique_dim_cuda_templateIhEESt5tupleIJNSF_6TensorESK_SK_EERKSK_lbbbEUlllE0_EEPmJS9_EEE10hipError_tPvRmT3_T4_T5_T6_T7_T9_mT8_P12ihipStream_tbDpT10_ENKUlT_T0_E_clISt17integral_constantIbLb1EES1A_EEDaS15_S16_EUlS15_E_NS1_11comp_targetILNS1_3genE4ELNS1_11target_archE910ELNS1_3gpuE8ELNS1_3repE0EEENS1_30default_config_static_selectorELNS0_4arch9wavefront6targetE0EEEvT1_.has_indirect_call, 0
	.section	.AMDGPU.csdata,"",@progbits
; Kernel info:
; codeLenInByte = 0
; TotalNumSgprs: 0
; NumVgprs: 0
; ScratchSize: 0
; MemoryBound: 0
; FloatMode: 240
; IeeeMode: 1
; LDSByteSize: 0 bytes/workgroup (compile time only)
; SGPRBlocks: 0
; VGPRBlocks: 0
; NumSGPRsForWavesPerEU: 1
; NumVGPRsForWavesPerEU: 1
; NamedBarCnt: 0
; Occupancy: 16
; WaveLimiterHint : 0
; COMPUTE_PGM_RSRC2:SCRATCH_EN: 0
; COMPUTE_PGM_RSRC2:USER_SGPR: 2
; COMPUTE_PGM_RSRC2:TRAP_HANDLER: 0
; COMPUTE_PGM_RSRC2:TGID_X_EN: 1
; COMPUTE_PGM_RSRC2:TGID_Y_EN: 0
; COMPUTE_PGM_RSRC2:TGID_Z_EN: 0
; COMPUTE_PGM_RSRC2:TIDIG_COMP_CNT: 0
	.section	.text._ZN7rocprim17ROCPRIM_400000_NS6detail17trampoline_kernelINS0_14default_configENS1_25partition_config_selectorILNS1_17partition_subalgoE9EllbEEZZNS1_14partition_implILS5_9ELb0ES3_jPlS8_PNS0_10empty_typeENS0_5tupleIJS8_S9_EEENSB_IJS8_SA_EEENS0_18inequality_wrapperIZN2at6native12_GLOBAL__N_124unique_dim_cuda_templateIhEESt5tupleIJNSF_6TensorESK_SK_EERKSK_lbbbEUlllE0_EEPmJS9_EEE10hipError_tPvRmT3_T4_T5_T6_T7_T9_mT8_P12ihipStream_tbDpT10_ENKUlT_T0_E_clISt17integral_constantIbLb1EES1A_EEDaS15_S16_EUlS15_E_NS1_11comp_targetILNS1_3genE3ELNS1_11target_archE908ELNS1_3gpuE7ELNS1_3repE0EEENS1_30default_config_static_selectorELNS0_4arch9wavefront6targetE0EEEvT1_,"axG",@progbits,_ZN7rocprim17ROCPRIM_400000_NS6detail17trampoline_kernelINS0_14default_configENS1_25partition_config_selectorILNS1_17partition_subalgoE9EllbEEZZNS1_14partition_implILS5_9ELb0ES3_jPlS8_PNS0_10empty_typeENS0_5tupleIJS8_S9_EEENSB_IJS8_SA_EEENS0_18inequality_wrapperIZN2at6native12_GLOBAL__N_124unique_dim_cuda_templateIhEESt5tupleIJNSF_6TensorESK_SK_EERKSK_lbbbEUlllE0_EEPmJS9_EEE10hipError_tPvRmT3_T4_T5_T6_T7_T9_mT8_P12ihipStream_tbDpT10_ENKUlT_T0_E_clISt17integral_constantIbLb1EES1A_EEDaS15_S16_EUlS15_E_NS1_11comp_targetILNS1_3genE3ELNS1_11target_archE908ELNS1_3gpuE7ELNS1_3repE0EEENS1_30default_config_static_selectorELNS0_4arch9wavefront6targetE0EEEvT1_,comdat
	.globl	_ZN7rocprim17ROCPRIM_400000_NS6detail17trampoline_kernelINS0_14default_configENS1_25partition_config_selectorILNS1_17partition_subalgoE9EllbEEZZNS1_14partition_implILS5_9ELb0ES3_jPlS8_PNS0_10empty_typeENS0_5tupleIJS8_S9_EEENSB_IJS8_SA_EEENS0_18inequality_wrapperIZN2at6native12_GLOBAL__N_124unique_dim_cuda_templateIhEESt5tupleIJNSF_6TensorESK_SK_EERKSK_lbbbEUlllE0_EEPmJS9_EEE10hipError_tPvRmT3_T4_T5_T6_T7_T9_mT8_P12ihipStream_tbDpT10_ENKUlT_T0_E_clISt17integral_constantIbLb1EES1A_EEDaS15_S16_EUlS15_E_NS1_11comp_targetILNS1_3genE3ELNS1_11target_archE908ELNS1_3gpuE7ELNS1_3repE0EEENS1_30default_config_static_selectorELNS0_4arch9wavefront6targetE0EEEvT1_ ; -- Begin function _ZN7rocprim17ROCPRIM_400000_NS6detail17trampoline_kernelINS0_14default_configENS1_25partition_config_selectorILNS1_17partition_subalgoE9EllbEEZZNS1_14partition_implILS5_9ELb0ES3_jPlS8_PNS0_10empty_typeENS0_5tupleIJS8_S9_EEENSB_IJS8_SA_EEENS0_18inequality_wrapperIZN2at6native12_GLOBAL__N_124unique_dim_cuda_templateIhEESt5tupleIJNSF_6TensorESK_SK_EERKSK_lbbbEUlllE0_EEPmJS9_EEE10hipError_tPvRmT3_T4_T5_T6_T7_T9_mT8_P12ihipStream_tbDpT10_ENKUlT_T0_E_clISt17integral_constantIbLb1EES1A_EEDaS15_S16_EUlS15_E_NS1_11comp_targetILNS1_3genE3ELNS1_11target_archE908ELNS1_3gpuE7ELNS1_3repE0EEENS1_30default_config_static_selectorELNS0_4arch9wavefront6targetE0EEEvT1_
	.p2align	8
	.type	_ZN7rocprim17ROCPRIM_400000_NS6detail17trampoline_kernelINS0_14default_configENS1_25partition_config_selectorILNS1_17partition_subalgoE9EllbEEZZNS1_14partition_implILS5_9ELb0ES3_jPlS8_PNS0_10empty_typeENS0_5tupleIJS8_S9_EEENSB_IJS8_SA_EEENS0_18inequality_wrapperIZN2at6native12_GLOBAL__N_124unique_dim_cuda_templateIhEESt5tupleIJNSF_6TensorESK_SK_EERKSK_lbbbEUlllE0_EEPmJS9_EEE10hipError_tPvRmT3_T4_T5_T6_T7_T9_mT8_P12ihipStream_tbDpT10_ENKUlT_T0_E_clISt17integral_constantIbLb1EES1A_EEDaS15_S16_EUlS15_E_NS1_11comp_targetILNS1_3genE3ELNS1_11target_archE908ELNS1_3gpuE7ELNS1_3repE0EEENS1_30default_config_static_selectorELNS0_4arch9wavefront6targetE0EEEvT1_,@function
_ZN7rocprim17ROCPRIM_400000_NS6detail17trampoline_kernelINS0_14default_configENS1_25partition_config_selectorILNS1_17partition_subalgoE9EllbEEZZNS1_14partition_implILS5_9ELb0ES3_jPlS8_PNS0_10empty_typeENS0_5tupleIJS8_S9_EEENSB_IJS8_SA_EEENS0_18inequality_wrapperIZN2at6native12_GLOBAL__N_124unique_dim_cuda_templateIhEESt5tupleIJNSF_6TensorESK_SK_EERKSK_lbbbEUlllE0_EEPmJS9_EEE10hipError_tPvRmT3_T4_T5_T6_T7_T9_mT8_P12ihipStream_tbDpT10_ENKUlT_T0_E_clISt17integral_constantIbLb1EES1A_EEDaS15_S16_EUlS15_E_NS1_11comp_targetILNS1_3genE3ELNS1_11target_archE908ELNS1_3gpuE7ELNS1_3repE0EEENS1_30default_config_static_selectorELNS0_4arch9wavefront6targetE0EEEvT1_: ; @_ZN7rocprim17ROCPRIM_400000_NS6detail17trampoline_kernelINS0_14default_configENS1_25partition_config_selectorILNS1_17partition_subalgoE9EllbEEZZNS1_14partition_implILS5_9ELb0ES3_jPlS8_PNS0_10empty_typeENS0_5tupleIJS8_S9_EEENSB_IJS8_SA_EEENS0_18inequality_wrapperIZN2at6native12_GLOBAL__N_124unique_dim_cuda_templateIhEESt5tupleIJNSF_6TensorESK_SK_EERKSK_lbbbEUlllE0_EEPmJS9_EEE10hipError_tPvRmT3_T4_T5_T6_T7_T9_mT8_P12ihipStream_tbDpT10_ENKUlT_T0_E_clISt17integral_constantIbLb1EES1A_EEDaS15_S16_EUlS15_E_NS1_11comp_targetILNS1_3genE3ELNS1_11target_archE908ELNS1_3gpuE7ELNS1_3repE0EEENS1_30default_config_static_selectorELNS0_4arch9wavefront6targetE0EEEvT1_
; %bb.0:
	.section	.rodata,"a",@progbits
	.p2align	6, 0x0
	.amdhsa_kernel _ZN7rocprim17ROCPRIM_400000_NS6detail17trampoline_kernelINS0_14default_configENS1_25partition_config_selectorILNS1_17partition_subalgoE9EllbEEZZNS1_14partition_implILS5_9ELb0ES3_jPlS8_PNS0_10empty_typeENS0_5tupleIJS8_S9_EEENSB_IJS8_SA_EEENS0_18inequality_wrapperIZN2at6native12_GLOBAL__N_124unique_dim_cuda_templateIhEESt5tupleIJNSF_6TensorESK_SK_EERKSK_lbbbEUlllE0_EEPmJS9_EEE10hipError_tPvRmT3_T4_T5_T6_T7_T9_mT8_P12ihipStream_tbDpT10_ENKUlT_T0_E_clISt17integral_constantIbLb1EES1A_EEDaS15_S16_EUlS15_E_NS1_11comp_targetILNS1_3genE3ELNS1_11target_archE908ELNS1_3gpuE7ELNS1_3repE0EEENS1_30default_config_static_selectorELNS0_4arch9wavefront6targetE0EEEvT1_
		.amdhsa_group_segment_fixed_size 0
		.amdhsa_private_segment_fixed_size 0
		.amdhsa_kernarg_size 136
		.amdhsa_user_sgpr_count 2
		.amdhsa_user_sgpr_dispatch_ptr 0
		.amdhsa_user_sgpr_queue_ptr 0
		.amdhsa_user_sgpr_kernarg_segment_ptr 1
		.amdhsa_user_sgpr_dispatch_id 0
		.amdhsa_user_sgpr_kernarg_preload_length 0
		.amdhsa_user_sgpr_kernarg_preload_offset 0
		.amdhsa_user_sgpr_private_segment_size 0
		.amdhsa_wavefront_size32 1
		.amdhsa_uses_dynamic_stack 0
		.amdhsa_enable_private_segment 0
		.amdhsa_system_sgpr_workgroup_id_x 1
		.amdhsa_system_sgpr_workgroup_id_y 0
		.amdhsa_system_sgpr_workgroup_id_z 0
		.amdhsa_system_sgpr_workgroup_info 0
		.amdhsa_system_vgpr_workitem_id 0
		.amdhsa_next_free_vgpr 1
		.amdhsa_next_free_sgpr 1
		.amdhsa_named_barrier_count 0
		.amdhsa_reserve_vcc 0
		.amdhsa_float_round_mode_32 0
		.amdhsa_float_round_mode_16_64 0
		.amdhsa_float_denorm_mode_32 3
		.amdhsa_float_denorm_mode_16_64 3
		.amdhsa_fp16_overflow 0
		.amdhsa_memory_ordered 1
		.amdhsa_forward_progress 1
		.amdhsa_inst_pref_size 0
		.amdhsa_round_robin_scheduling 0
		.amdhsa_exception_fp_ieee_invalid_op 0
		.amdhsa_exception_fp_denorm_src 0
		.amdhsa_exception_fp_ieee_div_zero 0
		.amdhsa_exception_fp_ieee_overflow 0
		.amdhsa_exception_fp_ieee_underflow 0
		.amdhsa_exception_fp_ieee_inexact 0
		.amdhsa_exception_int_div_zero 0
	.end_amdhsa_kernel
	.section	.text._ZN7rocprim17ROCPRIM_400000_NS6detail17trampoline_kernelINS0_14default_configENS1_25partition_config_selectorILNS1_17partition_subalgoE9EllbEEZZNS1_14partition_implILS5_9ELb0ES3_jPlS8_PNS0_10empty_typeENS0_5tupleIJS8_S9_EEENSB_IJS8_SA_EEENS0_18inequality_wrapperIZN2at6native12_GLOBAL__N_124unique_dim_cuda_templateIhEESt5tupleIJNSF_6TensorESK_SK_EERKSK_lbbbEUlllE0_EEPmJS9_EEE10hipError_tPvRmT3_T4_T5_T6_T7_T9_mT8_P12ihipStream_tbDpT10_ENKUlT_T0_E_clISt17integral_constantIbLb1EES1A_EEDaS15_S16_EUlS15_E_NS1_11comp_targetILNS1_3genE3ELNS1_11target_archE908ELNS1_3gpuE7ELNS1_3repE0EEENS1_30default_config_static_selectorELNS0_4arch9wavefront6targetE0EEEvT1_,"axG",@progbits,_ZN7rocprim17ROCPRIM_400000_NS6detail17trampoline_kernelINS0_14default_configENS1_25partition_config_selectorILNS1_17partition_subalgoE9EllbEEZZNS1_14partition_implILS5_9ELb0ES3_jPlS8_PNS0_10empty_typeENS0_5tupleIJS8_S9_EEENSB_IJS8_SA_EEENS0_18inequality_wrapperIZN2at6native12_GLOBAL__N_124unique_dim_cuda_templateIhEESt5tupleIJNSF_6TensorESK_SK_EERKSK_lbbbEUlllE0_EEPmJS9_EEE10hipError_tPvRmT3_T4_T5_T6_T7_T9_mT8_P12ihipStream_tbDpT10_ENKUlT_T0_E_clISt17integral_constantIbLb1EES1A_EEDaS15_S16_EUlS15_E_NS1_11comp_targetILNS1_3genE3ELNS1_11target_archE908ELNS1_3gpuE7ELNS1_3repE0EEENS1_30default_config_static_selectorELNS0_4arch9wavefront6targetE0EEEvT1_,comdat
.Lfunc_end215:
	.size	_ZN7rocprim17ROCPRIM_400000_NS6detail17trampoline_kernelINS0_14default_configENS1_25partition_config_selectorILNS1_17partition_subalgoE9EllbEEZZNS1_14partition_implILS5_9ELb0ES3_jPlS8_PNS0_10empty_typeENS0_5tupleIJS8_S9_EEENSB_IJS8_SA_EEENS0_18inequality_wrapperIZN2at6native12_GLOBAL__N_124unique_dim_cuda_templateIhEESt5tupleIJNSF_6TensorESK_SK_EERKSK_lbbbEUlllE0_EEPmJS9_EEE10hipError_tPvRmT3_T4_T5_T6_T7_T9_mT8_P12ihipStream_tbDpT10_ENKUlT_T0_E_clISt17integral_constantIbLb1EES1A_EEDaS15_S16_EUlS15_E_NS1_11comp_targetILNS1_3genE3ELNS1_11target_archE908ELNS1_3gpuE7ELNS1_3repE0EEENS1_30default_config_static_selectorELNS0_4arch9wavefront6targetE0EEEvT1_, .Lfunc_end215-_ZN7rocprim17ROCPRIM_400000_NS6detail17trampoline_kernelINS0_14default_configENS1_25partition_config_selectorILNS1_17partition_subalgoE9EllbEEZZNS1_14partition_implILS5_9ELb0ES3_jPlS8_PNS0_10empty_typeENS0_5tupleIJS8_S9_EEENSB_IJS8_SA_EEENS0_18inequality_wrapperIZN2at6native12_GLOBAL__N_124unique_dim_cuda_templateIhEESt5tupleIJNSF_6TensorESK_SK_EERKSK_lbbbEUlllE0_EEPmJS9_EEE10hipError_tPvRmT3_T4_T5_T6_T7_T9_mT8_P12ihipStream_tbDpT10_ENKUlT_T0_E_clISt17integral_constantIbLb1EES1A_EEDaS15_S16_EUlS15_E_NS1_11comp_targetILNS1_3genE3ELNS1_11target_archE908ELNS1_3gpuE7ELNS1_3repE0EEENS1_30default_config_static_selectorELNS0_4arch9wavefront6targetE0EEEvT1_
                                        ; -- End function
	.set _ZN7rocprim17ROCPRIM_400000_NS6detail17trampoline_kernelINS0_14default_configENS1_25partition_config_selectorILNS1_17partition_subalgoE9EllbEEZZNS1_14partition_implILS5_9ELb0ES3_jPlS8_PNS0_10empty_typeENS0_5tupleIJS8_S9_EEENSB_IJS8_SA_EEENS0_18inequality_wrapperIZN2at6native12_GLOBAL__N_124unique_dim_cuda_templateIhEESt5tupleIJNSF_6TensorESK_SK_EERKSK_lbbbEUlllE0_EEPmJS9_EEE10hipError_tPvRmT3_T4_T5_T6_T7_T9_mT8_P12ihipStream_tbDpT10_ENKUlT_T0_E_clISt17integral_constantIbLb1EES1A_EEDaS15_S16_EUlS15_E_NS1_11comp_targetILNS1_3genE3ELNS1_11target_archE908ELNS1_3gpuE7ELNS1_3repE0EEENS1_30default_config_static_selectorELNS0_4arch9wavefront6targetE0EEEvT1_.num_vgpr, 0
	.set _ZN7rocprim17ROCPRIM_400000_NS6detail17trampoline_kernelINS0_14default_configENS1_25partition_config_selectorILNS1_17partition_subalgoE9EllbEEZZNS1_14partition_implILS5_9ELb0ES3_jPlS8_PNS0_10empty_typeENS0_5tupleIJS8_S9_EEENSB_IJS8_SA_EEENS0_18inequality_wrapperIZN2at6native12_GLOBAL__N_124unique_dim_cuda_templateIhEESt5tupleIJNSF_6TensorESK_SK_EERKSK_lbbbEUlllE0_EEPmJS9_EEE10hipError_tPvRmT3_T4_T5_T6_T7_T9_mT8_P12ihipStream_tbDpT10_ENKUlT_T0_E_clISt17integral_constantIbLb1EES1A_EEDaS15_S16_EUlS15_E_NS1_11comp_targetILNS1_3genE3ELNS1_11target_archE908ELNS1_3gpuE7ELNS1_3repE0EEENS1_30default_config_static_selectorELNS0_4arch9wavefront6targetE0EEEvT1_.num_agpr, 0
	.set _ZN7rocprim17ROCPRIM_400000_NS6detail17trampoline_kernelINS0_14default_configENS1_25partition_config_selectorILNS1_17partition_subalgoE9EllbEEZZNS1_14partition_implILS5_9ELb0ES3_jPlS8_PNS0_10empty_typeENS0_5tupleIJS8_S9_EEENSB_IJS8_SA_EEENS0_18inequality_wrapperIZN2at6native12_GLOBAL__N_124unique_dim_cuda_templateIhEESt5tupleIJNSF_6TensorESK_SK_EERKSK_lbbbEUlllE0_EEPmJS9_EEE10hipError_tPvRmT3_T4_T5_T6_T7_T9_mT8_P12ihipStream_tbDpT10_ENKUlT_T0_E_clISt17integral_constantIbLb1EES1A_EEDaS15_S16_EUlS15_E_NS1_11comp_targetILNS1_3genE3ELNS1_11target_archE908ELNS1_3gpuE7ELNS1_3repE0EEENS1_30default_config_static_selectorELNS0_4arch9wavefront6targetE0EEEvT1_.numbered_sgpr, 0
	.set _ZN7rocprim17ROCPRIM_400000_NS6detail17trampoline_kernelINS0_14default_configENS1_25partition_config_selectorILNS1_17partition_subalgoE9EllbEEZZNS1_14partition_implILS5_9ELb0ES3_jPlS8_PNS0_10empty_typeENS0_5tupleIJS8_S9_EEENSB_IJS8_SA_EEENS0_18inequality_wrapperIZN2at6native12_GLOBAL__N_124unique_dim_cuda_templateIhEESt5tupleIJNSF_6TensorESK_SK_EERKSK_lbbbEUlllE0_EEPmJS9_EEE10hipError_tPvRmT3_T4_T5_T6_T7_T9_mT8_P12ihipStream_tbDpT10_ENKUlT_T0_E_clISt17integral_constantIbLb1EES1A_EEDaS15_S16_EUlS15_E_NS1_11comp_targetILNS1_3genE3ELNS1_11target_archE908ELNS1_3gpuE7ELNS1_3repE0EEENS1_30default_config_static_selectorELNS0_4arch9wavefront6targetE0EEEvT1_.num_named_barrier, 0
	.set _ZN7rocprim17ROCPRIM_400000_NS6detail17trampoline_kernelINS0_14default_configENS1_25partition_config_selectorILNS1_17partition_subalgoE9EllbEEZZNS1_14partition_implILS5_9ELb0ES3_jPlS8_PNS0_10empty_typeENS0_5tupleIJS8_S9_EEENSB_IJS8_SA_EEENS0_18inequality_wrapperIZN2at6native12_GLOBAL__N_124unique_dim_cuda_templateIhEESt5tupleIJNSF_6TensorESK_SK_EERKSK_lbbbEUlllE0_EEPmJS9_EEE10hipError_tPvRmT3_T4_T5_T6_T7_T9_mT8_P12ihipStream_tbDpT10_ENKUlT_T0_E_clISt17integral_constantIbLb1EES1A_EEDaS15_S16_EUlS15_E_NS1_11comp_targetILNS1_3genE3ELNS1_11target_archE908ELNS1_3gpuE7ELNS1_3repE0EEENS1_30default_config_static_selectorELNS0_4arch9wavefront6targetE0EEEvT1_.private_seg_size, 0
	.set _ZN7rocprim17ROCPRIM_400000_NS6detail17trampoline_kernelINS0_14default_configENS1_25partition_config_selectorILNS1_17partition_subalgoE9EllbEEZZNS1_14partition_implILS5_9ELb0ES3_jPlS8_PNS0_10empty_typeENS0_5tupleIJS8_S9_EEENSB_IJS8_SA_EEENS0_18inequality_wrapperIZN2at6native12_GLOBAL__N_124unique_dim_cuda_templateIhEESt5tupleIJNSF_6TensorESK_SK_EERKSK_lbbbEUlllE0_EEPmJS9_EEE10hipError_tPvRmT3_T4_T5_T6_T7_T9_mT8_P12ihipStream_tbDpT10_ENKUlT_T0_E_clISt17integral_constantIbLb1EES1A_EEDaS15_S16_EUlS15_E_NS1_11comp_targetILNS1_3genE3ELNS1_11target_archE908ELNS1_3gpuE7ELNS1_3repE0EEENS1_30default_config_static_selectorELNS0_4arch9wavefront6targetE0EEEvT1_.uses_vcc, 0
	.set _ZN7rocprim17ROCPRIM_400000_NS6detail17trampoline_kernelINS0_14default_configENS1_25partition_config_selectorILNS1_17partition_subalgoE9EllbEEZZNS1_14partition_implILS5_9ELb0ES3_jPlS8_PNS0_10empty_typeENS0_5tupleIJS8_S9_EEENSB_IJS8_SA_EEENS0_18inequality_wrapperIZN2at6native12_GLOBAL__N_124unique_dim_cuda_templateIhEESt5tupleIJNSF_6TensorESK_SK_EERKSK_lbbbEUlllE0_EEPmJS9_EEE10hipError_tPvRmT3_T4_T5_T6_T7_T9_mT8_P12ihipStream_tbDpT10_ENKUlT_T0_E_clISt17integral_constantIbLb1EES1A_EEDaS15_S16_EUlS15_E_NS1_11comp_targetILNS1_3genE3ELNS1_11target_archE908ELNS1_3gpuE7ELNS1_3repE0EEENS1_30default_config_static_selectorELNS0_4arch9wavefront6targetE0EEEvT1_.uses_flat_scratch, 0
	.set _ZN7rocprim17ROCPRIM_400000_NS6detail17trampoline_kernelINS0_14default_configENS1_25partition_config_selectorILNS1_17partition_subalgoE9EllbEEZZNS1_14partition_implILS5_9ELb0ES3_jPlS8_PNS0_10empty_typeENS0_5tupleIJS8_S9_EEENSB_IJS8_SA_EEENS0_18inequality_wrapperIZN2at6native12_GLOBAL__N_124unique_dim_cuda_templateIhEESt5tupleIJNSF_6TensorESK_SK_EERKSK_lbbbEUlllE0_EEPmJS9_EEE10hipError_tPvRmT3_T4_T5_T6_T7_T9_mT8_P12ihipStream_tbDpT10_ENKUlT_T0_E_clISt17integral_constantIbLb1EES1A_EEDaS15_S16_EUlS15_E_NS1_11comp_targetILNS1_3genE3ELNS1_11target_archE908ELNS1_3gpuE7ELNS1_3repE0EEENS1_30default_config_static_selectorELNS0_4arch9wavefront6targetE0EEEvT1_.has_dyn_sized_stack, 0
	.set _ZN7rocprim17ROCPRIM_400000_NS6detail17trampoline_kernelINS0_14default_configENS1_25partition_config_selectorILNS1_17partition_subalgoE9EllbEEZZNS1_14partition_implILS5_9ELb0ES3_jPlS8_PNS0_10empty_typeENS0_5tupleIJS8_S9_EEENSB_IJS8_SA_EEENS0_18inequality_wrapperIZN2at6native12_GLOBAL__N_124unique_dim_cuda_templateIhEESt5tupleIJNSF_6TensorESK_SK_EERKSK_lbbbEUlllE0_EEPmJS9_EEE10hipError_tPvRmT3_T4_T5_T6_T7_T9_mT8_P12ihipStream_tbDpT10_ENKUlT_T0_E_clISt17integral_constantIbLb1EES1A_EEDaS15_S16_EUlS15_E_NS1_11comp_targetILNS1_3genE3ELNS1_11target_archE908ELNS1_3gpuE7ELNS1_3repE0EEENS1_30default_config_static_selectorELNS0_4arch9wavefront6targetE0EEEvT1_.has_recursion, 0
	.set _ZN7rocprim17ROCPRIM_400000_NS6detail17trampoline_kernelINS0_14default_configENS1_25partition_config_selectorILNS1_17partition_subalgoE9EllbEEZZNS1_14partition_implILS5_9ELb0ES3_jPlS8_PNS0_10empty_typeENS0_5tupleIJS8_S9_EEENSB_IJS8_SA_EEENS0_18inequality_wrapperIZN2at6native12_GLOBAL__N_124unique_dim_cuda_templateIhEESt5tupleIJNSF_6TensorESK_SK_EERKSK_lbbbEUlllE0_EEPmJS9_EEE10hipError_tPvRmT3_T4_T5_T6_T7_T9_mT8_P12ihipStream_tbDpT10_ENKUlT_T0_E_clISt17integral_constantIbLb1EES1A_EEDaS15_S16_EUlS15_E_NS1_11comp_targetILNS1_3genE3ELNS1_11target_archE908ELNS1_3gpuE7ELNS1_3repE0EEENS1_30default_config_static_selectorELNS0_4arch9wavefront6targetE0EEEvT1_.has_indirect_call, 0
	.section	.AMDGPU.csdata,"",@progbits
; Kernel info:
; codeLenInByte = 0
; TotalNumSgprs: 0
; NumVgprs: 0
; ScratchSize: 0
; MemoryBound: 0
; FloatMode: 240
; IeeeMode: 1
; LDSByteSize: 0 bytes/workgroup (compile time only)
; SGPRBlocks: 0
; VGPRBlocks: 0
; NumSGPRsForWavesPerEU: 1
; NumVGPRsForWavesPerEU: 1
; NamedBarCnt: 0
; Occupancy: 16
; WaveLimiterHint : 0
; COMPUTE_PGM_RSRC2:SCRATCH_EN: 0
; COMPUTE_PGM_RSRC2:USER_SGPR: 2
; COMPUTE_PGM_RSRC2:TRAP_HANDLER: 0
; COMPUTE_PGM_RSRC2:TGID_X_EN: 1
; COMPUTE_PGM_RSRC2:TGID_Y_EN: 0
; COMPUTE_PGM_RSRC2:TGID_Z_EN: 0
; COMPUTE_PGM_RSRC2:TIDIG_COMP_CNT: 0
	.section	.text._ZN7rocprim17ROCPRIM_400000_NS6detail17trampoline_kernelINS0_14default_configENS1_25partition_config_selectorILNS1_17partition_subalgoE9EllbEEZZNS1_14partition_implILS5_9ELb0ES3_jPlS8_PNS0_10empty_typeENS0_5tupleIJS8_S9_EEENSB_IJS8_SA_EEENS0_18inequality_wrapperIZN2at6native12_GLOBAL__N_124unique_dim_cuda_templateIhEESt5tupleIJNSF_6TensorESK_SK_EERKSK_lbbbEUlllE0_EEPmJS9_EEE10hipError_tPvRmT3_T4_T5_T6_T7_T9_mT8_P12ihipStream_tbDpT10_ENKUlT_T0_E_clISt17integral_constantIbLb1EES1A_EEDaS15_S16_EUlS15_E_NS1_11comp_targetILNS1_3genE2ELNS1_11target_archE906ELNS1_3gpuE6ELNS1_3repE0EEENS1_30default_config_static_selectorELNS0_4arch9wavefront6targetE0EEEvT1_,"axG",@progbits,_ZN7rocprim17ROCPRIM_400000_NS6detail17trampoline_kernelINS0_14default_configENS1_25partition_config_selectorILNS1_17partition_subalgoE9EllbEEZZNS1_14partition_implILS5_9ELb0ES3_jPlS8_PNS0_10empty_typeENS0_5tupleIJS8_S9_EEENSB_IJS8_SA_EEENS0_18inequality_wrapperIZN2at6native12_GLOBAL__N_124unique_dim_cuda_templateIhEESt5tupleIJNSF_6TensorESK_SK_EERKSK_lbbbEUlllE0_EEPmJS9_EEE10hipError_tPvRmT3_T4_T5_T6_T7_T9_mT8_P12ihipStream_tbDpT10_ENKUlT_T0_E_clISt17integral_constantIbLb1EES1A_EEDaS15_S16_EUlS15_E_NS1_11comp_targetILNS1_3genE2ELNS1_11target_archE906ELNS1_3gpuE6ELNS1_3repE0EEENS1_30default_config_static_selectorELNS0_4arch9wavefront6targetE0EEEvT1_,comdat
	.globl	_ZN7rocprim17ROCPRIM_400000_NS6detail17trampoline_kernelINS0_14default_configENS1_25partition_config_selectorILNS1_17partition_subalgoE9EllbEEZZNS1_14partition_implILS5_9ELb0ES3_jPlS8_PNS0_10empty_typeENS0_5tupleIJS8_S9_EEENSB_IJS8_SA_EEENS0_18inequality_wrapperIZN2at6native12_GLOBAL__N_124unique_dim_cuda_templateIhEESt5tupleIJNSF_6TensorESK_SK_EERKSK_lbbbEUlllE0_EEPmJS9_EEE10hipError_tPvRmT3_T4_T5_T6_T7_T9_mT8_P12ihipStream_tbDpT10_ENKUlT_T0_E_clISt17integral_constantIbLb1EES1A_EEDaS15_S16_EUlS15_E_NS1_11comp_targetILNS1_3genE2ELNS1_11target_archE906ELNS1_3gpuE6ELNS1_3repE0EEENS1_30default_config_static_selectorELNS0_4arch9wavefront6targetE0EEEvT1_ ; -- Begin function _ZN7rocprim17ROCPRIM_400000_NS6detail17trampoline_kernelINS0_14default_configENS1_25partition_config_selectorILNS1_17partition_subalgoE9EllbEEZZNS1_14partition_implILS5_9ELb0ES3_jPlS8_PNS0_10empty_typeENS0_5tupleIJS8_S9_EEENSB_IJS8_SA_EEENS0_18inequality_wrapperIZN2at6native12_GLOBAL__N_124unique_dim_cuda_templateIhEESt5tupleIJNSF_6TensorESK_SK_EERKSK_lbbbEUlllE0_EEPmJS9_EEE10hipError_tPvRmT3_T4_T5_T6_T7_T9_mT8_P12ihipStream_tbDpT10_ENKUlT_T0_E_clISt17integral_constantIbLb1EES1A_EEDaS15_S16_EUlS15_E_NS1_11comp_targetILNS1_3genE2ELNS1_11target_archE906ELNS1_3gpuE6ELNS1_3repE0EEENS1_30default_config_static_selectorELNS0_4arch9wavefront6targetE0EEEvT1_
	.p2align	8
	.type	_ZN7rocprim17ROCPRIM_400000_NS6detail17trampoline_kernelINS0_14default_configENS1_25partition_config_selectorILNS1_17partition_subalgoE9EllbEEZZNS1_14partition_implILS5_9ELb0ES3_jPlS8_PNS0_10empty_typeENS0_5tupleIJS8_S9_EEENSB_IJS8_SA_EEENS0_18inequality_wrapperIZN2at6native12_GLOBAL__N_124unique_dim_cuda_templateIhEESt5tupleIJNSF_6TensorESK_SK_EERKSK_lbbbEUlllE0_EEPmJS9_EEE10hipError_tPvRmT3_T4_T5_T6_T7_T9_mT8_P12ihipStream_tbDpT10_ENKUlT_T0_E_clISt17integral_constantIbLb1EES1A_EEDaS15_S16_EUlS15_E_NS1_11comp_targetILNS1_3genE2ELNS1_11target_archE906ELNS1_3gpuE6ELNS1_3repE0EEENS1_30default_config_static_selectorELNS0_4arch9wavefront6targetE0EEEvT1_,@function
_ZN7rocprim17ROCPRIM_400000_NS6detail17trampoline_kernelINS0_14default_configENS1_25partition_config_selectorILNS1_17partition_subalgoE9EllbEEZZNS1_14partition_implILS5_9ELb0ES3_jPlS8_PNS0_10empty_typeENS0_5tupleIJS8_S9_EEENSB_IJS8_SA_EEENS0_18inequality_wrapperIZN2at6native12_GLOBAL__N_124unique_dim_cuda_templateIhEESt5tupleIJNSF_6TensorESK_SK_EERKSK_lbbbEUlllE0_EEPmJS9_EEE10hipError_tPvRmT3_T4_T5_T6_T7_T9_mT8_P12ihipStream_tbDpT10_ENKUlT_T0_E_clISt17integral_constantIbLb1EES1A_EEDaS15_S16_EUlS15_E_NS1_11comp_targetILNS1_3genE2ELNS1_11target_archE906ELNS1_3gpuE6ELNS1_3repE0EEENS1_30default_config_static_selectorELNS0_4arch9wavefront6targetE0EEEvT1_: ; @_ZN7rocprim17ROCPRIM_400000_NS6detail17trampoline_kernelINS0_14default_configENS1_25partition_config_selectorILNS1_17partition_subalgoE9EllbEEZZNS1_14partition_implILS5_9ELb0ES3_jPlS8_PNS0_10empty_typeENS0_5tupleIJS8_S9_EEENSB_IJS8_SA_EEENS0_18inequality_wrapperIZN2at6native12_GLOBAL__N_124unique_dim_cuda_templateIhEESt5tupleIJNSF_6TensorESK_SK_EERKSK_lbbbEUlllE0_EEPmJS9_EEE10hipError_tPvRmT3_T4_T5_T6_T7_T9_mT8_P12ihipStream_tbDpT10_ENKUlT_T0_E_clISt17integral_constantIbLb1EES1A_EEDaS15_S16_EUlS15_E_NS1_11comp_targetILNS1_3genE2ELNS1_11target_archE906ELNS1_3gpuE6ELNS1_3repE0EEENS1_30default_config_static_selectorELNS0_4arch9wavefront6targetE0EEEvT1_
; %bb.0:
	.section	.rodata,"a",@progbits
	.p2align	6, 0x0
	.amdhsa_kernel _ZN7rocprim17ROCPRIM_400000_NS6detail17trampoline_kernelINS0_14default_configENS1_25partition_config_selectorILNS1_17partition_subalgoE9EllbEEZZNS1_14partition_implILS5_9ELb0ES3_jPlS8_PNS0_10empty_typeENS0_5tupleIJS8_S9_EEENSB_IJS8_SA_EEENS0_18inequality_wrapperIZN2at6native12_GLOBAL__N_124unique_dim_cuda_templateIhEESt5tupleIJNSF_6TensorESK_SK_EERKSK_lbbbEUlllE0_EEPmJS9_EEE10hipError_tPvRmT3_T4_T5_T6_T7_T9_mT8_P12ihipStream_tbDpT10_ENKUlT_T0_E_clISt17integral_constantIbLb1EES1A_EEDaS15_S16_EUlS15_E_NS1_11comp_targetILNS1_3genE2ELNS1_11target_archE906ELNS1_3gpuE6ELNS1_3repE0EEENS1_30default_config_static_selectorELNS0_4arch9wavefront6targetE0EEEvT1_
		.amdhsa_group_segment_fixed_size 0
		.amdhsa_private_segment_fixed_size 0
		.amdhsa_kernarg_size 136
		.amdhsa_user_sgpr_count 2
		.amdhsa_user_sgpr_dispatch_ptr 0
		.amdhsa_user_sgpr_queue_ptr 0
		.amdhsa_user_sgpr_kernarg_segment_ptr 1
		.amdhsa_user_sgpr_dispatch_id 0
		.amdhsa_user_sgpr_kernarg_preload_length 0
		.amdhsa_user_sgpr_kernarg_preload_offset 0
		.amdhsa_user_sgpr_private_segment_size 0
		.amdhsa_wavefront_size32 1
		.amdhsa_uses_dynamic_stack 0
		.amdhsa_enable_private_segment 0
		.amdhsa_system_sgpr_workgroup_id_x 1
		.amdhsa_system_sgpr_workgroup_id_y 0
		.amdhsa_system_sgpr_workgroup_id_z 0
		.amdhsa_system_sgpr_workgroup_info 0
		.amdhsa_system_vgpr_workitem_id 0
		.amdhsa_next_free_vgpr 1
		.amdhsa_next_free_sgpr 1
		.amdhsa_named_barrier_count 0
		.amdhsa_reserve_vcc 0
		.amdhsa_float_round_mode_32 0
		.amdhsa_float_round_mode_16_64 0
		.amdhsa_float_denorm_mode_32 3
		.amdhsa_float_denorm_mode_16_64 3
		.amdhsa_fp16_overflow 0
		.amdhsa_memory_ordered 1
		.amdhsa_forward_progress 1
		.amdhsa_inst_pref_size 0
		.amdhsa_round_robin_scheduling 0
		.amdhsa_exception_fp_ieee_invalid_op 0
		.amdhsa_exception_fp_denorm_src 0
		.amdhsa_exception_fp_ieee_div_zero 0
		.amdhsa_exception_fp_ieee_overflow 0
		.amdhsa_exception_fp_ieee_underflow 0
		.amdhsa_exception_fp_ieee_inexact 0
		.amdhsa_exception_int_div_zero 0
	.end_amdhsa_kernel
	.section	.text._ZN7rocprim17ROCPRIM_400000_NS6detail17trampoline_kernelINS0_14default_configENS1_25partition_config_selectorILNS1_17partition_subalgoE9EllbEEZZNS1_14partition_implILS5_9ELb0ES3_jPlS8_PNS0_10empty_typeENS0_5tupleIJS8_S9_EEENSB_IJS8_SA_EEENS0_18inequality_wrapperIZN2at6native12_GLOBAL__N_124unique_dim_cuda_templateIhEESt5tupleIJNSF_6TensorESK_SK_EERKSK_lbbbEUlllE0_EEPmJS9_EEE10hipError_tPvRmT3_T4_T5_T6_T7_T9_mT8_P12ihipStream_tbDpT10_ENKUlT_T0_E_clISt17integral_constantIbLb1EES1A_EEDaS15_S16_EUlS15_E_NS1_11comp_targetILNS1_3genE2ELNS1_11target_archE906ELNS1_3gpuE6ELNS1_3repE0EEENS1_30default_config_static_selectorELNS0_4arch9wavefront6targetE0EEEvT1_,"axG",@progbits,_ZN7rocprim17ROCPRIM_400000_NS6detail17trampoline_kernelINS0_14default_configENS1_25partition_config_selectorILNS1_17partition_subalgoE9EllbEEZZNS1_14partition_implILS5_9ELb0ES3_jPlS8_PNS0_10empty_typeENS0_5tupleIJS8_S9_EEENSB_IJS8_SA_EEENS0_18inequality_wrapperIZN2at6native12_GLOBAL__N_124unique_dim_cuda_templateIhEESt5tupleIJNSF_6TensorESK_SK_EERKSK_lbbbEUlllE0_EEPmJS9_EEE10hipError_tPvRmT3_T4_T5_T6_T7_T9_mT8_P12ihipStream_tbDpT10_ENKUlT_T0_E_clISt17integral_constantIbLb1EES1A_EEDaS15_S16_EUlS15_E_NS1_11comp_targetILNS1_3genE2ELNS1_11target_archE906ELNS1_3gpuE6ELNS1_3repE0EEENS1_30default_config_static_selectorELNS0_4arch9wavefront6targetE0EEEvT1_,comdat
.Lfunc_end216:
	.size	_ZN7rocprim17ROCPRIM_400000_NS6detail17trampoline_kernelINS0_14default_configENS1_25partition_config_selectorILNS1_17partition_subalgoE9EllbEEZZNS1_14partition_implILS5_9ELb0ES3_jPlS8_PNS0_10empty_typeENS0_5tupleIJS8_S9_EEENSB_IJS8_SA_EEENS0_18inequality_wrapperIZN2at6native12_GLOBAL__N_124unique_dim_cuda_templateIhEESt5tupleIJNSF_6TensorESK_SK_EERKSK_lbbbEUlllE0_EEPmJS9_EEE10hipError_tPvRmT3_T4_T5_T6_T7_T9_mT8_P12ihipStream_tbDpT10_ENKUlT_T0_E_clISt17integral_constantIbLb1EES1A_EEDaS15_S16_EUlS15_E_NS1_11comp_targetILNS1_3genE2ELNS1_11target_archE906ELNS1_3gpuE6ELNS1_3repE0EEENS1_30default_config_static_selectorELNS0_4arch9wavefront6targetE0EEEvT1_, .Lfunc_end216-_ZN7rocprim17ROCPRIM_400000_NS6detail17trampoline_kernelINS0_14default_configENS1_25partition_config_selectorILNS1_17partition_subalgoE9EllbEEZZNS1_14partition_implILS5_9ELb0ES3_jPlS8_PNS0_10empty_typeENS0_5tupleIJS8_S9_EEENSB_IJS8_SA_EEENS0_18inequality_wrapperIZN2at6native12_GLOBAL__N_124unique_dim_cuda_templateIhEESt5tupleIJNSF_6TensorESK_SK_EERKSK_lbbbEUlllE0_EEPmJS9_EEE10hipError_tPvRmT3_T4_T5_T6_T7_T9_mT8_P12ihipStream_tbDpT10_ENKUlT_T0_E_clISt17integral_constantIbLb1EES1A_EEDaS15_S16_EUlS15_E_NS1_11comp_targetILNS1_3genE2ELNS1_11target_archE906ELNS1_3gpuE6ELNS1_3repE0EEENS1_30default_config_static_selectorELNS0_4arch9wavefront6targetE0EEEvT1_
                                        ; -- End function
	.set _ZN7rocprim17ROCPRIM_400000_NS6detail17trampoline_kernelINS0_14default_configENS1_25partition_config_selectorILNS1_17partition_subalgoE9EllbEEZZNS1_14partition_implILS5_9ELb0ES3_jPlS8_PNS0_10empty_typeENS0_5tupleIJS8_S9_EEENSB_IJS8_SA_EEENS0_18inequality_wrapperIZN2at6native12_GLOBAL__N_124unique_dim_cuda_templateIhEESt5tupleIJNSF_6TensorESK_SK_EERKSK_lbbbEUlllE0_EEPmJS9_EEE10hipError_tPvRmT3_T4_T5_T6_T7_T9_mT8_P12ihipStream_tbDpT10_ENKUlT_T0_E_clISt17integral_constantIbLb1EES1A_EEDaS15_S16_EUlS15_E_NS1_11comp_targetILNS1_3genE2ELNS1_11target_archE906ELNS1_3gpuE6ELNS1_3repE0EEENS1_30default_config_static_selectorELNS0_4arch9wavefront6targetE0EEEvT1_.num_vgpr, 0
	.set _ZN7rocprim17ROCPRIM_400000_NS6detail17trampoline_kernelINS0_14default_configENS1_25partition_config_selectorILNS1_17partition_subalgoE9EllbEEZZNS1_14partition_implILS5_9ELb0ES3_jPlS8_PNS0_10empty_typeENS0_5tupleIJS8_S9_EEENSB_IJS8_SA_EEENS0_18inequality_wrapperIZN2at6native12_GLOBAL__N_124unique_dim_cuda_templateIhEESt5tupleIJNSF_6TensorESK_SK_EERKSK_lbbbEUlllE0_EEPmJS9_EEE10hipError_tPvRmT3_T4_T5_T6_T7_T9_mT8_P12ihipStream_tbDpT10_ENKUlT_T0_E_clISt17integral_constantIbLb1EES1A_EEDaS15_S16_EUlS15_E_NS1_11comp_targetILNS1_3genE2ELNS1_11target_archE906ELNS1_3gpuE6ELNS1_3repE0EEENS1_30default_config_static_selectorELNS0_4arch9wavefront6targetE0EEEvT1_.num_agpr, 0
	.set _ZN7rocprim17ROCPRIM_400000_NS6detail17trampoline_kernelINS0_14default_configENS1_25partition_config_selectorILNS1_17partition_subalgoE9EllbEEZZNS1_14partition_implILS5_9ELb0ES3_jPlS8_PNS0_10empty_typeENS0_5tupleIJS8_S9_EEENSB_IJS8_SA_EEENS0_18inequality_wrapperIZN2at6native12_GLOBAL__N_124unique_dim_cuda_templateIhEESt5tupleIJNSF_6TensorESK_SK_EERKSK_lbbbEUlllE0_EEPmJS9_EEE10hipError_tPvRmT3_T4_T5_T6_T7_T9_mT8_P12ihipStream_tbDpT10_ENKUlT_T0_E_clISt17integral_constantIbLb1EES1A_EEDaS15_S16_EUlS15_E_NS1_11comp_targetILNS1_3genE2ELNS1_11target_archE906ELNS1_3gpuE6ELNS1_3repE0EEENS1_30default_config_static_selectorELNS0_4arch9wavefront6targetE0EEEvT1_.numbered_sgpr, 0
	.set _ZN7rocprim17ROCPRIM_400000_NS6detail17trampoline_kernelINS0_14default_configENS1_25partition_config_selectorILNS1_17partition_subalgoE9EllbEEZZNS1_14partition_implILS5_9ELb0ES3_jPlS8_PNS0_10empty_typeENS0_5tupleIJS8_S9_EEENSB_IJS8_SA_EEENS0_18inequality_wrapperIZN2at6native12_GLOBAL__N_124unique_dim_cuda_templateIhEESt5tupleIJNSF_6TensorESK_SK_EERKSK_lbbbEUlllE0_EEPmJS9_EEE10hipError_tPvRmT3_T4_T5_T6_T7_T9_mT8_P12ihipStream_tbDpT10_ENKUlT_T0_E_clISt17integral_constantIbLb1EES1A_EEDaS15_S16_EUlS15_E_NS1_11comp_targetILNS1_3genE2ELNS1_11target_archE906ELNS1_3gpuE6ELNS1_3repE0EEENS1_30default_config_static_selectorELNS0_4arch9wavefront6targetE0EEEvT1_.num_named_barrier, 0
	.set _ZN7rocprim17ROCPRIM_400000_NS6detail17trampoline_kernelINS0_14default_configENS1_25partition_config_selectorILNS1_17partition_subalgoE9EllbEEZZNS1_14partition_implILS5_9ELb0ES3_jPlS8_PNS0_10empty_typeENS0_5tupleIJS8_S9_EEENSB_IJS8_SA_EEENS0_18inequality_wrapperIZN2at6native12_GLOBAL__N_124unique_dim_cuda_templateIhEESt5tupleIJNSF_6TensorESK_SK_EERKSK_lbbbEUlllE0_EEPmJS9_EEE10hipError_tPvRmT3_T4_T5_T6_T7_T9_mT8_P12ihipStream_tbDpT10_ENKUlT_T0_E_clISt17integral_constantIbLb1EES1A_EEDaS15_S16_EUlS15_E_NS1_11comp_targetILNS1_3genE2ELNS1_11target_archE906ELNS1_3gpuE6ELNS1_3repE0EEENS1_30default_config_static_selectorELNS0_4arch9wavefront6targetE0EEEvT1_.private_seg_size, 0
	.set _ZN7rocprim17ROCPRIM_400000_NS6detail17trampoline_kernelINS0_14default_configENS1_25partition_config_selectorILNS1_17partition_subalgoE9EllbEEZZNS1_14partition_implILS5_9ELb0ES3_jPlS8_PNS0_10empty_typeENS0_5tupleIJS8_S9_EEENSB_IJS8_SA_EEENS0_18inequality_wrapperIZN2at6native12_GLOBAL__N_124unique_dim_cuda_templateIhEESt5tupleIJNSF_6TensorESK_SK_EERKSK_lbbbEUlllE0_EEPmJS9_EEE10hipError_tPvRmT3_T4_T5_T6_T7_T9_mT8_P12ihipStream_tbDpT10_ENKUlT_T0_E_clISt17integral_constantIbLb1EES1A_EEDaS15_S16_EUlS15_E_NS1_11comp_targetILNS1_3genE2ELNS1_11target_archE906ELNS1_3gpuE6ELNS1_3repE0EEENS1_30default_config_static_selectorELNS0_4arch9wavefront6targetE0EEEvT1_.uses_vcc, 0
	.set _ZN7rocprim17ROCPRIM_400000_NS6detail17trampoline_kernelINS0_14default_configENS1_25partition_config_selectorILNS1_17partition_subalgoE9EllbEEZZNS1_14partition_implILS5_9ELb0ES3_jPlS8_PNS0_10empty_typeENS0_5tupleIJS8_S9_EEENSB_IJS8_SA_EEENS0_18inequality_wrapperIZN2at6native12_GLOBAL__N_124unique_dim_cuda_templateIhEESt5tupleIJNSF_6TensorESK_SK_EERKSK_lbbbEUlllE0_EEPmJS9_EEE10hipError_tPvRmT3_T4_T5_T6_T7_T9_mT8_P12ihipStream_tbDpT10_ENKUlT_T0_E_clISt17integral_constantIbLb1EES1A_EEDaS15_S16_EUlS15_E_NS1_11comp_targetILNS1_3genE2ELNS1_11target_archE906ELNS1_3gpuE6ELNS1_3repE0EEENS1_30default_config_static_selectorELNS0_4arch9wavefront6targetE0EEEvT1_.uses_flat_scratch, 0
	.set _ZN7rocprim17ROCPRIM_400000_NS6detail17trampoline_kernelINS0_14default_configENS1_25partition_config_selectorILNS1_17partition_subalgoE9EllbEEZZNS1_14partition_implILS5_9ELb0ES3_jPlS8_PNS0_10empty_typeENS0_5tupleIJS8_S9_EEENSB_IJS8_SA_EEENS0_18inequality_wrapperIZN2at6native12_GLOBAL__N_124unique_dim_cuda_templateIhEESt5tupleIJNSF_6TensorESK_SK_EERKSK_lbbbEUlllE0_EEPmJS9_EEE10hipError_tPvRmT3_T4_T5_T6_T7_T9_mT8_P12ihipStream_tbDpT10_ENKUlT_T0_E_clISt17integral_constantIbLb1EES1A_EEDaS15_S16_EUlS15_E_NS1_11comp_targetILNS1_3genE2ELNS1_11target_archE906ELNS1_3gpuE6ELNS1_3repE0EEENS1_30default_config_static_selectorELNS0_4arch9wavefront6targetE0EEEvT1_.has_dyn_sized_stack, 0
	.set _ZN7rocprim17ROCPRIM_400000_NS6detail17trampoline_kernelINS0_14default_configENS1_25partition_config_selectorILNS1_17partition_subalgoE9EllbEEZZNS1_14partition_implILS5_9ELb0ES3_jPlS8_PNS0_10empty_typeENS0_5tupleIJS8_S9_EEENSB_IJS8_SA_EEENS0_18inequality_wrapperIZN2at6native12_GLOBAL__N_124unique_dim_cuda_templateIhEESt5tupleIJNSF_6TensorESK_SK_EERKSK_lbbbEUlllE0_EEPmJS9_EEE10hipError_tPvRmT3_T4_T5_T6_T7_T9_mT8_P12ihipStream_tbDpT10_ENKUlT_T0_E_clISt17integral_constantIbLb1EES1A_EEDaS15_S16_EUlS15_E_NS1_11comp_targetILNS1_3genE2ELNS1_11target_archE906ELNS1_3gpuE6ELNS1_3repE0EEENS1_30default_config_static_selectorELNS0_4arch9wavefront6targetE0EEEvT1_.has_recursion, 0
	.set _ZN7rocprim17ROCPRIM_400000_NS6detail17trampoline_kernelINS0_14default_configENS1_25partition_config_selectorILNS1_17partition_subalgoE9EllbEEZZNS1_14partition_implILS5_9ELb0ES3_jPlS8_PNS0_10empty_typeENS0_5tupleIJS8_S9_EEENSB_IJS8_SA_EEENS0_18inequality_wrapperIZN2at6native12_GLOBAL__N_124unique_dim_cuda_templateIhEESt5tupleIJNSF_6TensorESK_SK_EERKSK_lbbbEUlllE0_EEPmJS9_EEE10hipError_tPvRmT3_T4_T5_T6_T7_T9_mT8_P12ihipStream_tbDpT10_ENKUlT_T0_E_clISt17integral_constantIbLb1EES1A_EEDaS15_S16_EUlS15_E_NS1_11comp_targetILNS1_3genE2ELNS1_11target_archE906ELNS1_3gpuE6ELNS1_3repE0EEENS1_30default_config_static_selectorELNS0_4arch9wavefront6targetE0EEEvT1_.has_indirect_call, 0
	.section	.AMDGPU.csdata,"",@progbits
; Kernel info:
; codeLenInByte = 0
; TotalNumSgprs: 0
; NumVgprs: 0
; ScratchSize: 0
; MemoryBound: 0
; FloatMode: 240
; IeeeMode: 1
; LDSByteSize: 0 bytes/workgroup (compile time only)
; SGPRBlocks: 0
; VGPRBlocks: 0
; NumSGPRsForWavesPerEU: 1
; NumVGPRsForWavesPerEU: 1
; NamedBarCnt: 0
; Occupancy: 16
; WaveLimiterHint : 0
; COMPUTE_PGM_RSRC2:SCRATCH_EN: 0
; COMPUTE_PGM_RSRC2:USER_SGPR: 2
; COMPUTE_PGM_RSRC2:TRAP_HANDLER: 0
; COMPUTE_PGM_RSRC2:TGID_X_EN: 1
; COMPUTE_PGM_RSRC2:TGID_Y_EN: 0
; COMPUTE_PGM_RSRC2:TGID_Z_EN: 0
; COMPUTE_PGM_RSRC2:TIDIG_COMP_CNT: 0
	.section	.text._ZN7rocprim17ROCPRIM_400000_NS6detail17trampoline_kernelINS0_14default_configENS1_25partition_config_selectorILNS1_17partition_subalgoE9EllbEEZZNS1_14partition_implILS5_9ELb0ES3_jPlS8_PNS0_10empty_typeENS0_5tupleIJS8_S9_EEENSB_IJS8_SA_EEENS0_18inequality_wrapperIZN2at6native12_GLOBAL__N_124unique_dim_cuda_templateIhEESt5tupleIJNSF_6TensorESK_SK_EERKSK_lbbbEUlllE0_EEPmJS9_EEE10hipError_tPvRmT3_T4_T5_T6_T7_T9_mT8_P12ihipStream_tbDpT10_ENKUlT_T0_E_clISt17integral_constantIbLb1EES1A_EEDaS15_S16_EUlS15_E_NS1_11comp_targetILNS1_3genE10ELNS1_11target_archE1200ELNS1_3gpuE4ELNS1_3repE0EEENS1_30default_config_static_selectorELNS0_4arch9wavefront6targetE0EEEvT1_,"axG",@progbits,_ZN7rocprim17ROCPRIM_400000_NS6detail17trampoline_kernelINS0_14default_configENS1_25partition_config_selectorILNS1_17partition_subalgoE9EllbEEZZNS1_14partition_implILS5_9ELb0ES3_jPlS8_PNS0_10empty_typeENS0_5tupleIJS8_S9_EEENSB_IJS8_SA_EEENS0_18inequality_wrapperIZN2at6native12_GLOBAL__N_124unique_dim_cuda_templateIhEESt5tupleIJNSF_6TensorESK_SK_EERKSK_lbbbEUlllE0_EEPmJS9_EEE10hipError_tPvRmT3_T4_T5_T6_T7_T9_mT8_P12ihipStream_tbDpT10_ENKUlT_T0_E_clISt17integral_constantIbLb1EES1A_EEDaS15_S16_EUlS15_E_NS1_11comp_targetILNS1_3genE10ELNS1_11target_archE1200ELNS1_3gpuE4ELNS1_3repE0EEENS1_30default_config_static_selectorELNS0_4arch9wavefront6targetE0EEEvT1_,comdat
	.globl	_ZN7rocprim17ROCPRIM_400000_NS6detail17trampoline_kernelINS0_14default_configENS1_25partition_config_selectorILNS1_17partition_subalgoE9EllbEEZZNS1_14partition_implILS5_9ELb0ES3_jPlS8_PNS0_10empty_typeENS0_5tupleIJS8_S9_EEENSB_IJS8_SA_EEENS0_18inequality_wrapperIZN2at6native12_GLOBAL__N_124unique_dim_cuda_templateIhEESt5tupleIJNSF_6TensorESK_SK_EERKSK_lbbbEUlllE0_EEPmJS9_EEE10hipError_tPvRmT3_T4_T5_T6_T7_T9_mT8_P12ihipStream_tbDpT10_ENKUlT_T0_E_clISt17integral_constantIbLb1EES1A_EEDaS15_S16_EUlS15_E_NS1_11comp_targetILNS1_3genE10ELNS1_11target_archE1200ELNS1_3gpuE4ELNS1_3repE0EEENS1_30default_config_static_selectorELNS0_4arch9wavefront6targetE0EEEvT1_ ; -- Begin function _ZN7rocprim17ROCPRIM_400000_NS6detail17trampoline_kernelINS0_14default_configENS1_25partition_config_selectorILNS1_17partition_subalgoE9EllbEEZZNS1_14partition_implILS5_9ELb0ES3_jPlS8_PNS0_10empty_typeENS0_5tupleIJS8_S9_EEENSB_IJS8_SA_EEENS0_18inequality_wrapperIZN2at6native12_GLOBAL__N_124unique_dim_cuda_templateIhEESt5tupleIJNSF_6TensorESK_SK_EERKSK_lbbbEUlllE0_EEPmJS9_EEE10hipError_tPvRmT3_T4_T5_T6_T7_T9_mT8_P12ihipStream_tbDpT10_ENKUlT_T0_E_clISt17integral_constantIbLb1EES1A_EEDaS15_S16_EUlS15_E_NS1_11comp_targetILNS1_3genE10ELNS1_11target_archE1200ELNS1_3gpuE4ELNS1_3repE0EEENS1_30default_config_static_selectorELNS0_4arch9wavefront6targetE0EEEvT1_
	.p2align	8
	.type	_ZN7rocprim17ROCPRIM_400000_NS6detail17trampoline_kernelINS0_14default_configENS1_25partition_config_selectorILNS1_17partition_subalgoE9EllbEEZZNS1_14partition_implILS5_9ELb0ES3_jPlS8_PNS0_10empty_typeENS0_5tupleIJS8_S9_EEENSB_IJS8_SA_EEENS0_18inequality_wrapperIZN2at6native12_GLOBAL__N_124unique_dim_cuda_templateIhEESt5tupleIJNSF_6TensorESK_SK_EERKSK_lbbbEUlllE0_EEPmJS9_EEE10hipError_tPvRmT3_T4_T5_T6_T7_T9_mT8_P12ihipStream_tbDpT10_ENKUlT_T0_E_clISt17integral_constantIbLb1EES1A_EEDaS15_S16_EUlS15_E_NS1_11comp_targetILNS1_3genE10ELNS1_11target_archE1200ELNS1_3gpuE4ELNS1_3repE0EEENS1_30default_config_static_selectorELNS0_4arch9wavefront6targetE0EEEvT1_,@function
_ZN7rocprim17ROCPRIM_400000_NS6detail17trampoline_kernelINS0_14default_configENS1_25partition_config_selectorILNS1_17partition_subalgoE9EllbEEZZNS1_14partition_implILS5_9ELb0ES3_jPlS8_PNS0_10empty_typeENS0_5tupleIJS8_S9_EEENSB_IJS8_SA_EEENS0_18inequality_wrapperIZN2at6native12_GLOBAL__N_124unique_dim_cuda_templateIhEESt5tupleIJNSF_6TensorESK_SK_EERKSK_lbbbEUlllE0_EEPmJS9_EEE10hipError_tPvRmT3_T4_T5_T6_T7_T9_mT8_P12ihipStream_tbDpT10_ENKUlT_T0_E_clISt17integral_constantIbLb1EES1A_EEDaS15_S16_EUlS15_E_NS1_11comp_targetILNS1_3genE10ELNS1_11target_archE1200ELNS1_3gpuE4ELNS1_3repE0EEENS1_30default_config_static_selectorELNS0_4arch9wavefront6targetE0EEEvT1_: ; @_ZN7rocprim17ROCPRIM_400000_NS6detail17trampoline_kernelINS0_14default_configENS1_25partition_config_selectorILNS1_17partition_subalgoE9EllbEEZZNS1_14partition_implILS5_9ELb0ES3_jPlS8_PNS0_10empty_typeENS0_5tupleIJS8_S9_EEENSB_IJS8_SA_EEENS0_18inequality_wrapperIZN2at6native12_GLOBAL__N_124unique_dim_cuda_templateIhEESt5tupleIJNSF_6TensorESK_SK_EERKSK_lbbbEUlllE0_EEPmJS9_EEE10hipError_tPvRmT3_T4_T5_T6_T7_T9_mT8_P12ihipStream_tbDpT10_ENKUlT_T0_E_clISt17integral_constantIbLb1EES1A_EEDaS15_S16_EUlS15_E_NS1_11comp_targetILNS1_3genE10ELNS1_11target_archE1200ELNS1_3gpuE4ELNS1_3repE0EEENS1_30default_config_static_selectorELNS0_4arch9wavefront6targetE0EEEvT1_
; %bb.0:
	.section	.rodata,"a",@progbits
	.p2align	6, 0x0
	.amdhsa_kernel _ZN7rocprim17ROCPRIM_400000_NS6detail17trampoline_kernelINS0_14default_configENS1_25partition_config_selectorILNS1_17partition_subalgoE9EllbEEZZNS1_14partition_implILS5_9ELb0ES3_jPlS8_PNS0_10empty_typeENS0_5tupleIJS8_S9_EEENSB_IJS8_SA_EEENS0_18inequality_wrapperIZN2at6native12_GLOBAL__N_124unique_dim_cuda_templateIhEESt5tupleIJNSF_6TensorESK_SK_EERKSK_lbbbEUlllE0_EEPmJS9_EEE10hipError_tPvRmT3_T4_T5_T6_T7_T9_mT8_P12ihipStream_tbDpT10_ENKUlT_T0_E_clISt17integral_constantIbLb1EES1A_EEDaS15_S16_EUlS15_E_NS1_11comp_targetILNS1_3genE10ELNS1_11target_archE1200ELNS1_3gpuE4ELNS1_3repE0EEENS1_30default_config_static_selectorELNS0_4arch9wavefront6targetE0EEEvT1_
		.amdhsa_group_segment_fixed_size 0
		.amdhsa_private_segment_fixed_size 0
		.amdhsa_kernarg_size 136
		.amdhsa_user_sgpr_count 2
		.amdhsa_user_sgpr_dispatch_ptr 0
		.amdhsa_user_sgpr_queue_ptr 0
		.amdhsa_user_sgpr_kernarg_segment_ptr 1
		.amdhsa_user_sgpr_dispatch_id 0
		.amdhsa_user_sgpr_kernarg_preload_length 0
		.amdhsa_user_sgpr_kernarg_preload_offset 0
		.amdhsa_user_sgpr_private_segment_size 0
		.amdhsa_wavefront_size32 1
		.amdhsa_uses_dynamic_stack 0
		.amdhsa_enable_private_segment 0
		.amdhsa_system_sgpr_workgroup_id_x 1
		.amdhsa_system_sgpr_workgroup_id_y 0
		.amdhsa_system_sgpr_workgroup_id_z 0
		.amdhsa_system_sgpr_workgroup_info 0
		.amdhsa_system_vgpr_workitem_id 0
		.amdhsa_next_free_vgpr 1
		.amdhsa_next_free_sgpr 1
		.amdhsa_named_barrier_count 0
		.amdhsa_reserve_vcc 0
		.amdhsa_float_round_mode_32 0
		.amdhsa_float_round_mode_16_64 0
		.amdhsa_float_denorm_mode_32 3
		.amdhsa_float_denorm_mode_16_64 3
		.amdhsa_fp16_overflow 0
		.amdhsa_memory_ordered 1
		.amdhsa_forward_progress 1
		.amdhsa_inst_pref_size 0
		.amdhsa_round_robin_scheduling 0
		.amdhsa_exception_fp_ieee_invalid_op 0
		.amdhsa_exception_fp_denorm_src 0
		.amdhsa_exception_fp_ieee_div_zero 0
		.amdhsa_exception_fp_ieee_overflow 0
		.amdhsa_exception_fp_ieee_underflow 0
		.amdhsa_exception_fp_ieee_inexact 0
		.amdhsa_exception_int_div_zero 0
	.end_amdhsa_kernel
	.section	.text._ZN7rocprim17ROCPRIM_400000_NS6detail17trampoline_kernelINS0_14default_configENS1_25partition_config_selectorILNS1_17partition_subalgoE9EllbEEZZNS1_14partition_implILS5_9ELb0ES3_jPlS8_PNS0_10empty_typeENS0_5tupleIJS8_S9_EEENSB_IJS8_SA_EEENS0_18inequality_wrapperIZN2at6native12_GLOBAL__N_124unique_dim_cuda_templateIhEESt5tupleIJNSF_6TensorESK_SK_EERKSK_lbbbEUlllE0_EEPmJS9_EEE10hipError_tPvRmT3_T4_T5_T6_T7_T9_mT8_P12ihipStream_tbDpT10_ENKUlT_T0_E_clISt17integral_constantIbLb1EES1A_EEDaS15_S16_EUlS15_E_NS1_11comp_targetILNS1_3genE10ELNS1_11target_archE1200ELNS1_3gpuE4ELNS1_3repE0EEENS1_30default_config_static_selectorELNS0_4arch9wavefront6targetE0EEEvT1_,"axG",@progbits,_ZN7rocprim17ROCPRIM_400000_NS6detail17trampoline_kernelINS0_14default_configENS1_25partition_config_selectorILNS1_17partition_subalgoE9EllbEEZZNS1_14partition_implILS5_9ELb0ES3_jPlS8_PNS0_10empty_typeENS0_5tupleIJS8_S9_EEENSB_IJS8_SA_EEENS0_18inequality_wrapperIZN2at6native12_GLOBAL__N_124unique_dim_cuda_templateIhEESt5tupleIJNSF_6TensorESK_SK_EERKSK_lbbbEUlllE0_EEPmJS9_EEE10hipError_tPvRmT3_T4_T5_T6_T7_T9_mT8_P12ihipStream_tbDpT10_ENKUlT_T0_E_clISt17integral_constantIbLb1EES1A_EEDaS15_S16_EUlS15_E_NS1_11comp_targetILNS1_3genE10ELNS1_11target_archE1200ELNS1_3gpuE4ELNS1_3repE0EEENS1_30default_config_static_selectorELNS0_4arch9wavefront6targetE0EEEvT1_,comdat
.Lfunc_end217:
	.size	_ZN7rocprim17ROCPRIM_400000_NS6detail17trampoline_kernelINS0_14default_configENS1_25partition_config_selectorILNS1_17partition_subalgoE9EllbEEZZNS1_14partition_implILS5_9ELb0ES3_jPlS8_PNS0_10empty_typeENS0_5tupleIJS8_S9_EEENSB_IJS8_SA_EEENS0_18inequality_wrapperIZN2at6native12_GLOBAL__N_124unique_dim_cuda_templateIhEESt5tupleIJNSF_6TensorESK_SK_EERKSK_lbbbEUlllE0_EEPmJS9_EEE10hipError_tPvRmT3_T4_T5_T6_T7_T9_mT8_P12ihipStream_tbDpT10_ENKUlT_T0_E_clISt17integral_constantIbLb1EES1A_EEDaS15_S16_EUlS15_E_NS1_11comp_targetILNS1_3genE10ELNS1_11target_archE1200ELNS1_3gpuE4ELNS1_3repE0EEENS1_30default_config_static_selectorELNS0_4arch9wavefront6targetE0EEEvT1_, .Lfunc_end217-_ZN7rocprim17ROCPRIM_400000_NS6detail17trampoline_kernelINS0_14default_configENS1_25partition_config_selectorILNS1_17partition_subalgoE9EllbEEZZNS1_14partition_implILS5_9ELb0ES3_jPlS8_PNS0_10empty_typeENS0_5tupleIJS8_S9_EEENSB_IJS8_SA_EEENS0_18inequality_wrapperIZN2at6native12_GLOBAL__N_124unique_dim_cuda_templateIhEESt5tupleIJNSF_6TensorESK_SK_EERKSK_lbbbEUlllE0_EEPmJS9_EEE10hipError_tPvRmT3_T4_T5_T6_T7_T9_mT8_P12ihipStream_tbDpT10_ENKUlT_T0_E_clISt17integral_constantIbLb1EES1A_EEDaS15_S16_EUlS15_E_NS1_11comp_targetILNS1_3genE10ELNS1_11target_archE1200ELNS1_3gpuE4ELNS1_3repE0EEENS1_30default_config_static_selectorELNS0_4arch9wavefront6targetE0EEEvT1_
                                        ; -- End function
	.set _ZN7rocprim17ROCPRIM_400000_NS6detail17trampoline_kernelINS0_14default_configENS1_25partition_config_selectorILNS1_17partition_subalgoE9EllbEEZZNS1_14partition_implILS5_9ELb0ES3_jPlS8_PNS0_10empty_typeENS0_5tupleIJS8_S9_EEENSB_IJS8_SA_EEENS0_18inequality_wrapperIZN2at6native12_GLOBAL__N_124unique_dim_cuda_templateIhEESt5tupleIJNSF_6TensorESK_SK_EERKSK_lbbbEUlllE0_EEPmJS9_EEE10hipError_tPvRmT3_T4_T5_T6_T7_T9_mT8_P12ihipStream_tbDpT10_ENKUlT_T0_E_clISt17integral_constantIbLb1EES1A_EEDaS15_S16_EUlS15_E_NS1_11comp_targetILNS1_3genE10ELNS1_11target_archE1200ELNS1_3gpuE4ELNS1_3repE0EEENS1_30default_config_static_selectorELNS0_4arch9wavefront6targetE0EEEvT1_.num_vgpr, 0
	.set _ZN7rocprim17ROCPRIM_400000_NS6detail17trampoline_kernelINS0_14default_configENS1_25partition_config_selectorILNS1_17partition_subalgoE9EllbEEZZNS1_14partition_implILS5_9ELb0ES3_jPlS8_PNS0_10empty_typeENS0_5tupleIJS8_S9_EEENSB_IJS8_SA_EEENS0_18inequality_wrapperIZN2at6native12_GLOBAL__N_124unique_dim_cuda_templateIhEESt5tupleIJNSF_6TensorESK_SK_EERKSK_lbbbEUlllE0_EEPmJS9_EEE10hipError_tPvRmT3_T4_T5_T6_T7_T9_mT8_P12ihipStream_tbDpT10_ENKUlT_T0_E_clISt17integral_constantIbLb1EES1A_EEDaS15_S16_EUlS15_E_NS1_11comp_targetILNS1_3genE10ELNS1_11target_archE1200ELNS1_3gpuE4ELNS1_3repE0EEENS1_30default_config_static_selectorELNS0_4arch9wavefront6targetE0EEEvT1_.num_agpr, 0
	.set _ZN7rocprim17ROCPRIM_400000_NS6detail17trampoline_kernelINS0_14default_configENS1_25partition_config_selectorILNS1_17partition_subalgoE9EllbEEZZNS1_14partition_implILS5_9ELb0ES3_jPlS8_PNS0_10empty_typeENS0_5tupleIJS8_S9_EEENSB_IJS8_SA_EEENS0_18inequality_wrapperIZN2at6native12_GLOBAL__N_124unique_dim_cuda_templateIhEESt5tupleIJNSF_6TensorESK_SK_EERKSK_lbbbEUlllE0_EEPmJS9_EEE10hipError_tPvRmT3_T4_T5_T6_T7_T9_mT8_P12ihipStream_tbDpT10_ENKUlT_T0_E_clISt17integral_constantIbLb1EES1A_EEDaS15_S16_EUlS15_E_NS1_11comp_targetILNS1_3genE10ELNS1_11target_archE1200ELNS1_3gpuE4ELNS1_3repE0EEENS1_30default_config_static_selectorELNS0_4arch9wavefront6targetE0EEEvT1_.numbered_sgpr, 0
	.set _ZN7rocprim17ROCPRIM_400000_NS6detail17trampoline_kernelINS0_14default_configENS1_25partition_config_selectorILNS1_17partition_subalgoE9EllbEEZZNS1_14partition_implILS5_9ELb0ES3_jPlS8_PNS0_10empty_typeENS0_5tupleIJS8_S9_EEENSB_IJS8_SA_EEENS0_18inequality_wrapperIZN2at6native12_GLOBAL__N_124unique_dim_cuda_templateIhEESt5tupleIJNSF_6TensorESK_SK_EERKSK_lbbbEUlllE0_EEPmJS9_EEE10hipError_tPvRmT3_T4_T5_T6_T7_T9_mT8_P12ihipStream_tbDpT10_ENKUlT_T0_E_clISt17integral_constantIbLb1EES1A_EEDaS15_S16_EUlS15_E_NS1_11comp_targetILNS1_3genE10ELNS1_11target_archE1200ELNS1_3gpuE4ELNS1_3repE0EEENS1_30default_config_static_selectorELNS0_4arch9wavefront6targetE0EEEvT1_.num_named_barrier, 0
	.set _ZN7rocprim17ROCPRIM_400000_NS6detail17trampoline_kernelINS0_14default_configENS1_25partition_config_selectorILNS1_17partition_subalgoE9EllbEEZZNS1_14partition_implILS5_9ELb0ES3_jPlS8_PNS0_10empty_typeENS0_5tupleIJS8_S9_EEENSB_IJS8_SA_EEENS0_18inequality_wrapperIZN2at6native12_GLOBAL__N_124unique_dim_cuda_templateIhEESt5tupleIJNSF_6TensorESK_SK_EERKSK_lbbbEUlllE0_EEPmJS9_EEE10hipError_tPvRmT3_T4_T5_T6_T7_T9_mT8_P12ihipStream_tbDpT10_ENKUlT_T0_E_clISt17integral_constantIbLb1EES1A_EEDaS15_S16_EUlS15_E_NS1_11comp_targetILNS1_3genE10ELNS1_11target_archE1200ELNS1_3gpuE4ELNS1_3repE0EEENS1_30default_config_static_selectorELNS0_4arch9wavefront6targetE0EEEvT1_.private_seg_size, 0
	.set _ZN7rocprim17ROCPRIM_400000_NS6detail17trampoline_kernelINS0_14default_configENS1_25partition_config_selectorILNS1_17partition_subalgoE9EllbEEZZNS1_14partition_implILS5_9ELb0ES3_jPlS8_PNS0_10empty_typeENS0_5tupleIJS8_S9_EEENSB_IJS8_SA_EEENS0_18inequality_wrapperIZN2at6native12_GLOBAL__N_124unique_dim_cuda_templateIhEESt5tupleIJNSF_6TensorESK_SK_EERKSK_lbbbEUlllE0_EEPmJS9_EEE10hipError_tPvRmT3_T4_T5_T6_T7_T9_mT8_P12ihipStream_tbDpT10_ENKUlT_T0_E_clISt17integral_constantIbLb1EES1A_EEDaS15_S16_EUlS15_E_NS1_11comp_targetILNS1_3genE10ELNS1_11target_archE1200ELNS1_3gpuE4ELNS1_3repE0EEENS1_30default_config_static_selectorELNS0_4arch9wavefront6targetE0EEEvT1_.uses_vcc, 0
	.set _ZN7rocprim17ROCPRIM_400000_NS6detail17trampoline_kernelINS0_14default_configENS1_25partition_config_selectorILNS1_17partition_subalgoE9EllbEEZZNS1_14partition_implILS5_9ELb0ES3_jPlS8_PNS0_10empty_typeENS0_5tupleIJS8_S9_EEENSB_IJS8_SA_EEENS0_18inequality_wrapperIZN2at6native12_GLOBAL__N_124unique_dim_cuda_templateIhEESt5tupleIJNSF_6TensorESK_SK_EERKSK_lbbbEUlllE0_EEPmJS9_EEE10hipError_tPvRmT3_T4_T5_T6_T7_T9_mT8_P12ihipStream_tbDpT10_ENKUlT_T0_E_clISt17integral_constantIbLb1EES1A_EEDaS15_S16_EUlS15_E_NS1_11comp_targetILNS1_3genE10ELNS1_11target_archE1200ELNS1_3gpuE4ELNS1_3repE0EEENS1_30default_config_static_selectorELNS0_4arch9wavefront6targetE0EEEvT1_.uses_flat_scratch, 0
	.set _ZN7rocprim17ROCPRIM_400000_NS6detail17trampoline_kernelINS0_14default_configENS1_25partition_config_selectorILNS1_17partition_subalgoE9EllbEEZZNS1_14partition_implILS5_9ELb0ES3_jPlS8_PNS0_10empty_typeENS0_5tupleIJS8_S9_EEENSB_IJS8_SA_EEENS0_18inequality_wrapperIZN2at6native12_GLOBAL__N_124unique_dim_cuda_templateIhEESt5tupleIJNSF_6TensorESK_SK_EERKSK_lbbbEUlllE0_EEPmJS9_EEE10hipError_tPvRmT3_T4_T5_T6_T7_T9_mT8_P12ihipStream_tbDpT10_ENKUlT_T0_E_clISt17integral_constantIbLb1EES1A_EEDaS15_S16_EUlS15_E_NS1_11comp_targetILNS1_3genE10ELNS1_11target_archE1200ELNS1_3gpuE4ELNS1_3repE0EEENS1_30default_config_static_selectorELNS0_4arch9wavefront6targetE0EEEvT1_.has_dyn_sized_stack, 0
	.set _ZN7rocprim17ROCPRIM_400000_NS6detail17trampoline_kernelINS0_14default_configENS1_25partition_config_selectorILNS1_17partition_subalgoE9EllbEEZZNS1_14partition_implILS5_9ELb0ES3_jPlS8_PNS0_10empty_typeENS0_5tupleIJS8_S9_EEENSB_IJS8_SA_EEENS0_18inequality_wrapperIZN2at6native12_GLOBAL__N_124unique_dim_cuda_templateIhEESt5tupleIJNSF_6TensorESK_SK_EERKSK_lbbbEUlllE0_EEPmJS9_EEE10hipError_tPvRmT3_T4_T5_T6_T7_T9_mT8_P12ihipStream_tbDpT10_ENKUlT_T0_E_clISt17integral_constantIbLb1EES1A_EEDaS15_S16_EUlS15_E_NS1_11comp_targetILNS1_3genE10ELNS1_11target_archE1200ELNS1_3gpuE4ELNS1_3repE0EEENS1_30default_config_static_selectorELNS0_4arch9wavefront6targetE0EEEvT1_.has_recursion, 0
	.set _ZN7rocprim17ROCPRIM_400000_NS6detail17trampoline_kernelINS0_14default_configENS1_25partition_config_selectorILNS1_17partition_subalgoE9EllbEEZZNS1_14partition_implILS5_9ELb0ES3_jPlS8_PNS0_10empty_typeENS0_5tupleIJS8_S9_EEENSB_IJS8_SA_EEENS0_18inequality_wrapperIZN2at6native12_GLOBAL__N_124unique_dim_cuda_templateIhEESt5tupleIJNSF_6TensorESK_SK_EERKSK_lbbbEUlllE0_EEPmJS9_EEE10hipError_tPvRmT3_T4_T5_T6_T7_T9_mT8_P12ihipStream_tbDpT10_ENKUlT_T0_E_clISt17integral_constantIbLb1EES1A_EEDaS15_S16_EUlS15_E_NS1_11comp_targetILNS1_3genE10ELNS1_11target_archE1200ELNS1_3gpuE4ELNS1_3repE0EEENS1_30default_config_static_selectorELNS0_4arch9wavefront6targetE0EEEvT1_.has_indirect_call, 0
	.section	.AMDGPU.csdata,"",@progbits
; Kernel info:
; codeLenInByte = 0
; TotalNumSgprs: 0
; NumVgprs: 0
; ScratchSize: 0
; MemoryBound: 0
; FloatMode: 240
; IeeeMode: 1
; LDSByteSize: 0 bytes/workgroup (compile time only)
; SGPRBlocks: 0
; VGPRBlocks: 0
; NumSGPRsForWavesPerEU: 1
; NumVGPRsForWavesPerEU: 1
; NamedBarCnt: 0
; Occupancy: 16
; WaveLimiterHint : 0
; COMPUTE_PGM_RSRC2:SCRATCH_EN: 0
; COMPUTE_PGM_RSRC2:USER_SGPR: 2
; COMPUTE_PGM_RSRC2:TRAP_HANDLER: 0
; COMPUTE_PGM_RSRC2:TGID_X_EN: 1
; COMPUTE_PGM_RSRC2:TGID_Y_EN: 0
; COMPUTE_PGM_RSRC2:TGID_Z_EN: 0
; COMPUTE_PGM_RSRC2:TIDIG_COMP_CNT: 0
	.section	.text._ZN7rocprim17ROCPRIM_400000_NS6detail17trampoline_kernelINS0_14default_configENS1_25partition_config_selectorILNS1_17partition_subalgoE9EllbEEZZNS1_14partition_implILS5_9ELb0ES3_jPlS8_PNS0_10empty_typeENS0_5tupleIJS8_S9_EEENSB_IJS8_SA_EEENS0_18inequality_wrapperIZN2at6native12_GLOBAL__N_124unique_dim_cuda_templateIhEESt5tupleIJNSF_6TensorESK_SK_EERKSK_lbbbEUlllE0_EEPmJS9_EEE10hipError_tPvRmT3_T4_T5_T6_T7_T9_mT8_P12ihipStream_tbDpT10_ENKUlT_T0_E_clISt17integral_constantIbLb1EES1A_EEDaS15_S16_EUlS15_E_NS1_11comp_targetILNS1_3genE9ELNS1_11target_archE1100ELNS1_3gpuE3ELNS1_3repE0EEENS1_30default_config_static_selectorELNS0_4arch9wavefront6targetE0EEEvT1_,"axG",@progbits,_ZN7rocprim17ROCPRIM_400000_NS6detail17trampoline_kernelINS0_14default_configENS1_25partition_config_selectorILNS1_17partition_subalgoE9EllbEEZZNS1_14partition_implILS5_9ELb0ES3_jPlS8_PNS0_10empty_typeENS0_5tupleIJS8_S9_EEENSB_IJS8_SA_EEENS0_18inequality_wrapperIZN2at6native12_GLOBAL__N_124unique_dim_cuda_templateIhEESt5tupleIJNSF_6TensorESK_SK_EERKSK_lbbbEUlllE0_EEPmJS9_EEE10hipError_tPvRmT3_T4_T5_T6_T7_T9_mT8_P12ihipStream_tbDpT10_ENKUlT_T0_E_clISt17integral_constantIbLb1EES1A_EEDaS15_S16_EUlS15_E_NS1_11comp_targetILNS1_3genE9ELNS1_11target_archE1100ELNS1_3gpuE3ELNS1_3repE0EEENS1_30default_config_static_selectorELNS0_4arch9wavefront6targetE0EEEvT1_,comdat
	.globl	_ZN7rocprim17ROCPRIM_400000_NS6detail17trampoline_kernelINS0_14default_configENS1_25partition_config_selectorILNS1_17partition_subalgoE9EllbEEZZNS1_14partition_implILS5_9ELb0ES3_jPlS8_PNS0_10empty_typeENS0_5tupleIJS8_S9_EEENSB_IJS8_SA_EEENS0_18inequality_wrapperIZN2at6native12_GLOBAL__N_124unique_dim_cuda_templateIhEESt5tupleIJNSF_6TensorESK_SK_EERKSK_lbbbEUlllE0_EEPmJS9_EEE10hipError_tPvRmT3_T4_T5_T6_T7_T9_mT8_P12ihipStream_tbDpT10_ENKUlT_T0_E_clISt17integral_constantIbLb1EES1A_EEDaS15_S16_EUlS15_E_NS1_11comp_targetILNS1_3genE9ELNS1_11target_archE1100ELNS1_3gpuE3ELNS1_3repE0EEENS1_30default_config_static_selectorELNS0_4arch9wavefront6targetE0EEEvT1_ ; -- Begin function _ZN7rocprim17ROCPRIM_400000_NS6detail17trampoline_kernelINS0_14default_configENS1_25partition_config_selectorILNS1_17partition_subalgoE9EllbEEZZNS1_14partition_implILS5_9ELb0ES3_jPlS8_PNS0_10empty_typeENS0_5tupleIJS8_S9_EEENSB_IJS8_SA_EEENS0_18inequality_wrapperIZN2at6native12_GLOBAL__N_124unique_dim_cuda_templateIhEESt5tupleIJNSF_6TensorESK_SK_EERKSK_lbbbEUlllE0_EEPmJS9_EEE10hipError_tPvRmT3_T4_T5_T6_T7_T9_mT8_P12ihipStream_tbDpT10_ENKUlT_T0_E_clISt17integral_constantIbLb1EES1A_EEDaS15_S16_EUlS15_E_NS1_11comp_targetILNS1_3genE9ELNS1_11target_archE1100ELNS1_3gpuE3ELNS1_3repE0EEENS1_30default_config_static_selectorELNS0_4arch9wavefront6targetE0EEEvT1_
	.p2align	8
	.type	_ZN7rocprim17ROCPRIM_400000_NS6detail17trampoline_kernelINS0_14default_configENS1_25partition_config_selectorILNS1_17partition_subalgoE9EllbEEZZNS1_14partition_implILS5_9ELb0ES3_jPlS8_PNS0_10empty_typeENS0_5tupleIJS8_S9_EEENSB_IJS8_SA_EEENS0_18inequality_wrapperIZN2at6native12_GLOBAL__N_124unique_dim_cuda_templateIhEESt5tupleIJNSF_6TensorESK_SK_EERKSK_lbbbEUlllE0_EEPmJS9_EEE10hipError_tPvRmT3_T4_T5_T6_T7_T9_mT8_P12ihipStream_tbDpT10_ENKUlT_T0_E_clISt17integral_constantIbLb1EES1A_EEDaS15_S16_EUlS15_E_NS1_11comp_targetILNS1_3genE9ELNS1_11target_archE1100ELNS1_3gpuE3ELNS1_3repE0EEENS1_30default_config_static_selectorELNS0_4arch9wavefront6targetE0EEEvT1_,@function
_ZN7rocprim17ROCPRIM_400000_NS6detail17trampoline_kernelINS0_14default_configENS1_25partition_config_selectorILNS1_17partition_subalgoE9EllbEEZZNS1_14partition_implILS5_9ELb0ES3_jPlS8_PNS0_10empty_typeENS0_5tupleIJS8_S9_EEENSB_IJS8_SA_EEENS0_18inequality_wrapperIZN2at6native12_GLOBAL__N_124unique_dim_cuda_templateIhEESt5tupleIJNSF_6TensorESK_SK_EERKSK_lbbbEUlllE0_EEPmJS9_EEE10hipError_tPvRmT3_T4_T5_T6_T7_T9_mT8_P12ihipStream_tbDpT10_ENKUlT_T0_E_clISt17integral_constantIbLb1EES1A_EEDaS15_S16_EUlS15_E_NS1_11comp_targetILNS1_3genE9ELNS1_11target_archE1100ELNS1_3gpuE3ELNS1_3repE0EEENS1_30default_config_static_selectorELNS0_4arch9wavefront6targetE0EEEvT1_: ; @_ZN7rocprim17ROCPRIM_400000_NS6detail17trampoline_kernelINS0_14default_configENS1_25partition_config_selectorILNS1_17partition_subalgoE9EllbEEZZNS1_14partition_implILS5_9ELb0ES3_jPlS8_PNS0_10empty_typeENS0_5tupleIJS8_S9_EEENSB_IJS8_SA_EEENS0_18inequality_wrapperIZN2at6native12_GLOBAL__N_124unique_dim_cuda_templateIhEESt5tupleIJNSF_6TensorESK_SK_EERKSK_lbbbEUlllE0_EEPmJS9_EEE10hipError_tPvRmT3_T4_T5_T6_T7_T9_mT8_P12ihipStream_tbDpT10_ENKUlT_T0_E_clISt17integral_constantIbLb1EES1A_EEDaS15_S16_EUlS15_E_NS1_11comp_targetILNS1_3genE9ELNS1_11target_archE1100ELNS1_3gpuE3ELNS1_3repE0EEENS1_30default_config_static_selectorELNS0_4arch9wavefront6targetE0EEEvT1_
; %bb.0:
	.section	.rodata,"a",@progbits
	.p2align	6, 0x0
	.amdhsa_kernel _ZN7rocprim17ROCPRIM_400000_NS6detail17trampoline_kernelINS0_14default_configENS1_25partition_config_selectorILNS1_17partition_subalgoE9EllbEEZZNS1_14partition_implILS5_9ELb0ES3_jPlS8_PNS0_10empty_typeENS0_5tupleIJS8_S9_EEENSB_IJS8_SA_EEENS0_18inequality_wrapperIZN2at6native12_GLOBAL__N_124unique_dim_cuda_templateIhEESt5tupleIJNSF_6TensorESK_SK_EERKSK_lbbbEUlllE0_EEPmJS9_EEE10hipError_tPvRmT3_T4_T5_T6_T7_T9_mT8_P12ihipStream_tbDpT10_ENKUlT_T0_E_clISt17integral_constantIbLb1EES1A_EEDaS15_S16_EUlS15_E_NS1_11comp_targetILNS1_3genE9ELNS1_11target_archE1100ELNS1_3gpuE3ELNS1_3repE0EEENS1_30default_config_static_selectorELNS0_4arch9wavefront6targetE0EEEvT1_
		.amdhsa_group_segment_fixed_size 0
		.amdhsa_private_segment_fixed_size 0
		.amdhsa_kernarg_size 136
		.amdhsa_user_sgpr_count 2
		.amdhsa_user_sgpr_dispatch_ptr 0
		.amdhsa_user_sgpr_queue_ptr 0
		.amdhsa_user_sgpr_kernarg_segment_ptr 1
		.amdhsa_user_sgpr_dispatch_id 0
		.amdhsa_user_sgpr_kernarg_preload_length 0
		.amdhsa_user_sgpr_kernarg_preload_offset 0
		.amdhsa_user_sgpr_private_segment_size 0
		.amdhsa_wavefront_size32 1
		.amdhsa_uses_dynamic_stack 0
		.amdhsa_enable_private_segment 0
		.amdhsa_system_sgpr_workgroup_id_x 1
		.amdhsa_system_sgpr_workgroup_id_y 0
		.amdhsa_system_sgpr_workgroup_id_z 0
		.amdhsa_system_sgpr_workgroup_info 0
		.amdhsa_system_vgpr_workitem_id 0
		.amdhsa_next_free_vgpr 1
		.amdhsa_next_free_sgpr 1
		.amdhsa_named_barrier_count 0
		.amdhsa_reserve_vcc 0
		.amdhsa_float_round_mode_32 0
		.amdhsa_float_round_mode_16_64 0
		.amdhsa_float_denorm_mode_32 3
		.amdhsa_float_denorm_mode_16_64 3
		.amdhsa_fp16_overflow 0
		.amdhsa_memory_ordered 1
		.amdhsa_forward_progress 1
		.amdhsa_inst_pref_size 0
		.amdhsa_round_robin_scheduling 0
		.amdhsa_exception_fp_ieee_invalid_op 0
		.amdhsa_exception_fp_denorm_src 0
		.amdhsa_exception_fp_ieee_div_zero 0
		.amdhsa_exception_fp_ieee_overflow 0
		.amdhsa_exception_fp_ieee_underflow 0
		.amdhsa_exception_fp_ieee_inexact 0
		.amdhsa_exception_int_div_zero 0
	.end_amdhsa_kernel
	.section	.text._ZN7rocprim17ROCPRIM_400000_NS6detail17trampoline_kernelINS0_14default_configENS1_25partition_config_selectorILNS1_17partition_subalgoE9EllbEEZZNS1_14partition_implILS5_9ELb0ES3_jPlS8_PNS0_10empty_typeENS0_5tupleIJS8_S9_EEENSB_IJS8_SA_EEENS0_18inequality_wrapperIZN2at6native12_GLOBAL__N_124unique_dim_cuda_templateIhEESt5tupleIJNSF_6TensorESK_SK_EERKSK_lbbbEUlllE0_EEPmJS9_EEE10hipError_tPvRmT3_T4_T5_T6_T7_T9_mT8_P12ihipStream_tbDpT10_ENKUlT_T0_E_clISt17integral_constantIbLb1EES1A_EEDaS15_S16_EUlS15_E_NS1_11comp_targetILNS1_3genE9ELNS1_11target_archE1100ELNS1_3gpuE3ELNS1_3repE0EEENS1_30default_config_static_selectorELNS0_4arch9wavefront6targetE0EEEvT1_,"axG",@progbits,_ZN7rocprim17ROCPRIM_400000_NS6detail17trampoline_kernelINS0_14default_configENS1_25partition_config_selectorILNS1_17partition_subalgoE9EllbEEZZNS1_14partition_implILS5_9ELb0ES3_jPlS8_PNS0_10empty_typeENS0_5tupleIJS8_S9_EEENSB_IJS8_SA_EEENS0_18inequality_wrapperIZN2at6native12_GLOBAL__N_124unique_dim_cuda_templateIhEESt5tupleIJNSF_6TensorESK_SK_EERKSK_lbbbEUlllE0_EEPmJS9_EEE10hipError_tPvRmT3_T4_T5_T6_T7_T9_mT8_P12ihipStream_tbDpT10_ENKUlT_T0_E_clISt17integral_constantIbLb1EES1A_EEDaS15_S16_EUlS15_E_NS1_11comp_targetILNS1_3genE9ELNS1_11target_archE1100ELNS1_3gpuE3ELNS1_3repE0EEENS1_30default_config_static_selectorELNS0_4arch9wavefront6targetE0EEEvT1_,comdat
.Lfunc_end218:
	.size	_ZN7rocprim17ROCPRIM_400000_NS6detail17trampoline_kernelINS0_14default_configENS1_25partition_config_selectorILNS1_17partition_subalgoE9EllbEEZZNS1_14partition_implILS5_9ELb0ES3_jPlS8_PNS0_10empty_typeENS0_5tupleIJS8_S9_EEENSB_IJS8_SA_EEENS0_18inequality_wrapperIZN2at6native12_GLOBAL__N_124unique_dim_cuda_templateIhEESt5tupleIJNSF_6TensorESK_SK_EERKSK_lbbbEUlllE0_EEPmJS9_EEE10hipError_tPvRmT3_T4_T5_T6_T7_T9_mT8_P12ihipStream_tbDpT10_ENKUlT_T0_E_clISt17integral_constantIbLb1EES1A_EEDaS15_S16_EUlS15_E_NS1_11comp_targetILNS1_3genE9ELNS1_11target_archE1100ELNS1_3gpuE3ELNS1_3repE0EEENS1_30default_config_static_selectorELNS0_4arch9wavefront6targetE0EEEvT1_, .Lfunc_end218-_ZN7rocprim17ROCPRIM_400000_NS6detail17trampoline_kernelINS0_14default_configENS1_25partition_config_selectorILNS1_17partition_subalgoE9EllbEEZZNS1_14partition_implILS5_9ELb0ES3_jPlS8_PNS0_10empty_typeENS0_5tupleIJS8_S9_EEENSB_IJS8_SA_EEENS0_18inequality_wrapperIZN2at6native12_GLOBAL__N_124unique_dim_cuda_templateIhEESt5tupleIJNSF_6TensorESK_SK_EERKSK_lbbbEUlllE0_EEPmJS9_EEE10hipError_tPvRmT3_T4_T5_T6_T7_T9_mT8_P12ihipStream_tbDpT10_ENKUlT_T0_E_clISt17integral_constantIbLb1EES1A_EEDaS15_S16_EUlS15_E_NS1_11comp_targetILNS1_3genE9ELNS1_11target_archE1100ELNS1_3gpuE3ELNS1_3repE0EEENS1_30default_config_static_selectorELNS0_4arch9wavefront6targetE0EEEvT1_
                                        ; -- End function
	.set _ZN7rocprim17ROCPRIM_400000_NS6detail17trampoline_kernelINS0_14default_configENS1_25partition_config_selectorILNS1_17partition_subalgoE9EllbEEZZNS1_14partition_implILS5_9ELb0ES3_jPlS8_PNS0_10empty_typeENS0_5tupleIJS8_S9_EEENSB_IJS8_SA_EEENS0_18inequality_wrapperIZN2at6native12_GLOBAL__N_124unique_dim_cuda_templateIhEESt5tupleIJNSF_6TensorESK_SK_EERKSK_lbbbEUlllE0_EEPmJS9_EEE10hipError_tPvRmT3_T4_T5_T6_T7_T9_mT8_P12ihipStream_tbDpT10_ENKUlT_T0_E_clISt17integral_constantIbLb1EES1A_EEDaS15_S16_EUlS15_E_NS1_11comp_targetILNS1_3genE9ELNS1_11target_archE1100ELNS1_3gpuE3ELNS1_3repE0EEENS1_30default_config_static_selectorELNS0_4arch9wavefront6targetE0EEEvT1_.num_vgpr, 0
	.set _ZN7rocprim17ROCPRIM_400000_NS6detail17trampoline_kernelINS0_14default_configENS1_25partition_config_selectorILNS1_17partition_subalgoE9EllbEEZZNS1_14partition_implILS5_9ELb0ES3_jPlS8_PNS0_10empty_typeENS0_5tupleIJS8_S9_EEENSB_IJS8_SA_EEENS0_18inequality_wrapperIZN2at6native12_GLOBAL__N_124unique_dim_cuda_templateIhEESt5tupleIJNSF_6TensorESK_SK_EERKSK_lbbbEUlllE0_EEPmJS9_EEE10hipError_tPvRmT3_T4_T5_T6_T7_T9_mT8_P12ihipStream_tbDpT10_ENKUlT_T0_E_clISt17integral_constantIbLb1EES1A_EEDaS15_S16_EUlS15_E_NS1_11comp_targetILNS1_3genE9ELNS1_11target_archE1100ELNS1_3gpuE3ELNS1_3repE0EEENS1_30default_config_static_selectorELNS0_4arch9wavefront6targetE0EEEvT1_.num_agpr, 0
	.set _ZN7rocprim17ROCPRIM_400000_NS6detail17trampoline_kernelINS0_14default_configENS1_25partition_config_selectorILNS1_17partition_subalgoE9EllbEEZZNS1_14partition_implILS5_9ELb0ES3_jPlS8_PNS0_10empty_typeENS0_5tupleIJS8_S9_EEENSB_IJS8_SA_EEENS0_18inequality_wrapperIZN2at6native12_GLOBAL__N_124unique_dim_cuda_templateIhEESt5tupleIJNSF_6TensorESK_SK_EERKSK_lbbbEUlllE0_EEPmJS9_EEE10hipError_tPvRmT3_T4_T5_T6_T7_T9_mT8_P12ihipStream_tbDpT10_ENKUlT_T0_E_clISt17integral_constantIbLb1EES1A_EEDaS15_S16_EUlS15_E_NS1_11comp_targetILNS1_3genE9ELNS1_11target_archE1100ELNS1_3gpuE3ELNS1_3repE0EEENS1_30default_config_static_selectorELNS0_4arch9wavefront6targetE0EEEvT1_.numbered_sgpr, 0
	.set _ZN7rocprim17ROCPRIM_400000_NS6detail17trampoline_kernelINS0_14default_configENS1_25partition_config_selectorILNS1_17partition_subalgoE9EllbEEZZNS1_14partition_implILS5_9ELb0ES3_jPlS8_PNS0_10empty_typeENS0_5tupleIJS8_S9_EEENSB_IJS8_SA_EEENS0_18inequality_wrapperIZN2at6native12_GLOBAL__N_124unique_dim_cuda_templateIhEESt5tupleIJNSF_6TensorESK_SK_EERKSK_lbbbEUlllE0_EEPmJS9_EEE10hipError_tPvRmT3_T4_T5_T6_T7_T9_mT8_P12ihipStream_tbDpT10_ENKUlT_T0_E_clISt17integral_constantIbLb1EES1A_EEDaS15_S16_EUlS15_E_NS1_11comp_targetILNS1_3genE9ELNS1_11target_archE1100ELNS1_3gpuE3ELNS1_3repE0EEENS1_30default_config_static_selectorELNS0_4arch9wavefront6targetE0EEEvT1_.num_named_barrier, 0
	.set _ZN7rocprim17ROCPRIM_400000_NS6detail17trampoline_kernelINS0_14default_configENS1_25partition_config_selectorILNS1_17partition_subalgoE9EllbEEZZNS1_14partition_implILS5_9ELb0ES3_jPlS8_PNS0_10empty_typeENS0_5tupleIJS8_S9_EEENSB_IJS8_SA_EEENS0_18inequality_wrapperIZN2at6native12_GLOBAL__N_124unique_dim_cuda_templateIhEESt5tupleIJNSF_6TensorESK_SK_EERKSK_lbbbEUlllE0_EEPmJS9_EEE10hipError_tPvRmT3_T4_T5_T6_T7_T9_mT8_P12ihipStream_tbDpT10_ENKUlT_T0_E_clISt17integral_constantIbLb1EES1A_EEDaS15_S16_EUlS15_E_NS1_11comp_targetILNS1_3genE9ELNS1_11target_archE1100ELNS1_3gpuE3ELNS1_3repE0EEENS1_30default_config_static_selectorELNS0_4arch9wavefront6targetE0EEEvT1_.private_seg_size, 0
	.set _ZN7rocprim17ROCPRIM_400000_NS6detail17trampoline_kernelINS0_14default_configENS1_25partition_config_selectorILNS1_17partition_subalgoE9EllbEEZZNS1_14partition_implILS5_9ELb0ES3_jPlS8_PNS0_10empty_typeENS0_5tupleIJS8_S9_EEENSB_IJS8_SA_EEENS0_18inequality_wrapperIZN2at6native12_GLOBAL__N_124unique_dim_cuda_templateIhEESt5tupleIJNSF_6TensorESK_SK_EERKSK_lbbbEUlllE0_EEPmJS9_EEE10hipError_tPvRmT3_T4_T5_T6_T7_T9_mT8_P12ihipStream_tbDpT10_ENKUlT_T0_E_clISt17integral_constantIbLb1EES1A_EEDaS15_S16_EUlS15_E_NS1_11comp_targetILNS1_3genE9ELNS1_11target_archE1100ELNS1_3gpuE3ELNS1_3repE0EEENS1_30default_config_static_selectorELNS0_4arch9wavefront6targetE0EEEvT1_.uses_vcc, 0
	.set _ZN7rocprim17ROCPRIM_400000_NS6detail17trampoline_kernelINS0_14default_configENS1_25partition_config_selectorILNS1_17partition_subalgoE9EllbEEZZNS1_14partition_implILS5_9ELb0ES3_jPlS8_PNS0_10empty_typeENS0_5tupleIJS8_S9_EEENSB_IJS8_SA_EEENS0_18inequality_wrapperIZN2at6native12_GLOBAL__N_124unique_dim_cuda_templateIhEESt5tupleIJNSF_6TensorESK_SK_EERKSK_lbbbEUlllE0_EEPmJS9_EEE10hipError_tPvRmT3_T4_T5_T6_T7_T9_mT8_P12ihipStream_tbDpT10_ENKUlT_T0_E_clISt17integral_constantIbLb1EES1A_EEDaS15_S16_EUlS15_E_NS1_11comp_targetILNS1_3genE9ELNS1_11target_archE1100ELNS1_3gpuE3ELNS1_3repE0EEENS1_30default_config_static_selectorELNS0_4arch9wavefront6targetE0EEEvT1_.uses_flat_scratch, 0
	.set _ZN7rocprim17ROCPRIM_400000_NS6detail17trampoline_kernelINS0_14default_configENS1_25partition_config_selectorILNS1_17partition_subalgoE9EllbEEZZNS1_14partition_implILS5_9ELb0ES3_jPlS8_PNS0_10empty_typeENS0_5tupleIJS8_S9_EEENSB_IJS8_SA_EEENS0_18inequality_wrapperIZN2at6native12_GLOBAL__N_124unique_dim_cuda_templateIhEESt5tupleIJNSF_6TensorESK_SK_EERKSK_lbbbEUlllE0_EEPmJS9_EEE10hipError_tPvRmT3_T4_T5_T6_T7_T9_mT8_P12ihipStream_tbDpT10_ENKUlT_T0_E_clISt17integral_constantIbLb1EES1A_EEDaS15_S16_EUlS15_E_NS1_11comp_targetILNS1_3genE9ELNS1_11target_archE1100ELNS1_3gpuE3ELNS1_3repE0EEENS1_30default_config_static_selectorELNS0_4arch9wavefront6targetE0EEEvT1_.has_dyn_sized_stack, 0
	.set _ZN7rocprim17ROCPRIM_400000_NS6detail17trampoline_kernelINS0_14default_configENS1_25partition_config_selectorILNS1_17partition_subalgoE9EllbEEZZNS1_14partition_implILS5_9ELb0ES3_jPlS8_PNS0_10empty_typeENS0_5tupleIJS8_S9_EEENSB_IJS8_SA_EEENS0_18inequality_wrapperIZN2at6native12_GLOBAL__N_124unique_dim_cuda_templateIhEESt5tupleIJNSF_6TensorESK_SK_EERKSK_lbbbEUlllE0_EEPmJS9_EEE10hipError_tPvRmT3_T4_T5_T6_T7_T9_mT8_P12ihipStream_tbDpT10_ENKUlT_T0_E_clISt17integral_constantIbLb1EES1A_EEDaS15_S16_EUlS15_E_NS1_11comp_targetILNS1_3genE9ELNS1_11target_archE1100ELNS1_3gpuE3ELNS1_3repE0EEENS1_30default_config_static_selectorELNS0_4arch9wavefront6targetE0EEEvT1_.has_recursion, 0
	.set _ZN7rocprim17ROCPRIM_400000_NS6detail17trampoline_kernelINS0_14default_configENS1_25partition_config_selectorILNS1_17partition_subalgoE9EllbEEZZNS1_14partition_implILS5_9ELb0ES3_jPlS8_PNS0_10empty_typeENS0_5tupleIJS8_S9_EEENSB_IJS8_SA_EEENS0_18inequality_wrapperIZN2at6native12_GLOBAL__N_124unique_dim_cuda_templateIhEESt5tupleIJNSF_6TensorESK_SK_EERKSK_lbbbEUlllE0_EEPmJS9_EEE10hipError_tPvRmT3_T4_T5_T6_T7_T9_mT8_P12ihipStream_tbDpT10_ENKUlT_T0_E_clISt17integral_constantIbLb1EES1A_EEDaS15_S16_EUlS15_E_NS1_11comp_targetILNS1_3genE9ELNS1_11target_archE1100ELNS1_3gpuE3ELNS1_3repE0EEENS1_30default_config_static_selectorELNS0_4arch9wavefront6targetE0EEEvT1_.has_indirect_call, 0
	.section	.AMDGPU.csdata,"",@progbits
; Kernel info:
; codeLenInByte = 0
; TotalNumSgprs: 0
; NumVgprs: 0
; ScratchSize: 0
; MemoryBound: 0
; FloatMode: 240
; IeeeMode: 1
; LDSByteSize: 0 bytes/workgroup (compile time only)
; SGPRBlocks: 0
; VGPRBlocks: 0
; NumSGPRsForWavesPerEU: 1
; NumVGPRsForWavesPerEU: 1
; NamedBarCnt: 0
; Occupancy: 16
; WaveLimiterHint : 0
; COMPUTE_PGM_RSRC2:SCRATCH_EN: 0
; COMPUTE_PGM_RSRC2:USER_SGPR: 2
; COMPUTE_PGM_RSRC2:TRAP_HANDLER: 0
; COMPUTE_PGM_RSRC2:TGID_X_EN: 1
; COMPUTE_PGM_RSRC2:TGID_Y_EN: 0
; COMPUTE_PGM_RSRC2:TGID_Z_EN: 0
; COMPUTE_PGM_RSRC2:TIDIG_COMP_CNT: 0
	.section	.text._ZN7rocprim17ROCPRIM_400000_NS6detail17trampoline_kernelINS0_14default_configENS1_25partition_config_selectorILNS1_17partition_subalgoE9EllbEEZZNS1_14partition_implILS5_9ELb0ES3_jPlS8_PNS0_10empty_typeENS0_5tupleIJS8_S9_EEENSB_IJS8_SA_EEENS0_18inequality_wrapperIZN2at6native12_GLOBAL__N_124unique_dim_cuda_templateIhEESt5tupleIJNSF_6TensorESK_SK_EERKSK_lbbbEUlllE0_EEPmJS9_EEE10hipError_tPvRmT3_T4_T5_T6_T7_T9_mT8_P12ihipStream_tbDpT10_ENKUlT_T0_E_clISt17integral_constantIbLb1EES1A_EEDaS15_S16_EUlS15_E_NS1_11comp_targetILNS1_3genE8ELNS1_11target_archE1030ELNS1_3gpuE2ELNS1_3repE0EEENS1_30default_config_static_selectorELNS0_4arch9wavefront6targetE0EEEvT1_,"axG",@progbits,_ZN7rocprim17ROCPRIM_400000_NS6detail17trampoline_kernelINS0_14default_configENS1_25partition_config_selectorILNS1_17partition_subalgoE9EllbEEZZNS1_14partition_implILS5_9ELb0ES3_jPlS8_PNS0_10empty_typeENS0_5tupleIJS8_S9_EEENSB_IJS8_SA_EEENS0_18inequality_wrapperIZN2at6native12_GLOBAL__N_124unique_dim_cuda_templateIhEESt5tupleIJNSF_6TensorESK_SK_EERKSK_lbbbEUlllE0_EEPmJS9_EEE10hipError_tPvRmT3_T4_T5_T6_T7_T9_mT8_P12ihipStream_tbDpT10_ENKUlT_T0_E_clISt17integral_constantIbLb1EES1A_EEDaS15_S16_EUlS15_E_NS1_11comp_targetILNS1_3genE8ELNS1_11target_archE1030ELNS1_3gpuE2ELNS1_3repE0EEENS1_30default_config_static_selectorELNS0_4arch9wavefront6targetE0EEEvT1_,comdat
	.globl	_ZN7rocprim17ROCPRIM_400000_NS6detail17trampoline_kernelINS0_14default_configENS1_25partition_config_selectorILNS1_17partition_subalgoE9EllbEEZZNS1_14partition_implILS5_9ELb0ES3_jPlS8_PNS0_10empty_typeENS0_5tupleIJS8_S9_EEENSB_IJS8_SA_EEENS0_18inequality_wrapperIZN2at6native12_GLOBAL__N_124unique_dim_cuda_templateIhEESt5tupleIJNSF_6TensorESK_SK_EERKSK_lbbbEUlllE0_EEPmJS9_EEE10hipError_tPvRmT3_T4_T5_T6_T7_T9_mT8_P12ihipStream_tbDpT10_ENKUlT_T0_E_clISt17integral_constantIbLb1EES1A_EEDaS15_S16_EUlS15_E_NS1_11comp_targetILNS1_3genE8ELNS1_11target_archE1030ELNS1_3gpuE2ELNS1_3repE0EEENS1_30default_config_static_selectorELNS0_4arch9wavefront6targetE0EEEvT1_ ; -- Begin function _ZN7rocprim17ROCPRIM_400000_NS6detail17trampoline_kernelINS0_14default_configENS1_25partition_config_selectorILNS1_17partition_subalgoE9EllbEEZZNS1_14partition_implILS5_9ELb0ES3_jPlS8_PNS0_10empty_typeENS0_5tupleIJS8_S9_EEENSB_IJS8_SA_EEENS0_18inequality_wrapperIZN2at6native12_GLOBAL__N_124unique_dim_cuda_templateIhEESt5tupleIJNSF_6TensorESK_SK_EERKSK_lbbbEUlllE0_EEPmJS9_EEE10hipError_tPvRmT3_T4_T5_T6_T7_T9_mT8_P12ihipStream_tbDpT10_ENKUlT_T0_E_clISt17integral_constantIbLb1EES1A_EEDaS15_S16_EUlS15_E_NS1_11comp_targetILNS1_3genE8ELNS1_11target_archE1030ELNS1_3gpuE2ELNS1_3repE0EEENS1_30default_config_static_selectorELNS0_4arch9wavefront6targetE0EEEvT1_
	.p2align	8
	.type	_ZN7rocprim17ROCPRIM_400000_NS6detail17trampoline_kernelINS0_14default_configENS1_25partition_config_selectorILNS1_17partition_subalgoE9EllbEEZZNS1_14partition_implILS5_9ELb0ES3_jPlS8_PNS0_10empty_typeENS0_5tupleIJS8_S9_EEENSB_IJS8_SA_EEENS0_18inequality_wrapperIZN2at6native12_GLOBAL__N_124unique_dim_cuda_templateIhEESt5tupleIJNSF_6TensorESK_SK_EERKSK_lbbbEUlllE0_EEPmJS9_EEE10hipError_tPvRmT3_T4_T5_T6_T7_T9_mT8_P12ihipStream_tbDpT10_ENKUlT_T0_E_clISt17integral_constantIbLb1EES1A_EEDaS15_S16_EUlS15_E_NS1_11comp_targetILNS1_3genE8ELNS1_11target_archE1030ELNS1_3gpuE2ELNS1_3repE0EEENS1_30default_config_static_selectorELNS0_4arch9wavefront6targetE0EEEvT1_,@function
_ZN7rocprim17ROCPRIM_400000_NS6detail17trampoline_kernelINS0_14default_configENS1_25partition_config_selectorILNS1_17partition_subalgoE9EllbEEZZNS1_14partition_implILS5_9ELb0ES3_jPlS8_PNS0_10empty_typeENS0_5tupleIJS8_S9_EEENSB_IJS8_SA_EEENS0_18inequality_wrapperIZN2at6native12_GLOBAL__N_124unique_dim_cuda_templateIhEESt5tupleIJNSF_6TensorESK_SK_EERKSK_lbbbEUlllE0_EEPmJS9_EEE10hipError_tPvRmT3_T4_T5_T6_T7_T9_mT8_P12ihipStream_tbDpT10_ENKUlT_T0_E_clISt17integral_constantIbLb1EES1A_EEDaS15_S16_EUlS15_E_NS1_11comp_targetILNS1_3genE8ELNS1_11target_archE1030ELNS1_3gpuE2ELNS1_3repE0EEENS1_30default_config_static_selectorELNS0_4arch9wavefront6targetE0EEEvT1_: ; @_ZN7rocprim17ROCPRIM_400000_NS6detail17trampoline_kernelINS0_14default_configENS1_25partition_config_selectorILNS1_17partition_subalgoE9EllbEEZZNS1_14partition_implILS5_9ELb0ES3_jPlS8_PNS0_10empty_typeENS0_5tupleIJS8_S9_EEENSB_IJS8_SA_EEENS0_18inequality_wrapperIZN2at6native12_GLOBAL__N_124unique_dim_cuda_templateIhEESt5tupleIJNSF_6TensorESK_SK_EERKSK_lbbbEUlllE0_EEPmJS9_EEE10hipError_tPvRmT3_T4_T5_T6_T7_T9_mT8_P12ihipStream_tbDpT10_ENKUlT_T0_E_clISt17integral_constantIbLb1EES1A_EEDaS15_S16_EUlS15_E_NS1_11comp_targetILNS1_3genE8ELNS1_11target_archE1030ELNS1_3gpuE2ELNS1_3repE0EEENS1_30default_config_static_selectorELNS0_4arch9wavefront6targetE0EEEvT1_
; %bb.0:
	.section	.rodata,"a",@progbits
	.p2align	6, 0x0
	.amdhsa_kernel _ZN7rocprim17ROCPRIM_400000_NS6detail17trampoline_kernelINS0_14default_configENS1_25partition_config_selectorILNS1_17partition_subalgoE9EllbEEZZNS1_14partition_implILS5_9ELb0ES3_jPlS8_PNS0_10empty_typeENS0_5tupleIJS8_S9_EEENSB_IJS8_SA_EEENS0_18inequality_wrapperIZN2at6native12_GLOBAL__N_124unique_dim_cuda_templateIhEESt5tupleIJNSF_6TensorESK_SK_EERKSK_lbbbEUlllE0_EEPmJS9_EEE10hipError_tPvRmT3_T4_T5_T6_T7_T9_mT8_P12ihipStream_tbDpT10_ENKUlT_T0_E_clISt17integral_constantIbLb1EES1A_EEDaS15_S16_EUlS15_E_NS1_11comp_targetILNS1_3genE8ELNS1_11target_archE1030ELNS1_3gpuE2ELNS1_3repE0EEENS1_30default_config_static_selectorELNS0_4arch9wavefront6targetE0EEEvT1_
		.amdhsa_group_segment_fixed_size 0
		.amdhsa_private_segment_fixed_size 0
		.amdhsa_kernarg_size 136
		.amdhsa_user_sgpr_count 2
		.amdhsa_user_sgpr_dispatch_ptr 0
		.amdhsa_user_sgpr_queue_ptr 0
		.amdhsa_user_sgpr_kernarg_segment_ptr 1
		.amdhsa_user_sgpr_dispatch_id 0
		.amdhsa_user_sgpr_kernarg_preload_length 0
		.amdhsa_user_sgpr_kernarg_preload_offset 0
		.amdhsa_user_sgpr_private_segment_size 0
		.amdhsa_wavefront_size32 1
		.amdhsa_uses_dynamic_stack 0
		.amdhsa_enable_private_segment 0
		.amdhsa_system_sgpr_workgroup_id_x 1
		.amdhsa_system_sgpr_workgroup_id_y 0
		.amdhsa_system_sgpr_workgroup_id_z 0
		.amdhsa_system_sgpr_workgroup_info 0
		.amdhsa_system_vgpr_workitem_id 0
		.amdhsa_next_free_vgpr 1
		.amdhsa_next_free_sgpr 1
		.amdhsa_named_barrier_count 0
		.amdhsa_reserve_vcc 0
		.amdhsa_float_round_mode_32 0
		.amdhsa_float_round_mode_16_64 0
		.amdhsa_float_denorm_mode_32 3
		.amdhsa_float_denorm_mode_16_64 3
		.amdhsa_fp16_overflow 0
		.amdhsa_memory_ordered 1
		.amdhsa_forward_progress 1
		.amdhsa_inst_pref_size 0
		.amdhsa_round_robin_scheduling 0
		.amdhsa_exception_fp_ieee_invalid_op 0
		.amdhsa_exception_fp_denorm_src 0
		.amdhsa_exception_fp_ieee_div_zero 0
		.amdhsa_exception_fp_ieee_overflow 0
		.amdhsa_exception_fp_ieee_underflow 0
		.amdhsa_exception_fp_ieee_inexact 0
		.amdhsa_exception_int_div_zero 0
	.end_amdhsa_kernel
	.section	.text._ZN7rocprim17ROCPRIM_400000_NS6detail17trampoline_kernelINS0_14default_configENS1_25partition_config_selectorILNS1_17partition_subalgoE9EllbEEZZNS1_14partition_implILS5_9ELb0ES3_jPlS8_PNS0_10empty_typeENS0_5tupleIJS8_S9_EEENSB_IJS8_SA_EEENS0_18inequality_wrapperIZN2at6native12_GLOBAL__N_124unique_dim_cuda_templateIhEESt5tupleIJNSF_6TensorESK_SK_EERKSK_lbbbEUlllE0_EEPmJS9_EEE10hipError_tPvRmT3_T4_T5_T6_T7_T9_mT8_P12ihipStream_tbDpT10_ENKUlT_T0_E_clISt17integral_constantIbLb1EES1A_EEDaS15_S16_EUlS15_E_NS1_11comp_targetILNS1_3genE8ELNS1_11target_archE1030ELNS1_3gpuE2ELNS1_3repE0EEENS1_30default_config_static_selectorELNS0_4arch9wavefront6targetE0EEEvT1_,"axG",@progbits,_ZN7rocprim17ROCPRIM_400000_NS6detail17trampoline_kernelINS0_14default_configENS1_25partition_config_selectorILNS1_17partition_subalgoE9EllbEEZZNS1_14partition_implILS5_9ELb0ES3_jPlS8_PNS0_10empty_typeENS0_5tupleIJS8_S9_EEENSB_IJS8_SA_EEENS0_18inequality_wrapperIZN2at6native12_GLOBAL__N_124unique_dim_cuda_templateIhEESt5tupleIJNSF_6TensorESK_SK_EERKSK_lbbbEUlllE0_EEPmJS9_EEE10hipError_tPvRmT3_T4_T5_T6_T7_T9_mT8_P12ihipStream_tbDpT10_ENKUlT_T0_E_clISt17integral_constantIbLb1EES1A_EEDaS15_S16_EUlS15_E_NS1_11comp_targetILNS1_3genE8ELNS1_11target_archE1030ELNS1_3gpuE2ELNS1_3repE0EEENS1_30default_config_static_selectorELNS0_4arch9wavefront6targetE0EEEvT1_,comdat
.Lfunc_end219:
	.size	_ZN7rocprim17ROCPRIM_400000_NS6detail17trampoline_kernelINS0_14default_configENS1_25partition_config_selectorILNS1_17partition_subalgoE9EllbEEZZNS1_14partition_implILS5_9ELb0ES3_jPlS8_PNS0_10empty_typeENS0_5tupleIJS8_S9_EEENSB_IJS8_SA_EEENS0_18inequality_wrapperIZN2at6native12_GLOBAL__N_124unique_dim_cuda_templateIhEESt5tupleIJNSF_6TensorESK_SK_EERKSK_lbbbEUlllE0_EEPmJS9_EEE10hipError_tPvRmT3_T4_T5_T6_T7_T9_mT8_P12ihipStream_tbDpT10_ENKUlT_T0_E_clISt17integral_constantIbLb1EES1A_EEDaS15_S16_EUlS15_E_NS1_11comp_targetILNS1_3genE8ELNS1_11target_archE1030ELNS1_3gpuE2ELNS1_3repE0EEENS1_30default_config_static_selectorELNS0_4arch9wavefront6targetE0EEEvT1_, .Lfunc_end219-_ZN7rocprim17ROCPRIM_400000_NS6detail17trampoline_kernelINS0_14default_configENS1_25partition_config_selectorILNS1_17partition_subalgoE9EllbEEZZNS1_14partition_implILS5_9ELb0ES3_jPlS8_PNS0_10empty_typeENS0_5tupleIJS8_S9_EEENSB_IJS8_SA_EEENS0_18inequality_wrapperIZN2at6native12_GLOBAL__N_124unique_dim_cuda_templateIhEESt5tupleIJNSF_6TensorESK_SK_EERKSK_lbbbEUlllE0_EEPmJS9_EEE10hipError_tPvRmT3_T4_T5_T6_T7_T9_mT8_P12ihipStream_tbDpT10_ENKUlT_T0_E_clISt17integral_constantIbLb1EES1A_EEDaS15_S16_EUlS15_E_NS1_11comp_targetILNS1_3genE8ELNS1_11target_archE1030ELNS1_3gpuE2ELNS1_3repE0EEENS1_30default_config_static_selectorELNS0_4arch9wavefront6targetE0EEEvT1_
                                        ; -- End function
	.set _ZN7rocprim17ROCPRIM_400000_NS6detail17trampoline_kernelINS0_14default_configENS1_25partition_config_selectorILNS1_17partition_subalgoE9EllbEEZZNS1_14partition_implILS5_9ELb0ES3_jPlS8_PNS0_10empty_typeENS0_5tupleIJS8_S9_EEENSB_IJS8_SA_EEENS0_18inequality_wrapperIZN2at6native12_GLOBAL__N_124unique_dim_cuda_templateIhEESt5tupleIJNSF_6TensorESK_SK_EERKSK_lbbbEUlllE0_EEPmJS9_EEE10hipError_tPvRmT3_T4_T5_T6_T7_T9_mT8_P12ihipStream_tbDpT10_ENKUlT_T0_E_clISt17integral_constantIbLb1EES1A_EEDaS15_S16_EUlS15_E_NS1_11comp_targetILNS1_3genE8ELNS1_11target_archE1030ELNS1_3gpuE2ELNS1_3repE0EEENS1_30default_config_static_selectorELNS0_4arch9wavefront6targetE0EEEvT1_.num_vgpr, 0
	.set _ZN7rocprim17ROCPRIM_400000_NS6detail17trampoline_kernelINS0_14default_configENS1_25partition_config_selectorILNS1_17partition_subalgoE9EllbEEZZNS1_14partition_implILS5_9ELb0ES3_jPlS8_PNS0_10empty_typeENS0_5tupleIJS8_S9_EEENSB_IJS8_SA_EEENS0_18inequality_wrapperIZN2at6native12_GLOBAL__N_124unique_dim_cuda_templateIhEESt5tupleIJNSF_6TensorESK_SK_EERKSK_lbbbEUlllE0_EEPmJS9_EEE10hipError_tPvRmT3_T4_T5_T6_T7_T9_mT8_P12ihipStream_tbDpT10_ENKUlT_T0_E_clISt17integral_constantIbLb1EES1A_EEDaS15_S16_EUlS15_E_NS1_11comp_targetILNS1_3genE8ELNS1_11target_archE1030ELNS1_3gpuE2ELNS1_3repE0EEENS1_30default_config_static_selectorELNS0_4arch9wavefront6targetE0EEEvT1_.num_agpr, 0
	.set _ZN7rocprim17ROCPRIM_400000_NS6detail17trampoline_kernelINS0_14default_configENS1_25partition_config_selectorILNS1_17partition_subalgoE9EllbEEZZNS1_14partition_implILS5_9ELb0ES3_jPlS8_PNS0_10empty_typeENS0_5tupleIJS8_S9_EEENSB_IJS8_SA_EEENS0_18inequality_wrapperIZN2at6native12_GLOBAL__N_124unique_dim_cuda_templateIhEESt5tupleIJNSF_6TensorESK_SK_EERKSK_lbbbEUlllE0_EEPmJS9_EEE10hipError_tPvRmT3_T4_T5_T6_T7_T9_mT8_P12ihipStream_tbDpT10_ENKUlT_T0_E_clISt17integral_constantIbLb1EES1A_EEDaS15_S16_EUlS15_E_NS1_11comp_targetILNS1_3genE8ELNS1_11target_archE1030ELNS1_3gpuE2ELNS1_3repE0EEENS1_30default_config_static_selectorELNS0_4arch9wavefront6targetE0EEEvT1_.numbered_sgpr, 0
	.set _ZN7rocprim17ROCPRIM_400000_NS6detail17trampoline_kernelINS0_14default_configENS1_25partition_config_selectorILNS1_17partition_subalgoE9EllbEEZZNS1_14partition_implILS5_9ELb0ES3_jPlS8_PNS0_10empty_typeENS0_5tupleIJS8_S9_EEENSB_IJS8_SA_EEENS0_18inequality_wrapperIZN2at6native12_GLOBAL__N_124unique_dim_cuda_templateIhEESt5tupleIJNSF_6TensorESK_SK_EERKSK_lbbbEUlllE0_EEPmJS9_EEE10hipError_tPvRmT3_T4_T5_T6_T7_T9_mT8_P12ihipStream_tbDpT10_ENKUlT_T0_E_clISt17integral_constantIbLb1EES1A_EEDaS15_S16_EUlS15_E_NS1_11comp_targetILNS1_3genE8ELNS1_11target_archE1030ELNS1_3gpuE2ELNS1_3repE0EEENS1_30default_config_static_selectorELNS0_4arch9wavefront6targetE0EEEvT1_.num_named_barrier, 0
	.set _ZN7rocprim17ROCPRIM_400000_NS6detail17trampoline_kernelINS0_14default_configENS1_25partition_config_selectorILNS1_17partition_subalgoE9EllbEEZZNS1_14partition_implILS5_9ELb0ES3_jPlS8_PNS0_10empty_typeENS0_5tupleIJS8_S9_EEENSB_IJS8_SA_EEENS0_18inequality_wrapperIZN2at6native12_GLOBAL__N_124unique_dim_cuda_templateIhEESt5tupleIJNSF_6TensorESK_SK_EERKSK_lbbbEUlllE0_EEPmJS9_EEE10hipError_tPvRmT3_T4_T5_T6_T7_T9_mT8_P12ihipStream_tbDpT10_ENKUlT_T0_E_clISt17integral_constantIbLb1EES1A_EEDaS15_S16_EUlS15_E_NS1_11comp_targetILNS1_3genE8ELNS1_11target_archE1030ELNS1_3gpuE2ELNS1_3repE0EEENS1_30default_config_static_selectorELNS0_4arch9wavefront6targetE0EEEvT1_.private_seg_size, 0
	.set _ZN7rocprim17ROCPRIM_400000_NS6detail17trampoline_kernelINS0_14default_configENS1_25partition_config_selectorILNS1_17partition_subalgoE9EllbEEZZNS1_14partition_implILS5_9ELb0ES3_jPlS8_PNS0_10empty_typeENS0_5tupleIJS8_S9_EEENSB_IJS8_SA_EEENS0_18inequality_wrapperIZN2at6native12_GLOBAL__N_124unique_dim_cuda_templateIhEESt5tupleIJNSF_6TensorESK_SK_EERKSK_lbbbEUlllE0_EEPmJS9_EEE10hipError_tPvRmT3_T4_T5_T6_T7_T9_mT8_P12ihipStream_tbDpT10_ENKUlT_T0_E_clISt17integral_constantIbLb1EES1A_EEDaS15_S16_EUlS15_E_NS1_11comp_targetILNS1_3genE8ELNS1_11target_archE1030ELNS1_3gpuE2ELNS1_3repE0EEENS1_30default_config_static_selectorELNS0_4arch9wavefront6targetE0EEEvT1_.uses_vcc, 0
	.set _ZN7rocprim17ROCPRIM_400000_NS6detail17trampoline_kernelINS0_14default_configENS1_25partition_config_selectorILNS1_17partition_subalgoE9EllbEEZZNS1_14partition_implILS5_9ELb0ES3_jPlS8_PNS0_10empty_typeENS0_5tupleIJS8_S9_EEENSB_IJS8_SA_EEENS0_18inequality_wrapperIZN2at6native12_GLOBAL__N_124unique_dim_cuda_templateIhEESt5tupleIJNSF_6TensorESK_SK_EERKSK_lbbbEUlllE0_EEPmJS9_EEE10hipError_tPvRmT3_T4_T5_T6_T7_T9_mT8_P12ihipStream_tbDpT10_ENKUlT_T0_E_clISt17integral_constantIbLb1EES1A_EEDaS15_S16_EUlS15_E_NS1_11comp_targetILNS1_3genE8ELNS1_11target_archE1030ELNS1_3gpuE2ELNS1_3repE0EEENS1_30default_config_static_selectorELNS0_4arch9wavefront6targetE0EEEvT1_.uses_flat_scratch, 0
	.set _ZN7rocprim17ROCPRIM_400000_NS6detail17trampoline_kernelINS0_14default_configENS1_25partition_config_selectorILNS1_17partition_subalgoE9EllbEEZZNS1_14partition_implILS5_9ELb0ES3_jPlS8_PNS0_10empty_typeENS0_5tupleIJS8_S9_EEENSB_IJS8_SA_EEENS0_18inequality_wrapperIZN2at6native12_GLOBAL__N_124unique_dim_cuda_templateIhEESt5tupleIJNSF_6TensorESK_SK_EERKSK_lbbbEUlllE0_EEPmJS9_EEE10hipError_tPvRmT3_T4_T5_T6_T7_T9_mT8_P12ihipStream_tbDpT10_ENKUlT_T0_E_clISt17integral_constantIbLb1EES1A_EEDaS15_S16_EUlS15_E_NS1_11comp_targetILNS1_3genE8ELNS1_11target_archE1030ELNS1_3gpuE2ELNS1_3repE0EEENS1_30default_config_static_selectorELNS0_4arch9wavefront6targetE0EEEvT1_.has_dyn_sized_stack, 0
	.set _ZN7rocprim17ROCPRIM_400000_NS6detail17trampoline_kernelINS0_14default_configENS1_25partition_config_selectorILNS1_17partition_subalgoE9EllbEEZZNS1_14partition_implILS5_9ELb0ES3_jPlS8_PNS0_10empty_typeENS0_5tupleIJS8_S9_EEENSB_IJS8_SA_EEENS0_18inequality_wrapperIZN2at6native12_GLOBAL__N_124unique_dim_cuda_templateIhEESt5tupleIJNSF_6TensorESK_SK_EERKSK_lbbbEUlllE0_EEPmJS9_EEE10hipError_tPvRmT3_T4_T5_T6_T7_T9_mT8_P12ihipStream_tbDpT10_ENKUlT_T0_E_clISt17integral_constantIbLb1EES1A_EEDaS15_S16_EUlS15_E_NS1_11comp_targetILNS1_3genE8ELNS1_11target_archE1030ELNS1_3gpuE2ELNS1_3repE0EEENS1_30default_config_static_selectorELNS0_4arch9wavefront6targetE0EEEvT1_.has_recursion, 0
	.set _ZN7rocprim17ROCPRIM_400000_NS6detail17trampoline_kernelINS0_14default_configENS1_25partition_config_selectorILNS1_17partition_subalgoE9EllbEEZZNS1_14partition_implILS5_9ELb0ES3_jPlS8_PNS0_10empty_typeENS0_5tupleIJS8_S9_EEENSB_IJS8_SA_EEENS0_18inequality_wrapperIZN2at6native12_GLOBAL__N_124unique_dim_cuda_templateIhEESt5tupleIJNSF_6TensorESK_SK_EERKSK_lbbbEUlllE0_EEPmJS9_EEE10hipError_tPvRmT3_T4_T5_T6_T7_T9_mT8_P12ihipStream_tbDpT10_ENKUlT_T0_E_clISt17integral_constantIbLb1EES1A_EEDaS15_S16_EUlS15_E_NS1_11comp_targetILNS1_3genE8ELNS1_11target_archE1030ELNS1_3gpuE2ELNS1_3repE0EEENS1_30default_config_static_selectorELNS0_4arch9wavefront6targetE0EEEvT1_.has_indirect_call, 0
	.section	.AMDGPU.csdata,"",@progbits
; Kernel info:
; codeLenInByte = 0
; TotalNumSgprs: 0
; NumVgprs: 0
; ScratchSize: 0
; MemoryBound: 0
; FloatMode: 240
; IeeeMode: 1
; LDSByteSize: 0 bytes/workgroup (compile time only)
; SGPRBlocks: 0
; VGPRBlocks: 0
; NumSGPRsForWavesPerEU: 1
; NumVGPRsForWavesPerEU: 1
; NamedBarCnt: 0
; Occupancy: 16
; WaveLimiterHint : 0
; COMPUTE_PGM_RSRC2:SCRATCH_EN: 0
; COMPUTE_PGM_RSRC2:USER_SGPR: 2
; COMPUTE_PGM_RSRC2:TRAP_HANDLER: 0
; COMPUTE_PGM_RSRC2:TGID_X_EN: 1
; COMPUTE_PGM_RSRC2:TGID_Y_EN: 0
; COMPUTE_PGM_RSRC2:TGID_Z_EN: 0
; COMPUTE_PGM_RSRC2:TIDIG_COMP_CNT: 0
	.section	.text._ZN7rocprim17ROCPRIM_400000_NS6detail17trampoline_kernelINS0_14default_configENS1_25partition_config_selectorILNS1_17partition_subalgoE9EllbEEZZNS1_14partition_implILS5_9ELb0ES3_jPlS8_PNS0_10empty_typeENS0_5tupleIJS8_S9_EEENSB_IJS8_SA_EEENS0_18inequality_wrapperIZN2at6native12_GLOBAL__N_124unique_dim_cuda_templateIhEESt5tupleIJNSF_6TensorESK_SK_EERKSK_lbbbEUlllE0_EEPmJS9_EEE10hipError_tPvRmT3_T4_T5_T6_T7_T9_mT8_P12ihipStream_tbDpT10_ENKUlT_T0_E_clISt17integral_constantIbLb1EES19_IbLb0EEEEDaS15_S16_EUlS15_E_NS1_11comp_targetILNS1_3genE0ELNS1_11target_archE4294967295ELNS1_3gpuE0ELNS1_3repE0EEENS1_30default_config_static_selectorELNS0_4arch9wavefront6targetE0EEEvT1_,"axG",@progbits,_ZN7rocprim17ROCPRIM_400000_NS6detail17trampoline_kernelINS0_14default_configENS1_25partition_config_selectorILNS1_17partition_subalgoE9EllbEEZZNS1_14partition_implILS5_9ELb0ES3_jPlS8_PNS0_10empty_typeENS0_5tupleIJS8_S9_EEENSB_IJS8_SA_EEENS0_18inequality_wrapperIZN2at6native12_GLOBAL__N_124unique_dim_cuda_templateIhEESt5tupleIJNSF_6TensorESK_SK_EERKSK_lbbbEUlllE0_EEPmJS9_EEE10hipError_tPvRmT3_T4_T5_T6_T7_T9_mT8_P12ihipStream_tbDpT10_ENKUlT_T0_E_clISt17integral_constantIbLb1EES19_IbLb0EEEEDaS15_S16_EUlS15_E_NS1_11comp_targetILNS1_3genE0ELNS1_11target_archE4294967295ELNS1_3gpuE0ELNS1_3repE0EEENS1_30default_config_static_selectorELNS0_4arch9wavefront6targetE0EEEvT1_,comdat
	.globl	_ZN7rocprim17ROCPRIM_400000_NS6detail17trampoline_kernelINS0_14default_configENS1_25partition_config_selectorILNS1_17partition_subalgoE9EllbEEZZNS1_14partition_implILS5_9ELb0ES3_jPlS8_PNS0_10empty_typeENS0_5tupleIJS8_S9_EEENSB_IJS8_SA_EEENS0_18inequality_wrapperIZN2at6native12_GLOBAL__N_124unique_dim_cuda_templateIhEESt5tupleIJNSF_6TensorESK_SK_EERKSK_lbbbEUlllE0_EEPmJS9_EEE10hipError_tPvRmT3_T4_T5_T6_T7_T9_mT8_P12ihipStream_tbDpT10_ENKUlT_T0_E_clISt17integral_constantIbLb1EES19_IbLb0EEEEDaS15_S16_EUlS15_E_NS1_11comp_targetILNS1_3genE0ELNS1_11target_archE4294967295ELNS1_3gpuE0ELNS1_3repE0EEENS1_30default_config_static_selectorELNS0_4arch9wavefront6targetE0EEEvT1_ ; -- Begin function _ZN7rocprim17ROCPRIM_400000_NS6detail17trampoline_kernelINS0_14default_configENS1_25partition_config_selectorILNS1_17partition_subalgoE9EllbEEZZNS1_14partition_implILS5_9ELb0ES3_jPlS8_PNS0_10empty_typeENS0_5tupleIJS8_S9_EEENSB_IJS8_SA_EEENS0_18inequality_wrapperIZN2at6native12_GLOBAL__N_124unique_dim_cuda_templateIhEESt5tupleIJNSF_6TensorESK_SK_EERKSK_lbbbEUlllE0_EEPmJS9_EEE10hipError_tPvRmT3_T4_T5_T6_T7_T9_mT8_P12ihipStream_tbDpT10_ENKUlT_T0_E_clISt17integral_constantIbLb1EES19_IbLb0EEEEDaS15_S16_EUlS15_E_NS1_11comp_targetILNS1_3genE0ELNS1_11target_archE4294967295ELNS1_3gpuE0ELNS1_3repE0EEENS1_30default_config_static_selectorELNS0_4arch9wavefront6targetE0EEEvT1_
	.p2align	8
	.type	_ZN7rocprim17ROCPRIM_400000_NS6detail17trampoline_kernelINS0_14default_configENS1_25partition_config_selectorILNS1_17partition_subalgoE9EllbEEZZNS1_14partition_implILS5_9ELb0ES3_jPlS8_PNS0_10empty_typeENS0_5tupleIJS8_S9_EEENSB_IJS8_SA_EEENS0_18inequality_wrapperIZN2at6native12_GLOBAL__N_124unique_dim_cuda_templateIhEESt5tupleIJNSF_6TensorESK_SK_EERKSK_lbbbEUlllE0_EEPmJS9_EEE10hipError_tPvRmT3_T4_T5_T6_T7_T9_mT8_P12ihipStream_tbDpT10_ENKUlT_T0_E_clISt17integral_constantIbLb1EES19_IbLb0EEEEDaS15_S16_EUlS15_E_NS1_11comp_targetILNS1_3genE0ELNS1_11target_archE4294967295ELNS1_3gpuE0ELNS1_3repE0EEENS1_30default_config_static_selectorELNS0_4arch9wavefront6targetE0EEEvT1_,@function
_ZN7rocprim17ROCPRIM_400000_NS6detail17trampoline_kernelINS0_14default_configENS1_25partition_config_selectorILNS1_17partition_subalgoE9EllbEEZZNS1_14partition_implILS5_9ELb0ES3_jPlS8_PNS0_10empty_typeENS0_5tupleIJS8_S9_EEENSB_IJS8_SA_EEENS0_18inequality_wrapperIZN2at6native12_GLOBAL__N_124unique_dim_cuda_templateIhEESt5tupleIJNSF_6TensorESK_SK_EERKSK_lbbbEUlllE0_EEPmJS9_EEE10hipError_tPvRmT3_T4_T5_T6_T7_T9_mT8_P12ihipStream_tbDpT10_ENKUlT_T0_E_clISt17integral_constantIbLb1EES19_IbLb0EEEEDaS15_S16_EUlS15_E_NS1_11comp_targetILNS1_3genE0ELNS1_11target_archE4294967295ELNS1_3gpuE0ELNS1_3repE0EEENS1_30default_config_static_selectorELNS0_4arch9wavefront6targetE0EEEvT1_: ; @_ZN7rocprim17ROCPRIM_400000_NS6detail17trampoline_kernelINS0_14default_configENS1_25partition_config_selectorILNS1_17partition_subalgoE9EllbEEZZNS1_14partition_implILS5_9ELb0ES3_jPlS8_PNS0_10empty_typeENS0_5tupleIJS8_S9_EEENSB_IJS8_SA_EEENS0_18inequality_wrapperIZN2at6native12_GLOBAL__N_124unique_dim_cuda_templateIhEESt5tupleIJNSF_6TensorESK_SK_EERKSK_lbbbEUlllE0_EEPmJS9_EEE10hipError_tPvRmT3_T4_T5_T6_T7_T9_mT8_P12ihipStream_tbDpT10_ENKUlT_T0_E_clISt17integral_constantIbLb1EES19_IbLb0EEEEDaS15_S16_EUlS15_E_NS1_11comp_targetILNS1_3genE0ELNS1_11target_archE4294967295ELNS1_3gpuE0ELNS1_3repE0EEENS1_30default_config_static_selectorELNS0_4arch9wavefront6targetE0EEEvT1_
; %bb.0:
	s_endpgm
	.section	.rodata,"a",@progbits
	.p2align	6, 0x0
	.amdhsa_kernel _ZN7rocprim17ROCPRIM_400000_NS6detail17trampoline_kernelINS0_14default_configENS1_25partition_config_selectorILNS1_17partition_subalgoE9EllbEEZZNS1_14partition_implILS5_9ELb0ES3_jPlS8_PNS0_10empty_typeENS0_5tupleIJS8_S9_EEENSB_IJS8_SA_EEENS0_18inequality_wrapperIZN2at6native12_GLOBAL__N_124unique_dim_cuda_templateIhEESt5tupleIJNSF_6TensorESK_SK_EERKSK_lbbbEUlllE0_EEPmJS9_EEE10hipError_tPvRmT3_T4_T5_T6_T7_T9_mT8_P12ihipStream_tbDpT10_ENKUlT_T0_E_clISt17integral_constantIbLb1EES19_IbLb0EEEEDaS15_S16_EUlS15_E_NS1_11comp_targetILNS1_3genE0ELNS1_11target_archE4294967295ELNS1_3gpuE0ELNS1_3repE0EEENS1_30default_config_static_selectorELNS0_4arch9wavefront6targetE0EEEvT1_
		.amdhsa_group_segment_fixed_size 0
		.amdhsa_private_segment_fixed_size 0
		.amdhsa_kernarg_size 120
		.amdhsa_user_sgpr_count 2
		.amdhsa_user_sgpr_dispatch_ptr 0
		.amdhsa_user_sgpr_queue_ptr 0
		.amdhsa_user_sgpr_kernarg_segment_ptr 1
		.amdhsa_user_sgpr_dispatch_id 0
		.amdhsa_user_sgpr_kernarg_preload_length 0
		.amdhsa_user_sgpr_kernarg_preload_offset 0
		.amdhsa_user_sgpr_private_segment_size 0
		.amdhsa_wavefront_size32 1
		.amdhsa_uses_dynamic_stack 0
		.amdhsa_enable_private_segment 0
		.amdhsa_system_sgpr_workgroup_id_x 1
		.amdhsa_system_sgpr_workgroup_id_y 0
		.amdhsa_system_sgpr_workgroup_id_z 0
		.amdhsa_system_sgpr_workgroup_info 0
		.amdhsa_system_vgpr_workitem_id 0
		.amdhsa_next_free_vgpr 1
		.amdhsa_next_free_sgpr 1
		.amdhsa_named_barrier_count 0
		.amdhsa_reserve_vcc 0
		.amdhsa_float_round_mode_32 0
		.amdhsa_float_round_mode_16_64 0
		.amdhsa_float_denorm_mode_32 3
		.amdhsa_float_denorm_mode_16_64 3
		.amdhsa_fp16_overflow 0
		.amdhsa_memory_ordered 1
		.amdhsa_forward_progress 1
		.amdhsa_inst_pref_size 1
		.amdhsa_round_robin_scheduling 0
		.amdhsa_exception_fp_ieee_invalid_op 0
		.amdhsa_exception_fp_denorm_src 0
		.amdhsa_exception_fp_ieee_div_zero 0
		.amdhsa_exception_fp_ieee_overflow 0
		.amdhsa_exception_fp_ieee_underflow 0
		.amdhsa_exception_fp_ieee_inexact 0
		.amdhsa_exception_int_div_zero 0
	.end_amdhsa_kernel
	.section	.text._ZN7rocprim17ROCPRIM_400000_NS6detail17trampoline_kernelINS0_14default_configENS1_25partition_config_selectorILNS1_17partition_subalgoE9EllbEEZZNS1_14partition_implILS5_9ELb0ES3_jPlS8_PNS0_10empty_typeENS0_5tupleIJS8_S9_EEENSB_IJS8_SA_EEENS0_18inequality_wrapperIZN2at6native12_GLOBAL__N_124unique_dim_cuda_templateIhEESt5tupleIJNSF_6TensorESK_SK_EERKSK_lbbbEUlllE0_EEPmJS9_EEE10hipError_tPvRmT3_T4_T5_T6_T7_T9_mT8_P12ihipStream_tbDpT10_ENKUlT_T0_E_clISt17integral_constantIbLb1EES19_IbLb0EEEEDaS15_S16_EUlS15_E_NS1_11comp_targetILNS1_3genE0ELNS1_11target_archE4294967295ELNS1_3gpuE0ELNS1_3repE0EEENS1_30default_config_static_selectorELNS0_4arch9wavefront6targetE0EEEvT1_,"axG",@progbits,_ZN7rocprim17ROCPRIM_400000_NS6detail17trampoline_kernelINS0_14default_configENS1_25partition_config_selectorILNS1_17partition_subalgoE9EllbEEZZNS1_14partition_implILS5_9ELb0ES3_jPlS8_PNS0_10empty_typeENS0_5tupleIJS8_S9_EEENSB_IJS8_SA_EEENS0_18inequality_wrapperIZN2at6native12_GLOBAL__N_124unique_dim_cuda_templateIhEESt5tupleIJNSF_6TensorESK_SK_EERKSK_lbbbEUlllE0_EEPmJS9_EEE10hipError_tPvRmT3_T4_T5_T6_T7_T9_mT8_P12ihipStream_tbDpT10_ENKUlT_T0_E_clISt17integral_constantIbLb1EES19_IbLb0EEEEDaS15_S16_EUlS15_E_NS1_11comp_targetILNS1_3genE0ELNS1_11target_archE4294967295ELNS1_3gpuE0ELNS1_3repE0EEENS1_30default_config_static_selectorELNS0_4arch9wavefront6targetE0EEEvT1_,comdat
.Lfunc_end220:
	.size	_ZN7rocprim17ROCPRIM_400000_NS6detail17trampoline_kernelINS0_14default_configENS1_25partition_config_selectorILNS1_17partition_subalgoE9EllbEEZZNS1_14partition_implILS5_9ELb0ES3_jPlS8_PNS0_10empty_typeENS0_5tupleIJS8_S9_EEENSB_IJS8_SA_EEENS0_18inequality_wrapperIZN2at6native12_GLOBAL__N_124unique_dim_cuda_templateIhEESt5tupleIJNSF_6TensorESK_SK_EERKSK_lbbbEUlllE0_EEPmJS9_EEE10hipError_tPvRmT3_T4_T5_T6_T7_T9_mT8_P12ihipStream_tbDpT10_ENKUlT_T0_E_clISt17integral_constantIbLb1EES19_IbLb0EEEEDaS15_S16_EUlS15_E_NS1_11comp_targetILNS1_3genE0ELNS1_11target_archE4294967295ELNS1_3gpuE0ELNS1_3repE0EEENS1_30default_config_static_selectorELNS0_4arch9wavefront6targetE0EEEvT1_, .Lfunc_end220-_ZN7rocprim17ROCPRIM_400000_NS6detail17trampoline_kernelINS0_14default_configENS1_25partition_config_selectorILNS1_17partition_subalgoE9EllbEEZZNS1_14partition_implILS5_9ELb0ES3_jPlS8_PNS0_10empty_typeENS0_5tupleIJS8_S9_EEENSB_IJS8_SA_EEENS0_18inequality_wrapperIZN2at6native12_GLOBAL__N_124unique_dim_cuda_templateIhEESt5tupleIJNSF_6TensorESK_SK_EERKSK_lbbbEUlllE0_EEPmJS9_EEE10hipError_tPvRmT3_T4_T5_T6_T7_T9_mT8_P12ihipStream_tbDpT10_ENKUlT_T0_E_clISt17integral_constantIbLb1EES19_IbLb0EEEEDaS15_S16_EUlS15_E_NS1_11comp_targetILNS1_3genE0ELNS1_11target_archE4294967295ELNS1_3gpuE0ELNS1_3repE0EEENS1_30default_config_static_selectorELNS0_4arch9wavefront6targetE0EEEvT1_
                                        ; -- End function
	.set _ZN7rocprim17ROCPRIM_400000_NS6detail17trampoline_kernelINS0_14default_configENS1_25partition_config_selectorILNS1_17partition_subalgoE9EllbEEZZNS1_14partition_implILS5_9ELb0ES3_jPlS8_PNS0_10empty_typeENS0_5tupleIJS8_S9_EEENSB_IJS8_SA_EEENS0_18inequality_wrapperIZN2at6native12_GLOBAL__N_124unique_dim_cuda_templateIhEESt5tupleIJNSF_6TensorESK_SK_EERKSK_lbbbEUlllE0_EEPmJS9_EEE10hipError_tPvRmT3_T4_T5_T6_T7_T9_mT8_P12ihipStream_tbDpT10_ENKUlT_T0_E_clISt17integral_constantIbLb1EES19_IbLb0EEEEDaS15_S16_EUlS15_E_NS1_11comp_targetILNS1_3genE0ELNS1_11target_archE4294967295ELNS1_3gpuE0ELNS1_3repE0EEENS1_30default_config_static_selectorELNS0_4arch9wavefront6targetE0EEEvT1_.num_vgpr, 0
	.set _ZN7rocprim17ROCPRIM_400000_NS6detail17trampoline_kernelINS0_14default_configENS1_25partition_config_selectorILNS1_17partition_subalgoE9EllbEEZZNS1_14partition_implILS5_9ELb0ES3_jPlS8_PNS0_10empty_typeENS0_5tupleIJS8_S9_EEENSB_IJS8_SA_EEENS0_18inequality_wrapperIZN2at6native12_GLOBAL__N_124unique_dim_cuda_templateIhEESt5tupleIJNSF_6TensorESK_SK_EERKSK_lbbbEUlllE0_EEPmJS9_EEE10hipError_tPvRmT3_T4_T5_T6_T7_T9_mT8_P12ihipStream_tbDpT10_ENKUlT_T0_E_clISt17integral_constantIbLb1EES19_IbLb0EEEEDaS15_S16_EUlS15_E_NS1_11comp_targetILNS1_3genE0ELNS1_11target_archE4294967295ELNS1_3gpuE0ELNS1_3repE0EEENS1_30default_config_static_selectorELNS0_4arch9wavefront6targetE0EEEvT1_.num_agpr, 0
	.set _ZN7rocprim17ROCPRIM_400000_NS6detail17trampoline_kernelINS0_14default_configENS1_25partition_config_selectorILNS1_17partition_subalgoE9EllbEEZZNS1_14partition_implILS5_9ELb0ES3_jPlS8_PNS0_10empty_typeENS0_5tupleIJS8_S9_EEENSB_IJS8_SA_EEENS0_18inequality_wrapperIZN2at6native12_GLOBAL__N_124unique_dim_cuda_templateIhEESt5tupleIJNSF_6TensorESK_SK_EERKSK_lbbbEUlllE0_EEPmJS9_EEE10hipError_tPvRmT3_T4_T5_T6_T7_T9_mT8_P12ihipStream_tbDpT10_ENKUlT_T0_E_clISt17integral_constantIbLb1EES19_IbLb0EEEEDaS15_S16_EUlS15_E_NS1_11comp_targetILNS1_3genE0ELNS1_11target_archE4294967295ELNS1_3gpuE0ELNS1_3repE0EEENS1_30default_config_static_selectorELNS0_4arch9wavefront6targetE0EEEvT1_.numbered_sgpr, 0
	.set _ZN7rocprim17ROCPRIM_400000_NS6detail17trampoline_kernelINS0_14default_configENS1_25partition_config_selectorILNS1_17partition_subalgoE9EllbEEZZNS1_14partition_implILS5_9ELb0ES3_jPlS8_PNS0_10empty_typeENS0_5tupleIJS8_S9_EEENSB_IJS8_SA_EEENS0_18inequality_wrapperIZN2at6native12_GLOBAL__N_124unique_dim_cuda_templateIhEESt5tupleIJNSF_6TensorESK_SK_EERKSK_lbbbEUlllE0_EEPmJS9_EEE10hipError_tPvRmT3_T4_T5_T6_T7_T9_mT8_P12ihipStream_tbDpT10_ENKUlT_T0_E_clISt17integral_constantIbLb1EES19_IbLb0EEEEDaS15_S16_EUlS15_E_NS1_11comp_targetILNS1_3genE0ELNS1_11target_archE4294967295ELNS1_3gpuE0ELNS1_3repE0EEENS1_30default_config_static_selectorELNS0_4arch9wavefront6targetE0EEEvT1_.num_named_barrier, 0
	.set _ZN7rocprim17ROCPRIM_400000_NS6detail17trampoline_kernelINS0_14default_configENS1_25partition_config_selectorILNS1_17partition_subalgoE9EllbEEZZNS1_14partition_implILS5_9ELb0ES3_jPlS8_PNS0_10empty_typeENS0_5tupleIJS8_S9_EEENSB_IJS8_SA_EEENS0_18inequality_wrapperIZN2at6native12_GLOBAL__N_124unique_dim_cuda_templateIhEESt5tupleIJNSF_6TensorESK_SK_EERKSK_lbbbEUlllE0_EEPmJS9_EEE10hipError_tPvRmT3_T4_T5_T6_T7_T9_mT8_P12ihipStream_tbDpT10_ENKUlT_T0_E_clISt17integral_constantIbLb1EES19_IbLb0EEEEDaS15_S16_EUlS15_E_NS1_11comp_targetILNS1_3genE0ELNS1_11target_archE4294967295ELNS1_3gpuE0ELNS1_3repE0EEENS1_30default_config_static_selectorELNS0_4arch9wavefront6targetE0EEEvT1_.private_seg_size, 0
	.set _ZN7rocprim17ROCPRIM_400000_NS6detail17trampoline_kernelINS0_14default_configENS1_25partition_config_selectorILNS1_17partition_subalgoE9EllbEEZZNS1_14partition_implILS5_9ELb0ES3_jPlS8_PNS0_10empty_typeENS0_5tupleIJS8_S9_EEENSB_IJS8_SA_EEENS0_18inequality_wrapperIZN2at6native12_GLOBAL__N_124unique_dim_cuda_templateIhEESt5tupleIJNSF_6TensorESK_SK_EERKSK_lbbbEUlllE0_EEPmJS9_EEE10hipError_tPvRmT3_T4_T5_T6_T7_T9_mT8_P12ihipStream_tbDpT10_ENKUlT_T0_E_clISt17integral_constantIbLb1EES19_IbLb0EEEEDaS15_S16_EUlS15_E_NS1_11comp_targetILNS1_3genE0ELNS1_11target_archE4294967295ELNS1_3gpuE0ELNS1_3repE0EEENS1_30default_config_static_selectorELNS0_4arch9wavefront6targetE0EEEvT1_.uses_vcc, 0
	.set _ZN7rocprim17ROCPRIM_400000_NS6detail17trampoline_kernelINS0_14default_configENS1_25partition_config_selectorILNS1_17partition_subalgoE9EllbEEZZNS1_14partition_implILS5_9ELb0ES3_jPlS8_PNS0_10empty_typeENS0_5tupleIJS8_S9_EEENSB_IJS8_SA_EEENS0_18inequality_wrapperIZN2at6native12_GLOBAL__N_124unique_dim_cuda_templateIhEESt5tupleIJNSF_6TensorESK_SK_EERKSK_lbbbEUlllE0_EEPmJS9_EEE10hipError_tPvRmT3_T4_T5_T6_T7_T9_mT8_P12ihipStream_tbDpT10_ENKUlT_T0_E_clISt17integral_constantIbLb1EES19_IbLb0EEEEDaS15_S16_EUlS15_E_NS1_11comp_targetILNS1_3genE0ELNS1_11target_archE4294967295ELNS1_3gpuE0ELNS1_3repE0EEENS1_30default_config_static_selectorELNS0_4arch9wavefront6targetE0EEEvT1_.uses_flat_scratch, 0
	.set _ZN7rocprim17ROCPRIM_400000_NS6detail17trampoline_kernelINS0_14default_configENS1_25partition_config_selectorILNS1_17partition_subalgoE9EllbEEZZNS1_14partition_implILS5_9ELb0ES3_jPlS8_PNS0_10empty_typeENS0_5tupleIJS8_S9_EEENSB_IJS8_SA_EEENS0_18inequality_wrapperIZN2at6native12_GLOBAL__N_124unique_dim_cuda_templateIhEESt5tupleIJNSF_6TensorESK_SK_EERKSK_lbbbEUlllE0_EEPmJS9_EEE10hipError_tPvRmT3_T4_T5_T6_T7_T9_mT8_P12ihipStream_tbDpT10_ENKUlT_T0_E_clISt17integral_constantIbLb1EES19_IbLb0EEEEDaS15_S16_EUlS15_E_NS1_11comp_targetILNS1_3genE0ELNS1_11target_archE4294967295ELNS1_3gpuE0ELNS1_3repE0EEENS1_30default_config_static_selectorELNS0_4arch9wavefront6targetE0EEEvT1_.has_dyn_sized_stack, 0
	.set _ZN7rocprim17ROCPRIM_400000_NS6detail17trampoline_kernelINS0_14default_configENS1_25partition_config_selectorILNS1_17partition_subalgoE9EllbEEZZNS1_14partition_implILS5_9ELb0ES3_jPlS8_PNS0_10empty_typeENS0_5tupleIJS8_S9_EEENSB_IJS8_SA_EEENS0_18inequality_wrapperIZN2at6native12_GLOBAL__N_124unique_dim_cuda_templateIhEESt5tupleIJNSF_6TensorESK_SK_EERKSK_lbbbEUlllE0_EEPmJS9_EEE10hipError_tPvRmT3_T4_T5_T6_T7_T9_mT8_P12ihipStream_tbDpT10_ENKUlT_T0_E_clISt17integral_constantIbLb1EES19_IbLb0EEEEDaS15_S16_EUlS15_E_NS1_11comp_targetILNS1_3genE0ELNS1_11target_archE4294967295ELNS1_3gpuE0ELNS1_3repE0EEENS1_30default_config_static_selectorELNS0_4arch9wavefront6targetE0EEEvT1_.has_recursion, 0
	.set _ZN7rocprim17ROCPRIM_400000_NS6detail17trampoline_kernelINS0_14default_configENS1_25partition_config_selectorILNS1_17partition_subalgoE9EllbEEZZNS1_14partition_implILS5_9ELb0ES3_jPlS8_PNS0_10empty_typeENS0_5tupleIJS8_S9_EEENSB_IJS8_SA_EEENS0_18inequality_wrapperIZN2at6native12_GLOBAL__N_124unique_dim_cuda_templateIhEESt5tupleIJNSF_6TensorESK_SK_EERKSK_lbbbEUlllE0_EEPmJS9_EEE10hipError_tPvRmT3_T4_T5_T6_T7_T9_mT8_P12ihipStream_tbDpT10_ENKUlT_T0_E_clISt17integral_constantIbLb1EES19_IbLb0EEEEDaS15_S16_EUlS15_E_NS1_11comp_targetILNS1_3genE0ELNS1_11target_archE4294967295ELNS1_3gpuE0ELNS1_3repE0EEENS1_30default_config_static_selectorELNS0_4arch9wavefront6targetE0EEEvT1_.has_indirect_call, 0
	.section	.AMDGPU.csdata,"",@progbits
; Kernel info:
; codeLenInByte = 4
; TotalNumSgprs: 0
; NumVgprs: 0
; ScratchSize: 0
; MemoryBound: 0
; FloatMode: 240
; IeeeMode: 1
; LDSByteSize: 0 bytes/workgroup (compile time only)
; SGPRBlocks: 0
; VGPRBlocks: 0
; NumSGPRsForWavesPerEU: 1
; NumVGPRsForWavesPerEU: 1
; NamedBarCnt: 0
; Occupancy: 16
; WaveLimiterHint : 0
; COMPUTE_PGM_RSRC2:SCRATCH_EN: 0
; COMPUTE_PGM_RSRC2:USER_SGPR: 2
; COMPUTE_PGM_RSRC2:TRAP_HANDLER: 0
; COMPUTE_PGM_RSRC2:TGID_X_EN: 1
; COMPUTE_PGM_RSRC2:TGID_Y_EN: 0
; COMPUTE_PGM_RSRC2:TGID_Z_EN: 0
; COMPUTE_PGM_RSRC2:TIDIG_COMP_CNT: 0
	.section	.text._ZN7rocprim17ROCPRIM_400000_NS6detail17trampoline_kernelINS0_14default_configENS1_25partition_config_selectorILNS1_17partition_subalgoE9EllbEEZZNS1_14partition_implILS5_9ELb0ES3_jPlS8_PNS0_10empty_typeENS0_5tupleIJS8_S9_EEENSB_IJS8_SA_EEENS0_18inequality_wrapperIZN2at6native12_GLOBAL__N_124unique_dim_cuda_templateIhEESt5tupleIJNSF_6TensorESK_SK_EERKSK_lbbbEUlllE0_EEPmJS9_EEE10hipError_tPvRmT3_T4_T5_T6_T7_T9_mT8_P12ihipStream_tbDpT10_ENKUlT_T0_E_clISt17integral_constantIbLb1EES19_IbLb0EEEEDaS15_S16_EUlS15_E_NS1_11comp_targetILNS1_3genE5ELNS1_11target_archE942ELNS1_3gpuE9ELNS1_3repE0EEENS1_30default_config_static_selectorELNS0_4arch9wavefront6targetE0EEEvT1_,"axG",@progbits,_ZN7rocprim17ROCPRIM_400000_NS6detail17trampoline_kernelINS0_14default_configENS1_25partition_config_selectorILNS1_17partition_subalgoE9EllbEEZZNS1_14partition_implILS5_9ELb0ES3_jPlS8_PNS0_10empty_typeENS0_5tupleIJS8_S9_EEENSB_IJS8_SA_EEENS0_18inequality_wrapperIZN2at6native12_GLOBAL__N_124unique_dim_cuda_templateIhEESt5tupleIJNSF_6TensorESK_SK_EERKSK_lbbbEUlllE0_EEPmJS9_EEE10hipError_tPvRmT3_T4_T5_T6_T7_T9_mT8_P12ihipStream_tbDpT10_ENKUlT_T0_E_clISt17integral_constantIbLb1EES19_IbLb0EEEEDaS15_S16_EUlS15_E_NS1_11comp_targetILNS1_3genE5ELNS1_11target_archE942ELNS1_3gpuE9ELNS1_3repE0EEENS1_30default_config_static_selectorELNS0_4arch9wavefront6targetE0EEEvT1_,comdat
	.globl	_ZN7rocprim17ROCPRIM_400000_NS6detail17trampoline_kernelINS0_14default_configENS1_25partition_config_selectorILNS1_17partition_subalgoE9EllbEEZZNS1_14partition_implILS5_9ELb0ES3_jPlS8_PNS0_10empty_typeENS0_5tupleIJS8_S9_EEENSB_IJS8_SA_EEENS0_18inequality_wrapperIZN2at6native12_GLOBAL__N_124unique_dim_cuda_templateIhEESt5tupleIJNSF_6TensorESK_SK_EERKSK_lbbbEUlllE0_EEPmJS9_EEE10hipError_tPvRmT3_T4_T5_T6_T7_T9_mT8_P12ihipStream_tbDpT10_ENKUlT_T0_E_clISt17integral_constantIbLb1EES19_IbLb0EEEEDaS15_S16_EUlS15_E_NS1_11comp_targetILNS1_3genE5ELNS1_11target_archE942ELNS1_3gpuE9ELNS1_3repE0EEENS1_30default_config_static_selectorELNS0_4arch9wavefront6targetE0EEEvT1_ ; -- Begin function _ZN7rocprim17ROCPRIM_400000_NS6detail17trampoline_kernelINS0_14default_configENS1_25partition_config_selectorILNS1_17partition_subalgoE9EllbEEZZNS1_14partition_implILS5_9ELb0ES3_jPlS8_PNS0_10empty_typeENS0_5tupleIJS8_S9_EEENSB_IJS8_SA_EEENS0_18inequality_wrapperIZN2at6native12_GLOBAL__N_124unique_dim_cuda_templateIhEESt5tupleIJNSF_6TensorESK_SK_EERKSK_lbbbEUlllE0_EEPmJS9_EEE10hipError_tPvRmT3_T4_T5_T6_T7_T9_mT8_P12ihipStream_tbDpT10_ENKUlT_T0_E_clISt17integral_constantIbLb1EES19_IbLb0EEEEDaS15_S16_EUlS15_E_NS1_11comp_targetILNS1_3genE5ELNS1_11target_archE942ELNS1_3gpuE9ELNS1_3repE0EEENS1_30default_config_static_selectorELNS0_4arch9wavefront6targetE0EEEvT1_
	.p2align	8
	.type	_ZN7rocprim17ROCPRIM_400000_NS6detail17trampoline_kernelINS0_14default_configENS1_25partition_config_selectorILNS1_17partition_subalgoE9EllbEEZZNS1_14partition_implILS5_9ELb0ES3_jPlS8_PNS0_10empty_typeENS0_5tupleIJS8_S9_EEENSB_IJS8_SA_EEENS0_18inequality_wrapperIZN2at6native12_GLOBAL__N_124unique_dim_cuda_templateIhEESt5tupleIJNSF_6TensorESK_SK_EERKSK_lbbbEUlllE0_EEPmJS9_EEE10hipError_tPvRmT3_T4_T5_T6_T7_T9_mT8_P12ihipStream_tbDpT10_ENKUlT_T0_E_clISt17integral_constantIbLb1EES19_IbLb0EEEEDaS15_S16_EUlS15_E_NS1_11comp_targetILNS1_3genE5ELNS1_11target_archE942ELNS1_3gpuE9ELNS1_3repE0EEENS1_30default_config_static_selectorELNS0_4arch9wavefront6targetE0EEEvT1_,@function
_ZN7rocprim17ROCPRIM_400000_NS6detail17trampoline_kernelINS0_14default_configENS1_25partition_config_selectorILNS1_17partition_subalgoE9EllbEEZZNS1_14partition_implILS5_9ELb0ES3_jPlS8_PNS0_10empty_typeENS0_5tupleIJS8_S9_EEENSB_IJS8_SA_EEENS0_18inequality_wrapperIZN2at6native12_GLOBAL__N_124unique_dim_cuda_templateIhEESt5tupleIJNSF_6TensorESK_SK_EERKSK_lbbbEUlllE0_EEPmJS9_EEE10hipError_tPvRmT3_T4_T5_T6_T7_T9_mT8_P12ihipStream_tbDpT10_ENKUlT_T0_E_clISt17integral_constantIbLb1EES19_IbLb0EEEEDaS15_S16_EUlS15_E_NS1_11comp_targetILNS1_3genE5ELNS1_11target_archE942ELNS1_3gpuE9ELNS1_3repE0EEENS1_30default_config_static_selectorELNS0_4arch9wavefront6targetE0EEEvT1_: ; @_ZN7rocprim17ROCPRIM_400000_NS6detail17trampoline_kernelINS0_14default_configENS1_25partition_config_selectorILNS1_17partition_subalgoE9EllbEEZZNS1_14partition_implILS5_9ELb0ES3_jPlS8_PNS0_10empty_typeENS0_5tupleIJS8_S9_EEENSB_IJS8_SA_EEENS0_18inequality_wrapperIZN2at6native12_GLOBAL__N_124unique_dim_cuda_templateIhEESt5tupleIJNSF_6TensorESK_SK_EERKSK_lbbbEUlllE0_EEPmJS9_EEE10hipError_tPvRmT3_T4_T5_T6_T7_T9_mT8_P12ihipStream_tbDpT10_ENKUlT_T0_E_clISt17integral_constantIbLb1EES19_IbLb0EEEEDaS15_S16_EUlS15_E_NS1_11comp_targetILNS1_3genE5ELNS1_11target_archE942ELNS1_3gpuE9ELNS1_3repE0EEENS1_30default_config_static_selectorELNS0_4arch9wavefront6targetE0EEEvT1_
; %bb.0:
	.section	.rodata,"a",@progbits
	.p2align	6, 0x0
	.amdhsa_kernel _ZN7rocprim17ROCPRIM_400000_NS6detail17trampoline_kernelINS0_14default_configENS1_25partition_config_selectorILNS1_17partition_subalgoE9EllbEEZZNS1_14partition_implILS5_9ELb0ES3_jPlS8_PNS0_10empty_typeENS0_5tupleIJS8_S9_EEENSB_IJS8_SA_EEENS0_18inequality_wrapperIZN2at6native12_GLOBAL__N_124unique_dim_cuda_templateIhEESt5tupleIJNSF_6TensorESK_SK_EERKSK_lbbbEUlllE0_EEPmJS9_EEE10hipError_tPvRmT3_T4_T5_T6_T7_T9_mT8_P12ihipStream_tbDpT10_ENKUlT_T0_E_clISt17integral_constantIbLb1EES19_IbLb0EEEEDaS15_S16_EUlS15_E_NS1_11comp_targetILNS1_3genE5ELNS1_11target_archE942ELNS1_3gpuE9ELNS1_3repE0EEENS1_30default_config_static_selectorELNS0_4arch9wavefront6targetE0EEEvT1_
		.amdhsa_group_segment_fixed_size 0
		.amdhsa_private_segment_fixed_size 0
		.amdhsa_kernarg_size 120
		.amdhsa_user_sgpr_count 2
		.amdhsa_user_sgpr_dispatch_ptr 0
		.amdhsa_user_sgpr_queue_ptr 0
		.amdhsa_user_sgpr_kernarg_segment_ptr 1
		.amdhsa_user_sgpr_dispatch_id 0
		.amdhsa_user_sgpr_kernarg_preload_length 0
		.amdhsa_user_sgpr_kernarg_preload_offset 0
		.amdhsa_user_sgpr_private_segment_size 0
		.amdhsa_wavefront_size32 1
		.amdhsa_uses_dynamic_stack 0
		.amdhsa_enable_private_segment 0
		.amdhsa_system_sgpr_workgroup_id_x 1
		.amdhsa_system_sgpr_workgroup_id_y 0
		.amdhsa_system_sgpr_workgroup_id_z 0
		.amdhsa_system_sgpr_workgroup_info 0
		.amdhsa_system_vgpr_workitem_id 0
		.amdhsa_next_free_vgpr 1
		.amdhsa_next_free_sgpr 1
		.amdhsa_named_barrier_count 0
		.amdhsa_reserve_vcc 0
		.amdhsa_float_round_mode_32 0
		.amdhsa_float_round_mode_16_64 0
		.amdhsa_float_denorm_mode_32 3
		.amdhsa_float_denorm_mode_16_64 3
		.amdhsa_fp16_overflow 0
		.amdhsa_memory_ordered 1
		.amdhsa_forward_progress 1
		.amdhsa_inst_pref_size 0
		.amdhsa_round_robin_scheduling 0
		.amdhsa_exception_fp_ieee_invalid_op 0
		.amdhsa_exception_fp_denorm_src 0
		.amdhsa_exception_fp_ieee_div_zero 0
		.amdhsa_exception_fp_ieee_overflow 0
		.amdhsa_exception_fp_ieee_underflow 0
		.amdhsa_exception_fp_ieee_inexact 0
		.amdhsa_exception_int_div_zero 0
	.end_amdhsa_kernel
	.section	.text._ZN7rocprim17ROCPRIM_400000_NS6detail17trampoline_kernelINS0_14default_configENS1_25partition_config_selectorILNS1_17partition_subalgoE9EllbEEZZNS1_14partition_implILS5_9ELb0ES3_jPlS8_PNS0_10empty_typeENS0_5tupleIJS8_S9_EEENSB_IJS8_SA_EEENS0_18inequality_wrapperIZN2at6native12_GLOBAL__N_124unique_dim_cuda_templateIhEESt5tupleIJNSF_6TensorESK_SK_EERKSK_lbbbEUlllE0_EEPmJS9_EEE10hipError_tPvRmT3_T4_T5_T6_T7_T9_mT8_P12ihipStream_tbDpT10_ENKUlT_T0_E_clISt17integral_constantIbLb1EES19_IbLb0EEEEDaS15_S16_EUlS15_E_NS1_11comp_targetILNS1_3genE5ELNS1_11target_archE942ELNS1_3gpuE9ELNS1_3repE0EEENS1_30default_config_static_selectorELNS0_4arch9wavefront6targetE0EEEvT1_,"axG",@progbits,_ZN7rocprim17ROCPRIM_400000_NS6detail17trampoline_kernelINS0_14default_configENS1_25partition_config_selectorILNS1_17partition_subalgoE9EllbEEZZNS1_14partition_implILS5_9ELb0ES3_jPlS8_PNS0_10empty_typeENS0_5tupleIJS8_S9_EEENSB_IJS8_SA_EEENS0_18inequality_wrapperIZN2at6native12_GLOBAL__N_124unique_dim_cuda_templateIhEESt5tupleIJNSF_6TensorESK_SK_EERKSK_lbbbEUlllE0_EEPmJS9_EEE10hipError_tPvRmT3_T4_T5_T6_T7_T9_mT8_P12ihipStream_tbDpT10_ENKUlT_T0_E_clISt17integral_constantIbLb1EES19_IbLb0EEEEDaS15_S16_EUlS15_E_NS1_11comp_targetILNS1_3genE5ELNS1_11target_archE942ELNS1_3gpuE9ELNS1_3repE0EEENS1_30default_config_static_selectorELNS0_4arch9wavefront6targetE0EEEvT1_,comdat
.Lfunc_end221:
	.size	_ZN7rocprim17ROCPRIM_400000_NS6detail17trampoline_kernelINS0_14default_configENS1_25partition_config_selectorILNS1_17partition_subalgoE9EllbEEZZNS1_14partition_implILS5_9ELb0ES3_jPlS8_PNS0_10empty_typeENS0_5tupleIJS8_S9_EEENSB_IJS8_SA_EEENS0_18inequality_wrapperIZN2at6native12_GLOBAL__N_124unique_dim_cuda_templateIhEESt5tupleIJNSF_6TensorESK_SK_EERKSK_lbbbEUlllE0_EEPmJS9_EEE10hipError_tPvRmT3_T4_T5_T6_T7_T9_mT8_P12ihipStream_tbDpT10_ENKUlT_T0_E_clISt17integral_constantIbLb1EES19_IbLb0EEEEDaS15_S16_EUlS15_E_NS1_11comp_targetILNS1_3genE5ELNS1_11target_archE942ELNS1_3gpuE9ELNS1_3repE0EEENS1_30default_config_static_selectorELNS0_4arch9wavefront6targetE0EEEvT1_, .Lfunc_end221-_ZN7rocprim17ROCPRIM_400000_NS6detail17trampoline_kernelINS0_14default_configENS1_25partition_config_selectorILNS1_17partition_subalgoE9EllbEEZZNS1_14partition_implILS5_9ELb0ES3_jPlS8_PNS0_10empty_typeENS0_5tupleIJS8_S9_EEENSB_IJS8_SA_EEENS0_18inequality_wrapperIZN2at6native12_GLOBAL__N_124unique_dim_cuda_templateIhEESt5tupleIJNSF_6TensorESK_SK_EERKSK_lbbbEUlllE0_EEPmJS9_EEE10hipError_tPvRmT3_T4_T5_T6_T7_T9_mT8_P12ihipStream_tbDpT10_ENKUlT_T0_E_clISt17integral_constantIbLb1EES19_IbLb0EEEEDaS15_S16_EUlS15_E_NS1_11comp_targetILNS1_3genE5ELNS1_11target_archE942ELNS1_3gpuE9ELNS1_3repE0EEENS1_30default_config_static_selectorELNS0_4arch9wavefront6targetE0EEEvT1_
                                        ; -- End function
	.set _ZN7rocprim17ROCPRIM_400000_NS6detail17trampoline_kernelINS0_14default_configENS1_25partition_config_selectorILNS1_17partition_subalgoE9EllbEEZZNS1_14partition_implILS5_9ELb0ES3_jPlS8_PNS0_10empty_typeENS0_5tupleIJS8_S9_EEENSB_IJS8_SA_EEENS0_18inequality_wrapperIZN2at6native12_GLOBAL__N_124unique_dim_cuda_templateIhEESt5tupleIJNSF_6TensorESK_SK_EERKSK_lbbbEUlllE0_EEPmJS9_EEE10hipError_tPvRmT3_T4_T5_T6_T7_T9_mT8_P12ihipStream_tbDpT10_ENKUlT_T0_E_clISt17integral_constantIbLb1EES19_IbLb0EEEEDaS15_S16_EUlS15_E_NS1_11comp_targetILNS1_3genE5ELNS1_11target_archE942ELNS1_3gpuE9ELNS1_3repE0EEENS1_30default_config_static_selectorELNS0_4arch9wavefront6targetE0EEEvT1_.num_vgpr, 0
	.set _ZN7rocprim17ROCPRIM_400000_NS6detail17trampoline_kernelINS0_14default_configENS1_25partition_config_selectorILNS1_17partition_subalgoE9EllbEEZZNS1_14partition_implILS5_9ELb0ES3_jPlS8_PNS0_10empty_typeENS0_5tupleIJS8_S9_EEENSB_IJS8_SA_EEENS0_18inequality_wrapperIZN2at6native12_GLOBAL__N_124unique_dim_cuda_templateIhEESt5tupleIJNSF_6TensorESK_SK_EERKSK_lbbbEUlllE0_EEPmJS9_EEE10hipError_tPvRmT3_T4_T5_T6_T7_T9_mT8_P12ihipStream_tbDpT10_ENKUlT_T0_E_clISt17integral_constantIbLb1EES19_IbLb0EEEEDaS15_S16_EUlS15_E_NS1_11comp_targetILNS1_3genE5ELNS1_11target_archE942ELNS1_3gpuE9ELNS1_3repE0EEENS1_30default_config_static_selectorELNS0_4arch9wavefront6targetE0EEEvT1_.num_agpr, 0
	.set _ZN7rocprim17ROCPRIM_400000_NS6detail17trampoline_kernelINS0_14default_configENS1_25partition_config_selectorILNS1_17partition_subalgoE9EllbEEZZNS1_14partition_implILS5_9ELb0ES3_jPlS8_PNS0_10empty_typeENS0_5tupleIJS8_S9_EEENSB_IJS8_SA_EEENS0_18inequality_wrapperIZN2at6native12_GLOBAL__N_124unique_dim_cuda_templateIhEESt5tupleIJNSF_6TensorESK_SK_EERKSK_lbbbEUlllE0_EEPmJS9_EEE10hipError_tPvRmT3_T4_T5_T6_T7_T9_mT8_P12ihipStream_tbDpT10_ENKUlT_T0_E_clISt17integral_constantIbLb1EES19_IbLb0EEEEDaS15_S16_EUlS15_E_NS1_11comp_targetILNS1_3genE5ELNS1_11target_archE942ELNS1_3gpuE9ELNS1_3repE0EEENS1_30default_config_static_selectorELNS0_4arch9wavefront6targetE0EEEvT1_.numbered_sgpr, 0
	.set _ZN7rocprim17ROCPRIM_400000_NS6detail17trampoline_kernelINS0_14default_configENS1_25partition_config_selectorILNS1_17partition_subalgoE9EllbEEZZNS1_14partition_implILS5_9ELb0ES3_jPlS8_PNS0_10empty_typeENS0_5tupleIJS8_S9_EEENSB_IJS8_SA_EEENS0_18inequality_wrapperIZN2at6native12_GLOBAL__N_124unique_dim_cuda_templateIhEESt5tupleIJNSF_6TensorESK_SK_EERKSK_lbbbEUlllE0_EEPmJS9_EEE10hipError_tPvRmT3_T4_T5_T6_T7_T9_mT8_P12ihipStream_tbDpT10_ENKUlT_T0_E_clISt17integral_constantIbLb1EES19_IbLb0EEEEDaS15_S16_EUlS15_E_NS1_11comp_targetILNS1_3genE5ELNS1_11target_archE942ELNS1_3gpuE9ELNS1_3repE0EEENS1_30default_config_static_selectorELNS0_4arch9wavefront6targetE0EEEvT1_.num_named_barrier, 0
	.set _ZN7rocprim17ROCPRIM_400000_NS6detail17trampoline_kernelINS0_14default_configENS1_25partition_config_selectorILNS1_17partition_subalgoE9EllbEEZZNS1_14partition_implILS5_9ELb0ES3_jPlS8_PNS0_10empty_typeENS0_5tupleIJS8_S9_EEENSB_IJS8_SA_EEENS0_18inequality_wrapperIZN2at6native12_GLOBAL__N_124unique_dim_cuda_templateIhEESt5tupleIJNSF_6TensorESK_SK_EERKSK_lbbbEUlllE0_EEPmJS9_EEE10hipError_tPvRmT3_T4_T5_T6_T7_T9_mT8_P12ihipStream_tbDpT10_ENKUlT_T0_E_clISt17integral_constantIbLb1EES19_IbLb0EEEEDaS15_S16_EUlS15_E_NS1_11comp_targetILNS1_3genE5ELNS1_11target_archE942ELNS1_3gpuE9ELNS1_3repE0EEENS1_30default_config_static_selectorELNS0_4arch9wavefront6targetE0EEEvT1_.private_seg_size, 0
	.set _ZN7rocprim17ROCPRIM_400000_NS6detail17trampoline_kernelINS0_14default_configENS1_25partition_config_selectorILNS1_17partition_subalgoE9EllbEEZZNS1_14partition_implILS5_9ELb0ES3_jPlS8_PNS0_10empty_typeENS0_5tupleIJS8_S9_EEENSB_IJS8_SA_EEENS0_18inequality_wrapperIZN2at6native12_GLOBAL__N_124unique_dim_cuda_templateIhEESt5tupleIJNSF_6TensorESK_SK_EERKSK_lbbbEUlllE0_EEPmJS9_EEE10hipError_tPvRmT3_T4_T5_T6_T7_T9_mT8_P12ihipStream_tbDpT10_ENKUlT_T0_E_clISt17integral_constantIbLb1EES19_IbLb0EEEEDaS15_S16_EUlS15_E_NS1_11comp_targetILNS1_3genE5ELNS1_11target_archE942ELNS1_3gpuE9ELNS1_3repE0EEENS1_30default_config_static_selectorELNS0_4arch9wavefront6targetE0EEEvT1_.uses_vcc, 0
	.set _ZN7rocprim17ROCPRIM_400000_NS6detail17trampoline_kernelINS0_14default_configENS1_25partition_config_selectorILNS1_17partition_subalgoE9EllbEEZZNS1_14partition_implILS5_9ELb0ES3_jPlS8_PNS0_10empty_typeENS0_5tupleIJS8_S9_EEENSB_IJS8_SA_EEENS0_18inequality_wrapperIZN2at6native12_GLOBAL__N_124unique_dim_cuda_templateIhEESt5tupleIJNSF_6TensorESK_SK_EERKSK_lbbbEUlllE0_EEPmJS9_EEE10hipError_tPvRmT3_T4_T5_T6_T7_T9_mT8_P12ihipStream_tbDpT10_ENKUlT_T0_E_clISt17integral_constantIbLb1EES19_IbLb0EEEEDaS15_S16_EUlS15_E_NS1_11comp_targetILNS1_3genE5ELNS1_11target_archE942ELNS1_3gpuE9ELNS1_3repE0EEENS1_30default_config_static_selectorELNS0_4arch9wavefront6targetE0EEEvT1_.uses_flat_scratch, 0
	.set _ZN7rocprim17ROCPRIM_400000_NS6detail17trampoline_kernelINS0_14default_configENS1_25partition_config_selectorILNS1_17partition_subalgoE9EllbEEZZNS1_14partition_implILS5_9ELb0ES3_jPlS8_PNS0_10empty_typeENS0_5tupleIJS8_S9_EEENSB_IJS8_SA_EEENS0_18inequality_wrapperIZN2at6native12_GLOBAL__N_124unique_dim_cuda_templateIhEESt5tupleIJNSF_6TensorESK_SK_EERKSK_lbbbEUlllE0_EEPmJS9_EEE10hipError_tPvRmT3_T4_T5_T6_T7_T9_mT8_P12ihipStream_tbDpT10_ENKUlT_T0_E_clISt17integral_constantIbLb1EES19_IbLb0EEEEDaS15_S16_EUlS15_E_NS1_11comp_targetILNS1_3genE5ELNS1_11target_archE942ELNS1_3gpuE9ELNS1_3repE0EEENS1_30default_config_static_selectorELNS0_4arch9wavefront6targetE0EEEvT1_.has_dyn_sized_stack, 0
	.set _ZN7rocprim17ROCPRIM_400000_NS6detail17trampoline_kernelINS0_14default_configENS1_25partition_config_selectorILNS1_17partition_subalgoE9EllbEEZZNS1_14partition_implILS5_9ELb0ES3_jPlS8_PNS0_10empty_typeENS0_5tupleIJS8_S9_EEENSB_IJS8_SA_EEENS0_18inequality_wrapperIZN2at6native12_GLOBAL__N_124unique_dim_cuda_templateIhEESt5tupleIJNSF_6TensorESK_SK_EERKSK_lbbbEUlllE0_EEPmJS9_EEE10hipError_tPvRmT3_T4_T5_T6_T7_T9_mT8_P12ihipStream_tbDpT10_ENKUlT_T0_E_clISt17integral_constantIbLb1EES19_IbLb0EEEEDaS15_S16_EUlS15_E_NS1_11comp_targetILNS1_3genE5ELNS1_11target_archE942ELNS1_3gpuE9ELNS1_3repE0EEENS1_30default_config_static_selectorELNS0_4arch9wavefront6targetE0EEEvT1_.has_recursion, 0
	.set _ZN7rocprim17ROCPRIM_400000_NS6detail17trampoline_kernelINS0_14default_configENS1_25partition_config_selectorILNS1_17partition_subalgoE9EllbEEZZNS1_14partition_implILS5_9ELb0ES3_jPlS8_PNS0_10empty_typeENS0_5tupleIJS8_S9_EEENSB_IJS8_SA_EEENS0_18inequality_wrapperIZN2at6native12_GLOBAL__N_124unique_dim_cuda_templateIhEESt5tupleIJNSF_6TensorESK_SK_EERKSK_lbbbEUlllE0_EEPmJS9_EEE10hipError_tPvRmT3_T4_T5_T6_T7_T9_mT8_P12ihipStream_tbDpT10_ENKUlT_T0_E_clISt17integral_constantIbLb1EES19_IbLb0EEEEDaS15_S16_EUlS15_E_NS1_11comp_targetILNS1_3genE5ELNS1_11target_archE942ELNS1_3gpuE9ELNS1_3repE0EEENS1_30default_config_static_selectorELNS0_4arch9wavefront6targetE0EEEvT1_.has_indirect_call, 0
	.section	.AMDGPU.csdata,"",@progbits
; Kernel info:
; codeLenInByte = 0
; TotalNumSgprs: 0
; NumVgprs: 0
; ScratchSize: 0
; MemoryBound: 0
; FloatMode: 240
; IeeeMode: 1
; LDSByteSize: 0 bytes/workgroup (compile time only)
; SGPRBlocks: 0
; VGPRBlocks: 0
; NumSGPRsForWavesPerEU: 1
; NumVGPRsForWavesPerEU: 1
; NamedBarCnt: 0
; Occupancy: 16
; WaveLimiterHint : 0
; COMPUTE_PGM_RSRC2:SCRATCH_EN: 0
; COMPUTE_PGM_RSRC2:USER_SGPR: 2
; COMPUTE_PGM_RSRC2:TRAP_HANDLER: 0
; COMPUTE_PGM_RSRC2:TGID_X_EN: 1
; COMPUTE_PGM_RSRC2:TGID_Y_EN: 0
; COMPUTE_PGM_RSRC2:TGID_Z_EN: 0
; COMPUTE_PGM_RSRC2:TIDIG_COMP_CNT: 0
	.section	.text._ZN7rocprim17ROCPRIM_400000_NS6detail17trampoline_kernelINS0_14default_configENS1_25partition_config_selectorILNS1_17partition_subalgoE9EllbEEZZNS1_14partition_implILS5_9ELb0ES3_jPlS8_PNS0_10empty_typeENS0_5tupleIJS8_S9_EEENSB_IJS8_SA_EEENS0_18inequality_wrapperIZN2at6native12_GLOBAL__N_124unique_dim_cuda_templateIhEESt5tupleIJNSF_6TensorESK_SK_EERKSK_lbbbEUlllE0_EEPmJS9_EEE10hipError_tPvRmT3_T4_T5_T6_T7_T9_mT8_P12ihipStream_tbDpT10_ENKUlT_T0_E_clISt17integral_constantIbLb1EES19_IbLb0EEEEDaS15_S16_EUlS15_E_NS1_11comp_targetILNS1_3genE4ELNS1_11target_archE910ELNS1_3gpuE8ELNS1_3repE0EEENS1_30default_config_static_selectorELNS0_4arch9wavefront6targetE0EEEvT1_,"axG",@progbits,_ZN7rocprim17ROCPRIM_400000_NS6detail17trampoline_kernelINS0_14default_configENS1_25partition_config_selectorILNS1_17partition_subalgoE9EllbEEZZNS1_14partition_implILS5_9ELb0ES3_jPlS8_PNS0_10empty_typeENS0_5tupleIJS8_S9_EEENSB_IJS8_SA_EEENS0_18inequality_wrapperIZN2at6native12_GLOBAL__N_124unique_dim_cuda_templateIhEESt5tupleIJNSF_6TensorESK_SK_EERKSK_lbbbEUlllE0_EEPmJS9_EEE10hipError_tPvRmT3_T4_T5_T6_T7_T9_mT8_P12ihipStream_tbDpT10_ENKUlT_T0_E_clISt17integral_constantIbLb1EES19_IbLb0EEEEDaS15_S16_EUlS15_E_NS1_11comp_targetILNS1_3genE4ELNS1_11target_archE910ELNS1_3gpuE8ELNS1_3repE0EEENS1_30default_config_static_selectorELNS0_4arch9wavefront6targetE0EEEvT1_,comdat
	.globl	_ZN7rocprim17ROCPRIM_400000_NS6detail17trampoline_kernelINS0_14default_configENS1_25partition_config_selectorILNS1_17partition_subalgoE9EllbEEZZNS1_14partition_implILS5_9ELb0ES3_jPlS8_PNS0_10empty_typeENS0_5tupleIJS8_S9_EEENSB_IJS8_SA_EEENS0_18inequality_wrapperIZN2at6native12_GLOBAL__N_124unique_dim_cuda_templateIhEESt5tupleIJNSF_6TensorESK_SK_EERKSK_lbbbEUlllE0_EEPmJS9_EEE10hipError_tPvRmT3_T4_T5_T6_T7_T9_mT8_P12ihipStream_tbDpT10_ENKUlT_T0_E_clISt17integral_constantIbLb1EES19_IbLb0EEEEDaS15_S16_EUlS15_E_NS1_11comp_targetILNS1_3genE4ELNS1_11target_archE910ELNS1_3gpuE8ELNS1_3repE0EEENS1_30default_config_static_selectorELNS0_4arch9wavefront6targetE0EEEvT1_ ; -- Begin function _ZN7rocprim17ROCPRIM_400000_NS6detail17trampoline_kernelINS0_14default_configENS1_25partition_config_selectorILNS1_17partition_subalgoE9EllbEEZZNS1_14partition_implILS5_9ELb0ES3_jPlS8_PNS0_10empty_typeENS0_5tupleIJS8_S9_EEENSB_IJS8_SA_EEENS0_18inequality_wrapperIZN2at6native12_GLOBAL__N_124unique_dim_cuda_templateIhEESt5tupleIJNSF_6TensorESK_SK_EERKSK_lbbbEUlllE0_EEPmJS9_EEE10hipError_tPvRmT3_T4_T5_T6_T7_T9_mT8_P12ihipStream_tbDpT10_ENKUlT_T0_E_clISt17integral_constantIbLb1EES19_IbLb0EEEEDaS15_S16_EUlS15_E_NS1_11comp_targetILNS1_3genE4ELNS1_11target_archE910ELNS1_3gpuE8ELNS1_3repE0EEENS1_30default_config_static_selectorELNS0_4arch9wavefront6targetE0EEEvT1_
	.p2align	8
	.type	_ZN7rocprim17ROCPRIM_400000_NS6detail17trampoline_kernelINS0_14default_configENS1_25partition_config_selectorILNS1_17partition_subalgoE9EllbEEZZNS1_14partition_implILS5_9ELb0ES3_jPlS8_PNS0_10empty_typeENS0_5tupleIJS8_S9_EEENSB_IJS8_SA_EEENS0_18inequality_wrapperIZN2at6native12_GLOBAL__N_124unique_dim_cuda_templateIhEESt5tupleIJNSF_6TensorESK_SK_EERKSK_lbbbEUlllE0_EEPmJS9_EEE10hipError_tPvRmT3_T4_T5_T6_T7_T9_mT8_P12ihipStream_tbDpT10_ENKUlT_T0_E_clISt17integral_constantIbLb1EES19_IbLb0EEEEDaS15_S16_EUlS15_E_NS1_11comp_targetILNS1_3genE4ELNS1_11target_archE910ELNS1_3gpuE8ELNS1_3repE0EEENS1_30default_config_static_selectorELNS0_4arch9wavefront6targetE0EEEvT1_,@function
_ZN7rocprim17ROCPRIM_400000_NS6detail17trampoline_kernelINS0_14default_configENS1_25partition_config_selectorILNS1_17partition_subalgoE9EllbEEZZNS1_14partition_implILS5_9ELb0ES3_jPlS8_PNS0_10empty_typeENS0_5tupleIJS8_S9_EEENSB_IJS8_SA_EEENS0_18inequality_wrapperIZN2at6native12_GLOBAL__N_124unique_dim_cuda_templateIhEESt5tupleIJNSF_6TensorESK_SK_EERKSK_lbbbEUlllE0_EEPmJS9_EEE10hipError_tPvRmT3_T4_T5_T6_T7_T9_mT8_P12ihipStream_tbDpT10_ENKUlT_T0_E_clISt17integral_constantIbLb1EES19_IbLb0EEEEDaS15_S16_EUlS15_E_NS1_11comp_targetILNS1_3genE4ELNS1_11target_archE910ELNS1_3gpuE8ELNS1_3repE0EEENS1_30default_config_static_selectorELNS0_4arch9wavefront6targetE0EEEvT1_: ; @_ZN7rocprim17ROCPRIM_400000_NS6detail17trampoline_kernelINS0_14default_configENS1_25partition_config_selectorILNS1_17partition_subalgoE9EllbEEZZNS1_14partition_implILS5_9ELb0ES3_jPlS8_PNS0_10empty_typeENS0_5tupleIJS8_S9_EEENSB_IJS8_SA_EEENS0_18inequality_wrapperIZN2at6native12_GLOBAL__N_124unique_dim_cuda_templateIhEESt5tupleIJNSF_6TensorESK_SK_EERKSK_lbbbEUlllE0_EEPmJS9_EEE10hipError_tPvRmT3_T4_T5_T6_T7_T9_mT8_P12ihipStream_tbDpT10_ENKUlT_T0_E_clISt17integral_constantIbLb1EES19_IbLb0EEEEDaS15_S16_EUlS15_E_NS1_11comp_targetILNS1_3genE4ELNS1_11target_archE910ELNS1_3gpuE8ELNS1_3repE0EEENS1_30default_config_static_selectorELNS0_4arch9wavefront6targetE0EEEvT1_
; %bb.0:
	.section	.rodata,"a",@progbits
	.p2align	6, 0x0
	.amdhsa_kernel _ZN7rocprim17ROCPRIM_400000_NS6detail17trampoline_kernelINS0_14default_configENS1_25partition_config_selectorILNS1_17partition_subalgoE9EllbEEZZNS1_14partition_implILS5_9ELb0ES3_jPlS8_PNS0_10empty_typeENS0_5tupleIJS8_S9_EEENSB_IJS8_SA_EEENS0_18inequality_wrapperIZN2at6native12_GLOBAL__N_124unique_dim_cuda_templateIhEESt5tupleIJNSF_6TensorESK_SK_EERKSK_lbbbEUlllE0_EEPmJS9_EEE10hipError_tPvRmT3_T4_T5_T6_T7_T9_mT8_P12ihipStream_tbDpT10_ENKUlT_T0_E_clISt17integral_constantIbLb1EES19_IbLb0EEEEDaS15_S16_EUlS15_E_NS1_11comp_targetILNS1_3genE4ELNS1_11target_archE910ELNS1_3gpuE8ELNS1_3repE0EEENS1_30default_config_static_selectorELNS0_4arch9wavefront6targetE0EEEvT1_
		.amdhsa_group_segment_fixed_size 0
		.amdhsa_private_segment_fixed_size 0
		.amdhsa_kernarg_size 120
		.amdhsa_user_sgpr_count 2
		.amdhsa_user_sgpr_dispatch_ptr 0
		.amdhsa_user_sgpr_queue_ptr 0
		.amdhsa_user_sgpr_kernarg_segment_ptr 1
		.amdhsa_user_sgpr_dispatch_id 0
		.amdhsa_user_sgpr_kernarg_preload_length 0
		.amdhsa_user_sgpr_kernarg_preload_offset 0
		.amdhsa_user_sgpr_private_segment_size 0
		.amdhsa_wavefront_size32 1
		.amdhsa_uses_dynamic_stack 0
		.amdhsa_enable_private_segment 0
		.amdhsa_system_sgpr_workgroup_id_x 1
		.amdhsa_system_sgpr_workgroup_id_y 0
		.amdhsa_system_sgpr_workgroup_id_z 0
		.amdhsa_system_sgpr_workgroup_info 0
		.amdhsa_system_vgpr_workitem_id 0
		.amdhsa_next_free_vgpr 1
		.amdhsa_next_free_sgpr 1
		.amdhsa_named_barrier_count 0
		.amdhsa_reserve_vcc 0
		.amdhsa_float_round_mode_32 0
		.amdhsa_float_round_mode_16_64 0
		.amdhsa_float_denorm_mode_32 3
		.amdhsa_float_denorm_mode_16_64 3
		.amdhsa_fp16_overflow 0
		.amdhsa_memory_ordered 1
		.amdhsa_forward_progress 1
		.amdhsa_inst_pref_size 0
		.amdhsa_round_robin_scheduling 0
		.amdhsa_exception_fp_ieee_invalid_op 0
		.amdhsa_exception_fp_denorm_src 0
		.amdhsa_exception_fp_ieee_div_zero 0
		.amdhsa_exception_fp_ieee_overflow 0
		.amdhsa_exception_fp_ieee_underflow 0
		.amdhsa_exception_fp_ieee_inexact 0
		.amdhsa_exception_int_div_zero 0
	.end_amdhsa_kernel
	.section	.text._ZN7rocprim17ROCPRIM_400000_NS6detail17trampoline_kernelINS0_14default_configENS1_25partition_config_selectorILNS1_17partition_subalgoE9EllbEEZZNS1_14partition_implILS5_9ELb0ES3_jPlS8_PNS0_10empty_typeENS0_5tupleIJS8_S9_EEENSB_IJS8_SA_EEENS0_18inequality_wrapperIZN2at6native12_GLOBAL__N_124unique_dim_cuda_templateIhEESt5tupleIJNSF_6TensorESK_SK_EERKSK_lbbbEUlllE0_EEPmJS9_EEE10hipError_tPvRmT3_T4_T5_T6_T7_T9_mT8_P12ihipStream_tbDpT10_ENKUlT_T0_E_clISt17integral_constantIbLb1EES19_IbLb0EEEEDaS15_S16_EUlS15_E_NS1_11comp_targetILNS1_3genE4ELNS1_11target_archE910ELNS1_3gpuE8ELNS1_3repE0EEENS1_30default_config_static_selectorELNS0_4arch9wavefront6targetE0EEEvT1_,"axG",@progbits,_ZN7rocprim17ROCPRIM_400000_NS6detail17trampoline_kernelINS0_14default_configENS1_25partition_config_selectorILNS1_17partition_subalgoE9EllbEEZZNS1_14partition_implILS5_9ELb0ES3_jPlS8_PNS0_10empty_typeENS0_5tupleIJS8_S9_EEENSB_IJS8_SA_EEENS0_18inequality_wrapperIZN2at6native12_GLOBAL__N_124unique_dim_cuda_templateIhEESt5tupleIJNSF_6TensorESK_SK_EERKSK_lbbbEUlllE0_EEPmJS9_EEE10hipError_tPvRmT3_T4_T5_T6_T7_T9_mT8_P12ihipStream_tbDpT10_ENKUlT_T0_E_clISt17integral_constantIbLb1EES19_IbLb0EEEEDaS15_S16_EUlS15_E_NS1_11comp_targetILNS1_3genE4ELNS1_11target_archE910ELNS1_3gpuE8ELNS1_3repE0EEENS1_30default_config_static_selectorELNS0_4arch9wavefront6targetE0EEEvT1_,comdat
.Lfunc_end222:
	.size	_ZN7rocprim17ROCPRIM_400000_NS6detail17trampoline_kernelINS0_14default_configENS1_25partition_config_selectorILNS1_17partition_subalgoE9EllbEEZZNS1_14partition_implILS5_9ELb0ES3_jPlS8_PNS0_10empty_typeENS0_5tupleIJS8_S9_EEENSB_IJS8_SA_EEENS0_18inequality_wrapperIZN2at6native12_GLOBAL__N_124unique_dim_cuda_templateIhEESt5tupleIJNSF_6TensorESK_SK_EERKSK_lbbbEUlllE0_EEPmJS9_EEE10hipError_tPvRmT3_T4_T5_T6_T7_T9_mT8_P12ihipStream_tbDpT10_ENKUlT_T0_E_clISt17integral_constantIbLb1EES19_IbLb0EEEEDaS15_S16_EUlS15_E_NS1_11comp_targetILNS1_3genE4ELNS1_11target_archE910ELNS1_3gpuE8ELNS1_3repE0EEENS1_30default_config_static_selectorELNS0_4arch9wavefront6targetE0EEEvT1_, .Lfunc_end222-_ZN7rocprim17ROCPRIM_400000_NS6detail17trampoline_kernelINS0_14default_configENS1_25partition_config_selectorILNS1_17partition_subalgoE9EllbEEZZNS1_14partition_implILS5_9ELb0ES3_jPlS8_PNS0_10empty_typeENS0_5tupleIJS8_S9_EEENSB_IJS8_SA_EEENS0_18inequality_wrapperIZN2at6native12_GLOBAL__N_124unique_dim_cuda_templateIhEESt5tupleIJNSF_6TensorESK_SK_EERKSK_lbbbEUlllE0_EEPmJS9_EEE10hipError_tPvRmT3_T4_T5_T6_T7_T9_mT8_P12ihipStream_tbDpT10_ENKUlT_T0_E_clISt17integral_constantIbLb1EES19_IbLb0EEEEDaS15_S16_EUlS15_E_NS1_11comp_targetILNS1_3genE4ELNS1_11target_archE910ELNS1_3gpuE8ELNS1_3repE0EEENS1_30default_config_static_selectorELNS0_4arch9wavefront6targetE0EEEvT1_
                                        ; -- End function
	.set _ZN7rocprim17ROCPRIM_400000_NS6detail17trampoline_kernelINS0_14default_configENS1_25partition_config_selectorILNS1_17partition_subalgoE9EllbEEZZNS1_14partition_implILS5_9ELb0ES3_jPlS8_PNS0_10empty_typeENS0_5tupleIJS8_S9_EEENSB_IJS8_SA_EEENS0_18inequality_wrapperIZN2at6native12_GLOBAL__N_124unique_dim_cuda_templateIhEESt5tupleIJNSF_6TensorESK_SK_EERKSK_lbbbEUlllE0_EEPmJS9_EEE10hipError_tPvRmT3_T4_T5_T6_T7_T9_mT8_P12ihipStream_tbDpT10_ENKUlT_T0_E_clISt17integral_constantIbLb1EES19_IbLb0EEEEDaS15_S16_EUlS15_E_NS1_11comp_targetILNS1_3genE4ELNS1_11target_archE910ELNS1_3gpuE8ELNS1_3repE0EEENS1_30default_config_static_selectorELNS0_4arch9wavefront6targetE0EEEvT1_.num_vgpr, 0
	.set _ZN7rocprim17ROCPRIM_400000_NS6detail17trampoline_kernelINS0_14default_configENS1_25partition_config_selectorILNS1_17partition_subalgoE9EllbEEZZNS1_14partition_implILS5_9ELb0ES3_jPlS8_PNS0_10empty_typeENS0_5tupleIJS8_S9_EEENSB_IJS8_SA_EEENS0_18inequality_wrapperIZN2at6native12_GLOBAL__N_124unique_dim_cuda_templateIhEESt5tupleIJNSF_6TensorESK_SK_EERKSK_lbbbEUlllE0_EEPmJS9_EEE10hipError_tPvRmT3_T4_T5_T6_T7_T9_mT8_P12ihipStream_tbDpT10_ENKUlT_T0_E_clISt17integral_constantIbLb1EES19_IbLb0EEEEDaS15_S16_EUlS15_E_NS1_11comp_targetILNS1_3genE4ELNS1_11target_archE910ELNS1_3gpuE8ELNS1_3repE0EEENS1_30default_config_static_selectorELNS0_4arch9wavefront6targetE0EEEvT1_.num_agpr, 0
	.set _ZN7rocprim17ROCPRIM_400000_NS6detail17trampoline_kernelINS0_14default_configENS1_25partition_config_selectorILNS1_17partition_subalgoE9EllbEEZZNS1_14partition_implILS5_9ELb0ES3_jPlS8_PNS0_10empty_typeENS0_5tupleIJS8_S9_EEENSB_IJS8_SA_EEENS0_18inequality_wrapperIZN2at6native12_GLOBAL__N_124unique_dim_cuda_templateIhEESt5tupleIJNSF_6TensorESK_SK_EERKSK_lbbbEUlllE0_EEPmJS9_EEE10hipError_tPvRmT3_T4_T5_T6_T7_T9_mT8_P12ihipStream_tbDpT10_ENKUlT_T0_E_clISt17integral_constantIbLb1EES19_IbLb0EEEEDaS15_S16_EUlS15_E_NS1_11comp_targetILNS1_3genE4ELNS1_11target_archE910ELNS1_3gpuE8ELNS1_3repE0EEENS1_30default_config_static_selectorELNS0_4arch9wavefront6targetE0EEEvT1_.numbered_sgpr, 0
	.set _ZN7rocprim17ROCPRIM_400000_NS6detail17trampoline_kernelINS0_14default_configENS1_25partition_config_selectorILNS1_17partition_subalgoE9EllbEEZZNS1_14partition_implILS5_9ELb0ES3_jPlS8_PNS0_10empty_typeENS0_5tupleIJS8_S9_EEENSB_IJS8_SA_EEENS0_18inequality_wrapperIZN2at6native12_GLOBAL__N_124unique_dim_cuda_templateIhEESt5tupleIJNSF_6TensorESK_SK_EERKSK_lbbbEUlllE0_EEPmJS9_EEE10hipError_tPvRmT3_T4_T5_T6_T7_T9_mT8_P12ihipStream_tbDpT10_ENKUlT_T0_E_clISt17integral_constantIbLb1EES19_IbLb0EEEEDaS15_S16_EUlS15_E_NS1_11comp_targetILNS1_3genE4ELNS1_11target_archE910ELNS1_3gpuE8ELNS1_3repE0EEENS1_30default_config_static_selectorELNS0_4arch9wavefront6targetE0EEEvT1_.num_named_barrier, 0
	.set _ZN7rocprim17ROCPRIM_400000_NS6detail17trampoline_kernelINS0_14default_configENS1_25partition_config_selectorILNS1_17partition_subalgoE9EllbEEZZNS1_14partition_implILS5_9ELb0ES3_jPlS8_PNS0_10empty_typeENS0_5tupleIJS8_S9_EEENSB_IJS8_SA_EEENS0_18inequality_wrapperIZN2at6native12_GLOBAL__N_124unique_dim_cuda_templateIhEESt5tupleIJNSF_6TensorESK_SK_EERKSK_lbbbEUlllE0_EEPmJS9_EEE10hipError_tPvRmT3_T4_T5_T6_T7_T9_mT8_P12ihipStream_tbDpT10_ENKUlT_T0_E_clISt17integral_constantIbLb1EES19_IbLb0EEEEDaS15_S16_EUlS15_E_NS1_11comp_targetILNS1_3genE4ELNS1_11target_archE910ELNS1_3gpuE8ELNS1_3repE0EEENS1_30default_config_static_selectorELNS0_4arch9wavefront6targetE0EEEvT1_.private_seg_size, 0
	.set _ZN7rocprim17ROCPRIM_400000_NS6detail17trampoline_kernelINS0_14default_configENS1_25partition_config_selectorILNS1_17partition_subalgoE9EllbEEZZNS1_14partition_implILS5_9ELb0ES3_jPlS8_PNS0_10empty_typeENS0_5tupleIJS8_S9_EEENSB_IJS8_SA_EEENS0_18inequality_wrapperIZN2at6native12_GLOBAL__N_124unique_dim_cuda_templateIhEESt5tupleIJNSF_6TensorESK_SK_EERKSK_lbbbEUlllE0_EEPmJS9_EEE10hipError_tPvRmT3_T4_T5_T6_T7_T9_mT8_P12ihipStream_tbDpT10_ENKUlT_T0_E_clISt17integral_constantIbLb1EES19_IbLb0EEEEDaS15_S16_EUlS15_E_NS1_11comp_targetILNS1_3genE4ELNS1_11target_archE910ELNS1_3gpuE8ELNS1_3repE0EEENS1_30default_config_static_selectorELNS0_4arch9wavefront6targetE0EEEvT1_.uses_vcc, 0
	.set _ZN7rocprim17ROCPRIM_400000_NS6detail17trampoline_kernelINS0_14default_configENS1_25partition_config_selectorILNS1_17partition_subalgoE9EllbEEZZNS1_14partition_implILS5_9ELb0ES3_jPlS8_PNS0_10empty_typeENS0_5tupleIJS8_S9_EEENSB_IJS8_SA_EEENS0_18inequality_wrapperIZN2at6native12_GLOBAL__N_124unique_dim_cuda_templateIhEESt5tupleIJNSF_6TensorESK_SK_EERKSK_lbbbEUlllE0_EEPmJS9_EEE10hipError_tPvRmT3_T4_T5_T6_T7_T9_mT8_P12ihipStream_tbDpT10_ENKUlT_T0_E_clISt17integral_constantIbLb1EES19_IbLb0EEEEDaS15_S16_EUlS15_E_NS1_11comp_targetILNS1_3genE4ELNS1_11target_archE910ELNS1_3gpuE8ELNS1_3repE0EEENS1_30default_config_static_selectorELNS0_4arch9wavefront6targetE0EEEvT1_.uses_flat_scratch, 0
	.set _ZN7rocprim17ROCPRIM_400000_NS6detail17trampoline_kernelINS0_14default_configENS1_25partition_config_selectorILNS1_17partition_subalgoE9EllbEEZZNS1_14partition_implILS5_9ELb0ES3_jPlS8_PNS0_10empty_typeENS0_5tupleIJS8_S9_EEENSB_IJS8_SA_EEENS0_18inequality_wrapperIZN2at6native12_GLOBAL__N_124unique_dim_cuda_templateIhEESt5tupleIJNSF_6TensorESK_SK_EERKSK_lbbbEUlllE0_EEPmJS9_EEE10hipError_tPvRmT3_T4_T5_T6_T7_T9_mT8_P12ihipStream_tbDpT10_ENKUlT_T0_E_clISt17integral_constantIbLb1EES19_IbLb0EEEEDaS15_S16_EUlS15_E_NS1_11comp_targetILNS1_3genE4ELNS1_11target_archE910ELNS1_3gpuE8ELNS1_3repE0EEENS1_30default_config_static_selectorELNS0_4arch9wavefront6targetE0EEEvT1_.has_dyn_sized_stack, 0
	.set _ZN7rocprim17ROCPRIM_400000_NS6detail17trampoline_kernelINS0_14default_configENS1_25partition_config_selectorILNS1_17partition_subalgoE9EllbEEZZNS1_14partition_implILS5_9ELb0ES3_jPlS8_PNS0_10empty_typeENS0_5tupleIJS8_S9_EEENSB_IJS8_SA_EEENS0_18inequality_wrapperIZN2at6native12_GLOBAL__N_124unique_dim_cuda_templateIhEESt5tupleIJNSF_6TensorESK_SK_EERKSK_lbbbEUlllE0_EEPmJS9_EEE10hipError_tPvRmT3_T4_T5_T6_T7_T9_mT8_P12ihipStream_tbDpT10_ENKUlT_T0_E_clISt17integral_constantIbLb1EES19_IbLb0EEEEDaS15_S16_EUlS15_E_NS1_11comp_targetILNS1_3genE4ELNS1_11target_archE910ELNS1_3gpuE8ELNS1_3repE0EEENS1_30default_config_static_selectorELNS0_4arch9wavefront6targetE0EEEvT1_.has_recursion, 0
	.set _ZN7rocprim17ROCPRIM_400000_NS6detail17trampoline_kernelINS0_14default_configENS1_25partition_config_selectorILNS1_17partition_subalgoE9EllbEEZZNS1_14partition_implILS5_9ELb0ES3_jPlS8_PNS0_10empty_typeENS0_5tupleIJS8_S9_EEENSB_IJS8_SA_EEENS0_18inequality_wrapperIZN2at6native12_GLOBAL__N_124unique_dim_cuda_templateIhEESt5tupleIJNSF_6TensorESK_SK_EERKSK_lbbbEUlllE0_EEPmJS9_EEE10hipError_tPvRmT3_T4_T5_T6_T7_T9_mT8_P12ihipStream_tbDpT10_ENKUlT_T0_E_clISt17integral_constantIbLb1EES19_IbLb0EEEEDaS15_S16_EUlS15_E_NS1_11comp_targetILNS1_3genE4ELNS1_11target_archE910ELNS1_3gpuE8ELNS1_3repE0EEENS1_30default_config_static_selectorELNS0_4arch9wavefront6targetE0EEEvT1_.has_indirect_call, 0
	.section	.AMDGPU.csdata,"",@progbits
; Kernel info:
; codeLenInByte = 0
; TotalNumSgprs: 0
; NumVgprs: 0
; ScratchSize: 0
; MemoryBound: 0
; FloatMode: 240
; IeeeMode: 1
; LDSByteSize: 0 bytes/workgroup (compile time only)
; SGPRBlocks: 0
; VGPRBlocks: 0
; NumSGPRsForWavesPerEU: 1
; NumVGPRsForWavesPerEU: 1
; NamedBarCnt: 0
; Occupancy: 16
; WaveLimiterHint : 0
; COMPUTE_PGM_RSRC2:SCRATCH_EN: 0
; COMPUTE_PGM_RSRC2:USER_SGPR: 2
; COMPUTE_PGM_RSRC2:TRAP_HANDLER: 0
; COMPUTE_PGM_RSRC2:TGID_X_EN: 1
; COMPUTE_PGM_RSRC2:TGID_Y_EN: 0
; COMPUTE_PGM_RSRC2:TGID_Z_EN: 0
; COMPUTE_PGM_RSRC2:TIDIG_COMP_CNT: 0
	.section	.text._ZN7rocprim17ROCPRIM_400000_NS6detail17trampoline_kernelINS0_14default_configENS1_25partition_config_selectorILNS1_17partition_subalgoE9EllbEEZZNS1_14partition_implILS5_9ELb0ES3_jPlS8_PNS0_10empty_typeENS0_5tupleIJS8_S9_EEENSB_IJS8_SA_EEENS0_18inequality_wrapperIZN2at6native12_GLOBAL__N_124unique_dim_cuda_templateIhEESt5tupleIJNSF_6TensorESK_SK_EERKSK_lbbbEUlllE0_EEPmJS9_EEE10hipError_tPvRmT3_T4_T5_T6_T7_T9_mT8_P12ihipStream_tbDpT10_ENKUlT_T0_E_clISt17integral_constantIbLb1EES19_IbLb0EEEEDaS15_S16_EUlS15_E_NS1_11comp_targetILNS1_3genE3ELNS1_11target_archE908ELNS1_3gpuE7ELNS1_3repE0EEENS1_30default_config_static_selectorELNS0_4arch9wavefront6targetE0EEEvT1_,"axG",@progbits,_ZN7rocprim17ROCPRIM_400000_NS6detail17trampoline_kernelINS0_14default_configENS1_25partition_config_selectorILNS1_17partition_subalgoE9EllbEEZZNS1_14partition_implILS5_9ELb0ES3_jPlS8_PNS0_10empty_typeENS0_5tupleIJS8_S9_EEENSB_IJS8_SA_EEENS0_18inequality_wrapperIZN2at6native12_GLOBAL__N_124unique_dim_cuda_templateIhEESt5tupleIJNSF_6TensorESK_SK_EERKSK_lbbbEUlllE0_EEPmJS9_EEE10hipError_tPvRmT3_T4_T5_T6_T7_T9_mT8_P12ihipStream_tbDpT10_ENKUlT_T0_E_clISt17integral_constantIbLb1EES19_IbLb0EEEEDaS15_S16_EUlS15_E_NS1_11comp_targetILNS1_3genE3ELNS1_11target_archE908ELNS1_3gpuE7ELNS1_3repE0EEENS1_30default_config_static_selectorELNS0_4arch9wavefront6targetE0EEEvT1_,comdat
	.globl	_ZN7rocprim17ROCPRIM_400000_NS6detail17trampoline_kernelINS0_14default_configENS1_25partition_config_selectorILNS1_17partition_subalgoE9EllbEEZZNS1_14partition_implILS5_9ELb0ES3_jPlS8_PNS0_10empty_typeENS0_5tupleIJS8_S9_EEENSB_IJS8_SA_EEENS0_18inequality_wrapperIZN2at6native12_GLOBAL__N_124unique_dim_cuda_templateIhEESt5tupleIJNSF_6TensorESK_SK_EERKSK_lbbbEUlllE0_EEPmJS9_EEE10hipError_tPvRmT3_T4_T5_T6_T7_T9_mT8_P12ihipStream_tbDpT10_ENKUlT_T0_E_clISt17integral_constantIbLb1EES19_IbLb0EEEEDaS15_S16_EUlS15_E_NS1_11comp_targetILNS1_3genE3ELNS1_11target_archE908ELNS1_3gpuE7ELNS1_3repE0EEENS1_30default_config_static_selectorELNS0_4arch9wavefront6targetE0EEEvT1_ ; -- Begin function _ZN7rocprim17ROCPRIM_400000_NS6detail17trampoline_kernelINS0_14default_configENS1_25partition_config_selectorILNS1_17partition_subalgoE9EllbEEZZNS1_14partition_implILS5_9ELb0ES3_jPlS8_PNS0_10empty_typeENS0_5tupleIJS8_S9_EEENSB_IJS8_SA_EEENS0_18inequality_wrapperIZN2at6native12_GLOBAL__N_124unique_dim_cuda_templateIhEESt5tupleIJNSF_6TensorESK_SK_EERKSK_lbbbEUlllE0_EEPmJS9_EEE10hipError_tPvRmT3_T4_T5_T6_T7_T9_mT8_P12ihipStream_tbDpT10_ENKUlT_T0_E_clISt17integral_constantIbLb1EES19_IbLb0EEEEDaS15_S16_EUlS15_E_NS1_11comp_targetILNS1_3genE3ELNS1_11target_archE908ELNS1_3gpuE7ELNS1_3repE0EEENS1_30default_config_static_selectorELNS0_4arch9wavefront6targetE0EEEvT1_
	.p2align	8
	.type	_ZN7rocprim17ROCPRIM_400000_NS6detail17trampoline_kernelINS0_14default_configENS1_25partition_config_selectorILNS1_17partition_subalgoE9EllbEEZZNS1_14partition_implILS5_9ELb0ES3_jPlS8_PNS0_10empty_typeENS0_5tupleIJS8_S9_EEENSB_IJS8_SA_EEENS0_18inequality_wrapperIZN2at6native12_GLOBAL__N_124unique_dim_cuda_templateIhEESt5tupleIJNSF_6TensorESK_SK_EERKSK_lbbbEUlllE0_EEPmJS9_EEE10hipError_tPvRmT3_T4_T5_T6_T7_T9_mT8_P12ihipStream_tbDpT10_ENKUlT_T0_E_clISt17integral_constantIbLb1EES19_IbLb0EEEEDaS15_S16_EUlS15_E_NS1_11comp_targetILNS1_3genE3ELNS1_11target_archE908ELNS1_3gpuE7ELNS1_3repE0EEENS1_30default_config_static_selectorELNS0_4arch9wavefront6targetE0EEEvT1_,@function
_ZN7rocprim17ROCPRIM_400000_NS6detail17trampoline_kernelINS0_14default_configENS1_25partition_config_selectorILNS1_17partition_subalgoE9EllbEEZZNS1_14partition_implILS5_9ELb0ES3_jPlS8_PNS0_10empty_typeENS0_5tupleIJS8_S9_EEENSB_IJS8_SA_EEENS0_18inequality_wrapperIZN2at6native12_GLOBAL__N_124unique_dim_cuda_templateIhEESt5tupleIJNSF_6TensorESK_SK_EERKSK_lbbbEUlllE0_EEPmJS9_EEE10hipError_tPvRmT3_T4_T5_T6_T7_T9_mT8_P12ihipStream_tbDpT10_ENKUlT_T0_E_clISt17integral_constantIbLb1EES19_IbLb0EEEEDaS15_S16_EUlS15_E_NS1_11comp_targetILNS1_3genE3ELNS1_11target_archE908ELNS1_3gpuE7ELNS1_3repE0EEENS1_30default_config_static_selectorELNS0_4arch9wavefront6targetE0EEEvT1_: ; @_ZN7rocprim17ROCPRIM_400000_NS6detail17trampoline_kernelINS0_14default_configENS1_25partition_config_selectorILNS1_17partition_subalgoE9EllbEEZZNS1_14partition_implILS5_9ELb0ES3_jPlS8_PNS0_10empty_typeENS0_5tupleIJS8_S9_EEENSB_IJS8_SA_EEENS0_18inequality_wrapperIZN2at6native12_GLOBAL__N_124unique_dim_cuda_templateIhEESt5tupleIJNSF_6TensorESK_SK_EERKSK_lbbbEUlllE0_EEPmJS9_EEE10hipError_tPvRmT3_T4_T5_T6_T7_T9_mT8_P12ihipStream_tbDpT10_ENKUlT_T0_E_clISt17integral_constantIbLb1EES19_IbLb0EEEEDaS15_S16_EUlS15_E_NS1_11comp_targetILNS1_3genE3ELNS1_11target_archE908ELNS1_3gpuE7ELNS1_3repE0EEENS1_30default_config_static_selectorELNS0_4arch9wavefront6targetE0EEEvT1_
; %bb.0:
	.section	.rodata,"a",@progbits
	.p2align	6, 0x0
	.amdhsa_kernel _ZN7rocprim17ROCPRIM_400000_NS6detail17trampoline_kernelINS0_14default_configENS1_25partition_config_selectorILNS1_17partition_subalgoE9EllbEEZZNS1_14partition_implILS5_9ELb0ES3_jPlS8_PNS0_10empty_typeENS0_5tupleIJS8_S9_EEENSB_IJS8_SA_EEENS0_18inequality_wrapperIZN2at6native12_GLOBAL__N_124unique_dim_cuda_templateIhEESt5tupleIJNSF_6TensorESK_SK_EERKSK_lbbbEUlllE0_EEPmJS9_EEE10hipError_tPvRmT3_T4_T5_T6_T7_T9_mT8_P12ihipStream_tbDpT10_ENKUlT_T0_E_clISt17integral_constantIbLb1EES19_IbLb0EEEEDaS15_S16_EUlS15_E_NS1_11comp_targetILNS1_3genE3ELNS1_11target_archE908ELNS1_3gpuE7ELNS1_3repE0EEENS1_30default_config_static_selectorELNS0_4arch9wavefront6targetE0EEEvT1_
		.amdhsa_group_segment_fixed_size 0
		.amdhsa_private_segment_fixed_size 0
		.amdhsa_kernarg_size 120
		.amdhsa_user_sgpr_count 2
		.amdhsa_user_sgpr_dispatch_ptr 0
		.amdhsa_user_sgpr_queue_ptr 0
		.amdhsa_user_sgpr_kernarg_segment_ptr 1
		.amdhsa_user_sgpr_dispatch_id 0
		.amdhsa_user_sgpr_kernarg_preload_length 0
		.amdhsa_user_sgpr_kernarg_preload_offset 0
		.amdhsa_user_sgpr_private_segment_size 0
		.amdhsa_wavefront_size32 1
		.amdhsa_uses_dynamic_stack 0
		.amdhsa_enable_private_segment 0
		.amdhsa_system_sgpr_workgroup_id_x 1
		.amdhsa_system_sgpr_workgroup_id_y 0
		.amdhsa_system_sgpr_workgroup_id_z 0
		.amdhsa_system_sgpr_workgroup_info 0
		.amdhsa_system_vgpr_workitem_id 0
		.amdhsa_next_free_vgpr 1
		.amdhsa_next_free_sgpr 1
		.amdhsa_named_barrier_count 0
		.amdhsa_reserve_vcc 0
		.amdhsa_float_round_mode_32 0
		.amdhsa_float_round_mode_16_64 0
		.amdhsa_float_denorm_mode_32 3
		.amdhsa_float_denorm_mode_16_64 3
		.amdhsa_fp16_overflow 0
		.amdhsa_memory_ordered 1
		.amdhsa_forward_progress 1
		.amdhsa_inst_pref_size 0
		.amdhsa_round_robin_scheduling 0
		.amdhsa_exception_fp_ieee_invalid_op 0
		.amdhsa_exception_fp_denorm_src 0
		.amdhsa_exception_fp_ieee_div_zero 0
		.amdhsa_exception_fp_ieee_overflow 0
		.amdhsa_exception_fp_ieee_underflow 0
		.amdhsa_exception_fp_ieee_inexact 0
		.amdhsa_exception_int_div_zero 0
	.end_amdhsa_kernel
	.section	.text._ZN7rocprim17ROCPRIM_400000_NS6detail17trampoline_kernelINS0_14default_configENS1_25partition_config_selectorILNS1_17partition_subalgoE9EllbEEZZNS1_14partition_implILS5_9ELb0ES3_jPlS8_PNS0_10empty_typeENS0_5tupleIJS8_S9_EEENSB_IJS8_SA_EEENS0_18inequality_wrapperIZN2at6native12_GLOBAL__N_124unique_dim_cuda_templateIhEESt5tupleIJNSF_6TensorESK_SK_EERKSK_lbbbEUlllE0_EEPmJS9_EEE10hipError_tPvRmT3_T4_T5_T6_T7_T9_mT8_P12ihipStream_tbDpT10_ENKUlT_T0_E_clISt17integral_constantIbLb1EES19_IbLb0EEEEDaS15_S16_EUlS15_E_NS1_11comp_targetILNS1_3genE3ELNS1_11target_archE908ELNS1_3gpuE7ELNS1_3repE0EEENS1_30default_config_static_selectorELNS0_4arch9wavefront6targetE0EEEvT1_,"axG",@progbits,_ZN7rocprim17ROCPRIM_400000_NS6detail17trampoline_kernelINS0_14default_configENS1_25partition_config_selectorILNS1_17partition_subalgoE9EllbEEZZNS1_14partition_implILS5_9ELb0ES3_jPlS8_PNS0_10empty_typeENS0_5tupleIJS8_S9_EEENSB_IJS8_SA_EEENS0_18inequality_wrapperIZN2at6native12_GLOBAL__N_124unique_dim_cuda_templateIhEESt5tupleIJNSF_6TensorESK_SK_EERKSK_lbbbEUlllE0_EEPmJS9_EEE10hipError_tPvRmT3_T4_T5_T6_T7_T9_mT8_P12ihipStream_tbDpT10_ENKUlT_T0_E_clISt17integral_constantIbLb1EES19_IbLb0EEEEDaS15_S16_EUlS15_E_NS1_11comp_targetILNS1_3genE3ELNS1_11target_archE908ELNS1_3gpuE7ELNS1_3repE0EEENS1_30default_config_static_selectorELNS0_4arch9wavefront6targetE0EEEvT1_,comdat
.Lfunc_end223:
	.size	_ZN7rocprim17ROCPRIM_400000_NS6detail17trampoline_kernelINS0_14default_configENS1_25partition_config_selectorILNS1_17partition_subalgoE9EllbEEZZNS1_14partition_implILS5_9ELb0ES3_jPlS8_PNS0_10empty_typeENS0_5tupleIJS8_S9_EEENSB_IJS8_SA_EEENS0_18inequality_wrapperIZN2at6native12_GLOBAL__N_124unique_dim_cuda_templateIhEESt5tupleIJNSF_6TensorESK_SK_EERKSK_lbbbEUlllE0_EEPmJS9_EEE10hipError_tPvRmT3_T4_T5_T6_T7_T9_mT8_P12ihipStream_tbDpT10_ENKUlT_T0_E_clISt17integral_constantIbLb1EES19_IbLb0EEEEDaS15_S16_EUlS15_E_NS1_11comp_targetILNS1_3genE3ELNS1_11target_archE908ELNS1_3gpuE7ELNS1_3repE0EEENS1_30default_config_static_selectorELNS0_4arch9wavefront6targetE0EEEvT1_, .Lfunc_end223-_ZN7rocprim17ROCPRIM_400000_NS6detail17trampoline_kernelINS0_14default_configENS1_25partition_config_selectorILNS1_17partition_subalgoE9EllbEEZZNS1_14partition_implILS5_9ELb0ES3_jPlS8_PNS0_10empty_typeENS0_5tupleIJS8_S9_EEENSB_IJS8_SA_EEENS0_18inequality_wrapperIZN2at6native12_GLOBAL__N_124unique_dim_cuda_templateIhEESt5tupleIJNSF_6TensorESK_SK_EERKSK_lbbbEUlllE0_EEPmJS9_EEE10hipError_tPvRmT3_T4_T5_T6_T7_T9_mT8_P12ihipStream_tbDpT10_ENKUlT_T0_E_clISt17integral_constantIbLb1EES19_IbLb0EEEEDaS15_S16_EUlS15_E_NS1_11comp_targetILNS1_3genE3ELNS1_11target_archE908ELNS1_3gpuE7ELNS1_3repE0EEENS1_30default_config_static_selectorELNS0_4arch9wavefront6targetE0EEEvT1_
                                        ; -- End function
	.set _ZN7rocprim17ROCPRIM_400000_NS6detail17trampoline_kernelINS0_14default_configENS1_25partition_config_selectorILNS1_17partition_subalgoE9EllbEEZZNS1_14partition_implILS5_9ELb0ES3_jPlS8_PNS0_10empty_typeENS0_5tupleIJS8_S9_EEENSB_IJS8_SA_EEENS0_18inequality_wrapperIZN2at6native12_GLOBAL__N_124unique_dim_cuda_templateIhEESt5tupleIJNSF_6TensorESK_SK_EERKSK_lbbbEUlllE0_EEPmJS9_EEE10hipError_tPvRmT3_T4_T5_T6_T7_T9_mT8_P12ihipStream_tbDpT10_ENKUlT_T0_E_clISt17integral_constantIbLb1EES19_IbLb0EEEEDaS15_S16_EUlS15_E_NS1_11comp_targetILNS1_3genE3ELNS1_11target_archE908ELNS1_3gpuE7ELNS1_3repE0EEENS1_30default_config_static_selectorELNS0_4arch9wavefront6targetE0EEEvT1_.num_vgpr, 0
	.set _ZN7rocprim17ROCPRIM_400000_NS6detail17trampoline_kernelINS0_14default_configENS1_25partition_config_selectorILNS1_17partition_subalgoE9EllbEEZZNS1_14partition_implILS5_9ELb0ES3_jPlS8_PNS0_10empty_typeENS0_5tupleIJS8_S9_EEENSB_IJS8_SA_EEENS0_18inequality_wrapperIZN2at6native12_GLOBAL__N_124unique_dim_cuda_templateIhEESt5tupleIJNSF_6TensorESK_SK_EERKSK_lbbbEUlllE0_EEPmJS9_EEE10hipError_tPvRmT3_T4_T5_T6_T7_T9_mT8_P12ihipStream_tbDpT10_ENKUlT_T0_E_clISt17integral_constantIbLb1EES19_IbLb0EEEEDaS15_S16_EUlS15_E_NS1_11comp_targetILNS1_3genE3ELNS1_11target_archE908ELNS1_3gpuE7ELNS1_3repE0EEENS1_30default_config_static_selectorELNS0_4arch9wavefront6targetE0EEEvT1_.num_agpr, 0
	.set _ZN7rocprim17ROCPRIM_400000_NS6detail17trampoline_kernelINS0_14default_configENS1_25partition_config_selectorILNS1_17partition_subalgoE9EllbEEZZNS1_14partition_implILS5_9ELb0ES3_jPlS8_PNS0_10empty_typeENS0_5tupleIJS8_S9_EEENSB_IJS8_SA_EEENS0_18inequality_wrapperIZN2at6native12_GLOBAL__N_124unique_dim_cuda_templateIhEESt5tupleIJNSF_6TensorESK_SK_EERKSK_lbbbEUlllE0_EEPmJS9_EEE10hipError_tPvRmT3_T4_T5_T6_T7_T9_mT8_P12ihipStream_tbDpT10_ENKUlT_T0_E_clISt17integral_constantIbLb1EES19_IbLb0EEEEDaS15_S16_EUlS15_E_NS1_11comp_targetILNS1_3genE3ELNS1_11target_archE908ELNS1_3gpuE7ELNS1_3repE0EEENS1_30default_config_static_selectorELNS0_4arch9wavefront6targetE0EEEvT1_.numbered_sgpr, 0
	.set _ZN7rocprim17ROCPRIM_400000_NS6detail17trampoline_kernelINS0_14default_configENS1_25partition_config_selectorILNS1_17partition_subalgoE9EllbEEZZNS1_14partition_implILS5_9ELb0ES3_jPlS8_PNS0_10empty_typeENS0_5tupleIJS8_S9_EEENSB_IJS8_SA_EEENS0_18inequality_wrapperIZN2at6native12_GLOBAL__N_124unique_dim_cuda_templateIhEESt5tupleIJNSF_6TensorESK_SK_EERKSK_lbbbEUlllE0_EEPmJS9_EEE10hipError_tPvRmT3_T4_T5_T6_T7_T9_mT8_P12ihipStream_tbDpT10_ENKUlT_T0_E_clISt17integral_constantIbLb1EES19_IbLb0EEEEDaS15_S16_EUlS15_E_NS1_11comp_targetILNS1_3genE3ELNS1_11target_archE908ELNS1_3gpuE7ELNS1_3repE0EEENS1_30default_config_static_selectorELNS0_4arch9wavefront6targetE0EEEvT1_.num_named_barrier, 0
	.set _ZN7rocprim17ROCPRIM_400000_NS6detail17trampoline_kernelINS0_14default_configENS1_25partition_config_selectorILNS1_17partition_subalgoE9EllbEEZZNS1_14partition_implILS5_9ELb0ES3_jPlS8_PNS0_10empty_typeENS0_5tupleIJS8_S9_EEENSB_IJS8_SA_EEENS0_18inequality_wrapperIZN2at6native12_GLOBAL__N_124unique_dim_cuda_templateIhEESt5tupleIJNSF_6TensorESK_SK_EERKSK_lbbbEUlllE0_EEPmJS9_EEE10hipError_tPvRmT3_T4_T5_T6_T7_T9_mT8_P12ihipStream_tbDpT10_ENKUlT_T0_E_clISt17integral_constantIbLb1EES19_IbLb0EEEEDaS15_S16_EUlS15_E_NS1_11comp_targetILNS1_3genE3ELNS1_11target_archE908ELNS1_3gpuE7ELNS1_3repE0EEENS1_30default_config_static_selectorELNS0_4arch9wavefront6targetE0EEEvT1_.private_seg_size, 0
	.set _ZN7rocprim17ROCPRIM_400000_NS6detail17trampoline_kernelINS0_14default_configENS1_25partition_config_selectorILNS1_17partition_subalgoE9EllbEEZZNS1_14partition_implILS5_9ELb0ES3_jPlS8_PNS0_10empty_typeENS0_5tupleIJS8_S9_EEENSB_IJS8_SA_EEENS0_18inequality_wrapperIZN2at6native12_GLOBAL__N_124unique_dim_cuda_templateIhEESt5tupleIJNSF_6TensorESK_SK_EERKSK_lbbbEUlllE0_EEPmJS9_EEE10hipError_tPvRmT3_T4_T5_T6_T7_T9_mT8_P12ihipStream_tbDpT10_ENKUlT_T0_E_clISt17integral_constantIbLb1EES19_IbLb0EEEEDaS15_S16_EUlS15_E_NS1_11comp_targetILNS1_3genE3ELNS1_11target_archE908ELNS1_3gpuE7ELNS1_3repE0EEENS1_30default_config_static_selectorELNS0_4arch9wavefront6targetE0EEEvT1_.uses_vcc, 0
	.set _ZN7rocprim17ROCPRIM_400000_NS6detail17trampoline_kernelINS0_14default_configENS1_25partition_config_selectorILNS1_17partition_subalgoE9EllbEEZZNS1_14partition_implILS5_9ELb0ES3_jPlS8_PNS0_10empty_typeENS0_5tupleIJS8_S9_EEENSB_IJS8_SA_EEENS0_18inequality_wrapperIZN2at6native12_GLOBAL__N_124unique_dim_cuda_templateIhEESt5tupleIJNSF_6TensorESK_SK_EERKSK_lbbbEUlllE0_EEPmJS9_EEE10hipError_tPvRmT3_T4_T5_T6_T7_T9_mT8_P12ihipStream_tbDpT10_ENKUlT_T0_E_clISt17integral_constantIbLb1EES19_IbLb0EEEEDaS15_S16_EUlS15_E_NS1_11comp_targetILNS1_3genE3ELNS1_11target_archE908ELNS1_3gpuE7ELNS1_3repE0EEENS1_30default_config_static_selectorELNS0_4arch9wavefront6targetE0EEEvT1_.uses_flat_scratch, 0
	.set _ZN7rocprim17ROCPRIM_400000_NS6detail17trampoline_kernelINS0_14default_configENS1_25partition_config_selectorILNS1_17partition_subalgoE9EllbEEZZNS1_14partition_implILS5_9ELb0ES3_jPlS8_PNS0_10empty_typeENS0_5tupleIJS8_S9_EEENSB_IJS8_SA_EEENS0_18inequality_wrapperIZN2at6native12_GLOBAL__N_124unique_dim_cuda_templateIhEESt5tupleIJNSF_6TensorESK_SK_EERKSK_lbbbEUlllE0_EEPmJS9_EEE10hipError_tPvRmT3_T4_T5_T6_T7_T9_mT8_P12ihipStream_tbDpT10_ENKUlT_T0_E_clISt17integral_constantIbLb1EES19_IbLb0EEEEDaS15_S16_EUlS15_E_NS1_11comp_targetILNS1_3genE3ELNS1_11target_archE908ELNS1_3gpuE7ELNS1_3repE0EEENS1_30default_config_static_selectorELNS0_4arch9wavefront6targetE0EEEvT1_.has_dyn_sized_stack, 0
	.set _ZN7rocprim17ROCPRIM_400000_NS6detail17trampoline_kernelINS0_14default_configENS1_25partition_config_selectorILNS1_17partition_subalgoE9EllbEEZZNS1_14partition_implILS5_9ELb0ES3_jPlS8_PNS0_10empty_typeENS0_5tupleIJS8_S9_EEENSB_IJS8_SA_EEENS0_18inequality_wrapperIZN2at6native12_GLOBAL__N_124unique_dim_cuda_templateIhEESt5tupleIJNSF_6TensorESK_SK_EERKSK_lbbbEUlllE0_EEPmJS9_EEE10hipError_tPvRmT3_T4_T5_T6_T7_T9_mT8_P12ihipStream_tbDpT10_ENKUlT_T0_E_clISt17integral_constantIbLb1EES19_IbLb0EEEEDaS15_S16_EUlS15_E_NS1_11comp_targetILNS1_3genE3ELNS1_11target_archE908ELNS1_3gpuE7ELNS1_3repE0EEENS1_30default_config_static_selectorELNS0_4arch9wavefront6targetE0EEEvT1_.has_recursion, 0
	.set _ZN7rocprim17ROCPRIM_400000_NS6detail17trampoline_kernelINS0_14default_configENS1_25partition_config_selectorILNS1_17partition_subalgoE9EllbEEZZNS1_14partition_implILS5_9ELb0ES3_jPlS8_PNS0_10empty_typeENS0_5tupleIJS8_S9_EEENSB_IJS8_SA_EEENS0_18inequality_wrapperIZN2at6native12_GLOBAL__N_124unique_dim_cuda_templateIhEESt5tupleIJNSF_6TensorESK_SK_EERKSK_lbbbEUlllE0_EEPmJS9_EEE10hipError_tPvRmT3_T4_T5_T6_T7_T9_mT8_P12ihipStream_tbDpT10_ENKUlT_T0_E_clISt17integral_constantIbLb1EES19_IbLb0EEEEDaS15_S16_EUlS15_E_NS1_11comp_targetILNS1_3genE3ELNS1_11target_archE908ELNS1_3gpuE7ELNS1_3repE0EEENS1_30default_config_static_selectorELNS0_4arch9wavefront6targetE0EEEvT1_.has_indirect_call, 0
	.section	.AMDGPU.csdata,"",@progbits
; Kernel info:
; codeLenInByte = 0
; TotalNumSgprs: 0
; NumVgprs: 0
; ScratchSize: 0
; MemoryBound: 0
; FloatMode: 240
; IeeeMode: 1
; LDSByteSize: 0 bytes/workgroup (compile time only)
; SGPRBlocks: 0
; VGPRBlocks: 0
; NumSGPRsForWavesPerEU: 1
; NumVGPRsForWavesPerEU: 1
; NamedBarCnt: 0
; Occupancy: 16
; WaveLimiterHint : 0
; COMPUTE_PGM_RSRC2:SCRATCH_EN: 0
; COMPUTE_PGM_RSRC2:USER_SGPR: 2
; COMPUTE_PGM_RSRC2:TRAP_HANDLER: 0
; COMPUTE_PGM_RSRC2:TGID_X_EN: 1
; COMPUTE_PGM_RSRC2:TGID_Y_EN: 0
; COMPUTE_PGM_RSRC2:TGID_Z_EN: 0
; COMPUTE_PGM_RSRC2:TIDIG_COMP_CNT: 0
	.section	.text._ZN7rocprim17ROCPRIM_400000_NS6detail17trampoline_kernelINS0_14default_configENS1_25partition_config_selectorILNS1_17partition_subalgoE9EllbEEZZNS1_14partition_implILS5_9ELb0ES3_jPlS8_PNS0_10empty_typeENS0_5tupleIJS8_S9_EEENSB_IJS8_SA_EEENS0_18inequality_wrapperIZN2at6native12_GLOBAL__N_124unique_dim_cuda_templateIhEESt5tupleIJNSF_6TensorESK_SK_EERKSK_lbbbEUlllE0_EEPmJS9_EEE10hipError_tPvRmT3_T4_T5_T6_T7_T9_mT8_P12ihipStream_tbDpT10_ENKUlT_T0_E_clISt17integral_constantIbLb1EES19_IbLb0EEEEDaS15_S16_EUlS15_E_NS1_11comp_targetILNS1_3genE2ELNS1_11target_archE906ELNS1_3gpuE6ELNS1_3repE0EEENS1_30default_config_static_selectorELNS0_4arch9wavefront6targetE0EEEvT1_,"axG",@progbits,_ZN7rocprim17ROCPRIM_400000_NS6detail17trampoline_kernelINS0_14default_configENS1_25partition_config_selectorILNS1_17partition_subalgoE9EllbEEZZNS1_14partition_implILS5_9ELb0ES3_jPlS8_PNS0_10empty_typeENS0_5tupleIJS8_S9_EEENSB_IJS8_SA_EEENS0_18inequality_wrapperIZN2at6native12_GLOBAL__N_124unique_dim_cuda_templateIhEESt5tupleIJNSF_6TensorESK_SK_EERKSK_lbbbEUlllE0_EEPmJS9_EEE10hipError_tPvRmT3_T4_T5_T6_T7_T9_mT8_P12ihipStream_tbDpT10_ENKUlT_T0_E_clISt17integral_constantIbLb1EES19_IbLb0EEEEDaS15_S16_EUlS15_E_NS1_11comp_targetILNS1_3genE2ELNS1_11target_archE906ELNS1_3gpuE6ELNS1_3repE0EEENS1_30default_config_static_selectorELNS0_4arch9wavefront6targetE0EEEvT1_,comdat
	.globl	_ZN7rocprim17ROCPRIM_400000_NS6detail17trampoline_kernelINS0_14default_configENS1_25partition_config_selectorILNS1_17partition_subalgoE9EllbEEZZNS1_14partition_implILS5_9ELb0ES3_jPlS8_PNS0_10empty_typeENS0_5tupleIJS8_S9_EEENSB_IJS8_SA_EEENS0_18inequality_wrapperIZN2at6native12_GLOBAL__N_124unique_dim_cuda_templateIhEESt5tupleIJNSF_6TensorESK_SK_EERKSK_lbbbEUlllE0_EEPmJS9_EEE10hipError_tPvRmT3_T4_T5_T6_T7_T9_mT8_P12ihipStream_tbDpT10_ENKUlT_T0_E_clISt17integral_constantIbLb1EES19_IbLb0EEEEDaS15_S16_EUlS15_E_NS1_11comp_targetILNS1_3genE2ELNS1_11target_archE906ELNS1_3gpuE6ELNS1_3repE0EEENS1_30default_config_static_selectorELNS0_4arch9wavefront6targetE0EEEvT1_ ; -- Begin function _ZN7rocprim17ROCPRIM_400000_NS6detail17trampoline_kernelINS0_14default_configENS1_25partition_config_selectorILNS1_17partition_subalgoE9EllbEEZZNS1_14partition_implILS5_9ELb0ES3_jPlS8_PNS0_10empty_typeENS0_5tupleIJS8_S9_EEENSB_IJS8_SA_EEENS0_18inequality_wrapperIZN2at6native12_GLOBAL__N_124unique_dim_cuda_templateIhEESt5tupleIJNSF_6TensorESK_SK_EERKSK_lbbbEUlllE0_EEPmJS9_EEE10hipError_tPvRmT3_T4_T5_T6_T7_T9_mT8_P12ihipStream_tbDpT10_ENKUlT_T0_E_clISt17integral_constantIbLb1EES19_IbLb0EEEEDaS15_S16_EUlS15_E_NS1_11comp_targetILNS1_3genE2ELNS1_11target_archE906ELNS1_3gpuE6ELNS1_3repE0EEENS1_30default_config_static_selectorELNS0_4arch9wavefront6targetE0EEEvT1_
	.p2align	8
	.type	_ZN7rocprim17ROCPRIM_400000_NS6detail17trampoline_kernelINS0_14default_configENS1_25partition_config_selectorILNS1_17partition_subalgoE9EllbEEZZNS1_14partition_implILS5_9ELb0ES3_jPlS8_PNS0_10empty_typeENS0_5tupleIJS8_S9_EEENSB_IJS8_SA_EEENS0_18inequality_wrapperIZN2at6native12_GLOBAL__N_124unique_dim_cuda_templateIhEESt5tupleIJNSF_6TensorESK_SK_EERKSK_lbbbEUlllE0_EEPmJS9_EEE10hipError_tPvRmT3_T4_T5_T6_T7_T9_mT8_P12ihipStream_tbDpT10_ENKUlT_T0_E_clISt17integral_constantIbLb1EES19_IbLb0EEEEDaS15_S16_EUlS15_E_NS1_11comp_targetILNS1_3genE2ELNS1_11target_archE906ELNS1_3gpuE6ELNS1_3repE0EEENS1_30default_config_static_selectorELNS0_4arch9wavefront6targetE0EEEvT1_,@function
_ZN7rocprim17ROCPRIM_400000_NS6detail17trampoline_kernelINS0_14default_configENS1_25partition_config_selectorILNS1_17partition_subalgoE9EllbEEZZNS1_14partition_implILS5_9ELb0ES3_jPlS8_PNS0_10empty_typeENS0_5tupleIJS8_S9_EEENSB_IJS8_SA_EEENS0_18inequality_wrapperIZN2at6native12_GLOBAL__N_124unique_dim_cuda_templateIhEESt5tupleIJNSF_6TensorESK_SK_EERKSK_lbbbEUlllE0_EEPmJS9_EEE10hipError_tPvRmT3_T4_T5_T6_T7_T9_mT8_P12ihipStream_tbDpT10_ENKUlT_T0_E_clISt17integral_constantIbLb1EES19_IbLb0EEEEDaS15_S16_EUlS15_E_NS1_11comp_targetILNS1_3genE2ELNS1_11target_archE906ELNS1_3gpuE6ELNS1_3repE0EEENS1_30default_config_static_selectorELNS0_4arch9wavefront6targetE0EEEvT1_: ; @_ZN7rocprim17ROCPRIM_400000_NS6detail17trampoline_kernelINS0_14default_configENS1_25partition_config_selectorILNS1_17partition_subalgoE9EllbEEZZNS1_14partition_implILS5_9ELb0ES3_jPlS8_PNS0_10empty_typeENS0_5tupleIJS8_S9_EEENSB_IJS8_SA_EEENS0_18inequality_wrapperIZN2at6native12_GLOBAL__N_124unique_dim_cuda_templateIhEESt5tupleIJNSF_6TensorESK_SK_EERKSK_lbbbEUlllE0_EEPmJS9_EEE10hipError_tPvRmT3_T4_T5_T6_T7_T9_mT8_P12ihipStream_tbDpT10_ENKUlT_T0_E_clISt17integral_constantIbLb1EES19_IbLb0EEEEDaS15_S16_EUlS15_E_NS1_11comp_targetILNS1_3genE2ELNS1_11target_archE906ELNS1_3gpuE6ELNS1_3repE0EEENS1_30default_config_static_selectorELNS0_4arch9wavefront6targetE0EEEvT1_
; %bb.0:
	.section	.rodata,"a",@progbits
	.p2align	6, 0x0
	.amdhsa_kernel _ZN7rocprim17ROCPRIM_400000_NS6detail17trampoline_kernelINS0_14default_configENS1_25partition_config_selectorILNS1_17partition_subalgoE9EllbEEZZNS1_14partition_implILS5_9ELb0ES3_jPlS8_PNS0_10empty_typeENS0_5tupleIJS8_S9_EEENSB_IJS8_SA_EEENS0_18inequality_wrapperIZN2at6native12_GLOBAL__N_124unique_dim_cuda_templateIhEESt5tupleIJNSF_6TensorESK_SK_EERKSK_lbbbEUlllE0_EEPmJS9_EEE10hipError_tPvRmT3_T4_T5_T6_T7_T9_mT8_P12ihipStream_tbDpT10_ENKUlT_T0_E_clISt17integral_constantIbLb1EES19_IbLb0EEEEDaS15_S16_EUlS15_E_NS1_11comp_targetILNS1_3genE2ELNS1_11target_archE906ELNS1_3gpuE6ELNS1_3repE0EEENS1_30default_config_static_selectorELNS0_4arch9wavefront6targetE0EEEvT1_
		.amdhsa_group_segment_fixed_size 0
		.amdhsa_private_segment_fixed_size 0
		.amdhsa_kernarg_size 120
		.amdhsa_user_sgpr_count 2
		.amdhsa_user_sgpr_dispatch_ptr 0
		.amdhsa_user_sgpr_queue_ptr 0
		.amdhsa_user_sgpr_kernarg_segment_ptr 1
		.amdhsa_user_sgpr_dispatch_id 0
		.amdhsa_user_sgpr_kernarg_preload_length 0
		.amdhsa_user_sgpr_kernarg_preload_offset 0
		.amdhsa_user_sgpr_private_segment_size 0
		.amdhsa_wavefront_size32 1
		.amdhsa_uses_dynamic_stack 0
		.amdhsa_enable_private_segment 0
		.amdhsa_system_sgpr_workgroup_id_x 1
		.amdhsa_system_sgpr_workgroup_id_y 0
		.amdhsa_system_sgpr_workgroup_id_z 0
		.amdhsa_system_sgpr_workgroup_info 0
		.amdhsa_system_vgpr_workitem_id 0
		.amdhsa_next_free_vgpr 1
		.amdhsa_next_free_sgpr 1
		.amdhsa_named_barrier_count 0
		.amdhsa_reserve_vcc 0
		.amdhsa_float_round_mode_32 0
		.amdhsa_float_round_mode_16_64 0
		.amdhsa_float_denorm_mode_32 3
		.amdhsa_float_denorm_mode_16_64 3
		.amdhsa_fp16_overflow 0
		.amdhsa_memory_ordered 1
		.amdhsa_forward_progress 1
		.amdhsa_inst_pref_size 0
		.amdhsa_round_robin_scheduling 0
		.amdhsa_exception_fp_ieee_invalid_op 0
		.amdhsa_exception_fp_denorm_src 0
		.amdhsa_exception_fp_ieee_div_zero 0
		.amdhsa_exception_fp_ieee_overflow 0
		.amdhsa_exception_fp_ieee_underflow 0
		.amdhsa_exception_fp_ieee_inexact 0
		.amdhsa_exception_int_div_zero 0
	.end_amdhsa_kernel
	.section	.text._ZN7rocprim17ROCPRIM_400000_NS6detail17trampoline_kernelINS0_14default_configENS1_25partition_config_selectorILNS1_17partition_subalgoE9EllbEEZZNS1_14partition_implILS5_9ELb0ES3_jPlS8_PNS0_10empty_typeENS0_5tupleIJS8_S9_EEENSB_IJS8_SA_EEENS0_18inequality_wrapperIZN2at6native12_GLOBAL__N_124unique_dim_cuda_templateIhEESt5tupleIJNSF_6TensorESK_SK_EERKSK_lbbbEUlllE0_EEPmJS9_EEE10hipError_tPvRmT3_T4_T5_T6_T7_T9_mT8_P12ihipStream_tbDpT10_ENKUlT_T0_E_clISt17integral_constantIbLb1EES19_IbLb0EEEEDaS15_S16_EUlS15_E_NS1_11comp_targetILNS1_3genE2ELNS1_11target_archE906ELNS1_3gpuE6ELNS1_3repE0EEENS1_30default_config_static_selectorELNS0_4arch9wavefront6targetE0EEEvT1_,"axG",@progbits,_ZN7rocprim17ROCPRIM_400000_NS6detail17trampoline_kernelINS0_14default_configENS1_25partition_config_selectorILNS1_17partition_subalgoE9EllbEEZZNS1_14partition_implILS5_9ELb0ES3_jPlS8_PNS0_10empty_typeENS0_5tupleIJS8_S9_EEENSB_IJS8_SA_EEENS0_18inequality_wrapperIZN2at6native12_GLOBAL__N_124unique_dim_cuda_templateIhEESt5tupleIJNSF_6TensorESK_SK_EERKSK_lbbbEUlllE0_EEPmJS9_EEE10hipError_tPvRmT3_T4_T5_T6_T7_T9_mT8_P12ihipStream_tbDpT10_ENKUlT_T0_E_clISt17integral_constantIbLb1EES19_IbLb0EEEEDaS15_S16_EUlS15_E_NS1_11comp_targetILNS1_3genE2ELNS1_11target_archE906ELNS1_3gpuE6ELNS1_3repE0EEENS1_30default_config_static_selectorELNS0_4arch9wavefront6targetE0EEEvT1_,comdat
.Lfunc_end224:
	.size	_ZN7rocprim17ROCPRIM_400000_NS6detail17trampoline_kernelINS0_14default_configENS1_25partition_config_selectorILNS1_17partition_subalgoE9EllbEEZZNS1_14partition_implILS5_9ELb0ES3_jPlS8_PNS0_10empty_typeENS0_5tupleIJS8_S9_EEENSB_IJS8_SA_EEENS0_18inequality_wrapperIZN2at6native12_GLOBAL__N_124unique_dim_cuda_templateIhEESt5tupleIJNSF_6TensorESK_SK_EERKSK_lbbbEUlllE0_EEPmJS9_EEE10hipError_tPvRmT3_T4_T5_T6_T7_T9_mT8_P12ihipStream_tbDpT10_ENKUlT_T0_E_clISt17integral_constantIbLb1EES19_IbLb0EEEEDaS15_S16_EUlS15_E_NS1_11comp_targetILNS1_3genE2ELNS1_11target_archE906ELNS1_3gpuE6ELNS1_3repE0EEENS1_30default_config_static_selectorELNS0_4arch9wavefront6targetE0EEEvT1_, .Lfunc_end224-_ZN7rocprim17ROCPRIM_400000_NS6detail17trampoline_kernelINS0_14default_configENS1_25partition_config_selectorILNS1_17partition_subalgoE9EllbEEZZNS1_14partition_implILS5_9ELb0ES3_jPlS8_PNS0_10empty_typeENS0_5tupleIJS8_S9_EEENSB_IJS8_SA_EEENS0_18inequality_wrapperIZN2at6native12_GLOBAL__N_124unique_dim_cuda_templateIhEESt5tupleIJNSF_6TensorESK_SK_EERKSK_lbbbEUlllE0_EEPmJS9_EEE10hipError_tPvRmT3_T4_T5_T6_T7_T9_mT8_P12ihipStream_tbDpT10_ENKUlT_T0_E_clISt17integral_constantIbLb1EES19_IbLb0EEEEDaS15_S16_EUlS15_E_NS1_11comp_targetILNS1_3genE2ELNS1_11target_archE906ELNS1_3gpuE6ELNS1_3repE0EEENS1_30default_config_static_selectorELNS0_4arch9wavefront6targetE0EEEvT1_
                                        ; -- End function
	.set _ZN7rocprim17ROCPRIM_400000_NS6detail17trampoline_kernelINS0_14default_configENS1_25partition_config_selectorILNS1_17partition_subalgoE9EllbEEZZNS1_14partition_implILS5_9ELb0ES3_jPlS8_PNS0_10empty_typeENS0_5tupleIJS8_S9_EEENSB_IJS8_SA_EEENS0_18inequality_wrapperIZN2at6native12_GLOBAL__N_124unique_dim_cuda_templateIhEESt5tupleIJNSF_6TensorESK_SK_EERKSK_lbbbEUlllE0_EEPmJS9_EEE10hipError_tPvRmT3_T4_T5_T6_T7_T9_mT8_P12ihipStream_tbDpT10_ENKUlT_T0_E_clISt17integral_constantIbLb1EES19_IbLb0EEEEDaS15_S16_EUlS15_E_NS1_11comp_targetILNS1_3genE2ELNS1_11target_archE906ELNS1_3gpuE6ELNS1_3repE0EEENS1_30default_config_static_selectorELNS0_4arch9wavefront6targetE0EEEvT1_.num_vgpr, 0
	.set _ZN7rocprim17ROCPRIM_400000_NS6detail17trampoline_kernelINS0_14default_configENS1_25partition_config_selectorILNS1_17partition_subalgoE9EllbEEZZNS1_14partition_implILS5_9ELb0ES3_jPlS8_PNS0_10empty_typeENS0_5tupleIJS8_S9_EEENSB_IJS8_SA_EEENS0_18inequality_wrapperIZN2at6native12_GLOBAL__N_124unique_dim_cuda_templateIhEESt5tupleIJNSF_6TensorESK_SK_EERKSK_lbbbEUlllE0_EEPmJS9_EEE10hipError_tPvRmT3_T4_T5_T6_T7_T9_mT8_P12ihipStream_tbDpT10_ENKUlT_T0_E_clISt17integral_constantIbLb1EES19_IbLb0EEEEDaS15_S16_EUlS15_E_NS1_11comp_targetILNS1_3genE2ELNS1_11target_archE906ELNS1_3gpuE6ELNS1_3repE0EEENS1_30default_config_static_selectorELNS0_4arch9wavefront6targetE0EEEvT1_.num_agpr, 0
	.set _ZN7rocprim17ROCPRIM_400000_NS6detail17trampoline_kernelINS0_14default_configENS1_25partition_config_selectorILNS1_17partition_subalgoE9EllbEEZZNS1_14partition_implILS5_9ELb0ES3_jPlS8_PNS0_10empty_typeENS0_5tupleIJS8_S9_EEENSB_IJS8_SA_EEENS0_18inequality_wrapperIZN2at6native12_GLOBAL__N_124unique_dim_cuda_templateIhEESt5tupleIJNSF_6TensorESK_SK_EERKSK_lbbbEUlllE0_EEPmJS9_EEE10hipError_tPvRmT3_T4_T5_T6_T7_T9_mT8_P12ihipStream_tbDpT10_ENKUlT_T0_E_clISt17integral_constantIbLb1EES19_IbLb0EEEEDaS15_S16_EUlS15_E_NS1_11comp_targetILNS1_3genE2ELNS1_11target_archE906ELNS1_3gpuE6ELNS1_3repE0EEENS1_30default_config_static_selectorELNS0_4arch9wavefront6targetE0EEEvT1_.numbered_sgpr, 0
	.set _ZN7rocprim17ROCPRIM_400000_NS6detail17trampoline_kernelINS0_14default_configENS1_25partition_config_selectorILNS1_17partition_subalgoE9EllbEEZZNS1_14partition_implILS5_9ELb0ES3_jPlS8_PNS0_10empty_typeENS0_5tupleIJS8_S9_EEENSB_IJS8_SA_EEENS0_18inequality_wrapperIZN2at6native12_GLOBAL__N_124unique_dim_cuda_templateIhEESt5tupleIJNSF_6TensorESK_SK_EERKSK_lbbbEUlllE0_EEPmJS9_EEE10hipError_tPvRmT3_T4_T5_T6_T7_T9_mT8_P12ihipStream_tbDpT10_ENKUlT_T0_E_clISt17integral_constantIbLb1EES19_IbLb0EEEEDaS15_S16_EUlS15_E_NS1_11comp_targetILNS1_3genE2ELNS1_11target_archE906ELNS1_3gpuE6ELNS1_3repE0EEENS1_30default_config_static_selectorELNS0_4arch9wavefront6targetE0EEEvT1_.num_named_barrier, 0
	.set _ZN7rocprim17ROCPRIM_400000_NS6detail17trampoline_kernelINS0_14default_configENS1_25partition_config_selectorILNS1_17partition_subalgoE9EllbEEZZNS1_14partition_implILS5_9ELb0ES3_jPlS8_PNS0_10empty_typeENS0_5tupleIJS8_S9_EEENSB_IJS8_SA_EEENS0_18inequality_wrapperIZN2at6native12_GLOBAL__N_124unique_dim_cuda_templateIhEESt5tupleIJNSF_6TensorESK_SK_EERKSK_lbbbEUlllE0_EEPmJS9_EEE10hipError_tPvRmT3_T4_T5_T6_T7_T9_mT8_P12ihipStream_tbDpT10_ENKUlT_T0_E_clISt17integral_constantIbLb1EES19_IbLb0EEEEDaS15_S16_EUlS15_E_NS1_11comp_targetILNS1_3genE2ELNS1_11target_archE906ELNS1_3gpuE6ELNS1_3repE0EEENS1_30default_config_static_selectorELNS0_4arch9wavefront6targetE0EEEvT1_.private_seg_size, 0
	.set _ZN7rocprim17ROCPRIM_400000_NS6detail17trampoline_kernelINS0_14default_configENS1_25partition_config_selectorILNS1_17partition_subalgoE9EllbEEZZNS1_14partition_implILS5_9ELb0ES3_jPlS8_PNS0_10empty_typeENS0_5tupleIJS8_S9_EEENSB_IJS8_SA_EEENS0_18inequality_wrapperIZN2at6native12_GLOBAL__N_124unique_dim_cuda_templateIhEESt5tupleIJNSF_6TensorESK_SK_EERKSK_lbbbEUlllE0_EEPmJS9_EEE10hipError_tPvRmT3_T4_T5_T6_T7_T9_mT8_P12ihipStream_tbDpT10_ENKUlT_T0_E_clISt17integral_constantIbLb1EES19_IbLb0EEEEDaS15_S16_EUlS15_E_NS1_11comp_targetILNS1_3genE2ELNS1_11target_archE906ELNS1_3gpuE6ELNS1_3repE0EEENS1_30default_config_static_selectorELNS0_4arch9wavefront6targetE0EEEvT1_.uses_vcc, 0
	.set _ZN7rocprim17ROCPRIM_400000_NS6detail17trampoline_kernelINS0_14default_configENS1_25partition_config_selectorILNS1_17partition_subalgoE9EllbEEZZNS1_14partition_implILS5_9ELb0ES3_jPlS8_PNS0_10empty_typeENS0_5tupleIJS8_S9_EEENSB_IJS8_SA_EEENS0_18inequality_wrapperIZN2at6native12_GLOBAL__N_124unique_dim_cuda_templateIhEESt5tupleIJNSF_6TensorESK_SK_EERKSK_lbbbEUlllE0_EEPmJS9_EEE10hipError_tPvRmT3_T4_T5_T6_T7_T9_mT8_P12ihipStream_tbDpT10_ENKUlT_T0_E_clISt17integral_constantIbLb1EES19_IbLb0EEEEDaS15_S16_EUlS15_E_NS1_11comp_targetILNS1_3genE2ELNS1_11target_archE906ELNS1_3gpuE6ELNS1_3repE0EEENS1_30default_config_static_selectorELNS0_4arch9wavefront6targetE0EEEvT1_.uses_flat_scratch, 0
	.set _ZN7rocprim17ROCPRIM_400000_NS6detail17trampoline_kernelINS0_14default_configENS1_25partition_config_selectorILNS1_17partition_subalgoE9EllbEEZZNS1_14partition_implILS5_9ELb0ES3_jPlS8_PNS0_10empty_typeENS0_5tupleIJS8_S9_EEENSB_IJS8_SA_EEENS0_18inequality_wrapperIZN2at6native12_GLOBAL__N_124unique_dim_cuda_templateIhEESt5tupleIJNSF_6TensorESK_SK_EERKSK_lbbbEUlllE0_EEPmJS9_EEE10hipError_tPvRmT3_T4_T5_T6_T7_T9_mT8_P12ihipStream_tbDpT10_ENKUlT_T0_E_clISt17integral_constantIbLb1EES19_IbLb0EEEEDaS15_S16_EUlS15_E_NS1_11comp_targetILNS1_3genE2ELNS1_11target_archE906ELNS1_3gpuE6ELNS1_3repE0EEENS1_30default_config_static_selectorELNS0_4arch9wavefront6targetE0EEEvT1_.has_dyn_sized_stack, 0
	.set _ZN7rocprim17ROCPRIM_400000_NS6detail17trampoline_kernelINS0_14default_configENS1_25partition_config_selectorILNS1_17partition_subalgoE9EllbEEZZNS1_14partition_implILS5_9ELb0ES3_jPlS8_PNS0_10empty_typeENS0_5tupleIJS8_S9_EEENSB_IJS8_SA_EEENS0_18inequality_wrapperIZN2at6native12_GLOBAL__N_124unique_dim_cuda_templateIhEESt5tupleIJNSF_6TensorESK_SK_EERKSK_lbbbEUlllE0_EEPmJS9_EEE10hipError_tPvRmT3_T4_T5_T6_T7_T9_mT8_P12ihipStream_tbDpT10_ENKUlT_T0_E_clISt17integral_constantIbLb1EES19_IbLb0EEEEDaS15_S16_EUlS15_E_NS1_11comp_targetILNS1_3genE2ELNS1_11target_archE906ELNS1_3gpuE6ELNS1_3repE0EEENS1_30default_config_static_selectorELNS0_4arch9wavefront6targetE0EEEvT1_.has_recursion, 0
	.set _ZN7rocprim17ROCPRIM_400000_NS6detail17trampoline_kernelINS0_14default_configENS1_25partition_config_selectorILNS1_17partition_subalgoE9EllbEEZZNS1_14partition_implILS5_9ELb0ES3_jPlS8_PNS0_10empty_typeENS0_5tupleIJS8_S9_EEENSB_IJS8_SA_EEENS0_18inequality_wrapperIZN2at6native12_GLOBAL__N_124unique_dim_cuda_templateIhEESt5tupleIJNSF_6TensorESK_SK_EERKSK_lbbbEUlllE0_EEPmJS9_EEE10hipError_tPvRmT3_T4_T5_T6_T7_T9_mT8_P12ihipStream_tbDpT10_ENKUlT_T0_E_clISt17integral_constantIbLb1EES19_IbLb0EEEEDaS15_S16_EUlS15_E_NS1_11comp_targetILNS1_3genE2ELNS1_11target_archE906ELNS1_3gpuE6ELNS1_3repE0EEENS1_30default_config_static_selectorELNS0_4arch9wavefront6targetE0EEEvT1_.has_indirect_call, 0
	.section	.AMDGPU.csdata,"",@progbits
; Kernel info:
; codeLenInByte = 0
; TotalNumSgprs: 0
; NumVgprs: 0
; ScratchSize: 0
; MemoryBound: 0
; FloatMode: 240
; IeeeMode: 1
; LDSByteSize: 0 bytes/workgroup (compile time only)
; SGPRBlocks: 0
; VGPRBlocks: 0
; NumSGPRsForWavesPerEU: 1
; NumVGPRsForWavesPerEU: 1
; NamedBarCnt: 0
; Occupancy: 16
; WaveLimiterHint : 0
; COMPUTE_PGM_RSRC2:SCRATCH_EN: 0
; COMPUTE_PGM_RSRC2:USER_SGPR: 2
; COMPUTE_PGM_RSRC2:TRAP_HANDLER: 0
; COMPUTE_PGM_RSRC2:TGID_X_EN: 1
; COMPUTE_PGM_RSRC2:TGID_Y_EN: 0
; COMPUTE_PGM_RSRC2:TGID_Z_EN: 0
; COMPUTE_PGM_RSRC2:TIDIG_COMP_CNT: 0
	.section	.text._ZN7rocprim17ROCPRIM_400000_NS6detail17trampoline_kernelINS0_14default_configENS1_25partition_config_selectorILNS1_17partition_subalgoE9EllbEEZZNS1_14partition_implILS5_9ELb0ES3_jPlS8_PNS0_10empty_typeENS0_5tupleIJS8_S9_EEENSB_IJS8_SA_EEENS0_18inequality_wrapperIZN2at6native12_GLOBAL__N_124unique_dim_cuda_templateIhEESt5tupleIJNSF_6TensorESK_SK_EERKSK_lbbbEUlllE0_EEPmJS9_EEE10hipError_tPvRmT3_T4_T5_T6_T7_T9_mT8_P12ihipStream_tbDpT10_ENKUlT_T0_E_clISt17integral_constantIbLb1EES19_IbLb0EEEEDaS15_S16_EUlS15_E_NS1_11comp_targetILNS1_3genE10ELNS1_11target_archE1200ELNS1_3gpuE4ELNS1_3repE0EEENS1_30default_config_static_selectorELNS0_4arch9wavefront6targetE0EEEvT1_,"axG",@progbits,_ZN7rocprim17ROCPRIM_400000_NS6detail17trampoline_kernelINS0_14default_configENS1_25partition_config_selectorILNS1_17partition_subalgoE9EllbEEZZNS1_14partition_implILS5_9ELb0ES3_jPlS8_PNS0_10empty_typeENS0_5tupleIJS8_S9_EEENSB_IJS8_SA_EEENS0_18inequality_wrapperIZN2at6native12_GLOBAL__N_124unique_dim_cuda_templateIhEESt5tupleIJNSF_6TensorESK_SK_EERKSK_lbbbEUlllE0_EEPmJS9_EEE10hipError_tPvRmT3_T4_T5_T6_T7_T9_mT8_P12ihipStream_tbDpT10_ENKUlT_T0_E_clISt17integral_constantIbLb1EES19_IbLb0EEEEDaS15_S16_EUlS15_E_NS1_11comp_targetILNS1_3genE10ELNS1_11target_archE1200ELNS1_3gpuE4ELNS1_3repE0EEENS1_30default_config_static_selectorELNS0_4arch9wavefront6targetE0EEEvT1_,comdat
	.globl	_ZN7rocprim17ROCPRIM_400000_NS6detail17trampoline_kernelINS0_14default_configENS1_25partition_config_selectorILNS1_17partition_subalgoE9EllbEEZZNS1_14partition_implILS5_9ELb0ES3_jPlS8_PNS0_10empty_typeENS0_5tupleIJS8_S9_EEENSB_IJS8_SA_EEENS0_18inequality_wrapperIZN2at6native12_GLOBAL__N_124unique_dim_cuda_templateIhEESt5tupleIJNSF_6TensorESK_SK_EERKSK_lbbbEUlllE0_EEPmJS9_EEE10hipError_tPvRmT3_T4_T5_T6_T7_T9_mT8_P12ihipStream_tbDpT10_ENKUlT_T0_E_clISt17integral_constantIbLb1EES19_IbLb0EEEEDaS15_S16_EUlS15_E_NS1_11comp_targetILNS1_3genE10ELNS1_11target_archE1200ELNS1_3gpuE4ELNS1_3repE0EEENS1_30default_config_static_selectorELNS0_4arch9wavefront6targetE0EEEvT1_ ; -- Begin function _ZN7rocprim17ROCPRIM_400000_NS6detail17trampoline_kernelINS0_14default_configENS1_25partition_config_selectorILNS1_17partition_subalgoE9EllbEEZZNS1_14partition_implILS5_9ELb0ES3_jPlS8_PNS0_10empty_typeENS0_5tupleIJS8_S9_EEENSB_IJS8_SA_EEENS0_18inequality_wrapperIZN2at6native12_GLOBAL__N_124unique_dim_cuda_templateIhEESt5tupleIJNSF_6TensorESK_SK_EERKSK_lbbbEUlllE0_EEPmJS9_EEE10hipError_tPvRmT3_T4_T5_T6_T7_T9_mT8_P12ihipStream_tbDpT10_ENKUlT_T0_E_clISt17integral_constantIbLb1EES19_IbLb0EEEEDaS15_S16_EUlS15_E_NS1_11comp_targetILNS1_3genE10ELNS1_11target_archE1200ELNS1_3gpuE4ELNS1_3repE0EEENS1_30default_config_static_selectorELNS0_4arch9wavefront6targetE0EEEvT1_
	.p2align	8
	.type	_ZN7rocprim17ROCPRIM_400000_NS6detail17trampoline_kernelINS0_14default_configENS1_25partition_config_selectorILNS1_17partition_subalgoE9EllbEEZZNS1_14partition_implILS5_9ELb0ES3_jPlS8_PNS0_10empty_typeENS0_5tupleIJS8_S9_EEENSB_IJS8_SA_EEENS0_18inequality_wrapperIZN2at6native12_GLOBAL__N_124unique_dim_cuda_templateIhEESt5tupleIJNSF_6TensorESK_SK_EERKSK_lbbbEUlllE0_EEPmJS9_EEE10hipError_tPvRmT3_T4_T5_T6_T7_T9_mT8_P12ihipStream_tbDpT10_ENKUlT_T0_E_clISt17integral_constantIbLb1EES19_IbLb0EEEEDaS15_S16_EUlS15_E_NS1_11comp_targetILNS1_3genE10ELNS1_11target_archE1200ELNS1_3gpuE4ELNS1_3repE0EEENS1_30default_config_static_selectorELNS0_4arch9wavefront6targetE0EEEvT1_,@function
_ZN7rocprim17ROCPRIM_400000_NS6detail17trampoline_kernelINS0_14default_configENS1_25partition_config_selectorILNS1_17partition_subalgoE9EllbEEZZNS1_14partition_implILS5_9ELb0ES3_jPlS8_PNS0_10empty_typeENS0_5tupleIJS8_S9_EEENSB_IJS8_SA_EEENS0_18inequality_wrapperIZN2at6native12_GLOBAL__N_124unique_dim_cuda_templateIhEESt5tupleIJNSF_6TensorESK_SK_EERKSK_lbbbEUlllE0_EEPmJS9_EEE10hipError_tPvRmT3_T4_T5_T6_T7_T9_mT8_P12ihipStream_tbDpT10_ENKUlT_T0_E_clISt17integral_constantIbLb1EES19_IbLb0EEEEDaS15_S16_EUlS15_E_NS1_11comp_targetILNS1_3genE10ELNS1_11target_archE1200ELNS1_3gpuE4ELNS1_3repE0EEENS1_30default_config_static_selectorELNS0_4arch9wavefront6targetE0EEEvT1_: ; @_ZN7rocprim17ROCPRIM_400000_NS6detail17trampoline_kernelINS0_14default_configENS1_25partition_config_selectorILNS1_17partition_subalgoE9EllbEEZZNS1_14partition_implILS5_9ELb0ES3_jPlS8_PNS0_10empty_typeENS0_5tupleIJS8_S9_EEENSB_IJS8_SA_EEENS0_18inequality_wrapperIZN2at6native12_GLOBAL__N_124unique_dim_cuda_templateIhEESt5tupleIJNSF_6TensorESK_SK_EERKSK_lbbbEUlllE0_EEPmJS9_EEE10hipError_tPvRmT3_T4_T5_T6_T7_T9_mT8_P12ihipStream_tbDpT10_ENKUlT_T0_E_clISt17integral_constantIbLb1EES19_IbLb0EEEEDaS15_S16_EUlS15_E_NS1_11comp_targetILNS1_3genE10ELNS1_11target_archE1200ELNS1_3gpuE4ELNS1_3repE0EEENS1_30default_config_static_selectorELNS0_4arch9wavefront6targetE0EEEvT1_
; %bb.0:
	.section	.rodata,"a",@progbits
	.p2align	6, 0x0
	.amdhsa_kernel _ZN7rocprim17ROCPRIM_400000_NS6detail17trampoline_kernelINS0_14default_configENS1_25partition_config_selectorILNS1_17partition_subalgoE9EllbEEZZNS1_14partition_implILS5_9ELb0ES3_jPlS8_PNS0_10empty_typeENS0_5tupleIJS8_S9_EEENSB_IJS8_SA_EEENS0_18inequality_wrapperIZN2at6native12_GLOBAL__N_124unique_dim_cuda_templateIhEESt5tupleIJNSF_6TensorESK_SK_EERKSK_lbbbEUlllE0_EEPmJS9_EEE10hipError_tPvRmT3_T4_T5_T6_T7_T9_mT8_P12ihipStream_tbDpT10_ENKUlT_T0_E_clISt17integral_constantIbLb1EES19_IbLb0EEEEDaS15_S16_EUlS15_E_NS1_11comp_targetILNS1_3genE10ELNS1_11target_archE1200ELNS1_3gpuE4ELNS1_3repE0EEENS1_30default_config_static_selectorELNS0_4arch9wavefront6targetE0EEEvT1_
		.amdhsa_group_segment_fixed_size 0
		.amdhsa_private_segment_fixed_size 0
		.amdhsa_kernarg_size 120
		.amdhsa_user_sgpr_count 2
		.amdhsa_user_sgpr_dispatch_ptr 0
		.amdhsa_user_sgpr_queue_ptr 0
		.amdhsa_user_sgpr_kernarg_segment_ptr 1
		.amdhsa_user_sgpr_dispatch_id 0
		.amdhsa_user_sgpr_kernarg_preload_length 0
		.amdhsa_user_sgpr_kernarg_preload_offset 0
		.amdhsa_user_sgpr_private_segment_size 0
		.amdhsa_wavefront_size32 1
		.amdhsa_uses_dynamic_stack 0
		.amdhsa_enable_private_segment 0
		.amdhsa_system_sgpr_workgroup_id_x 1
		.amdhsa_system_sgpr_workgroup_id_y 0
		.amdhsa_system_sgpr_workgroup_id_z 0
		.amdhsa_system_sgpr_workgroup_info 0
		.amdhsa_system_vgpr_workitem_id 0
		.amdhsa_next_free_vgpr 1
		.amdhsa_next_free_sgpr 1
		.amdhsa_named_barrier_count 0
		.amdhsa_reserve_vcc 0
		.amdhsa_float_round_mode_32 0
		.amdhsa_float_round_mode_16_64 0
		.amdhsa_float_denorm_mode_32 3
		.amdhsa_float_denorm_mode_16_64 3
		.amdhsa_fp16_overflow 0
		.amdhsa_memory_ordered 1
		.amdhsa_forward_progress 1
		.amdhsa_inst_pref_size 0
		.amdhsa_round_robin_scheduling 0
		.amdhsa_exception_fp_ieee_invalid_op 0
		.amdhsa_exception_fp_denorm_src 0
		.amdhsa_exception_fp_ieee_div_zero 0
		.amdhsa_exception_fp_ieee_overflow 0
		.amdhsa_exception_fp_ieee_underflow 0
		.amdhsa_exception_fp_ieee_inexact 0
		.amdhsa_exception_int_div_zero 0
	.end_amdhsa_kernel
	.section	.text._ZN7rocprim17ROCPRIM_400000_NS6detail17trampoline_kernelINS0_14default_configENS1_25partition_config_selectorILNS1_17partition_subalgoE9EllbEEZZNS1_14partition_implILS5_9ELb0ES3_jPlS8_PNS0_10empty_typeENS0_5tupleIJS8_S9_EEENSB_IJS8_SA_EEENS0_18inequality_wrapperIZN2at6native12_GLOBAL__N_124unique_dim_cuda_templateIhEESt5tupleIJNSF_6TensorESK_SK_EERKSK_lbbbEUlllE0_EEPmJS9_EEE10hipError_tPvRmT3_T4_T5_T6_T7_T9_mT8_P12ihipStream_tbDpT10_ENKUlT_T0_E_clISt17integral_constantIbLb1EES19_IbLb0EEEEDaS15_S16_EUlS15_E_NS1_11comp_targetILNS1_3genE10ELNS1_11target_archE1200ELNS1_3gpuE4ELNS1_3repE0EEENS1_30default_config_static_selectorELNS0_4arch9wavefront6targetE0EEEvT1_,"axG",@progbits,_ZN7rocprim17ROCPRIM_400000_NS6detail17trampoline_kernelINS0_14default_configENS1_25partition_config_selectorILNS1_17partition_subalgoE9EllbEEZZNS1_14partition_implILS5_9ELb0ES3_jPlS8_PNS0_10empty_typeENS0_5tupleIJS8_S9_EEENSB_IJS8_SA_EEENS0_18inequality_wrapperIZN2at6native12_GLOBAL__N_124unique_dim_cuda_templateIhEESt5tupleIJNSF_6TensorESK_SK_EERKSK_lbbbEUlllE0_EEPmJS9_EEE10hipError_tPvRmT3_T4_T5_T6_T7_T9_mT8_P12ihipStream_tbDpT10_ENKUlT_T0_E_clISt17integral_constantIbLb1EES19_IbLb0EEEEDaS15_S16_EUlS15_E_NS1_11comp_targetILNS1_3genE10ELNS1_11target_archE1200ELNS1_3gpuE4ELNS1_3repE0EEENS1_30default_config_static_selectorELNS0_4arch9wavefront6targetE0EEEvT1_,comdat
.Lfunc_end225:
	.size	_ZN7rocprim17ROCPRIM_400000_NS6detail17trampoline_kernelINS0_14default_configENS1_25partition_config_selectorILNS1_17partition_subalgoE9EllbEEZZNS1_14partition_implILS5_9ELb0ES3_jPlS8_PNS0_10empty_typeENS0_5tupleIJS8_S9_EEENSB_IJS8_SA_EEENS0_18inequality_wrapperIZN2at6native12_GLOBAL__N_124unique_dim_cuda_templateIhEESt5tupleIJNSF_6TensorESK_SK_EERKSK_lbbbEUlllE0_EEPmJS9_EEE10hipError_tPvRmT3_T4_T5_T6_T7_T9_mT8_P12ihipStream_tbDpT10_ENKUlT_T0_E_clISt17integral_constantIbLb1EES19_IbLb0EEEEDaS15_S16_EUlS15_E_NS1_11comp_targetILNS1_3genE10ELNS1_11target_archE1200ELNS1_3gpuE4ELNS1_3repE0EEENS1_30default_config_static_selectorELNS0_4arch9wavefront6targetE0EEEvT1_, .Lfunc_end225-_ZN7rocprim17ROCPRIM_400000_NS6detail17trampoline_kernelINS0_14default_configENS1_25partition_config_selectorILNS1_17partition_subalgoE9EllbEEZZNS1_14partition_implILS5_9ELb0ES3_jPlS8_PNS0_10empty_typeENS0_5tupleIJS8_S9_EEENSB_IJS8_SA_EEENS0_18inequality_wrapperIZN2at6native12_GLOBAL__N_124unique_dim_cuda_templateIhEESt5tupleIJNSF_6TensorESK_SK_EERKSK_lbbbEUlllE0_EEPmJS9_EEE10hipError_tPvRmT3_T4_T5_T6_T7_T9_mT8_P12ihipStream_tbDpT10_ENKUlT_T0_E_clISt17integral_constantIbLb1EES19_IbLb0EEEEDaS15_S16_EUlS15_E_NS1_11comp_targetILNS1_3genE10ELNS1_11target_archE1200ELNS1_3gpuE4ELNS1_3repE0EEENS1_30default_config_static_selectorELNS0_4arch9wavefront6targetE0EEEvT1_
                                        ; -- End function
	.set _ZN7rocprim17ROCPRIM_400000_NS6detail17trampoline_kernelINS0_14default_configENS1_25partition_config_selectorILNS1_17partition_subalgoE9EllbEEZZNS1_14partition_implILS5_9ELb0ES3_jPlS8_PNS0_10empty_typeENS0_5tupleIJS8_S9_EEENSB_IJS8_SA_EEENS0_18inequality_wrapperIZN2at6native12_GLOBAL__N_124unique_dim_cuda_templateIhEESt5tupleIJNSF_6TensorESK_SK_EERKSK_lbbbEUlllE0_EEPmJS9_EEE10hipError_tPvRmT3_T4_T5_T6_T7_T9_mT8_P12ihipStream_tbDpT10_ENKUlT_T0_E_clISt17integral_constantIbLb1EES19_IbLb0EEEEDaS15_S16_EUlS15_E_NS1_11comp_targetILNS1_3genE10ELNS1_11target_archE1200ELNS1_3gpuE4ELNS1_3repE0EEENS1_30default_config_static_selectorELNS0_4arch9wavefront6targetE0EEEvT1_.num_vgpr, 0
	.set _ZN7rocprim17ROCPRIM_400000_NS6detail17trampoline_kernelINS0_14default_configENS1_25partition_config_selectorILNS1_17partition_subalgoE9EllbEEZZNS1_14partition_implILS5_9ELb0ES3_jPlS8_PNS0_10empty_typeENS0_5tupleIJS8_S9_EEENSB_IJS8_SA_EEENS0_18inequality_wrapperIZN2at6native12_GLOBAL__N_124unique_dim_cuda_templateIhEESt5tupleIJNSF_6TensorESK_SK_EERKSK_lbbbEUlllE0_EEPmJS9_EEE10hipError_tPvRmT3_T4_T5_T6_T7_T9_mT8_P12ihipStream_tbDpT10_ENKUlT_T0_E_clISt17integral_constantIbLb1EES19_IbLb0EEEEDaS15_S16_EUlS15_E_NS1_11comp_targetILNS1_3genE10ELNS1_11target_archE1200ELNS1_3gpuE4ELNS1_3repE0EEENS1_30default_config_static_selectorELNS0_4arch9wavefront6targetE0EEEvT1_.num_agpr, 0
	.set _ZN7rocprim17ROCPRIM_400000_NS6detail17trampoline_kernelINS0_14default_configENS1_25partition_config_selectorILNS1_17partition_subalgoE9EllbEEZZNS1_14partition_implILS5_9ELb0ES3_jPlS8_PNS0_10empty_typeENS0_5tupleIJS8_S9_EEENSB_IJS8_SA_EEENS0_18inequality_wrapperIZN2at6native12_GLOBAL__N_124unique_dim_cuda_templateIhEESt5tupleIJNSF_6TensorESK_SK_EERKSK_lbbbEUlllE0_EEPmJS9_EEE10hipError_tPvRmT3_T4_T5_T6_T7_T9_mT8_P12ihipStream_tbDpT10_ENKUlT_T0_E_clISt17integral_constantIbLb1EES19_IbLb0EEEEDaS15_S16_EUlS15_E_NS1_11comp_targetILNS1_3genE10ELNS1_11target_archE1200ELNS1_3gpuE4ELNS1_3repE0EEENS1_30default_config_static_selectorELNS0_4arch9wavefront6targetE0EEEvT1_.numbered_sgpr, 0
	.set _ZN7rocprim17ROCPRIM_400000_NS6detail17trampoline_kernelINS0_14default_configENS1_25partition_config_selectorILNS1_17partition_subalgoE9EllbEEZZNS1_14partition_implILS5_9ELb0ES3_jPlS8_PNS0_10empty_typeENS0_5tupleIJS8_S9_EEENSB_IJS8_SA_EEENS0_18inequality_wrapperIZN2at6native12_GLOBAL__N_124unique_dim_cuda_templateIhEESt5tupleIJNSF_6TensorESK_SK_EERKSK_lbbbEUlllE0_EEPmJS9_EEE10hipError_tPvRmT3_T4_T5_T6_T7_T9_mT8_P12ihipStream_tbDpT10_ENKUlT_T0_E_clISt17integral_constantIbLb1EES19_IbLb0EEEEDaS15_S16_EUlS15_E_NS1_11comp_targetILNS1_3genE10ELNS1_11target_archE1200ELNS1_3gpuE4ELNS1_3repE0EEENS1_30default_config_static_selectorELNS0_4arch9wavefront6targetE0EEEvT1_.num_named_barrier, 0
	.set _ZN7rocprim17ROCPRIM_400000_NS6detail17trampoline_kernelINS0_14default_configENS1_25partition_config_selectorILNS1_17partition_subalgoE9EllbEEZZNS1_14partition_implILS5_9ELb0ES3_jPlS8_PNS0_10empty_typeENS0_5tupleIJS8_S9_EEENSB_IJS8_SA_EEENS0_18inequality_wrapperIZN2at6native12_GLOBAL__N_124unique_dim_cuda_templateIhEESt5tupleIJNSF_6TensorESK_SK_EERKSK_lbbbEUlllE0_EEPmJS9_EEE10hipError_tPvRmT3_T4_T5_T6_T7_T9_mT8_P12ihipStream_tbDpT10_ENKUlT_T0_E_clISt17integral_constantIbLb1EES19_IbLb0EEEEDaS15_S16_EUlS15_E_NS1_11comp_targetILNS1_3genE10ELNS1_11target_archE1200ELNS1_3gpuE4ELNS1_3repE0EEENS1_30default_config_static_selectorELNS0_4arch9wavefront6targetE0EEEvT1_.private_seg_size, 0
	.set _ZN7rocprim17ROCPRIM_400000_NS6detail17trampoline_kernelINS0_14default_configENS1_25partition_config_selectorILNS1_17partition_subalgoE9EllbEEZZNS1_14partition_implILS5_9ELb0ES3_jPlS8_PNS0_10empty_typeENS0_5tupleIJS8_S9_EEENSB_IJS8_SA_EEENS0_18inequality_wrapperIZN2at6native12_GLOBAL__N_124unique_dim_cuda_templateIhEESt5tupleIJNSF_6TensorESK_SK_EERKSK_lbbbEUlllE0_EEPmJS9_EEE10hipError_tPvRmT3_T4_T5_T6_T7_T9_mT8_P12ihipStream_tbDpT10_ENKUlT_T0_E_clISt17integral_constantIbLb1EES19_IbLb0EEEEDaS15_S16_EUlS15_E_NS1_11comp_targetILNS1_3genE10ELNS1_11target_archE1200ELNS1_3gpuE4ELNS1_3repE0EEENS1_30default_config_static_selectorELNS0_4arch9wavefront6targetE0EEEvT1_.uses_vcc, 0
	.set _ZN7rocprim17ROCPRIM_400000_NS6detail17trampoline_kernelINS0_14default_configENS1_25partition_config_selectorILNS1_17partition_subalgoE9EllbEEZZNS1_14partition_implILS5_9ELb0ES3_jPlS8_PNS0_10empty_typeENS0_5tupleIJS8_S9_EEENSB_IJS8_SA_EEENS0_18inequality_wrapperIZN2at6native12_GLOBAL__N_124unique_dim_cuda_templateIhEESt5tupleIJNSF_6TensorESK_SK_EERKSK_lbbbEUlllE0_EEPmJS9_EEE10hipError_tPvRmT3_T4_T5_T6_T7_T9_mT8_P12ihipStream_tbDpT10_ENKUlT_T0_E_clISt17integral_constantIbLb1EES19_IbLb0EEEEDaS15_S16_EUlS15_E_NS1_11comp_targetILNS1_3genE10ELNS1_11target_archE1200ELNS1_3gpuE4ELNS1_3repE0EEENS1_30default_config_static_selectorELNS0_4arch9wavefront6targetE0EEEvT1_.uses_flat_scratch, 0
	.set _ZN7rocprim17ROCPRIM_400000_NS6detail17trampoline_kernelINS0_14default_configENS1_25partition_config_selectorILNS1_17partition_subalgoE9EllbEEZZNS1_14partition_implILS5_9ELb0ES3_jPlS8_PNS0_10empty_typeENS0_5tupleIJS8_S9_EEENSB_IJS8_SA_EEENS0_18inequality_wrapperIZN2at6native12_GLOBAL__N_124unique_dim_cuda_templateIhEESt5tupleIJNSF_6TensorESK_SK_EERKSK_lbbbEUlllE0_EEPmJS9_EEE10hipError_tPvRmT3_T4_T5_T6_T7_T9_mT8_P12ihipStream_tbDpT10_ENKUlT_T0_E_clISt17integral_constantIbLb1EES19_IbLb0EEEEDaS15_S16_EUlS15_E_NS1_11comp_targetILNS1_3genE10ELNS1_11target_archE1200ELNS1_3gpuE4ELNS1_3repE0EEENS1_30default_config_static_selectorELNS0_4arch9wavefront6targetE0EEEvT1_.has_dyn_sized_stack, 0
	.set _ZN7rocprim17ROCPRIM_400000_NS6detail17trampoline_kernelINS0_14default_configENS1_25partition_config_selectorILNS1_17partition_subalgoE9EllbEEZZNS1_14partition_implILS5_9ELb0ES3_jPlS8_PNS0_10empty_typeENS0_5tupleIJS8_S9_EEENSB_IJS8_SA_EEENS0_18inequality_wrapperIZN2at6native12_GLOBAL__N_124unique_dim_cuda_templateIhEESt5tupleIJNSF_6TensorESK_SK_EERKSK_lbbbEUlllE0_EEPmJS9_EEE10hipError_tPvRmT3_T4_T5_T6_T7_T9_mT8_P12ihipStream_tbDpT10_ENKUlT_T0_E_clISt17integral_constantIbLb1EES19_IbLb0EEEEDaS15_S16_EUlS15_E_NS1_11comp_targetILNS1_3genE10ELNS1_11target_archE1200ELNS1_3gpuE4ELNS1_3repE0EEENS1_30default_config_static_selectorELNS0_4arch9wavefront6targetE0EEEvT1_.has_recursion, 0
	.set _ZN7rocprim17ROCPRIM_400000_NS6detail17trampoline_kernelINS0_14default_configENS1_25partition_config_selectorILNS1_17partition_subalgoE9EllbEEZZNS1_14partition_implILS5_9ELb0ES3_jPlS8_PNS0_10empty_typeENS0_5tupleIJS8_S9_EEENSB_IJS8_SA_EEENS0_18inequality_wrapperIZN2at6native12_GLOBAL__N_124unique_dim_cuda_templateIhEESt5tupleIJNSF_6TensorESK_SK_EERKSK_lbbbEUlllE0_EEPmJS9_EEE10hipError_tPvRmT3_T4_T5_T6_T7_T9_mT8_P12ihipStream_tbDpT10_ENKUlT_T0_E_clISt17integral_constantIbLb1EES19_IbLb0EEEEDaS15_S16_EUlS15_E_NS1_11comp_targetILNS1_3genE10ELNS1_11target_archE1200ELNS1_3gpuE4ELNS1_3repE0EEENS1_30default_config_static_selectorELNS0_4arch9wavefront6targetE0EEEvT1_.has_indirect_call, 0
	.section	.AMDGPU.csdata,"",@progbits
; Kernel info:
; codeLenInByte = 0
; TotalNumSgprs: 0
; NumVgprs: 0
; ScratchSize: 0
; MemoryBound: 0
; FloatMode: 240
; IeeeMode: 1
; LDSByteSize: 0 bytes/workgroup (compile time only)
; SGPRBlocks: 0
; VGPRBlocks: 0
; NumSGPRsForWavesPerEU: 1
; NumVGPRsForWavesPerEU: 1
; NamedBarCnt: 0
; Occupancy: 16
; WaveLimiterHint : 0
; COMPUTE_PGM_RSRC2:SCRATCH_EN: 0
; COMPUTE_PGM_RSRC2:USER_SGPR: 2
; COMPUTE_PGM_RSRC2:TRAP_HANDLER: 0
; COMPUTE_PGM_RSRC2:TGID_X_EN: 1
; COMPUTE_PGM_RSRC2:TGID_Y_EN: 0
; COMPUTE_PGM_RSRC2:TGID_Z_EN: 0
; COMPUTE_PGM_RSRC2:TIDIG_COMP_CNT: 0
	.section	.text._ZN7rocprim17ROCPRIM_400000_NS6detail17trampoline_kernelINS0_14default_configENS1_25partition_config_selectorILNS1_17partition_subalgoE9EllbEEZZNS1_14partition_implILS5_9ELb0ES3_jPlS8_PNS0_10empty_typeENS0_5tupleIJS8_S9_EEENSB_IJS8_SA_EEENS0_18inequality_wrapperIZN2at6native12_GLOBAL__N_124unique_dim_cuda_templateIhEESt5tupleIJNSF_6TensorESK_SK_EERKSK_lbbbEUlllE0_EEPmJS9_EEE10hipError_tPvRmT3_T4_T5_T6_T7_T9_mT8_P12ihipStream_tbDpT10_ENKUlT_T0_E_clISt17integral_constantIbLb1EES19_IbLb0EEEEDaS15_S16_EUlS15_E_NS1_11comp_targetILNS1_3genE9ELNS1_11target_archE1100ELNS1_3gpuE3ELNS1_3repE0EEENS1_30default_config_static_selectorELNS0_4arch9wavefront6targetE0EEEvT1_,"axG",@progbits,_ZN7rocprim17ROCPRIM_400000_NS6detail17trampoline_kernelINS0_14default_configENS1_25partition_config_selectorILNS1_17partition_subalgoE9EllbEEZZNS1_14partition_implILS5_9ELb0ES3_jPlS8_PNS0_10empty_typeENS0_5tupleIJS8_S9_EEENSB_IJS8_SA_EEENS0_18inequality_wrapperIZN2at6native12_GLOBAL__N_124unique_dim_cuda_templateIhEESt5tupleIJNSF_6TensorESK_SK_EERKSK_lbbbEUlllE0_EEPmJS9_EEE10hipError_tPvRmT3_T4_T5_T6_T7_T9_mT8_P12ihipStream_tbDpT10_ENKUlT_T0_E_clISt17integral_constantIbLb1EES19_IbLb0EEEEDaS15_S16_EUlS15_E_NS1_11comp_targetILNS1_3genE9ELNS1_11target_archE1100ELNS1_3gpuE3ELNS1_3repE0EEENS1_30default_config_static_selectorELNS0_4arch9wavefront6targetE0EEEvT1_,comdat
	.globl	_ZN7rocprim17ROCPRIM_400000_NS6detail17trampoline_kernelINS0_14default_configENS1_25partition_config_selectorILNS1_17partition_subalgoE9EllbEEZZNS1_14partition_implILS5_9ELb0ES3_jPlS8_PNS0_10empty_typeENS0_5tupleIJS8_S9_EEENSB_IJS8_SA_EEENS0_18inequality_wrapperIZN2at6native12_GLOBAL__N_124unique_dim_cuda_templateIhEESt5tupleIJNSF_6TensorESK_SK_EERKSK_lbbbEUlllE0_EEPmJS9_EEE10hipError_tPvRmT3_T4_T5_T6_T7_T9_mT8_P12ihipStream_tbDpT10_ENKUlT_T0_E_clISt17integral_constantIbLb1EES19_IbLb0EEEEDaS15_S16_EUlS15_E_NS1_11comp_targetILNS1_3genE9ELNS1_11target_archE1100ELNS1_3gpuE3ELNS1_3repE0EEENS1_30default_config_static_selectorELNS0_4arch9wavefront6targetE0EEEvT1_ ; -- Begin function _ZN7rocprim17ROCPRIM_400000_NS6detail17trampoline_kernelINS0_14default_configENS1_25partition_config_selectorILNS1_17partition_subalgoE9EllbEEZZNS1_14partition_implILS5_9ELb0ES3_jPlS8_PNS0_10empty_typeENS0_5tupleIJS8_S9_EEENSB_IJS8_SA_EEENS0_18inequality_wrapperIZN2at6native12_GLOBAL__N_124unique_dim_cuda_templateIhEESt5tupleIJNSF_6TensorESK_SK_EERKSK_lbbbEUlllE0_EEPmJS9_EEE10hipError_tPvRmT3_T4_T5_T6_T7_T9_mT8_P12ihipStream_tbDpT10_ENKUlT_T0_E_clISt17integral_constantIbLb1EES19_IbLb0EEEEDaS15_S16_EUlS15_E_NS1_11comp_targetILNS1_3genE9ELNS1_11target_archE1100ELNS1_3gpuE3ELNS1_3repE0EEENS1_30default_config_static_selectorELNS0_4arch9wavefront6targetE0EEEvT1_
	.p2align	8
	.type	_ZN7rocprim17ROCPRIM_400000_NS6detail17trampoline_kernelINS0_14default_configENS1_25partition_config_selectorILNS1_17partition_subalgoE9EllbEEZZNS1_14partition_implILS5_9ELb0ES3_jPlS8_PNS0_10empty_typeENS0_5tupleIJS8_S9_EEENSB_IJS8_SA_EEENS0_18inequality_wrapperIZN2at6native12_GLOBAL__N_124unique_dim_cuda_templateIhEESt5tupleIJNSF_6TensorESK_SK_EERKSK_lbbbEUlllE0_EEPmJS9_EEE10hipError_tPvRmT3_T4_T5_T6_T7_T9_mT8_P12ihipStream_tbDpT10_ENKUlT_T0_E_clISt17integral_constantIbLb1EES19_IbLb0EEEEDaS15_S16_EUlS15_E_NS1_11comp_targetILNS1_3genE9ELNS1_11target_archE1100ELNS1_3gpuE3ELNS1_3repE0EEENS1_30default_config_static_selectorELNS0_4arch9wavefront6targetE0EEEvT1_,@function
_ZN7rocprim17ROCPRIM_400000_NS6detail17trampoline_kernelINS0_14default_configENS1_25partition_config_selectorILNS1_17partition_subalgoE9EllbEEZZNS1_14partition_implILS5_9ELb0ES3_jPlS8_PNS0_10empty_typeENS0_5tupleIJS8_S9_EEENSB_IJS8_SA_EEENS0_18inequality_wrapperIZN2at6native12_GLOBAL__N_124unique_dim_cuda_templateIhEESt5tupleIJNSF_6TensorESK_SK_EERKSK_lbbbEUlllE0_EEPmJS9_EEE10hipError_tPvRmT3_T4_T5_T6_T7_T9_mT8_P12ihipStream_tbDpT10_ENKUlT_T0_E_clISt17integral_constantIbLb1EES19_IbLb0EEEEDaS15_S16_EUlS15_E_NS1_11comp_targetILNS1_3genE9ELNS1_11target_archE1100ELNS1_3gpuE3ELNS1_3repE0EEENS1_30default_config_static_selectorELNS0_4arch9wavefront6targetE0EEEvT1_: ; @_ZN7rocprim17ROCPRIM_400000_NS6detail17trampoline_kernelINS0_14default_configENS1_25partition_config_selectorILNS1_17partition_subalgoE9EllbEEZZNS1_14partition_implILS5_9ELb0ES3_jPlS8_PNS0_10empty_typeENS0_5tupleIJS8_S9_EEENSB_IJS8_SA_EEENS0_18inequality_wrapperIZN2at6native12_GLOBAL__N_124unique_dim_cuda_templateIhEESt5tupleIJNSF_6TensorESK_SK_EERKSK_lbbbEUlllE0_EEPmJS9_EEE10hipError_tPvRmT3_T4_T5_T6_T7_T9_mT8_P12ihipStream_tbDpT10_ENKUlT_T0_E_clISt17integral_constantIbLb1EES19_IbLb0EEEEDaS15_S16_EUlS15_E_NS1_11comp_targetILNS1_3genE9ELNS1_11target_archE1100ELNS1_3gpuE3ELNS1_3repE0EEENS1_30default_config_static_selectorELNS0_4arch9wavefront6targetE0EEEvT1_
; %bb.0:
	.section	.rodata,"a",@progbits
	.p2align	6, 0x0
	.amdhsa_kernel _ZN7rocprim17ROCPRIM_400000_NS6detail17trampoline_kernelINS0_14default_configENS1_25partition_config_selectorILNS1_17partition_subalgoE9EllbEEZZNS1_14partition_implILS5_9ELb0ES3_jPlS8_PNS0_10empty_typeENS0_5tupleIJS8_S9_EEENSB_IJS8_SA_EEENS0_18inequality_wrapperIZN2at6native12_GLOBAL__N_124unique_dim_cuda_templateIhEESt5tupleIJNSF_6TensorESK_SK_EERKSK_lbbbEUlllE0_EEPmJS9_EEE10hipError_tPvRmT3_T4_T5_T6_T7_T9_mT8_P12ihipStream_tbDpT10_ENKUlT_T0_E_clISt17integral_constantIbLb1EES19_IbLb0EEEEDaS15_S16_EUlS15_E_NS1_11comp_targetILNS1_3genE9ELNS1_11target_archE1100ELNS1_3gpuE3ELNS1_3repE0EEENS1_30default_config_static_selectorELNS0_4arch9wavefront6targetE0EEEvT1_
		.amdhsa_group_segment_fixed_size 0
		.amdhsa_private_segment_fixed_size 0
		.amdhsa_kernarg_size 120
		.amdhsa_user_sgpr_count 2
		.amdhsa_user_sgpr_dispatch_ptr 0
		.amdhsa_user_sgpr_queue_ptr 0
		.amdhsa_user_sgpr_kernarg_segment_ptr 1
		.amdhsa_user_sgpr_dispatch_id 0
		.amdhsa_user_sgpr_kernarg_preload_length 0
		.amdhsa_user_sgpr_kernarg_preload_offset 0
		.amdhsa_user_sgpr_private_segment_size 0
		.amdhsa_wavefront_size32 1
		.amdhsa_uses_dynamic_stack 0
		.amdhsa_enable_private_segment 0
		.amdhsa_system_sgpr_workgroup_id_x 1
		.amdhsa_system_sgpr_workgroup_id_y 0
		.amdhsa_system_sgpr_workgroup_id_z 0
		.amdhsa_system_sgpr_workgroup_info 0
		.amdhsa_system_vgpr_workitem_id 0
		.amdhsa_next_free_vgpr 1
		.amdhsa_next_free_sgpr 1
		.amdhsa_named_barrier_count 0
		.amdhsa_reserve_vcc 0
		.amdhsa_float_round_mode_32 0
		.amdhsa_float_round_mode_16_64 0
		.amdhsa_float_denorm_mode_32 3
		.amdhsa_float_denorm_mode_16_64 3
		.amdhsa_fp16_overflow 0
		.amdhsa_memory_ordered 1
		.amdhsa_forward_progress 1
		.amdhsa_inst_pref_size 0
		.amdhsa_round_robin_scheduling 0
		.amdhsa_exception_fp_ieee_invalid_op 0
		.amdhsa_exception_fp_denorm_src 0
		.amdhsa_exception_fp_ieee_div_zero 0
		.amdhsa_exception_fp_ieee_overflow 0
		.amdhsa_exception_fp_ieee_underflow 0
		.amdhsa_exception_fp_ieee_inexact 0
		.amdhsa_exception_int_div_zero 0
	.end_amdhsa_kernel
	.section	.text._ZN7rocprim17ROCPRIM_400000_NS6detail17trampoline_kernelINS0_14default_configENS1_25partition_config_selectorILNS1_17partition_subalgoE9EllbEEZZNS1_14partition_implILS5_9ELb0ES3_jPlS8_PNS0_10empty_typeENS0_5tupleIJS8_S9_EEENSB_IJS8_SA_EEENS0_18inequality_wrapperIZN2at6native12_GLOBAL__N_124unique_dim_cuda_templateIhEESt5tupleIJNSF_6TensorESK_SK_EERKSK_lbbbEUlllE0_EEPmJS9_EEE10hipError_tPvRmT3_T4_T5_T6_T7_T9_mT8_P12ihipStream_tbDpT10_ENKUlT_T0_E_clISt17integral_constantIbLb1EES19_IbLb0EEEEDaS15_S16_EUlS15_E_NS1_11comp_targetILNS1_3genE9ELNS1_11target_archE1100ELNS1_3gpuE3ELNS1_3repE0EEENS1_30default_config_static_selectorELNS0_4arch9wavefront6targetE0EEEvT1_,"axG",@progbits,_ZN7rocprim17ROCPRIM_400000_NS6detail17trampoline_kernelINS0_14default_configENS1_25partition_config_selectorILNS1_17partition_subalgoE9EllbEEZZNS1_14partition_implILS5_9ELb0ES3_jPlS8_PNS0_10empty_typeENS0_5tupleIJS8_S9_EEENSB_IJS8_SA_EEENS0_18inequality_wrapperIZN2at6native12_GLOBAL__N_124unique_dim_cuda_templateIhEESt5tupleIJNSF_6TensorESK_SK_EERKSK_lbbbEUlllE0_EEPmJS9_EEE10hipError_tPvRmT3_T4_T5_T6_T7_T9_mT8_P12ihipStream_tbDpT10_ENKUlT_T0_E_clISt17integral_constantIbLb1EES19_IbLb0EEEEDaS15_S16_EUlS15_E_NS1_11comp_targetILNS1_3genE9ELNS1_11target_archE1100ELNS1_3gpuE3ELNS1_3repE0EEENS1_30default_config_static_selectorELNS0_4arch9wavefront6targetE0EEEvT1_,comdat
.Lfunc_end226:
	.size	_ZN7rocprim17ROCPRIM_400000_NS6detail17trampoline_kernelINS0_14default_configENS1_25partition_config_selectorILNS1_17partition_subalgoE9EllbEEZZNS1_14partition_implILS5_9ELb0ES3_jPlS8_PNS0_10empty_typeENS0_5tupleIJS8_S9_EEENSB_IJS8_SA_EEENS0_18inequality_wrapperIZN2at6native12_GLOBAL__N_124unique_dim_cuda_templateIhEESt5tupleIJNSF_6TensorESK_SK_EERKSK_lbbbEUlllE0_EEPmJS9_EEE10hipError_tPvRmT3_T4_T5_T6_T7_T9_mT8_P12ihipStream_tbDpT10_ENKUlT_T0_E_clISt17integral_constantIbLb1EES19_IbLb0EEEEDaS15_S16_EUlS15_E_NS1_11comp_targetILNS1_3genE9ELNS1_11target_archE1100ELNS1_3gpuE3ELNS1_3repE0EEENS1_30default_config_static_selectorELNS0_4arch9wavefront6targetE0EEEvT1_, .Lfunc_end226-_ZN7rocprim17ROCPRIM_400000_NS6detail17trampoline_kernelINS0_14default_configENS1_25partition_config_selectorILNS1_17partition_subalgoE9EllbEEZZNS1_14partition_implILS5_9ELb0ES3_jPlS8_PNS0_10empty_typeENS0_5tupleIJS8_S9_EEENSB_IJS8_SA_EEENS0_18inequality_wrapperIZN2at6native12_GLOBAL__N_124unique_dim_cuda_templateIhEESt5tupleIJNSF_6TensorESK_SK_EERKSK_lbbbEUlllE0_EEPmJS9_EEE10hipError_tPvRmT3_T4_T5_T6_T7_T9_mT8_P12ihipStream_tbDpT10_ENKUlT_T0_E_clISt17integral_constantIbLb1EES19_IbLb0EEEEDaS15_S16_EUlS15_E_NS1_11comp_targetILNS1_3genE9ELNS1_11target_archE1100ELNS1_3gpuE3ELNS1_3repE0EEENS1_30default_config_static_selectorELNS0_4arch9wavefront6targetE0EEEvT1_
                                        ; -- End function
	.set _ZN7rocprim17ROCPRIM_400000_NS6detail17trampoline_kernelINS0_14default_configENS1_25partition_config_selectorILNS1_17partition_subalgoE9EllbEEZZNS1_14partition_implILS5_9ELb0ES3_jPlS8_PNS0_10empty_typeENS0_5tupleIJS8_S9_EEENSB_IJS8_SA_EEENS0_18inequality_wrapperIZN2at6native12_GLOBAL__N_124unique_dim_cuda_templateIhEESt5tupleIJNSF_6TensorESK_SK_EERKSK_lbbbEUlllE0_EEPmJS9_EEE10hipError_tPvRmT3_T4_T5_T6_T7_T9_mT8_P12ihipStream_tbDpT10_ENKUlT_T0_E_clISt17integral_constantIbLb1EES19_IbLb0EEEEDaS15_S16_EUlS15_E_NS1_11comp_targetILNS1_3genE9ELNS1_11target_archE1100ELNS1_3gpuE3ELNS1_3repE0EEENS1_30default_config_static_selectorELNS0_4arch9wavefront6targetE0EEEvT1_.num_vgpr, 0
	.set _ZN7rocprim17ROCPRIM_400000_NS6detail17trampoline_kernelINS0_14default_configENS1_25partition_config_selectorILNS1_17partition_subalgoE9EllbEEZZNS1_14partition_implILS5_9ELb0ES3_jPlS8_PNS0_10empty_typeENS0_5tupleIJS8_S9_EEENSB_IJS8_SA_EEENS0_18inequality_wrapperIZN2at6native12_GLOBAL__N_124unique_dim_cuda_templateIhEESt5tupleIJNSF_6TensorESK_SK_EERKSK_lbbbEUlllE0_EEPmJS9_EEE10hipError_tPvRmT3_T4_T5_T6_T7_T9_mT8_P12ihipStream_tbDpT10_ENKUlT_T0_E_clISt17integral_constantIbLb1EES19_IbLb0EEEEDaS15_S16_EUlS15_E_NS1_11comp_targetILNS1_3genE9ELNS1_11target_archE1100ELNS1_3gpuE3ELNS1_3repE0EEENS1_30default_config_static_selectorELNS0_4arch9wavefront6targetE0EEEvT1_.num_agpr, 0
	.set _ZN7rocprim17ROCPRIM_400000_NS6detail17trampoline_kernelINS0_14default_configENS1_25partition_config_selectorILNS1_17partition_subalgoE9EllbEEZZNS1_14partition_implILS5_9ELb0ES3_jPlS8_PNS0_10empty_typeENS0_5tupleIJS8_S9_EEENSB_IJS8_SA_EEENS0_18inequality_wrapperIZN2at6native12_GLOBAL__N_124unique_dim_cuda_templateIhEESt5tupleIJNSF_6TensorESK_SK_EERKSK_lbbbEUlllE0_EEPmJS9_EEE10hipError_tPvRmT3_T4_T5_T6_T7_T9_mT8_P12ihipStream_tbDpT10_ENKUlT_T0_E_clISt17integral_constantIbLb1EES19_IbLb0EEEEDaS15_S16_EUlS15_E_NS1_11comp_targetILNS1_3genE9ELNS1_11target_archE1100ELNS1_3gpuE3ELNS1_3repE0EEENS1_30default_config_static_selectorELNS0_4arch9wavefront6targetE0EEEvT1_.numbered_sgpr, 0
	.set _ZN7rocprim17ROCPRIM_400000_NS6detail17trampoline_kernelINS0_14default_configENS1_25partition_config_selectorILNS1_17partition_subalgoE9EllbEEZZNS1_14partition_implILS5_9ELb0ES3_jPlS8_PNS0_10empty_typeENS0_5tupleIJS8_S9_EEENSB_IJS8_SA_EEENS0_18inequality_wrapperIZN2at6native12_GLOBAL__N_124unique_dim_cuda_templateIhEESt5tupleIJNSF_6TensorESK_SK_EERKSK_lbbbEUlllE0_EEPmJS9_EEE10hipError_tPvRmT3_T4_T5_T6_T7_T9_mT8_P12ihipStream_tbDpT10_ENKUlT_T0_E_clISt17integral_constantIbLb1EES19_IbLb0EEEEDaS15_S16_EUlS15_E_NS1_11comp_targetILNS1_3genE9ELNS1_11target_archE1100ELNS1_3gpuE3ELNS1_3repE0EEENS1_30default_config_static_selectorELNS0_4arch9wavefront6targetE0EEEvT1_.num_named_barrier, 0
	.set _ZN7rocprim17ROCPRIM_400000_NS6detail17trampoline_kernelINS0_14default_configENS1_25partition_config_selectorILNS1_17partition_subalgoE9EllbEEZZNS1_14partition_implILS5_9ELb0ES3_jPlS8_PNS0_10empty_typeENS0_5tupleIJS8_S9_EEENSB_IJS8_SA_EEENS0_18inequality_wrapperIZN2at6native12_GLOBAL__N_124unique_dim_cuda_templateIhEESt5tupleIJNSF_6TensorESK_SK_EERKSK_lbbbEUlllE0_EEPmJS9_EEE10hipError_tPvRmT3_T4_T5_T6_T7_T9_mT8_P12ihipStream_tbDpT10_ENKUlT_T0_E_clISt17integral_constantIbLb1EES19_IbLb0EEEEDaS15_S16_EUlS15_E_NS1_11comp_targetILNS1_3genE9ELNS1_11target_archE1100ELNS1_3gpuE3ELNS1_3repE0EEENS1_30default_config_static_selectorELNS0_4arch9wavefront6targetE0EEEvT1_.private_seg_size, 0
	.set _ZN7rocprim17ROCPRIM_400000_NS6detail17trampoline_kernelINS0_14default_configENS1_25partition_config_selectorILNS1_17partition_subalgoE9EllbEEZZNS1_14partition_implILS5_9ELb0ES3_jPlS8_PNS0_10empty_typeENS0_5tupleIJS8_S9_EEENSB_IJS8_SA_EEENS0_18inequality_wrapperIZN2at6native12_GLOBAL__N_124unique_dim_cuda_templateIhEESt5tupleIJNSF_6TensorESK_SK_EERKSK_lbbbEUlllE0_EEPmJS9_EEE10hipError_tPvRmT3_T4_T5_T6_T7_T9_mT8_P12ihipStream_tbDpT10_ENKUlT_T0_E_clISt17integral_constantIbLb1EES19_IbLb0EEEEDaS15_S16_EUlS15_E_NS1_11comp_targetILNS1_3genE9ELNS1_11target_archE1100ELNS1_3gpuE3ELNS1_3repE0EEENS1_30default_config_static_selectorELNS0_4arch9wavefront6targetE0EEEvT1_.uses_vcc, 0
	.set _ZN7rocprim17ROCPRIM_400000_NS6detail17trampoline_kernelINS0_14default_configENS1_25partition_config_selectorILNS1_17partition_subalgoE9EllbEEZZNS1_14partition_implILS5_9ELb0ES3_jPlS8_PNS0_10empty_typeENS0_5tupleIJS8_S9_EEENSB_IJS8_SA_EEENS0_18inequality_wrapperIZN2at6native12_GLOBAL__N_124unique_dim_cuda_templateIhEESt5tupleIJNSF_6TensorESK_SK_EERKSK_lbbbEUlllE0_EEPmJS9_EEE10hipError_tPvRmT3_T4_T5_T6_T7_T9_mT8_P12ihipStream_tbDpT10_ENKUlT_T0_E_clISt17integral_constantIbLb1EES19_IbLb0EEEEDaS15_S16_EUlS15_E_NS1_11comp_targetILNS1_3genE9ELNS1_11target_archE1100ELNS1_3gpuE3ELNS1_3repE0EEENS1_30default_config_static_selectorELNS0_4arch9wavefront6targetE0EEEvT1_.uses_flat_scratch, 0
	.set _ZN7rocprim17ROCPRIM_400000_NS6detail17trampoline_kernelINS0_14default_configENS1_25partition_config_selectorILNS1_17partition_subalgoE9EllbEEZZNS1_14partition_implILS5_9ELb0ES3_jPlS8_PNS0_10empty_typeENS0_5tupleIJS8_S9_EEENSB_IJS8_SA_EEENS0_18inequality_wrapperIZN2at6native12_GLOBAL__N_124unique_dim_cuda_templateIhEESt5tupleIJNSF_6TensorESK_SK_EERKSK_lbbbEUlllE0_EEPmJS9_EEE10hipError_tPvRmT3_T4_T5_T6_T7_T9_mT8_P12ihipStream_tbDpT10_ENKUlT_T0_E_clISt17integral_constantIbLb1EES19_IbLb0EEEEDaS15_S16_EUlS15_E_NS1_11comp_targetILNS1_3genE9ELNS1_11target_archE1100ELNS1_3gpuE3ELNS1_3repE0EEENS1_30default_config_static_selectorELNS0_4arch9wavefront6targetE0EEEvT1_.has_dyn_sized_stack, 0
	.set _ZN7rocprim17ROCPRIM_400000_NS6detail17trampoline_kernelINS0_14default_configENS1_25partition_config_selectorILNS1_17partition_subalgoE9EllbEEZZNS1_14partition_implILS5_9ELb0ES3_jPlS8_PNS0_10empty_typeENS0_5tupleIJS8_S9_EEENSB_IJS8_SA_EEENS0_18inequality_wrapperIZN2at6native12_GLOBAL__N_124unique_dim_cuda_templateIhEESt5tupleIJNSF_6TensorESK_SK_EERKSK_lbbbEUlllE0_EEPmJS9_EEE10hipError_tPvRmT3_T4_T5_T6_T7_T9_mT8_P12ihipStream_tbDpT10_ENKUlT_T0_E_clISt17integral_constantIbLb1EES19_IbLb0EEEEDaS15_S16_EUlS15_E_NS1_11comp_targetILNS1_3genE9ELNS1_11target_archE1100ELNS1_3gpuE3ELNS1_3repE0EEENS1_30default_config_static_selectorELNS0_4arch9wavefront6targetE0EEEvT1_.has_recursion, 0
	.set _ZN7rocprim17ROCPRIM_400000_NS6detail17trampoline_kernelINS0_14default_configENS1_25partition_config_selectorILNS1_17partition_subalgoE9EllbEEZZNS1_14partition_implILS5_9ELb0ES3_jPlS8_PNS0_10empty_typeENS0_5tupleIJS8_S9_EEENSB_IJS8_SA_EEENS0_18inequality_wrapperIZN2at6native12_GLOBAL__N_124unique_dim_cuda_templateIhEESt5tupleIJNSF_6TensorESK_SK_EERKSK_lbbbEUlllE0_EEPmJS9_EEE10hipError_tPvRmT3_T4_T5_T6_T7_T9_mT8_P12ihipStream_tbDpT10_ENKUlT_T0_E_clISt17integral_constantIbLb1EES19_IbLb0EEEEDaS15_S16_EUlS15_E_NS1_11comp_targetILNS1_3genE9ELNS1_11target_archE1100ELNS1_3gpuE3ELNS1_3repE0EEENS1_30default_config_static_selectorELNS0_4arch9wavefront6targetE0EEEvT1_.has_indirect_call, 0
	.section	.AMDGPU.csdata,"",@progbits
; Kernel info:
; codeLenInByte = 0
; TotalNumSgprs: 0
; NumVgprs: 0
; ScratchSize: 0
; MemoryBound: 0
; FloatMode: 240
; IeeeMode: 1
; LDSByteSize: 0 bytes/workgroup (compile time only)
; SGPRBlocks: 0
; VGPRBlocks: 0
; NumSGPRsForWavesPerEU: 1
; NumVGPRsForWavesPerEU: 1
; NamedBarCnt: 0
; Occupancy: 16
; WaveLimiterHint : 0
; COMPUTE_PGM_RSRC2:SCRATCH_EN: 0
; COMPUTE_PGM_RSRC2:USER_SGPR: 2
; COMPUTE_PGM_RSRC2:TRAP_HANDLER: 0
; COMPUTE_PGM_RSRC2:TGID_X_EN: 1
; COMPUTE_PGM_RSRC2:TGID_Y_EN: 0
; COMPUTE_PGM_RSRC2:TGID_Z_EN: 0
; COMPUTE_PGM_RSRC2:TIDIG_COMP_CNT: 0
	.section	.text._ZN7rocprim17ROCPRIM_400000_NS6detail17trampoline_kernelINS0_14default_configENS1_25partition_config_selectorILNS1_17partition_subalgoE9EllbEEZZNS1_14partition_implILS5_9ELb0ES3_jPlS8_PNS0_10empty_typeENS0_5tupleIJS8_S9_EEENSB_IJS8_SA_EEENS0_18inequality_wrapperIZN2at6native12_GLOBAL__N_124unique_dim_cuda_templateIhEESt5tupleIJNSF_6TensorESK_SK_EERKSK_lbbbEUlllE0_EEPmJS9_EEE10hipError_tPvRmT3_T4_T5_T6_T7_T9_mT8_P12ihipStream_tbDpT10_ENKUlT_T0_E_clISt17integral_constantIbLb1EES19_IbLb0EEEEDaS15_S16_EUlS15_E_NS1_11comp_targetILNS1_3genE8ELNS1_11target_archE1030ELNS1_3gpuE2ELNS1_3repE0EEENS1_30default_config_static_selectorELNS0_4arch9wavefront6targetE0EEEvT1_,"axG",@progbits,_ZN7rocprim17ROCPRIM_400000_NS6detail17trampoline_kernelINS0_14default_configENS1_25partition_config_selectorILNS1_17partition_subalgoE9EllbEEZZNS1_14partition_implILS5_9ELb0ES3_jPlS8_PNS0_10empty_typeENS0_5tupleIJS8_S9_EEENSB_IJS8_SA_EEENS0_18inequality_wrapperIZN2at6native12_GLOBAL__N_124unique_dim_cuda_templateIhEESt5tupleIJNSF_6TensorESK_SK_EERKSK_lbbbEUlllE0_EEPmJS9_EEE10hipError_tPvRmT3_T4_T5_T6_T7_T9_mT8_P12ihipStream_tbDpT10_ENKUlT_T0_E_clISt17integral_constantIbLb1EES19_IbLb0EEEEDaS15_S16_EUlS15_E_NS1_11comp_targetILNS1_3genE8ELNS1_11target_archE1030ELNS1_3gpuE2ELNS1_3repE0EEENS1_30default_config_static_selectorELNS0_4arch9wavefront6targetE0EEEvT1_,comdat
	.globl	_ZN7rocprim17ROCPRIM_400000_NS6detail17trampoline_kernelINS0_14default_configENS1_25partition_config_selectorILNS1_17partition_subalgoE9EllbEEZZNS1_14partition_implILS5_9ELb0ES3_jPlS8_PNS0_10empty_typeENS0_5tupleIJS8_S9_EEENSB_IJS8_SA_EEENS0_18inequality_wrapperIZN2at6native12_GLOBAL__N_124unique_dim_cuda_templateIhEESt5tupleIJNSF_6TensorESK_SK_EERKSK_lbbbEUlllE0_EEPmJS9_EEE10hipError_tPvRmT3_T4_T5_T6_T7_T9_mT8_P12ihipStream_tbDpT10_ENKUlT_T0_E_clISt17integral_constantIbLb1EES19_IbLb0EEEEDaS15_S16_EUlS15_E_NS1_11comp_targetILNS1_3genE8ELNS1_11target_archE1030ELNS1_3gpuE2ELNS1_3repE0EEENS1_30default_config_static_selectorELNS0_4arch9wavefront6targetE0EEEvT1_ ; -- Begin function _ZN7rocprim17ROCPRIM_400000_NS6detail17trampoline_kernelINS0_14default_configENS1_25partition_config_selectorILNS1_17partition_subalgoE9EllbEEZZNS1_14partition_implILS5_9ELb0ES3_jPlS8_PNS0_10empty_typeENS0_5tupleIJS8_S9_EEENSB_IJS8_SA_EEENS0_18inequality_wrapperIZN2at6native12_GLOBAL__N_124unique_dim_cuda_templateIhEESt5tupleIJNSF_6TensorESK_SK_EERKSK_lbbbEUlllE0_EEPmJS9_EEE10hipError_tPvRmT3_T4_T5_T6_T7_T9_mT8_P12ihipStream_tbDpT10_ENKUlT_T0_E_clISt17integral_constantIbLb1EES19_IbLb0EEEEDaS15_S16_EUlS15_E_NS1_11comp_targetILNS1_3genE8ELNS1_11target_archE1030ELNS1_3gpuE2ELNS1_3repE0EEENS1_30default_config_static_selectorELNS0_4arch9wavefront6targetE0EEEvT1_
	.p2align	8
	.type	_ZN7rocprim17ROCPRIM_400000_NS6detail17trampoline_kernelINS0_14default_configENS1_25partition_config_selectorILNS1_17partition_subalgoE9EllbEEZZNS1_14partition_implILS5_9ELb0ES3_jPlS8_PNS0_10empty_typeENS0_5tupleIJS8_S9_EEENSB_IJS8_SA_EEENS0_18inequality_wrapperIZN2at6native12_GLOBAL__N_124unique_dim_cuda_templateIhEESt5tupleIJNSF_6TensorESK_SK_EERKSK_lbbbEUlllE0_EEPmJS9_EEE10hipError_tPvRmT3_T4_T5_T6_T7_T9_mT8_P12ihipStream_tbDpT10_ENKUlT_T0_E_clISt17integral_constantIbLb1EES19_IbLb0EEEEDaS15_S16_EUlS15_E_NS1_11comp_targetILNS1_3genE8ELNS1_11target_archE1030ELNS1_3gpuE2ELNS1_3repE0EEENS1_30default_config_static_selectorELNS0_4arch9wavefront6targetE0EEEvT1_,@function
_ZN7rocprim17ROCPRIM_400000_NS6detail17trampoline_kernelINS0_14default_configENS1_25partition_config_selectorILNS1_17partition_subalgoE9EllbEEZZNS1_14partition_implILS5_9ELb0ES3_jPlS8_PNS0_10empty_typeENS0_5tupleIJS8_S9_EEENSB_IJS8_SA_EEENS0_18inequality_wrapperIZN2at6native12_GLOBAL__N_124unique_dim_cuda_templateIhEESt5tupleIJNSF_6TensorESK_SK_EERKSK_lbbbEUlllE0_EEPmJS9_EEE10hipError_tPvRmT3_T4_T5_T6_T7_T9_mT8_P12ihipStream_tbDpT10_ENKUlT_T0_E_clISt17integral_constantIbLb1EES19_IbLb0EEEEDaS15_S16_EUlS15_E_NS1_11comp_targetILNS1_3genE8ELNS1_11target_archE1030ELNS1_3gpuE2ELNS1_3repE0EEENS1_30default_config_static_selectorELNS0_4arch9wavefront6targetE0EEEvT1_: ; @_ZN7rocprim17ROCPRIM_400000_NS6detail17trampoline_kernelINS0_14default_configENS1_25partition_config_selectorILNS1_17partition_subalgoE9EllbEEZZNS1_14partition_implILS5_9ELb0ES3_jPlS8_PNS0_10empty_typeENS0_5tupleIJS8_S9_EEENSB_IJS8_SA_EEENS0_18inequality_wrapperIZN2at6native12_GLOBAL__N_124unique_dim_cuda_templateIhEESt5tupleIJNSF_6TensorESK_SK_EERKSK_lbbbEUlllE0_EEPmJS9_EEE10hipError_tPvRmT3_T4_T5_T6_T7_T9_mT8_P12ihipStream_tbDpT10_ENKUlT_T0_E_clISt17integral_constantIbLb1EES19_IbLb0EEEEDaS15_S16_EUlS15_E_NS1_11comp_targetILNS1_3genE8ELNS1_11target_archE1030ELNS1_3gpuE2ELNS1_3repE0EEENS1_30default_config_static_selectorELNS0_4arch9wavefront6targetE0EEEvT1_
; %bb.0:
	.section	.rodata,"a",@progbits
	.p2align	6, 0x0
	.amdhsa_kernel _ZN7rocprim17ROCPRIM_400000_NS6detail17trampoline_kernelINS0_14default_configENS1_25partition_config_selectorILNS1_17partition_subalgoE9EllbEEZZNS1_14partition_implILS5_9ELb0ES3_jPlS8_PNS0_10empty_typeENS0_5tupleIJS8_S9_EEENSB_IJS8_SA_EEENS0_18inequality_wrapperIZN2at6native12_GLOBAL__N_124unique_dim_cuda_templateIhEESt5tupleIJNSF_6TensorESK_SK_EERKSK_lbbbEUlllE0_EEPmJS9_EEE10hipError_tPvRmT3_T4_T5_T6_T7_T9_mT8_P12ihipStream_tbDpT10_ENKUlT_T0_E_clISt17integral_constantIbLb1EES19_IbLb0EEEEDaS15_S16_EUlS15_E_NS1_11comp_targetILNS1_3genE8ELNS1_11target_archE1030ELNS1_3gpuE2ELNS1_3repE0EEENS1_30default_config_static_selectorELNS0_4arch9wavefront6targetE0EEEvT1_
		.amdhsa_group_segment_fixed_size 0
		.amdhsa_private_segment_fixed_size 0
		.amdhsa_kernarg_size 120
		.amdhsa_user_sgpr_count 2
		.amdhsa_user_sgpr_dispatch_ptr 0
		.amdhsa_user_sgpr_queue_ptr 0
		.amdhsa_user_sgpr_kernarg_segment_ptr 1
		.amdhsa_user_sgpr_dispatch_id 0
		.amdhsa_user_sgpr_kernarg_preload_length 0
		.amdhsa_user_sgpr_kernarg_preload_offset 0
		.amdhsa_user_sgpr_private_segment_size 0
		.amdhsa_wavefront_size32 1
		.amdhsa_uses_dynamic_stack 0
		.amdhsa_enable_private_segment 0
		.amdhsa_system_sgpr_workgroup_id_x 1
		.amdhsa_system_sgpr_workgroup_id_y 0
		.amdhsa_system_sgpr_workgroup_id_z 0
		.amdhsa_system_sgpr_workgroup_info 0
		.amdhsa_system_vgpr_workitem_id 0
		.amdhsa_next_free_vgpr 1
		.amdhsa_next_free_sgpr 1
		.amdhsa_named_barrier_count 0
		.amdhsa_reserve_vcc 0
		.amdhsa_float_round_mode_32 0
		.amdhsa_float_round_mode_16_64 0
		.amdhsa_float_denorm_mode_32 3
		.amdhsa_float_denorm_mode_16_64 3
		.amdhsa_fp16_overflow 0
		.amdhsa_memory_ordered 1
		.amdhsa_forward_progress 1
		.amdhsa_inst_pref_size 0
		.amdhsa_round_robin_scheduling 0
		.amdhsa_exception_fp_ieee_invalid_op 0
		.amdhsa_exception_fp_denorm_src 0
		.amdhsa_exception_fp_ieee_div_zero 0
		.amdhsa_exception_fp_ieee_overflow 0
		.amdhsa_exception_fp_ieee_underflow 0
		.amdhsa_exception_fp_ieee_inexact 0
		.amdhsa_exception_int_div_zero 0
	.end_amdhsa_kernel
	.section	.text._ZN7rocprim17ROCPRIM_400000_NS6detail17trampoline_kernelINS0_14default_configENS1_25partition_config_selectorILNS1_17partition_subalgoE9EllbEEZZNS1_14partition_implILS5_9ELb0ES3_jPlS8_PNS0_10empty_typeENS0_5tupleIJS8_S9_EEENSB_IJS8_SA_EEENS0_18inequality_wrapperIZN2at6native12_GLOBAL__N_124unique_dim_cuda_templateIhEESt5tupleIJNSF_6TensorESK_SK_EERKSK_lbbbEUlllE0_EEPmJS9_EEE10hipError_tPvRmT3_T4_T5_T6_T7_T9_mT8_P12ihipStream_tbDpT10_ENKUlT_T0_E_clISt17integral_constantIbLb1EES19_IbLb0EEEEDaS15_S16_EUlS15_E_NS1_11comp_targetILNS1_3genE8ELNS1_11target_archE1030ELNS1_3gpuE2ELNS1_3repE0EEENS1_30default_config_static_selectorELNS0_4arch9wavefront6targetE0EEEvT1_,"axG",@progbits,_ZN7rocprim17ROCPRIM_400000_NS6detail17trampoline_kernelINS0_14default_configENS1_25partition_config_selectorILNS1_17partition_subalgoE9EllbEEZZNS1_14partition_implILS5_9ELb0ES3_jPlS8_PNS0_10empty_typeENS0_5tupleIJS8_S9_EEENSB_IJS8_SA_EEENS0_18inequality_wrapperIZN2at6native12_GLOBAL__N_124unique_dim_cuda_templateIhEESt5tupleIJNSF_6TensorESK_SK_EERKSK_lbbbEUlllE0_EEPmJS9_EEE10hipError_tPvRmT3_T4_T5_T6_T7_T9_mT8_P12ihipStream_tbDpT10_ENKUlT_T0_E_clISt17integral_constantIbLb1EES19_IbLb0EEEEDaS15_S16_EUlS15_E_NS1_11comp_targetILNS1_3genE8ELNS1_11target_archE1030ELNS1_3gpuE2ELNS1_3repE0EEENS1_30default_config_static_selectorELNS0_4arch9wavefront6targetE0EEEvT1_,comdat
.Lfunc_end227:
	.size	_ZN7rocprim17ROCPRIM_400000_NS6detail17trampoline_kernelINS0_14default_configENS1_25partition_config_selectorILNS1_17partition_subalgoE9EllbEEZZNS1_14partition_implILS5_9ELb0ES3_jPlS8_PNS0_10empty_typeENS0_5tupleIJS8_S9_EEENSB_IJS8_SA_EEENS0_18inequality_wrapperIZN2at6native12_GLOBAL__N_124unique_dim_cuda_templateIhEESt5tupleIJNSF_6TensorESK_SK_EERKSK_lbbbEUlllE0_EEPmJS9_EEE10hipError_tPvRmT3_T4_T5_T6_T7_T9_mT8_P12ihipStream_tbDpT10_ENKUlT_T0_E_clISt17integral_constantIbLb1EES19_IbLb0EEEEDaS15_S16_EUlS15_E_NS1_11comp_targetILNS1_3genE8ELNS1_11target_archE1030ELNS1_3gpuE2ELNS1_3repE0EEENS1_30default_config_static_selectorELNS0_4arch9wavefront6targetE0EEEvT1_, .Lfunc_end227-_ZN7rocprim17ROCPRIM_400000_NS6detail17trampoline_kernelINS0_14default_configENS1_25partition_config_selectorILNS1_17partition_subalgoE9EllbEEZZNS1_14partition_implILS5_9ELb0ES3_jPlS8_PNS0_10empty_typeENS0_5tupleIJS8_S9_EEENSB_IJS8_SA_EEENS0_18inequality_wrapperIZN2at6native12_GLOBAL__N_124unique_dim_cuda_templateIhEESt5tupleIJNSF_6TensorESK_SK_EERKSK_lbbbEUlllE0_EEPmJS9_EEE10hipError_tPvRmT3_T4_T5_T6_T7_T9_mT8_P12ihipStream_tbDpT10_ENKUlT_T0_E_clISt17integral_constantIbLb1EES19_IbLb0EEEEDaS15_S16_EUlS15_E_NS1_11comp_targetILNS1_3genE8ELNS1_11target_archE1030ELNS1_3gpuE2ELNS1_3repE0EEENS1_30default_config_static_selectorELNS0_4arch9wavefront6targetE0EEEvT1_
                                        ; -- End function
	.set _ZN7rocprim17ROCPRIM_400000_NS6detail17trampoline_kernelINS0_14default_configENS1_25partition_config_selectorILNS1_17partition_subalgoE9EllbEEZZNS1_14partition_implILS5_9ELb0ES3_jPlS8_PNS0_10empty_typeENS0_5tupleIJS8_S9_EEENSB_IJS8_SA_EEENS0_18inequality_wrapperIZN2at6native12_GLOBAL__N_124unique_dim_cuda_templateIhEESt5tupleIJNSF_6TensorESK_SK_EERKSK_lbbbEUlllE0_EEPmJS9_EEE10hipError_tPvRmT3_T4_T5_T6_T7_T9_mT8_P12ihipStream_tbDpT10_ENKUlT_T0_E_clISt17integral_constantIbLb1EES19_IbLb0EEEEDaS15_S16_EUlS15_E_NS1_11comp_targetILNS1_3genE8ELNS1_11target_archE1030ELNS1_3gpuE2ELNS1_3repE0EEENS1_30default_config_static_selectorELNS0_4arch9wavefront6targetE0EEEvT1_.num_vgpr, 0
	.set _ZN7rocprim17ROCPRIM_400000_NS6detail17trampoline_kernelINS0_14default_configENS1_25partition_config_selectorILNS1_17partition_subalgoE9EllbEEZZNS1_14partition_implILS5_9ELb0ES3_jPlS8_PNS0_10empty_typeENS0_5tupleIJS8_S9_EEENSB_IJS8_SA_EEENS0_18inequality_wrapperIZN2at6native12_GLOBAL__N_124unique_dim_cuda_templateIhEESt5tupleIJNSF_6TensorESK_SK_EERKSK_lbbbEUlllE0_EEPmJS9_EEE10hipError_tPvRmT3_T4_T5_T6_T7_T9_mT8_P12ihipStream_tbDpT10_ENKUlT_T0_E_clISt17integral_constantIbLb1EES19_IbLb0EEEEDaS15_S16_EUlS15_E_NS1_11comp_targetILNS1_3genE8ELNS1_11target_archE1030ELNS1_3gpuE2ELNS1_3repE0EEENS1_30default_config_static_selectorELNS0_4arch9wavefront6targetE0EEEvT1_.num_agpr, 0
	.set _ZN7rocprim17ROCPRIM_400000_NS6detail17trampoline_kernelINS0_14default_configENS1_25partition_config_selectorILNS1_17partition_subalgoE9EllbEEZZNS1_14partition_implILS5_9ELb0ES3_jPlS8_PNS0_10empty_typeENS0_5tupleIJS8_S9_EEENSB_IJS8_SA_EEENS0_18inequality_wrapperIZN2at6native12_GLOBAL__N_124unique_dim_cuda_templateIhEESt5tupleIJNSF_6TensorESK_SK_EERKSK_lbbbEUlllE0_EEPmJS9_EEE10hipError_tPvRmT3_T4_T5_T6_T7_T9_mT8_P12ihipStream_tbDpT10_ENKUlT_T0_E_clISt17integral_constantIbLb1EES19_IbLb0EEEEDaS15_S16_EUlS15_E_NS1_11comp_targetILNS1_3genE8ELNS1_11target_archE1030ELNS1_3gpuE2ELNS1_3repE0EEENS1_30default_config_static_selectorELNS0_4arch9wavefront6targetE0EEEvT1_.numbered_sgpr, 0
	.set _ZN7rocprim17ROCPRIM_400000_NS6detail17trampoline_kernelINS0_14default_configENS1_25partition_config_selectorILNS1_17partition_subalgoE9EllbEEZZNS1_14partition_implILS5_9ELb0ES3_jPlS8_PNS0_10empty_typeENS0_5tupleIJS8_S9_EEENSB_IJS8_SA_EEENS0_18inequality_wrapperIZN2at6native12_GLOBAL__N_124unique_dim_cuda_templateIhEESt5tupleIJNSF_6TensorESK_SK_EERKSK_lbbbEUlllE0_EEPmJS9_EEE10hipError_tPvRmT3_T4_T5_T6_T7_T9_mT8_P12ihipStream_tbDpT10_ENKUlT_T0_E_clISt17integral_constantIbLb1EES19_IbLb0EEEEDaS15_S16_EUlS15_E_NS1_11comp_targetILNS1_3genE8ELNS1_11target_archE1030ELNS1_3gpuE2ELNS1_3repE0EEENS1_30default_config_static_selectorELNS0_4arch9wavefront6targetE0EEEvT1_.num_named_barrier, 0
	.set _ZN7rocprim17ROCPRIM_400000_NS6detail17trampoline_kernelINS0_14default_configENS1_25partition_config_selectorILNS1_17partition_subalgoE9EllbEEZZNS1_14partition_implILS5_9ELb0ES3_jPlS8_PNS0_10empty_typeENS0_5tupleIJS8_S9_EEENSB_IJS8_SA_EEENS0_18inequality_wrapperIZN2at6native12_GLOBAL__N_124unique_dim_cuda_templateIhEESt5tupleIJNSF_6TensorESK_SK_EERKSK_lbbbEUlllE0_EEPmJS9_EEE10hipError_tPvRmT3_T4_T5_T6_T7_T9_mT8_P12ihipStream_tbDpT10_ENKUlT_T0_E_clISt17integral_constantIbLb1EES19_IbLb0EEEEDaS15_S16_EUlS15_E_NS1_11comp_targetILNS1_3genE8ELNS1_11target_archE1030ELNS1_3gpuE2ELNS1_3repE0EEENS1_30default_config_static_selectorELNS0_4arch9wavefront6targetE0EEEvT1_.private_seg_size, 0
	.set _ZN7rocprim17ROCPRIM_400000_NS6detail17trampoline_kernelINS0_14default_configENS1_25partition_config_selectorILNS1_17partition_subalgoE9EllbEEZZNS1_14partition_implILS5_9ELb0ES3_jPlS8_PNS0_10empty_typeENS0_5tupleIJS8_S9_EEENSB_IJS8_SA_EEENS0_18inequality_wrapperIZN2at6native12_GLOBAL__N_124unique_dim_cuda_templateIhEESt5tupleIJNSF_6TensorESK_SK_EERKSK_lbbbEUlllE0_EEPmJS9_EEE10hipError_tPvRmT3_T4_T5_T6_T7_T9_mT8_P12ihipStream_tbDpT10_ENKUlT_T0_E_clISt17integral_constantIbLb1EES19_IbLb0EEEEDaS15_S16_EUlS15_E_NS1_11comp_targetILNS1_3genE8ELNS1_11target_archE1030ELNS1_3gpuE2ELNS1_3repE0EEENS1_30default_config_static_selectorELNS0_4arch9wavefront6targetE0EEEvT1_.uses_vcc, 0
	.set _ZN7rocprim17ROCPRIM_400000_NS6detail17trampoline_kernelINS0_14default_configENS1_25partition_config_selectorILNS1_17partition_subalgoE9EllbEEZZNS1_14partition_implILS5_9ELb0ES3_jPlS8_PNS0_10empty_typeENS0_5tupleIJS8_S9_EEENSB_IJS8_SA_EEENS0_18inequality_wrapperIZN2at6native12_GLOBAL__N_124unique_dim_cuda_templateIhEESt5tupleIJNSF_6TensorESK_SK_EERKSK_lbbbEUlllE0_EEPmJS9_EEE10hipError_tPvRmT3_T4_T5_T6_T7_T9_mT8_P12ihipStream_tbDpT10_ENKUlT_T0_E_clISt17integral_constantIbLb1EES19_IbLb0EEEEDaS15_S16_EUlS15_E_NS1_11comp_targetILNS1_3genE8ELNS1_11target_archE1030ELNS1_3gpuE2ELNS1_3repE0EEENS1_30default_config_static_selectorELNS0_4arch9wavefront6targetE0EEEvT1_.uses_flat_scratch, 0
	.set _ZN7rocprim17ROCPRIM_400000_NS6detail17trampoline_kernelINS0_14default_configENS1_25partition_config_selectorILNS1_17partition_subalgoE9EllbEEZZNS1_14partition_implILS5_9ELb0ES3_jPlS8_PNS0_10empty_typeENS0_5tupleIJS8_S9_EEENSB_IJS8_SA_EEENS0_18inequality_wrapperIZN2at6native12_GLOBAL__N_124unique_dim_cuda_templateIhEESt5tupleIJNSF_6TensorESK_SK_EERKSK_lbbbEUlllE0_EEPmJS9_EEE10hipError_tPvRmT3_T4_T5_T6_T7_T9_mT8_P12ihipStream_tbDpT10_ENKUlT_T0_E_clISt17integral_constantIbLb1EES19_IbLb0EEEEDaS15_S16_EUlS15_E_NS1_11comp_targetILNS1_3genE8ELNS1_11target_archE1030ELNS1_3gpuE2ELNS1_3repE0EEENS1_30default_config_static_selectorELNS0_4arch9wavefront6targetE0EEEvT1_.has_dyn_sized_stack, 0
	.set _ZN7rocprim17ROCPRIM_400000_NS6detail17trampoline_kernelINS0_14default_configENS1_25partition_config_selectorILNS1_17partition_subalgoE9EllbEEZZNS1_14partition_implILS5_9ELb0ES3_jPlS8_PNS0_10empty_typeENS0_5tupleIJS8_S9_EEENSB_IJS8_SA_EEENS0_18inequality_wrapperIZN2at6native12_GLOBAL__N_124unique_dim_cuda_templateIhEESt5tupleIJNSF_6TensorESK_SK_EERKSK_lbbbEUlllE0_EEPmJS9_EEE10hipError_tPvRmT3_T4_T5_T6_T7_T9_mT8_P12ihipStream_tbDpT10_ENKUlT_T0_E_clISt17integral_constantIbLb1EES19_IbLb0EEEEDaS15_S16_EUlS15_E_NS1_11comp_targetILNS1_3genE8ELNS1_11target_archE1030ELNS1_3gpuE2ELNS1_3repE0EEENS1_30default_config_static_selectorELNS0_4arch9wavefront6targetE0EEEvT1_.has_recursion, 0
	.set _ZN7rocprim17ROCPRIM_400000_NS6detail17trampoline_kernelINS0_14default_configENS1_25partition_config_selectorILNS1_17partition_subalgoE9EllbEEZZNS1_14partition_implILS5_9ELb0ES3_jPlS8_PNS0_10empty_typeENS0_5tupleIJS8_S9_EEENSB_IJS8_SA_EEENS0_18inequality_wrapperIZN2at6native12_GLOBAL__N_124unique_dim_cuda_templateIhEESt5tupleIJNSF_6TensorESK_SK_EERKSK_lbbbEUlllE0_EEPmJS9_EEE10hipError_tPvRmT3_T4_T5_T6_T7_T9_mT8_P12ihipStream_tbDpT10_ENKUlT_T0_E_clISt17integral_constantIbLb1EES19_IbLb0EEEEDaS15_S16_EUlS15_E_NS1_11comp_targetILNS1_3genE8ELNS1_11target_archE1030ELNS1_3gpuE2ELNS1_3repE0EEENS1_30default_config_static_selectorELNS0_4arch9wavefront6targetE0EEEvT1_.has_indirect_call, 0
	.section	.AMDGPU.csdata,"",@progbits
; Kernel info:
; codeLenInByte = 0
; TotalNumSgprs: 0
; NumVgprs: 0
; ScratchSize: 0
; MemoryBound: 0
; FloatMode: 240
; IeeeMode: 1
; LDSByteSize: 0 bytes/workgroup (compile time only)
; SGPRBlocks: 0
; VGPRBlocks: 0
; NumSGPRsForWavesPerEU: 1
; NumVGPRsForWavesPerEU: 1
; NamedBarCnt: 0
; Occupancy: 16
; WaveLimiterHint : 0
; COMPUTE_PGM_RSRC2:SCRATCH_EN: 0
; COMPUTE_PGM_RSRC2:USER_SGPR: 2
; COMPUTE_PGM_RSRC2:TRAP_HANDLER: 0
; COMPUTE_PGM_RSRC2:TGID_X_EN: 1
; COMPUTE_PGM_RSRC2:TGID_Y_EN: 0
; COMPUTE_PGM_RSRC2:TGID_Z_EN: 0
; COMPUTE_PGM_RSRC2:TIDIG_COMP_CNT: 0
	.section	.text._ZN7rocprim17ROCPRIM_400000_NS6detail17trampoline_kernelINS0_14default_configENS1_25partition_config_selectorILNS1_17partition_subalgoE9EllbEEZZNS1_14partition_implILS5_9ELb0ES3_jPlS8_PNS0_10empty_typeENS0_5tupleIJS8_S9_EEENSB_IJS8_SA_EEENS0_18inequality_wrapperIZN2at6native12_GLOBAL__N_124unique_dim_cuda_templateIhEESt5tupleIJNSF_6TensorESK_SK_EERKSK_lbbbEUlllE0_EEPmJS9_EEE10hipError_tPvRmT3_T4_T5_T6_T7_T9_mT8_P12ihipStream_tbDpT10_ENKUlT_T0_E_clISt17integral_constantIbLb0EES19_IbLb1EEEEDaS15_S16_EUlS15_E_NS1_11comp_targetILNS1_3genE0ELNS1_11target_archE4294967295ELNS1_3gpuE0ELNS1_3repE0EEENS1_30default_config_static_selectorELNS0_4arch9wavefront6targetE0EEEvT1_,"axG",@progbits,_ZN7rocprim17ROCPRIM_400000_NS6detail17trampoline_kernelINS0_14default_configENS1_25partition_config_selectorILNS1_17partition_subalgoE9EllbEEZZNS1_14partition_implILS5_9ELb0ES3_jPlS8_PNS0_10empty_typeENS0_5tupleIJS8_S9_EEENSB_IJS8_SA_EEENS0_18inequality_wrapperIZN2at6native12_GLOBAL__N_124unique_dim_cuda_templateIhEESt5tupleIJNSF_6TensorESK_SK_EERKSK_lbbbEUlllE0_EEPmJS9_EEE10hipError_tPvRmT3_T4_T5_T6_T7_T9_mT8_P12ihipStream_tbDpT10_ENKUlT_T0_E_clISt17integral_constantIbLb0EES19_IbLb1EEEEDaS15_S16_EUlS15_E_NS1_11comp_targetILNS1_3genE0ELNS1_11target_archE4294967295ELNS1_3gpuE0ELNS1_3repE0EEENS1_30default_config_static_selectorELNS0_4arch9wavefront6targetE0EEEvT1_,comdat
	.globl	_ZN7rocprim17ROCPRIM_400000_NS6detail17trampoline_kernelINS0_14default_configENS1_25partition_config_selectorILNS1_17partition_subalgoE9EllbEEZZNS1_14partition_implILS5_9ELb0ES3_jPlS8_PNS0_10empty_typeENS0_5tupleIJS8_S9_EEENSB_IJS8_SA_EEENS0_18inequality_wrapperIZN2at6native12_GLOBAL__N_124unique_dim_cuda_templateIhEESt5tupleIJNSF_6TensorESK_SK_EERKSK_lbbbEUlllE0_EEPmJS9_EEE10hipError_tPvRmT3_T4_T5_T6_T7_T9_mT8_P12ihipStream_tbDpT10_ENKUlT_T0_E_clISt17integral_constantIbLb0EES19_IbLb1EEEEDaS15_S16_EUlS15_E_NS1_11comp_targetILNS1_3genE0ELNS1_11target_archE4294967295ELNS1_3gpuE0ELNS1_3repE0EEENS1_30default_config_static_selectorELNS0_4arch9wavefront6targetE0EEEvT1_ ; -- Begin function _ZN7rocprim17ROCPRIM_400000_NS6detail17trampoline_kernelINS0_14default_configENS1_25partition_config_selectorILNS1_17partition_subalgoE9EllbEEZZNS1_14partition_implILS5_9ELb0ES3_jPlS8_PNS0_10empty_typeENS0_5tupleIJS8_S9_EEENSB_IJS8_SA_EEENS0_18inequality_wrapperIZN2at6native12_GLOBAL__N_124unique_dim_cuda_templateIhEESt5tupleIJNSF_6TensorESK_SK_EERKSK_lbbbEUlllE0_EEPmJS9_EEE10hipError_tPvRmT3_T4_T5_T6_T7_T9_mT8_P12ihipStream_tbDpT10_ENKUlT_T0_E_clISt17integral_constantIbLb0EES19_IbLb1EEEEDaS15_S16_EUlS15_E_NS1_11comp_targetILNS1_3genE0ELNS1_11target_archE4294967295ELNS1_3gpuE0ELNS1_3repE0EEENS1_30default_config_static_selectorELNS0_4arch9wavefront6targetE0EEEvT1_
	.p2align	8
	.type	_ZN7rocprim17ROCPRIM_400000_NS6detail17trampoline_kernelINS0_14default_configENS1_25partition_config_selectorILNS1_17partition_subalgoE9EllbEEZZNS1_14partition_implILS5_9ELb0ES3_jPlS8_PNS0_10empty_typeENS0_5tupleIJS8_S9_EEENSB_IJS8_SA_EEENS0_18inequality_wrapperIZN2at6native12_GLOBAL__N_124unique_dim_cuda_templateIhEESt5tupleIJNSF_6TensorESK_SK_EERKSK_lbbbEUlllE0_EEPmJS9_EEE10hipError_tPvRmT3_T4_T5_T6_T7_T9_mT8_P12ihipStream_tbDpT10_ENKUlT_T0_E_clISt17integral_constantIbLb0EES19_IbLb1EEEEDaS15_S16_EUlS15_E_NS1_11comp_targetILNS1_3genE0ELNS1_11target_archE4294967295ELNS1_3gpuE0ELNS1_3repE0EEENS1_30default_config_static_selectorELNS0_4arch9wavefront6targetE0EEEvT1_,@function
_ZN7rocprim17ROCPRIM_400000_NS6detail17trampoline_kernelINS0_14default_configENS1_25partition_config_selectorILNS1_17partition_subalgoE9EllbEEZZNS1_14partition_implILS5_9ELb0ES3_jPlS8_PNS0_10empty_typeENS0_5tupleIJS8_S9_EEENSB_IJS8_SA_EEENS0_18inequality_wrapperIZN2at6native12_GLOBAL__N_124unique_dim_cuda_templateIhEESt5tupleIJNSF_6TensorESK_SK_EERKSK_lbbbEUlllE0_EEPmJS9_EEE10hipError_tPvRmT3_T4_T5_T6_T7_T9_mT8_P12ihipStream_tbDpT10_ENKUlT_T0_E_clISt17integral_constantIbLb0EES19_IbLb1EEEEDaS15_S16_EUlS15_E_NS1_11comp_targetILNS1_3genE0ELNS1_11target_archE4294967295ELNS1_3gpuE0ELNS1_3repE0EEENS1_30default_config_static_selectorELNS0_4arch9wavefront6targetE0EEEvT1_: ; @_ZN7rocprim17ROCPRIM_400000_NS6detail17trampoline_kernelINS0_14default_configENS1_25partition_config_selectorILNS1_17partition_subalgoE9EllbEEZZNS1_14partition_implILS5_9ELb0ES3_jPlS8_PNS0_10empty_typeENS0_5tupleIJS8_S9_EEENSB_IJS8_SA_EEENS0_18inequality_wrapperIZN2at6native12_GLOBAL__N_124unique_dim_cuda_templateIhEESt5tupleIJNSF_6TensorESK_SK_EERKSK_lbbbEUlllE0_EEPmJS9_EEE10hipError_tPvRmT3_T4_T5_T6_T7_T9_mT8_P12ihipStream_tbDpT10_ENKUlT_T0_E_clISt17integral_constantIbLb0EES19_IbLb1EEEEDaS15_S16_EUlS15_E_NS1_11comp_targetILNS1_3genE0ELNS1_11target_archE4294967295ELNS1_3gpuE0ELNS1_3repE0EEENS1_30default_config_static_selectorELNS0_4arch9wavefront6targetE0EEEvT1_
; %bb.0:
	s_clause 0x3
	s_load_b128 s[4:7], s[0:1], 0x8
	s_load_b64 s[24:25], s[0:1], 0x18
	s_load_b256 s[12:19], s[0:1], 0x40
	s_load_b128 s[8:11], s[0:1], 0x60
	v_cmp_ne_u32_e64 s3, 0, v0
	v_cmp_eq_u32_e64 s2, 0, v0
	s_and_saveexec_b32 s20, s2
	s_cbranch_execz .LBB228_4
; %bb.1:
	s_mov_b32 s22, exec_lo
	s_mov_b32 s21, exec_lo
	v_mbcnt_lo_u32_b32 v1, s22, 0
                                        ; implicit-def: $vgpr2
	s_delay_alu instid0(VALU_DEP_1)
	v_cmpx_eq_u32_e32 0, v1
	s_cbranch_execz .LBB228_3
; %bb.2:
	s_load_b64 s[26:27], s[0:1], 0x78
	s_bcnt1_i32_b32 s22, s22
	s_delay_alu instid0(SALU_CYCLE_1)
	v_dual_mov_b32 v2, 0 :: v_dual_mov_b32 v3, s22
	s_wait_xcnt 0x0
	s_wait_kmcnt 0x0
	global_atomic_add_u32 v2, v2, v3, s[26:27] th:TH_ATOMIC_RETURN scope:SCOPE_DEV
.LBB228_3:
	s_wait_xcnt 0x0
	s_or_b32 exec_lo, exec_lo, s21
	s_wait_loadcnt 0x0
	v_readfirstlane_b32 s21, v2
	s_delay_alu instid0(VALU_DEP_1)
	v_dual_mov_b32 v2, 0 :: v_dual_add_nc_u32 v1, s21, v1
	ds_store_b32 v2, v1
.LBB228_4:
	s_or_b32 exec_lo, exec_lo, s20
	v_mov_b32_e32 v1, 0
	s_clause 0x1
	s_load_b128 s[20:23], s[0:1], 0x28
	s_load_b32 s28, s[0:1], 0x70
	s_wait_dscnt 0x0
	s_barrier_signal -1
	s_barrier_wait -1
	ds_load_b32 v4, v1
	s_wait_dscnt 0x0
	s_barrier_signal -1
	s_barrier_wait -1
	s_wait_kmcnt 0x0
	global_load_b64 v[2:3], v1, s[14:15]
	s_wait_xcnt 0x0
	s_mov_b32 s15, 0
	s_lshl_b64 s[26:27], s[6:7], 3
	v_lshlrev_b32_e32 v1, 3, v0
	s_add_nc_u64 s[4:5], s[4:5], s[26:27]
	s_mov_b32 s1, -1
	s_mul_i32 s14, s28, 0x280
	s_add_co_i32 s28, s28, -1
	s_add_co_i32 s0, s14, s6
	s_add_nc_u64 s[34:35], s[6:7], s[14:15]
	s_sub_co_i32 s31, s16, s0
	v_readfirstlane_b32 s30, v4
	v_cmp_le_u64_e64 s0, s[16:17], s[34:35]
	s_addk_co_i32 s31, 0x280
	s_cmp_eq_u32 s30, s28
	s_mul_i32 s14, s30, 0x280
	s_cselect_b32 s28, -1, 0
	s_lshl_b64 s[16:17], s[14:15], 3
	s_and_b32 s33, s0, s28
	s_add_nc_u64 s[4:5], s[4:5], s[16:17]
	s_xor_b32 s29, s33, -1
	s_delay_alu instid0(SALU_CYCLE_1)
	s_and_b32 vcc_lo, exec_lo, s29
	s_wait_loadcnt 0x0
	v_readfirstlane_b32 s14, v2
	v_readfirstlane_b32 s15, v3
	s_cbranch_vccz .LBB228_6
; %bb.5:
	s_clause 0x4
	global_load_b64 v[2:3], v0, s[4:5] scale_offset
	global_load_b64 v[4:5], v0, s[4:5] offset:1024 scale_offset
	global_load_b64 v[6:7], v0, s[4:5] offset:2048 scale_offset
	;; [unrolled: 1-line block ×4, first 2 shown]
	v_lshlrev_b32_e32 v12, 3, v0
	s_mov_b32 s1, 0
	s_wait_loadcnt 0x3
	ds_store_2addr_stride64_b64 v12, v[2:3], v[4:5] offset1:2
	s_wait_loadcnt 0x1
	ds_store_2addr_stride64_b64 v12, v[6:7], v[8:9] offset0:4 offset1:6
	s_wait_loadcnt 0x0
	ds_store_b64 v12, v[10:11] offset:4096
	s_wait_dscnt 0x0
	s_barrier_signal -1
	s_barrier_wait -1
.LBB228_6:
	v_cmp_gt_u32_e64 s0, s31, v0
	s_and_not1_b32 vcc_lo, exec_lo, s1
	s_cbranch_vccnz .LBB228_18
; %bb.7:
	v_mov_b32_e32 v2, 0
	s_delay_alu instid0(VALU_DEP_1)
	v_dual_mov_b32 v3, v2 :: v_dual_mov_b32 v4, v2
	v_dual_mov_b32 v5, v2 :: v_dual_mov_b32 v6, v2
	;; [unrolled: 1-line block ×4, first 2 shown]
	v_mov_b32_e32 v11, v2
	s_and_saveexec_b32 s1, s0
	s_cbranch_execz .LBB228_9
; %bb.8:
	global_load_b64 v[4:5], v0, s[4:5] scale_offset
	v_dual_mov_b32 v6, v2 :: v_dual_mov_b32 v7, v2
	v_dual_mov_b32 v8, v2 :: v_dual_mov_b32 v9, v2
	;; [unrolled: 1-line block ×4, first 2 shown]
	s_wait_loadcnt 0x0
	v_mov_b64_e32 v[2:3], v[4:5]
	v_mov_b64_e32 v[4:5], v[6:7]
	;; [unrolled: 1-line block ×8, first 2 shown]
.LBB228_9:
	s_or_b32 exec_lo, exec_lo, s1
	v_or_b32_e32 v12, 0x80, v0
	s_mov_b32 s0, exec_lo
	s_delay_alu instid0(VALU_DEP_1)
	v_cmpx_gt_u32_e64 s31, v12
	s_cbranch_execz .LBB228_11
; %bb.10:
	global_load_b64 v[4:5], v0, s[4:5] offset:1024 scale_offset
.LBB228_11:
	s_wait_xcnt 0x0
	s_or_b32 exec_lo, exec_lo, s0
	v_or_b32_e32 v12, 0x100, v0
	s_mov_b32 s0, exec_lo
	s_delay_alu instid0(VALU_DEP_1)
	v_cmpx_gt_u32_e64 s31, v12
	s_cbranch_execz .LBB228_13
; %bb.12:
	global_load_b64 v[6:7], v0, s[4:5] offset:2048 scale_offset
.LBB228_13:
	s_wait_xcnt 0x0
	;; [unrolled: 10-line block ×4, first 2 shown]
	s_or_b32 exec_lo, exec_lo, s0
	v_lshlrev_b32_e32 v12, 3, v0
	s_wait_loadcnt 0x0
	ds_store_2addr_stride64_b64 v12, v[2:3], v[4:5] offset1:2
	ds_store_2addr_stride64_b64 v12, v[6:7], v[8:9] offset0:4 offset1:6
	ds_store_b64 v12, v[10:11] offset:4096
	s_wait_dscnt 0x0
	s_barrier_signal -1
	s_barrier_wait -1
.LBB228_18:
	v_mul_u32_u24_e32 v30, 5, v0
	s_add_nc_u64 s[0:1], s[24:25], s[26:27]
	s_and_b32 vcc_lo, exec_lo, s29
	s_add_nc_u64 s[0:1], s[0:1], s[16:17]
	s_delay_alu instid0(VALU_DEP_1)
	v_lshlrev_b32_e32 v31, 3, v30
	s_mov_b32 s16, -1
	ds_load_2addr_b64 v[14:17], v31 offset1:1
	ds_load_2addr_b64 v[10:13], v31 offset0:2 offset1:3
	ds_load_b64 v[20:21], v31 offset:32
	s_wait_dscnt 0x0
	s_barrier_signal -1
	s_barrier_wait -1
	s_cbranch_vccz .LBB228_20
; %bb.19:
	s_clause 0x4
	global_load_b64 v[2:3], v0, s[0:1] scale_offset
	global_load_b64 v[4:5], v0, s[0:1] offset:1024 scale_offset
	global_load_b64 v[6:7], v0, s[0:1] offset:2048 scale_offset
	;; [unrolled: 1-line block ×4, first 2 shown]
	v_lshlrev_b32_e32 v22, 3, v0
	s_mov_b32 s16, 0
	s_wait_loadcnt 0x3
	ds_store_2addr_stride64_b64 v22, v[2:3], v[4:5] offset1:2
	s_wait_loadcnt 0x1
	ds_store_2addr_stride64_b64 v22, v[6:7], v[8:9] offset0:4 offset1:6
	s_wait_loadcnt 0x0
	ds_store_b64 v22, v[18:19] offset:4096
	s_wait_dscnt 0x0
	s_barrier_signal -1
	s_barrier_wait -1
.LBB228_20:
	s_and_not1_b32 vcc_lo, exec_lo, s16
	s_cbranch_vccnz .LBB228_32
; %bb.21:
	s_mov_b32 s16, exec_lo
                                        ; implicit-def: $vgpr2_vgpr3
	v_cmpx_gt_u32_e64 s31, v0
	s_cbranch_execz .LBB228_23
; %bb.22:
	global_load_b64 v[2:3], v0, s[0:1] scale_offset
.LBB228_23:
	s_wait_xcnt 0x0
	s_or_b32 exec_lo, exec_lo, s16
	v_or_b32_e32 v4, 0x80, v0
	s_delay_alu instid0(VALU_DEP_1)
	v_cmp_gt_u32_e32 vcc_lo, s31, v4
                                        ; implicit-def: $vgpr4_vgpr5
	s_and_saveexec_b32 s16, vcc_lo
	s_cbranch_execz .LBB228_25
; %bb.24:
	global_load_b64 v[4:5], v0, s[0:1] offset:1024 scale_offset
.LBB228_25:
	s_wait_xcnt 0x0
	s_or_b32 exec_lo, exec_lo, s16
	v_or_b32_e32 v6, 0x100, v0
	s_delay_alu instid0(VALU_DEP_1)
	v_cmp_gt_u32_e32 vcc_lo, s31, v6
                                        ; implicit-def: $vgpr6_vgpr7
	s_and_saveexec_b32 s16, vcc_lo
	s_cbranch_execz .LBB228_27
; %bb.26:
	global_load_b64 v[6:7], v0, s[0:1] offset:2048 scale_offset
.LBB228_27:
	s_wait_xcnt 0x0
	s_or_b32 exec_lo, exec_lo, s16
	v_or_b32_e32 v8, 0x180, v0
	s_delay_alu instid0(VALU_DEP_1)
	v_cmp_gt_u32_e32 vcc_lo, s31, v8
                                        ; implicit-def: $vgpr8_vgpr9
	s_and_saveexec_b32 s16, vcc_lo
	s_cbranch_execz .LBB228_29
; %bb.28:
	global_load_b64 v[8:9], v0, s[0:1] offset:3072 scale_offset
.LBB228_29:
	s_wait_xcnt 0x0
	s_or_b32 exec_lo, exec_lo, s16
	v_or_b32_e32 v18, 0x200, v0
	s_delay_alu instid0(VALU_DEP_1)
	v_cmp_gt_u32_e32 vcc_lo, s31, v18
                                        ; implicit-def: $vgpr18_vgpr19
	s_and_saveexec_b32 s16, vcc_lo
	s_cbranch_execz .LBB228_31
; %bb.30:
	global_load_b64 v[18:19], v0, s[0:1] offset:4096 scale_offset
.LBB228_31:
	s_wait_xcnt 0x0
	s_or_b32 exec_lo, exec_lo, s16
	v_lshlrev_b32_e32 v22, 5, v0
	s_delay_alu instid0(VALU_DEP_1)
	v_sub_nc_u32_e32 v22, v31, v22
	s_wait_loadcnt 0x0
	ds_store_2addr_stride64_b64 v22, v[2:3], v[4:5] offset1:2
	ds_store_2addr_stride64_b64 v22, v[6:7], v[8:9] offset0:4 offset1:6
	ds_store_b64 v22, v[18:19] offset:4096
	s_wait_dscnt 0x0
	s_barrier_signal -1
	s_barrier_wait -1
.LBB228_32:
	ds_load_b64 v[18:19], v31 offset:32
	ds_load_2addr_b64 v[2:5], v31 offset0:2 offset1:3
	ds_load_2addr_b64 v[6:9], v31 offset1:1
	s_cmp_lg_u32 s30, 0
	s_wait_dscnt 0x0
	s_cselect_b32 s16, -1, 0
	s_cmp_lg_u64 s[6:7], 0
	v_cmp_gt_i64_e64 s7, s[18:19], 0
	s_cselect_b32 s0, -1, 0
	s_mov_b32 s6, 0
	s_or_b32 s0, s0, s16
	s_barrier_signal -1
	s_and_b32 vcc_lo, exec_lo, s0
	s_barrier_wait -1
	s_cbranch_vccz .LBB228_44
; %bb.33:
	v_dual_mov_b32 v24, 0 :: v_dual_lshlrev_b32 v33, 3, v0
	v_cndmask_b32_e64 v32, 0, 1, s7
	s_and_b32 vcc_lo, exec_lo, s29
	global_load_b64 v[22:23], v24, s[4:5] offset:-8
	ds_store_b64 v33, v[20:21]
	v_cmp_ne_u32_e64 s0, 1, v32
	s_cbranch_vccz .LBB228_46
; %bb.34:
	s_and_b32 vcc_lo, exec_lo, s0
	s_cbranch_vccnz .LBB228_47
; %bb.35:
	s_wait_xcnt 0x0
	v_mad_nc_u64_u32 v[24:25], v12, s18, s[8:9]
	v_mad_nc_u64_u32 v[26:27], v20, s18, s[8:9]
	s_add_nc_u64 s[4:5], s[18:19], -1
	s_mov_b32 s17, 0
	s_mov_b64 s[0:1], s[4:5]
                                        ; implicit-def: $sgpr6
	s_delay_alu instid0(VALU_DEP_2) | instskip(NEXT) | instid1(VALU_DEP_2)
	v_mad_u32 v25, v13, s18, v25
	v_mad_u32 v27, v21, s18, v27
	s_delay_alu instid0(VALU_DEP_2) | instskip(NEXT) | instid1(VALU_DEP_2)
	v_mad_u32 v25, v12, s19, v25
	v_mad_u32 v27, v20, s19, v27
	s_delay_alu instid0(VALU_DEP_2)
	v_mov_b64_e32 v[28:29], v[24:25]
.LBB228_36:                             ; =>This Inner Loop Header: Depth=1
	global_load_u8 v34, v[28:29], off
	global_load_u8 v35, v[26:27], off
	s_cmp_eq_u64 s[0:1], 0
	s_add_nc_u64 s[24:25], s[0:1], -1
	s_cselect_b32 s1, -1, 0
	s_wait_xcnt 0x1
	v_add_nc_u64_e32 v[28:29], 1, v[28:29]
	s_wait_xcnt 0x0
	v_add_nc_u64_e32 v[26:27], 1, v[26:27]
	s_wait_loadcnt 0x0
	v_cmp_ne_u16_e32 vcc_lo, v34, v35
	v_cmp_eq_u16_e64 s0, v34, v35
	s_or_b32 s1, vcc_lo, s1
	s_delay_alu instid0(SALU_CYCLE_1) | instskip(NEXT) | instid1(SALU_CYCLE_1)
	s_and_b32 s1, exec_lo, s1
	s_or_b32 s17, s1, s17
	s_and_not1_b32 s6, s6, exec_lo
	s_and_b32 s26, s0, exec_lo
	s_mov_b64 s[0:1], s[24:25]
	s_or_b32 s6, s6, s26
	s_and_not1_b32 exec_lo, exec_lo, s17
	s_cbranch_execnz .LBB228_36
; %bb.37:
	s_or_b32 exec_lo, exec_lo, s17
	v_mad_nc_u64_u32 v[26:27], v10, s18, s[8:9]
	s_mov_b32 s24, 0
	s_mov_b64 s[0:1], s[4:5]
                                        ; implicit-def: $sgpr17
	s_delay_alu instid0(VALU_DEP_1) | instskip(NEXT) | instid1(VALU_DEP_1)
	v_mad_u32 v27, v11, s18, v27
	v_mad_u32 v27, v10, s19, v27
	s_delay_alu instid0(VALU_DEP_1)
	v_mov_b64_e32 v[28:29], v[26:27]
.LBB228_38:                             ; =>This Inner Loop Header: Depth=1
	global_load_u8 v34, v[28:29], off
	global_load_u8 v35, v[24:25], off
	s_cmp_eq_u64 s[0:1], 0
	s_add_nc_u64 s[26:27], s[0:1], -1
	s_cselect_b32 s1, -1, 0
	s_wait_xcnt 0x1
	v_add_nc_u64_e32 v[28:29], 1, v[28:29]
	s_wait_xcnt 0x0
	v_add_nc_u64_e32 v[24:25], 1, v[24:25]
	s_wait_loadcnt 0x0
	v_cmp_ne_u16_e32 vcc_lo, v34, v35
	v_cmp_eq_u16_e64 s0, v34, v35
	s_or_b32 s1, vcc_lo, s1
	s_delay_alu instid0(SALU_CYCLE_1) | instskip(NEXT) | instid1(SALU_CYCLE_1)
	s_and_b32 s1, exec_lo, s1
	s_or_b32 s24, s1, s24
	s_and_not1_b32 s17, s17, exec_lo
	s_and_b32 s25, s0, exec_lo
	s_mov_b64 s[0:1], s[26:27]
	s_or_b32 s17, s17, s25
	s_and_not1_b32 exec_lo, exec_lo, s24
	s_cbranch_execnz .LBB228_38
; %bb.39:
	s_or_b32 exec_lo, exec_lo, s24
	v_mad_nc_u64_u32 v[24:25], v16, s18, s[8:9]
	s_mov_b32 s25, 0
	s_mov_b64 s[0:1], s[4:5]
                                        ; implicit-def: $sgpr24
	s_delay_alu instid0(VALU_DEP_1) | instskip(NEXT) | instid1(VALU_DEP_1)
	v_mad_u32 v25, v17, s18, v25
	v_mad_u32 v25, v16, s19, v25
	s_delay_alu instid0(VALU_DEP_1)
	v_mov_b64_e32 v[28:29], v[24:25]
.LBB228_40:                             ; =>This Inner Loop Header: Depth=1
	global_load_u8 v34, v[28:29], off
	global_load_u8 v35, v[26:27], off
	s_cmp_eq_u64 s[0:1], 0
	s_add_nc_u64 s[26:27], s[0:1], -1
	s_cselect_b32 s1, -1, 0
	s_wait_xcnt 0x1
	v_add_nc_u64_e32 v[28:29], 1, v[28:29]
	s_wait_xcnt 0x0
	v_add_nc_u64_e32 v[26:27], 1, v[26:27]
	s_wait_loadcnt 0x0
	v_cmp_ne_u16_e32 vcc_lo, v34, v35
	v_cmp_eq_u16_e64 s0, v34, v35
	s_or_b32 s1, vcc_lo, s1
	s_delay_alu instid0(SALU_CYCLE_1) | instskip(NEXT) | instid1(SALU_CYCLE_1)
	s_and_b32 s1, exec_lo, s1
	s_or_b32 s25, s1, s25
	s_and_not1_b32 s24, s24, exec_lo
	s_and_b32 s34, s0, exec_lo
	s_mov_b64 s[0:1], s[26:27]
	s_or_b32 s24, s24, s34
	s_and_not1_b32 exec_lo, exec_lo, s25
	s_cbranch_execnz .LBB228_40
; %bb.41:
	s_or_b32 exec_lo, exec_lo, s25
	v_mad_nc_u64_u32 v[26:27], v14, s18, s[8:9]
	s_mov_b32 s25, 0
                                        ; implicit-def: $sgpr1
	s_delay_alu instid0(VALU_DEP_1) | instskip(NEXT) | instid1(VALU_DEP_1)
	v_mad_u32 v27, v15, s18, v27
	v_mad_u32 v27, v14, s19, v27
.LBB228_42:                             ; =>This Inner Loop Header: Depth=1
	global_load_u8 v28, v[26:27], off
	global_load_u8 v29, v[24:25], off
	s_cmp_eq_u64 s[4:5], 0
	s_add_nc_u64 s[26:27], s[4:5], -1
	s_cselect_b32 s4, -1, 0
	s_wait_xcnt 0x1
	v_add_nc_u64_e32 v[26:27], 1, v[26:27]
	s_wait_xcnt 0x0
	v_add_nc_u64_e32 v[24:25], 1, v[24:25]
	s_wait_loadcnt 0x0
	v_cmp_ne_u16_e32 vcc_lo, v28, v29
	v_cmp_eq_u16_e64 s0, v28, v29
	s_or_b32 s4, vcc_lo, s4
	s_delay_alu instid0(SALU_CYCLE_1) | instskip(NEXT) | instid1(SALU_CYCLE_1)
	s_and_b32 s4, exec_lo, s4
	s_or_b32 s25, s4, s25
	s_and_not1_b32 s1, s1, exec_lo
	s_and_b32 s0, s0, exec_lo
	s_mov_b64 s[4:5], s[26:27]
	s_or_b32 s1, s1, s0
	s_and_not1_b32 exec_lo, exec_lo, s25
	s_cbranch_execnz .LBB228_42
; %bb.43:
	s_or_b32 exec_lo, exec_lo, s25
	s_xor_b32 s0, s17, -1
	s_delay_alu instid0(SALU_CYCLE_1) | instskip(SKIP_1) | instid1(SALU_CYCLE_1)
	v_cndmask_b32_e64 v24, 0, 1, s0
	s_xor_b32 s0, s24, -1
	v_cndmask_b32_e64 v25, 0, 1, s0
	s_xor_b32 s0, s6, -1
	s_delay_alu instid0(VALU_DEP_2) | instskip(SKIP_2) | instid1(VALU_DEP_2)
	v_lshlrev_b16 v24, 8, v24
	v_cndmask_b32_e64 v34, 0, 1, s0
	s_xor_b32 s0, s1, -1
	v_lshrrev_b32_e32 v24, 8, v24
	s_delay_alu instid0(VALU_DEP_1) | instskip(NEXT) | instid1(VALU_DEP_1)
	v_lshlrev_b16 v24, 8, v24
	v_or_b32_e32 v24, v25, v24
	s_delay_alu instid0(VALU_DEP_1)
	v_lshlrev_b32_e32 v24, 16, v24
	s_branch .LBB228_48
.LBB228_44:
                                        ; implicit-def: $sgpr0
                                        ; implicit-def: $vgpr34
                                        ; implicit-def: $vgpr25
	s_branch .LBB228_89
.LBB228_45:
                                        ; implicit-def: $vgpr24
                                        ; implicit-def: $vgpr23
                                        ; implicit-def: $vgpr35
                                        ; implicit-def: $vgpr22
	s_branch .LBB228_142
.LBB228_46:
	s_wait_xcnt 0x0
                                        ; implicit-def: $sgpr0
                                        ; implicit-def: $vgpr34
                                        ; implicit-def: $vgpr25
	s_cbranch_execnz .LBB228_55
	s_branch .LBB228_88
.LBB228_47:
	v_mov_b32_e32 v34, 0
	s_mov_b32 s0, 0
.LBB228_48:
	s_wait_loadcnt 0x0
	v_mov_b64_e32 v[28:29], v[22:23]
	s_wait_dscnt 0x0
	s_barrier_signal -1
	s_barrier_wait -1
	s_and_saveexec_b32 s1, s3
; %bb.49:
	v_add_nc_u32_e32 v25, -8, v33
	ds_load_b64 v[28:29], v25
; %bb.50:
	s_or_b32 exec_lo, exec_lo, s1
	v_cndmask_b32_e64 v25, 0, 1, s0
	v_lshrrev_b32_e32 v26, 16, v24
	s_mov_b32 s4, 0
	s_and_not1_b32 vcc_lo, exec_lo, s7
	s_mov_b32 s0, 0
	v_lshlrev_b16 v25, 8, v25
	v_perm_b32 v35, v26, v24, 0xc0c0304
	s_delay_alu instid0(VALU_DEP_2) | instskip(NEXT) | instid1(VALU_DEP_1)
	v_bitop3_b16 v25, v24, v25, 0xff bitop3:0xec
	v_and_b32_e32 v36, 0xffff, v25
	s_cbranch_vccnz .LBB228_54
; %bb.51:
	s_wait_dscnt 0x0
	v_mad_nc_u64_u32 v[24:25], v28, s18, s[8:9]
	v_mad_nc_u64_u32 v[26:27], v14, s18, s[8:9]
	s_add_nc_u64 s[0:1], s[18:19], -1
	s_mov_b32 s5, 0
                                        ; implicit-def: $sgpr6
	s_delay_alu instid0(VALU_DEP_2) | instskip(NEXT) | instid1(VALU_DEP_2)
	v_mad_u32 v25, v29, s18, v25
	v_mad_u32 v27, v15, s18, v27
	s_delay_alu instid0(VALU_DEP_2) | instskip(NEXT) | instid1(VALU_DEP_2)
	v_mad_u32 v25, v28, s19, v25
	v_mad_u32 v27, v14, s19, v27
.LBB228_52:                             ; =>This Inner Loop Header: Depth=1
	global_load_u8 v28, v[24:25], off
	global_load_u8 v29, v[26:27], off
	s_cmp_eq_u64 s[0:1], 0
	s_add_nc_u64 s[24:25], s[0:1], -1
	s_cselect_b32 s1, -1, 0
	s_wait_xcnt 0x1
	v_add_nc_u64_e32 v[24:25], 1, v[24:25]
	s_wait_xcnt 0x0
	v_add_nc_u64_e32 v[26:27], 1, v[26:27]
	s_wait_loadcnt 0x0
	v_cmp_ne_u16_e32 vcc_lo, v28, v29
	v_cmp_eq_u16_e64 s0, v28, v29
	s_or_b32 s1, vcc_lo, s1
	s_delay_alu instid0(SALU_CYCLE_1) | instskip(NEXT) | instid1(SALU_CYCLE_1)
	s_and_b32 s1, exec_lo, s1
	s_or_b32 s5, s1, s5
	s_and_not1_b32 s6, s6, exec_lo
	s_and_b32 s17, s0, exec_lo
	s_mov_b64 s[0:1], s[24:25]
	s_or_b32 s6, s6, s17
	s_and_not1_b32 exec_lo, exec_lo, s5
	s_cbranch_execnz .LBB228_52
; %bb.53:
	s_or_b32 exec_lo, exec_lo, s5
	s_xor_b32 s0, s6, -1
.LBB228_54:
	s_delay_alu instid0(VALU_DEP_1)
	v_lshl_or_b32 v25, v35, 16, v36
	s_and_b32 vcc_lo, exec_lo, s4
	s_cbranch_vccz .LBB228_88
.LBB228_55:
	v_add_nc_u32_e32 v24, 4, v30
	s_mov_b32 s5, 0
	s_mov_b32 s4, 0
	s_mov_b32 s6, exec_lo
	s_delay_alu instid0(VALU_DEP_1)
	v_cmpx_gt_u32_e64 s31, v24
	s_cbranch_execz .LBB228_61
; %bb.56:
	s_and_not1_b32 vcc_lo, exec_lo, s7
	s_mov_b32 s0, 0
	s_cbranch_vccnz .LBB228_60
; %bb.57:
	v_mad_nc_u64_u32 v[24:25], v12, s18, s[8:9]
	v_mad_nc_u64_u32 v[26:27], v20, s18, s[8:9]
	s_add_nc_u64 s[0:1], s[18:19], -1
                                        ; implicit-def: $sgpr7
	s_delay_alu instid0(VALU_DEP_2) | instskip(NEXT) | instid1(VALU_DEP_2)
	v_mad_u32 v25, v13, s18, v25
	v_mad_u32 v27, v21, s18, v27
	s_delay_alu instid0(VALU_DEP_2) | instskip(NEXT) | instid1(VALU_DEP_2)
	v_mad_u32 v25, v12, s19, v25
	v_mad_u32 v27, v20, s19, v27
.LBB228_58:                             ; =>This Inner Loop Header: Depth=1
	s_wait_dscnt 0x0
	global_load_u8 v28, v[24:25], off
	global_load_u8 v29, v[26:27], off
	s_cmp_eq_u64 s[0:1], 0
	s_add_nc_u64 s[24:25], s[0:1], -1
	s_cselect_b32 s1, -1, 0
	s_wait_xcnt 0x1
	v_add_nc_u64_e32 v[24:25], 1, v[24:25]
	s_wait_xcnt 0x0
	v_add_nc_u64_e32 v[26:27], 1, v[26:27]
	s_wait_loadcnt 0x0
	v_cmp_ne_u16_e32 vcc_lo, v28, v29
	v_cmp_eq_u16_e64 s0, v28, v29
	s_or_b32 s1, vcc_lo, s1
	s_delay_alu instid0(SALU_CYCLE_1) | instskip(NEXT) | instid1(SALU_CYCLE_1)
	s_and_b32 s1, exec_lo, s1
	s_or_b32 s4, s1, s4
	s_and_not1_b32 s7, s7, exec_lo
	s_and_b32 s17, s0, exec_lo
	s_mov_b64 s[0:1], s[24:25]
	s_or_b32 s7, s7, s17
	s_and_not1_b32 exec_lo, exec_lo, s4
	s_cbranch_execnz .LBB228_58
; %bb.59:
	s_or_b32 exec_lo, exec_lo, s4
	s_xor_b32 s0, s7, -1
.LBB228_60:
	s_delay_alu instid0(SALU_CYCLE_1)
	s_and_b32 s4, s0, exec_lo
.LBB228_61:
	s_or_b32 exec_lo, exec_lo, s6
	v_add_nc_u32_e32 v24, 3, v30
	s_mov_b32 s6, exec_lo
	s_delay_alu instid0(VALU_DEP_1)
	v_cmpx_gt_u32_e64 s31, v24
	s_cbranch_execz .LBB228_67
; %bb.62:
	v_cmp_ne_u32_e32 vcc_lo, 1, v32
	s_mov_b32 s0, 0
	s_cbranch_vccnz .LBB228_66
; %bb.63:
	v_mad_nc_u64_u32 v[24:25], v10, s18, s[8:9]
	v_mad_nc_u64_u32 v[26:27], v12, s18, s[8:9]
	s_add_nc_u64 s[0:1], s[18:19], -1
	s_mov_b32 s5, 0
                                        ; implicit-def: $sgpr7
	s_delay_alu instid0(VALU_DEP_2) | instskip(NEXT) | instid1(VALU_DEP_2)
	v_mad_u32 v25, v11, s18, v25
	v_mad_u32 v27, v13, s18, v27
	s_delay_alu instid0(VALU_DEP_2) | instskip(NEXT) | instid1(VALU_DEP_2)
	v_mad_u32 v25, v10, s19, v25
	v_mad_u32 v27, v12, s19, v27
.LBB228_64:                             ; =>This Inner Loop Header: Depth=1
	s_wait_dscnt 0x0
	global_load_u8 v28, v[24:25], off
	global_load_u8 v29, v[26:27], off
	s_cmp_eq_u64 s[0:1], 0
	s_add_nc_u64 s[24:25], s[0:1], -1
	s_cselect_b32 s1, -1, 0
	s_wait_xcnt 0x1
	v_add_nc_u64_e32 v[24:25], 1, v[24:25]
	s_wait_xcnt 0x0
	v_add_nc_u64_e32 v[26:27], 1, v[26:27]
	s_wait_loadcnt 0x0
	v_cmp_ne_u16_e32 vcc_lo, v28, v29
	v_cmp_eq_u16_e64 s0, v28, v29
	s_or_b32 s1, vcc_lo, s1
	s_delay_alu instid0(SALU_CYCLE_1) | instskip(NEXT) | instid1(SALU_CYCLE_1)
	s_and_b32 s1, exec_lo, s1
	s_or_b32 s5, s1, s5
	s_and_not1_b32 s7, s7, exec_lo
	s_and_b32 s17, s0, exec_lo
	s_mov_b64 s[0:1], s[24:25]
	s_or_b32 s7, s7, s17
	s_and_not1_b32 exec_lo, exec_lo, s5
	s_cbranch_execnz .LBB228_64
; %bb.65:
	s_or_b32 exec_lo, exec_lo, s5
	s_xor_b32 s0, s7, -1
.LBB228_66:
	s_delay_alu instid0(SALU_CYCLE_1)
	s_and_b32 s5, s0, exec_lo
.LBB228_67:
	s_or_b32 exec_lo, exec_lo, s6
	v_add_nc_u32_e32 v24, 2, v30
	s_mov_b32 s6, 0
	s_mov_b32 s7, 0
	s_mov_b32 s17, exec_lo
	s_delay_alu instid0(VALU_DEP_1)
	v_cmpx_gt_u32_e64 s31, v24
	s_cbranch_execz .LBB228_73
; %bb.68:
	v_cmp_ne_u32_e32 vcc_lo, 1, v32
	s_mov_b32 s0, 0
	s_cbranch_vccnz .LBB228_72
; %bb.69:
	v_mad_nc_u64_u32 v[24:25], v16, s18, s[8:9]
	v_mad_nc_u64_u32 v[26:27], v10, s18, s[8:9]
	s_add_nc_u64 s[0:1], s[18:19], -1
                                        ; implicit-def: $sgpr24
	s_delay_alu instid0(VALU_DEP_2) | instskip(NEXT) | instid1(VALU_DEP_2)
	v_mad_u32 v25, v17, s18, v25
	v_mad_u32 v27, v11, s18, v27
	s_delay_alu instid0(VALU_DEP_2) | instskip(NEXT) | instid1(VALU_DEP_2)
	v_mad_u32 v25, v16, s19, v25
	v_mad_u32 v27, v10, s19, v27
.LBB228_70:                             ; =>This Inner Loop Header: Depth=1
	s_wait_dscnt 0x0
	global_load_u8 v28, v[24:25], off
	global_load_u8 v29, v[26:27], off
	s_cmp_eq_u64 s[0:1], 0
	s_add_nc_u64 s[26:27], s[0:1], -1
	s_cselect_b32 s1, -1, 0
	s_wait_xcnt 0x1
	v_add_nc_u64_e32 v[24:25], 1, v[24:25]
	s_wait_xcnt 0x0
	v_add_nc_u64_e32 v[26:27], 1, v[26:27]
	s_wait_loadcnt 0x0
	v_cmp_ne_u16_e32 vcc_lo, v28, v29
	v_cmp_eq_u16_e64 s0, v28, v29
	s_or_b32 s1, vcc_lo, s1
	s_delay_alu instid0(SALU_CYCLE_1) | instskip(NEXT) | instid1(SALU_CYCLE_1)
	s_and_b32 s1, exec_lo, s1
	s_or_b32 s7, s1, s7
	s_and_not1_b32 s24, s24, exec_lo
	s_and_b32 s25, s0, exec_lo
	s_mov_b64 s[0:1], s[26:27]
	s_or_b32 s24, s24, s25
	s_and_not1_b32 exec_lo, exec_lo, s7
	s_cbranch_execnz .LBB228_70
; %bb.71:
	s_or_b32 exec_lo, exec_lo, s7
	s_xor_b32 s0, s24, -1
.LBB228_72:
	s_delay_alu instid0(SALU_CYCLE_1)
	s_and_b32 s7, s0, exec_lo
.LBB228_73:
	s_or_b32 exec_lo, exec_lo, s17
	v_add_nc_u32_e32 v24, 1, v30
	s_mov_b32 s17, exec_lo
	s_delay_alu instid0(VALU_DEP_1)
	v_cmpx_gt_u32_e64 s31, v24
	s_cbranch_execz .LBB228_79
; %bb.74:
	v_cmp_ne_u32_e32 vcc_lo, 1, v32
	s_mov_b32 s0, 0
	s_cbranch_vccnz .LBB228_78
; %bb.75:
	v_mad_nc_u64_u32 v[24:25], v14, s18, s[8:9]
	v_mad_nc_u64_u32 v[26:27], v16, s18, s[8:9]
	s_add_nc_u64 s[0:1], s[18:19], -1
	s_mov_b32 s6, 0
                                        ; implicit-def: $sgpr24
	s_delay_alu instid0(VALU_DEP_2) | instskip(NEXT) | instid1(VALU_DEP_2)
	v_mad_u32 v25, v15, s18, v25
	v_mad_u32 v27, v17, s18, v27
	s_delay_alu instid0(VALU_DEP_2) | instskip(NEXT) | instid1(VALU_DEP_2)
	v_mad_u32 v25, v14, s19, v25
	v_mad_u32 v27, v16, s19, v27
.LBB228_76:                             ; =>This Inner Loop Header: Depth=1
	s_wait_dscnt 0x0
	global_load_u8 v28, v[24:25], off
	global_load_u8 v29, v[26:27], off
	s_cmp_eq_u64 s[0:1], 0
	s_add_nc_u64 s[26:27], s[0:1], -1
	s_cselect_b32 s1, -1, 0
	s_wait_xcnt 0x1
	v_add_nc_u64_e32 v[24:25], 1, v[24:25]
	s_wait_xcnt 0x0
	v_add_nc_u64_e32 v[26:27], 1, v[26:27]
	s_wait_loadcnt 0x0
	v_cmp_ne_u16_e32 vcc_lo, v28, v29
	v_cmp_eq_u16_e64 s0, v28, v29
	s_or_b32 s1, vcc_lo, s1
	s_delay_alu instid0(SALU_CYCLE_1) | instskip(NEXT) | instid1(SALU_CYCLE_1)
	s_and_b32 s1, exec_lo, s1
	s_or_b32 s6, s1, s6
	s_and_not1_b32 s24, s24, exec_lo
	s_and_b32 s25, s0, exec_lo
	s_mov_b64 s[0:1], s[26:27]
	s_or_b32 s24, s24, s25
	s_and_not1_b32 exec_lo, exec_lo, s6
	s_cbranch_execnz .LBB228_76
; %bb.77:
	s_or_b32 exec_lo, exec_lo, s6
	s_xor_b32 s0, s24, -1
.LBB228_78:
	s_delay_alu instid0(SALU_CYCLE_1)
	s_and_b32 s6, s0, exec_lo
.LBB228_79:
	s_or_b32 exec_lo, exec_lo, s17
	s_wait_loadcnt_dscnt 0x0
	s_barrier_signal -1
	s_barrier_wait -1
	s_and_saveexec_b32 s0, s3
; %bb.80:
	v_add_nc_u32_e32 v22, -8, v33
	ds_load_b64 v[22:23], v22
; %bb.81:
	s_or_b32 exec_lo, exec_lo, s0
	v_cndmask_b32_e64 v24, 0, 1, s5
	v_cndmask_b32_e64 v25, 0, 1, s7
	;; [unrolled: 1-line block ×3, first 2 shown]
	s_mov_b32 s0, 0
	s_mov_b32 s5, exec_lo
	v_lshlrev_b16 v24, 8, v24
	s_delay_alu instid0(VALU_DEP_2) | instskip(NEXT) | instid1(VALU_DEP_2)
	v_lshlrev_b16 v26, 8, v26
	v_or_b32_e32 v24, v25, v24
	s_delay_alu instid0(VALU_DEP_2) | instskip(NEXT) | instid1(VALU_DEP_2)
	v_and_b32_e32 v28, 0xffff, v26
	v_lshlrev_b32_e32 v29, 16, v24
	v_cmpx_gt_u32_e64 s31, v30
	s_cbranch_execz .LBB228_87
; %bb.82:
	v_cmp_ne_u32_e32 vcc_lo, 1, v32
	s_cbranch_vccnz .LBB228_86
; %bb.83:
	s_wait_dscnt 0x0
	v_mad_nc_u64_u32 v[24:25], v22, s18, s[8:9]
	v_mad_nc_u64_u32 v[26:27], v14, s18, s[8:9]
	s_add_nc_u64 s[0:1], s[18:19], -1
	s_mov_b32 s6, 0
                                        ; implicit-def: $sgpr7
	s_delay_alu instid0(VALU_DEP_2) | instskip(NEXT) | instid1(VALU_DEP_2)
	v_mad_u32 v23, v23, s18, v25
	v_mad_u32 v27, v15, s18, v27
	s_delay_alu instid0(VALU_DEP_2) | instskip(NEXT) | instid1(VALU_DEP_2)
	v_mad_u32 v25, v22, s19, v23
	v_mad_u32 v27, v14, s19, v27
.LBB228_84:                             ; =>This Inner Loop Header: Depth=1
	global_load_u8 v22, v[24:25], off
	global_load_u8 v23, v[26:27], off
	s_cmp_eq_u64 s[0:1], 0
	s_add_nc_u64 s[24:25], s[0:1], -1
	s_cselect_b32 s1, -1, 0
	s_wait_xcnt 0x1
	v_add_nc_u64_e32 v[24:25], 1, v[24:25]
	s_wait_xcnt 0x0
	v_add_nc_u64_e32 v[26:27], 1, v[26:27]
	s_wait_loadcnt 0x0
	v_cmp_ne_u16_e32 vcc_lo, v22, v23
	v_cmp_eq_u16_e64 s0, v22, v23
	s_or_b32 s1, vcc_lo, s1
	s_delay_alu instid0(SALU_CYCLE_1) | instskip(NEXT) | instid1(SALU_CYCLE_1)
	s_and_b32 s1, exec_lo, s1
	s_or_b32 s6, s1, s6
	s_and_not1_b32 s7, s7, exec_lo
	s_and_b32 s17, s0, exec_lo
	s_mov_b64 s[0:1], s[24:25]
	s_or_b32 s7, s7, s17
	s_and_not1_b32 exec_lo, exec_lo, s6
	s_cbranch_execnz .LBB228_84
; %bb.85:
	s_or_b32 exec_lo, exec_lo, s6
	s_xor_b32 s0, s7, -1
.LBB228_86:
	s_delay_alu instid0(SALU_CYCLE_1)
	s_and_b32 s0, s0, exec_lo
.LBB228_87:
	s_or_b32 exec_lo, exec_lo, s5
	v_cndmask_b32_e64 v34, 0, 1, s4
	v_or_b32_e32 v25, v28, v29
.LBB228_88:
	s_mov_b32 s6, -1
	s_cbranch_execnz .LBB228_45
.LBB228_89:
	s_wait_loadcnt_dscnt 0x0
	v_lshlrev_b32_e32 v22, 5, v0
	v_cmp_gt_i64_e64 s7, s[18:19], 0
	s_and_b32 vcc_lo, exec_lo, s29
	v_sub_nc_u32_e32 v31, v31, v22
	ds_store_b64 v31, v[20:21]
	s_cbranch_vccz .LBB228_100
; %bb.90:
	s_and_not1_b32 vcc_lo, exec_lo, s7
	s_cbranch_vccnz .LBB228_101
; %bb.91:
	v_mad_nc_u64_u32 v[22:23], v12, s18, s[8:9]
	v_mad_nc_u64_u32 v[24:25], v20, s18, s[8:9]
	s_add_nc_u64 s[4:5], s[18:19], -1
	s_mov_b32 s24, 0
	s_mov_b64 s[0:1], s[4:5]
                                        ; implicit-def: $sgpr17
	s_delay_alu instid0(VALU_DEP_2) | instskip(NEXT) | instid1(VALU_DEP_2)
	v_mad_u32 v23, v13, s18, v23
	v_mad_u32 v25, v21, s18, v25
	s_delay_alu instid0(VALU_DEP_2) | instskip(NEXT) | instid1(VALU_DEP_2)
	v_mad_u32 v23, v12, s19, v23
	v_mad_u32 v25, v20, s19, v25
	s_delay_alu instid0(VALU_DEP_2)
	v_mov_b64_e32 v[26:27], v[22:23]
.LBB228_92:                             ; =>This Inner Loop Header: Depth=1
	global_load_u8 v28, v[26:27], off
	global_load_u8 v29, v[24:25], off
	s_cmp_eq_u64 s[0:1], 0
	s_add_nc_u64 s[26:27], s[0:1], -1
	s_cselect_b32 s1, -1, 0
	s_wait_xcnt 0x1
	v_add_nc_u64_e32 v[26:27], 1, v[26:27]
	s_wait_xcnt 0x0
	v_add_nc_u64_e32 v[24:25], 1, v[24:25]
	s_wait_loadcnt 0x0
	v_cmp_ne_u16_e32 vcc_lo, v28, v29
	v_cmp_eq_u16_e64 s0, v28, v29
	s_or_b32 s1, vcc_lo, s1
	s_delay_alu instid0(SALU_CYCLE_1) | instskip(NEXT) | instid1(SALU_CYCLE_1)
	s_and_b32 s1, exec_lo, s1
	s_or_b32 s24, s1, s24
	s_and_not1_b32 s17, s17, exec_lo
	s_and_b32 s25, s0, exec_lo
	s_mov_b64 s[0:1], s[26:27]
	s_or_b32 s17, s17, s25
	s_and_not1_b32 exec_lo, exec_lo, s24
	s_cbranch_execnz .LBB228_92
; %bb.93:
	s_or_b32 exec_lo, exec_lo, s24
	v_mad_nc_u64_u32 v[24:25], v10, s18, s[8:9]
	s_mov_b32 s25, 0
	s_mov_b64 s[0:1], s[4:5]
                                        ; implicit-def: $sgpr24
	s_delay_alu instid0(VALU_DEP_1) | instskip(NEXT) | instid1(VALU_DEP_1)
	v_mad_u32 v25, v11, s18, v25
	v_mad_u32 v25, v10, s19, v25
	s_delay_alu instid0(VALU_DEP_1)
	v_mov_b64_e32 v[26:27], v[24:25]
.LBB228_94:                             ; =>This Inner Loop Header: Depth=1
	global_load_u8 v28, v[26:27], off
	global_load_u8 v29, v[22:23], off
	s_cmp_eq_u64 s[0:1], 0
	s_add_nc_u64 s[26:27], s[0:1], -1
	s_cselect_b32 s1, -1, 0
	s_wait_xcnt 0x1
	v_add_nc_u64_e32 v[26:27], 1, v[26:27]
	s_wait_xcnt 0x0
	v_add_nc_u64_e32 v[22:23], 1, v[22:23]
	s_wait_loadcnt 0x0
	v_cmp_ne_u16_e32 vcc_lo, v28, v29
	v_cmp_eq_u16_e64 s0, v28, v29
	s_or_b32 s1, vcc_lo, s1
	s_delay_alu instid0(SALU_CYCLE_1) | instskip(NEXT) | instid1(SALU_CYCLE_1)
	s_and_b32 s1, exec_lo, s1
	s_or_b32 s25, s1, s25
	s_and_not1_b32 s24, s24, exec_lo
	s_and_b32 s34, s0, exec_lo
	s_mov_b64 s[0:1], s[26:27]
	s_or_b32 s24, s24, s34
	s_and_not1_b32 exec_lo, exec_lo, s25
	s_cbranch_execnz .LBB228_94
; %bb.95:
	s_or_b32 exec_lo, exec_lo, s25
	v_mad_nc_u64_u32 v[22:23], v16, s18, s[8:9]
	s_mov_b32 s26, 0
	s_mov_b64 s[0:1], s[4:5]
                                        ; implicit-def: $sgpr25
	s_delay_alu instid0(VALU_DEP_1) | instskip(NEXT) | instid1(VALU_DEP_1)
	v_mad_u32 v23, v17, s18, v23
	v_mad_u32 v23, v16, s19, v23
	s_delay_alu instid0(VALU_DEP_1)
	v_mov_b64_e32 v[26:27], v[22:23]
.LBB228_96:                             ; =>This Inner Loop Header: Depth=1
	global_load_u8 v28, v[26:27], off
	global_load_u8 v29, v[24:25], off
	s_cmp_eq_u64 s[0:1], 0
	s_add_nc_u64 s[34:35], s[0:1], -1
	s_cselect_b32 s1, -1, 0
	s_wait_xcnt 0x1
	v_add_nc_u64_e32 v[26:27], 1, v[26:27]
	s_wait_xcnt 0x0
	v_add_nc_u64_e32 v[24:25], 1, v[24:25]
	s_wait_loadcnt 0x0
	v_cmp_ne_u16_e32 vcc_lo, v28, v29
	v_cmp_eq_u16_e64 s0, v28, v29
	s_or_b32 s1, vcc_lo, s1
	s_delay_alu instid0(SALU_CYCLE_1) | instskip(NEXT) | instid1(SALU_CYCLE_1)
	s_and_b32 s1, exec_lo, s1
	s_or_b32 s26, s1, s26
	s_and_not1_b32 s25, s25, exec_lo
	s_and_b32 s27, s0, exec_lo
	s_mov_b64 s[0:1], s[34:35]
	s_or_b32 s25, s25, s27
	s_and_not1_b32 exec_lo, exec_lo, s26
	s_cbranch_execnz .LBB228_96
; %bb.97:
	s_or_b32 exec_lo, exec_lo, s26
	v_mad_nc_u64_u32 v[24:25], v14, s18, s[8:9]
	s_mov_b32 s26, 0
                                        ; implicit-def: $sgpr1
	s_delay_alu instid0(VALU_DEP_1) | instskip(NEXT) | instid1(VALU_DEP_1)
	v_mad_u32 v25, v15, s18, v25
	v_mad_u32 v25, v14, s19, v25
.LBB228_98:                             ; =>This Inner Loop Header: Depth=1
	global_load_u8 v26, v[24:25], off
	global_load_u8 v27, v[22:23], off
	s_cmp_eq_u64 s[4:5], 0
	s_add_nc_u64 s[34:35], s[4:5], -1
	s_cselect_b32 s4, -1, 0
	s_wait_xcnt 0x1
	v_add_nc_u64_e32 v[24:25], 1, v[24:25]
	s_wait_xcnt 0x0
	v_add_nc_u64_e32 v[22:23], 1, v[22:23]
	s_wait_loadcnt 0x0
	v_cmp_ne_u16_e32 vcc_lo, v26, v27
	v_cmp_eq_u16_e64 s0, v26, v27
	s_or_b32 s4, vcc_lo, s4
	s_delay_alu instid0(SALU_CYCLE_1) | instskip(NEXT) | instid1(SALU_CYCLE_1)
	s_and_b32 s4, exec_lo, s4
	s_or_b32 s26, s4, s26
	s_and_not1_b32 s1, s1, exec_lo
	s_and_b32 s0, s0, exec_lo
	s_mov_b64 s[4:5], s[34:35]
	s_or_b32 s1, s1, s0
	s_and_not1_b32 exec_lo, exec_lo, s26
	s_cbranch_execnz .LBB228_98
; %bb.99:
	s_or_b32 exec_lo, exec_lo, s26
	s_xor_b32 s0, s24, -1
	s_delay_alu instid0(SALU_CYCLE_1) | instskip(SKIP_1) | instid1(SALU_CYCLE_1)
	v_cndmask_b32_e64 v22, 0, 1, s0
	s_xor_b32 s0, s25, -1
	v_cndmask_b32_e64 v23, 0, 1, s0
	s_xor_b32 s0, s17, -1
	s_delay_alu instid0(VALU_DEP_2) | instskip(SKIP_2) | instid1(VALU_DEP_2)
	v_lshlrev_b16 v22, 8, v22
	v_cndmask_b32_e64 v34, 0, 1, s0
	s_xor_b32 s0, s1, -1
	v_lshrrev_b32_e32 v22, 8, v22
	s_delay_alu instid0(VALU_DEP_1) | instskip(NEXT) | instid1(VALU_DEP_1)
	v_lshlrev_b16 v22, 8, v22
	v_or_b32_e32 v22, v23, v22
	s_delay_alu instid0(VALU_DEP_1)
	v_lshlrev_b32_e32 v22, 16, v22
	s_branch .LBB228_102
.LBB228_100:
                                        ; implicit-def: $sgpr0
                                        ; implicit-def: $vgpr34
                                        ; implicit-def: $vgpr25
                                        ; implicit-def: $vgpr24
                                        ; implicit-def: $vgpr23
                                        ; implicit-def: $vgpr35
                                        ; implicit-def: $vgpr22
	s_cbranch_execnz .LBB228_109
	s_branch .LBB228_142
.LBB228_101:
	v_dual_mov_b32 v22, 0 :: v_dual_mov_b32 v34, 0
	s_mov_b32 s0, 0
.LBB228_102:
	s_delay_alu instid0(VALU_DEP_1)
	v_dual_lshrrev_b32 v35, 16, v22 :: v_dual_lshrrev_b32 v22, 24, v22
	v_cndmask_b32_e64 v23, 0, 1, s0
	v_mov_b32_e32 v24, 1
	s_wait_dscnt 0x0
	s_barrier_signal -1
	s_barrier_wait -1
                                        ; implicit-def: $sgpr0
                                        ; implicit-def: $vgpr25
	s_and_saveexec_b32 s1, s3
	s_delay_alu instid0(SALU_CYCLE_1)
	s_xor_b32 s4, exec_lo, s1
	s_cbranch_execz .LBB228_108
; %bb.103:
	v_lshlrev_b16 v25, 8, v22
	v_lshlrev_b16 v26, 8, v23
	s_and_not1_b32 vcc_lo, exec_lo, s7
	s_mov_b32 s0, 0
	s_delay_alu instid0(VALU_DEP_2) | instskip(NEXT) | instid1(VALU_DEP_1)
	v_bitop3_b16 v25, v35, v25, 0xff bitop3:0xec
	v_dual_lshlrev_b32 v25, 16, v25 :: v_dual_bitop2_b32 v26, 1, v26 bitop3:0x54
	s_delay_alu instid0(VALU_DEP_1) | instskip(NEXT) | instid1(VALU_DEP_1)
	v_and_b32_e32 v26, 0xffff, v26
	v_or_b32_e32 v25, v26, v25
	s_cbranch_vccnz .LBB228_107
; %bb.104:
	v_add_nc_u32_e32 v26, -8, v31
	v_mad_nc_u64_u32 v[28:29], v14, s18, s[8:9]
	s_add_nc_u64 s[0:1], s[18:19], -1
	s_mov_b32 s5, 0
                                        ; implicit-def: $sgpr17
	ds_load_b64 v[32:33], v26
	v_mad_u32 v29, v15, s18, v29
	s_delay_alu instid0(VALU_DEP_1) | instskip(SKIP_2) | instid1(VALU_DEP_1)
	v_mad_u32 v29, v14, s19, v29
	s_wait_dscnt 0x0
	v_mad_nc_u64_u32 v[26:27], v32, s18, s[8:9]
	v_mad_u32 v27, v33, s18, v27
	s_delay_alu instid0(VALU_DEP_1)
	v_mad_u32 v27, v32, s19, v27
.LBB228_105:                            ; =>This Inner Loop Header: Depth=1
	global_load_u8 v32, v[26:27], off
	global_load_u8 v33, v[28:29], off
	s_cmp_eq_u64 s[0:1], 0
	s_add_nc_u64 s[24:25], s[0:1], -1
	s_cselect_b32 s1, -1, 0
	s_wait_xcnt 0x1
	v_add_nc_u64_e32 v[26:27], 1, v[26:27]
	s_wait_xcnt 0x0
	v_add_nc_u64_e32 v[28:29], 1, v[28:29]
	s_wait_loadcnt 0x0
	v_cmp_ne_u16_e32 vcc_lo, v32, v33
	v_cmp_eq_u16_e64 s0, v32, v33
	s_or_b32 s1, vcc_lo, s1
	s_delay_alu instid0(SALU_CYCLE_1) | instskip(NEXT) | instid1(SALU_CYCLE_1)
	s_and_b32 s1, exec_lo, s1
	s_or_b32 s5, s1, s5
	s_and_not1_b32 s17, s17, exec_lo
	s_and_b32 s26, s0, exec_lo
	s_mov_b64 s[0:1], s[24:25]
	s_or_b32 s17, s17, s26
	s_and_not1_b32 exec_lo, exec_lo, s5
	s_cbranch_execnz .LBB228_105
; %bb.106:
	s_or_b32 exec_lo, exec_lo, s5
	s_xor_b32 s0, s17, -1
.LBB228_107:
	s_delay_alu instid0(VALU_DEP_1)
	v_perm_b32 v25, v25, v25, 0x3020104
	s_or_b32 s6, s6, exec_lo
.LBB228_108:
	s_or_b32 exec_lo, exec_lo, s4
	s_branch .LBB228_142
.LBB228_109:
	v_add_nc_u32_e32 v22, 4, v30
	s_mov_b32 s4, 0
	s_mov_b32 s5, 0
	s_mov_b32 s17, exec_lo
	s_delay_alu instid0(VALU_DEP_1)
	v_cmpx_gt_u32_e64 s31, v22
	s_cbranch_execz .LBB228_115
; %bb.110:
	s_and_not1_b32 vcc_lo, exec_lo, s7
	s_mov_b32 s0, 0
	s_cbranch_vccnz .LBB228_114
; %bb.111:
	v_mad_nc_u64_u32 v[22:23], v12, s18, s[8:9]
	v_mad_nc_u64_u32 v[24:25], v20, s18, s[8:9]
	s_add_nc_u64 s[0:1], s[18:19], -1
                                        ; implicit-def: $sgpr24
	s_delay_alu instid0(VALU_DEP_2) | instskip(NEXT) | instid1(VALU_DEP_2)
	v_mad_u32 v23, v13, s18, v23
	v_mad_u32 v25, v21, s18, v25
	s_delay_alu instid0(VALU_DEP_2) | instskip(NEXT) | instid1(VALU_DEP_2)
	v_mad_u32 v23, v12, s19, v23
	v_mad_u32 v25, v20, s19, v25
.LBB228_112:                            ; =>This Inner Loop Header: Depth=1
	global_load_u8 v26, v[22:23], off
	global_load_u8 v27, v[24:25], off
	s_cmp_eq_u64 s[0:1], 0
	s_add_nc_u64 s[26:27], s[0:1], -1
	s_cselect_b32 s1, -1, 0
	s_wait_xcnt 0x1
	v_add_nc_u64_e32 v[22:23], 1, v[22:23]
	s_wait_xcnt 0x0
	v_add_nc_u64_e32 v[24:25], 1, v[24:25]
	s_wait_loadcnt 0x0
	v_cmp_ne_u16_e32 vcc_lo, v26, v27
	v_cmp_eq_u16_e64 s0, v26, v27
	s_or_b32 s1, vcc_lo, s1
	s_delay_alu instid0(SALU_CYCLE_1) | instskip(NEXT) | instid1(SALU_CYCLE_1)
	s_and_b32 s1, exec_lo, s1
	s_or_b32 s5, s1, s5
	s_and_not1_b32 s24, s24, exec_lo
	s_and_b32 s25, s0, exec_lo
	s_mov_b64 s[0:1], s[26:27]
	s_or_b32 s24, s24, s25
	s_and_not1_b32 exec_lo, exec_lo, s5
	s_cbranch_execnz .LBB228_112
; %bb.113:
	s_or_b32 exec_lo, exec_lo, s5
	s_xor_b32 s0, s24, -1
.LBB228_114:
	s_delay_alu instid0(SALU_CYCLE_1)
	s_and_b32 s5, s0, exec_lo
.LBB228_115:
	s_or_b32 exec_lo, exec_lo, s17
	v_add_nc_u32_e32 v22, 3, v30
	s_mov_b32 s17, exec_lo
	s_delay_alu instid0(VALU_DEP_1)
	v_cmpx_gt_u32_e64 s31, v22
	s_cbranch_execz .LBB228_121
; %bb.116:
	s_and_not1_b32 vcc_lo, exec_lo, s7
	s_mov_b32 s0, 0
	s_cbranch_vccnz .LBB228_120
; %bb.117:
	v_mad_nc_u64_u32 v[22:23], v10, s18, s[8:9]
	v_mad_nc_u64_u32 v[24:25], v12, s18, s[8:9]
	s_add_nc_u64 s[0:1], s[18:19], -1
	s_mov_b32 s4, 0
                                        ; implicit-def: $sgpr24
	s_delay_alu instid0(VALU_DEP_2) | instskip(NEXT) | instid1(VALU_DEP_2)
	v_mad_u32 v23, v11, s18, v23
	v_mad_u32 v25, v13, s18, v25
	s_delay_alu instid0(VALU_DEP_2) | instskip(NEXT) | instid1(VALU_DEP_2)
	v_mad_u32 v23, v10, s19, v23
	v_mad_u32 v25, v12, s19, v25
.LBB228_118:                            ; =>This Inner Loop Header: Depth=1
	global_load_u8 v26, v[22:23], off
	global_load_u8 v27, v[24:25], off
	s_cmp_eq_u64 s[0:1], 0
	s_add_nc_u64 s[26:27], s[0:1], -1
	s_cselect_b32 s1, -1, 0
	s_wait_xcnt 0x1
	v_add_nc_u64_e32 v[22:23], 1, v[22:23]
	s_wait_xcnt 0x0
	v_add_nc_u64_e32 v[24:25], 1, v[24:25]
	s_wait_loadcnt 0x0
	v_cmp_ne_u16_e32 vcc_lo, v26, v27
	v_cmp_eq_u16_e64 s0, v26, v27
	s_or_b32 s1, vcc_lo, s1
	s_delay_alu instid0(SALU_CYCLE_1) | instskip(NEXT) | instid1(SALU_CYCLE_1)
	s_and_b32 s1, exec_lo, s1
	s_or_b32 s4, s1, s4
	s_and_not1_b32 s24, s24, exec_lo
	s_and_b32 s25, s0, exec_lo
	s_mov_b64 s[0:1], s[26:27]
	s_or_b32 s24, s24, s25
	s_and_not1_b32 exec_lo, exec_lo, s4
	s_cbranch_execnz .LBB228_118
; %bb.119:
	s_or_b32 exec_lo, exec_lo, s4
	s_xor_b32 s0, s24, -1
.LBB228_120:
	s_delay_alu instid0(SALU_CYCLE_1)
	s_and_b32 s4, s0, exec_lo
.LBB228_121:
	s_or_b32 exec_lo, exec_lo, s17
	v_add_nc_u32_e32 v22, 2, v30
	s_mov_b32 s17, 0
	s_mov_b32 s24, 0
	s_mov_b32 s25, exec_lo
	s_delay_alu instid0(VALU_DEP_1)
	v_cmpx_gt_u32_e64 s31, v22
	s_cbranch_execz .LBB228_127
; %bb.122:
	s_and_not1_b32 vcc_lo, exec_lo, s7
	s_mov_b32 s0, 0
	s_cbranch_vccnz .LBB228_126
; %bb.123:
	v_mad_nc_u64_u32 v[22:23], v16, s18, s[8:9]
	v_mad_nc_u64_u32 v[24:25], v10, s18, s[8:9]
	s_add_nc_u64 s[0:1], s[18:19], -1
                                        ; implicit-def: $sgpr26
	s_delay_alu instid0(VALU_DEP_2) | instskip(NEXT) | instid1(VALU_DEP_2)
	v_mad_u32 v23, v17, s18, v23
	v_mad_u32 v25, v11, s18, v25
	s_delay_alu instid0(VALU_DEP_2) | instskip(NEXT) | instid1(VALU_DEP_2)
	v_mad_u32 v23, v16, s19, v23
	v_mad_u32 v25, v10, s19, v25
.LBB228_124:                            ; =>This Inner Loop Header: Depth=1
	global_load_u8 v26, v[22:23], off
	global_load_u8 v27, v[24:25], off
	s_cmp_eq_u64 s[0:1], 0
	s_add_nc_u64 s[34:35], s[0:1], -1
	s_cselect_b32 s1, -1, 0
	s_wait_xcnt 0x1
	v_add_nc_u64_e32 v[22:23], 1, v[22:23]
	s_wait_xcnt 0x0
	v_add_nc_u64_e32 v[24:25], 1, v[24:25]
	s_wait_loadcnt 0x0
	v_cmp_ne_u16_e32 vcc_lo, v26, v27
	v_cmp_eq_u16_e64 s0, v26, v27
	s_or_b32 s1, vcc_lo, s1
	s_delay_alu instid0(SALU_CYCLE_1) | instskip(NEXT) | instid1(SALU_CYCLE_1)
	s_and_b32 s1, exec_lo, s1
	s_or_b32 s24, s1, s24
	s_and_not1_b32 s26, s26, exec_lo
	s_and_b32 s27, s0, exec_lo
	s_mov_b64 s[0:1], s[34:35]
	s_or_b32 s26, s26, s27
	s_and_not1_b32 exec_lo, exec_lo, s24
	s_cbranch_execnz .LBB228_124
; %bb.125:
	s_or_b32 exec_lo, exec_lo, s24
	s_xor_b32 s0, s26, -1
.LBB228_126:
	s_delay_alu instid0(SALU_CYCLE_1)
	s_and_b32 s24, s0, exec_lo
.LBB228_127:
	s_or_b32 exec_lo, exec_lo, s25
	v_add_nc_u32_e32 v22, 1, v30
	s_mov_b32 s25, exec_lo
	s_delay_alu instid0(VALU_DEP_1)
	v_cmpx_gt_u32_e64 s31, v22
	s_cbranch_execz .LBB228_133
; %bb.128:
	s_and_not1_b32 vcc_lo, exec_lo, s7
	s_mov_b32 s0, 0
	s_cbranch_vccnz .LBB228_132
; %bb.129:
	v_mad_nc_u64_u32 v[22:23], v14, s18, s[8:9]
	v_mad_nc_u64_u32 v[24:25], v16, s18, s[8:9]
	s_add_nc_u64 s[0:1], s[18:19], -1
	s_mov_b32 s17, 0
                                        ; implicit-def: $sgpr26
	s_delay_alu instid0(VALU_DEP_2) | instskip(NEXT) | instid1(VALU_DEP_2)
	v_mad_u32 v23, v15, s18, v23
	v_mad_u32 v25, v17, s18, v25
	s_delay_alu instid0(VALU_DEP_2) | instskip(NEXT) | instid1(VALU_DEP_2)
	v_mad_u32 v23, v14, s19, v23
	v_mad_u32 v25, v16, s19, v25
.LBB228_130:                            ; =>This Inner Loop Header: Depth=1
	global_load_u8 v26, v[22:23], off
	global_load_u8 v27, v[24:25], off
	s_cmp_eq_u64 s[0:1], 0
	s_add_nc_u64 s[34:35], s[0:1], -1
	s_cselect_b32 s1, -1, 0
	s_wait_xcnt 0x1
	v_add_nc_u64_e32 v[22:23], 1, v[22:23]
	s_wait_xcnt 0x0
	v_add_nc_u64_e32 v[24:25], 1, v[24:25]
	s_wait_loadcnt 0x0
	v_cmp_ne_u16_e32 vcc_lo, v26, v27
	v_cmp_eq_u16_e64 s0, v26, v27
	s_or_b32 s1, vcc_lo, s1
	s_delay_alu instid0(SALU_CYCLE_1) | instskip(NEXT) | instid1(SALU_CYCLE_1)
	s_and_b32 s1, exec_lo, s1
	s_or_b32 s17, s1, s17
	s_and_not1_b32 s26, s26, exec_lo
	s_and_b32 s27, s0, exec_lo
	s_mov_b64 s[0:1], s[34:35]
	s_or_b32 s26, s26, s27
	s_and_not1_b32 exec_lo, exec_lo, s17
	s_cbranch_execnz .LBB228_130
; %bb.131:
	s_or_b32 exec_lo, exec_lo, s17
	s_xor_b32 s0, s26, -1
.LBB228_132:
	s_delay_alu instid0(SALU_CYCLE_1)
	s_and_b32 s17, s0, exec_lo
.LBB228_133:
	s_or_b32 exec_lo, exec_lo, s25
	v_cndmask_b32_e64 v34, 0, 1, s5
	v_cndmask_b32_e64 v35, 0, 1, s24
	;; [unrolled: 1-line block ×4, first 2 shown]
	v_mov_b32_e32 v24, 1
	s_wait_dscnt 0x0
	s_barrier_signal -1
	s_barrier_wait -1
                                        ; implicit-def: $sgpr0
                                        ; implicit-def: $vgpr25
	s_and_saveexec_b32 s4, s3
	s_cbranch_execz .LBB228_141
; %bb.134:
	v_lshlrev_b16 v25, 8, v23
	v_lshlrev_b16 v26, 8, v22
	s_mov_b32 s0, 0
	s_mov_b32 s3, exec_lo
	s_delay_alu instid0(VALU_DEP_1) | instskip(NEXT) | instid1(VALU_DEP_1)
	v_or_b32_e32 v26, v35, v26
	v_dual_lshlrev_b32 v26, 16, v26 :: v_dual_bitop2_b32 v25, 1, v25 bitop3:0x54
	s_delay_alu instid0(VALU_DEP_1) | instskip(NEXT) | instid1(VALU_DEP_1)
	v_and_b32_e32 v25, 0xffff, v25
	v_or_b32_e32 v25, v25, v26
	v_cmpx_gt_u32_e64 s31, v30
	s_cbranch_execz .LBB228_140
; %bb.135:
	s_and_not1_b32 vcc_lo, exec_lo, s7
	s_cbranch_vccnz .LBB228_139
; %bb.136:
	v_add_nc_u32_e32 v26, -8, v31
	v_mad_nc_u64_u32 v[28:29], v14, s18, s[8:9]
	s_add_nc_u64 s[0:1], s[18:19], -1
	s_mov_b32 s5, 0
                                        ; implicit-def: $sgpr7
	ds_load_b64 v[32:33], v26
	v_mad_u32 v29, v15, s18, v29
	s_delay_alu instid0(VALU_DEP_1) | instskip(SKIP_2) | instid1(VALU_DEP_1)
	v_mad_u32 v29, v14, s19, v29
	s_wait_dscnt 0x0
	v_mad_nc_u64_u32 v[26:27], v32, s18, s[8:9]
	v_mad_u32 v27, v33, s18, v27
	s_delay_alu instid0(VALU_DEP_1)
	v_mad_u32 v27, v32, s19, v27
.LBB228_137:                            ; =>This Inner Loop Header: Depth=1
	global_load_u8 v31, v[26:27], off
	global_load_u8 v32, v[28:29], off
	s_cmp_eq_u64 s[0:1], 0
	s_add_nc_u64 s[8:9], s[0:1], -1
	s_cselect_b32 s1, -1, 0
	s_wait_xcnt 0x1
	v_add_nc_u64_e32 v[26:27], 1, v[26:27]
	s_wait_xcnt 0x0
	v_add_nc_u64_e32 v[28:29], 1, v[28:29]
	s_wait_loadcnt 0x0
	v_cmp_ne_u16_e32 vcc_lo, v31, v32
	v_cmp_eq_u16_e64 s0, v31, v32
	s_or_b32 s1, vcc_lo, s1
	s_delay_alu instid0(SALU_CYCLE_1) | instskip(NEXT) | instid1(SALU_CYCLE_1)
	s_and_b32 s1, exec_lo, s1
	s_or_b32 s5, s1, s5
	s_and_not1_b32 s7, s7, exec_lo
	s_and_b32 s17, s0, exec_lo
	s_mov_b64 s[0:1], s[8:9]
	s_or_b32 s7, s7, s17
	s_and_not1_b32 exec_lo, exec_lo, s5
	s_cbranch_execnz .LBB228_137
; %bb.138:
	s_or_b32 exec_lo, exec_lo, s5
	s_xor_b32 s0, s7, -1
.LBB228_139:
	s_delay_alu instid0(SALU_CYCLE_1)
	s_and_b32 s0, s0, exec_lo
.LBB228_140:
	s_or_b32 exec_lo, exec_lo, s3
	s_delay_alu instid0(VALU_DEP_2)
	v_perm_b32 v25, v25, v25, 0x3020104
	s_or_b32 s6, s6, exec_lo
.LBB228_141:
	s_or_b32 exec_lo, exec_lo, s4
.LBB228_142:
	s_and_saveexec_b32 s1, s6
	s_cbranch_execz .LBB228_144
; %bb.143:
	s_wait_loadcnt_dscnt 0x0
	v_dual_lshrrev_b32 v22, 24, v25 :: v_dual_lshrrev_b32 v35, 16, v25
	v_lshrrev_b32_e32 v23, 8, v25
	v_cndmask_b32_e64 v24, 0, 1, s0
.LBB228_144:
	s_or_b32 exec_lo, exec_lo, s1
	s_delay_alu instid0(SALU_CYCLE_1)
	s_and_not1_b32 vcc_lo, exec_lo, s33
	s_cbranch_vccnz .LBB228_148
; %bb.145:
	s_wait_loadcnt_dscnt 0x0
	v_perm_b32 v23, v24, v23, 0xc0c0004
	v_perm_b32 v22, v35, v22, 0xc0c0004
	v_cmp_gt_u32_e32 vcc_lo, s31, v30
	v_dual_add_nc_u32 v24, 1, v30 :: v_dual_add_nc_u32 v26, 4, v30
	v_and_b32_e32 v34, 0xff, v34
	s_delay_alu instid0(VALU_DEP_4) | instskip(SKIP_1) | instid1(VALU_DEP_2)
	v_lshl_or_b32 v22, v22, 16, v23
	s_mov_b32 s0, exec_lo
	v_and_b32_e32 v25, 0xffff, v34
	s_delay_alu instid0(VALU_DEP_2) | instskip(SKIP_2) | instid1(VALU_DEP_3)
	v_cndmask_b32_e32 v23, 0, v22, vcc_lo
	v_cmp_gt_u32_e32 vcc_lo, s31, v24
	v_add_nc_u32_e32 v24, 2, v30
	v_and_b32_e32 v23, 0xff, v23
	s_delay_alu instid0(VALU_DEP_1) | instskip(NEXT) | instid1(VALU_DEP_3)
	v_cndmask_b32_e32 v23, v23, v22, vcc_lo
	v_cmp_gt_u32_e32 vcc_lo, s31, v24
	v_add_nc_u32_e32 v24, 3, v30
	s_delay_alu instid0(VALU_DEP_3) | instskip(NEXT) | instid1(VALU_DEP_1)
	v_and_b32_e32 v23, 0xffff, v23
	v_cndmask_b32_e32 v23, v23, v22, vcc_lo
	s_delay_alu instid0(VALU_DEP_3) | instskip(NEXT) | instid1(VALU_DEP_2)
	v_cmp_gt_u32_e32 vcc_lo, s31, v24
	v_and_b32_e32 v23, 0xffffff, v23
	s_delay_alu instid0(VALU_DEP_1) | instskip(NEXT) | instid1(VALU_DEP_1)
	v_cndmask_b32_e32 v24, v23, v22, vcc_lo
	v_lshrrev_b64 v[22:23], 24, v[24:25]
	v_dual_lshrrev_b32 v35, 16, v24 :: v_dual_lshrrev_b32 v23, 8, v24
	v_cmpx_le_u32_e64 s31, v26
; %bb.146:
	v_mov_b32_e32 v34, 0
; %bb.147:
	s_or_b32 exec_lo, exec_lo, s0
.LBB228_148:
	s_delay_alu instid0(VALU_DEP_1)
	v_and_b32_e32 v25, 0xff, v24
	s_wait_loadcnt_dscnt 0x0
	v_and_b32_e32 v36, 0xff, v23
	v_and_b32_e32 v37, 0xff, v35
	v_mbcnt_lo_u32_b32 v39, -1, 0
	v_and_b32_e32 v38, 0xff, v22
	v_and_b32_e32 v26, 0xff, v34
	v_lshrrev_b32_e32 v40, 5, v0
	v_add3_u32 v27, v36, v25, v37
	v_and_b32_e32 v28, 15, v39
	s_and_b32 vcc_lo, exec_lo, s16
	s_mov_b32 s7, -1
	s_delay_alu instid0(VALU_DEP_2)
	v_add3_u32 v41, v27, v38, v26
	v_and_b32_e32 v26, 16, v39
	v_or_b32_e32 v27, 31, v0
	v_cmp_eq_u32_e64 s3, 0, v28
	v_cmp_lt_u32_e64 s5, 1, v28
	v_cmp_lt_u32_e64 s6, 3, v28
	;; [unrolled: 1-line block ×3, first 2 shown]
	v_cmp_eq_u32_e64 s1, 0, v26
	v_cmp_eq_u32_e64 s0, v0, v27
	s_barrier_signal -1
	s_barrier_wait -1
                                        ; implicit-def: $vgpr30
                                        ; implicit-def: $vgpr31
                                        ; implicit-def: $vgpr32
                                        ; implicit-def: $vgpr33
                                        ; implicit-def: $vgpr42
                                        ; implicit-def: $vgpr28
                                        ; implicit-def: $vgpr26
	s_cbranch_vccz .LBB228_175
; %bb.149:
	v_mov_b32_dpp v26, v41 row_shr:1 row_mask:0xf bank_mask:0xf
	s_delay_alu instid0(VALU_DEP_1) | instskip(NEXT) | instid1(VALU_DEP_1)
	v_cndmask_b32_e64 v26, v26, 0, s3
	v_add_nc_u32_e32 v26, v26, v41
	s_delay_alu instid0(VALU_DEP_1) | instskip(NEXT) | instid1(VALU_DEP_1)
	v_mov_b32_dpp v27, v26 row_shr:2 row_mask:0xf bank_mask:0xf
	v_cndmask_b32_e64 v27, 0, v27, s5
	s_delay_alu instid0(VALU_DEP_1) | instskip(NEXT) | instid1(VALU_DEP_1)
	v_add_nc_u32_e32 v26, v26, v27
	v_mov_b32_dpp v27, v26 row_shr:4 row_mask:0xf bank_mask:0xf
	s_delay_alu instid0(VALU_DEP_1) | instskip(NEXT) | instid1(VALU_DEP_1)
	v_cndmask_b32_e64 v27, 0, v27, s6
	v_add_nc_u32_e32 v26, v26, v27
	s_delay_alu instid0(VALU_DEP_1) | instskip(NEXT) | instid1(VALU_DEP_1)
	v_mov_b32_dpp v27, v26 row_shr:8 row_mask:0xf bank_mask:0xf
	v_cndmask_b32_e64 v27, 0, v27, s4
	s_delay_alu instid0(VALU_DEP_1) | instskip(SKIP_3) | instid1(VALU_DEP_1)
	v_add_nc_u32_e32 v26, v26, v27
	ds_swizzle_b32 v27, v26 offset:swizzle(BROADCAST,32,15)
	s_wait_dscnt 0x0
	v_cndmask_b32_e64 v27, v27, 0, s1
	v_add_nc_u32_e32 v26, v26, v27
	s_and_saveexec_b32 s7, s0
; %bb.150:
	v_lshlrev_b32_e32 v27, 2, v40
	ds_store_b32 v27, v26
; %bb.151:
	s_or_b32 exec_lo, exec_lo, s7
	s_delay_alu instid0(SALU_CYCLE_1)
	s_mov_b32 s7, exec_lo
	s_wait_dscnt 0x0
	s_barrier_signal -1
	s_barrier_wait -1
	v_cmpx_gt_u32_e32 4, v0
	s_cbranch_execz .LBB228_153
; %bb.152:
	v_dual_lshlrev_b32 v27, 2, v0 :: v_dual_bitop2_b32 v29, 3, v39 bitop3:0x40
	ds_load_b32 v28, v27
	v_cmp_ne_u32_e32 vcc_lo, 0, v29
	s_wait_dscnt 0x0
	v_mov_b32_dpp v30, v28 row_shr:1 row_mask:0xf bank_mask:0xf
	s_delay_alu instid0(VALU_DEP_1) | instskip(SKIP_1) | instid1(VALU_DEP_2)
	v_cndmask_b32_e32 v30, 0, v30, vcc_lo
	v_cmp_lt_u32_e32 vcc_lo, 1, v29
	v_add_nc_u32_e32 v28, v30, v28
	s_delay_alu instid0(VALU_DEP_1) | instskip(NEXT) | instid1(VALU_DEP_1)
	v_mov_b32_dpp v30, v28 row_shr:2 row_mask:0xf bank_mask:0xf
	v_cndmask_b32_e32 v29, 0, v30, vcc_lo
	s_delay_alu instid0(VALU_DEP_1)
	v_add_nc_u32_e32 v28, v28, v29
	ds_store_b32 v27, v28
.LBB228_153:
	s_or_b32 exec_lo, exec_lo, s7
	s_delay_alu instid0(SALU_CYCLE_1)
	s_mov_b32 s8, exec_lo
	v_cmp_gt_u32_e32 vcc_lo, 32, v0
	s_wait_dscnt 0x0
	s_barrier_signal -1
	s_barrier_wait -1
                                        ; implicit-def: $vgpr42
	v_cmpx_lt_u32_e32 31, v0
	s_cbranch_execz .LBB228_155
; %bb.154:
	v_lshl_add_u32 v27, v40, 2, -4
	ds_load_b32 v42, v27
	s_wait_dscnt 0x0
	v_add_nc_u32_e32 v26, v42, v26
.LBB228_155:
	s_or_b32 exec_lo, exec_lo, s8
	v_sub_co_u32 v27, s7, v39, 1
	s_delay_alu instid0(VALU_DEP_1) | instskip(NEXT) | instid1(VALU_DEP_1)
	v_cmp_gt_i32_e64 s8, 0, v27
	v_cndmask_b32_e64 v27, v27, v39, s8
	s_delay_alu instid0(VALU_DEP_1)
	v_lshlrev_b32_e32 v27, 2, v27
	ds_bpermute_b32 v43, v27, v26
	s_and_saveexec_b32 s8, vcc_lo
	s_cbranch_execz .LBB228_174
; %bb.156:
	v_mov_b32_e32 v33, 0
	ds_load_b32 v26, v33 offset:12
	s_and_saveexec_b32 s9, s7
	s_cbranch_execz .LBB228_158
; %bb.157:
	s_add_co_i32 s16, s30, 32
	s_delay_alu instid0(SALU_CYCLE_1)
	v_dual_mov_b32 v27, 1 :: v_dual_mov_b32 v28, s16
	s_wait_dscnt 0x0
	global_store_b64 v28, v[26:27], s[10:11] scale_offset scope:SCOPE_DEV
.LBB228_158:
	s_wait_xcnt 0x0
	s_or_b32 exec_lo, exec_lo, s9
	v_xad_u32 v28, v39, -1, s30
	s_mov_b32 s16, 0
	s_mov_b32 s9, exec_lo
	s_delay_alu instid0(VALU_DEP_1) | instskip(SKIP_4) | instid1(VALU_DEP_1)
	v_add_nc_u32_e32 v32, 32, v28
	global_load_b64 v[30:31], v32, s[10:11] scale_offset scope:SCOPE_DEV
	s_wait_loadcnt 0x0
	v_and_b32_e32 v27, 0xff, v31
	s_wait_xcnt 0x0
	v_cmpx_eq_u16_e32 0, v27
	s_cbranch_execz .LBB228_162
; %bb.159:
	v_lshl_add_u64 v[32:33], v[32:33], 3, s[10:11]
.LBB228_160:                            ; =>This Inner Loop Header: Depth=1
	global_load_b64 v[30:31], v[32:33], off scope:SCOPE_DEV
	s_wait_loadcnt 0x0
	v_and_b32_e32 v27, 0xff, v31
	s_delay_alu instid0(VALU_DEP_1)
	v_cmp_ne_u16_e32 vcc_lo, 0, v27
	s_or_b32 s16, vcc_lo, s16
	s_wait_xcnt 0x0
	s_and_not1_b32 exec_lo, exec_lo, s16
	s_cbranch_execnz .LBB228_160
; %bb.161:
	s_or_b32 exec_lo, exec_lo, s16
.LBB228_162:
	s_delay_alu instid0(SALU_CYCLE_1)
	s_or_b32 exec_lo, exec_lo, s9
	v_cmp_ne_u32_e32 vcc_lo, 31, v39
	v_lshlrev_b32_e64 v45, v39, -1
	v_lshl_or_b32 v52, v39, 2, 64
	v_dual_add_nc_u32 v47, 2, v39 :: v_dual_add_nc_u32 v49, 4, v39
	v_add_co_ci_u32_e64 v27, null, 0, v39, vcc_lo
	v_dual_add_nc_u32 v51, 8, v39 :: v_dual_add_nc_u32 v53, 16, v39
	s_delay_alu instid0(VALU_DEP_2)
	v_lshlrev_b32_e32 v44, 2, v27
	v_and_b32_e32 v27, 0xff, v31
	ds_bpermute_b32 v29, v44, v30
	v_cmp_eq_u16_e32 vcc_lo, 2, v27
	v_and_or_b32 v27, vcc_lo, v45, 0x80000000
	v_cmp_gt_u32_e32 vcc_lo, 30, v39
	s_delay_alu instid0(VALU_DEP_2) | instskip(SKIP_1) | instid1(VALU_DEP_2)
	v_ctz_i32_b32_e32 v27, v27
	v_cndmask_b32_e64 v32, 0, 2, vcc_lo
	v_cmp_lt_u32_e32 vcc_lo, v39, v27
	s_delay_alu instid0(VALU_DEP_2) | instskip(SKIP_3) | instid1(VALU_DEP_2)
	v_add_lshl_u32 v46, v32, v39, 2
	s_wait_dscnt 0x0
	v_cndmask_b32_e32 v29, 0, v29, vcc_lo
	v_cmp_gt_u32_e32 vcc_lo, 28, v39
	v_add_nc_u32_e32 v29, v29, v30
	v_cndmask_b32_e64 v32, 0, 4, vcc_lo
	v_cmp_le_u32_e32 vcc_lo, v47, v27
	ds_bpermute_b32 v30, v46, v29
	v_add_lshl_u32 v48, v32, v39, 2
	s_wait_dscnt 0x0
	v_cndmask_b32_e32 v30, 0, v30, vcc_lo
	v_cmp_gt_u32_e32 vcc_lo, 24, v39
	v_cndmask_b32_e64 v32, 0, 8, vcc_lo
	v_cmp_le_u32_e32 vcc_lo, v49, v27
	s_delay_alu instid0(VALU_DEP_4) | instskip(NEXT) | instid1(VALU_DEP_3)
	v_add_nc_u32_e32 v29, v29, v30
	v_add_lshl_u32 v50, v32, v39, 2
	ds_bpermute_b32 v30, v48, v29
	s_wait_dscnt 0x0
	v_cndmask_b32_e32 v30, 0, v30, vcc_lo
	v_cmp_le_u32_e32 vcc_lo, v51, v27
	s_delay_alu instid0(VALU_DEP_2) | instskip(SKIP_4) | instid1(VALU_DEP_2)
	v_add_nc_u32_e32 v29, v29, v30
	ds_bpermute_b32 v30, v50, v29
	s_wait_dscnt 0x0
	v_cndmask_b32_e32 v30, 0, v30, vcc_lo
	v_cmp_le_u32_e32 vcc_lo, v53, v27
	v_add_nc_u32_e32 v29, v29, v30
	ds_bpermute_b32 v30, v52, v29
	s_wait_dscnt 0x0
	v_cndmask_b32_e32 v27, 0, v30, vcc_lo
	s_delay_alu instid0(VALU_DEP_1)
	v_dual_mov_b32 v29, 0 :: v_dual_add_nc_u32 v30, v29, v27
	s_branch .LBB228_165
.LBB228_163:                            ;   in Loop: Header=BB228_165 Depth=1
	s_or_b32 exec_lo, exec_lo, s9
	v_and_b32_e32 v32, 0xff, v31
	ds_bpermute_b32 v33, v44, v30
	v_subrev_nc_u32_e32 v28, 32, v28
	s_mov_b32 s9, 0
	v_cmp_eq_u16_e32 vcc_lo, 2, v32
	v_and_or_b32 v32, vcc_lo, v45, 0x80000000
	s_delay_alu instid0(VALU_DEP_1) | instskip(NEXT) | instid1(VALU_DEP_1)
	v_ctz_i32_b32_e32 v32, v32
	v_cmp_lt_u32_e32 vcc_lo, v39, v32
	s_wait_dscnt 0x0
	v_cndmask_b32_e32 v33, 0, v33, vcc_lo
	v_cmp_le_u32_e32 vcc_lo, v47, v32
	s_delay_alu instid0(VALU_DEP_2) | instskip(SKIP_4) | instid1(VALU_DEP_2)
	v_add_nc_u32_e32 v30, v33, v30
	ds_bpermute_b32 v33, v46, v30
	s_wait_dscnt 0x0
	v_cndmask_b32_e32 v33, 0, v33, vcc_lo
	v_cmp_le_u32_e32 vcc_lo, v49, v32
	v_add_nc_u32_e32 v30, v30, v33
	ds_bpermute_b32 v33, v48, v30
	s_wait_dscnt 0x0
	v_cndmask_b32_e32 v33, 0, v33, vcc_lo
	v_cmp_le_u32_e32 vcc_lo, v51, v32
	s_delay_alu instid0(VALU_DEP_2) | instskip(SKIP_4) | instid1(VALU_DEP_2)
	v_add_nc_u32_e32 v30, v30, v33
	ds_bpermute_b32 v33, v50, v30
	s_wait_dscnt 0x0
	v_cndmask_b32_e32 v33, 0, v33, vcc_lo
	v_cmp_le_u32_e32 vcc_lo, v53, v32
	v_add_nc_u32_e32 v30, v30, v33
	ds_bpermute_b32 v33, v52, v30
	s_wait_dscnt 0x0
	v_cndmask_b32_e32 v32, 0, v33, vcc_lo
	s_delay_alu instid0(VALU_DEP_1)
	v_add3_u32 v30, v32, v27, v30
.LBB228_164:                            ;   in Loop: Header=BB228_165 Depth=1
	s_and_b32 vcc_lo, exec_lo, s9
	s_cbranch_vccnz .LBB228_170
.LBB228_165:                            ; =>This Loop Header: Depth=1
                                        ;     Child Loop BB228_168 Depth 2
	v_and_b32_e32 v27, 0xff, v31
	s_mov_b32 s9, -1
                                        ; implicit-def: $vgpr31
	s_delay_alu instid0(VALU_DEP_1)
	v_cmp_ne_u16_e32 vcc_lo, 2, v27
	v_mov_b32_e32 v27, v30
                                        ; implicit-def: $vgpr30
	s_cmp_lg_u32 vcc_lo, exec_lo
	s_cbranch_scc1 .LBB228_164
; %bb.166:                              ;   in Loop: Header=BB228_165 Depth=1
	global_load_b64 v[30:31], v28, s[10:11] scale_offset scope:SCOPE_DEV
	s_mov_b32 s9, exec_lo
	s_wait_loadcnt 0x0
	v_and_b32_e32 v32, 0xff, v31
	s_wait_xcnt 0x0
	s_delay_alu instid0(VALU_DEP_1)
	v_cmpx_eq_u16_e32 0, v32
	s_cbranch_execz .LBB228_163
; %bb.167:                              ;   in Loop: Header=BB228_165 Depth=1
	v_lshl_add_u64 v[32:33], v[28:29], 3, s[10:11]
	s_mov_b32 s16, 0
.LBB228_168:                            ;   Parent Loop BB228_165 Depth=1
                                        ; =>  This Inner Loop Header: Depth=2
	global_load_b64 v[30:31], v[32:33], off scope:SCOPE_DEV
	s_wait_loadcnt 0x0
	v_and_b32_e32 v54, 0xff, v31
	s_delay_alu instid0(VALU_DEP_1)
	v_cmp_ne_u16_e32 vcc_lo, 0, v54
	s_or_b32 s16, vcc_lo, s16
	s_wait_xcnt 0x0
	s_and_not1_b32 exec_lo, exec_lo, s16
	s_cbranch_execnz .LBB228_168
; %bb.169:                              ;   in Loop: Header=BB228_165 Depth=1
	s_or_b32 exec_lo, exec_lo, s16
	s_branch .LBB228_163
.LBB228_170:
	s_and_saveexec_b32 s9, s7
	s_cbranch_execz .LBB228_172
; %bb.171:
	s_add_co_i32 s16, s30, 32
	v_dual_mov_b32 v29, 2 :: v_dual_add_nc_u32 v28, v27, v26
	v_dual_mov_b32 v30, s16 :: v_dual_mov_b32 v31, 0
	global_store_b64 v30, v[28:29], s[10:11] scale_offset scope:SCOPE_DEV
	ds_store_b64 v31, v[26:27] offset:5120
.LBB228_172:
	s_wait_xcnt 0x0
	s_or_b32 exec_lo, exec_lo, s9
	s_delay_alu instid0(SALU_CYCLE_1)
	s_and_b32 exec_lo, exec_lo, s2
; %bb.173:
	v_mov_b32_e32 v26, 0
	ds_store_b32 v26, v27 offset:12
.LBB228_174:
	s_or_b32 exec_lo, exec_lo, s8
	s_wait_dscnt 0x0
	v_dual_mov_b32 v26, 0 :: v_dual_cndmask_b32 v28, v43, v42, s7
	s_wait_storecnt 0x0
	s_barrier_signal -1
	s_barrier_wait -1
	ds_load_b32 v27, v26 offset:12
	v_cndmask_b32_e64 v28, v28, 0, s2
	s_wait_dscnt 0x0
	s_barrier_signal -1
	s_barrier_wait -1
	s_mov_b32 s7, 0
	v_add_nc_u32_e32 v42, v27, v28
	ds_load_b64 v[26:27], v26 offset:5120
	v_add_nc_u32_e32 v33, v42, v25
	s_wait_dscnt 0x0
	s_delay_alu instid0(VALU_DEP_1) | instskip(NEXT) | instid1(VALU_DEP_1)
	v_dual_add_nc_u32 v32, v33, v36 :: v_dual_mov_b32 v28, v27
	v_add_nc_u32_e32 v31, v32, v37
	s_delay_alu instid0(VALU_DEP_1)
	v_add_nc_u32_e32 v30, v31, v38
.LBB228_175:
	s_and_b32 vcc_lo, exec_lo, s7
	s_cbranch_vccz .LBB228_185
; %bb.176:
	v_mov_b32_dpp v26, v41 row_shr:1 row_mask:0xf bank_mask:0xf
	s_delay_alu instid0(VALU_DEP_1) | instskip(NEXT) | instid1(VALU_DEP_1)
	v_cndmask_b32_e64 v26, v26, 0, s3
	v_add_nc_u32_e32 v26, v26, v41
	s_delay_alu instid0(VALU_DEP_1) | instskip(NEXT) | instid1(VALU_DEP_1)
	v_mov_b32_dpp v27, v26 row_shr:2 row_mask:0xf bank_mask:0xf
	v_cndmask_b32_e64 v27, 0, v27, s5
	s_delay_alu instid0(VALU_DEP_1) | instskip(NEXT) | instid1(VALU_DEP_1)
	v_add_nc_u32_e32 v26, v26, v27
	v_mov_b32_dpp v27, v26 row_shr:4 row_mask:0xf bank_mask:0xf
	s_delay_alu instid0(VALU_DEP_1) | instskip(NEXT) | instid1(VALU_DEP_1)
	v_cndmask_b32_e64 v27, 0, v27, s6
	v_add_nc_u32_e32 v26, v26, v27
	s_delay_alu instid0(VALU_DEP_1) | instskip(NEXT) | instid1(VALU_DEP_1)
	v_mov_b32_dpp v27, v26 row_shr:8 row_mask:0xf bank_mask:0xf
	v_cndmask_b32_e64 v27, 0, v27, s4
	s_delay_alu instid0(VALU_DEP_1) | instskip(SKIP_3) | instid1(VALU_DEP_1)
	v_add_nc_u32_e32 v26, v26, v27
	ds_swizzle_b32 v27, v26 offset:swizzle(BROADCAST,32,15)
	s_wait_dscnt 0x0
	v_cndmask_b32_e64 v27, v27, 0, s1
	v_add_nc_u32_e32 v26, v26, v27
	s_and_saveexec_b32 s1, s0
; %bb.177:
	v_lshlrev_b32_e32 v27, 2, v40
	ds_store_b32 v27, v26
; %bb.178:
	s_or_b32 exec_lo, exec_lo, s1
	s_delay_alu instid0(SALU_CYCLE_1)
	s_mov_b32 s0, exec_lo
	s_wait_dscnt 0x0
	s_barrier_signal -1
	s_barrier_wait -1
	v_cmpx_gt_u32_e32 4, v0
	s_cbranch_execz .LBB228_180
; %bb.179:
	v_dual_lshlrev_b32 v27, 2, v0 :: v_dual_bitop2_b32 v29, 3, v39 bitop3:0x40
	ds_load_b32 v28, v27
	v_cmp_ne_u32_e32 vcc_lo, 0, v29
	s_wait_dscnt 0x0
	v_mov_b32_dpp v30, v28 row_shr:1 row_mask:0xf bank_mask:0xf
	s_delay_alu instid0(VALU_DEP_1) | instskip(SKIP_1) | instid1(VALU_DEP_2)
	v_cndmask_b32_e32 v30, 0, v30, vcc_lo
	v_cmp_lt_u32_e32 vcc_lo, 1, v29
	v_add_nc_u32_e32 v28, v30, v28
	s_delay_alu instid0(VALU_DEP_1) | instskip(NEXT) | instid1(VALU_DEP_1)
	v_mov_b32_dpp v30, v28 row_shr:2 row_mask:0xf bank_mask:0xf
	v_cndmask_b32_e32 v29, 0, v30, vcc_lo
	s_delay_alu instid0(VALU_DEP_1)
	v_add_nc_u32_e32 v28, v28, v29
	ds_store_b32 v27, v28
.LBB228_180:
	s_or_b32 exec_lo, exec_lo, s0
	v_dual_mov_b32 v27, 0 :: v_dual_mov_b32 v28, 0
	s_mov_b32 s0, exec_lo
	s_wait_dscnt 0x0
	s_barrier_signal -1
	s_barrier_wait -1
	v_cmpx_lt_u32_e32 31, v0
; %bb.181:
	v_lshl_add_u32 v28, v40, 2, -4
	ds_load_b32 v28, v28
; %bb.182:
	s_or_b32 exec_lo, exec_lo, s0
	v_sub_co_u32 v29, vcc_lo, v39, 1
	s_wait_dscnt 0x0
	v_add_nc_u32_e32 v26, v28, v26
	s_delay_alu instid0(VALU_DEP_2) | instskip(NEXT) | instid1(VALU_DEP_1)
	v_cmp_gt_i32_e64 s0, 0, v29
	v_cndmask_b32_e64 v29, v29, v39, s0
	s_delay_alu instid0(VALU_DEP_1)
	v_lshlrev_b32_e32 v29, 2, v29
	ds_bpermute_b32 v29, v29, v26
	ds_load_b32 v26, v27 offset:12
	s_and_saveexec_b32 s0, s2
	s_cbranch_execz .LBB228_184
; %bb.183:
	v_dual_mov_b32 v30, 0 :: v_dual_mov_b32 v27, 2
	s_wait_dscnt 0x0
	global_store_b64 v30, v[26:27], s[10:11] offset:256 scope:SCOPE_DEV
.LBB228_184:
	s_wait_xcnt 0x0
	s_or_b32 exec_lo, exec_lo, s0
	s_wait_dscnt 0x1
	v_cndmask_b32_e32 v27, v29, v28, vcc_lo
	s_wait_storecnt_dscnt 0x0
	s_barrier_signal -1
	s_barrier_wait -1
	s_delay_alu instid0(VALU_DEP_1) | instskip(NEXT) | instid1(VALU_DEP_1)
	v_cndmask_b32_e64 v42, v27, 0, s2
	v_dual_mov_b32 v28, 0 :: v_dual_add_nc_u32 v33, v42, v25
	s_delay_alu instid0(VALU_DEP_1) | instskip(NEXT) | instid1(VALU_DEP_1)
	v_add_nc_u32_e32 v32, v33, v36
	v_add_nc_u32_e32 v31, v32, v37
	s_delay_alu instid0(VALU_DEP_1)
	v_add_nc_u32_e32 v30, v31, v38
.LBB228_185:
	s_delay_alu instid0(VALU_DEP_4)
	v_dual_add_nc_u32 v25, v28, v26 :: v_dual_bitop2_b32 v24, 1, v24 bitop3:0x40
	v_cmp_gt_u32_e64 s0, 0x81, v26
	s_mov_b32 s4, -1
	v_cmp_lt_u32_e64 s1, v42, v25
	v_cmp_eq_u32_e64 s3, 1, v24
	s_and_b32 vcc_lo, exec_lo, s0
	s_cbranch_vccz .LBB228_197
; %bb.186:
	s_or_b32 s1, s29, s1
	s_delay_alu instid0(SALU_CYCLE_1) | instskip(NEXT) | instid1(SALU_CYCLE_1)
	s_and_b32 s3, s1, s3
	s_and_saveexec_b32 s1, s3
	s_cbranch_execz .LBB228_188
; %bb.187:
	s_lshl_b64 s[4:5], s[14:15], 3
	s_delay_alu instid0(SALU_CYCLE_1)
	s_add_nc_u64 s[4:5], s[20:21], s[4:5]
	global_store_b64 v42, v[14:15], s[4:5] scale_offset
.LBB228_188:
	s_wait_xcnt 0x0
	s_or_b32 exec_lo, exec_lo, s1
	v_and_b32_e32 v27, 1, v23
	v_cmp_lt_u32_e32 vcc_lo, v33, v25
	s_delay_alu instid0(VALU_DEP_2) | instskip(SKIP_1) | instid1(SALU_CYCLE_1)
	v_cmp_eq_u32_e64 s1, 1, v27
	s_or_b32 s3, s29, vcc_lo
	s_and_b32 s3, s3, s1
	s_delay_alu instid0(SALU_CYCLE_1)
	s_and_saveexec_b32 s1, s3
	s_cbranch_execz .LBB228_190
; %bb.189:
	s_lshl_b64 s[4:5], s[14:15], 3
	s_delay_alu instid0(SALU_CYCLE_1)
	s_add_nc_u64 s[4:5], s[20:21], s[4:5]
	global_store_b64 v33, v[16:17], s[4:5] scale_offset
.LBB228_190:
	s_wait_xcnt 0x0
	s_or_b32 exec_lo, exec_lo, s1
	v_and_b32_e32 v27, 1, v35
	v_cmp_lt_u32_e32 vcc_lo, v32, v25
	s_delay_alu instid0(VALU_DEP_2) | instskip(SKIP_1) | instid1(SALU_CYCLE_1)
	v_cmp_eq_u32_e64 s1, 1, v27
	s_or_b32 s3, s29, vcc_lo
	s_and_b32 s3, s3, s1
	s_delay_alu instid0(SALU_CYCLE_1)
	;; [unrolled: 17-line block ×4, first 2 shown]
	s_and_saveexec_b32 s1, s3
	s_cbranch_execz .LBB228_196
; %bb.195:
	s_lshl_b64 s[4:5], s[14:15], 3
	s_delay_alu instid0(SALU_CYCLE_1)
	s_add_nc_u64 s[4:5], s[20:21], s[4:5]
	global_store_b64 v30, v[20:21], s[4:5] scale_offset
.LBB228_196:
	s_wait_xcnt 0x0
	s_or_b32 exec_lo, exec_lo, s1
	s_mov_b32 s4, 0
.LBB228_197:
	s_delay_alu instid0(SALU_CYCLE_1)
	s_and_b32 vcc_lo, exec_lo, s4
	s_cbranch_vccz .LBB228_211
; %bb.198:
	s_mov_b32 s1, exec_lo
	v_cmpx_eq_u32_e32 1, v24
; %bb.199:
	v_sub_nc_u32_e32 v27, v42, v28
	s_delay_alu instid0(VALU_DEP_1)
	v_lshlrev_b32_e32 v27, 3, v27
	ds_store_b64 v27, v[14:15]
; %bb.200:
	s_or_b32 exec_lo, exec_lo, s1
	v_and_b32_e32 v14, 1, v23
	s_mov_b32 s1, exec_lo
	s_delay_alu instid0(VALU_DEP_1)
	v_cmpx_eq_u32_e32 1, v14
; %bb.201:
	v_sub_nc_u32_e32 v14, v33, v28
	s_delay_alu instid0(VALU_DEP_1)
	v_lshlrev_b32_e32 v14, 3, v14
	ds_store_b64 v14, v[16:17]
; %bb.202:
	s_or_b32 exec_lo, exec_lo, s1
	v_and_b32_e32 v14, 1, v35
	s_mov_b32 s1, exec_lo
	s_delay_alu instid0(VALU_DEP_1)
	;; [unrolled: 11-line block ×4, first 2 shown]
	v_cmpx_eq_u32_e32 1, v10
; %bb.207:
	v_sub_nc_u32_e32 v10, v30, v28
	s_delay_alu instid0(VALU_DEP_1)
	v_lshlrev_b32_e32 v10, 3, v10
	ds_store_b64 v10, v[20:21]
; %bb.208:
	s_or_b32 exec_lo, exec_lo, s1
	v_dual_mov_b32 v29, 0 :: v_dual_lshlrev_b32 v12, 3, v0
	s_lshl_b64 s[4:5], s[14:15], 3
	v_mov_b32_e32 v13, v0
	s_mov_b32 s1, 0
	s_delay_alu instid0(VALU_DEP_2) | instskip(SKIP_3) | instid1(VALU_DEP_1)
	v_lshlrev_b64_e32 v[10:11], 3, v[28:29]
	s_wait_storecnt_dscnt 0x0
	s_barrier_signal -1
	s_barrier_wait -1
	v_add_nc_u64_e32 v[10:11], s[20:21], v[10:11]
	s_delay_alu instid0(VALU_DEP_1)
	v_add_nc_u64_e32 v[10:11], s[4:5], v[10:11]
.LBB228_209:                            ; =>This Inner Loop Header: Depth=1
	ds_load_b64 v[14:15], v12
	v_readfirstlane_b32 s4, v10
	v_readfirstlane_b32 s5, v11
	v_add_nc_u32_e32 v12, 0x400, v12
	s_wait_dscnt 0x0
	global_store_b64 v13, v[14:15], s[4:5] scale_offset
	s_wait_xcnt 0x0
	v_add_nc_u32_e32 v13, 0x80, v13
	s_delay_alu instid0(VALU_DEP_1) | instskip(SKIP_1) | instid1(SALU_CYCLE_1)
	v_cmp_ge_u32_e32 vcc_lo, v13, v26
	s_or_b32 s1, vcc_lo, s1
	s_and_not1_b32 exec_lo, exec_lo, s1
	s_cbranch_execnz .LBB228_209
; %bb.210:
	s_or_b32 exec_lo, exec_lo, s1
.LBB228_211:
	s_delay_alu instid0(SALU_CYCLE_1)
	s_and_b32 vcc_lo, exec_lo, s0
	s_mov_b32 s0, -1
	s_wait_storecnt 0x0
	s_barrier_signal -1
	s_barrier_wait -1
	s_cbranch_vccnz .LBB228_215
; %bb.212:
	s_and_b32 vcc_lo, exec_lo, s0
	s_cbranch_vccnz .LBB228_226
.LBB228_213:
	s_and_b32 s0, s2, s28
	s_delay_alu instid0(SALU_CYCLE_1)
	s_and_saveexec_b32 s1, s0
	s_cbranch_execnz .LBB228_239
.LBB228_214:
	s_endpgm
.LBB228_215:
	v_cmp_lt_u32_e32 vcc_lo, v42, v25
	v_cmp_eq_u32_e64 s0, 1, v24
	s_or_b32 s1, s29, vcc_lo
	s_delay_alu instid0(SALU_CYCLE_1) | instskip(NEXT) | instid1(SALU_CYCLE_1)
	s_and_b32 s1, s1, s0
	s_and_saveexec_b32 s0, s1
	s_cbranch_execz .LBB228_217
; %bb.216:
	s_lshl_b64 s[4:5], s[14:15], 3
	s_delay_alu instid0(SALU_CYCLE_1)
	s_add_nc_u64 s[4:5], s[22:23], s[4:5]
	global_store_b64 v42, v[6:7], s[4:5] scale_offset
.LBB228_217:
	s_wait_xcnt 0x0
	s_or_b32 exec_lo, exec_lo, s0
	v_and_b32_e32 v10, 1, v23
	v_cmp_lt_u32_e32 vcc_lo, v33, v25
	s_delay_alu instid0(VALU_DEP_2) | instskip(SKIP_1) | instid1(SALU_CYCLE_1)
	v_cmp_eq_u32_e64 s0, 1, v10
	s_or_b32 s1, s29, vcc_lo
	s_and_b32 s1, s1, s0
	s_delay_alu instid0(SALU_CYCLE_1)
	s_and_saveexec_b32 s0, s1
	s_cbranch_execz .LBB228_219
; %bb.218:
	s_lshl_b64 s[4:5], s[14:15], 3
	s_delay_alu instid0(SALU_CYCLE_1)
	s_add_nc_u64 s[4:5], s[22:23], s[4:5]
	global_store_b64 v33, v[8:9], s[4:5] scale_offset
.LBB228_219:
	s_wait_xcnt 0x0
	s_or_b32 exec_lo, exec_lo, s0
	v_and_b32_e32 v10, 1, v35
	v_cmp_lt_u32_e32 vcc_lo, v32, v25
	s_delay_alu instid0(VALU_DEP_2) | instskip(SKIP_1) | instid1(SALU_CYCLE_1)
	v_cmp_eq_u32_e64 s0, 1, v10
	s_or_b32 s1, s29, vcc_lo
	s_and_b32 s1, s1, s0
	s_delay_alu instid0(SALU_CYCLE_1)
	;; [unrolled: 17-line block ×4, first 2 shown]
	s_and_saveexec_b32 s0, s1
	s_cbranch_execz .LBB228_225
; %bb.224:
	s_lshl_b64 s[4:5], s[14:15], 3
	s_delay_alu instid0(SALU_CYCLE_1)
	s_add_nc_u64 s[4:5], s[22:23], s[4:5]
	global_store_b64 v30, v[18:19], s[4:5] scale_offset
.LBB228_225:
	s_wait_xcnt 0x0
	s_or_b32 exec_lo, exec_lo, s0
	s_branch .LBB228_213
.LBB228_226:
	s_mov_b32 s0, exec_lo
	v_cmpx_eq_u32_e32 1, v24
; %bb.227:
	v_sub_nc_u32_e32 v10, v42, v28
	s_delay_alu instid0(VALU_DEP_1)
	v_lshlrev_b32_e32 v10, 3, v10
	ds_store_b64 v10, v[6:7]
; %bb.228:
	s_or_b32 exec_lo, exec_lo, s0
	v_and_b32_e32 v6, 1, v23
	s_mov_b32 s0, exec_lo
	s_delay_alu instid0(VALU_DEP_1)
	v_cmpx_eq_u32_e32 1, v6
; %bb.229:
	v_sub_nc_u32_e32 v6, v33, v28
	s_delay_alu instid0(VALU_DEP_1)
	v_lshlrev_b32_e32 v6, 3, v6
	ds_store_b64 v6, v[8:9]
; %bb.230:
	s_or_b32 exec_lo, exec_lo, s0
	v_and_b32_e32 v6, 1, v35
	s_mov_b32 s0, exec_lo
	s_delay_alu instid0(VALU_DEP_1)
	;; [unrolled: 11-line block ×4, first 2 shown]
	v_cmpx_eq_u32_e32 1, v2
; %bb.235:
	v_sub_nc_u32_e32 v2, v30, v28
	s_delay_alu instid0(VALU_DEP_1)
	v_lshlrev_b32_e32 v2, 3, v2
	ds_store_b64 v2, v[18:19]
; %bb.236:
	s_or_b32 exec_lo, exec_lo, s0
	v_mov_b32_e32 v29, 0
	s_lshl_b64 s[0:1], s[14:15], 3
	s_wait_storecnt_dscnt 0x0
	s_barrier_signal -1
	s_barrier_wait -1
	v_lshlrev_b64_e32 v[2:3], 3, v[28:29]
	s_delay_alu instid0(VALU_DEP_1) | instskip(NEXT) | instid1(VALU_DEP_1)
	v_add_nc_u64_e32 v[2:3], s[22:23], v[2:3]
	v_add_nc_u64_e32 v[2:3], s[0:1], v[2:3]
	s_mov_b32 s0, 0
.LBB228_237:                            ; =>This Inner Loop Header: Depth=1
	ds_load_b64 v[4:5], v1
	v_readfirstlane_b32 s4, v2
	v_readfirstlane_b32 s5, v3
	v_add_nc_u32_e32 v1, 0x400, v1
	s_wait_dscnt 0x0
	global_store_b64 v0, v[4:5], s[4:5] scale_offset
	s_wait_xcnt 0x0
	v_add_nc_u32_e32 v0, 0x80, v0
	s_delay_alu instid0(VALU_DEP_1) | instskip(SKIP_1) | instid1(SALU_CYCLE_1)
	v_cmp_ge_u32_e32 vcc_lo, v0, v26
	s_or_b32 s0, vcc_lo, s0
	s_and_not1_b32 exec_lo, exec_lo, s0
	s_cbranch_execnz .LBB228_237
; %bb.238:
	s_or_b32 exec_lo, exec_lo, s0
	s_and_b32 s0, s2, s28
	s_delay_alu instid0(SALU_CYCLE_1)
	s_and_saveexec_b32 s1, s0
	s_cbranch_execz .LBB228_214
.LBB228_239:
	v_mov_b32_e32 v27, 0
	s_delay_alu instid0(VALU_DEP_1) | instskip(SKIP_1) | instid1(VALU_DEP_1)
	v_add_nc_u64_e32 v[0:1], s[14:15], v[26:27]
	v_mov_b32_e32 v29, v27
	v_add_nc_u64_e32 v[0:1], v[0:1], v[28:29]
	global_store_b64 v27, v[0:1], s[12:13]
	s_endpgm
	.section	.rodata,"a",@progbits
	.p2align	6, 0x0
	.amdhsa_kernel _ZN7rocprim17ROCPRIM_400000_NS6detail17trampoline_kernelINS0_14default_configENS1_25partition_config_selectorILNS1_17partition_subalgoE9EllbEEZZNS1_14partition_implILS5_9ELb0ES3_jPlS8_PNS0_10empty_typeENS0_5tupleIJS8_S9_EEENSB_IJS8_SA_EEENS0_18inequality_wrapperIZN2at6native12_GLOBAL__N_124unique_dim_cuda_templateIhEESt5tupleIJNSF_6TensorESK_SK_EERKSK_lbbbEUlllE0_EEPmJS9_EEE10hipError_tPvRmT3_T4_T5_T6_T7_T9_mT8_P12ihipStream_tbDpT10_ENKUlT_T0_E_clISt17integral_constantIbLb0EES19_IbLb1EEEEDaS15_S16_EUlS15_E_NS1_11comp_targetILNS1_3genE0ELNS1_11target_archE4294967295ELNS1_3gpuE0ELNS1_3repE0EEENS1_30default_config_static_selectorELNS0_4arch9wavefront6targetE0EEEvT1_
		.amdhsa_group_segment_fixed_size 5128
		.amdhsa_private_segment_fixed_size 0
		.amdhsa_kernarg_size 136
		.amdhsa_user_sgpr_count 2
		.amdhsa_user_sgpr_dispatch_ptr 0
		.amdhsa_user_sgpr_queue_ptr 0
		.amdhsa_user_sgpr_kernarg_segment_ptr 1
		.amdhsa_user_sgpr_dispatch_id 0
		.amdhsa_user_sgpr_kernarg_preload_length 0
		.amdhsa_user_sgpr_kernarg_preload_offset 0
		.amdhsa_user_sgpr_private_segment_size 0
		.amdhsa_wavefront_size32 1
		.amdhsa_uses_dynamic_stack 0
		.amdhsa_enable_private_segment 0
		.amdhsa_system_sgpr_workgroup_id_x 1
		.amdhsa_system_sgpr_workgroup_id_y 0
		.amdhsa_system_sgpr_workgroup_id_z 0
		.amdhsa_system_sgpr_workgroup_info 0
		.amdhsa_system_vgpr_workitem_id 0
		.amdhsa_next_free_vgpr 55
		.amdhsa_next_free_sgpr 36
		.amdhsa_named_barrier_count 0
		.amdhsa_reserve_vcc 1
		.amdhsa_float_round_mode_32 0
		.amdhsa_float_round_mode_16_64 0
		.amdhsa_float_denorm_mode_32 3
		.amdhsa_float_denorm_mode_16_64 3
		.amdhsa_fp16_overflow 0
		.amdhsa_memory_ordered 1
		.amdhsa_forward_progress 1
		.amdhsa_inst_pref_size 79
		.amdhsa_round_robin_scheduling 0
		.amdhsa_exception_fp_ieee_invalid_op 0
		.amdhsa_exception_fp_denorm_src 0
		.amdhsa_exception_fp_ieee_div_zero 0
		.amdhsa_exception_fp_ieee_overflow 0
		.amdhsa_exception_fp_ieee_underflow 0
		.amdhsa_exception_fp_ieee_inexact 0
		.amdhsa_exception_int_div_zero 0
	.end_amdhsa_kernel
	.section	.text._ZN7rocprim17ROCPRIM_400000_NS6detail17trampoline_kernelINS0_14default_configENS1_25partition_config_selectorILNS1_17partition_subalgoE9EllbEEZZNS1_14partition_implILS5_9ELb0ES3_jPlS8_PNS0_10empty_typeENS0_5tupleIJS8_S9_EEENSB_IJS8_SA_EEENS0_18inequality_wrapperIZN2at6native12_GLOBAL__N_124unique_dim_cuda_templateIhEESt5tupleIJNSF_6TensorESK_SK_EERKSK_lbbbEUlllE0_EEPmJS9_EEE10hipError_tPvRmT3_T4_T5_T6_T7_T9_mT8_P12ihipStream_tbDpT10_ENKUlT_T0_E_clISt17integral_constantIbLb0EES19_IbLb1EEEEDaS15_S16_EUlS15_E_NS1_11comp_targetILNS1_3genE0ELNS1_11target_archE4294967295ELNS1_3gpuE0ELNS1_3repE0EEENS1_30default_config_static_selectorELNS0_4arch9wavefront6targetE0EEEvT1_,"axG",@progbits,_ZN7rocprim17ROCPRIM_400000_NS6detail17trampoline_kernelINS0_14default_configENS1_25partition_config_selectorILNS1_17partition_subalgoE9EllbEEZZNS1_14partition_implILS5_9ELb0ES3_jPlS8_PNS0_10empty_typeENS0_5tupleIJS8_S9_EEENSB_IJS8_SA_EEENS0_18inequality_wrapperIZN2at6native12_GLOBAL__N_124unique_dim_cuda_templateIhEESt5tupleIJNSF_6TensorESK_SK_EERKSK_lbbbEUlllE0_EEPmJS9_EEE10hipError_tPvRmT3_T4_T5_T6_T7_T9_mT8_P12ihipStream_tbDpT10_ENKUlT_T0_E_clISt17integral_constantIbLb0EES19_IbLb1EEEEDaS15_S16_EUlS15_E_NS1_11comp_targetILNS1_3genE0ELNS1_11target_archE4294967295ELNS1_3gpuE0ELNS1_3repE0EEENS1_30default_config_static_selectorELNS0_4arch9wavefront6targetE0EEEvT1_,comdat
.Lfunc_end228:
	.size	_ZN7rocprim17ROCPRIM_400000_NS6detail17trampoline_kernelINS0_14default_configENS1_25partition_config_selectorILNS1_17partition_subalgoE9EllbEEZZNS1_14partition_implILS5_9ELb0ES3_jPlS8_PNS0_10empty_typeENS0_5tupleIJS8_S9_EEENSB_IJS8_SA_EEENS0_18inequality_wrapperIZN2at6native12_GLOBAL__N_124unique_dim_cuda_templateIhEESt5tupleIJNSF_6TensorESK_SK_EERKSK_lbbbEUlllE0_EEPmJS9_EEE10hipError_tPvRmT3_T4_T5_T6_T7_T9_mT8_P12ihipStream_tbDpT10_ENKUlT_T0_E_clISt17integral_constantIbLb0EES19_IbLb1EEEEDaS15_S16_EUlS15_E_NS1_11comp_targetILNS1_3genE0ELNS1_11target_archE4294967295ELNS1_3gpuE0ELNS1_3repE0EEENS1_30default_config_static_selectorELNS0_4arch9wavefront6targetE0EEEvT1_, .Lfunc_end228-_ZN7rocprim17ROCPRIM_400000_NS6detail17trampoline_kernelINS0_14default_configENS1_25partition_config_selectorILNS1_17partition_subalgoE9EllbEEZZNS1_14partition_implILS5_9ELb0ES3_jPlS8_PNS0_10empty_typeENS0_5tupleIJS8_S9_EEENSB_IJS8_SA_EEENS0_18inequality_wrapperIZN2at6native12_GLOBAL__N_124unique_dim_cuda_templateIhEESt5tupleIJNSF_6TensorESK_SK_EERKSK_lbbbEUlllE0_EEPmJS9_EEE10hipError_tPvRmT3_T4_T5_T6_T7_T9_mT8_P12ihipStream_tbDpT10_ENKUlT_T0_E_clISt17integral_constantIbLb0EES19_IbLb1EEEEDaS15_S16_EUlS15_E_NS1_11comp_targetILNS1_3genE0ELNS1_11target_archE4294967295ELNS1_3gpuE0ELNS1_3repE0EEENS1_30default_config_static_selectorELNS0_4arch9wavefront6targetE0EEEvT1_
                                        ; -- End function
	.set _ZN7rocprim17ROCPRIM_400000_NS6detail17trampoline_kernelINS0_14default_configENS1_25partition_config_selectorILNS1_17partition_subalgoE9EllbEEZZNS1_14partition_implILS5_9ELb0ES3_jPlS8_PNS0_10empty_typeENS0_5tupleIJS8_S9_EEENSB_IJS8_SA_EEENS0_18inequality_wrapperIZN2at6native12_GLOBAL__N_124unique_dim_cuda_templateIhEESt5tupleIJNSF_6TensorESK_SK_EERKSK_lbbbEUlllE0_EEPmJS9_EEE10hipError_tPvRmT3_T4_T5_T6_T7_T9_mT8_P12ihipStream_tbDpT10_ENKUlT_T0_E_clISt17integral_constantIbLb0EES19_IbLb1EEEEDaS15_S16_EUlS15_E_NS1_11comp_targetILNS1_3genE0ELNS1_11target_archE4294967295ELNS1_3gpuE0ELNS1_3repE0EEENS1_30default_config_static_selectorELNS0_4arch9wavefront6targetE0EEEvT1_.num_vgpr, 55
	.set _ZN7rocprim17ROCPRIM_400000_NS6detail17trampoline_kernelINS0_14default_configENS1_25partition_config_selectorILNS1_17partition_subalgoE9EllbEEZZNS1_14partition_implILS5_9ELb0ES3_jPlS8_PNS0_10empty_typeENS0_5tupleIJS8_S9_EEENSB_IJS8_SA_EEENS0_18inequality_wrapperIZN2at6native12_GLOBAL__N_124unique_dim_cuda_templateIhEESt5tupleIJNSF_6TensorESK_SK_EERKSK_lbbbEUlllE0_EEPmJS9_EEE10hipError_tPvRmT3_T4_T5_T6_T7_T9_mT8_P12ihipStream_tbDpT10_ENKUlT_T0_E_clISt17integral_constantIbLb0EES19_IbLb1EEEEDaS15_S16_EUlS15_E_NS1_11comp_targetILNS1_3genE0ELNS1_11target_archE4294967295ELNS1_3gpuE0ELNS1_3repE0EEENS1_30default_config_static_selectorELNS0_4arch9wavefront6targetE0EEEvT1_.num_agpr, 0
	.set _ZN7rocprim17ROCPRIM_400000_NS6detail17trampoline_kernelINS0_14default_configENS1_25partition_config_selectorILNS1_17partition_subalgoE9EllbEEZZNS1_14partition_implILS5_9ELb0ES3_jPlS8_PNS0_10empty_typeENS0_5tupleIJS8_S9_EEENSB_IJS8_SA_EEENS0_18inequality_wrapperIZN2at6native12_GLOBAL__N_124unique_dim_cuda_templateIhEESt5tupleIJNSF_6TensorESK_SK_EERKSK_lbbbEUlllE0_EEPmJS9_EEE10hipError_tPvRmT3_T4_T5_T6_T7_T9_mT8_P12ihipStream_tbDpT10_ENKUlT_T0_E_clISt17integral_constantIbLb0EES19_IbLb1EEEEDaS15_S16_EUlS15_E_NS1_11comp_targetILNS1_3genE0ELNS1_11target_archE4294967295ELNS1_3gpuE0ELNS1_3repE0EEENS1_30default_config_static_selectorELNS0_4arch9wavefront6targetE0EEEvT1_.numbered_sgpr, 36
	.set _ZN7rocprim17ROCPRIM_400000_NS6detail17trampoline_kernelINS0_14default_configENS1_25partition_config_selectorILNS1_17partition_subalgoE9EllbEEZZNS1_14partition_implILS5_9ELb0ES3_jPlS8_PNS0_10empty_typeENS0_5tupleIJS8_S9_EEENSB_IJS8_SA_EEENS0_18inequality_wrapperIZN2at6native12_GLOBAL__N_124unique_dim_cuda_templateIhEESt5tupleIJNSF_6TensorESK_SK_EERKSK_lbbbEUlllE0_EEPmJS9_EEE10hipError_tPvRmT3_T4_T5_T6_T7_T9_mT8_P12ihipStream_tbDpT10_ENKUlT_T0_E_clISt17integral_constantIbLb0EES19_IbLb1EEEEDaS15_S16_EUlS15_E_NS1_11comp_targetILNS1_3genE0ELNS1_11target_archE4294967295ELNS1_3gpuE0ELNS1_3repE0EEENS1_30default_config_static_selectorELNS0_4arch9wavefront6targetE0EEEvT1_.num_named_barrier, 0
	.set _ZN7rocprim17ROCPRIM_400000_NS6detail17trampoline_kernelINS0_14default_configENS1_25partition_config_selectorILNS1_17partition_subalgoE9EllbEEZZNS1_14partition_implILS5_9ELb0ES3_jPlS8_PNS0_10empty_typeENS0_5tupleIJS8_S9_EEENSB_IJS8_SA_EEENS0_18inequality_wrapperIZN2at6native12_GLOBAL__N_124unique_dim_cuda_templateIhEESt5tupleIJNSF_6TensorESK_SK_EERKSK_lbbbEUlllE0_EEPmJS9_EEE10hipError_tPvRmT3_T4_T5_T6_T7_T9_mT8_P12ihipStream_tbDpT10_ENKUlT_T0_E_clISt17integral_constantIbLb0EES19_IbLb1EEEEDaS15_S16_EUlS15_E_NS1_11comp_targetILNS1_3genE0ELNS1_11target_archE4294967295ELNS1_3gpuE0ELNS1_3repE0EEENS1_30default_config_static_selectorELNS0_4arch9wavefront6targetE0EEEvT1_.private_seg_size, 0
	.set _ZN7rocprim17ROCPRIM_400000_NS6detail17trampoline_kernelINS0_14default_configENS1_25partition_config_selectorILNS1_17partition_subalgoE9EllbEEZZNS1_14partition_implILS5_9ELb0ES3_jPlS8_PNS0_10empty_typeENS0_5tupleIJS8_S9_EEENSB_IJS8_SA_EEENS0_18inequality_wrapperIZN2at6native12_GLOBAL__N_124unique_dim_cuda_templateIhEESt5tupleIJNSF_6TensorESK_SK_EERKSK_lbbbEUlllE0_EEPmJS9_EEE10hipError_tPvRmT3_T4_T5_T6_T7_T9_mT8_P12ihipStream_tbDpT10_ENKUlT_T0_E_clISt17integral_constantIbLb0EES19_IbLb1EEEEDaS15_S16_EUlS15_E_NS1_11comp_targetILNS1_3genE0ELNS1_11target_archE4294967295ELNS1_3gpuE0ELNS1_3repE0EEENS1_30default_config_static_selectorELNS0_4arch9wavefront6targetE0EEEvT1_.uses_vcc, 1
	.set _ZN7rocprim17ROCPRIM_400000_NS6detail17trampoline_kernelINS0_14default_configENS1_25partition_config_selectorILNS1_17partition_subalgoE9EllbEEZZNS1_14partition_implILS5_9ELb0ES3_jPlS8_PNS0_10empty_typeENS0_5tupleIJS8_S9_EEENSB_IJS8_SA_EEENS0_18inequality_wrapperIZN2at6native12_GLOBAL__N_124unique_dim_cuda_templateIhEESt5tupleIJNSF_6TensorESK_SK_EERKSK_lbbbEUlllE0_EEPmJS9_EEE10hipError_tPvRmT3_T4_T5_T6_T7_T9_mT8_P12ihipStream_tbDpT10_ENKUlT_T0_E_clISt17integral_constantIbLb0EES19_IbLb1EEEEDaS15_S16_EUlS15_E_NS1_11comp_targetILNS1_3genE0ELNS1_11target_archE4294967295ELNS1_3gpuE0ELNS1_3repE0EEENS1_30default_config_static_selectorELNS0_4arch9wavefront6targetE0EEEvT1_.uses_flat_scratch, 0
	.set _ZN7rocprim17ROCPRIM_400000_NS6detail17trampoline_kernelINS0_14default_configENS1_25partition_config_selectorILNS1_17partition_subalgoE9EllbEEZZNS1_14partition_implILS5_9ELb0ES3_jPlS8_PNS0_10empty_typeENS0_5tupleIJS8_S9_EEENSB_IJS8_SA_EEENS0_18inequality_wrapperIZN2at6native12_GLOBAL__N_124unique_dim_cuda_templateIhEESt5tupleIJNSF_6TensorESK_SK_EERKSK_lbbbEUlllE0_EEPmJS9_EEE10hipError_tPvRmT3_T4_T5_T6_T7_T9_mT8_P12ihipStream_tbDpT10_ENKUlT_T0_E_clISt17integral_constantIbLb0EES19_IbLb1EEEEDaS15_S16_EUlS15_E_NS1_11comp_targetILNS1_3genE0ELNS1_11target_archE4294967295ELNS1_3gpuE0ELNS1_3repE0EEENS1_30default_config_static_selectorELNS0_4arch9wavefront6targetE0EEEvT1_.has_dyn_sized_stack, 0
	.set _ZN7rocprim17ROCPRIM_400000_NS6detail17trampoline_kernelINS0_14default_configENS1_25partition_config_selectorILNS1_17partition_subalgoE9EllbEEZZNS1_14partition_implILS5_9ELb0ES3_jPlS8_PNS0_10empty_typeENS0_5tupleIJS8_S9_EEENSB_IJS8_SA_EEENS0_18inequality_wrapperIZN2at6native12_GLOBAL__N_124unique_dim_cuda_templateIhEESt5tupleIJNSF_6TensorESK_SK_EERKSK_lbbbEUlllE0_EEPmJS9_EEE10hipError_tPvRmT3_T4_T5_T6_T7_T9_mT8_P12ihipStream_tbDpT10_ENKUlT_T0_E_clISt17integral_constantIbLb0EES19_IbLb1EEEEDaS15_S16_EUlS15_E_NS1_11comp_targetILNS1_3genE0ELNS1_11target_archE4294967295ELNS1_3gpuE0ELNS1_3repE0EEENS1_30default_config_static_selectorELNS0_4arch9wavefront6targetE0EEEvT1_.has_recursion, 0
	.set _ZN7rocprim17ROCPRIM_400000_NS6detail17trampoline_kernelINS0_14default_configENS1_25partition_config_selectorILNS1_17partition_subalgoE9EllbEEZZNS1_14partition_implILS5_9ELb0ES3_jPlS8_PNS0_10empty_typeENS0_5tupleIJS8_S9_EEENSB_IJS8_SA_EEENS0_18inequality_wrapperIZN2at6native12_GLOBAL__N_124unique_dim_cuda_templateIhEESt5tupleIJNSF_6TensorESK_SK_EERKSK_lbbbEUlllE0_EEPmJS9_EEE10hipError_tPvRmT3_T4_T5_T6_T7_T9_mT8_P12ihipStream_tbDpT10_ENKUlT_T0_E_clISt17integral_constantIbLb0EES19_IbLb1EEEEDaS15_S16_EUlS15_E_NS1_11comp_targetILNS1_3genE0ELNS1_11target_archE4294967295ELNS1_3gpuE0ELNS1_3repE0EEENS1_30default_config_static_selectorELNS0_4arch9wavefront6targetE0EEEvT1_.has_indirect_call, 0
	.section	.AMDGPU.csdata,"",@progbits
; Kernel info:
; codeLenInByte = 10032
; TotalNumSgprs: 38
; NumVgprs: 55
; ScratchSize: 0
; MemoryBound: 0
; FloatMode: 240
; IeeeMode: 1
; LDSByteSize: 5128 bytes/workgroup (compile time only)
; SGPRBlocks: 0
; VGPRBlocks: 3
; NumSGPRsForWavesPerEU: 38
; NumVGPRsForWavesPerEU: 55
; NamedBarCnt: 0
; Occupancy: 16
; WaveLimiterHint : 1
; COMPUTE_PGM_RSRC2:SCRATCH_EN: 0
; COMPUTE_PGM_RSRC2:USER_SGPR: 2
; COMPUTE_PGM_RSRC2:TRAP_HANDLER: 0
; COMPUTE_PGM_RSRC2:TGID_X_EN: 1
; COMPUTE_PGM_RSRC2:TGID_Y_EN: 0
; COMPUTE_PGM_RSRC2:TGID_Z_EN: 0
; COMPUTE_PGM_RSRC2:TIDIG_COMP_CNT: 0
	.section	.text._ZN7rocprim17ROCPRIM_400000_NS6detail17trampoline_kernelINS0_14default_configENS1_25partition_config_selectorILNS1_17partition_subalgoE9EllbEEZZNS1_14partition_implILS5_9ELb0ES3_jPlS8_PNS0_10empty_typeENS0_5tupleIJS8_S9_EEENSB_IJS8_SA_EEENS0_18inequality_wrapperIZN2at6native12_GLOBAL__N_124unique_dim_cuda_templateIhEESt5tupleIJNSF_6TensorESK_SK_EERKSK_lbbbEUlllE0_EEPmJS9_EEE10hipError_tPvRmT3_T4_T5_T6_T7_T9_mT8_P12ihipStream_tbDpT10_ENKUlT_T0_E_clISt17integral_constantIbLb0EES19_IbLb1EEEEDaS15_S16_EUlS15_E_NS1_11comp_targetILNS1_3genE5ELNS1_11target_archE942ELNS1_3gpuE9ELNS1_3repE0EEENS1_30default_config_static_selectorELNS0_4arch9wavefront6targetE0EEEvT1_,"axG",@progbits,_ZN7rocprim17ROCPRIM_400000_NS6detail17trampoline_kernelINS0_14default_configENS1_25partition_config_selectorILNS1_17partition_subalgoE9EllbEEZZNS1_14partition_implILS5_9ELb0ES3_jPlS8_PNS0_10empty_typeENS0_5tupleIJS8_S9_EEENSB_IJS8_SA_EEENS0_18inequality_wrapperIZN2at6native12_GLOBAL__N_124unique_dim_cuda_templateIhEESt5tupleIJNSF_6TensorESK_SK_EERKSK_lbbbEUlllE0_EEPmJS9_EEE10hipError_tPvRmT3_T4_T5_T6_T7_T9_mT8_P12ihipStream_tbDpT10_ENKUlT_T0_E_clISt17integral_constantIbLb0EES19_IbLb1EEEEDaS15_S16_EUlS15_E_NS1_11comp_targetILNS1_3genE5ELNS1_11target_archE942ELNS1_3gpuE9ELNS1_3repE0EEENS1_30default_config_static_selectorELNS0_4arch9wavefront6targetE0EEEvT1_,comdat
	.globl	_ZN7rocprim17ROCPRIM_400000_NS6detail17trampoline_kernelINS0_14default_configENS1_25partition_config_selectorILNS1_17partition_subalgoE9EllbEEZZNS1_14partition_implILS5_9ELb0ES3_jPlS8_PNS0_10empty_typeENS0_5tupleIJS8_S9_EEENSB_IJS8_SA_EEENS0_18inequality_wrapperIZN2at6native12_GLOBAL__N_124unique_dim_cuda_templateIhEESt5tupleIJNSF_6TensorESK_SK_EERKSK_lbbbEUlllE0_EEPmJS9_EEE10hipError_tPvRmT3_T4_T5_T6_T7_T9_mT8_P12ihipStream_tbDpT10_ENKUlT_T0_E_clISt17integral_constantIbLb0EES19_IbLb1EEEEDaS15_S16_EUlS15_E_NS1_11comp_targetILNS1_3genE5ELNS1_11target_archE942ELNS1_3gpuE9ELNS1_3repE0EEENS1_30default_config_static_selectorELNS0_4arch9wavefront6targetE0EEEvT1_ ; -- Begin function _ZN7rocprim17ROCPRIM_400000_NS6detail17trampoline_kernelINS0_14default_configENS1_25partition_config_selectorILNS1_17partition_subalgoE9EllbEEZZNS1_14partition_implILS5_9ELb0ES3_jPlS8_PNS0_10empty_typeENS0_5tupleIJS8_S9_EEENSB_IJS8_SA_EEENS0_18inequality_wrapperIZN2at6native12_GLOBAL__N_124unique_dim_cuda_templateIhEESt5tupleIJNSF_6TensorESK_SK_EERKSK_lbbbEUlllE0_EEPmJS9_EEE10hipError_tPvRmT3_T4_T5_T6_T7_T9_mT8_P12ihipStream_tbDpT10_ENKUlT_T0_E_clISt17integral_constantIbLb0EES19_IbLb1EEEEDaS15_S16_EUlS15_E_NS1_11comp_targetILNS1_3genE5ELNS1_11target_archE942ELNS1_3gpuE9ELNS1_3repE0EEENS1_30default_config_static_selectorELNS0_4arch9wavefront6targetE0EEEvT1_
	.p2align	8
	.type	_ZN7rocprim17ROCPRIM_400000_NS6detail17trampoline_kernelINS0_14default_configENS1_25partition_config_selectorILNS1_17partition_subalgoE9EllbEEZZNS1_14partition_implILS5_9ELb0ES3_jPlS8_PNS0_10empty_typeENS0_5tupleIJS8_S9_EEENSB_IJS8_SA_EEENS0_18inequality_wrapperIZN2at6native12_GLOBAL__N_124unique_dim_cuda_templateIhEESt5tupleIJNSF_6TensorESK_SK_EERKSK_lbbbEUlllE0_EEPmJS9_EEE10hipError_tPvRmT3_T4_T5_T6_T7_T9_mT8_P12ihipStream_tbDpT10_ENKUlT_T0_E_clISt17integral_constantIbLb0EES19_IbLb1EEEEDaS15_S16_EUlS15_E_NS1_11comp_targetILNS1_3genE5ELNS1_11target_archE942ELNS1_3gpuE9ELNS1_3repE0EEENS1_30default_config_static_selectorELNS0_4arch9wavefront6targetE0EEEvT1_,@function
_ZN7rocprim17ROCPRIM_400000_NS6detail17trampoline_kernelINS0_14default_configENS1_25partition_config_selectorILNS1_17partition_subalgoE9EllbEEZZNS1_14partition_implILS5_9ELb0ES3_jPlS8_PNS0_10empty_typeENS0_5tupleIJS8_S9_EEENSB_IJS8_SA_EEENS0_18inequality_wrapperIZN2at6native12_GLOBAL__N_124unique_dim_cuda_templateIhEESt5tupleIJNSF_6TensorESK_SK_EERKSK_lbbbEUlllE0_EEPmJS9_EEE10hipError_tPvRmT3_T4_T5_T6_T7_T9_mT8_P12ihipStream_tbDpT10_ENKUlT_T0_E_clISt17integral_constantIbLb0EES19_IbLb1EEEEDaS15_S16_EUlS15_E_NS1_11comp_targetILNS1_3genE5ELNS1_11target_archE942ELNS1_3gpuE9ELNS1_3repE0EEENS1_30default_config_static_selectorELNS0_4arch9wavefront6targetE0EEEvT1_: ; @_ZN7rocprim17ROCPRIM_400000_NS6detail17trampoline_kernelINS0_14default_configENS1_25partition_config_selectorILNS1_17partition_subalgoE9EllbEEZZNS1_14partition_implILS5_9ELb0ES3_jPlS8_PNS0_10empty_typeENS0_5tupleIJS8_S9_EEENSB_IJS8_SA_EEENS0_18inequality_wrapperIZN2at6native12_GLOBAL__N_124unique_dim_cuda_templateIhEESt5tupleIJNSF_6TensorESK_SK_EERKSK_lbbbEUlllE0_EEPmJS9_EEE10hipError_tPvRmT3_T4_T5_T6_T7_T9_mT8_P12ihipStream_tbDpT10_ENKUlT_T0_E_clISt17integral_constantIbLb0EES19_IbLb1EEEEDaS15_S16_EUlS15_E_NS1_11comp_targetILNS1_3genE5ELNS1_11target_archE942ELNS1_3gpuE9ELNS1_3repE0EEENS1_30default_config_static_selectorELNS0_4arch9wavefront6targetE0EEEvT1_
; %bb.0:
	.section	.rodata,"a",@progbits
	.p2align	6, 0x0
	.amdhsa_kernel _ZN7rocprim17ROCPRIM_400000_NS6detail17trampoline_kernelINS0_14default_configENS1_25partition_config_selectorILNS1_17partition_subalgoE9EllbEEZZNS1_14partition_implILS5_9ELb0ES3_jPlS8_PNS0_10empty_typeENS0_5tupleIJS8_S9_EEENSB_IJS8_SA_EEENS0_18inequality_wrapperIZN2at6native12_GLOBAL__N_124unique_dim_cuda_templateIhEESt5tupleIJNSF_6TensorESK_SK_EERKSK_lbbbEUlllE0_EEPmJS9_EEE10hipError_tPvRmT3_T4_T5_T6_T7_T9_mT8_P12ihipStream_tbDpT10_ENKUlT_T0_E_clISt17integral_constantIbLb0EES19_IbLb1EEEEDaS15_S16_EUlS15_E_NS1_11comp_targetILNS1_3genE5ELNS1_11target_archE942ELNS1_3gpuE9ELNS1_3repE0EEENS1_30default_config_static_selectorELNS0_4arch9wavefront6targetE0EEEvT1_
		.amdhsa_group_segment_fixed_size 0
		.amdhsa_private_segment_fixed_size 0
		.amdhsa_kernarg_size 136
		.amdhsa_user_sgpr_count 2
		.amdhsa_user_sgpr_dispatch_ptr 0
		.amdhsa_user_sgpr_queue_ptr 0
		.amdhsa_user_sgpr_kernarg_segment_ptr 1
		.amdhsa_user_sgpr_dispatch_id 0
		.amdhsa_user_sgpr_kernarg_preload_length 0
		.amdhsa_user_sgpr_kernarg_preload_offset 0
		.amdhsa_user_sgpr_private_segment_size 0
		.amdhsa_wavefront_size32 1
		.amdhsa_uses_dynamic_stack 0
		.amdhsa_enable_private_segment 0
		.amdhsa_system_sgpr_workgroup_id_x 1
		.amdhsa_system_sgpr_workgroup_id_y 0
		.amdhsa_system_sgpr_workgroup_id_z 0
		.amdhsa_system_sgpr_workgroup_info 0
		.amdhsa_system_vgpr_workitem_id 0
		.amdhsa_next_free_vgpr 1
		.amdhsa_next_free_sgpr 1
		.amdhsa_named_barrier_count 0
		.amdhsa_reserve_vcc 0
		.amdhsa_float_round_mode_32 0
		.amdhsa_float_round_mode_16_64 0
		.amdhsa_float_denorm_mode_32 3
		.amdhsa_float_denorm_mode_16_64 3
		.amdhsa_fp16_overflow 0
		.amdhsa_memory_ordered 1
		.amdhsa_forward_progress 1
		.amdhsa_inst_pref_size 0
		.amdhsa_round_robin_scheduling 0
		.amdhsa_exception_fp_ieee_invalid_op 0
		.amdhsa_exception_fp_denorm_src 0
		.amdhsa_exception_fp_ieee_div_zero 0
		.amdhsa_exception_fp_ieee_overflow 0
		.amdhsa_exception_fp_ieee_underflow 0
		.amdhsa_exception_fp_ieee_inexact 0
		.amdhsa_exception_int_div_zero 0
	.end_amdhsa_kernel
	.section	.text._ZN7rocprim17ROCPRIM_400000_NS6detail17trampoline_kernelINS0_14default_configENS1_25partition_config_selectorILNS1_17partition_subalgoE9EllbEEZZNS1_14partition_implILS5_9ELb0ES3_jPlS8_PNS0_10empty_typeENS0_5tupleIJS8_S9_EEENSB_IJS8_SA_EEENS0_18inequality_wrapperIZN2at6native12_GLOBAL__N_124unique_dim_cuda_templateIhEESt5tupleIJNSF_6TensorESK_SK_EERKSK_lbbbEUlllE0_EEPmJS9_EEE10hipError_tPvRmT3_T4_T5_T6_T7_T9_mT8_P12ihipStream_tbDpT10_ENKUlT_T0_E_clISt17integral_constantIbLb0EES19_IbLb1EEEEDaS15_S16_EUlS15_E_NS1_11comp_targetILNS1_3genE5ELNS1_11target_archE942ELNS1_3gpuE9ELNS1_3repE0EEENS1_30default_config_static_selectorELNS0_4arch9wavefront6targetE0EEEvT1_,"axG",@progbits,_ZN7rocprim17ROCPRIM_400000_NS6detail17trampoline_kernelINS0_14default_configENS1_25partition_config_selectorILNS1_17partition_subalgoE9EllbEEZZNS1_14partition_implILS5_9ELb0ES3_jPlS8_PNS0_10empty_typeENS0_5tupleIJS8_S9_EEENSB_IJS8_SA_EEENS0_18inequality_wrapperIZN2at6native12_GLOBAL__N_124unique_dim_cuda_templateIhEESt5tupleIJNSF_6TensorESK_SK_EERKSK_lbbbEUlllE0_EEPmJS9_EEE10hipError_tPvRmT3_T4_T5_T6_T7_T9_mT8_P12ihipStream_tbDpT10_ENKUlT_T0_E_clISt17integral_constantIbLb0EES19_IbLb1EEEEDaS15_S16_EUlS15_E_NS1_11comp_targetILNS1_3genE5ELNS1_11target_archE942ELNS1_3gpuE9ELNS1_3repE0EEENS1_30default_config_static_selectorELNS0_4arch9wavefront6targetE0EEEvT1_,comdat
.Lfunc_end229:
	.size	_ZN7rocprim17ROCPRIM_400000_NS6detail17trampoline_kernelINS0_14default_configENS1_25partition_config_selectorILNS1_17partition_subalgoE9EllbEEZZNS1_14partition_implILS5_9ELb0ES3_jPlS8_PNS0_10empty_typeENS0_5tupleIJS8_S9_EEENSB_IJS8_SA_EEENS0_18inequality_wrapperIZN2at6native12_GLOBAL__N_124unique_dim_cuda_templateIhEESt5tupleIJNSF_6TensorESK_SK_EERKSK_lbbbEUlllE0_EEPmJS9_EEE10hipError_tPvRmT3_T4_T5_T6_T7_T9_mT8_P12ihipStream_tbDpT10_ENKUlT_T0_E_clISt17integral_constantIbLb0EES19_IbLb1EEEEDaS15_S16_EUlS15_E_NS1_11comp_targetILNS1_3genE5ELNS1_11target_archE942ELNS1_3gpuE9ELNS1_3repE0EEENS1_30default_config_static_selectorELNS0_4arch9wavefront6targetE0EEEvT1_, .Lfunc_end229-_ZN7rocprim17ROCPRIM_400000_NS6detail17trampoline_kernelINS0_14default_configENS1_25partition_config_selectorILNS1_17partition_subalgoE9EllbEEZZNS1_14partition_implILS5_9ELb0ES3_jPlS8_PNS0_10empty_typeENS0_5tupleIJS8_S9_EEENSB_IJS8_SA_EEENS0_18inequality_wrapperIZN2at6native12_GLOBAL__N_124unique_dim_cuda_templateIhEESt5tupleIJNSF_6TensorESK_SK_EERKSK_lbbbEUlllE0_EEPmJS9_EEE10hipError_tPvRmT3_T4_T5_T6_T7_T9_mT8_P12ihipStream_tbDpT10_ENKUlT_T0_E_clISt17integral_constantIbLb0EES19_IbLb1EEEEDaS15_S16_EUlS15_E_NS1_11comp_targetILNS1_3genE5ELNS1_11target_archE942ELNS1_3gpuE9ELNS1_3repE0EEENS1_30default_config_static_selectorELNS0_4arch9wavefront6targetE0EEEvT1_
                                        ; -- End function
	.set _ZN7rocprim17ROCPRIM_400000_NS6detail17trampoline_kernelINS0_14default_configENS1_25partition_config_selectorILNS1_17partition_subalgoE9EllbEEZZNS1_14partition_implILS5_9ELb0ES3_jPlS8_PNS0_10empty_typeENS0_5tupleIJS8_S9_EEENSB_IJS8_SA_EEENS0_18inequality_wrapperIZN2at6native12_GLOBAL__N_124unique_dim_cuda_templateIhEESt5tupleIJNSF_6TensorESK_SK_EERKSK_lbbbEUlllE0_EEPmJS9_EEE10hipError_tPvRmT3_T4_T5_T6_T7_T9_mT8_P12ihipStream_tbDpT10_ENKUlT_T0_E_clISt17integral_constantIbLb0EES19_IbLb1EEEEDaS15_S16_EUlS15_E_NS1_11comp_targetILNS1_3genE5ELNS1_11target_archE942ELNS1_3gpuE9ELNS1_3repE0EEENS1_30default_config_static_selectorELNS0_4arch9wavefront6targetE0EEEvT1_.num_vgpr, 0
	.set _ZN7rocprim17ROCPRIM_400000_NS6detail17trampoline_kernelINS0_14default_configENS1_25partition_config_selectorILNS1_17partition_subalgoE9EllbEEZZNS1_14partition_implILS5_9ELb0ES3_jPlS8_PNS0_10empty_typeENS0_5tupleIJS8_S9_EEENSB_IJS8_SA_EEENS0_18inequality_wrapperIZN2at6native12_GLOBAL__N_124unique_dim_cuda_templateIhEESt5tupleIJNSF_6TensorESK_SK_EERKSK_lbbbEUlllE0_EEPmJS9_EEE10hipError_tPvRmT3_T4_T5_T6_T7_T9_mT8_P12ihipStream_tbDpT10_ENKUlT_T0_E_clISt17integral_constantIbLb0EES19_IbLb1EEEEDaS15_S16_EUlS15_E_NS1_11comp_targetILNS1_3genE5ELNS1_11target_archE942ELNS1_3gpuE9ELNS1_3repE0EEENS1_30default_config_static_selectorELNS0_4arch9wavefront6targetE0EEEvT1_.num_agpr, 0
	.set _ZN7rocprim17ROCPRIM_400000_NS6detail17trampoline_kernelINS0_14default_configENS1_25partition_config_selectorILNS1_17partition_subalgoE9EllbEEZZNS1_14partition_implILS5_9ELb0ES3_jPlS8_PNS0_10empty_typeENS0_5tupleIJS8_S9_EEENSB_IJS8_SA_EEENS0_18inequality_wrapperIZN2at6native12_GLOBAL__N_124unique_dim_cuda_templateIhEESt5tupleIJNSF_6TensorESK_SK_EERKSK_lbbbEUlllE0_EEPmJS9_EEE10hipError_tPvRmT3_T4_T5_T6_T7_T9_mT8_P12ihipStream_tbDpT10_ENKUlT_T0_E_clISt17integral_constantIbLb0EES19_IbLb1EEEEDaS15_S16_EUlS15_E_NS1_11comp_targetILNS1_3genE5ELNS1_11target_archE942ELNS1_3gpuE9ELNS1_3repE0EEENS1_30default_config_static_selectorELNS0_4arch9wavefront6targetE0EEEvT1_.numbered_sgpr, 0
	.set _ZN7rocprim17ROCPRIM_400000_NS6detail17trampoline_kernelINS0_14default_configENS1_25partition_config_selectorILNS1_17partition_subalgoE9EllbEEZZNS1_14partition_implILS5_9ELb0ES3_jPlS8_PNS0_10empty_typeENS0_5tupleIJS8_S9_EEENSB_IJS8_SA_EEENS0_18inequality_wrapperIZN2at6native12_GLOBAL__N_124unique_dim_cuda_templateIhEESt5tupleIJNSF_6TensorESK_SK_EERKSK_lbbbEUlllE0_EEPmJS9_EEE10hipError_tPvRmT3_T4_T5_T6_T7_T9_mT8_P12ihipStream_tbDpT10_ENKUlT_T0_E_clISt17integral_constantIbLb0EES19_IbLb1EEEEDaS15_S16_EUlS15_E_NS1_11comp_targetILNS1_3genE5ELNS1_11target_archE942ELNS1_3gpuE9ELNS1_3repE0EEENS1_30default_config_static_selectorELNS0_4arch9wavefront6targetE0EEEvT1_.num_named_barrier, 0
	.set _ZN7rocprim17ROCPRIM_400000_NS6detail17trampoline_kernelINS0_14default_configENS1_25partition_config_selectorILNS1_17partition_subalgoE9EllbEEZZNS1_14partition_implILS5_9ELb0ES3_jPlS8_PNS0_10empty_typeENS0_5tupleIJS8_S9_EEENSB_IJS8_SA_EEENS0_18inequality_wrapperIZN2at6native12_GLOBAL__N_124unique_dim_cuda_templateIhEESt5tupleIJNSF_6TensorESK_SK_EERKSK_lbbbEUlllE0_EEPmJS9_EEE10hipError_tPvRmT3_T4_T5_T6_T7_T9_mT8_P12ihipStream_tbDpT10_ENKUlT_T0_E_clISt17integral_constantIbLb0EES19_IbLb1EEEEDaS15_S16_EUlS15_E_NS1_11comp_targetILNS1_3genE5ELNS1_11target_archE942ELNS1_3gpuE9ELNS1_3repE0EEENS1_30default_config_static_selectorELNS0_4arch9wavefront6targetE0EEEvT1_.private_seg_size, 0
	.set _ZN7rocprim17ROCPRIM_400000_NS6detail17trampoline_kernelINS0_14default_configENS1_25partition_config_selectorILNS1_17partition_subalgoE9EllbEEZZNS1_14partition_implILS5_9ELb0ES3_jPlS8_PNS0_10empty_typeENS0_5tupleIJS8_S9_EEENSB_IJS8_SA_EEENS0_18inequality_wrapperIZN2at6native12_GLOBAL__N_124unique_dim_cuda_templateIhEESt5tupleIJNSF_6TensorESK_SK_EERKSK_lbbbEUlllE0_EEPmJS9_EEE10hipError_tPvRmT3_T4_T5_T6_T7_T9_mT8_P12ihipStream_tbDpT10_ENKUlT_T0_E_clISt17integral_constantIbLb0EES19_IbLb1EEEEDaS15_S16_EUlS15_E_NS1_11comp_targetILNS1_3genE5ELNS1_11target_archE942ELNS1_3gpuE9ELNS1_3repE0EEENS1_30default_config_static_selectorELNS0_4arch9wavefront6targetE0EEEvT1_.uses_vcc, 0
	.set _ZN7rocprim17ROCPRIM_400000_NS6detail17trampoline_kernelINS0_14default_configENS1_25partition_config_selectorILNS1_17partition_subalgoE9EllbEEZZNS1_14partition_implILS5_9ELb0ES3_jPlS8_PNS0_10empty_typeENS0_5tupleIJS8_S9_EEENSB_IJS8_SA_EEENS0_18inequality_wrapperIZN2at6native12_GLOBAL__N_124unique_dim_cuda_templateIhEESt5tupleIJNSF_6TensorESK_SK_EERKSK_lbbbEUlllE0_EEPmJS9_EEE10hipError_tPvRmT3_T4_T5_T6_T7_T9_mT8_P12ihipStream_tbDpT10_ENKUlT_T0_E_clISt17integral_constantIbLb0EES19_IbLb1EEEEDaS15_S16_EUlS15_E_NS1_11comp_targetILNS1_3genE5ELNS1_11target_archE942ELNS1_3gpuE9ELNS1_3repE0EEENS1_30default_config_static_selectorELNS0_4arch9wavefront6targetE0EEEvT1_.uses_flat_scratch, 0
	.set _ZN7rocprim17ROCPRIM_400000_NS6detail17trampoline_kernelINS0_14default_configENS1_25partition_config_selectorILNS1_17partition_subalgoE9EllbEEZZNS1_14partition_implILS5_9ELb0ES3_jPlS8_PNS0_10empty_typeENS0_5tupleIJS8_S9_EEENSB_IJS8_SA_EEENS0_18inequality_wrapperIZN2at6native12_GLOBAL__N_124unique_dim_cuda_templateIhEESt5tupleIJNSF_6TensorESK_SK_EERKSK_lbbbEUlllE0_EEPmJS9_EEE10hipError_tPvRmT3_T4_T5_T6_T7_T9_mT8_P12ihipStream_tbDpT10_ENKUlT_T0_E_clISt17integral_constantIbLb0EES19_IbLb1EEEEDaS15_S16_EUlS15_E_NS1_11comp_targetILNS1_3genE5ELNS1_11target_archE942ELNS1_3gpuE9ELNS1_3repE0EEENS1_30default_config_static_selectorELNS0_4arch9wavefront6targetE0EEEvT1_.has_dyn_sized_stack, 0
	.set _ZN7rocprim17ROCPRIM_400000_NS6detail17trampoline_kernelINS0_14default_configENS1_25partition_config_selectorILNS1_17partition_subalgoE9EllbEEZZNS1_14partition_implILS5_9ELb0ES3_jPlS8_PNS0_10empty_typeENS0_5tupleIJS8_S9_EEENSB_IJS8_SA_EEENS0_18inequality_wrapperIZN2at6native12_GLOBAL__N_124unique_dim_cuda_templateIhEESt5tupleIJNSF_6TensorESK_SK_EERKSK_lbbbEUlllE0_EEPmJS9_EEE10hipError_tPvRmT3_T4_T5_T6_T7_T9_mT8_P12ihipStream_tbDpT10_ENKUlT_T0_E_clISt17integral_constantIbLb0EES19_IbLb1EEEEDaS15_S16_EUlS15_E_NS1_11comp_targetILNS1_3genE5ELNS1_11target_archE942ELNS1_3gpuE9ELNS1_3repE0EEENS1_30default_config_static_selectorELNS0_4arch9wavefront6targetE0EEEvT1_.has_recursion, 0
	.set _ZN7rocprim17ROCPRIM_400000_NS6detail17trampoline_kernelINS0_14default_configENS1_25partition_config_selectorILNS1_17partition_subalgoE9EllbEEZZNS1_14partition_implILS5_9ELb0ES3_jPlS8_PNS0_10empty_typeENS0_5tupleIJS8_S9_EEENSB_IJS8_SA_EEENS0_18inequality_wrapperIZN2at6native12_GLOBAL__N_124unique_dim_cuda_templateIhEESt5tupleIJNSF_6TensorESK_SK_EERKSK_lbbbEUlllE0_EEPmJS9_EEE10hipError_tPvRmT3_T4_T5_T6_T7_T9_mT8_P12ihipStream_tbDpT10_ENKUlT_T0_E_clISt17integral_constantIbLb0EES19_IbLb1EEEEDaS15_S16_EUlS15_E_NS1_11comp_targetILNS1_3genE5ELNS1_11target_archE942ELNS1_3gpuE9ELNS1_3repE0EEENS1_30default_config_static_selectorELNS0_4arch9wavefront6targetE0EEEvT1_.has_indirect_call, 0
	.section	.AMDGPU.csdata,"",@progbits
; Kernel info:
; codeLenInByte = 0
; TotalNumSgprs: 0
; NumVgprs: 0
; ScratchSize: 0
; MemoryBound: 0
; FloatMode: 240
; IeeeMode: 1
; LDSByteSize: 0 bytes/workgroup (compile time only)
; SGPRBlocks: 0
; VGPRBlocks: 0
; NumSGPRsForWavesPerEU: 1
; NumVGPRsForWavesPerEU: 1
; NamedBarCnt: 0
; Occupancy: 16
; WaveLimiterHint : 0
; COMPUTE_PGM_RSRC2:SCRATCH_EN: 0
; COMPUTE_PGM_RSRC2:USER_SGPR: 2
; COMPUTE_PGM_RSRC2:TRAP_HANDLER: 0
; COMPUTE_PGM_RSRC2:TGID_X_EN: 1
; COMPUTE_PGM_RSRC2:TGID_Y_EN: 0
; COMPUTE_PGM_RSRC2:TGID_Z_EN: 0
; COMPUTE_PGM_RSRC2:TIDIG_COMP_CNT: 0
	.section	.text._ZN7rocprim17ROCPRIM_400000_NS6detail17trampoline_kernelINS0_14default_configENS1_25partition_config_selectorILNS1_17partition_subalgoE9EllbEEZZNS1_14partition_implILS5_9ELb0ES3_jPlS8_PNS0_10empty_typeENS0_5tupleIJS8_S9_EEENSB_IJS8_SA_EEENS0_18inequality_wrapperIZN2at6native12_GLOBAL__N_124unique_dim_cuda_templateIhEESt5tupleIJNSF_6TensorESK_SK_EERKSK_lbbbEUlllE0_EEPmJS9_EEE10hipError_tPvRmT3_T4_T5_T6_T7_T9_mT8_P12ihipStream_tbDpT10_ENKUlT_T0_E_clISt17integral_constantIbLb0EES19_IbLb1EEEEDaS15_S16_EUlS15_E_NS1_11comp_targetILNS1_3genE4ELNS1_11target_archE910ELNS1_3gpuE8ELNS1_3repE0EEENS1_30default_config_static_selectorELNS0_4arch9wavefront6targetE0EEEvT1_,"axG",@progbits,_ZN7rocprim17ROCPRIM_400000_NS6detail17trampoline_kernelINS0_14default_configENS1_25partition_config_selectorILNS1_17partition_subalgoE9EllbEEZZNS1_14partition_implILS5_9ELb0ES3_jPlS8_PNS0_10empty_typeENS0_5tupleIJS8_S9_EEENSB_IJS8_SA_EEENS0_18inequality_wrapperIZN2at6native12_GLOBAL__N_124unique_dim_cuda_templateIhEESt5tupleIJNSF_6TensorESK_SK_EERKSK_lbbbEUlllE0_EEPmJS9_EEE10hipError_tPvRmT3_T4_T5_T6_T7_T9_mT8_P12ihipStream_tbDpT10_ENKUlT_T0_E_clISt17integral_constantIbLb0EES19_IbLb1EEEEDaS15_S16_EUlS15_E_NS1_11comp_targetILNS1_3genE4ELNS1_11target_archE910ELNS1_3gpuE8ELNS1_3repE0EEENS1_30default_config_static_selectorELNS0_4arch9wavefront6targetE0EEEvT1_,comdat
	.globl	_ZN7rocprim17ROCPRIM_400000_NS6detail17trampoline_kernelINS0_14default_configENS1_25partition_config_selectorILNS1_17partition_subalgoE9EllbEEZZNS1_14partition_implILS5_9ELb0ES3_jPlS8_PNS0_10empty_typeENS0_5tupleIJS8_S9_EEENSB_IJS8_SA_EEENS0_18inequality_wrapperIZN2at6native12_GLOBAL__N_124unique_dim_cuda_templateIhEESt5tupleIJNSF_6TensorESK_SK_EERKSK_lbbbEUlllE0_EEPmJS9_EEE10hipError_tPvRmT3_T4_T5_T6_T7_T9_mT8_P12ihipStream_tbDpT10_ENKUlT_T0_E_clISt17integral_constantIbLb0EES19_IbLb1EEEEDaS15_S16_EUlS15_E_NS1_11comp_targetILNS1_3genE4ELNS1_11target_archE910ELNS1_3gpuE8ELNS1_3repE0EEENS1_30default_config_static_selectorELNS0_4arch9wavefront6targetE0EEEvT1_ ; -- Begin function _ZN7rocprim17ROCPRIM_400000_NS6detail17trampoline_kernelINS0_14default_configENS1_25partition_config_selectorILNS1_17partition_subalgoE9EllbEEZZNS1_14partition_implILS5_9ELb0ES3_jPlS8_PNS0_10empty_typeENS0_5tupleIJS8_S9_EEENSB_IJS8_SA_EEENS0_18inequality_wrapperIZN2at6native12_GLOBAL__N_124unique_dim_cuda_templateIhEESt5tupleIJNSF_6TensorESK_SK_EERKSK_lbbbEUlllE0_EEPmJS9_EEE10hipError_tPvRmT3_T4_T5_T6_T7_T9_mT8_P12ihipStream_tbDpT10_ENKUlT_T0_E_clISt17integral_constantIbLb0EES19_IbLb1EEEEDaS15_S16_EUlS15_E_NS1_11comp_targetILNS1_3genE4ELNS1_11target_archE910ELNS1_3gpuE8ELNS1_3repE0EEENS1_30default_config_static_selectorELNS0_4arch9wavefront6targetE0EEEvT1_
	.p2align	8
	.type	_ZN7rocprim17ROCPRIM_400000_NS6detail17trampoline_kernelINS0_14default_configENS1_25partition_config_selectorILNS1_17partition_subalgoE9EllbEEZZNS1_14partition_implILS5_9ELb0ES3_jPlS8_PNS0_10empty_typeENS0_5tupleIJS8_S9_EEENSB_IJS8_SA_EEENS0_18inequality_wrapperIZN2at6native12_GLOBAL__N_124unique_dim_cuda_templateIhEESt5tupleIJNSF_6TensorESK_SK_EERKSK_lbbbEUlllE0_EEPmJS9_EEE10hipError_tPvRmT3_T4_T5_T6_T7_T9_mT8_P12ihipStream_tbDpT10_ENKUlT_T0_E_clISt17integral_constantIbLb0EES19_IbLb1EEEEDaS15_S16_EUlS15_E_NS1_11comp_targetILNS1_3genE4ELNS1_11target_archE910ELNS1_3gpuE8ELNS1_3repE0EEENS1_30default_config_static_selectorELNS0_4arch9wavefront6targetE0EEEvT1_,@function
_ZN7rocprim17ROCPRIM_400000_NS6detail17trampoline_kernelINS0_14default_configENS1_25partition_config_selectorILNS1_17partition_subalgoE9EllbEEZZNS1_14partition_implILS5_9ELb0ES3_jPlS8_PNS0_10empty_typeENS0_5tupleIJS8_S9_EEENSB_IJS8_SA_EEENS0_18inequality_wrapperIZN2at6native12_GLOBAL__N_124unique_dim_cuda_templateIhEESt5tupleIJNSF_6TensorESK_SK_EERKSK_lbbbEUlllE0_EEPmJS9_EEE10hipError_tPvRmT3_T4_T5_T6_T7_T9_mT8_P12ihipStream_tbDpT10_ENKUlT_T0_E_clISt17integral_constantIbLb0EES19_IbLb1EEEEDaS15_S16_EUlS15_E_NS1_11comp_targetILNS1_3genE4ELNS1_11target_archE910ELNS1_3gpuE8ELNS1_3repE0EEENS1_30default_config_static_selectorELNS0_4arch9wavefront6targetE0EEEvT1_: ; @_ZN7rocprim17ROCPRIM_400000_NS6detail17trampoline_kernelINS0_14default_configENS1_25partition_config_selectorILNS1_17partition_subalgoE9EllbEEZZNS1_14partition_implILS5_9ELb0ES3_jPlS8_PNS0_10empty_typeENS0_5tupleIJS8_S9_EEENSB_IJS8_SA_EEENS0_18inequality_wrapperIZN2at6native12_GLOBAL__N_124unique_dim_cuda_templateIhEESt5tupleIJNSF_6TensorESK_SK_EERKSK_lbbbEUlllE0_EEPmJS9_EEE10hipError_tPvRmT3_T4_T5_T6_T7_T9_mT8_P12ihipStream_tbDpT10_ENKUlT_T0_E_clISt17integral_constantIbLb0EES19_IbLb1EEEEDaS15_S16_EUlS15_E_NS1_11comp_targetILNS1_3genE4ELNS1_11target_archE910ELNS1_3gpuE8ELNS1_3repE0EEENS1_30default_config_static_selectorELNS0_4arch9wavefront6targetE0EEEvT1_
; %bb.0:
	.section	.rodata,"a",@progbits
	.p2align	6, 0x0
	.amdhsa_kernel _ZN7rocprim17ROCPRIM_400000_NS6detail17trampoline_kernelINS0_14default_configENS1_25partition_config_selectorILNS1_17partition_subalgoE9EllbEEZZNS1_14partition_implILS5_9ELb0ES3_jPlS8_PNS0_10empty_typeENS0_5tupleIJS8_S9_EEENSB_IJS8_SA_EEENS0_18inequality_wrapperIZN2at6native12_GLOBAL__N_124unique_dim_cuda_templateIhEESt5tupleIJNSF_6TensorESK_SK_EERKSK_lbbbEUlllE0_EEPmJS9_EEE10hipError_tPvRmT3_T4_T5_T6_T7_T9_mT8_P12ihipStream_tbDpT10_ENKUlT_T0_E_clISt17integral_constantIbLb0EES19_IbLb1EEEEDaS15_S16_EUlS15_E_NS1_11comp_targetILNS1_3genE4ELNS1_11target_archE910ELNS1_3gpuE8ELNS1_3repE0EEENS1_30default_config_static_selectorELNS0_4arch9wavefront6targetE0EEEvT1_
		.amdhsa_group_segment_fixed_size 0
		.amdhsa_private_segment_fixed_size 0
		.amdhsa_kernarg_size 136
		.amdhsa_user_sgpr_count 2
		.amdhsa_user_sgpr_dispatch_ptr 0
		.amdhsa_user_sgpr_queue_ptr 0
		.amdhsa_user_sgpr_kernarg_segment_ptr 1
		.amdhsa_user_sgpr_dispatch_id 0
		.amdhsa_user_sgpr_kernarg_preload_length 0
		.amdhsa_user_sgpr_kernarg_preload_offset 0
		.amdhsa_user_sgpr_private_segment_size 0
		.amdhsa_wavefront_size32 1
		.amdhsa_uses_dynamic_stack 0
		.amdhsa_enable_private_segment 0
		.amdhsa_system_sgpr_workgroup_id_x 1
		.amdhsa_system_sgpr_workgroup_id_y 0
		.amdhsa_system_sgpr_workgroup_id_z 0
		.amdhsa_system_sgpr_workgroup_info 0
		.amdhsa_system_vgpr_workitem_id 0
		.amdhsa_next_free_vgpr 1
		.amdhsa_next_free_sgpr 1
		.amdhsa_named_barrier_count 0
		.amdhsa_reserve_vcc 0
		.amdhsa_float_round_mode_32 0
		.amdhsa_float_round_mode_16_64 0
		.amdhsa_float_denorm_mode_32 3
		.amdhsa_float_denorm_mode_16_64 3
		.amdhsa_fp16_overflow 0
		.amdhsa_memory_ordered 1
		.amdhsa_forward_progress 1
		.amdhsa_inst_pref_size 0
		.amdhsa_round_robin_scheduling 0
		.amdhsa_exception_fp_ieee_invalid_op 0
		.amdhsa_exception_fp_denorm_src 0
		.amdhsa_exception_fp_ieee_div_zero 0
		.amdhsa_exception_fp_ieee_overflow 0
		.amdhsa_exception_fp_ieee_underflow 0
		.amdhsa_exception_fp_ieee_inexact 0
		.amdhsa_exception_int_div_zero 0
	.end_amdhsa_kernel
	.section	.text._ZN7rocprim17ROCPRIM_400000_NS6detail17trampoline_kernelINS0_14default_configENS1_25partition_config_selectorILNS1_17partition_subalgoE9EllbEEZZNS1_14partition_implILS5_9ELb0ES3_jPlS8_PNS0_10empty_typeENS0_5tupleIJS8_S9_EEENSB_IJS8_SA_EEENS0_18inequality_wrapperIZN2at6native12_GLOBAL__N_124unique_dim_cuda_templateIhEESt5tupleIJNSF_6TensorESK_SK_EERKSK_lbbbEUlllE0_EEPmJS9_EEE10hipError_tPvRmT3_T4_T5_T6_T7_T9_mT8_P12ihipStream_tbDpT10_ENKUlT_T0_E_clISt17integral_constantIbLb0EES19_IbLb1EEEEDaS15_S16_EUlS15_E_NS1_11comp_targetILNS1_3genE4ELNS1_11target_archE910ELNS1_3gpuE8ELNS1_3repE0EEENS1_30default_config_static_selectorELNS0_4arch9wavefront6targetE0EEEvT1_,"axG",@progbits,_ZN7rocprim17ROCPRIM_400000_NS6detail17trampoline_kernelINS0_14default_configENS1_25partition_config_selectorILNS1_17partition_subalgoE9EllbEEZZNS1_14partition_implILS5_9ELb0ES3_jPlS8_PNS0_10empty_typeENS0_5tupleIJS8_S9_EEENSB_IJS8_SA_EEENS0_18inequality_wrapperIZN2at6native12_GLOBAL__N_124unique_dim_cuda_templateIhEESt5tupleIJNSF_6TensorESK_SK_EERKSK_lbbbEUlllE0_EEPmJS9_EEE10hipError_tPvRmT3_T4_T5_T6_T7_T9_mT8_P12ihipStream_tbDpT10_ENKUlT_T0_E_clISt17integral_constantIbLb0EES19_IbLb1EEEEDaS15_S16_EUlS15_E_NS1_11comp_targetILNS1_3genE4ELNS1_11target_archE910ELNS1_3gpuE8ELNS1_3repE0EEENS1_30default_config_static_selectorELNS0_4arch9wavefront6targetE0EEEvT1_,comdat
.Lfunc_end230:
	.size	_ZN7rocprim17ROCPRIM_400000_NS6detail17trampoline_kernelINS0_14default_configENS1_25partition_config_selectorILNS1_17partition_subalgoE9EllbEEZZNS1_14partition_implILS5_9ELb0ES3_jPlS8_PNS0_10empty_typeENS0_5tupleIJS8_S9_EEENSB_IJS8_SA_EEENS0_18inequality_wrapperIZN2at6native12_GLOBAL__N_124unique_dim_cuda_templateIhEESt5tupleIJNSF_6TensorESK_SK_EERKSK_lbbbEUlllE0_EEPmJS9_EEE10hipError_tPvRmT3_T4_T5_T6_T7_T9_mT8_P12ihipStream_tbDpT10_ENKUlT_T0_E_clISt17integral_constantIbLb0EES19_IbLb1EEEEDaS15_S16_EUlS15_E_NS1_11comp_targetILNS1_3genE4ELNS1_11target_archE910ELNS1_3gpuE8ELNS1_3repE0EEENS1_30default_config_static_selectorELNS0_4arch9wavefront6targetE0EEEvT1_, .Lfunc_end230-_ZN7rocprim17ROCPRIM_400000_NS6detail17trampoline_kernelINS0_14default_configENS1_25partition_config_selectorILNS1_17partition_subalgoE9EllbEEZZNS1_14partition_implILS5_9ELb0ES3_jPlS8_PNS0_10empty_typeENS0_5tupleIJS8_S9_EEENSB_IJS8_SA_EEENS0_18inequality_wrapperIZN2at6native12_GLOBAL__N_124unique_dim_cuda_templateIhEESt5tupleIJNSF_6TensorESK_SK_EERKSK_lbbbEUlllE0_EEPmJS9_EEE10hipError_tPvRmT3_T4_T5_T6_T7_T9_mT8_P12ihipStream_tbDpT10_ENKUlT_T0_E_clISt17integral_constantIbLb0EES19_IbLb1EEEEDaS15_S16_EUlS15_E_NS1_11comp_targetILNS1_3genE4ELNS1_11target_archE910ELNS1_3gpuE8ELNS1_3repE0EEENS1_30default_config_static_selectorELNS0_4arch9wavefront6targetE0EEEvT1_
                                        ; -- End function
	.set _ZN7rocprim17ROCPRIM_400000_NS6detail17trampoline_kernelINS0_14default_configENS1_25partition_config_selectorILNS1_17partition_subalgoE9EllbEEZZNS1_14partition_implILS5_9ELb0ES3_jPlS8_PNS0_10empty_typeENS0_5tupleIJS8_S9_EEENSB_IJS8_SA_EEENS0_18inequality_wrapperIZN2at6native12_GLOBAL__N_124unique_dim_cuda_templateIhEESt5tupleIJNSF_6TensorESK_SK_EERKSK_lbbbEUlllE0_EEPmJS9_EEE10hipError_tPvRmT3_T4_T5_T6_T7_T9_mT8_P12ihipStream_tbDpT10_ENKUlT_T0_E_clISt17integral_constantIbLb0EES19_IbLb1EEEEDaS15_S16_EUlS15_E_NS1_11comp_targetILNS1_3genE4ELNS1_11target_archE910ELNS1_3gpuE8ELNS1_3repE0EEENS1_30default_config_static_selectorELNS0_4arch9wavefront6targetE0EEEvT1_.num_vgpr, 0
	.set _ZN7rocprim17ROCPRIM_400000_NS6detail17trampoline_kernelINS0_14default_configENS1_25partition_config_selectorILNS1_17partition_subalgoE9EllbEEZZNS1_14partition_implILS5_9ELb0ES3_jPlS8_PNS0_10empty_typeENS0_5tupleIJS8_S9_EEENSB_IJS8_SA_EEENS0_18inequality_wrapperIZN2at6native12_GLOBAL__N_124unique_dim_cuda_templateIhEESt5tupleIJNSF_6TensorESK_SK_EERKSK_lbbbEUlllE0_EEPmJS9_EEE10hipError_tPvRmT3_T4_T5_T6_T7_T9_mT8_P12ihipStream_tbDpT10_ENKUlT_T0_E_clISt17integral_constantIbLb0EES19_IbLb1EEEEDaS15_S16_EUlS15_E_NS1_11comp_targetILNS1_3genE4ELNS1_11target_archE910ELNS1_3gpuE8ELNS1_3repE0EEENS1_30default_config_static_selectorELNS0_4arch9wavefront6targetE0EEEvT1_.num_agpr, 0
	.set _ZN7rocprim17ROCPRIM_400000_NS6detail17trampoline_kernelINS0_14default_configENS1_25partition_config_selectorILNS1_17partition_subalgoE9EllbEEZZNS1_14partition_implILS5_9ELb0ES3_jPlS8_PNS0_10empty_typeENS0_5tupleIJS8_S9_EEENSB_IJS8_SA_EEENS0_18inequality_wrapperIZN2at6native12_GLOBAL__N_124unique_dim_cuda_templateIhEESt5tupleIJNSF_6TensorESK_SK_EERKSK_lbbbEUlllE0_EEPmJS9_EEE10hipError_tPvRmT3_T4_T5_T6_T7_T9_mT8_P12ihipStream_tbDpT10_ENKUlT_T0_E_clISt17integral_constantIbLb0EES19_IbLb1EEEEDaS15_S16_EUlS15_E_NS1_11comp_targetILNS1_3genE4ELNS1_11target_archE910ELNS1_3gpuE8ELNS1_3repE0EEENS1_30default_config_static_selectorELNS0_4arch9wavefront6targetE0EEEvT1_.numbered_sgpr, 0
	.set _ZN7rocprim17ROCPRIM_400000_NS6detail17trampoline_kernelINS0_14default_configENS1_25partition_config_selectorILNS1_17partition_subalgoE9EllbEEZZNS1_14partition_implILS5_9ELb0ES3_jPlS8_PNS0_10empty_typeENS0_5tupleIJS8_S9_EEENSB_IJS8_SA_EEENS0_18inequality_wrapperIZN2at6native12_GLOBAL__N_124unique_dim_cuda_templateIhEESt5tupleIJNSF_6TensorESK_SK_EERKSK_lbbbEUlllE0_EEPmJS9_EEE10hipError_tPvRmT3_T4_T5_T6_T7_T9_mT8_P12ihipStream_tbDpT10_ENKUlT_T0_E_clISt17integral_constantIbLb0EES19_IbLb1EEEEDaS15_S16_EUlS15_E_NS1_11comp_targetILNS1_3genE4ELNS1_11target_archE910ELNS1_3gpuE8ELNS1_3repE0EEENS1_30default_config_static_selectorELNS0_4arch9wavefront6targetE0EEEvT1_.num_named_barrier, 0
	.set _ZN7rocprim17ROCPRIM_400000_NS6detail17trampoline_kernelINS0_14default_configENS1_25partition_config_selectorILNS1_17partition_subalgoE9EllbEEZZNS1_14partition_implILS5_9ELb0ES3_jPlS8_PNS0_10empty_typeENS0_5tupleIJS8_S9_EEENSB_IJS8_SA_EEENS0_18inequality_wrapperIZN2at6native12_GLOBAL__N_124unique_dim_cuda_templateIhEESt5tupleIJNSF_6TensorESK_SK_EERKSK_lbbbEUlllE0_EEPmJS9_EEE10hipError_tPvRmT3_T4_T5_T6_T7_T9_mT8_P12ihipStream_tbDpT10_ENKUlT_T0_E_clISt17integral_constantIbLb0EES19_IbLb1EEEEDaS15_S16_EUlS15_E_NS1_11comp_targetILNS1_3genE4ELNS1_11target_archE910ELNS1_3gpuE8ELNS1_3repE0EEENS1_30default_config_static_selectorELNS0_4arch9wavefront6targetE0EEEvT1_.private_seg_size, 0
	.set _ZN7rocprim17ROCPRIM_400000_NS6detail17trampoline_kernelINS0_14default_configENS1_25partition_config_selectorILNS1_17partition_subalgoE9EllbEEZZNS1_14partition_implILS5_9ELb0ES3_jPlS8_PNS0_10empty_typeENS0_5tupleIJS8_S9_EEENSB_IJS8_SA_EEENS0_18inequality_wrapperIZN2at6native12_GLOBAL__N_124unique_dim_cuda_templateIhEESt5tupleIJNSF_6TensorESK_SK_EERKSK_lbbbEUlllE0_EEPmJS9_EEE10hipError_tPvRmT3_T4_T5_T6_T7_T9_mT8_P12ihipStream_tbDpT10_ENKUlT_T0_E_clISt17integral_constantIbLb0EES19_IbLb1EEEEDaS15_S16_EUlS15_E_NS1_11comp_targetILNS1_3genE4ELNS1_11target_archE910ELNS1_3gpuE8ELNS1_3repE0EEENS1_30default_config_static_selectorELNS0_4arch9wavefront6targetE0EEEvT1_.uses_vcc, 0
	.set _ZN7rocprim17ROCPRIM_400000_NS6detail17trampoline_kernelINS0_14default_configENS1_25partition_config_selectorILNS1_17partition_subalgoE9EllbEEZZNS1_14partition_implILS5_9ELb0ES3_jPlS8_PNS0_10empty_typeENS0_5tupleIJS8_S9_EEENSB_IJS8_SA_EEENS0_18inequality_wrapperIZN2at6native12_GLOBAL__N_124unique_dim_cuda_templateIhEESt5tupleIJNSF_6TensorESK_SK_EERKSK_lbbbEUlllE0_EEPmJS9_EEE10hipError_tPvRmT3_T4_T5_T6_T7_T9_mT8_P12ihipStream_tbDpT10_ENKUlT_T0_E_clISt17integral_constantIbLb0EES19_IbLb1EEEEDaS15_S16_EUlS15_E_NS1_11comp_targetILNS1_3genE4ELNS1_11target_archE910ELNS1_3gpuE8ELNS1_3repE0EEENS1_30default_config_static_selectorELNS0_4arch9wavefront6targetE0EEEvT1_.uses_flat_scratch, 0
	.set _ZN7rocprim17ROCPRIM_400000_NS6detail17trampoline_kernelINS0_14default_configENS1_25partition_config_selectorILNS1_17partition_subalgoE9EllbEEZZNS1_14partition_implILS5_9ELb0ES3_jPlS8_PNS0_10empty_typeENS0_5tupleIJS8_S9_EEENSB_IJS8_SA_EEENS0_18inequality_wrapperIZN2at6native12_GLOBAL__N_124unique_dim_cuda_templateIhEESt5tupleIJNSF_6TensorESK_SK_EERKSK_lbbbEUlllE0_EEPmJS9_EEE10hipError_tPvRmT3_T4_T5_T6_T7_T9_mT8_P12ihipStream_tbDpT10_ENKUlT_T0_E_clISt17integral_constantIbLb0EES19_IbLb1EEEEDaS15_S16_EUlS15_E_NS1_11comp_targetILNS1_3genE4ELNS1_11target_archE910ELNS1_3gpuE8ELNS1_3repE0EEENS1_30default_config_static_selectorELNS0_4arch9wavefront6targetE0EEEvT1_.has_dyn_sized_stack, 0
	.set _ZN7rocprim17ROCPRIM_400000_NS6detail17trampoline_kernelINS0_14default_configENS1_25partition_config_selectorILNS1_17partition_subalgoE9EllbEEZZNS1_14partition_implILS5_9ELb0ES3_jPlS8_PNS0_10empty_typeENS0_5tupleIJS8_S9_EEENSB_IJS8_SA_EEENS0_18inequality_wrapperIZN2at6native12_GLOBAL__N_124unique_dim_cuda_templateIhEESt5tupleIJNSF_6TensorESK_SK_EERKSK_lbbbEUlllE0_EEPmJS9_EEE10hipError_tPvRmT3_T4_T5_T6_T7_T9_mT8_P12ihipStream_tbDpT10_ENKUlT_T0_E_clISt17integral_constantIbLb0EES19_IbLb1EEEEDaS15_S16_EUlS15_E_NS1_11comp_targetILNS1_3genE4ELNS1_11target_archE910ELNS1_3gpuE8ELNS1_3repE0EEENS1_30default_config_static_selectorELNS0_4arch9wavefront6targetE0EEEvT1_.has_recursion, 0
	.set _ZN7rocprim17ROCPRIM_400000_NS6detail17trampoline_kernelINS0_14default_configENS1_25partition_config_selectorILNS1_17partition_subalgoE9EllbEEZZNS1_14partition_implILS5_9ELb0ES3_jPlS8_PNS0_10empty_typeENS0_5tupleIJS8_S9_EEENSB_IJS8_SA_EEENS0_18inequality_wrapperIZN2at6native12_GLOBAL__N_124unique_dim_cuda_templateIhEESt5tupleIJNSF_6TensorESK_SK_EERKSK_lbbbEUlllE0_EEPmJS9_EEE10hipError_tPvRmT3_T4_T5_T6_T7_T9_mT8_P12ihipStream_tbDpT10_ENKUlT_T0_E_clISt17integral_constantIbLb0EES19_IbLb1EEEEDaS15_S16_EUlS15_E_NS1_11comp_targetILNS1_3genE4ELNS1_11target_archE910ELNS1_3gpuE8ELNS1_3repE0EEENS1_30default_config_static_selectorELNS0_4arch9wavefront6targetE0EEEvT1_.has_indirect_call, 0
	.section	.AMDGPU.csdata,"",@progbits
; Kernel info:
; codeLenInByte = 0
; TotalNumSgprs: 0
; NumVgprs: 0
; ScratchSize: 0
; MemoryBound: 0
; FloatMode: 240
; IeeeMode: 1
; LDSByteSize: 0 bytes/workgroup (compile time only)
; SGPRBlocks: 0
; VGPRBlocks: 0
; NumSGPRsForWavesPerEU: 1
; NumVGPRsForWavesPerEU: 1
; NamedBarCnt: 0
; Occupancy: 16
; WaveLimiterHint : 0
; COMPUTE_PGM_RSRC2:SCRATCH_EN: 0
; COMPUTE_PGM_RSRC2:USER_SGPR: 2
; COMPUTE_PGM_RSRC2:TRAP_HANDLER: 0
; COMPUTE_PGM_RSRC2:TGID_X_EN: 1
; COMPUTE_PGM_RSRC2:TGID_Y_EN: 0
; COMPUTE_PGM_RSRC2:TGID_Z_EN: 0
; COMPUTE_PGM_RSRC2:TIDIG_COMP_CNT: 0
	.section	.text._ZN7rocprim17ROCPRIM_400000_NS6detail17trampoline_kernelINS0_14default_configENS1_25partition_config_selectorILNS1_17partition_subalgoE9EllbEEZZNS1_14partition_implILS5_9ELb0ES3_jPlS8_PNS0_10empty_typeENS0_5tupleIJS8_S9_EEENSB_IJS8_SA_EEENS0_18inequality_wrapperIZN2at6native12_GLOBAL__N_124unique_dim_cuda_templateIhEESt5tupleIJNSF_6TensorESK_SK_EERKSK_lbbbEUlllE0_EEPmJS9_EEE10hipError_tPvRmT3_T4_T5_T6_T7_T9_mT8_P12ihipStream_tbDpT10_ENKUlT_T0_E_clISt17integral_constantIbLb0EES19_IbLb1EEEEDaS15_S16_EUlS15_E_NS1_11comp_targetILNS1_3genE3ELNS1_11target_archE908ELNS1_3gpuE7ELNS1_3repE0EEENS1_30default_config_static_selectorELNS0_4arch9wavefront6targetE0EEEvT1_,"axG",@progbits,_ZN7rocprim17ROCPRIM_400000_NS6detail17trampoline_kernelINS0_14default_configENS1_25partition_config_selectorILNS1_17partition_subalgoE9EllbEEZZNS1_14partition_implILS5_9ELb0ES3_jPlS8_PNS0_10empty_typeENS0_5tupleIJS8_S9_EEENSB_IJS8_SA_EEENS0_18inequality_wrapperIZN2at6native12_GLOBAL__N_124unique_dim_cuda_templateIhEESt5tupleIJNSF_6TensorESK_SK_EERKSK_lbbbEUlllE0_EEPmJS9_EEE10hipError_tPvRmT3_T4_T5_T6_T7_T9_mT8_P12ihipStream_tbDpT10_ENKUlT_T0_E_clISt17integral_constantIbLb0EES19_IbLb1EEEEDaS15_S16_EUlS15_E_NS1_11comp_targetILNS1_3genE3ELNS1_11target_archE908ELNS1_3gpuE7ELNS1_3repE0EEENS1_30default_config_static_selectorELNS0_4arch9wavefront6targetE0EEEvT1_,comdat
	.globl	_ZN7rocprim17ROCPRIM_400000_NS6detail17trampoline_kernelINS0_14default_configENS1_25partition_config_selectorILNS1_17partition_subalgoE9EllbEEZZNS1_14partition_implILS5_9ELb0ES3_jPlS8_PNS0_10empty_typeENS0_5tupleIJS8_S9_EEENSB_IJS8_SA_EEENS0_18inequality_wrapperIZN2at6native12_GLOBAL__N_124unique_dim_cuda_templateIhEESt5tupleIJNSF_6TensorESK_SK_EERKSK_lbbbEUlllE0_EEPmJS9_EEE10hipError_tPvRmT3_T4_T5_T6_T7_T9_mT8_P12ihipStream_tbDpT10_ENKUlT_T0_E_clISt17integral_constantIbLb0EES19_IbLb1EEEEDaS15_S16_EUlS15_E_NS1_11comp_targetILNS1_3genE3ELNS1_11target_archE908ELNS1_3gpuE7ELNS1_3repE0EEENS1_30default_config_static_selectorELNS0_4arch9wavefront6targetE0EEEvT1_ ; -- Begin function _ZN7rocprim17ROCPRIM_400000_NS6detail17trampoline_kernelINS0_14default_configENS1_25partition_config_selectorILNS1_17partition_subalgoE9EllbEEZZNS1_14partition_implILS5_9ELb0ES3_jPlS8_PNS0_10empty_typeENS0_5tupleIJS8_S9_EEENSB_IJS8_SA_EEENS0_18inequality_wrapperIZN2at6native12_GLOBAL__N_124unique_dim_cuda_templateIhEESt5tupleIJNSF_6TensorESK_SK_EERKSK_lbbbEUlllE0_EEPmJS9_EEE10hipError_tPvRmT3_T4_T5_T6_T7_T9_mT8_P12ihipStream_tbDpT10_ENKUlT_T0_E_clISt17integral_constantIbLb0EES19_IbLb1EEEEDaS15_S16_EUlS15_E_NS1_11comp_targetILNS1_3genE3ELNS1_11target_archE908ELNS1_3gpuE7ELNS1_3repE0EEENS1_30default_config_static_selectorELNS0_4arch9wavefront6targetE0EEEvT1_
	.p2align	8
	.type	_ZN7rocprim17ROCPRIM_400000_NS6detail17trampoline_kernelINS0_14default_configENS1_25partition_config_selectorILNS1_17partition_subalgoE9EllbEEZZNS1_14partition_implILS5_9ELb0ES3_jPlS8_PNS0_10empty_typeENS0_5tupleIJS8_S9_EEENSB_IJS8_SA_EEENS0_18inequality_wrapperIZN2at6native12_GLOBAL__N_124unique_dim_cuda_templateIhEESt5tupleIJNSF_6TensorESK_SK_EERKSK_lbbbEUlllE0_EEPmJS9_EEE10hipError_tPvRmT3_T4_T5_T6_T7_T9_mT8_P12ihipStream_tbDpT10_ENKUlT_T0_E_clISt17integral_constantIbLb0EES19_IbLb1EEEEDaS15_S16_EUlS15_E_NS1_11comp_targetILNS1_3genE3ELNS1_11target_archE908ELNS1_3gpuE7ELNS1_3repE0EEENS1_30default_config_static_selectorELNS0_4arch9wavefront6targetE0EEEvT1_,@function
_ZN7rocprim17ROCPRIM_400000_NS6detail17trampoline_kernelINS0_14default_configENS1_25partition_config_selectorILNS1_17partition_subalgoE9EllbEEZZNS1_14partition_implILS5_9ELb0ES3_jPlS8_PNS0_10empty_typeENS0_5tupleIJS8_S9_EEENSB_IJS8_SA_EEENS0_18inequality_wrapperIZN2at6native12_GLOBAL__N_124unique_dim_cuda_templateIhEESt5tupleIJNSF_6TensorESK_SK_EERKSK_lbbbEUlllE0_EEPmJS9_EEE10hipError_tPvRmT3_T4_T5_T6_T7_T9_mT8_P12ihipStream_tbDpT10_ENKUlT_T0_E_clISt17integral_constantIbLb0EES19_IbLb1EEEEDaS15_S16_EUlS15_E_NS1_11comp_targetILNS1_3genE3ELNS1_11target_archE908ELNS1_3gpuE7ELNS1_3repE0EEENS1_30default_config_static_selectorELNS0_4arch9wavefront6targetE0EEEvT1_: ; @_ZN7rocprim17ROCPRIM_400000_NS6detail17trampoline_kernelINS0_14default_configENS1_25partition_config_selectorILNS1_17partition_subalgoE9EllbEEZZNS1_14partition_implILS5_9ELb0ES3_jPlS8_PNS0_10empty_typeENS0_5tupleIJS8_S9_EEENSB_IJS8_SA_EEENS0_18inequality_wrapperIZN2at6native12_GLOBAL__N_124unique_dim_cuda_templateIhEESt5tupleIJNSF_6TensorESK_SK_EERKSK_lbbbEUlllE0_EEPmJS9_EEE10hipError_tPvRmT3_T4_T5_T6_T7_T9_mT8_P12ihipStream_tbDpT10_ENKUlT_T0_E_clISt17integral_constantIbLb0EES19_IbLb1EEEEDaS15_S16_EUlS15_E_NS1_11comp_targetILNS1_3genE3ELNS1_11target_archE908ELNS1_3gpuE7ELNS1_3repE0EEENS1_30default_config_static_selectorELNS0_4arch9wavefront6targetE0EEEvT1_
; %bb.0:
	.section	.rodata,"a",@progbits
	.p2align	6, 0x0
	.amdhsa_kernel _ZN7rocprim17ROCPRIM_400000_NS6detail17trampoline_kernelINS0_14default_configENS1_25partition_config_selectorILNS1_17partition_subalgoE9EllbEEZZNS1_14partition_implILS5_9ELb0ES3_jPlS8_PNS0_10empty_typeENS0_5tupleIJS8_S9_EEENSB_IJS8_SA_EEENS0_18inequality_wrapperIZN2at6native12_GLOBAL__N_124unique_dim_cuda_templateIhEESt5tupleIJNSF_6TensorESK_SK_EERKSK_lbbbEUlllE0_EEPmJS9_EEE10hipError_tPvRmT3_T4_T5_T6_T7_T9_mT8_P12ihipStream_tbDpT10_ENKUlT_T0_E_clISt17integral_constantIbLb0EES19_IbLb1EEEEDaS15_S16_EUlS15_E_NS1_11comp_targetILNS1_3genE3ELNS1_11target_archE908ELNS1_3gpuE7ELNS1_3repE0EEENS1_30default_config_static_selectorELNS0_4arch9wavefront6targetE0EEEvT1_
		.amdhsa_group_segment_fixed_size 0
		.amdhsa_private_segment_fixed_size 0
		.amdhsa_kernarg_size 136
		.amdhsa_user_sgpr_count 2
		.amdhsa_user_sgpr_dispatch_ptr 0
		.amdhsa_user_sgpr_queue_ptr 0
		.amdhsa_user_sgpr_kernarg_segment_ptr 1
		.amdhsa_user_sgpr_dispatch_id 0
		.amdhsa_user_sgpr_kernarg_preload_length 0
		.amdhsa_user_sgpr_kernarg_preload_offset 0
		.amdhsa_user_sgpr_private_segment_size 0
		.amdhsa_wavefront_size32 1
		.amdhsa_uses_dynamic_stack 0
		.amdhsa_enable_private_segment 0
		.amdhsa_system_sgpr_workgroup_id_x 1
		.amdhsa_system_sgpr_workgroup_id_y 0
		.amdhsa_system_sgpr_workgroup_id_z 0
		.amdhsa_system_sgpr_workgroup_info 0
		.amdhsa_system_vgpr_workitem_id 0
		.amdhsa_next_free_vgpr 1
		.amdhsa_next_free_sgpr 1
		.amdhsa_named_barrier_count 0
		.amdhsa_reserve_vcc 0
		.amdhsa_float_round_mode_32 0
		.amdhsa_float_round_mode_16_64 0
		.amdhsa_float_denorm_mode_32 3
		.amdhsa_float_denorm_mode_16_64 3
		.amdhsa_fp16_overflow 0
		.amdhsa_memory_ordered 1
		.amdhsa_forward_progress 1
		.amdhsa_inst_pref_size 0
		.amdhsa_round_robin_scheduling 0
		.amdhsa_exception_fp_ieee_invalid_op 0
		.amdhsa_exception_fp_denorm_src 0
		.amdhsa_exception_fp_ieee_div_zero 0
		.amdhsa_exception_fp_ieee_overflow 0
		.amdhsa_exception_fp_ieee_underflow 0
		.amdhsa_exception_fp_ieee_inexact 0
		.amdhsa_exception_int_div_zero 0
	.end_amdhsa_kernel
	.section	.text._ZN7rocprim17ROCPRIM_400000_NS6detail17trampoline_kernelINS0_14default_configENS1_25partition_config_selectorILNS1_17partition_subalgoE9EllbEEZZNS1_14partition_implILS5_9ELb0ES3_jPlS8_PNS0_10empty_typeENS0_5tupleIJS8_S9_EEENSB_IJS8_SA_EEENS0_18inequality_wrapperIZN2at6native12_GLOBAL__N_124unique_dim_cuda_templateIhEESt5tupleIJNSF_6TensorESK_SK_EERKSK_lbbbEUlllE0_EEPmJS9_EEE10hipError_tPvRmT3_T4_T5_T6_T7_T9_mT8_P12ihipStream_tbDpT10_ENKUlT_T0_E_clISt17integral_constantIbLb0EES19_IbLb1EEEEDaS15_S16_EUlS15_E_NS1_11comp_targetILNS1_3genE3ELNS1_11target_archE908ELNS1_3gpuE7ELNS1_3repE0EEENS1_30default_config_static_selectorELNS0_4arch9wavefront6targetE0EEEvT1_,"axG",@progbits,_ZN7rocprim17ROCPRIM_400000_NS6detail17trampoline_kernelINS0_14default_configENS1_25partition_config_selectorILNS1_17partition_subalgoE9EllbEEZZNS1_14partition_implILS5_9ELb0ES3_jPlS8_PNS0_10empty_typeENS0_5tupleIJS8_S9_EEENSB_IJS8_SA_EEENS0_18inequality_wrapperIZN2at6native12_GLOBAL__N_124unique_dim_cuda_templateIhEESt5tupleIJNSF_6TensorESK_SK_EERKSK_lbbbEUlllE0_EEPmJS9_EEE10hipError_tPvRmT3_T4_T5_T6_T7_T9_mT8_P12ihipStream_tbDpT10_ENKUlT_T0_E_clISt17integral_constantIbLb0EES19_IbLb1EEEEDaS15_S16_EUlS15_E_NS1_11comp_targetILNS1_3genE3ELNS1_11target_archE908ELNS1_3gpuE7ELNS1_3repE0EEENS1_30default_config_static_selectorELNS0_4arch9wavefront6targetE0EEEvT1_,comdat
.Lfunc_end231:
	.size	_ZN7rocprim17ROCPRIM_400000_NS6detail17trampoline_kernelINS0_14default_configENS1_25partition_config_selectorILNS1_17partition_subalgoE9EllbEEZZNS1_14partition_implILS5_9ELb0ES3_jPlS8_PNS0_10empty_typeENS0_5tupleIJS8_S9_EEENSB_IJS8_SA_EEENS0_18inequality_wrapperIZN2at6native12_GLOBAL__N_124unique_dim_cuda_templateIhEESt5tupleIJNSF_6TensorESK_SK_EERKSK_lbbbEUlllE0_EEPmJS9_EEE10hipError_tPvRmT3_T4_T5_T6_T7_T9_mT8_P12ihipStream_tbDpT10_ENKUlT_T0_E_clISt17integral_constantIbLb0EES19_IbLb1EEEEDaS15_S16_EUlS15_E_NS1_11comp_targetILNS1_3genE3ELNS1_11target_archE908ELNS1_3gpuE7ELNS1_3repE0EEENS1_30default_config_static_selectorELNS0_4arch9wavefront6targetE0EEEvT1_, .Lfunc_end231-_ZN7rocprim17ROCPRIM_400000_NS6detail17trampoline_kernelINS0_14default_configENS1_25partition_config_selectorILNS1_17partition_subalgoE9EllbEEZZNS1_14partition_implILS5_9ELb0ES3_jPlS8_PNS0_10empty_typeENS0_5tupleIJS8_S9_EEENSB_IJS8_SA_EEENS0_18inequality_wrapperIZN2at6native12_GLOBAL__N_124unique_dim_cuda_templateIhEESt5tupleIJNSF_6TensorESK_SK_EERKSK_lbbbEUlllE0_EEPmJS9_EEE10hipError_tPvRmT3_T4_T5_T6_T7_T9_mT8_P12ihipStream_tbDpT10_ENKUlT_T0_E_clISt17integral_constantIbLb0EES19_IbLb1EEEEDaS15_S16_EUlS15_E_NS1_11comp_targetILNS1_3genE3ELNS1_11target_archE908ELNS1_3gpuE7ELNS1_3repE0EEENS1_30default_config_static_selectorELNS0_4arch9wavefront6targetE0EEEvT1_
                                        ; -- End function
	.set _ZN7rocprim17ROCPRIM_400000_NS6detail17trampoline_kernelINS0_14default_configENS1_25partition_config_selectorILNS1_17partition_subalgoE9EllbEEZZNS1_14partition_implILS5_9ELb0ES3_jPlS8_PNS0_10empty_typeENS0_5tupleIJS8_S9_EEENSB_IJS8_SA_EEENS0_18inequality_wrapperIZN2at6native12_GLOBAL__N_124unique_dim_cuda_templateIhEESt5tupleIJNSF_6TensorESK_SK_EERKSK_lbbbEUlllE0_EEPmJS9_EEE10hipError_tPvRmT3_T4_T5_T6_T7_T9_mT8_P12ihipStream_tbDpT10_ENKUlT_T0_E_clISt17integral_constantIbLb0EES19_IbLb1EEEEDaS15_S16_EUlS15_E_NS1_11comp_targetILNS1_3genE3ELNS1_11target_archE908ELNS1_3gpuE7ELNS1_3repE0EEENS1_30default_config_static_selectorELNS0_4arch9wavefront6targetE0EEEvT1_.num_vgpr, 0
	.set _ZN7rocprim17ROCPRIM_400000_NS6detail17trampoline_kernelINS0_14default_configENS1_25partition_config_selectorILNS1_17partition_subalgoE9EllbEEZZNS1_14partition_implILS5_9ELb0ES3_jPlS8_PNS0_10empty_typeENS0_5tupleIJS8_S9_EEENSB_IJS8_SA_EEENS0_18inequality_wrapperIZN2at6native12_GLOBAL__N_124unique_dim_cuda_templateIhEESt5tupleIJNSF_6TensorESK_SK_EERKSK_lbbbEUlllE0_EEPmJS9_EEE10hipError_tPvRmT3_T4_T5_T6_T7_T9_mT8_P12ihipStream_tbDpT10_ENKUlT_T0_E_clISt17integral_constantIbLb0EES19_IbLb1EEEEDaS15_S16_EUlS15_E_NS1_11comp_targetILNS1_3genE3ELNS1_11target_archE908ELNS1_3gpuE7ELNS1_3repE0EEENS1_30default_config_static_selectorELNS0_4arch9wavefront6targetE0EEEvT1_.num_agpr, 0
	.set _ZN7rocprim17ROCPRIM_400000_NS6detail17trampoline_kernelINS0_14default_configENS1_25partition_config_selectorILNS1_17partition_subalgoE9EllbEEZZNS1_14partition_implILS5_9ELb0ES3_jPlS8_PNS0_10empty_typeENS0_5tupleIJS8_S9_EEENSB_IJS8_SA_EEENS0_18inequality_wrapperIZN2at6native12_GLOBAL__N_124unique_dim_cuda_templateIhEESt5tupleIJNSF_6TensorESK_SK_EERKSK_lbbbEUlllE0_EEPmJS9_EEE10hipError_tPvRmT3_T4_T5_T6_T7_T9_mT8_P12ihipStream_tbDpT10_ENKUlT_T0_E_clISt17integral_constantIbLb0EES19_IbLb1EEEEDaS15_S16_EUlS15_E_NS1_11comp_targetILNS1_3genE3ELNS1_11target_archE908ELNS1_3gpuE7ELNS1_3repE0EEENS1_30default_config_static_selectorELNS0_4arch9wavefront6targetE0EEEvT1_.numbered_sgpr, 0
	.set _ZN7rocprim17ROCPRIM_400000_NS6detail17trampoline_kernelINS0_14default_configENS1_25partition_config_selectorILNS1_17partition_subalgoE9EllbEEZZNS1_14partition_implILS5_9ELb0ES3_jPlS8_PNS0_10empty_typeENS0_5tupleIJS8_S9_EEENSB_IJS8_SA_EEENS0_18inequality_wrapperIZN2at6native12_GLOBAL__N_124unique_dim_cuda_templateIhEESt5tupleIJNSF_6TensorESK_SK_EERKSK_lbbbEUlllE0_EEPmJS9_EEE10hipError_tPvRmT3_T4_T5_T6_T7_T9_mT8_P12ihipStream_tbDpT10_ENKUlT_T0_E_clISt17integral_constantIbLb0EES19_IbLb1EEEEDaS15_S16_EUlS15_E_NS1_11comp_targetILNS1_3genE3ELNS1_11target_archE908ELNS1_3gpuE7ELNS1_3repE0EEENS1_30default_config_static_selectorELNS0_4arch9wavefront6targetE0EEEvT1_.num_named_barrier, 0
	.set _ZN7rocprim17ROCPRIM_400000_NS6detail17trampoline_kernelINS0_14default_configENS1_25partition_config_selectorILNS1_17partition_subalgoE9EllbEEZZNS1_14partition_implILS5_9ELb0ES3_jPlS8_PNS0_10empty_typeENS0_5tupleIJS8_S9_EEENSB_IJS8_SA_EEENS0_18inequality_wrapperIZN2at6native12_GLOBAL__N_124unique_dim_cuda_templateIhEESt5tupleIJNSF_6TensorESK_SK_EERKSK_lbbbEUlllE0_EEPmJS9_EEE10hipError_tPvRmT3_T4_T5_T6_T7_T9_mT8_P12ihipStream_tbDpT10_ENKUlT_T0_E_clISt17integral_constantIbLb0EES19_IbLb1EEEEDaS15_S16_EUlS15_E_NS1_11comp_targetILNS1_3genE3ELNS1_11target_archE908ELNS1_3gpuE7ELNS1_3repE0EEENS1_30default_config_static_selectorELNS0_4arch9wavefront6targetE0EEEvT1_.private_seg_size, 0
	.set _ZN7rocprim17ROCPRIM_400000_NS6detail17trampoline_kernelINS0_14default_configENS1_25partition_config_selectorILNS1_17partition_subalgoE9EllbEEZZNS1_14partition_implILS5_9ELb0ES3_jPlS8_PNS0_10empty_typeENS0_5tupleIJS8_S9_EEENSB_IJS8_SA_EEENS0_18inequality_wrapperIZN2at6native12_GLOBAL__N_124unique_dim_cuda_templateIhEESt5tupleIJNSF_6TensorESK_SK_EERKSK_lbbbEUlllE0_EEPmJS9_EEE10hipError_tPvRmT3_T4_T5_T6_T7_T9_mT8_P12ihipStream_tbDpT10_ENKUlT_T0_E_clISt17integral_constantIbLb0EES19_IbLb1EEEEDaS15_S16_EUlS15_E_NS1_11comp_targetILNS1_3genE3ELNS1_11target_archE908ELNS1_3gpuE7ELNS1_3repE0EEENS1_30default_config_static_selectorELNS0_4arch9wavefront6targetE0EEEvT1_.uses_vcc, 0
	.set _ZN7rocprim17ROCPRIM_400000_NS6detail17trampoline_kernelINS0_14default_configENS1_25partition_config_selectorILNS1_17partition_subalgoE9EllbEEZZNS1_14partition_implILS5_9ELb0ES3_jPlS8_PNS0_10empty_typeENS0_5tupleIJS8_S9_EEENSB_IJS8_SA_EEENS0_18inequality_wrapperIZN2at6native12_GLOBAL__N_124unique_dim_cuda_templateIhEESt5tupleIJNSF_6TensorESK_SK_EERKSK_lbbbEUlllE0_EEPmJS9_EEE10hipError_tPvRmT3_T4_T5_T6_T7_T9_mT8_P12ihipStream_tbDpT10_ENKUlT_T0_E_clISt17integral_constantIbLb0EES19_IbLb1EEEEDaS15_S16_EUlS15_E_NS1_11comp_targetILNS1_3genE3ELNS1_11target_archE908ELNS1_3gpuE7ELNS1_3repE0EEENS1_30default_config_static_selectorELNS0_4arch9wavefront6targetE0EEEvT1_.uses_flat_scratch, 0
	.set _ZN7rocprim17ROCPRIM_400000_NS6detail17trampoline_kernelINS0_14default_configENS1_25partition_config_selectorILNS1_17partition_subalgoE9EllbEEZZNS1_14partition_implILS5_9ELb0ES3_jPlS8_PNS0_10empty_typeENS0_5tupleIJS8_S9_EEENSB_IJS8_SA_EEENS0_18inequality_wrapperIZN2at6native12_GLOBAL__N_124unique_dim_cuda_templateIhEESt5tupleIJNSF_6TensorESK_SK_EERKSK_lbbbEUlllE0_EEPmJS9_EEE10hipError_tPvRmT3_T4_T5_T6_T7_T9_mT8_P12ihipStream_tbDpT10_ENKUlT_T0_E_clISt17integral_constantIbLb0EES19_IbLb1EEEEDaS15_S16_EUlS15_E_NS1_11comp_targetILNS1_3genE3ELNS1_11target_archE908ELNS1_3gpuE7ELNS1_3repE0EEENS1_30default_config_static_selectorELNS0_4arch9wavefront6targetE0EEEvT1_.has_dyn_sized_stack, 0
	.set _ZN7rocprim17ROCPRIM_400000_NS6detail17trampoline_kernelINS0_14default_configENS1_25partition_config_selectorILNS1_17partition_subalgoE9EllbEEZZNS1_14partition_implILS5_9ELb0ES3_jPlS8_PNS0_10empty_typeENS0_5tupleIJS8_S9_EEENSB_IJS8_SA_EEENS0_18inequality_wrapperIZN2at6native12_GLOBAL__N_124unique_dim_cuda_templateIhEESt5tupleIJNSF_6TensorESK_SK_EERKSK_lbbbEUlllE0_EEPmJS9_EEE10hipError_tPvRmT3_T4_T5_T6_T7_T9_mT8_P12ihipStream_tbDpT10_ENKUlT_T0_E_clISt17integral_constantIbLb0EES19_IbLb1EEEEDaS15_S16_EUlS15_E_NS1_11comp_targetILNS1_3genE3ELNS1_11target_archE908ELNS1_3gpuE7ELNS1_3repE0EEENS1_30default_config_static_selectorELNS0_4arch9wavefront6targetE0EEEvT1_.has_recursion, 0
	.set _ZN7rocprim17ROCPRIM_400000_NS6detail17trampoline_kernelINS0_14default_configENS1_25partition_config_selectorILNS1_17partition_subalgoE9EllbEEZZNS1_14partition_implILS5_9ELb0ES3_jPlS8_PNS0_10empty_typeENS0_5tupleIJS8_S9_EEENSB_IJS8_SA_EEENS0_18inequality_wrapperIZN2at6native12_GLOBAL__N_124unique_dim_cuda_templateIhEESt5tupleIJNSF_6TensorESK_SK_EERKSK_lbbbEUlllE0_EEPmJS9_EEE10hipError_tPvRmT3_T4_T5_T6_T7_T9_mT8_P12ihipStream_tbDpT10_ENKUlT_T0_E_clISt17integral_constantIbLb0EES19_IbLb1EEEEDaS15_S16_EUlS15_E_NS1_11comp_targetILNS1_3genE3ELNS1_11target_archE908ELNS1_3gpuE7ELNS1_3repE0EEENS1_30default_config_static_selectorELNS0_4arch9wavefront6targetE0EEEvT1_.has_indirect_call, 0
	.section	.AMDGPU.csdata,"",@progbits
; Kernel info:
; codeLenInByte = 0
; TotalNumSgprs: 0
; NumVgprs: 0
; ScratchSize: 0
; MemoryBound: 0
; FloatMode: 240
; IeeeMode: 1
; LDSByteSize: 0 bytes/workgroup (compile time only)
; SGPRBlocks: 0
; VGPRBlocks: 0
; NumSGPRsForWavesPerEU: 1
; NumVGPRsForWavesPerEU: 1
; NamedBarCnt: 0
; Occupancy: 16
; WaveLimiterHint : 0
; COMPUTE_PGM_RSRC2:SCRATCH_EN: 0
; COMPUTE_PGM_RSRC2:USER_SGPR: 2
; COMPUTE_PGM_RSRC2:TRAP_HANDLER: 0
; COMPUTE_PGM_RSRC2:TGID_X_EN: 1
; COMPUTE_PGM_RSRC2:TGID_Y_EN: 0
; COMPUTE_PGM_RSRC2:TGID_Z_EN: 0
; COMPUTE_PGM_RSRC2:TIDIG_COMP_CNT: 0
	.section	.text._ZN7rocprim17ROCPRIM_400000_NS6detail17trampoline_kernelINS0_14default_configENS1_25partition_config_selectorILNS1_17partition_subalgoE9EllbEEZZNS1_14partition_implILS5_9ELb0ES3_jPlS8_PNS0_10empty_typeENS0_5tupleIJS8_S9_EEENSB_IJS8_SA_EEENS0_18inequality_wrapperIZN2at6native12_GLOBAL__N_124unique_dim_cuda_templateIhEESt5tupleIJNSF_6TensorESK_SK_EERKSK_lbbbEUlllE0_EEPmJS9_EEE10hipError_tPvRmT3_T4_T5_T6_T7_T9_mT8_P12ihipStream_tbDpT10_ENKUlT_T0_E_clISt17integral_constantIbLb0EES19_IbLb1EEEEDaS15_S16_EUlS15_E_NS1_11comp_targetILNS1_3genE2ELNS1_11target_archE906ELNS1_3gpuE6ELNS1_3repE0EEENS1_30default_config_static_selectorELNS0_4arch9wavefront6targetE0EEEvT1_,"axG",@progbits,_ZN7rocprim17ROCPRIM_400000_NS6detail17trampoline_kernelINS0_14default_configENS1_25partition_config_selectorILNS1_17partition_subalgoE9EllbEEZZNS1_14partition_implILS5_9ELb0ES3_jPlS8_PNS0_10empty_typeENS0_5tupleIJS8_S9_EEENSB_IJS8_SA_EEENS0_18inequality_wrapperIZN2at6native12_GLOBAL__N_124unique_dim_cuda_templateIhEESt5tupleIJNSF_6TensorESK_SK_EERKSK_lbbbEUlllE0_EEPmJS9_EEE10hipError_tPvRmT3_T4_T5_T6_T7_T9_mT8_P12ihipStream_tbDpT10_ENKUlT_T0_E_clISt17integral_constantIbLb0EES19_IbLb1EEEEDaS15_S16_EUlS15_E_NS1_11comp_targetILNS1_3genE2ELNS1_11target_archE906ELNS1_3gpuE6ELNS1_3repE0EEENS1_30default_config_static_selectorELNS0_4arch9wavefront6targetE0EEEvT1_,comdat
	.globl	_ZN7rocprim17ROCPRIM_400000_NS6detail17trampoline_kernelINS0_14default_configENS1_25partition_config_selectorILNS1_17partition_subalgoE9EllbEEZZNS1_14partition_implILS5_9ELb0ES3_jPlS8_PNS0_10empty_typeENS0_5tupleIJS8_S9_EEENSB_IJS8_SA_EEENS0_18inequality_wrapperIZN2at6native12_GLOBAL__N_124unique_dim_cuda_templateIhEESt5tupleIJNSF_6TensorESK_SK_EERKSK_lbbbEUlllE0_EEPmJS9_EEE10hipError_tPvRmT3_T4_T5_T6_T7_T9_mT8_P12ihipStream_tbDpT10_ENKUlT_T0_E_clISt17integral_constantIbLb0EES19_IbLb1EEEEDaS15_S16_EUlS15_E_NS1_11comp_targetILNS1_3genE2ELNS1_11target_archE906ELNS1_3gpuE6ELNS1_3repE0EEENS1_30default_config_static_selectorELNS0_4arch9wavefront6targetE0EEEvT1_ ; -- Begin function _ZN7rocprim17ROCPRIM_400000_NS6detail17trampoline_kernelINS0_14default_configENS1_25partition_config_selectorILNS1_17partition_subalgoE9EllbEEZZNS1_14partition_implILS5_9ELb0ES3_jPlS8_PNS0_10empty_typeENS0_5tupleIJS8_S9_EEENSB_IJS8_SA_EEENS0_18inequality_wrapperIZN2at6native12_GLOBAL__N_124unique_dim_cuda_templateIhEESt5tupleIJNSF_6TensorESK_SK_EERKSK_lbbbEUlllE0_EEPmJS9_EEE10hipError_tPvRmT3_T4_T5_T6_T7_T9_mT8_P12ihipStream_tbDpT10_ENKUlT_T0_E_clISt17integral_constantIbLb0EES19_IbLb1EEEEDaS15_S16_EUlS15_E_NS1_11comp_targetILNS1_3genE2ELNS1_11target_archE906ELNS1_3gpuE6ELNS1_3repE0EEENS1_30default_config_static_selectorELNS0_4arch9wavefront6targetE0EEEvT1_
	.p2align	8
	.type	_ZN7rocprim17ROCPRIM_400000_NS6detail17trampoline_kernelINS0_14default_configENS1_25partition_config_selectorILNS1_17partition_subalgoE9EllbEEZZNS1_14partition_implILS5_9ELb0ES3_jPlS8_PNS0_10empty_typeENS0_5tupleIJS8_S9_EEENSB_IJS8_SA_EEENS0_18inequality_wrapperIZN2at6native12_GLOBAL__N_124unique_dim_cuda_templateIhEESt5tupleIJNSF_6TensorESK_SK_EERKSK_lbbbEUlllE0_EEPmJS9_EEE10hipError_tPvRmT3_T4_T5_T6_T7_T9_mT8_P12ihipStream_tbDpT10_ENKUlT_T0_E_clISt17integral_constantIbLb0EES19_IbLb1EEEEDaS15_S16_EUlS15_E_NS1_11comp_targetILNS1_3genE2ELNS1_11target_archE906ELNS1_3gpuE6ELNS1_3repE0EEENS1_30default_config_static_selectorELNS0_4arch9wavefront6targetE0EEEvT1_,@function
_ZN7rocprim17ROCPRIM_400000_NS6detail17trampoline_kernelINS0_14default_configENS1_25partition_config_selectorILNS1_17partition_subalgoE9EllbEEZZNS1_14partition_implILS5_9ELb0ES3_jPlS8_PNS0_10empty_typeENS0_5tupleIJS8_S9_EEENSB_IJS8_SA_EEENS0_18inequality_wrapperIZN2at6native12_GLOBAL__N_124unique_dim_cuda_templateIhEESt5tupleIJNSF_6TensorESK_SK_EERKSK_lbbbEUlllE0_EEPmJS9_EEE10hipError_tPvRmT3_T4_T5_T6_T7_T9_mT8_P12ihipStream_tbDpT10_ENKUlT_T0_E_clISt17integral_constantIbLb0EES19_IbLb1EEEEDaS15_S16_EUlS15_E_NS1_11comp_targetILNS1_3genE2ELNS1_11target_archE906ELNS1_3gpuE6ELNS1_3repE0EEENS1_30default_config_static_selectorELNS0_4arch9wavefront6targetE0EEEvT1_: ; @_ZN7rocprim17ROCPRIM_400000_NS6detail17trampoline_kernelINS0_14default_configENS1_25partition_config_selectorILNS1_17partition_subalgoE9EllbEEZZNS1_14partition_implILS5_9ELb0ES3_jPlS8_PNS0_10empty_typeENS0_5tupleIJS8_S9_EEENSB_IJS8_SA_EEENS0_18inequality_wrapperIZN2at6native12_GLOBAL__N_124unique_dim_cuda_templateIhEESt5tupleIJNSF_6TensorESK_SK_EERKSK_lbbbEUlllE0_EEPmJS9_EEE10hipError_tPvRmT3_T4_T5_T6_T7_T9_mT8_P12ihipStream_tbDpT10_ENKUlT_T0_E_clISt17integral_constantIbLb0EES19_IbLb1EEEEDaS15_S16_EUlS15_E_NS1_11comp_targetILNS1_3genE2ELNS1_11target_archE906ELNS1_3gpuE6ELNS1_3repE0EEENS1_30default_config_static_selectorELNS0_4arch9wavefront6targetE0EEEvT1_
; %bb.0:
	.section	.rodata,"a",@progbits
	.p2align	6, 0x0
	.amdhsa_kernel _ZN7rocprim17ROCPRIM_400000_NS6detail17trampoline_kernelINS0_14default_configENS1_25partition_config_selectorILNS1_17partition_subalgoE9EllbEEZZNS1_14partition_implILS5_9ELb0ES3_jPlS8_PNS0_10empty_typeENS0_5tupleIJS8_S9_EEENSB_IJS8_SA_EEENS0_18inequality_wrapperIZN2at6native12_GLOBAL__N_124unique_dim_cuda_templateIhEESt5tupleIJNSF_6TensorESK_SK_EERKSK_lbbbEUlllE0_EEPmJS9_EEE10hipError_tPvRmT3_T4_T5_T6_T7_T9_mT8_P12ihipStream_tbDpT10_ENKUlT_T0_E_clISt17integral_constantIbLb0EES19_IbLb1EEEEDaS15_S16_EUlS15_E_NS1_11comp_targetILNS1_3genE2ELNS1_11target_archE906ELNS1_3gpuE6ELNS1_3repE0EEENS1_30default_config_static_selectorELNS0_4arch9wavefront6targetE0EEEvT1_
		.amdhsa_group_segment_fixed_size 0
		.amdhsa_private_segment_fixed_size 0
		.amdhsa_kernarg_size 136
		.amdhsa_user_sgpr_count 2
		.amdhsa_user_sgpr_dispatch_ptr 0
		.amdhsa_user_sgpr_queue_ptr 0
		.amdhsa_user_sgpr_kernarg_segment_ptr 1
		.amdhsa_user_sgpr_dispatch_id 0
		.amdhsa_user_sgpr_kernarg_preload_length 0
		.amdhsa_user_sgpr_kernarg_preload_offset 0
		.amdhsa_user_sgpr_private_segment_size 0
		.amdhsa_wavefront_size32 1
		.amdhsa_uses_dynamic_stack 0
		.amdhsa_enable_private_segment 0
		.amdhsa_system_sgpr_workgroup_id_x 1
		.amdhsa_system_sgpr_workgroup_id_y 0
		.amdhsa_system_sgpr_workgroup_id_z 0
		.amdhsa_system_sgpr_workgroup_info 0
		.amdhsa_system_vgpr_workitem_id 0
		.amdhsa_next_free_vgpr 1
		.amdhsa_next_free_sgpr 1
		.amdhsa_named_barrier_count 0
		.amdhsa_reserve_vcc 0
		.amdhsa_float_round_mode_32 0
		.amdhsa_float_round_mode_16_64 0
		.amdhsa_float_denorm_mode_32 3
		.amdhsa_float_denorm_mode_16_64 3
		.amdhsa_fp16_overflow 0
		.amdhsa_memory_ordered 1
		.amdhsa_forward_progress 1
		.amdhsa_inst_pref_size 0
		.amdhsa_round_robin_scheduling 0
		.amdhsa_exception_fp_ieee_invalid_op 0
		.amdhsa_exception_fp_denorm_src 0
		.amdhsa_exception_fp_ieee_div_zero 0
		.amdhsa_exception_fp_ieee_overflow 0
		.amdhsa_exception_fp_ieee_underflow 0
		.amdhsa_exception_fp_ieee_inexact 0
		.amdhsa_exception_int_div_zero 0
	.end_amdhsa_kernel
	.section	.text._ZN7rocprim17ROCPRIM_400000_NS6detail17trampoline_kernelINS0_14default_configENS1_25partition_config_selectorILNS1_17partition_subalgoE9EllbEEZZNS1_14partition_implILS5_9ELb0ES3_jPlS8_PNS0_10empty_typeENS0_5tupleIJS8_S9_EEENSB_IJS8_SA_EEENS0_18inequality_wrapperIZN2at6native12_GLOBAL__N_124unique_dim_cuda_templateIhEESt5tupleIJNSF_6TensorESK_SK_EERKSK_lbbbEUlllE0_EEPmJS9_EEE10hipError_tPvRmT3_T4_T5_T6_T7_T9_mT8_P12ihipStream_tbDpT10_ENKUlT_T0_E_clISt17integral_constantIbLb0EES19_IbLb1EEEEDaS15_S16_EUlS15_E_NS1_11comp_targetILNS1_3genE2ELNS1_11target_archE906ELNS1_3gpuE6ELNS1_3repE0EEENS1_30default_config_static_selectorELNS0_4arch9wavefront6targetE0EEEvT1_,"axG",@progbits,_ZN7rocprim17ROCPRIM_400000_NS6detail17trampoline_kernelINS0_14default_configENS1_25partition_config_selectorILNS1_17partition_subalgoE9EllbEEZZNS1_14partition_implILS5_9ELb0ES3_jPlS8_PNS0_10empty_typeENS0_5tupleIJS8_S9_EEENSB_IJS8_SA_EEENS0_18inequality_wrapperIZN2at6native12_GLOBAL__N_124unique_dim_cuda_templateIhEESt5tupleIJNSF_6TensorESK_SK_EERKSK_lbbbEUlllE0_EEPmJS9_EEE10hipError_tPvRmT3_T4_T5_T6_T7_T9_mT8_P12ihipStream_tbDpT10_ENKUlT_T0_E_clISt17integral_constantIbLb0EES19_IbLb1EEEEDaS15_S16_EUlS15_E_NS1_11comp_targetILNS1_3genE2ELNS1_11target_archE906ELNS1_3gpuE6ELNS1_3repE0EEENS1_30default_config_static_selectorELNS0_4arch9wavefront6targetE0EEEvT1_,comdat
.Lfunc_end232:
	.size	_ZN7rocprim17ROCPRIM_400000_NS6detail17trampoline_kernelINS0_14default_configENS1_25partition_config_selectorILNS1_17partition_subalgoE9EllbEEZZNS1_14partition_implILS5_9ELb0ES3_jPlS8_PNS0_10empty_typeENS0_5tupleIJS8_S9_EEENSB_IJS8_SA_EEENS0_18inequality_wrapperIZN2at6native12_GLOBAL__N_124unique_dim_cuda_templateIhEESt5tupleIJNSF_6TensorESK_SK_EERKSK_lbbbEUlllE0_EEPmJS9_EEE10hipError_tPvRmT3_T4_T5_T6_T7_T9_mT8_P12ihipStream_tbDpT10_ENKUlT_T0_E_clISt17integral_constantIbLb0EES19_IbLb1EEEEDaS15_S16_EUlS15_E_NS1_11comp_targetILNS1_3genE2ELNS1_11target_archE906ELNS1_3gpuE6ELNS1_3repE0EEENS1_30default_config_static_selectorELNS0_4arch9wavefront6targetE0EEEvT1_, .Lfunc_end232-_ZN7rocprim17ROCPRIM_400000_NS6detail17trampoline_kernelINS0_14default_configENS1_25partition_config_selectorILNS1_17partition_subalgoE9EllbEEZZNS1_14partition_implILS5_9ELb0ES3_jPlS8_PNS0_10empty_typeENS0_5tupleIJS8_S9_EEENSB_IJS8_SA_EEENS0_18inequality_wrapperIZN2at6native12_GLOBAL__N_124unique_dim_cuda_templateIhEESt5tupleIJNSF_6TensorESK_SK_EERKSK_lbbbEUlllE0_EEPmJS9_EEE10hipError_tPvRmT3_T4_T5_T6_T7_T9_mT8_P12ihipStream_tbDpT10_ENKUlT_T0_E_clISt17integral_constantIbLb0EES19_IbLb1EEEEDaS15_S16_EUlS15_E_NS1_11comp_targetILNS1_3genE2ELNS1_11target_archE906ELNS1_3gpuE6ELNS1_3repE0EEENS1_30default_config_static_selectorELNS0_4arch9wavefront6targetE0EEEvT1_
                                        ; -- End function
	.set _ZN7rocprim17ROCPRIM_400000_NS6detail17trampoline_kernelINS0_14default_configENS1_25partition_config_selectorILNS1_17partition_subalgoE9EllbEEZZNS1_14partition_implILS5_9ELb0ES3_jPlS8_PNS0_10empty_typeENS0_5tupleIJS8_S9_EEENSB_IJS8_SA_EEENS0_18inequality_wrapperIZN2at6native12_GLOBAL__N_124unique_dim_cuda_templateIhEESt5tupleIJNSF_6TensorESK_SK_EERKSK_lbbbEUlllE0_EEPmJS9_EEE10hipError_tPvRmT3_T4_T5_T6_T7_T9_mT8_P12ihipStream_tbDpT10_ENKUlT_T0_E_clISt17integral_constantIbLb0EES19_IbLb1EEEEDaS15_S16_EUlS15_E_NS1_11comp_targetILNS1_3genE2ELNS1_11target_archE906ELNS1_3gpuE6ELNS1_3repE0EEENS1_30default_config_static_selectorELNS0_4arch9wavefront6targetE0EEEvT1_.num_vgpr, 0
	.set _ZN7rocprim17ROCPRIM_400000_NS6detail17trampoline_kernelINS0_14default_configENS1_25partition_config_selectorILNS1_17partition_subalgoE9EllbEEZZNS1_14partition_implILS5_9ELb0ES3_jPlS8_PNS0_10empty_typeENS0_5tupleIJS8_S9_EEENSB_IJS8_SA_EEENS0_18inequality_wrapperIZN2at6native12_GLOBAL__N_124unique_dim_cuda_templateIhEESt5tupleIJNSF_6TensorESK_SK_EERKSK_lbbbEUlllE0_EEPmJS9_EEE10hipError_tPvRmT3_T4_T5_T6_T7_T9_mT8_P12ihipStream_tbDpT10_ENKUlT_T0_E_clISt17integral_constantIbLb0EES19_IbLb1EEEEDaS15_S16_EUlS15_E_NS1_11comp_targetILNS1_3genE2ELNS1_11target_archE906ELNS1_3gpuE6ELNS1_3repE0EEENS1_30default_config_static_selectorELNS0_4arch9wavefront6targetE0EEEvT1_.num_agpr, 0
	.set _ZN7rocprim17ROCPRIM_400000_NS6detail17trampoline_kernelINS0_14default_configENS1_25partition_config_selectorILNS1_17partition_subalgoE9EllbEEZZNS1_14partition_implILS5_9ELb0ES3_jPlS8_PNS0_10empty_typeENS0_5tupleIJS8_S9_EEENSB_IJS8_SA_EEENS0_18inequality_wrapperIZN2at6native12_GLOBAL__N_124unique_dim_cuda_templateIhEESt5tupleIJNSF_6TensorESK_SK_EERKSK_lbbbEUlllE0_EEPmJS9_EEE10hipError_tPvRmT3_T4_T5_T6_T7_T9_mT8_P12ihipStream_tbDpT10_ENKUlT_T0_E_clISt17integral_constantIbLb0EES19_IbLb1EEEEDaS15_S16_EUlS15_E_NS1_11comp_targetILNS1_3genE2ELNS1_11target_archE906ELNS1_3gpuE6ELNS1_3repE0EEENS1_30default_config_static_selectorELNS0_4arch9wavefront6targetE0EEEvT1_.numbered_sgpr, 0
	.set _ZN7rocprim17ROCPRIM_400000_NS6detail17trampoline_kernelINS0_14default_configENS1_25partition_config_selectorILNS1_17partition_subalgoE9EllbEEZZNS1_14partition_implILS5_9ELb0ES3_jPlS8_PNS0_10empty_typeENS0_5tupleIJS8_S9_EEENSB_IJS8_SA_EEENS0_18inequality_wrapperIZN2at6native12_GLOBAL__N_124unique_dim_cuda_templateIhEESt5tupleIJNSF_6TensorESK_SK_EERKSK_lbbbEUlllE0_EEPmJS9_EEE10hipError_tPvRmT3_T4_T5_T6_T7_T9_mT8_P12ihipStream_tbDpT10_ENKUlT_T0_E_clISt17integral_constantIbLb0EES19_IbLb1EEEEDaS15_S16_EUlS15_E_NS1_11comp_targetILNS1_3genE2ELNS1_11target_archE906ELNS1_3gpuE6ELNS1_3repE0EEENS1_30default_config_static_selectorELNS0_4arch9wavefront6targetE0EEEvT1_.num_named_barrier, 0
	.set _ZN7rocprim17ROCPRIM_400000_NS6detail17trampoline_kernelINS0_14default_configENS1_25partition_config_selectorILNS1_17partition_subalgoE9EllbEEZZNS1_14partition_implILS5_9ELb0ES3_jPlS8_PNS0_10empty_typeENS0_5tupleIJS8_S9_EEENSB_IJS8_SA_EEENS0_18inequality_wrapperIZN2at6native12_GLOBAL__N_124unique_dim_cuda_templateIhEESt5tupleIJNSF_6TensorESK_SK_EERKSK_lbbbEUlllE0_EEPmJS9_EEE10hipError_tPvRmT3_T4_T5_T6_T7_T9_mT8_P12ihipStream_tbDpT10_ENKUlT_T0_E_clISt17integral_constantIbLb0EES19_IbLb1EEEEDaS15_S16_EUlS15_E_NS1_11comp_targetILNS1_3genE2ELNS1_11target_archE906ELNS1_3gpuE6ELNS1_3repE0EEENS1_30default_config_static_selectorELNS0_4arch9wavefront6targetE0EEEvT1_.private_seg_size, 0
	.set _ZN7rocprim17ROCPRIM_400000_NS6detail17trampoline_kernelINS0_14default_configENS1_25partition_config_selectorILNS1_17partition_subalgoE9EllbEEZZNS1_14partition_implILS5_9ELb0ES3_jPlS8_PNS0_10empty_typeENS0_5tupleIJS8_S9_EEENSB_IJS8_SA_EEENS0_18inequality_wrapperIZN2at6native12_GLOBAL__N_124unique_dim_cuda_templateIhEESt5tupleIJNSF_6TensorESK_SK_EERKSK_lbbbEUlllE0_EEPmJS9_EEE10hipError_tPvRmT3_T4_T5_T6_T7_T9_mT8_P12ihipStream_tbDpT10_ENKUlT_T0_E_clISt17integral_constantIbLb0EES19_IbLb1EEEEDaS15_S16_EUlS15_E_NS1_11comp_targetILNS1_3genE2ELNS1_11target_archE906ELNS1_3gpuE6ELNS1_3repE0EEENS1_30default_config_static_selectorELNS0_4arch9wavefront6targetE0EEEvT1_.uses_vcc, 0
	.set _ZN7rocprim17ROCPRIM_400000_NS6detail17trampoline_kernelINS0_14default_configENS1_25partition_config_selectorILNS1_17partition_subalgoE9EllbEEZZNS1_14partition_implILS5_9ELb0ES3_jPlS8_PNS0_10empty_typeENS0_5tupleIJS8_S9_EEENSB_IJS8_SA_EEENS0_18inequality_wrapperIZN2at6native12_GLOBAL__N_124unique_dim_cuda_templateIhEESt5tupleIJNSF_6TensorESK_SK_EERKSK_lbbbEUlllE0_EEPmJS9_EEE10hipError_tPvRmT3_T4_T5_T6_T7_T9_mT8_P12ihipStream_tbDpT10_ENKUlT_T0_E_clISt17integral_constantIbLb0EES19_IbLb1EEEEDaS15_S16_EUlS15_E_NS1_11comp_targetILNS1_3genE2ELNS1_11target_archE906ELNS1_3gpuE6ELNS1_3repE0EEENS1_30default_config_static_selectorELNS0_4arch9wavefront6targetE0EEEvT1_.uses_flat_scratch, 0
	.set _ZN7rocprim17ROCPRIM_400000_NS6detail17trampoline_kernelINS0_14default_configENS1_25partition_config_selectorILNS1_17partition_subalgoE9EllbEEZZNS1_14partition_implILS5_9ELb0ES3_jPlS8_PNS0_10empty_typeENS0_5tupleIJS8_S9_EEENSB_IJS8_SA_EEENS0_18inequality_wrapperIZN2at6native12_GLOBAL__N_124unique_dim_cuda_templateIhEESt5tupleIJNSF_6TensorESK_SK_EERKSK_lbbbEUlllE0_EEPmJS9_EEE10hipError_tPvRmT3_T4_T5_T6_T7_T9_mT8_P12ihipStream_tbDpT10_ENKUlT_T0_E_clISt17integral_constantIbLb0EES19_IbLb1EEEEDaS15_S16_EUlS15_E_NS1_11comp_targetILNS1_3genE2ELNS1_11target_archE906ELNS1_3gpuE6ELNS1_3repE0EEENS1_30default_config_static_selectorELNS0_4arch9wavefront6targetE0EEEvT1_.has_dyn_sized_stack, 0
	.set _ZN7rocprim17ROCPRIM_400000_NS6detail17trampoline_kernelINS0_14default_configENS1_25partition_config_selectorILNS1_17partition_subalgoE9EllbEEZZNS1_14partition_implILS5_9ELb0ES3_jPlS8_PNS0_10empty_typeENS0_5tupleIJS8_S9_EEENSB_IJS8_SA_EEENS0_18inequality_wrapperIZN2at6native12_GLOBAL__N_124unique_dim_cuda_templateIhEESt5tupleIJNSF_6TensorESK_SK_EERKSK_lbbbEUlllE0_EEPmJS9_EEE10hipError_tPvRmT3_T4_T5_T6_T7_T9_mT8_P12ihipStream_tbDpT10_ENKUlT_T0_E_clISt17integral_constantIbLb0EES19_IbLb1EEEEDaS15_S16_EUlS15_E_NS1_11comp_targetILNS1_3genE2ELNS1_11target_archE906ELNS1_3gpuE6ELNS1_3repE0EEENS1_30default_config_static_selectorELNS0_4arch9wavefront6targetE0EEEvT1_.has_recursion, 0
	.set _ZN7rocprim17ROCPRIM_400000_NS6detail17trampoline_kernelINS0_14default_configENS1_25partition_config_selectorILNS1_17partition_subalgoE9EllbEEZZNS1_14partition_implILS5_9ELb0ES3_jPlS8_PNS0_10empty_typeENS0_5tupleIJS8_S9_EEENSB_IJS8_SA_EEENS0_18inequality_wrapperIZN2at6native12_GLOBAL__N_124unique_dim_cuda_templateIhEESt5tupleIJNSF_6TensorESK_SK_EERKSK_lbbbEUlllE0_EEPmJS9_EEE10hipError_tPvRmT3_T4_T5_T6_T7_T9_mT8_P12ihipStream_tbDpT10_ENKUlT_T0_E_clISt17integral_constantIbLb0EES19_IbLb1EEEEDaS15_S16_EUlS15_E_NS1_11comp_targetILNS1_3genE2ELNS1_11target_archE906ELNS1_3gpuE6ELNS1_3repE0EEENS1_30default_config_static_selectorELNS0_4arch9wavefront6targetE0EEEvT1_.has_indirect_call, 0
	.section	.AMDGPU.csdata,"",@progbits
; Kernel info:
; codeLenInByte = 0
; TotalNumSgprs: 0
; NumVgprs: 0
; ScratchSize: 0
; MemoryBound: 0
; FloatMode: 240
; IeeeMode: 1
; LDSByteSize: 0 bytes/workgroup (compile time only)
; SGPRBlocks: 0
; VGPRBlocks: 0
; NumSGPRsForWavesPerEU: 1
; NumVGPRsForWavesPerEU: 1
; NamedBarCnt: 0
; Occupancy: 16
; WaveLimiterHint : 0
; COMPUTE_PGM_RSRC2:SCRATCH_EN: 0
; COMPUTE_PGM_RSRC2:USER_SGPR: 2
; COMPUTE_PGM_RSRC2:TRAP_HANDLER: 0
; COMPUTE_PGM_RSRC2:TGID_X_EN: 1
; COMPUTE_PGM_RSRC2:TGID_Y_EN: 0
; COMPUTE_PGM_RSRC2:TGID_Z_EN: 0
; COMPUTE_PGM_RSRC2:TIDIG_COMP_CNT: 0
	.section	.text._ZN7rocprim17ROCPRIM_400000_NS6detail17trampoline_kernelINS0_14default_configENS1_25partition_config_selectorILNS1_17partition_subalgoE9EllbEEZZNS1_14partition_implILS5_9ELb0ES3_jPlS8_PNS0_10empty_typeENS0_5tupleIJS8_S9_EEENSB_IJS8_SA_EEENS0_18inequality_wrapperIZN2at6native12_GLOBAL__N_124unique_dim_cuda_templateIhEESt5tupleIJNSF_6TensorESK_SK_EERKSK_lbbbEUlllE0_EEPmJS9_EEE10hipError_tPvRmT3_T4_T5_T6_T7_T9_mT8_P12ihipStream_tbDpT10_ENKUlT_T0_E_clISt17integral_constantIbLb0EES19_IbLb1EEEEDaS15_S16_EUlS15_E_NS1_11comp_targetILNS1_3genE10ELNS1_11target_archE1200ELNS1_3gpuE4ELNS1_3repE0EEENS1_30default_config_static_selectorELNS0_4arch9wavefront6targetE0EEEvT1_,"axG",@progbits,_ZN7rocprim17ROCPRIM_400000_NS6detail17trampoline_kernelINS0_14default_configENS1_25partition_config_selectorILNS1_17partition_subalgoE9EllbEEZZNS1_14partition_implILS5_9ELb0ES3_jPlS8_PNS0_10empty_typeENS0_5tupleIJS8_S9_EEENSB_IJS8_SA_EEENS0_18inequality_wrapperIZN2at6native12_GLOBAL__N_124unique_dim_cuda_templateIhEESt5tupleIJNSF_6TensorESK_SK_EERKSK_lbbbEUlllE0_EEPmJS9_EEE10hipError_tPvRmT3_T4_T5_T6_T7_T9_mT8_P12ihipStream_tbDpT10_ENKUlT_T0_E_clISt17integral_constantIbLb0EES19_IbLb1EEEEDaS15_S16_EUlS15_E_NS1_11comp_targetILNS1_3genE10ELNS1_11target_archE1200ELNS1_3gpuE4ELNS1_3repE0EEENS1_30default_config_static_selectorELNS0_4arch9wavefront6targetE0EEEvT1_,comdat
	.globl	_ZN7rocprim17ROCPRIM_400000_NS6detail17trampoline_kernelINS0_14default_configENS1_25partition_config_selectorILNS1_17partition_subalgoE9EllbEEZZNS1_14partition_implILS5_9ELb0ES3_jPlS8_PNS0_10empty_typeENS0_5tupleIJS8_S9_EEENSB_IJS8_SA_EEENS0_18inequality_wrapperIZN2at6native12_GLOBAL__N_124unique_dim_cuda_templateIhEESt5tupleIJNSF_6TensorESK_SK_EERKSK_lbbbEUlllE0_EEPmJS9_EEE10hipError_tPvRmT3_T4_T5_T6_T7_T9_mT8_P12ihipStream_tbDpT10_ENKUlT_T0_E_clISt17integral_constantIbLb0EES19_IbLb1EEEEDaS15_S16_EUlS15_E_NS1_11comp_targetILNS1_3genE10ELNS1_11target_archE1200ELNS1_3gpuE4ELNS1_3repE0EEENS1_30default_config_static_selectorELNS0_4arch9wavefront6targetE0EEEvT1_ ; -- Begin function _ZN7rocprim17ROCPRIM_400000_NS6detail17trampoline_kernelINS0_14default_configENS1_25partition_config_selectorILNS1_17partition_subalgoE9EllbEEZZNS1_14partition_implILS5_9ELb0ES3_jPlS8_PNS0_10empty_typeENS0_5tupleIJS8_S9_EEENSB_IJS8_SA_EEENS0_18inequality_wrapperIZN2at6native12_GLOBAL__N_124unique_dim_cuda_templateIhEESt5tupleIJNSF_6TensorESK_SK_EERKSK_lbbbEUlllE0_EEPmJS9_EEE10hipError_tPvRmT3_T4_T5_T6_T7_T9_mT8_P12ihipStream_tbDpT10_ENKUlT_T0_E_clISt17integral_constantIbLb0EES19_IbLb1EEEEDaS15_S16_EUlS15_E_NS1_11comp_targetILNS1_3genE10ELNS1_11target_archE1200ELNS1_3gpuE4ELNS1_3repE0EEENS1_30default_config_static_selectorELNS0_4arch9wavefront6targetE0EEEvT1_
	.p2align	8
	.type	_ZN7rocprim17ROCPRIM_400000_NS6detail17trampoline_kernelINS0_14default_configENS1_25partition_config_selectorILNS1_17partition_subalgoE9EllbEEZZNS1_14partition_implILS5_9ELb0ES3_jPlS8_PNS0_10empty_typeENS0_5tupleIJS8_S9_EEENSB_IJS8_SA_EEENS0_18inequality_wrapperIZN2at6native12_GLOBAL__N_124unique_dim_cuda_templateIhEESt5tupleIJNSF_6TensorESK_SK_EERKSK_lbbbEUlllE0_EEPmJS9_EEE10hipError_tPvRmT3_T4_T5_T6_T7_T9_mT8_P12ihipStream_tbDpT10_ENKUlT_T0_E_clISt17integral_constantIbLb0EES19_IbLb1EEEEDaS15_S16_EUlS15_E_NS1_11comp_targetILNS1_3genE10ELNS1_11target_archE1200ELNS1_3gpuE4ELNS1_3repE0EEENS1_30default_config_static_selectorELNS0_4arch9wavefront6targetE0EEEvT1_,@function
_ZN7rocprim17ROCPRIM_400000_NS6detail17trampoline_kernelINS0_14default_configENS1_25partition_config_selectorILNS1_17partition_subalgoE9EllbEEZZNS1_14partition_implILS5_9ELb0ES3_jPlS8_PNS0_10empty_typeENS0_5tupleIJS8_S9_EEENSB_IJS8_SA_EEENS0_18inequality_wrapperIZN2at6native12_GLOBAL__N_124unique_dim_cuda_templateIhEESt5tupleIJNSF_6TensorESK_SK_EERKSK_lbbbEUlllE0_EEPmJS9_EEE10hipError_tPvRmT3_T4_T5_T6_T7_T9_mT8_P12ihipStream_tbDpT10_ENKUlT_T0_E_clISt17integral_constantIbLb0EES19_IbLb1EEEEDaS15_S16_EUlS15_E_NS1_11comp_targetILNS1_3genE10ELNS1_11target_archE1200ELNS1_3gpuE4ELNS1_3repE0EEENS1_30default_config_static_selectorELNS0_4arch9wavefront6targetE0EEEvT1_: ; @_ZN7rocprim17ROCPRIM_400000_NS6detail17trampoline_kernelINS0_14default_configENS1_25partition_config_selectorILNS1_17partition_subalgoE9EllbEEZZNS1_14partition_implILS5_9ELb0ES3_jPlS8_PNS0_10empty_typeENS0_5tupleIJS8_S9_EEENSB_IJS8_SA_EEENS0_18inequality_wrapperIZN2at6native12_GLOBAL__N_124unique_dim_cuda_templateIhEESt5tupleIJNSF_6TensorESK_SK_EERKSK_lbbbEUlllE0_EEPmJS9_EEE10hipError_tPvRmT3_T4_T5_T6_T7_T9_mT8_P12ihipStream_tbDpT10_ENKUlT_T0_E_clISt17integral_constantIbLb0EES19_IbLb1EEEEDaS15_S16_EUlS15_E_NS1_11comp_targetILNS1_3genE10ELNS1_11target_archE1200ELNS1_3gpuE4ELNS1_3repE0EEENS1_30default_config_static_selectorELNS0_4arch9wavefront6targetE0EEEvT1_
; %bb.0:
	.section	.rodata,"a",@progbits
	.p2align	6, 0x0
	.amdhsa_kernel _ZN7rocprim17ROCPRIM_400000_NS6detail17trampoline_kernelINS0_14default_configENS1_25partition_config_selectorILNS1_17partition_subalgoE9EllbEEZZNS1_14partition_implILS5_9ELb0ES3_jPlS8_PNS0_10empty_typeENS0_5tupleIJS8_S9_EEENSB_IJS8_SA_EEENS0_18inequality_wrapperIZN2at6native12_GLOBAL__N_124unique_dim_cuda_templateIhEESt5tupleIJNSF_6TensorESK_SK_EERKSK_lbbbEUlllE0_EEPmJS9_EEE10hipError_tPvRmT3_T4_T5_T6_T7_T9_mT8_P12ihipStream_tbDpT10_ENKUlT_T0_E_clISt17integral_constantIbLb0EES19_IbLb1EEEEDaS15_S16_EUlS15_E_NS1_11comp_targetILNS1_3genE10ELNS1_11target_archE1200ELNS1_3gpuE4ELNS1_3repE0EEENS1_30default_config_static_selectorELNS0_4arch9wavefront6targetE0EEEvT1_
		.amdhsa_group_segment_fixed_size 0
		.amdhsa_private_segment_fixed_size 0
		.amdhsa_kernarg_size 136
		.amdhsa_user_sgpr_count 2
		.amdhsa_user_sgpr_dispatch_ptr 0
		.amdhsa_user_sgpr_queue_ptr 0
		.amdhsa_user_sgpr_kernarg_segment_ptr 1
		.amdhsa_user_sgpr_dispatch_id 0
		.amdhsa_user_sgpr_kernarg_preload_length 0
		.amdhsa_user_sgpr_kernarg_preload_offset 0
		.amdhsa_user_sgpr_private_segment_size 0
		.amdhsa_wavefront_size32 1
		.amdhsa_uses_dynamic_stack 0
		.amdhsa_enable_private_segment 0
		.amdhsa_system_sgpr_workgroup_id_x 1
		.amdhsa_system_sgpr_workgroup_id_y 0
		.amdhsa_system_sgpr_workgroup_id_z 0
		.amdhsa_system_sgpr_workgroup_info 0
		.amdhsa_system_vgpr_workitem_id 0
		.amdhsa_next_free_vgpr 1
		.amdhsa_next_free_sgpr 1
		.amdhsa_named_barrier_count 0
		.amdhsa_reserve_vcc 0
		.amdhsa_float_round_mode_32 0
		.amdhsa_float_round_mode_16_64 0
		.amdhsa_float_denorm_mode_32 3
		.amdhsa_float_denorm_mode_16_64 3
		.amdhsa_fp16_overflow 0
		.amdhsa_memory_ordered 1
		.amdhsa_forward_progress 1
		.amdhsa_inst_pref_size 0
		.amdhsa_round_robin_scheduling 0
		.amdhsa_exception_fp_ieee_invalid_op 0
		.amdhsa_exception_fp_denorm_src 0
		.amdhsa_exception_fp_ieee_div_zero 0
		.amdhsa_exception_fp_ieee_overflow 0
		.amdhsa_exception_fp_ieee_underflow 0
		.amdhsa_exception_fp_ieee_inexact 0
		.amdhsa_exception_int_div_zero 0
	.end_amdhsa_kernel
	.section	.text._ZN7rocprim17ROCPRIM_400000_NS6detail17trampoline_kernelINS0_14default_configENS1_25partition_config_selectorILNS1_17partition_subalgoE9EllbEEZZNS1_14partition_implILS5_9ELb0ES3_jPlS8_PNS0_10empty_typeENS0_5tupleIJS8_S9_EEENSB_IJS8_SA_EEENS0_18inequality_wrapperIZN2at6native12_GLOBAL__N_124unique_dim_cuda_templateIhEESt5tupleIJNSF_6TensorESK_SK_EERKSK_lbbbEUlllE0_EEPmJS9_EEE10hipError_tPvRmT3_T4_T5_T6_T7_T9_mT8_P12ihipStream_tbDpT10_ENKUlT_T0_E_clISt17integral_constantIbLb0EES19_IbLb1EEEEDaS15_S16_EUlS15_E_NS1_11comp_targetILNS1_3genE10ELNS1_11target_archE1200ELNS1_3gpuE4ELNS1_3repE0EEENS1_30default_config_static_selectorELNS0_4arch9wavefront6targetE0EEEvT1_,"axG",@progbits,_ZN7rocprim17ROCPRIM_400000_NS6detail17trampoline_kernelINS0_14default_configENS1_25partition_config_selectorILNS1_17partition_subalgoE9EllbEEZZNS1_14partition_implILS5_9ELb0ES3_jPlS8_PNS0_10empty_typeENS0_5tupleIJS8_S9_EEENSB_IJS8_SA_EEENS0_18inequality_wrapperIZN2at6native12_GLOBAL__N_124unique_dim_cuda_templateIhEESt5tupleIJNSF_6TensorESK_SK_EERKSK_lbbbEUlllE0_EEPmJS9_EEE10hipError_tPvRmT3_T4_T5_T6_T7_T9_mT8_P12ihipStream_tbDpT10_ENKUlT_T0_E_clISt17integral_constantIbLb0EES19_IbLb1EEEEDaS15_S16_EUlS15_E_NS1_11comp_targetILNS1_3genE10ELNS1_11target_archE1200ELNS1_3gpuE4ELNS1_3repE0EEENS1_30default_config_static_selectorELNS0_4arch9wavefront6targetE0EEEvT1_,comdat
.Lfunc_end233:
	.size	_ZN7rocprim17ROCPRIM_400000_NS6detail17trampoline_kernelINS0_14default_configENS1_25partition_config_selectorILNS1_17partition_subalgoE9EllbEEZZNS1_14partition_implILS5_9ELb0ES3_jPlS8_PNS0_10empty_typeENS0_5tupleIJS8_S9_EEENSB_IJS8_SA_EEENS0_18inequality_wrapperIZN2at6native12_GLOBAL__N_124unique_dim_cuda_templateIhEESt5tupleIJNSF_6TensorESK_SK_EERKSK_lbbbEUlllE0_EEPmJS9_EEE10hipError_tPvRmT3_T4_T5_T6_T7_T9_mT8_P12ihipStream_tbDpT10_ENKUlT_T0_E_clISt17integral_constantIbLb0EES19_IbLb1EEEEDaS15_S16_EUlS15_E_NS1_11comp_targetILNS1_3genE10ELNS1_11target_archE1200ELNS1_3gpuE4ELNS1_3repE0EEENS1_30default_config_static_selectorELNS0_4arch9wavefront6targetE0EEEvT1_, .Lfunc_end233-_ZN7rocprim17ROCPRIM_400000_NS6detail17trampoline_kernelINS0_14default_configENS1_25partition_config_selectorILNS1_17partition_subalgoE9EllbEEZZNS1_14partition_implILS5_9ELb0ES3_jPlS8_PNS0_10empty_typeENS0_5tupleIJS8_S9_EEENSB_IJS8_SA_EEENS0_18inequality_wrapperIZN2at6native12_GLOBAL__N_124unique_dim_cuda_templateIhEESt5tupleIJNSF_6TensorESK_SK_EERKSK_lbbbEUlllE0_EEPmJS9_EEE10hipError_tPvRmT3_T4_T5_T6_T7_T9_mT8_P12ihipStream_tbDpT10_ENKUlT_T0_E_clISt17integral_constantIbLb0EES19_IbLb1EEEEDaS15_S16_EUlS15_E_NS1_11comp_targetILNS1_3genE10ELNS1_11target_archE1200ELNS1_3gpuE4ELNS1_3repE0EEENS1_30default_config_static_selectorELNS0_4arch9wavefront6targetE0EEEvT1_
                                        ; -- End function
	.set _ZN7rocprim17ROCPRIM_400000_NS6detail17trampoline_kernelINS0_14default_configENS1_25partition_config_selectorILNS1_17partition_subalgoE9EllbEEZZNS1_14partition_implILS5_9ELb0ES3_jPlS8_PNS0_10empty_typeENS0_5tupleIJS8_S9_EEENSB_IJS8_SA_EEENS0_18inequality_wrapperIZN2at6native12_GLOBAL__N_124unique_dim_cuda_templateIhEESt5tupleIJNSF_6TensorESK_SK_EERKSK_lbbbEUlllE0_EEPmJS9_EEE10hipError_tPvRmT3_T4_T5_T6_T7_T9_mT8_P12ihipStream_tbDpT10_ENKUlT_T0_E_clISt17integral_constantIbLb0EES19_IbLb1EEEEDaS15_S16_EUlS15_E_NS1_11comp_targetILNS1_3genE10ELNS1_11target_archE1200ELNS1_3gpuE4ELNS1_3repE0EEENS1_30default_config_static_selectorELNS0_4arch9wavefront6targetE0EEEvT1_.num_vgpr, 0
	.set _ZN7rocprim17ROCPRIM_400000_NS6detail17trampoline_kernelINS0_14default_configENS1_25partition_config_selectorILNS1_17partition_subalgoE9EllbEEZZNS1_14partition_implILS5_9ELb0ES3_jPlS8_PNS0_10empty_typeENS0_5tupleIJS8_S9_EEENSB_IJS8_SA_EEENS0_18inequality_wrapperIZN2at6native12_GLOBAL__N_124unique_dim_cuda_templateIhEESt5tupleIJNSF_6TensorESK_SK_EERKSK_lbbbEUlllE0_EEPmJS9_EEE10hipError_tPvRmT3_T4_T5_T6_T7_T9_mT8_P12ihipStream_tbDpT10_ENKUlT_T0_E_clISt17integral_constantIbLb0EES19_IbLb1EEEEDaS15_S16_EUlS15_E_NS1_11comp_targetILNS1_3genE10ELNS1_11target_archE1200ELNS1_3gpuE4ELNS1_3repE0EEENS1_30default_config_static_selectorELNS0_4arch9wavefront6targetE0EEEvT1_.num_agpr, 0
	.set _ZN7rocprim17ROCPRIM_400000_NS6detail17trampoline_kernelINS0_14default_configENS1_25partition_config_selectorILNS1_17partition_subalgoE9EllbEEZZNS1_14partition_implILS5_9ELb0ES3_jPlS8_PNS0_10empty_typeENS0_5tupleIJS8_S9_EEENSB_IJS8_SA_EEENS0_18inequality_wrapperIZN2at6native12_GLOBAL__N_124unique_dim_cuda_templateIhEESt5tupleIJNSF_6TensorESK_SK_EERKSK_lbbbEUlllE0_EEPmJS9_EEE10hipError_tPvRmT3_T4_T5_T6_T7_T9_mT8_P12ihipStream_tbDpT10_ENKUlT_T0_E_clISt17integral_constantIbLb0EES19_IbLb1EEEEDaS15_S16_EUlS15_E_NS1_11comp_targetILNS1_3genE10ELNS1_11target_archE1200ELNS1_3gpuE4ELNS1_3repE0EEENS1_30default_config_static_selectorELNS0_4arch9wavefront6targetE0EEEvT1_.numbered_sgpr, 0
	.set _ZN7rocprim17ROCPRIM_400000_NS6detail17trampoline_kernelINS0_14default_configENS1_25partition_config_selectorILNS1_17partition_subalgoE9EllbEEZZNS1_14partition_implILS5_9ELb0ES3_jPlS8_PNS0_10empty_typeENS0_5tupleIJS8_S9_EEENSB_IJS8_SA_EEENS0_18inequality_wrapperIZN2at6native12_GLOBAL__N_124unique_dim_cuda_templateIhEESt5tupleIJNSF_6TensorESK_SK_EERKSK_lbbbEUlllE0_EEPmJS9_EEE10hipError_tPvRmT3_T4_T5_T6_T7_T9_mT8_P12ihipStream_tbDpT10_ENKUlT_T0_E_clISt17integral_constantIbLb0EES19_IbLb1EEEEDaS15_S16_EUlS15_E_NS1_11comp_targetILNS1_3genE10ELNS1_11target_archE1200ELNS1_3gpuE4ELNS1_3repE0EEENS1_30default_config_static_selectorELNS0_4arch9wavefront6targetE0EEEvT1_.num_named_barrier, 0
	.set _ZN7rocprim17ROCPRIM_400000_NS6detail17trampoline_kernelINS0_14default_configENS1_25partition_config_selectorILNS1_17partition_subalgoE9EllbEEZZNS1_14partition_implILS5_9ELb0ES3_jPlS8_PNS0_10empty_typeENS0_5tupleIJS8_S9_EEENSB_IJS8_SA_EEENS0_18inequality_wrapperIZN2at6native12_GLOBAL__N_124unique_dim_cuda_templateIhEESt5tupleIJNSF_6TensorESK_SK_EERKSK_lbbbEUlllE0_EEPmJS9_EEE10hipError_tPvRmT3_T4_T5_T6_T7_T9_mT8_P12ihipStream_tbDpT10_ENKUlT_T0_E_clISt17integral_constantIbLb0EES19_IbLb1EEEEDaS15_S16_EUlS15_E_NS1_11comp_targetILNS1_3genE10ELNS1_11target_archE1200ELNS1_3gpuE4ELNS1_3repE0EEENS1_30default_config_static_selectorELNS0_4arch9wavefront6targetE0EEEvT1_.private_seg_size, 0
	.set _ZN7rocprim17ROCPRIM_400000_NS6detail17trampoline_kernelINS0_14default_configENS1_25partition_config_selectorILNS1_17partition_subalgoE9EllbEEZZNS1_14partition_implILS5_9ELb0ES3_jPlS8_PNS0_10empty_typeENS0_5tupleIJS8_S9_EEENSB_IJS8_SA_EEENS0_18inequality_wrapperIZN2at6native12_GLOBAL__N_124unique_dim_cuda_templateIhEESt5tupleIJNSF_6TensorESK_SK_EERKSK_lbbbEUlllE0_EEPmJS9_EEE10hipError_tPvRmT3_T4_T5_T6_T7_T9_mT8_P12ihipStream_tbDpT10_ENKUlT_T0_E_clISt17integral_constantIbLb0EES19_IbLb1EEEEDaS15_S16_EUlS15_E_NS1_11comp_targetILNS1_3genE10ELNS1_11target_archE1200ELNS1_3gpuE4ELNS1_3repE0EEENS1_30default_config_static_selectorELNS0_4arch9wavefront6targetE0EEEvT1_.uses_vcc, 0
	.set _ZN7rocprim17ROCPRIM_400000_NS6detail17trampoline_kernelINS0_14default_configENS1_25partition_config_selectorILNS1_17partition_subalgoE9EllbEEZZNS1_14partition_implILS5_9ELb0ES3_jPlS8_PNS0_10empty_typeENS0_5tupleIJS8_S9_EEENSB_IJS8_SA_EEENS0_18inequality_wrapperIZN2at6native12_GLOBAL__N_124unique_dim_cuda_templateIhEESt5tupleIJNSF_6TensorESK_SK_EERKSK_lbbbEUlllE0_EEPmJS9_EEE10hipError_tPvRmT3_T4_T5_T6_T7_T9_mT8_P12ihipStream_tbDpT10_ENKUlT_T0_E_clISt17integral_constantIbLb0EES19_IbLb1EEEEDaS15_S16_EUlS15_E_NS1_11comp_targetILNS1_3genE10ELNS1_11target_archE1200ELNS1_3gpuE4ELNS1_3repE0EEENS1_30default_config_static_selectorELNS0_4arch9wavefront6targetE0EEEvT1_.uses_flat_scratch, 0
	.set _ZN7rocprim17ROCPRIM_400000_NS6detail17trampoline_kernelINS0_14default_configENS1_25partition_config_selectorILNS1_17partition_subalgoE9EllbEEZZNS1_14partition_implILS5_9ELb0ES3_jPlS8_PNS0_10empty_typeENS0_5tupleIJS8_S9_EEENSB_IJS8_SA_EEENS0_18inequality_wrapperIZN2at6native12_GLOBAL__N_124unique_dim_cuda_templateIhEESt5tupleIJNSF_6TensorESK_SK_EERKSK_lbbbEUlllE0_EEPmJS9_EEE10hipError_tPvRmT3_T4_T5_T6_T7_T9_mT8_P12ihipStream_tbDpT10_ENKUlT_T0_E_clISt17integral_constantIbLb0EES19_IbLb1EEEEDaS15_S16_EUlS15_E_NS1_11comp_targetILNS1_3genE10ELNS1_11target_archE1200ELNS1_3gpuE4ELNS1_3repE0EEENS1_30default_config_static_selectorELNS0_4arch9wavefront6targetE0EEEvT1_.has_dyn_sized_stack, 0
	.set _ZN7rocprim17ROCPRIM_400000_NS6detail17trampoline_kernelINS0_14default_configENS1_25partition_config_selectorILNS1_17partition_subalgoE9EllbEEZZNS1_14partition_implILS5_9ELb0ES3_jPlS8_PNS0_10empty_typeENS0_5tupleIJS8_S9_EEENSB_IJS8_SA_EEENS0_18inequality_wrapperIZN2at6native12_GLOBAL__N_124unique_dim_cuda_templateIhEESt5tupleIJNSF_6TensorESK_SK_EERKSK_lbbbEUlllE0_EEPmJS9_EEE10hipError_tPvRmT3_T4_T5_T6_T7_T9_mT8_P12ihipStream_tbDpT10_ENKUlT_T0_E_clISt17integral_constantIbLb0EES19_IbLb1EEEEDaS15_S16_EUlS15_E_NS1_11comp_targetILNS1_3genE10ELNS1_11target_archE1200ELNS1_3gpuE4ELNS1_3repE0EEENS1_30default_config_static_selectorELNS0_4arch9wavefront6targetE0EEEvT1_.has_recursion, 0
	.set _ZN7rocprim17ROCPRIM_400000_NS6detail17trampoline_kernelINS0_14default_configENS1_25partition_config_selectorILNS1_17partition_subalgoE9EllbEEZZNS1_14partition_implILS5_9ELb0ES3_jPlS8_PNS0_10empty_typeENS0_5tupleIJS8_S9_EEENSB_IJS8_SA_EEENS0_18inequality_wrapperIZN2at6native12_GLOBAL__N_124unique_dim_cuda_templateIhEESt5tupleIJNSF_6TensorESK_SK_EERKSK_lbbbEUlllE0_EEPmJS9_EEE10hipError_tPvRmT3_T4_T5_T6_T7_T9_mT8_P12ihipStream_tbDpT10_ENKUlT_T0_E_clISt17integral_constantIbLb0EES19_IbLb1EEEEDaS15_S16_EUlS15_E_NS1_11comp_targetILNS1_3genE10ELNS1_11target_archE1200ELNS1_3gpuE4ELNS1_3repE0EEENS1_30default_config_static_selectorELNS0_4arch9wavefront6targetE0EEEvT1_.has_indirect_call, 0
	.section	.AMDGPU.csdata,"",@progbits
; Kernel info:
; codeLenInByte = 0
; TotalNumSgprs: 0
; NumVgprs: 0
; ScratchSize: 0
; MemoryBound: 0
; FloatMode: 240
; IeeeMode: 1
; LDSByteSize: 0 bytes/workgroup (compile time only)
; SGPRBlocks: 0
; VGPRBlocks: 0
; NumSGPRsForWavesPerEU: 1
; NumVGPRsForWavesPerEU: 1
; NamedBarCnt: 0
; Occupancy: 16
; WaveLimiterHint : 0
; COMPUTE_PGM_RSRC2:SCRATCH_EN: 0
; COMPUTE_PGM_RSRC2:USER_SGPR: 2
; COMPUTE_PGM_RSRC2:TRAP_HANDLER: 0
; COMPUTE_PGM_RSRC2:TGID_X_EN: 1
; COMPUTE_PGM_RSRC2:TGID_Y_EN: 0
; COMPUTE_PGM_RSRC2:TGID_Z_EN: 0
; COMPUTE_PGM_RSRC2:TIDIG_COMP_CNT: 0
	.section	.text._ZN7rocprim17ROCPRIM_400000_NS6detail17trampoline_kernelINS0_14default_configENS1_25partition_config_selectorILNS1_17partition_subalgoE9EllbEEZZNS1_14partition_implILS5_9ELb0ES3_jPlS8_PNS0_10empty_typeENS0_5tupleIJS8_S9_EEENSB_IJS8_SA_EEENS0_18inequality_wrapperIZN2at6native12_GLOBAL__N_124unique_dim_cuda_templateIhEESt5tupleIJNSF_6TensorESK_SK_EERKSK_lbbbEUlllE0_EEPmJS9_EEE10hipError_tPvRmT3_T4_T5_T6_T7_T9_mT8_P12ihipStream_tbDpT10_ENKUlT_T0_E_clISt17integral_constantIbLb0EES19_IbLb1EEEEDaS15_S16_EUlS15_E_NS1_11comp_targetILNS1_3genE9ELNS1_11target_archE1100ELNS1_3gpuE3ELNS1_3repE0EEENS1_30default_config_static_selectorELNS0_4arch9wavefront6targetE0EEEvT1_,"axG",@progbits,_ZN7rocprim17ROCPRIM_400000_NS6detail17trampoline_kernelINS0_14default_configENS1_25partition_config_selectorILNS1_17partition_subalgoE9EllbEEZZNS1_14partition_implILS5_9ELb0ES3_jPlS8_PNS0_10empty_typeENS0_5tupleIJS8_S9_EEENSB_IJS8_SA_EEENS0_18inequality_wrapperIZN2at6native12_GLOBAL__N_124unique_dim_cuda_templateIhEESt5tupleIJNSF_6TensorESK_SK_EERKSK_lbbbEUlllE0_EEPmJS9_EEE10hipError_tPvRmT3_T4_T5_T6_T7_T9_mT8_P12ihipStream_tbDpT10_ENKUlT_T0_E_clISt17integral_constantIbLb0EES19_IbLb1EEEEDaS15_S16_EUlS15_E_NS1_11comp_targetILNS1_3genE9ELNS1_11target_archE1100ELNS1_3gpuE3ELNS1_3repE0EEENS1_30default_config_static_selectorELNS0_4arch9wavefront6targetE0EEEvT1_,comdat
	.globl	_ZN7rocprim17ROCPRIM_400000_NS6detail17trampoline_kernelINS0_14default_configENS1_25partition_config_selectorILNS1_17partition_subalgoE9EllbEEZZNS1_14partition_implILS5_9ELb0ES3_jPlS8_PNS0_10empty_typeENS0_5tupleIJS8_S9_EEENSB_IJS8_SA_EEENS0_18inequality_wrapperIZN2at6native12_GLOBAL__N_124unique_dim_cuda_templateIhEESt5tupleIJNSF_6TensorESK_SK_EERKSK_lbbbEUlllE0_EEPmJS9_EEE10hipError_tPvRmT3_T4_T5_T6_T7_T9_mT8_P12ihipStream_tbDpT10_ENKUlT_T0_E_clISt17integral_constantIbLb0EES19_IbLb1EEEEDaS15_S16_EUlS15_E_NS1_11comp_targetILNS1_3genE9ELNS1_11target_archE1100ELNS1_3gpuE3ELNS1_3repE0EEENS1_30default_config_static_selectorELNS0_4arch9wavefront6targetE0EEEvT1_ ; -- Begin function _ZN7rocprim17ROCPRIM_400000_NS6detail17trampoline_kernelINS0_14default_configENS1_25partition_config_selectorILNS1_17partition_subalgoE9EllbEEZZNS1_14partition_implILS5_9ELb0ES3_jPlS8_PNS0_10empty_typeENS0_5tupleIJS8_S9_EEENSB_IJS8_SA_EEENS0_18inequality_wrapperIZN2at6native12_GLOBAL__N_124unique_dim_cuda_templateIhEESt5tupleIJNSF_6TensorESK_SK_EERKSK_lbbbEUlllE0_EEPmJS9_EEE10hipError_tPvRmT3_T4_T5_T6_T7_T9_mT8_P12ihipStream_tbDpT10_ENKUlT_T0_E_clISt17integral_constantIbLb0EES19_IbLb1EEEEDaS15_S16_EUlS15_E_NS1_11comp_targetILNS1_3genE9ELNS1_11target_archE1100ELNS1_3gpuE3ELNS1_3repE0EEENS1_30default_config_static_selectorELNS0_4arch9wavefront6targetE0EEEvT1_
	.p2align	8
	.type	_ZN7rocprim17ROCPRIM_400000_NS6detail17trampoline_kernelINS0_14default_configENS1_25partition_config_selectorILNS1_17partition_subalgoE9EllbEEZZNS1_14partition_implILS5_9ELb0ES3_jPlS8_PNS0_10empty_typeENS0_5tupleIJS8_S9_EEENSB_IJS8_SA_EEENS0_18inequality_wrapperIZN2at6native12_GLOBAL__N_124unique_dim_cuda_templateIhEESt5tupleIJNSF_6TensorESK_SK_EERKSK_lbbbEUlllE0_EEPmJS9_EEE10hipError_tPvRmT3_T4_T5_T6_T7_T9_mT8_P12ihipStream_tbDpT10_ENKUlT_T0_E_clISt17integral_constantIbLb0EES19_IbLb1EEEEDaS15_S16_EUlS15_E_NS1_11comp_targetILNS1_3genE9ELNS1_11target_archE1100ELNS1_3gpuE3ELNS1_3repE0EEENS1_30default_config_static_selectorELNS0_4arch9wavefront6targetE0EEEvT1_,@function
_ZN7rocprim17ROCPRIM_400000_NS6detail17trampoline_kernelINS0_14default_configENS1_25partition_config_selectorILNS1_17partition_subalgoE9EllbEEZZNS1_14partition_implILS5_9ELb0ES3_jPlS8_PNS0_10empty_typeENS0_5tupleIJS8_S9_EEENSB_IJS8_SA_EEENS0_18inequality_wrapperIZN2at6native12_GLOBAL__N_124unique_dim_cuda_templateIhEESt5tupleIJNSF_6TensorESK_SK_EERKSK_lbbbEUlllE0_EEPmJS9_EEE10hipError_tPvRmT3_T4_T5_T6_T7_T9_mT8_P12ihipStream_tbDpT10_ENKUlT_T0_E_clISt17integral_constantIbLb0EES19_IbLb1EEEEDaS15_S16_EUlS15_E_NS1_11comp_targetILNS1_3genE9ELNS1_11target_archE1100ELNS1_3gpuE3ELNS1_3repE0EEENS1_30default_config_static_selectorELNS0_4arch9wavefront6targetE0EEEvT1_: ; @_ZN7rocprim17ROCPRIM_400000_NS6detail17trampoline_kernelINS0_14default_configENS1_25partition_config_selectorILNS1_17partition_subalgoE9EllbEEZZNS1_14partition_implILS5_9ELb0ES3_jPlS8_PNS0_10empty_typeENS0_5tupleIJS8_S9_EEENSB_IJS8_SA_EEENS0_18inequality_wrapperIZN2at6native12_GLOBAL__N_124unique_dim_cuda_templateIhEESt5tupleIJNSF_6TensorESK_SK_EERKSK_lbbbEUlllE0_EEPmJS9_EEE10hipError_tPvRmT3_T4_T5_T6_T7_T9_mT8_P12ihipStream_tbDpT10_ENKUlT_T0_E_clISt17integral_constantIbLb0EES19_IbLb1EEEEDaS15_S16_EUlS15_E_NS1_11comp_targetILNS1_3genE9ELNS1_11target_archE1100ELNS1_3gpuE3ELNS1_3repE0EEENS1_30default_config_static_selectorELNS0_4arch9wavefront6targetE0EEEvT1_
; %bb.0:
	.section	.rodata,"a",@progbits
	.p2align	6, 0x0
	.amdhsa_kernel _ZN7rocprim17ROCPRIM_400000_NS6detail17trampoline_kernelINS0_14default_configENS1_25partition_config_selectorILNS1_17partition_subalgoE9EllbEEZZNS1_14partition_implILS5_9ELb0ES3_jPlS8_PNS0_10empty_typeENS0_5tupleIJS8_S9_EEENSB_IJS8_SA_EEENS0_18inequality_wrapperIZN2at6native12_GLOBAL__N_124unique_dim_cuda_templateIhEESt5tupleIJNSF_6TensorESK_SK_EERKSK_lbbbEUlllE0_EEPmJS9_EEE10hipError_tPvRmT3_T4_T5_T6_T7_T9_mT8_P12ihipStream_tbDpT10_ENKUlT_T0_E_clISt17integral_constantIbLb0EES19_IbLb1EEEEDaS15_S16_EUlS15_E_NS1_11comp_targetILNS1_3genE9ELNS1_11target_archE1100ELNS1_3gpuE3ELNS1_3repE0EEENS1_30default_config_static_selectorELNS0_4arch9wavefront6targetE0EEEvT1_
		.amdhsa_group_segment_fixed_size 0
		.amdhsa_private_segment_fixed_size 0
		.amdhsa_kernarg_size 136
		.amdhsa_user_sgpr_count 2
		.amdhsa_user_sgpr_dispatch_ptr 0
		.amdhsa_user_sgpr_queue_ptr 0
		.amdhsa_user_sgpr_kernarg_segment_ptr 1
		.amdhsa_user_sgpr_dispatch_id 0
		.amdhsa_user_sgpr_kernarg_preload_length 0
		.amdhsa_user_sgpr_kernarg_preload_offset 0
		.amdhsa_user_sgpr_private_segment_size 0
		.amdhsa_wavefront_size32 1
		.amdhsa_uses_dynamic_stack 0
		.amdhsa_enable_private_segment 0
		.amdhsa_system_sgpr_workgroup_id_x 1
		.amdhsa_system_sgpr_workgroup_id_y 0
		.amdhsa_system_sgpr_workgroup_id_z 0
		.amdhsa_system_sgpr_workgroup_info 0
		.amdhsa_system_vgpr_workitem_id 0
		.amdhsa_next_free_vgpr 1
		.amdhsa_next_free_sgpr 1
		.amdhsa_named_barrier_count 0
		.amdhsa_reserve_vcc 0
		.amdhsa_float_round_mode_32 0
		.amdhsa_float_round_mode_16_64 0
		.amdhsa_float_denorm_mode_32 3
		.amdhsa_float_denorm_mode_16_64 3
		.amdhsa_fp16_overflow 0
		.amdhsa_memory_ordered 1
		.amdhsa_forward_progress 1
		.amdhsa_inst_pref_size 0
		.amdhsa_round_robin_scheduling 0
		.amdhsa_exception_fp_ieee_invalid_op 0
		.amdhsa_exception_fp_denorm_src 0
		.amdhsa_exception_fp_ieee_div_zero 0
		.amdhsa_exception_fp_ieee_overflow 0
		.amdhsa_exception_fp_ieee_underflow 0
		.amdhsa_exception_fp_ieee_inexact 0
		.amdhsa_exception_int_div_zero 0
	.end_amdhsa_kernel
	.section	.text._ZN7rocprim17ROCPRIM_400000_NS6detail17trampoline_kernelINS0_14default_configENS1_25partition_config_selectorILNS1_17partition_subalgoE9EllbEEZZNS1_14partition_implILS5_9ELb0ES3_jPlS8_PNS0_10empty_typeENS0_5tupleIJS8_S9_EEENSB_IJS8_SA_EEENS0_18inequality_wrapperIZN2at6native12_GLOBAL__N_124unique_dim_cuda_templateIhEESt5tupleIJNSF_6TensorESK_SK_EERKSK_lbbbEUlllE0_EEPmJS9_EEE10hipError_tPvRmT3_T4_T5_T6_T7_T9_mT8_P12ihipStream_tbDpT10_ENKUlT_T0_E_clISt17integral_constantIbLb0EES19_IbLb1EEEEDaS15_S16_EUlS15_E_NS1_11comp_targetILNS1_3genE9ELNS1_11target_archE1100ELNS1_3gpuE3ELNS1_3repE0EEENS1_30default_config_static_selectorELNS0_4arch9wavefront6targetE0EEEvT1_,"axG",@progbits,_ZN7rocprim17ROCPRIM_400000_NS6detail17trampoline_kernelINS0_14default_configENS1_25partition_config_selectorILNS1_17partition_subalgoE9EllbEEZZNS1_14partition_implILS5_9ELb0ES3_jPlS8_PNS0_10empty_typeENS0_5tupleIJS8_S9_EEENSB_IJS8_SA_EEENS0_18inequality_wrapperIZN2at6native12_GLOBAL__N_124unique_dim_cuda_templateIhEESt5tupleIJNSF_6TensorESK_SK_EERKSK_lbbbEUlllE0_EEPmJS9_EEE10hipError_tPvRmT3_T4_T5_T6_T7_T9_mT8_P12ihipStream_tbDpT10_ENKUlT_T0_E_clISt17integral_constantIbLb0EES19_IbLb1EEEEDaS15_S16_EUlS15_E_NS1_11comp_targetILNS1_3genE9ELNS1_11target_archE1100ELNS1_3gpuE3ELNS1_3repE0EEENS1_30default_config_static_selectorELNS0_4arch9wavefront6targetE0EEEvT1_,comdat
.Lfunc_end234:
	.size	_ZN7rocprim17ROCPRIM_400000_NS6detail17trampoline_kernelINS0_14default_configENS1_25partition_config_selectorILNS1_17partition_subalgoE9EllbEEZZNS1_14partition_implILS5_9ELb0ES3_jPlS8_PNS0_10empty_typeENS0_5tupleIJS8_S9_EEENSB_IJS8_SA_EEENS0_18inequality_wrapperIZN2at6native12_GLOBAL__N_124unique_dim_cuda_templateIhEESt5tupleIJNSF_6TensorESK_SK_EERKSK_lbbbEUlllE0_EEPmJS9_EEE10hipError_tPvRmT3_T4_T5_T6_T7_T9_mT8_P12ihipStream_tbDpT10_ENKUlT_T0_E_clISt17integral_constantIbLb0EES19_IbLb1EEEEDaS15_S16_EUlS15_E_NS1_11comp_targetILNS1_3genE9ELNS1_11target_archE1100ELNS1_3gpuE3ELNS1_3repE0EEENS1_30default_config_static_selectorELNS0_4arch9wavefront6targetE0EEEvT1_, .Lfunc_end234-_ZN7rocprim17ROCPRIM_400000_NS6detail17trampoline_kernelINS0_14default_configENS1_25partition_config_selectorILNS1_17partition_subalgoE9EllbEEZZNS1_14partition_implILS5_9ELb0ES3_jPlS8_PNS0_10empty_typeENS0_5tupleIJS8_S9_EEENSB_IJS8_SA_EEENS0_18inequality_wrapperIZN2at6native12_GLOBAL__N_124unique_dim_cuda_templateIhEESt5tupleIJNSF_6TensorESK_SK_EERKSK_lbbbEUlllE0_EEPmJS9_EEE10hipError_tPvRmT3_T4_T5_T6_T7_T9_mT8_P12ihipStream_tbDpT10_ENKUlT_T0_E_clISt17integral_constantIbLb0EES19_IbLb1EEEEDaS15_S16_EUlS15_E_NS1_11comp_targetILNS1_3genE9ELNS1_11target_archE1100ELNS1_3gpuE3ELNS1_3repE0EEENS1_30default_config_static_selectorELNS0_4arch9wavefront6targetE0EEEvT1_
                                        ; -- End function
	.set _ZN7rocprim17ROCPRIM_400000_NS6detail17trampoline_kernelINS0_14default_configENS1_25partition_config_selectorILNS1_17partition_subalgoE9EllbEEZZNS1_14partition_implILS5_9ELb0ES3_jPlS8_PNS0_10empty_typeENS0_5tupleIJS8_S9_EEENSB_IJS8_SA_EEENS0_18inequality_wrapperIZN2at6native12_GLOBAL__N_124unique_dim_cuda_templateIhEESt5tupleIJNSF_6TensorESK_SK_EERKSK_lbbbEUlllE0_EEPmJS9_EEE10hipError_tPvRmT3_T4_T5_T6_T7_T9_mT8_P12ihipStream_tbDpT10_ENKUlT_T0_E_clISt17integral_constantIbLb0EES19_IbLb1EEEEDaS15_S16_EUlS15_E_NS1_11comp_targetILNS1_3genE9ELNS1_11target_archE1100ELNS1_3gpuE3ELNS1_3repE0EEENS1_30default_config_static_selectorELNS0_4arch9wavefront6targetE0EEEvT1_.num_vgpr, 0
	.set _ZN7rocprim17ROCPRIM_400000_NS6detail17trampoline_kernelINS0_14default_configENS1_25partition_config_selectorILNS1_17partition_subalgoE9EllbEEZZNS1_14partition_implILS5_9ELb0ES3_jPlS8_PNS0_10empty_typeENS0_5tupleIJS8_S9_EEENSB_IJS8_SA_EEENS0_18inequality_wrapperIZN2at6native12_GLOBAL__N_124unique_dim_cuda_templateIhEESt5tupleIJNSF_6TensorESK_SK_EERKSK_lbbbEUlllE0_EEPmJS9_EEE10hipError_tPvRmT3_T4_T5_T6_T7_T9_mT8_P12ihipStream_tbDpT10_ENKUlT_T0_E_clISt17integral_constantIbLb0EES19_IbLb1EEEEDaS15_S16_EUlS15_E_NS1_11comp_targetILNS1_3genE9ELNS1_11target_archE1100ELNS1_3gpuE3ELNS1_3repE0EEENS1_30default_config_static_selectorELNS0_4arch9wavefront6targetE0EEEvT1_.num_agpr, 0
	.set _ZN7rocprim17ROCPRIM_400000_NS6detail17trampoline_kernelINS0_14default_configENS1_25partition_config_selectorILNS1_17partition_subalgoE9EllbEEZZNS1_14partition_implILS5_9ELb0ES3_jPlS8_PNS0_10empty_typeENS0_5tupleIJS8_S9_EEENSB_IJS8_SA_EEENS0_18inequality_wrapperIZN2at6native12_GLOBAL__N_124unique_dim_cuda_templateIhEESt5tupleIJNSF_6TensorESK_SK_EERKSK_lbbbEUlllE0_EEPmJS9_EEE10hipError_tPvRmT3_T4_T5_T6_T7_T9_mT8_P12ihipStream_tbDpT10_ENKUlT_T0_E_clISt17integral_constantIbLb0EES19_IbLb1EEEEDaS15_S16_EUlS15_E_NS1_11comp_targetILNS1_3genE9ELNS1_11target_archE1100ELNS1_3gpuE3ELNS1_3repE0EEENS1_30default_config_static_selectorELNS0_4arch9wavefront6targetE0EEEvT1_.numbered_sgpr, 0
	.set _ZN7rocprim17ROCPRIM_400000_NS6detail17trampoline_kernelINS0_14default_configENS1_25partition_config_selectorILNS1_17partition_subalgoE9EllbEEZZNS1_14partition_implILS5_9ELb0ES3_jPlS8_PNS0_10empty_typeENS0_5tupleIJS8_S9_EEENSB_IJS8_SA_EEENS0_18inequality_wrapperIZN2at6native12_GLOBAL__N_124unique_dim_cuda_templateIhEESt5tupleIJNSF_6TensorESK_SK_EERKSK_lbbbEUlllE0_EEPmJS9_EEE10hipError_tPvRmT3_T4_T5_T6_T7_T9_mT8_P12ihipStream_tbDpT10_ENKUlT_T0_E_clISt17integral_constantIbLb0EES19_IbLb1EEEEDaS15_S16_EUlS15_E_NS1_11comp_targetILNS1_3genE9ELNS1_11target_archE1100ELNS1_3gpuE3ELNS1_3repE0EEENS1_30default_config_static_selectorELNS0_4arch9wavefront6targetE0EEEvT1_.num_named_barrier, 0
	.set _ZN7rocprim17ROCPRIM_400000_NS6detail17trampoline_kernelINS0_14default_configENS1_25partition_config_selectorILNS1_17partition_subalgoE9EllbEEZZNS1_14partition_implILS5_9ELb0ES3_jPlS8_PNS0_10empty_typeENS0_5tupleIJS8_S9_EEENSB_IJS8_SA_EEENS0_18inequality_wrapperIZN2at6native12_GLOBAL__N_124unique_dim_cuda_templateIhEESt5tupleIJNSF_6TensorESK_SK_EERKSK_lbbbEUlllE0_EEPmJS9_EEE10hipError_tPvRmT3_T4_T5_T6_T7_T9_mT8_P12ihipStream_tbDpT10_ENKUlT_T0_E_clISt17integral_constantIbLb0EES19_IbLb1EEEEDaS15_S16_EUlS15_E_NS1_11comp_targetILNS1_3genE9ELNS1_11target_archE1100ELNS1_3gpuE3ELNS1_3repE0EEENS1_30default_config_static_selectorELNS0_4arch9wavefront6targetE0EEEvT1_.private_seg_size, 0
	.set _ZN7rocprim17ROCPRIM_400000_NS6detail17trampoline_kernelINS0_14default_configENS1_25partition_config_selectorILNS1_17partition_subalgoE9EllbEEZZNS1_14partition_implILS5_9ELb0ES3_jPlS8_PNS0_10empty_typeENS0_5tupleIJS8_S9_EEENSB_IJS8_SA_EEENS0_18inequality_wrapperIZN2at6native12_GLOBAL__N_124unique_dim_cuda_templateIhEESt5tupleIJNSF_6TensorESK_SK_EERKSK_lbbbEUlllE0_EEPmJS9_EEE10hipError_tPvRmT3_T4_T5_T6_T7_T9_mT8_P12ihipStream_tbDpT10_ENKUlT_T0_E_clISt17integral_constantIbLb0EES19_IbLb1EEEEDaS15_S16_EUlS15_E_NS1_11comp_targetILNS1_3genE9ELNS1_11target_archE1100ELNS1_3gpuE3ELNS1_3repE0EEENS1_30default_config_static_selectorELNS0_4arch9wavefront6targetE0EEEvT1_.uses_vcc, 0
	.set _ZN7rocprim17ROCPRIM_400000_NS6detail17trampoline_kernelINS0_14default_configENS1_25partition_config_selectorILNS1_17partition_subalgoE9EllbEEZZNS1_14partition_implILS5_9ELb0ES3_jPlS8_PNS0_10empty_typeENS0_5tupleIJS8_S9_EEENSB_IJS8_SA_EEENS0_18inequality_wrapperIZN2at6native12_GLOBAL__N_124unique_dim_cuda_templateIhEESt5tupleIJNSF_6TensorESK_SK_EERKSK_lbbbEUlllE0_EEPmJS9_EEE10hipError_tPvRmT3_T4_T5_T6_T7_T9_mT8_P12ihipStream_tbDpT10_ENKUlT_T0_E_clISt17integral_constantIbLb0EES19_IbLb1EEEEDaS15_S16_EUlS15_E_NS1_11comp_targetILNS1_3genE9ELNS1_11target_archE1100ELNS1_3gpuE3ELNS1_3repE0EEENS1_30default_config_static_selectorELNS0_4arch9wavefront6targetE0EEEvT1_.uses_flat_scratch, 0
	.set _ZN7rocprim17ROCPRIM_400000_NS6detail17trampoline_kernelINS0_14default_configENS1_25partition_config_selectorILNS1_17partition_subalgoE9EllbEEZZNS1_14partition_implILS5_9ELb0ES3_jPlS8_PNS0_10empty_typeENS0_5tupleIJS8_S9_EEENSB_IJS8_SA_EEENS0_18inequality_wrapperIZN2at6native12_GLOBAL__N_124unique_dim_cuda_templateIhEESt5tupleIJNSF_6TensorESK_SK_EERKSK_lbbbEUlllE0_EEPmJS9_EEE10hipError_tPvRmT3_T4_T5_T6_T7_T9_mT8_P12ihipStream_tbDpT10_ENKUlT_T0_E_clISt17integral_constantIbLb0EES19_IbLb1EEEEDaS15_S16_EUlS15_E_NS1_11comp_targetILNS1_3genE9ELNS1_11target_archE1100ELNS1_3gpuE3ELNS1_3repE0EEENS1_30default_config_static_selectorELNS0_4arch9wavefront6targetE0EEEvT1_.has_dyn_sized_stack, 0
	.set _ZN7rocprim17ROCPRIM_400000_NS6detail17trampoline_kernelINS0_14default_configENS1_25partition_config_selectorILNS1_17partition_subalgoE9EllbEEZZNS1_14partition_implILS5_9ELb0ES3_jPlS8_PNS0_10empty_typeENS0_5tupleIJS8_S9_EEENSB_IJS8_SA_EEENS0_18inequality_wrapperIZN2at6native12_GLOBAL__N_124unique_dim_cuda_templateIhEESt5tupleIJNSF_6TensorESK_SK_EERKSK_lbbbEUlllE0_EEPmJS9_EEE10hipError_tPvRmT3_T4_T5_T6_T7_T9_mT8_P12ihipStream_tbDpT10_ENKUlT_T0_E_clISt17integral_constantIbLb0EES19_IbLb1EEEEDaS15_S16_EUlS15_E_NS1_11comp_targetILNS1_3genE9ELNS1_11target_archE1100ELNS1_3gpuE3ELNS1_3repE0EEENS1_30default_config_static_selectorELNS0_4arch9wavefront6targetE0EEEvT1_.has_recursion, 0
	.set _ZN7rocprim17ROCPRIM_400000_NS6detail17trampoline_kernelINS0_14default_configENS1_25partition_config_selectorILNS1_17partition_subalgoE9EllbEEZZNS1_14partition_implILS5_9ELb0ES3_jPlS8_PNS0_10empty_typeENS0_5tupleIJS8_S9_EEENSB_IJS8_SA_EEENS0_18inequality_wrapperIZN2at6native12_GLOBAL__N_124unique_dim_cuda_templateIhEESt5tupleIJNSF_6TensorESK_SK_EERKSK_lbbbEUlllE0_EEPmJS9_EEE10hipError_tPvRmT3_T4_T5_T6_T7_T9_mT8_P12ihipStream_tbDpT10_ENKUlT_T0_E_clISt17integral_constantIbLb0EES19_IbLb1EEEEDaS15_S16_EUlS15_E_NS1_11comp_targetILNS1_3genE9ELNS1_11target_archE1100ELNS1_3gpuE3ELNS1_3repE0EEENS1_30default_config_static_selectorELNS0_4arch9wavefront6targetE0EEEvT1_.has_indirect_call, 0
	.section	.AMDGPU.csdata,"",@progbits
; Kernel info:
; codeLenInByte = 0
; TotalNumSgprs: 0
; NumVgprs: 0
; ScratchSize: 0
; MemoryBound: 0
; FloatMode: 240
; IeeeMode: 1
; LDSByteSize: 0 bytes/workgroup (compile time only)
; SGPRBlocks: 0
; VGPRBlocks: 0
; NumSGPRsForWavesPerEU: 1
; NumVGPRsForWavesPerEU: 1
; NamedBarCnt: 0
; Occupancy: 16
; WaveLimiterHint : 0
; COMPUTE_PGM_RSRC2:SCRATCH_EN: 0
; COMPUTE_PGM_RSRC2:USER_SGPR: 2
; COMPUTE_PGM_RSRC2:TRAP_HANDLER: 0
; COMPUTE_PGM_RSRC2:TGID_X_EN: 1
; COMPUTE_PGM_RSRC2:TGID_Y_EN: 0
; COMPUTE_PGM_RSRC2:TGID_Z_EN: 0
; COMPUTE_PGM_RSRC2:TIDIG_COMP_CNT: 0
	.section	.text._ZN7rocprim17ROCPRIM_400000_NS6detail17trampoline_kernelINS0_14default_configENS1_25partition_config_selectorILNS1_17partition_subalgoE9EllbEEZZNS1_14partition_implILS5_9ELb0ES3_jPlS8_PNS0_10empty_typeENS0_5tupleIJS8_S9_EEENSB_IJS8_SA_EEENS0_18inequality_wrapperIZN2at6native12_GLOBAL__N_124unique_dim_cuda_templateIhEESt5tupleIJNSF_6TensorESK_SK_EERKSK_lbbbEUlllE0_EEPmJS9_EEE10hipError_tPvRmT3_T4_T5_T6_T7_T9_mT8_P12ihipStream_tbDpT10_ENKUlT_T0_E_clISt17integral_constantIbLb0EES19_IbLb1EEEEDaS15_S16_EUlS15_E_NS1_11comp_targetILNS1_3genE8ELNS1_11target_archE1030ELNS1_3gpuE2ELNS1_3repE0EEENS1_30default_config_static_selectorELNS0_4arch9wavefront6targetE0EEEvT1_,"axG",@progbits,_ZN7rocprim17ROCPRIM_400000_NS6detail17trampoline_kernelINS0_14default_configENS1_25partition_config_selectorILNS1_17partition_subalgoE9EllbEEZZNS1_14partition_implILS5_9ELb0ES3_jPlS8_PNS0_10empty_typeENS0_5tupleIJS8_S9_EEENSB_IJS8_SA_EEENS0_18inequality_wrapperIZN2at6native12_GLOBAL__N_124unique_dim_cuda_templateIhEESt5tupleIJNSF_6TensorESK_SK_EERKSK_lbbbEUlllE0_EEPmJS9_EEE10hipError_tPvRmT3_T4_T5_T6_T7_T9_mT8_P12ihipStream_tbDpT10_ENKUlT_T0_E_clISt17integral_constantIbLb0EES19_IbLb1EEEEDaS15_S16_EUlS15_E_NS1_11comp_targetILNS1_3genE8ELNS1_11target_archE1030ELNS1_3gpuE2ELNS1_3repE0EEENS1_30default_config_static_selectorELNS0_4arch9wavefront6targetE0EEEvT1_,comdat
	.globl	_ZN7rocprim17ROCPRIM_400000_NS6detail17trampoline_kernelINS0_14default_configENS1_25partition_config_selectorILNS1_17partition_subalgoE9EllbEEZZNS1_14partition_implILS5_9ELb0ES3_jPlS8_PNS0_10empty_typeENS0_5tupleIJS8_S9_EEENSB_IJS8_SA_EEENS0_18inequality_wrapperIZN2at6native12_GLOBAL__N_124unique_dim_cuda_templateIhEESt5tupleIJNSF_6TensorESK_SK_EERKSK_lbbbEUlllE0_EEPmJS9_EEE10hipError_tPvRmT3_T4_T5_T6_T7_T9_mT8_P12ihipStream_tbDpT10_ENKUlT_T0_E_clISt17integral_constantIbLb0EES19_IbLb1EEEEDaS15_S16_EUlS15_E_NS1_11comp_targetILNS1_3genE8ELNS1_11target_archE1030ELNS1_3gpuE2ELNS1_3repE0EEENS1_30default_config_static_selectorELNS0_4arch9wavefront6targetE0EEEvT1_ ; -- Begin function _ZN7rocprim17ROCPRIM_400000_NS6detail17trampoline_kernelINS0_14default_configENS1_25partition_config_selectorILNS1_17partition_subalgoE9EllbEEZZNS1_14partition_implILS5_9ELb0ES3_jPlS8_PNS0_10empty_typeENS0_5tupleIJS8_S9_EEENSB_IJS8_SA_EEENS0_18inequality_wrapperIZN2at6native12_GLOBAL__N_124unique_dim_cuda_templateIhEESt5tupleIJNSF_6TensorESK_SK_EERKSK_lbbbEUlllE0_EEPmJS9_EEE10hipError_tPvRmT3_T4_T5_T6_T7_T9_mT8_P12ihipStream_tbDpT10_ENKUlT_T0_E_clISt17integral_constantIbLb0EES19_IbLb1EEEEDaS15_S16_EUlS15_E_NS1_11comp_targetILNS1_3genE8ELNS1_11target_archE1030ELNS1_3gpuE2ELNS1_3repE0EEENS1_30default_config_static_selectorELNS0_4arch9wavefront6targetE0EEEvT1_
	.p2align	8
	.type	_ZN7rocprim17ROCPRIM_400000_NS6detail17trampoline_kernelINS0_14default_configENS1_25partition_config_selectorILNS1_17partition_subalgoE9EllbEEZZNS1_14partition_implILS5_9ELb0ES3_jPlS8_PNS0_10empty_typeENS0_5tupleIJS8_S9_EEENSB_IJS8_SA_EEENS0_18inequality_wrapperIZN2at6native12_GLOBAL__N_124unique_dim_cuda_templateIhEESt5tupleIJNSF_6TensorESK_SK_EERKSK_lbbbEUlllE0_EEPmJS9_EEE10hipError_tPvRmT3_T4_T5_T6_T7_T9_mT8_P12ihipStream_tbDpT10_ENKUlT_T0_E_clISt17integral_constantIbLb0EES19_IbLb1EEEEDaS15_S16_EUlS15_E_NS1_11comp_targetILNS1_3genE8ELNS1_11target_archE1030ELNS1_3gpuE2ELNS1_3repE0EEENS1_30default_config_static_selectorELNS0_4arch9wavefront6targetE0EEEvT1_,@function
_ZN7rocprim17ROCPRIM_400000_NS6detail17trampoline_kernelINS0_14default_configENS1_25partition_config_selectorILNS1_17partition_subalgoE9EllbEEZZNS1_14partition_implILS5_9ELb0ES3_jPlS8_PNS0_10empty_typeENS0_5tupleIJS8_S9_EEENSB_IJS8_SA_EEENS0_18inequality_wrapperIZN2at6native12_GLOBAL__N_124unique_dim_cuda_templateIhEESt5tupleIJNSF_6TensorESK_SK_EERKSK_lbbbEUlllE0_EEPmJS9_EEE10hipError_tPvRmT3_T4_T5_T6_T7_T9_mT8_P12ihipStream_tbDpT10_ENKUlT_T0_E_clISt17integral_constantIbLb0EES19_IbLb1EEEEDaS15_S16_EUlS15_E_NS1_11comp_targetILNS1_3genE8ELNS1_11target_archE1030ELNS1_3gpuE2ELNS1_3repE0EEENS1_30default_config_static_selectorELNS0_4arch9wavefront6targetE0EEEvT1_: ; @_ZN7rocprim17ROCPRIM_400000_NS6detail17trampoline_kernelINS0_14default_configENS1_25partition_config_selectorILNS1_17partition_subalgoE9EllbEEZZNS1_14partition_implILS5_9ELb0ES3_jPlS8_PNS0_10empty_typeENS0_5tupleIJS8_S9_EEENSB_IJS8_SA_EEENS0_18inequality_wrapperIZN2at6native12_GLOBAL__N_124unique_dim_cuda_templateIhEESt5tupleIJNSF_6TensorESK_SK_EERKSK_lbbbEUlllE0_EEPmJS9_EEE10hipError_tPvRmT3_T4_T5_T6_T7_T9_mT8_P12ihipStream_tbDpT10_ENKUlT_T0_E_clISt17integral_constantIbLb0EES19_IbLb1EEEEDaS15_S16_EUlS15_E_NS1_11comp_targetILNS1_3genE8ELNS1_11target_archE1030ELNS1_3gpuE2ELNS1_3repE0EEENS1_30default_config_static_selectorELNS0_4arch9wavefront6targetE0EEEvT1_
; %bb.0:
	.section	.rodata,"a",@progbits
	.p2align	6, 0x0
	.amdhsa_kernel _ZN7rocprim17ROCPRIM_400000_NS6detail17trampoline_kernelINS0_14default_configENS1_25partition_config_selectorILNS1_17partition_subalgoE9EllbEEZZNS1_14partition_implILS5_9ELb0ES3_jPlS8_PNS0_10empty_typeENS0_5tupleIJS8_S9_EEENSB_IJS8_SA_EEENS0_18inequality_wrapperIZN2at6native12_GLOBAL__N_124unique_dim_cuda_templateIhEESt5tupleIJNSF_6TensorESK_SK_EERKSK_lbbbEUlllE0_EEPmJS9_EEE10hipError_tPvRmT3_T4_T5_T6_T7_T9_mT8_P12ihipStream_tbDpT10_ENKUlT_T0_E_clISt17integral_constantIbLb0EES19_IbLb1EEEEDaS15_S16_EUlS15_E_NS1_11comp_targetILNS1_3genE8ELNS1_11target_archE1030ELNS1_3gpuE2ELNS1_3repE0EEENS1_30default_config_static_selectorELNS0_4arch9wavefront6targetE0EEEvT1_
		.amdhsa_group_segment_fixed_size 0
		.amdhsa_private_segment_fixed_size 0
		.amdhsa_kernarg_size 136
		.amdhsa_user_sgpr_count 2
		.amdhsa_user_sgpr_dispatch_ptr 0
		.amdhsa_user_sgpr_queue_ptr 0
		.amdhsa_user_sgpr_kernarg_segment_ptr 1
		.amdhsa_user_sgpr_dispatch_id 0
		.amdhsa_user_sgpr_kernarg_preload_length 0
		.amdhsa_user_sgpr_kernarg_preload_offset 0
		.amdhsa_user_sgpr_private_segment_size 0
		.amdhsa_wavefront_size32 1
		.amdhsa_uses_dynamic_stack 0
		.amdhsa_enable_private_segment 0
		.amdhsa_system_sgpr_workgroup_id_x 1
		.amdhsa_system_sgpr_workgroup_id_y 0
		.amdhsa_system_sgpr_workgroup_id_z 0
		.amdhsa_system_sgpr_workgroup_info 0
		.amdhsa_system_vgpr_workitem_id 0
		.amdhsa_next_free_vgpr 1
		.amdhsa_next_free_sgpr 1
		.amdhsa_named_barrier_count 0
		.amdhsa_reserve_vcc 0
		.amdhsa_float_round_mode_32 0
		.amdhsa_float_round_mode_16_64 0
		.amdhsa_float_denorm_mode_32 3
		.amdhsa_float_denorm_mode_16_64 3
		.amdhsa_fp16_overflow 0
		.amdhsa_memory_ordered 1
		.amdhsa_forward_progress 1
		.amdhsa_inst_pref_size 0
		.amdhsa_round_robin_scheduling 0
		.amdhsa_exception_fp_ieee_invalid_op 0
		.amdhsa_exception_fp_denorm_src 0
		.amdhsa_exception_fp_ieee_div_zero 0
		.amdhsa_exception_fp_ieee_overflow 0
		.amdhsa_exception_fp_ieee_underflow 0
		.amdhsa_exception_fp_ieee_inexact 0
		.amdhsa_exception_int_div_zero 0
	.end_amdhsa_kernel
	.section	.text._ZN7rocprim17ROCPRIM_400000_NS6detail17trampoline_kernelINS0_14default_configENS1_25partition_config_selectorILNS1_17partition_subalgoE9EllbEEZZNS1_14partition_implILS5_9ELb0ES3_jPlS8_PNS0_10empty_typeENS0_5tupleIJS8_S9_EEENSB_IJS8_SA_EEENS0_18inequality_wrapperIZN2at6native12_GLOBAL__N_124unique_dim_cuda_templateIhEESt5tupleIJNSF_6TensorESK_SK_EERKSK_lbbbEUlllE0_EEPmJS9_EEE10hipError_tPvRmT3_T4_T5_T6_T7_T9_mT8_P12ihipStream_tbDpT10_ENKUlT_T0_E_clISt17integral_constantIbLb0EES19_IbLb1EEEEDaS15_S16_EUlS15_E_NS1_11comp_targetILNS1_3genE8ELNS1_11target_archE1030ELNS1_3gpuE2ELNS1_3repE0EEENS1_30default_config_static_selectorELNS0_4arch9wavefront6targetE0EEEvT1_,"axG",@progbits,_ZN7rocprim17ROCPRIM_400000_NS6detail17trampoline_kernelINS0_14default_configENS1_25partition_config_selectorILNS1_17partition_subalgoE9EllbEEZZNS1_14partition_implILS5_9ELb0ES3_jPlS8_PNS0_10empty_typeENS0_5tupleIJS8_S9_EEENSB_IJS8_SA_EEENS0_18inequality_wrapperIZN2at6native12_GLOBAL__N_124unique_dim_cuda_templateIhEESt5tupleIJNSF_6TensorESK_SK_EERKSK_lbbbEUlllE0_EEPmJS9_EEE10hipError_tPvRmT3_T4_T5_T6_T7_T9_mT8_P12ihipStream_tbDpT10_ENKUlT_T0_E_clISt17integral_constantIbLb0EES19_IbLb1EEEEDaS15_S16_EUlS15_E_NS1_11comp_targetILNS1_3genE8ELNS1_11target_archE1030ELNS1_3gpuE2ELNS1_3repE0EEENS1_30default_config_static_selectorELNS0_4arch9wavefront6targetE0EEEvT1_,comdat
.Lfunc_end235:
	.size	_ZN7rocprim17ROCPRIM_400000_NS6detail17trampoline_kernelINS0_14default_configENS1_25partition_config_selectorILNS1_17partition_subalgoE9EllbEEZZNS1_14partition_implILS5_9ELb0ES3_jPlS8_PNS0_10empty_typeENS0_5tupleIJS8_S9_EEENSB_IJS8_SA_EEENS0_18inequality_wrapperIZN2at6native12_GLOBAL__N_124unique_dim_cuda_templateIhEESt5tupleIJNSF_6TensorESK_SK_EERKSK_lbbbEUlllE0_EEPmJS9_EEE10hipError_tPvRmT3_T4_T5_T6_T7_T9_mT8_P12ihipStream_tbDpT10_ENKUlT_T0_E_clISt17integral_constantIbLb0EES19_IbLb1EEEEDaS15_S16_EUlS15_E_NS1_11comp_targetILNS1_3genE8ELNS1_11target_archE1030ELNS1_3gpuE2ELNS1_3repE0EEENS1_30default_config_static_selectorELNS0_4arch9wavefront6targetE0EEEvT1_, .Lfunc_end235-_ZN7rocprim17ROCPRIM_400000_NS6detail17trampoline_kernelINS0_14default_configENS1_25partition_config_selectorILNS1_17partition_subalgoE9EllbEEZZNS1_14partition_implILS5_9ELb0ES3_jPlS8_PNS0_10empty_typeENS0_5tupleIJS8_S9_EEENSB_IJS8_SA_EEENS0_18inequality_wrapperIZN2at6native12_GLOBAL__N_124unique_dim_cuda_templateIhEESt5tupleIJNSF_6TensorESK_SK_EERKSK_lbbbEUlllE0_EEPmJS9_EEE10hipError_tPvRmT3_T4_T5_T6_T7_T9_mT8_P12ihipStream_tbDpT10_ENKUlT_T0_E_clISt17integral_constantIbLb0EES19_IbLb1EEEEDaS15_S16_EUlS15_E_NS1_11comp_targetILNS1_3genE8ELNS1_11target_archE1030ELNS1_3gpuE2ELNS1_3repE0EEENS1_30default_config_static_selectorELNS0_4arch9wavefront6targetE0EEEvT1_
                                        ; -- End function
	.set _ZN7rocprim17ROCPRIM_400000_NS6detail17trampoline_kernelINS0_14default_configENS1_25partition_config_selectorILNS1_17partition_subalgoE9EllbEEZZNS1_14partition_implILS5_9ELb0ES3_jPlS8_PNS0_10empty_typeENS0_5tupleIJS8_S9_EEENSB_IJS8_SA_EEENS0_18inequality_wrapperIZN2at6native12_GLOBAL__N_124unique_dim_cuda_templateIhEESt5tupleIJNSF_6TensorESK_SK_EERKSK_lbbbEUlllE0_EEPmJS9_EEE10hipError_tPvRmT3_T4_T5_T6_T7_T9_mT8_P12ihipStream_tbDpT10_ENKUlT_T0_E_clISt17integral_constantIbLb0EES19_IbLb1EEEEDaS15_S16_EUlS15_E_NS1_11comp_targetILNS1_3genE8ELNS1_11target_archE1030ELNS1_3gpuE2ELNS1_3repE0EEENS1_30default_config_static_selectorELNS0_4arch9wavefront6targetE0EEEvT1_.num_vgpr, 0
	.set _ZN7rocprim17ROCPRIM_400000_NS6detail17trampoline_kernelINS0_14default_configENS1_25partition_config_selectorILNS1_17partition_subalgoE9EllbEEZZNS1_14partition_implILS5_9ELb0ES3_jPlS8_PNS0_10empty_typeENS0_5tupleIJS8_S9_EEENSB_IJS8_SA_EEENS0_18inequality_wrapperIZN2at6native12_GLOBAL__N_124unique_dim_cuda_templateIhEESt5tupleIJNSF_6TensorESK_SK_EERKSK_lbbbEUlllE0_EEPmJS9_EEE10hipError_tPvRmT3_T4_T5_T6_T7_T9_mT8_P12ihipStream_tbDpT10_ENKUlT_T0_E_clISt17integral_constantIbLb0EES19_IbLb1EEEEDaS15_S16_EUlS15_E_NS1_11comp_targetILNS1_3genE8ELNS1_11target_archE1030ELNS1_3gpuE2ELNS1_3repE0EEENS1_30default_config_static_selectorELNS0_4arch9wavefront6targetE0EEEvT1_.num_agpr, 0
	.set _ZN7rocprim17ROCPRIM_400000_NS6detail17trampoline_kernelINS0_14default_configENS1_25partition_config_selectorILNS1_17partition_subalgoE9EllbEEZZNS1_14partition_implILS5_9ELb0ES3_jPlS8_PNS0_10empty_typeENS0_5tupleIJS8_S9_EEENSB_IJS8_SA_EEENS0_18inequality_wrapperIZN2at6native12_GLOBAL__N_124unique_dim_cuda_templateIhEESt5tupleIJNSF_6TensorESK_SK_EERKSK_lbbbEUlllE0_EEPmJS9_EEE10hipError_tPvRmT3_T4_T5_T6_T7_T9_mT8_P12ihipStream_tbDpT10_ENKUlT_T0_E_clISt17integral_constantIbLb0EES19_IbLb1EEEEDaS15_S16_EUlS15_E_NS1_11comp_targetILNS1_3genE8ELNS1_11target_archE1030ELNS1_3gpuE2ELNS1_3repE0EEENS1_30default_config_static_selectorELNS0_4arch9wavefront6targetE0EEEvT1_.numbered_sgpr, 0
	.set _ZN7rocprim17ROCPRIM_400000_NS6detail17trampoline_kernelINS0_14default_configENS1_25partition_config_selectorILNS1_17partition_subalgoE9EllbEEZZNS1_14partition_implILS5_9ELb0ES3_jPlS8_PNS0_10empty_typeENS0_5tupleIJS8_S9_EEENSB_IJS8_SA_EEENS0_18inequality_wrapperIZN2at6native12_GLOBAL__N_124unique_dim_cuda_templateIhEESt5tupleIJNSF_6TensorESK_SK_EERKSK_lbbbEUlllE0_EEPmJS9_EEE10hipError_tPvRmT3_T4_T5_T6_T7_T9_mT8_P12ihipStream_tbDpT10_ENKUlT_T0_E_clISt17integral_constantIbLb0EES19_IbLb1EEEEDaS15_S16_EUlS15_E_NS1_11comp_targetILNS1_3genE8ELNS1_11target_archE1030ELNS1_3gpuE2ELNS1_3repE0EEENS1_30default_config_static_selectorELNS0_4arch9wavefront6targetE0EEEvT1_.num_named_barrier, 0
	.set _ZN7rocprim17ROCPRIM_400000_NS6detail17trampoline_kernelINS0_14default_configENS1_25partition_config_selectorILNS1_17partition_subalgoE9EllbEEZZNS1_14partition_implILS5_9ELb0ES3_jPlS8_PNS0_10empty_typeENS0_5tupleIJS8_S9_EEENSB_IJS8_SA_EEENS0_18inequality_wrapperIZN2at6native12_GLOBAL__N_124unique_dim_cuda_templateIhEESt5tupleIJNSF_6TensorESK_SK_EERKSK_lbbbEUlllE0_EEPmJS9_EEE10hipError_tPvRmT3_T4_T5_T6_T7_T9_mT8_P12ihipStream_tbDpT10_ENKUlT_T0_E_clISt17integral_constantIbLb0EES19_IbLb1EEEEDaS15_S16_EUlS15_E_NS1_11comp_targetILNS1_3genE8ELNS1_11target_archE1030ELNS1_3gpuE2ELNS1_3repE0EEENS1_30default_config_static_selectorELNS0_4arch9wavefront6targetE0EEEvT1_.private_seg_size, 0
	.set _ZN7rocprim17ROCPRIM_400000_NS6detail17trampoline_kernelINS0_14default_configENS1_25partition_config_selectorILNS1_17partition_subalgoE9EllbEEZZNS1_14partition_implILS5_9ELb0ES3_jPlS8_PNS0_10empty_typeENS0_5tupleIJS8_S9_EEENSB_IJS8_SA_EEENS0_18inequality_wrapperIZN2at6native12_GLOBAL__N_124unique_dim_cuda_templateIhEESt5tupleIJNSF_6TensorESK_SK_EERKSK_lbbbEUlllE0_EEPmJS9_EEE10hipError_tPvRmT3_T4_T5_T6_T7_T9_mT8_P12ihipStream_tbDpT10_ENKUlT_T0_E_clISt17integral_constantIbLb0EES19_IbLb1EEEEDaS15_S16_EUlS15_E_NS1_11comp_targetILNS1_3genE8ELNS1_11target_archE1030ELNS1_3gpuE2ELNS1_3repE0EEENS1_30default_config_static_selectorELNS0_4arch9wavefront6targetE0EEEvT1_.uses_vcc, 0
	.set _ZN7rocprim17ROCPRIM_400000_NS6detail17trampoline_kernelINS0_14default_configENS1_25partition_config_selectorILNS1_17partition_subalgoE9EllbEEZZNS1_14partition_implILS5_9ELb0ES3_jPlS8_PNS0_10empty_typeENS0_5tupleIJS8_S9_EEENSB_IJS8_SA_EEENS0_18inequality_wrapperIZN2at6native12_GLOBAL__N_124unique_dim_cuda_templateIhEESt5tupleIJNSF_6TensorESK_SK_EERKSK_lbbbEUlllE0_EEPmJS9_EEE10hipError_tPvRmT3_T4_T5_T6_T7_T9_mT8_P12ihipStream_tbDpT10_ENKUlT_T0_E_clISt17integral_constantIbLb0EES19_IbLb1EEEEDaS15_S16_EUlS15_E_NS1_11comp_targetILNS1_3genE8ELNS1_11target_archE1030ELNS1_3gpuE2ELNS1_3repE0EEENS1_30default_config_static_selectorELNS0_4arch9wavefront6targetE0EEEvT1_.uses_flat_scratch, 0
	.set _ZN7rocprim17ROCPRIM_400000_NS6detail17trampoline_kernelINS0_14default_configENS1_25partition_config_selectorILNS1_17partition_subalgoE9EllbEEZZNS1_14partition_implILS5_9ELb0ES3_jPlS8_PNS0_10empty_typeENS0_5tupleIJS8_S9_EEENSB_IJS8_SA_EEENS0_18inequality_wrapperIZN2at6native12_GLOBAL__N_124unique_dim_cuda_templateIhEESt5tupleIJNSF_6TensorESK_SK_EERKSK_lbbbEUlllE0_EEPmJS9_EEE10hipError_tPvRmT3_T4_T5_T6_T7_T9_mT8_P12ihipStream_tbDpT10_ENKUlT_T0_E_clISt17integral_constantIbLb0EES19_IbLb1EEEEDaS15_S16_EUlS15_E_NS1_11comp_targetILNS1_3genE8ELNS1_11target_archE1030ELNS1_3gpuE2ELNS1_3repE0EEENS1_30default_config_static_selectorELNS0_4arch9wavefront6targetE0EEEvT1_.has_dyn_sized_stack, 0
	.set _ZN7rocprim17ROCPRIM_400000_NS6detail17trampoline_kernelINS0_14default_configENS1_25partition_config_selectorILNS1_17partition_subalgoE9EllbEEZZNS1_14partition_implILS5_9ELb0ES3_jPlS8_PNS0_10empty_typeENS0_5tupleIJS8_S9_EEENSB_IJS8_SA_EEENS0_18inequality_wrapperIZN2at6native12_GLOBAL__N_124unique_dim_cuda_templateIhEESt5tupleIJNSF_6TensorESK_SK_EERKSK_lbbbEUlllE0_EEPmJS9_EEE10hipError_tPvRmT3_T4_T5_T6_T7_T9_mT8_P12ihipStream_tbDpT10_ENKUlT_T0_E_clISt17integral_constantIbLb0EES19_IbLb1EEEEDaS15_S16_EUlS15_E_NS1_11comp_targetILNS1_3genE8ELNS1_11target_archE1030ELNS1_3gpuE2ELNS1_3repE0EEENS1_30default_config_static_selectorELNS0_4arch9wavefront6targetE0EEEvT1_.has_recursion, 0
	.set _ZN7rocprim17ROCPRIM_400000_NS6detail17trampoline_kernelINS0_14default_configENS1_25partition_config_selectorILNS1_17partition_subalgoE9EllbEEZZNS1_14partition_implILS5_9ELb0ES3_jPlS8_PNS0_10empty_typeENS0_5tupleIJS8_S9_EEENSB_IJS8_SA_EEENS0_18inequality_wrapperIZN2at6native12_GLOBAL__N_124unique_dim_cuda_templateIhEESt5tupleIJNSF_6TensorESK_SK_EERKSK_lbbbEUlllE0_EEPmJS9_EEE10hipError_tPvRmT3_T4_T5_T6_T7_T9_mT8_P12ihipStream_tbDpT10_ENKUlT_T0_E_clISt17integral_constantIbLb0EES19_IbLb1EEEEDaS15_S16_EUlS15_E_NS1_11comp_targetILNS1_3genE8ELNS1_11target_archE1030ELNS1_3gpuE2ELNS1_3repE0EEENS1_30default_config_static_selectorELNS0_4arch9wavefront6targetE0EEEvT1_.has_indirect_call, 0
	.section	.AMDGPU.csdata,"",@progbits
; Kernel info:
; codeLenInByte = 0
; TotalNumSgprs: 0
; NumVgprs: 0
; ScratchSize: 0
; MemoryBound: 0
; FloatMode: 240
; IeeeMode: 1
; LDSByteSize: 0 bytes/workgroup (compile time only)
; SGPRBlocks: 0
; VGPRBlocks: 0
; NumSGPRsForWavesPerEU: 1
; NumVGPRsForWavesPerEU: 1
; NamedBarCnt: 0
; Occupancy: 16
; WaveLimiterHint : 0
; COMPUTE_PGM_RSRC2:SCRATCH_EN: 0
; COMPUTE_PGM_RSRC2:USER_SGPR: 2
; COMPUTE_PGM_RSRC2:TRAP_HANDLER: 0
; COMPUTE_PGM_RSRC2:TGID_X_EN: 1
; COMPUTE_PGM_RSRC2:TGID_Y_EN: 0
; COMPUTE_PGM_RSRC2:TGID_Z_EN: 0
; COMPUTE_PGM_RSRC2:TIDIG_COMP_CNT: 0
	.section	.text._ZN7rocprim17ROCPRIM_400000_NS6detail17trampoline_kernelINS0_14default_configENS1_35adjacent_difference_config_selectorILb0ElEEZNS1_24adjacent_difference_implIS3_Lb0ELb0EPlS7_N6thrust23THRUST_200600_302600_NS5minusIlEEEE10hipError_tPvRmT2_T3_mT4_P12ihipStream_tbEUlT_E_NS1_11comp_targetILNS1_3genE0ELNS1_11target_archE4294967295ELNS1_3gpuE0ELNS1_3repE0EEENS1_30default_config_static_selectorELNS0_4arch9wavefront6targetE0EEEvT1_,"axG",@progbits,_ZN7rocprim17ROCPRIM_400000_NS6detail17trampoline_kernelINS0_14default_configENS1_35adjacent_difference_config_selectorILb0ElEEZNS1_24adjacent_difference_implIS3_Lb0ELb0EPlS7_N6thrust23THRUST_200600_302600_NS5minusIlEEEE10hipError_tPvRmT2_T3_mT4_P12ihipStream_tbEUlT_E_NS1_11comp_targetILNS1_3genE0ELNS1_11target_archE4294967295ELNS1_3gpuE0ELNS1_3repE0EEENS1_30default_config_static_selectorELNS0_4arch9wavefront6targetE0EEEvT1_,comdat
	.protected	_ZN7rocprim17ROCPRIM_400000_NS6detail17trampoline_kernelINS0_14default_configENS1_35adjacent_difference_config_selectorILb0ElEEZNS1_24adjacent_difference_implIS3_Lb0ELb0EPlS7_N6thrust23THRUST_200600_302600_NS5minusIlEEEE10hipError_tPvRmT2_T3_mT4_P12ihipStream_tbEUlT_E_NS1_11comp_targetILNS1_3genE0ELNS1_11target_archE4294967295ELNS1_3gpuE0ELNS1_3repE0EEENS1_30default_config_static_selectorELNS0_4arch9wavefront6targetE0EEEvT1_ ; -- Begin function _ZN7rocprim17ROCPRIM_400000_NS6detail17trampoline_kernelINS0_14default_configENS1_35adjacent_difference_config_selectorILb0ElEEZNS1_24adjacent_difference_implIS3_Lb0ELb0EPlS7_N6thrust23THRUST_200600_302600_NS5minusIlEEEE10hipError_tPvRmT2_T3_mT4_P12ihipStream_tbEUlT_E_NS1_11comp_targetILNS1_3genE0ELNS1_11target_archE4294967295ELNS1_3gpuE0ELNS1_3repE0EEENS1_30default_config_static_selectorELNS0_4arch9wavefront6targetE0EEEvT1_
	.globl	_ZN7rocprim17ROCPRIM_400000_NS6detail17trampoline_kernelINS0_14default_configENS1_35adjacent_difference_config_selectorILb0ElEEZNS1_24adjacent_difference_implIS3_Lb0ELb0EPlS7_N6thrust23THRUST_200600_302600_NS5minusIlEEEE10hipError_tPvRmT2_T3_mT4_P12ihipStream_tbEUlT_E_NS1_11comp_targetILNS1_3genE0ELNS1_11target_archE4294967295ELNS1_3gpuE0ELNS1_3repE0EEENS1_30default_config_static_selectorELNS0_4arch9wavefront6targetE0EEEvT1_
	.p2align	8
	.type	_ZN7rocprim17ROCPRIM_400000_NS6detail17trampoline_kernelINS0_14default_configENS1_35adjacent_difference_config_selectorILb0ElEEZNS1_24adjacent_difference_implIS3_Lb0ELb0EPlS7_N6thrust23THRUST_200600_302600_NS5minusIlEEEE10hipError_tPvRmT2_T3_mT4_P12ihipStream_tbEUlT_E_NS1_11comp_targetILNS1_3genE0ELNS1_11target_archE4294967295ELNS1_3gpuE0ELNS1_3repE0EEENS1_30default_config_static_selectorELNS0_4arch9wavefront6targetE0EEEvT1_,@function
_ZN7rocprim17ROCPRIM_400000_NS6detail17trampoline_kernelINS0_14default_configENS1_35adjacent_difference_config_selectorILb0ElEEZNS1_24adjacent_difference_implIS3_Lb0ELb0EPlS7_N6thrust23THRUST_200600_302600_NS5minusIlEEEE10hipError_tPvRmT2_T3_mT4_P12ihipStream_tbEUlT_E_NS1_11comp_targetILNS1_3genE0ELNS1_11target_archE4294967295ELNS1_3gpuE0ELNS1_3repE0EEENS1_30default_config_static_selectorELNS0_4arch9wavefront6targetE0EEEvT1_: ; @_ZN7rocprim17ROCPRIM_400000_NS6detail17trampoline_kernelINS0_14default_configENS1_35adjacent_difference_config_selectorILb0ElEEZNS1_24adjacent_difference_implIS3_Lb0ELb0EPlS7_N6thrust23THRUST_200600_302600_NS5minusIlEEEE10hipError_tPvRmT2_T3_mT4_P12ihipStream_tbEUlT_E_NS1_11comp_targetILNS1_3genE0ELNS1_11target_archE4294967295ELNS1_3gpuE0ELNS1_3repE0EEENS1_30default_config_static_selectorELNS0_4arch9wavefront6targetE0EEEvT1_
; %bb.0:
	s_load_b256 s[4:11], s[0:1], 0x0
	s_bfe_u32 s2, ttmp6, 0x4000c
	s_and_b32 s3, ttmp6, 15
	s_add_co_i32 s2, s2, 1
	s_getreg_b32 s14, hwreg(HW_REG_IB_STS2, 6, 4)
	s_mul_i32 s2, ttmp9, s2
	s_load_b64 s[12:13], s[0:1], 0x30
	s_add_co_i32 s3, s3, s2
	s_wait_kmcnt 0x0
	s_lshl_b64 s[6:7], s[6:7], 3
	s_cmp_eq_u32 s14, 0
	s_add_nc_u64 s[4:5], s[4:5], s[6:7]
	s_cselect_b32 s14, ttmp9, s3
	s_and_b64 s[16:17], s[10:11], 0x7f
	s_lshr_b64 s[0:1], s[10:11], 7
	s_lshl_b32 s2, s14, 7
	s_cmp_lg_u64 s[16:17], 0
	s_mov_b32 s17, 0
	s_cselect_b32 s3, -1, 0
	s_mov_b32 s15, s17
	v_cndmask_b32_e64 v1, 0, 1, s3
	s_add_nc_u64 s[14:15], s[12:13], s[14:15]
	s_delay_alu instid0(VALU_DEP_1) | instskip(SKIP_1) | instid1(SALU_CYCLE_1)
	v_readfirstlane_b32 s16, v1
	s_add_nc_u64 s[0:1], s[0:1], s[16:17]
	s_add_nc_u64 s[12:13], s[0:1], -1
	s_delay_alu instid0(SALU_CYCLE_1)
	v_cmp_ge_u64_e64 s11, s[14:15], s[12:13]
	s_and_b32 vcc_lo, exec_lo, s11
	s_cbranch_vccz .LBB236_4
; %bb.1:
	s_lshl_b32 s3, s12, 7
	s_mov_b32 s16, exec_lo
	s_sub_co_i32 s3, s10, s3
                                        ; implicit-def: $vgpr2_vgpr3
	s_delay_alu instid0(SALU_CYCLE_1)
	v_cmpx_gt_u32_e64 s3, v0
	s_cbranch_execz .LBB236_3
; %bb.2:
	s_mov_b32 s3, 0
	s_delay_alu instid0(SALU_CYCLE_1) | instskip(NEXT) | instid1(SALU_CYCLE_1)
	s_lshl_b64 s[18:19], s[2:3], 3
	s_add_nc_u64 s[18:19], s[4:5], s[18:19]
	global_load_b64 v[2:3], v0, s[18:19] scale_offset
.LBB236_3:
	s_wait_xcnt 0x0
	s_or_b32 exec_lo, exec_lo, s16
	v_lshlrev_b32_e32 v4, 3, v0
	s_wait_loadcnt 0x0
	ds_store_b64 v4, v[2:3]
	s_wait_dscnt 0x0
	s_barrier_signal -1
	s_barrier_wait -1
	v_lshlrev_b32_e32 v1, 3, v0
	s_branch .LBB236_6
.LBB236_4:
                                        ; implicit-def: $vgpr4
	v_lshlrev_b32_e32 v1, 3, v0
	s_cbranch_execz .LBB236_6
; %bb.5:
	s_mov_b32 s3, 0
	s_delay_alu instid0(VALU_DEP_1) | instskip(SKIP_1) | instid1(SALU_CYCLE_1)
	v_mov_b32_e32 v4, v1
	s_lshl_b64 s[16:17], s[2:3], 3
	s_add_nc_u64 s[16:17], s[4:5], s[16:17]
	global_load_b64 v[2:3], v0, s[16:17] scale_offset
	s_wait_loadcnt 0x0
	ds_store_b64 v1, v[2:3]
	s_wait_dscnt 0x0
	s_barrier_signal -1
	s_barrier_wait -1
.LBB236_6:
	ds_load_b64 v[2:3], v4
	s_cmp_eq_u64 s[14:15], 0
	s_wait_dscnt 0x0
	s_barrier_signal -1
	s_barrier_wait -1
	s_cbranch_scc1 .LBB236_11
; %bb.7:
	s_mov_b32 s3, 0
	s_delay_alu instid0(SALU_CYCLE_1) | instskip(SKIP_2) | instid1(SALU_CYCLE_1)
	s_lshl_b64 s[16:17], s[2:3], 3
	s_cmp_eq_u64 s[14:15], s[12:13]
	s_add_nc_u64 s[4:5], s[4:5], s[16:17]
	s_add_nc_u64 s[4:5], s[4:5], -8
	s_load_b64 s[4:5], s[4:5], 0x0
	s_cbranch_scc1 .LBB236_12
; %bb.8:
	s_wait_kmcnt 0x0
	v_mov_b64_e32 v[4:5], s[4:5]
	s_mov_b32 s3, exec_lo
	ds_store_b64 v1, v[2:3]
	s_wait_dscnt 0x0
	s_barrier_signal -1
	s_barrier_wait -1
	v_cmpx_ne_u32_e32 0, v0
; %bb.9:
	v_add_nc_u32_e32 v4, -8, v1
	ds_load_b64 v[4:5], v4
; %bb.10:
	s_or_b32 exec_lo, exec_lo, s3
	s_cbranch_execz .LBB236_13
	s_branch .LBB236_16
.LBB236_11:
	s_mov_b32 s3, 0
                                        ; implicit-def: $vgpr4_vgpr5
	s_branch .LBB236_17
.LBB236_12:
                                        ; implicit-def: $vgpr4_vgpr5
.LBB236_13:
	s_wait_dscnt 0x0
	s_wait_kmcnt 0x0
	v_mov_b64_e32 v[4:5], s[4:5]
	s_mov_b32 s3, exec_lo
	ds_store_b64 v1, v[2:3]
	s_wait_dscnt 0x0
	s_barrier_signal -1
	s_barrier_wait -1
	v_cmpx_ne_u32_e32 0, v0
; %bb.14:
	v_add_nc_u32_e32 v4, -8, v1
	ds_load_b64 v[4:5], v4
; %bb.15:
	s_or_b32 exec_lo, exec_lo, s3
	s_lshl_b32 s3, s14, 7
	s_delay_alu instid0(SALU_CYCLE_1) | instskip(NEXT) | instid1(SALU_CYCLE_1)
	s_sub_co_i32 s3, s10, s3
	v_cmp_gt_u32_e32 vcc_lo, s3, v0
	s_wait_dscnt 0x0
	v_dual_cndmask_b32 v5, 0, v5 :: v_dual_cndmask_b32 v4, 0, v4
.LBB236_16:
	s_wait_kmcnt 0x0
	s_mov_b32 s3, -1
	s_cbranch_execnz .LBB236_25
.LBB236_17:
	s_cmp_lg_u64 s[0:1], 1
	v_cmp_ne_u32_e32 vcc_lo, 0, v0
	s_cbranch_scc0 .LBB236_21
; %bb.18:
	s_mov_b32 s0, 0
	ds_store_b64 v1, v[2:3]
	s_wait_dscnt 0x0
	s_barrier_signal -1
	s_barrier_wait -1
                                        ; implicit-def: $vgpr4_vgpr5
	s_and_saveexec_b32 s1, vcc_lo
; %bb.19:
	v_add_nc_u32_e32 v4, -8, v1
	s_or_b32 s3, s3, exec_lo
	ds_load_b64 v[4:5], v4
; %bb.20:
	s_or_b32 exec_lo, exec_lo, s1
	s_delay_alu instid0(SALU_CYCLE_1)
	s_and_b32 vcc_lo, exec_lo, s0
	s_cbranch_vccnz .LBB236_22
	s_branch .LBB236_25
.LBB236_21:
                                        ; implicit-def: $vgpr4_vgpr5
	s_cbranch_execz .LBB236_25
.LBB236_22:
	v_cmp_ne_u32_e32 vcc_lo, 0, v0
	v_cmp_gt_u32_e64 s0, s10, v0
	ds_store_b64 v1, v[2:3]
	s_wait_dscnt 0x0
	s_barrier_signal -1
	s_barrier_wait -1
	s_and_b32 s1, vcc_lo, s0
                                        ; implicit-def: $vgpr4_vgpr5
	s_delay_alu instid0(SALU_CYCLE_1)
	s_and_saveexec_b32 s0, s1
; %bb.23:
	v_add_nc_u32_e32 v4, -8, v1
	s_or_b32 s3, s3, exec_lo
	ds_load_b64 v[4:5], v4
; %bb.24:
	s_or_b32 exec_lo, exec_lo, s0
.LBB236_25:
	s_and_saveexec_b32 s0, s3
	s_cbranch_execz .LBB236_27
; %bb.26:
	s_wait_dscnt 0x0
	v_sub_nc_u64_e32 v[2:3], v[2:3], v[4:5]
.LBB236_27:
	s_or_b32 exec_lo, exec_lo, s0
	s_add_nc_u64 s[0:1], s[8:9], s[6:7]
	s_and_b32 vcc_lo, exec_lo, s11
	s_mov_b32 s3, -1
	s_wait_dscnt 0x0
	s_barrier_signal -1
	s_barrier_wait -1
	s_cbranch_vccnz .LBB236_30
; %bb.28:
	s_and_not1_b32 vcc_lo, exec_lo, s3
	s_cbranch_vccz .LBB236_33
.LBB236_29:
	s_endpgm
.LBB236_30:
	s_lshl_b32 s3, s12, 7
	s_mov_b32 s4, exec_lo
	s_sub_co_i32 s3, s10, s3
	ds_store_b64 v1, v[2:3]
	s_wait_dscnt 0x0
	s_barrier_signal -1
	s_barrier_wait -1
	v_cmpx_gt_u32_e64 s3, v0
	s_cbranch_execz .LBB236_32
; %bb.31:
	ds_load_b64 v[4:5], v1
	s_mov_b32 s3, 0
	s_delay_alu instid0(SALU_CYCLE_1) | instskip(NEXT) | instid1(SALU_CYCLE_1)
	s_lshl_b64 s[6:7], s[2:3], 3
	s_add_nc_u64 s[6:7], s[0:1], s[6:7]
	s_wait_dscnt 0x0
	global_store_b64 v0, v[4:5], s[6:7] scale_offset
.LBB236_32:
	s_wait_xcnt 0x0
	s_or_b32 exec_lo, exec_lo, s4
	s_cbranch_execnz .LBB236_29
.LBB236_33:
	ds_store_b64 v1, v[2:3]
	s_wait_storecnt_dscnt 0x0
	s_barrier_signal -1
	s_barrier_wait -1
	ds_load_b64 v[2:3], v1
	s_mov_b32 s3, 0
	s_delay_alu instid0(SALU_CYCLE_1) | instskip(NEXT) | instid1(SALU_CYCLE_1)
	s_lshl_b64 s[2:3], s[2:3], 3
	s_add_nc_u64 s[0:1], s[0:1], s[2:3]
	s_wait_dscnt 0x0
	global_store_b64 v0, v[2:3], s[0:1] scale_offset
	s_endpgm
	.section	.rodata,"a",@progbits
	.p2align	6, 0x0
	.amdhsa_kernel _ZN7rocprim17ROCPRIM_400000_NS6detail17trampoline_kernelINS0_14default_configENS1_35adjacent_difference_config_selectorILb0ElEEZNS1_24adjacent_difference_implIS3_Lb0ELb0EPlS7_N6thrust23THRUST_200600_302600_NS5minusIlEEEE10hipError_tPvRmT2_T3_mT4_P12ihipStream_tbEUlT_E_NS1_11comp_targetILNS1_3genE0ELNS1_11target_archE4294967295ELNS1_3gpuE0ELNS1_3repE0EEENS1_30default_config_static_selectorELNS0_4arch9wavefront6targetE0EEEvT1_
		.amdhsa_group_segment_fixed_size 2048
		.amdhsa_private_segment_fixed_size 0
		.amdhsa_kernarg_size 56
		.amdhsa_user_sgpr_count 2
		.amdhsa_user_sgpr_dispatch_ptr 0
		.amdhsa_user_sgpr_queue_ptr 0
		.amdhsa_user_sgpr_kernarg_segment_ptr 1
		.amdhsa_user_sgpr_dispatch_id 0
		.amdhsa_user_sgpr_kernarg_preload_length 0
		.amdhsa_user_sgpr_kernarg_preload_offset 0
		.amdhsa_user_sgpr_private_segment_size 0
		.amdhsa_wavefront_size32 1
		.amdhsa_uses_dynamic_stack 0
		.amdhsa_enable_private_segment 0
		.amdhsa_system_sgpr_workgroup_id_x 1
		.amdhsa_system_sgpr_workgroup_id_y 0
		.amdhsa_system_sgpr_workgroup_id_z 0
		.amdhsa_system_sgpr_workgroup_info 0
		.amdhsa_system_vgpr_workitem_id 0
		.amdhsa_next_free_vgpr 6
		.amdhsa_next_free_sgpr 20
		.amdhsa_named_barrier_count 0
		.amdhsa_reserve_vcc 1
		.amdhsa_float_round_mode_32 0
		.amdhsa_float_round_mode_16_64 0
		.amdhsa_float_denorm_mode_32 3
		.amdhsa_float_denorm_mode_16_64 3
		.amdhsa_fp16_overflow 0
		.amdhsa_memory_ordered 1
		.amdhsa_forward_progress 1
		.amdhsa_inst_pref_size 8
		.amdhsa_round_robin_scheduling 0
		.amdhsa_exception_fp_ieee_invalid_op 0
		.amdhsa_exception_fp_denorm_src 0
		.amdhsa_exception_fp_ieee_div_zero 0
		.amdhsa_exception_fp_ieee_overflow 0
		.amdhsa_exception_fp_ieee_underflow 0
		.amdhsa_exception_fp_ieee_inexact 0
		.amdhsa_exception_int_div_zero 0
	.end_amdhsa_kernel
	.section	.text._ZN7rocprim17ROCPRIM_400000_NS6detail17trampoline_kernelINS0_14default_configENS1_35adjacent_difference_config_selectorILb0ElEEZNS1_24adjacent_difference_implIS3_Lb0ELb0EPlS7_N6thrust23THRUST_200600_302600_NS5minusIlEEEE10hipError_tPvRmT2_T3_mT4_P12ihipStream_tbEUlT_E_NS1_11comp_targetILNS1_3genE0ELNS1_11target_archE4294967295ELNS1_3gpuE0ELNS1_3repE0EEENS1_30default_config_static_selectorELNS0_4arch9wavefront6targetE0EEEvT1_,"axG",@progbits,_ZN7rocprim17ROCPRIM_400000_NS6detail17trampoline_kernelINS0_14default_configENS1_35adjacent_difference_config_selectorILb0ElEEZNS1_24adjacent_difference_implIS3_Lb0ELb0EPlS7_N6thrust23THRUST_200600_302600_NS5minusIlEEEE10hipError_tPvRmT2_T3_mT4_P12ihipStream_tbEUlT_E_NS1_11comp_targetILNS1_3genE0ELNS1_11target_archE4294967295ELNS1_3gpuE0ELNS1_3repE0EEENS1_30default_config_static_selectorELNS0_4arch9wavefront6targetE0EEEvT1_,comdat
.Lfunc_end236:
	.size	_ZN7rocprim17ROCPRIM_400000_NS6detail17trampoline_kernelINS0_14default_configENS1_35adjacent_difference_config_selectorILb0ElEEZNS1_24adjacent_difference_implIS3_Lb0ELb0EPlS7_N6thrust23THRUST_200600_302600_NS5minusIlEEEE10hipError_tPvRmT2_T3_mT4_P12ihipStream_tbEUlT_E_NS1_11comp_targetILNS1_3genE0ELNS1_11target_archE4294967295ELNS1_3gpuE0ELNS1_3repE0EEENS1_30default_config_static_selectorELNS0_4arch9wavefront6targetE0EEEvT1_, .Lfunc_end236-_ZN7rocprim17ROCPRIM_400000_NS6detail17trampoline_kernelINS0_14default_configENS1_35adjacent_difference_config_selectorILb0ElEEZNS1_24adjacent_difference_implIS3_Lb0ELb0EPlS7_N6thrust23THRUST_200600_302600_NS5minusIlEEEE10hipError_tPvRmT2_T3_mT4_P12ihipStream_tbEUlT_E_NS1_11comp_targetILNS1_3genE0ELNS1_11target_archE4294967295ELNS1_3gpuE0ELNS1_3repE0EEENS1_30default_config_static_selectorELNS0_4arch9wavefront6targetE0EEEvT1_
                                        ; -- End function
	.set _ZN7rocprim17ROCPRIM_400000_NS6detail17trampoline_kernelINS0_14default_configENS1_35adjacent_difference_config_selectorILb0ElEEZNS1_24adjacent_difference_implIS3_Lb0ELb0EPlS7_N6thrust23THRUST_200600_302600_NS5minusIlEEEE10hipError_tPvRmT2_T3_mT4_P12ihipStream_tbEUlT_E_NS1_11comp_targetILNS1_3genE0ELNS1_11target_archE4294967295ELNS1_3gpuE0ELNS1_3repE0EEENS1_30default_config_static_selectorELNS0_4arch9wavefront6targetE0EEEvT1_.num_vgpr, 6
	.set _ZN7rocprim17ROCPRIM_400000_NS6detail17trampoline_kernelINS0_14default_configENS1_35adjacent_difference_config_selectorILb0ElEEZNS1_24adjacent_difference_implIS3_Lb0ELb0EPlS7_N6thrust23THRUST_200600_302600_NS5minusIlEEEE10hipError_tPvRmT2_T3_mT4_P12ihipStream_tbEUlT_E_NS1_11comp_targetILNS1_3genE0ELNS1_11target_archE4294967295ELNS1_3gpuE0ELNS1_3repE0EEENS1_30default_config_static_selectorELNS0_4arch9wavefront6targetE0EEEvT1_.num_agpr, 0
	.set _ZN7rocprim17ROCPRIM_400000_NS6detail17trampoline_kernelINS0_14default_configENS1_35adjacent_difference_config_selectorILb0ElEEZNS1_24adjacent_difference_implIS3_Lb0ELb0EPlS7_N6thrust23THRUST_200600_302600_NS5minusIlEEEE10hipError_tPvRmT2_T3_mT4_P12ihipStream_tbEUlT_E_NS1_11comp_targetILNS1_3genE0ELNS1_11target_archE4294967295ELNS1_3gpuE0ELNS1_3repE0EEENS1_30default_config_static_selectorELNS0_4arch9wavefront6targetE0EEEvT1_.numbered_sgpr, 20
	.set _ZN7rocprim17ROCPRIM_400000_NS6detail17trampoline_kernelINS0_14default_configENS1_35adjacent_difference_config_selectorILb0ElEEZNS1_24adjacent_difference_implIS3_Lb0ELb0EPlS7_N6thrust23THRUST_200600_302600_NS5minusIlEEEE10hipError_tPvRmT2_T3_mT4_P12ihipStream_tbEUlT_E_NS1_11comp_targetILNS1_3genE0ELNS1_11target_archE4294967295ELNS1_3gpuE0ELNS1_3repE0EEENS1_30default_config_static_selectorELNS0_4arch9wavefront6targetE0EEEvT1_.num_named_barrier, 0
	.set _ZN7rocprim17ROCPRIM_400000_NS6detail17trampoline_kernelINS0_14default_configENS1_35adjacent_difference_config_selectorILb0ElEEZNS1_24adjacent_difference_implIS3_Lb0ELb0EPlS7_N6thrust23THRUST_200600_302600_NS5minusIlEEEE10hipError_tPvRmT2_T3_mT4_P12ihipStream_tbEUlT_E_NS1_11comp_targetILNS1_3genE0ELNS1_11target_archE4294967295ELNS1_3gpuE0ELNS1_3repE0EEENS1_30default_config_static_selectorELNS0_4arch9wavefront6targetE0EEEvT1_.private_seg_size, 0
	.set _ZN7rocprim17ROCPRIM_400000_NS6detail17trampoline_kernelINS0_14default_configENS1_35adjacent_difference_config_selectorILb0ElEEZNS1_24adjacent_difference_implIS3_Lb0ELb0EPlS7_N6thrust23THRUST_200600_302600_NS5minusIlEEEE10hipError_tPvRmT2_T3_mT4_P12ihipStream_tbEUlT_E_NS1_11comp_targetILNS1_3genE0ELNS1_11target_archE4294967295ELNS1_3gpuE0ELNS1_3repE0EEENS1_30default_config_static_selectorELNS0_4arch9wavefront6targetE0EEEvT1_.uses_vcc, 1
	.set _ZN7rocprim17ROCPRIM_400000_NS6detail17trampoline_kernelINS0_14default_configENS1_35adjacent_difference_config_selectorILb0ElEEZNS1_24adjacent_difference_implIS3_Lb0ELb0EPlS7_N6thrust23THRUST_200600_302600_NS5minusIlEEEE10hipError_tPvRmT2_T3_mT4_P12ihipStream_tbEUlT_E_NS1_11comp_targetILNS1_3genE0ELNS1_11target_archE4294967295ELNS1_3gpuE0ELNS1_3repE0EEENS1_30default_config_static_selectorELNS0_4arch9wavefront6targetE0EEEvT1_.uses_flat_scratch, 0
	.set _ZN7rocprim17ROCPRIM_400000_NS6detail17trampoline_kernelINS0_14default_configENS1_35adjacent_difference_config_selectorILb0ElEEZNS1_24adjacent_difference_implIS3_Lb0ELb0EPlS7_N6thrust23THRUST_200600_302600_NS5minusIlEEEE10hipError_tPvRmT2_T3_mT4_P12ihipStream_tbEUlT_E_NS1_11comp_targetILNS1_3genE0ELNS1_11target_archE4294967295ELNS1_3gpuE0ELNS1_3repE0EEENS1_30default_config_static_selectorELNS0_4arch9wavefront6targetE0EEEvT1_.has_dyn_sized_stack, 0
	.set _ZN7rocprim17ROCPRIM_400000_NS6detail17trampoline_kernelINS0_14default_configENS1_35adjacent_difference_config_selectorILb0ElEEZNS1_24adjacent_difference_implIS3_Lb0ELb0EPlS7_N6thrust23THRUST_200600_302600_NS5minusIlEEEE10hipError_tPvRmT2_T3_mT4_P12ihipStream_tbEUlT_E_NS1_11comp_targetILNS1_3genE0ELNS1_11target_archE4294967295ELNS1_3gpuE0ELNS1_3repE0EEENS1_30default_config_static_selectorELNS0_4arch9wavefront6targetE0EEEvT1_.has_recursion, 0
	.set _ZN7rocprim17ROCPRIM_400000_NS6detail17trampoline_kernelINS0_14default_configENS1_35adjacent_difference_config_selectorILb0ElEEZNS1_24adjacent_difference_implIS3_Lb0ELb0EPlS7_N6thrust23THRUST_200600_302600_NS5minusIlEEEE10hipError_tPvRmT2_T3_mT4_P12ihipStream_tbEUlT_E_NS1_11comp_targetILNS1_3genE0ELNS1_11target_archE4294967295ELNS1_3gpuE0ELNS1_3repE0EEENS1_30default_config_static_selectorELNS0_4arch9wavefront6targetE0EEEvT1_.has_indirect_call, 0
	.section	.AMDGPU.csdata,"",@progbits
; Kernel info:
; codeLenInByte = 900
; TotalNumSgprs: 22
; NumVgprs: 6
; ScratchSize: 0
; MemoryBound: 0
; FloatMode: 240
; IeeeMode: 1
; LDSByteSize: 2048 bytes/workgroup (compile time only)
; SGPRBlocks: 0
; VGPRBlocks: 0
; NumSGPRsForWavesPerEU: 22
; NumVGPRsForWavesPerEU: 6
; NamedBarCnt: 0
; Occupancy: 16
; WaveLimiterHint : 0
; COMPUTE_PGM_RSRC2:SCRATCH_EN: 0
; COMPUTE_PGM_RSRC2:USER_SGPR: 2
; COMPUTE_PGM_RSRC2:TRAP_HANDLER: 0
; COMPUTE_PGM_RSRC2:TGID_X_EN: 1
; COMPUTE_PGM_RSRC2:TGID_Y_EN: 0
; COMPUTE_PGM_RSRC2:TGID_Z_EN: 0
; COMPUTE_PGM_RSRC2:TIDIG_COMP_CNT: 0
	.section	.text._ZN7rocprim17ROCPRIM_400000_NS6detail17trampoline_kernelINS0_14default_configENS1_35adjacent_difference_config_selectorILb0ElEEZNS1_24adjacent_difference_implIS3_Lb0ELb0EPlS7_N6thrust23THRUST_200600_302600_NS5minusIlEEEE10hipError_tPvRmT2_T3_mT4_P12ihipStream_tbEUlT_E_NS1_11comp_targetILNS1_3genE10ELNS1_11target_archE1201ELNS1_3gpuE5ELNS1_3repE0EEENS1_30default_config_static_selectorELNS0_4arch9wavefront6targetE0EEEvT1_,"axG",@progbits,_ZN7rocprim17ROCPRIM_400000_NS6detail17trampoline_kernelINS0_14default_configENS1_35adjacent_difference_config_selectorILb0ElEEZNS1_24adjacent_difference_implIS3_Lb0ELb0EPlS7_N6thrust23THRUST_200600_302600_NS5minusIlEEEE10hipError_tPvRmT2_T3_mT4_P12ihipStream_tbEUlT_E_NS1_11comp_targetILNS1_3genE10ELNS1_11target_archE1201ELNS1_3gpuE5ELNS1_3repE0EEENS1_30default_config_static_selectorELNS0_4arch9wavefront6targetE0EEEvT1_,comdat
	.protected	_ZN7rocprim17ROCPRIM_400000_NS6detail17trampoline_kernelINS0_14default_configENS1_35adjacent_difference_config_selectorILb0ElEEZNS1_24adjacent_difference_implIS3_Lb0ELb0EPlS7_N6thrust23THRUST_200600_302600_NS5minusIlEEEE10hipError_tPvRmT2_T3_mT4_P12ihipStream_tbEUlT_E_NS1_11comp_targetILNS1_3genE10ELNS1_11target_archE1201ELNS1_3gpuE5ELNS1_3repE0EEENS1_30default_config_static_selectorELNS0_4arch9wavefront6targetE0EEEvT1_ ; -- Begin function _ZN7rocprim17ROCPRIM_400000_NS6detail17trampoline_kernelINS0_14default_configENS1_35adjacent_difference_config_selectorILb0ElEEZNS1_24adjacent_difference_implIS3_Lb0ELb0EPlS7_N6thrust23THRUST_200600_302600_NS5minusIlEEEE10hipError_tPvRmT2_T3_mT4_P12ihipStream_tbEUlT_E_NS1_11comp_targetILNS1_3genE10ELNS1_11target_archE1201ELNS1_3gpuE5ELNS1_3repE0EEENS1_30default_config_static_selectorELNS0_4arch9wavefront6targetE0EEEvT1_
	.globl	_ZN7rocprim17ROCPRIM_400000_NS6detail17trampoline_kernelINS0_14default_configENS1_35adjacent_difference_config_selectorILb0ElEEZNS1_24adjacent_difference_implIS3_Lb0ELb0EPlS7_N6thrust23THRUST_200600_302600_NS5minusIlEEEE10hipError_tPvRmT2_T3_mT4_P12ihipStream_tbEUlT_E_NS1_11comp_targetILNS1_3genE10ELNS1_11target_archE1201ELNS1_3gpuE5ELNS1_3repE0EEENS1_30default_config_static_selectorELNS0_4arch9wavefront6targetE0EEEvT1_
	.p2align	8
	.type	_ZN7rocprim17ROCPRIM_400000_NS6detail17trampoline_kernelINS0_14default_configENS1_35adjacent_difference_config_selectorILb0ElEEZNS1_24adjacent_difference_implIS3_Lb0ELb0EPlS7_N6thrust23THRUST_200600_302600_NS5minusIlEEEE10hipError_tPvRmT2_T3_mT4_P12ihipStream_tbEUlT_E_NS1_11comp_targetILNS1_3genE10ELNS1_11target_archE1201ELNS1_3gpuE5ELNS1_3repE0EEENS1_30default_config_static_selectorELNS0_4arch9wavefront6targetE0EEEvT1_,@function
_ZN7rocprim17ROCPRIM_400000_NS6detail17trampoline_kernelINS0_14default_configENS1_35adjacent_difference_config_selectorILb0ElEEZNS1_24adjacent_difference_implIS3_Lb0ELb0EPlS7_N6thrust23THRUST_200600_302600_NS5minusIlEEEE10hipError_tPvRmT2_T3_mT4_P12ihipStream_tbEUlT_E_NS1_11comp_targetILNS1_3genE10ELNS1_11target_archE1201ELNS1_3gpuE5ELNS1_3repE0EEENS1_30default_config_static_selectorELNS0_4arch9wavefront6targetE0EEEvT1_: ; @_ZN7rocprim17ROCPRIM_400000_NS6detail17trampoline_kernelINS0_14default_configENS1_35adjacent_difference_config_selectorILb0ElEEZNS1_24adjacent_difference_implIS3_Lb0ELb0EPlS7_N6thrust23THRUST_200600_302600_NS5minusIlEEEE10hipError_tPvRmT2_T3_mT4_P12ihipStream_tbEUlT_E_NS1_11comp_targetILNS1_3genE10ELNS1_11target_archE1201ELNS1_3gpuE5ELNS1_3repE0EEENS1_30default_config_static_selectorELNS0_4arch9wavefront6targetE0EEEvT1_
; %bb.0:
	.section	.rodata,"a",@progbits
	.p2align	6, 0x0
	.amdhsa_kernel _ZN7rocprim17ROCPRIM_400000_NS6detail17trampoline_kernelINS0_14default_configENS1_35adjacent_difference_config_selectorILb0ElEEZNS1_24adjacent_difference_implIS3_Lb0ELb0EPlS7_N6thrust23THRUST_200600_302600_NS5minusIlEEEE10hipError_tPvRmT2_T3_mT4_P12ihipStream_tbEUlT_E_NS1_11comp_targetILNS1_3genE10ELNS1_11target_archE1201ELNS1_3gpuE5ELNS1_3repE0EEENS1_30default_config_static_selectorELNS0_4arch9wavefront6targetE0EEEvT1_
		.amdhsa_group_segment_fixed_size 0
		.amdhsa_private_segment_fixed_size 0
		.amdhsa_kernarg_size 56
		.amdhsa_user_sgpr_count 2
		.amdhsa_user_sgpr_dispatch_ptr 0
		.amdhsa_user_sgpr_queue_ptr 0
		.amdhsa_user_sgpr_kernarg_segment_ptr 1
		.amdhsa_user_sgpr_dispatch_id 0
		.amdhsa_user_sgpr_kernarg_preload_length 0
		.amdhsa_user_sgpr_kernarg_preload_offset 0
		.amdhsa_user_sgpr_private_segment_size 0
		.amdhsa_wavefront_size32 1
		.amdhsa_uses_dynamic_stack 0
		.amdhsa_enable_private_segment 0
		.amdhsa_system_sgpr_workgroup_id_x 1
		.amdhsa_system_sgpr_workgroup_id_y 0
		.amdhsa_system_sgpr_workgroup_id_z 0
		.amdhsa_system_sgpr_workgroup_info 0
		.amdhsa_system_vgpr_workitem_id 0
		.amdhsa_next_free_vgpr 1
		.amdhsa_next_free_sgpr 1
		.amdhsa_named_barrier_count 0
		.amdhsa_reserve_vcc 0
		.amdhsa_float_round_mode_32 0
		.amdhsa_float_round_mode_16_64 0
		.amdhsa_float_denorm_mode_32 3
		.amdhsa_float_denorm_mode_16_64 3
		.amdhsa_fp16_overflow 0
		.amdhsa_memory_ordered 1
		.amdhsa_forward_progress 1
		.amdhsa_inst_pref_size 0
		.amdhsa_round_robin_scheduling 0
		.amdhsa_exception_fp_ieee_invalid_op 0
		.amdhsa_exception_fp_denorm_src 0
		.amdhsa_exception_fp_ieee_div_zero 0
		.amdhsa_exception_fp_ieee_overflow 0
		.amdhsa_exception_fp_ieee_underflow 0
		.amdhsa_exception_fp_ieee_inexact 0
		.amdhsa_exception_int_div_zero 0
	.end_amdhsa_kernel
	.section	.text._ZN7rocprim17ROCPRIM_400000_NS6detail17trampoline_kernelINS0_14default_configENS1_35adjacent_difference_config_selectorILb0ElEEZNS1_24adjacent_difference_implIS3_Lb0ELb0EPlS7_N6thrust23THRUST_200600_302600_NS5minusIlEEEE10hipError_tPvRmT2_T3_mT4_P12ihipStream_tbEUlT_E_NS1_11comp_targetILNS1_3genE10ELNS1_11target_archE1201ELNS1_3gpuE5ELNS1_3repE0EEENS1_30default_config_static_selectorELNS0_4arch9wavefront6targetE0EEEvT1_,"axG",@progbits,_ZN7rocprim17ROCPRIM_400000_NS6detail17trampoline_kernelINS0_14default_configENS1_35adjacent_difference_config_selectorILb0ElEEZNS1_24adjacent_difference_implIS3_Lb0ELb0EPlS7_N6thrust23THRUST_200600_302600_NS5minusIlEEEE10hipError_tPvRmT2_T3_mT4_P12ihipStream_tbEUlT_E_NS1_11comp_targetILNS1_3genE10ELNS1_11target_archE1201ELNS1_3gpuE5ELNS1_3repE0EEENS1_30default_config_static_selectorELNS0_4arch9wavefront6targetE0EEEvT1_,comdat
.Lfunc_end237:
	.size	_ZN7rocprim17ROCPRIM_400000_NS6detail17trampoline_kernelINS0_14default_configENS1_35adjacent_difference_config_selectorILb0ElEEZNS1_24adjacent_difference_implIS3_Lb0ELb0EPlS7_N6thrust23THRUST_200600_302600_NS5minusIlEEEE10hipError_tPvRmT2_T3_mT4_P12ihipStream_tbEUlT_E_NS1_11comp_targetILNS1_3genE10ELNS1_11target_archE1201ELNS1_3gpuE5ELNS1_3repE0EEENS1_30default_config_static_selectorELNS0_4arch9wavefront6targetE0EEEvT1_, .Lfunc_end237-_ZN7rocprim17ROCPRIM_400000_NS6detail17trampoline_kernelINS0_14default_configENS1_35adjacent_difference_config_selectorILb0ElEEZNS1_24adjacent_difference_implIS3_Lb0ELb0EPlS7_N6thrust23THRUST_200600_302600_NS5minusIlEEEE10hipError_tPvRmT2_T3_mT4_P12ihipStream_tbEUlT_E_NS1_11comp_targetILNS1_3genE10ELNS1_11target_archE1201ELNS1_3gpuE5ELNS1_3repE0EEENS1_30default_config_static_selectorELNS0_4arch9wavefront6targetE0EEEvT1_
                                        ; -- End function
	.set _ZN7rocprim17ROCPRIM_400000_NS6detail17trampoline_kernelINS0_14default_configENS1_35adjacent_difference_config_selectorILb0ElEEZNS1_24adjacent_difference_implIS3_Lb0ELb0EPlS7_N6thrust23THRUST_200600_302600_NS5minusIlEEEE10hipError_tPvRmT2_T3_mT4_P12ihipStream_tbEUlT_E_NS1_11comp_targetILNS1_3genE10ELNS1_11target_archE1201ELNS1_3gpuE5ELNS1_3repE0EEENS1_30default_config_static_selectorELNS0_4arch9wavefront6targetE0EEEvT1_.num_vgpr, 0
	.set _ZN7rocprim17ROCPRIM_400000_NS6detail17trampoline_kernelINS0_14default_configENS1_35adjacent_difference_config_selectorILb0ElEEZNS1_24adjacent_difference_implIS3_Lb0ELb0EPlS7_N6thrust23THRUST_200600_302600_NS5minusIlEEEE10hipError_tPvRmT2_T3_mT4_P12ihipStream_tbEUlT_E_NS1_11comp_targetILNS1_3genE10ELNS1_11target_archE1201ELNS1_3gpuE5ELNS1_3repE0EEENS1_30default_config_static_selectorELNS0_4arch9wavefront6targetE0EEEvT1_.num_agpr, 0
	.set _ZN7rocprim17ROCPRIM_400000_NS6detail17trampoline_kernelINS0_14default_configENS1_35adjacent_difference_config_selectorILb0ElEEZNS1_24adjacent_difference_implIS3_Lb0ELb0EPlS7_N6thrust23THRUST_200600_302600_NS5minusIlEEEE10hipError_tPvRmT2_T3_mT4_P12ihipStream_tbEUlT_E_NS1_11comp_targetILNS1_3genE10ELNS1_11target_archE1201ELNS1_3gpuE5ELNS1_3repE0EEENS1_30default_config_static_selectorELNS0_4arch9wavefront6targetE0EEEvT1_.numbered_sgpr, 0
	.set _ZN7rocprim17ROCPRIM_400000_NS6detail17trampoline_kernelINS0_14default_configENS1_35adjacent_difference_config_selectorILb0ElEEZNS1_24adjacent_difference_implIS3_Lb0ELb0EPlS7_N6thrust23THRUST_200600_302600_NS5minusIlEEEE10hipError_tPvRmT2_T3_mT4_P12ihipStream_tbEUlT_E_NS1_11comp_targetILNS1_3genE10ELNS1_11target_archE1201ELNS1_3gpuE5ELNS1_3repE0EEENS1_30default_config_static_selectorELNS0_4arch9wavefront6targetE0EEEvT1_.num_named_barrier, 0
	.set _ZN7rocprim17ROCPRIM_400000_NS6detail17trampoline_kernelINS0_14default_configENS1_35adjacent_difference_config_selectorILb0ElEEZNS1_24adjacent_difference_implIS3_Lb0ELb0EPlS7_N6thrust23THRUST_200600_302600_NS5minusIlEEEE10hipError_tPvRmT2_T3_mT4_P12ihipStream_tbEUlT_E_NS1_11comp_targetILNS1_3genE10ELNS1_11target_archE1201ELNS1_3gpuE5ELNS1_3repE0EEENS1_30default_config_static_selectorELNS0_4arch9wavefront6targetE0EEEvT1_.private_seg_size, 0
	.set _ZN7rocprim17ROCPRIM_400000_NS6detail17trampoline_kernelINS0_14default_configENS1_35adjacent_difference_config_selectorILb0ElEEZNS1_24adjacent_difference_implIS3_Lb0ELb0EPlS7_N6thrust23THRUST_200600_302600_NS5minusIlEEEE10hipError_tPvRmT2_T3_mT4_P12ihipStream_tbEUlT_E_NS1_11comp_targetILNS1_3genE10ELNS1_11target_archE1201ELNS1_3gpuE5ELNS1_3repE0EEENS1_30default_config_static_selectorELNS0_4arch9wavefront6targetE0EEEvT1_.uses_vcc, 0
	.set _ZN7rocprim17ROCPRIM_400000_NS6detail17trampoline_kernelINS0_14default_configENS1_35adjacent_difference_config_selectorILb0ElEEZNS1_24adjacent_difference_implIS3_Lb0ELb0EPlS7_N6thrust23THRUST_200600_302600_NS5minusIlEEEE10hipError_tPvRmT2_T3_mT4_P12ihipStream_tbEUlT_E_NS1_11comp_targetILNS1_3genE10ELNS1_11target_archE1201ELNS1_3gpuE5ELNS1_3repE0EEENS1_30default_config_static_selectorELNS0_4arch9wavefront6targetE0EEEvT1_.uses_flat_scratch, 0
	.set _ZN7rocprim17ROCPRIM_400000_NS6detail17trampoline_kernelINS0_14default_configENS1_35adjacent_difference_config_selectorILb0ElEEZNS1_24adjacent_difference_implIS3_Lb0ELb0EPlS7_N6thrust23THRUST_200600_302600_NS5minusIlEEEE10hipError_tPvRmT2_T3_mT4_P12ihipStream_tbEUlT_E_NS1_11comp_targetILNS1_3genE10ELNS1_11target_archE1201ELNS1_3gpuE5ELNS1_3repE0EEENS1_30default_config_static_selectorELNS0_4arch9wavefront6targetE0EEEvT1_.has_dyn_sized_stack, 0
	.set _ZN7rocprim17ROCPRIM_400000_NS6detail17trampoline_kernelINS0_14default_configENS1_35adjacent_difference_config_selectorILb0ElEEZNS1_24adjacent_difference_implIS3_Lb0ELb0EPlS7_N6thrust23THRUST_200600_302600_NS5minusIlEEEE10hipError_tPvRmT2_T3_mT4_P12ihipStream_tbEUlT_E_NS1_11comp_targetILNS1_3genE10ELNS1_11target_archE1201ELNS1_3gpuE5ELNS1_3repE0EEENS1_30default_config_static_selectorELNS0_4arch9wavefront6targetE0EEEvT1_.has_recursion, 0
	.set _ZN7rocprim17ROCPRIM_400000_NS6detail17trampoline_kernelINS0_14default_configENS1_35adjacent_difference_config_selectorILb0ElEEZNS1_24adjacent_difference_implIS3_Lb0ELb0EPlS7_N6thrust23THRUST_200600_302600_NS5minusIlEEEE10hipError_tPvRmT2_T3_mT4_P12ihipStream_tbEUlT_E_NS1_11comp_targetILNS1_3genE10ELNS1_11target_archE1201ELNS1_3gpuE5ELNS1_3repE0EEENS1_30default_config_static_selectorELNS0_4arch9wavefront6targetE0EEEvT1_.has_indirect_call, 0
	.section	.AMDGPU.csdata,"",@progbits
; Kernel info:
; codeLenInByte = 0
; TotalNumSgprs: 0
; NumVgprs: 0
; ScratchSize: 0
; MemoryBound: 0
; FloatMode: 240
; IeeeMode: 1
; LDSByteSize: 0 bytes/workgroup (compile time only)
; SGPRBlocks: 0
; VGPRBlocks: 0
; NumSGPRsForWavesPerEU: 1
; NumVGPRsForWavesPerEU: 1
; NamedBarCnt: 0
; Occupancy: 16
; WaveLimiterHint : 0
; COMPUTE_PGM_RSRC2:SCRATCH_EN: 0
; COMPUTE_PGM_RSRC2:USER_SGPR: 2
; COMPUTE_PGM_RSRC2:TRAP_HANDLER: 0
; COMPUTE_PGM_RSRC2:TGID_X_EN: 1
; COMPUTE_PGM_RSRC2:TGID_Y_EN: 0
; COMPUTE_PGM_RSRC2:TGID_Z_EN: 0
; COMPUTE_PGM_RSRC2:TIDIG_COMP_CNT: 0
	.section	.text._ZN7rocprim17ROCPRIM_400000_NS6detail17trampoline_kernelINS0_14default_configENS1_35adjacent_difference_config_selectorILb0ElEEZNS1_24adjacent_difference_implIS3_Lb0ELb0EPlS7_N6thrust23THRUST_200600_302600_NS5minusIlEEEE10hipError_tPvRmT2_T3_mT4_P12ihipStream_tbEUlT_E_NS1_11comp_targetILNS1_3genE5ELNS1_11target_archE942ELNS1_3gpuE9ELNS1_3repE0EEENS1_30default_config_static_selectorELNS0_4arch9wavefront6targetE0EEEvT1_,"axG",@progbits,_ZN7rocprim17ROCPRIM_400000_NS6detail17trampoline_kernelINS0_14default_configENS1_35adjacent_difference_config_selectorILb0ElEEZNS1_24adjacent_difference_implIS3_Lb0ELb0EPlS7_N6thrust23THRUST_200600_302600_NS5minusIlEEEE10hipError_tPvRmT2_T3_mT4_P12ihipStream_tbEUlT_E_NS1_11comp_targetILNS1_3genE5ELNS1_11target_archE942ELNS1_3gpuE9ELNS1_3repE0EEENS1_30default_config_static_selectorELNS0_4arch9wavefront6targetE0EEEvT1_,comdat
	.protected	_ZN7rocprim17ROCPRIM_400000_NS6detail17trampoline_kernelINS0_14default_configENS1_35adjacent_difference_config_selectorILb0ElEEZNS1_24adjacent_difference_implIS3_Lb0ELb0EPlS7_N6thrust23THRUST_200600_302600_NS5minusIlEEEE10hipError_tPvRmT2_T3_mT4_P12ihipStream_tbEUlT_E_NS1_11comp_targetILNS1_3genE5ELNS1_11target_archE942ELNS1_3gpuE9ELNS1_3repE0EEENS1_30default_config_static_selectorELNS0_4arch9wavefront6targetE0EEEvT1_ ; -- Begin function _ZN7rocprim17ROCPRIM_400000_NS6detail17trampoline_kernelINS0_14default_configENS1_35adjacent_difference_config_selectorILb0ElEEZNS1_24adjacent_difference_implIS3_Lb0ELb0EPlS7_N6thrust23THRUST_200600_302600_NS5minusIlEEEE10hipError_tPvRmT2_T3_mT4_P12ihipStream_tbEUlT_E_NS1_11comp_targetILNS1_3genE5ELNS1_11target_archE942ELNS1_3gpuE9ELNS1_3repE0EEENS1_30default_config_static_selectorELNS0_4arch9wavefront6targetE0EEEvT1_
	.globl	_ZN7rocprim17ROCPRIM_400000_NS6detail17trampoline_kernelINS0_14default_configENS1_35adjacent_difference_config_selectorILb0ElEEZNS1_24adjacent_difference_implIS3_Lb0ELb0EPlS7_N6thrust23THRUST_200600_302600_NS5minusIlEEEE10hipError_tPvRmT2_T3_mT4_P12ihipStream_tbEUlT_E_NS1_11comp_targetILNS1_3genE5ELNS1_11target_archE942ELNS1_3gpuE9ELNS1_3repE0EEENS1_30default_config_static_selectorELNS0_4arch9wavefront6targetE0EEEvT1_
	.p2align	8
	.type	_ZN7rocprim17ROCPRIM_400000_NS6detail17trampoline_kernelINS0_14default_configENS1_35adjacent_difference_config_selectorILb0ElEEZNS1_24adjacent_difference_implIS3_Lb0ELb0EPlS7_N6thrust23THRUST_200600_302600_NS5minusIlEEEE10hipError_tPvRmT2_T3_mT4_P12ihipStream_tbEUlT_E_NS1_11comp_targetILNS1_3genE5ELNS1_11target_archE942ELNS1_3gpuE9ELNS1_3repE0EEENS1_30default_config_static_selectorELNS0_4arch9wavefront6targetE0EEEvT1_,@function
_ZN7rocprim17ROCPRIM_400000_NS6detail17trampoline_kernelINS0_14default_configENS1_35adjacent_difference_config_selectorILb0ElEEZNS1_24adjacent_difference_implIS3_Lb0ELb0EPlS7_N6thrust23THRUST_200600_302600_NS5minusIlEEEE10hipError_tPvRmT2_T3_mT4_P12ihipStream_tbEUlT_E_NS1_11comp_targetILNS1_3genE5ELNS1_11target_archE942ELNS1_3gpuE9ELNS1_3repE0EEENS1_30default_config_static_selectorELNS0_4arch9wavefront6targetE0EEEvT1_: ; @_ZN7rocprim17ROCPRIM_400000_NS6detail17trampoline_kernelINS0_14default_configENS1_35adjacent_difference_config_selectorILb0ElEEZNS1_24adjacent_difference_implIS3_Lb0ELb0EPlS7_N6thrust23THRUST_200600_302600_NS5minusIlEEEE10hipError_tPvRmT2_T3_mT4_P12ihipStream_tbEUlT_E_NS1_11comp_targetILNS1_3genE5ELNS1_11target_archE942ELNS1_3gpuE9ELNS1_3repE0EEENS1_30default_config_static_selectorELNS0_4arch9wavefront6targetE0EEEvT1_
; %bb.0:
	.section	.rodata,"a",@progbits
	.p2align	6, 0x0
	.amdhsa_kernel _ZN7rocprim17ROCPRIM_400000_NS6detail17trampoline_kernelINS0_14default_configENS1_35adjacent_difference_config_selectorILb0ElEEZNS1_24adjacent_difference_implIS3_Lb0ELb0EPlS7_N6thrust23THRUST_200600_302600_NS5minusIlEEEE10hipError_tPvRmT2_T3_mT4_P12ihipStream_tbEUlT_E_NS1_11comp_targetILNS1_3genE5ELNS1_11target_archE942ELNS1_3gpuE9ELNS1_3repE0EEENS1_30default_config_static_selectorELNS0_4arch9wavefront6targetE0EEEvT1_
		.amdhsa_group_segment_fixed_size 0
		.amdhsa_private_segment_fixed_size 0
		.amdhsa_kernarg_size 56
		.amdhsa_user_sgpr_count 2
		.amdhsa_user_sgpr_dispatch_ptr 0
		.amdhsa_user_sgpr_queue_ptr 0
		.amdhsa_user_sgpr_kernarg_segment_ptr 1
		.amdhsa_user_sgpr_dispatch_id 0
		.amdhsa_user_sgpr_kernarg_preload_length 0
		.amdhsa_user_sgpr_kernarg_preload_offset 0
		.amdhsa_user_sgpr_private_segment_size 0
		.amdhsa_wavefront_size32 1
		.amdhsa_uses_dynamic_stack 0
		.amdhsa_enable_private_segment 0
		.amdhsa_system_sgpr_workgroup_id_x 1
		.amdhsa_system_sgpr_workgroup_id_y 0
		.amdhsa_system_sgpr_workgroup_id_z 0
		.amdhsa_system_sgpr_workgroup_info 0
		.amdhsa_system_vgpr_workitem_id 0
		.amdhsa_next_free_vgpr 1
		.amdhsa_next_free_sgpr 1
		.amdhsa_named_barrier_count 0
		.amdhsa_reserve_vcc 0
		.amdhsa_float_round_mode_32 0
		.amdhsa_float_round_mode_16_64 0
		.amdhsa_float_denorm_mode_32 3
		.amdhsa_float_denorm_mode_16_64 3
		.amdhsa_fp16_overflow 0
		.amdhsa_memory_ordered 1
		.amdhsa_forward_progress 1
		.amdhsa_inst_pref_size 0
		.amdhsa_round_robin_scheduling 0
		.amdhsa_exception_fp_ieee_invalid_op 0
		.amdhsa_exception_fp_denorm_src 0
		.amdhsa_exception_fp_ieee_div_zero 0
		.amdhsa_exception_fp_ieee_overflow 0
		.amdhsa_exception_fp_ieee_underflow 0
		.amdhsa_exception_fp_ieee_inexact 0
		.amdhsa_exception_int_div_zero 0
	.end_amdhsa_kernel
	.section	.text._ZN7rocprim17ROCPRIM_400000_NS6detail17trampoline_kernelINS0_14default_configENS1_35adjacent_difference_config_selectorILb0ElEEZNS1_24adjacent_difference_implIS3_Lb0ELb0EPlS7_N6thrust23THRUST_200600_302600_NS5minusIlEEEE10hipError_tPvRmT2_T3_mT4_P12ihipStream_tbEUlT_E_NS1_11comp_targetILNS1_3genE5ELNS1_11target_archE942ELNS1_3gpuE9ELNS1_3repE0EEENS1_30default_config_static_selectorELNS0_4arch9wavefront6targetE0EEEvT1_,"axG",@progbits,_ZN7rocprim17ROCPRIM_400000_NS6detail17trampoline_kernelINS0_14default_configENS1_35adjacent_difference_config_selectorILb0ElEEZNS1_24adjacent_difference_implIS3_Lb0ELb0EPlS7_N6thrust23THRUST_200600_302600_NS5minusIlEEEE10hipError_tPvRmT2_T3_mT4_P12ihipStream_tbEUlT_E_NS1_11comp_targetILNS1_3genE5ELNS1_11target_archE942ELNS1_3gpuE9ELNS1_3repE0EEENS1_30default_config_static_selectorELNS0_4arch9wavefront6targetE0EEEvT1_,comdat
.Lfunc_end238:
	.size	_ZN7rocprim17ROCPRIM_400000_NS6detail17trampoline_kernelINS0_14default_configENS1_35adjacent_difference_config_selectorILb0ElEEZNS1_24adjacent_difference_implIS3_Lb0ELb0EPlS7_N6thrust23THRUST_200600_302600_NS5minusIlEEEE10hipError_tPvRmT2_T3_mT4_P12ihipStream_tbEUlT_E_NS1_11comp_targetILNS1_3genE5ELNS1_11target_archE942ELNS1_3gpuE9ELNS1_3repE0EEENS1_30default_config_static_selectorELNS0_4arch9wavefront6targetE0EEEvT1_, .Lfunc_end238-_ZN7rocprim17ROCPRIM_400000_NS6detail17trampoline_kernelINS0_14default_configENS1_35adjacent_difference_config_selectorILb0ElEEZNS1_24adjacent_difference_implIS3_Lb0ELb0EPlS7_N6thrust23THRUST_200600_302600_NS5minusIlEEEE10hipError_tPvRmT2_T3_mT4_P12ihipStream_tbEUlT_E_NS1_11comp_targetILNS1_3genE5ELNS1_11target_archE942ELNS1_3gpuE9ELNS1_3repE0EEENS1_30default_config_static_selectorELNS0_4arch9wavefront6targetE0EEEvT1_
                                        ; -- End function
	.set _ZN7rocprim17ROCPRIM_400000_NS6detail17trampoline_kernelINS0_14default_configENS1_35adjacent_difference_config_selectorILb0ElEEZNS1_24adjacent_difference_implIS3_Lb0ELb0EPlS7_N6thrust23THRUST_200600_302600_NS5minusIlEEEE10hipError_tPvRmT2_T3_mT4_P12ihipStream_tbEUlT_E_NS1_11comp_targetILNS1_3genE5ELNS1_11target_archE942ELNS1_3gpuE9ELNS1_3repE0EEENS1_30default_config_static_selectorELNS0_4arch9wavefront6targetE0EEEvT1_.num_vgpr, 0
	.set _ZN7rocprim17ROCPRIM_400000_NS6detail17trampoline_kernelINS0_14default_configENS1_35adjacent_difference_config_selectorILb0ElEEZNS1_24adjacent_difference_implIS3_Lb0ELb0EPlS7_N6thrust23THRUST_200600_302600_NS5minusIlEEEE10hipError_tPvRmT2_T3_mT4_P12ihipStream_tbEUlT_E_NS1_11comp_targetILNS1_3genE5ELNS1_11target_archE942ELNS1_3gpuE9ELNS1_3repE0EEENS1_30default_config_static_selectorELNS0_4arch9wavefront6targetE0EEEvT1_.num_agpr, 0
	.set _ZN7rocprim17ROCPRIM_400000_NS6detail17trampoline_kernelINS0_14default_configENS1_35adjacent_difference_config_selectorILb0ElEEZNS1_24adjacent_difference_implIS3_Lb0ELb0EPlS7_N6thrust23THRUST_200600_302600_NS5minusIlEEEE10hipError_tPvRmT2_T3_mT4_P12ihipStream_tbEUlT_E_NS1_11comp_targetILNS1_3genE5ELNS1_11target_archE942ELNS1_3gpuE9ELNS1_3repE0EEENS1_30default_config_static_selectorELNS0_4arch9wavefront6targetE0EEEvT1_.numbered_sgpr, 0
	.set _ZN7rocprim17ROCPRIM_400000_NS6detail17trampoline_kernelINS0_14default_configENS1_35adjacent_difference_config_selectorILb0ElEEZNS1_24adjacent_difference_implIS3_Lb0ELb0EPlS7_N6thrust23THRUST_200600_302600_NS5minusIlEEEE10hipError_tPvRmT2_T3_mT4_P12ihipStream_tbEUlT_E_NS1_11comp_targetILNS1_3genE5ELNS1_11target_archE942ELNS1_3gpuE9ELNS1_3repE0EEENS1_30default_config_static_selectorELNS0_4arch9wavefront6targetE0EEEvT1_.num_named_barrier, 0
	.set _ZN7rocprim17ROCPRIM_400000_NS6detail17trampoline_kernelINS0_14default_configENS1_35adjacent_difference_config_selectorILb0ElEEZNS1_24adjacent_difference_implIS3_Lb0ELb0EPlS7_N6thrust23THRUST_200600_302600_NS5minusIlEEEE10hipError_tPvRmT2_T3_mT4_P12ihipStream_tbEUlT_E_NS1_11comp_targetILNS1_3genE5ELNS1_11target_archE942ELNS1_3gpuE9ELNS1_3repE0EEENS1_30default_config_static_selectorELNS0_4arch9wavefront6targetE0EEEvT1_.private_seg_size, 0
	.set _ZN7rocprim17ROCPRIM_400000_NS6detail17trampoline_kernelINS0_14default_configENS1_35adjacent_difference_config_selectorILb0ElEEZNS1_24adjacent_difference_implIS3_Lb0ELb0EPlS7_N6thrust23THRUST_200600_302600_NS5minusIlEEEE10hipError_tPvRmT2_T3_mT4_P12ihipStream_tbEUlT_E_NS1_11comp_targetILNS1_3genE5ELNS1_11target_archE942ELNS1_3gpuE9ELNS1_3repE0EEENS1_30default_config_static_selectorELNS0_4arch9wavefront6targetE0EEEvT1_.uses_vcc, 0
	.set _ZN7rocprim17ROCPRIM_400000_NS6detail17trampoline_kernelINS0_14default_configENS1_35adjacent_difference_config_selectorILb0ElEEZNS1_24adjacent_difference_implIS3_Lb0ELb0EPlS7_N6thrust23THRUST_200600_302600_NS5minusIlEEEE10hipError_tPvRmT2_T3_mT4_P12ihipStream_tbEUlT_E_NS1_11comp_targetILNS1_3genE5ELNS1_11target_archE942ELNS1_3gpuE9ELNS1_3repE0EEENS1_30default_config_static_selectorELNS0_4arch9wavefront6targetE0EEEvT1_.uses_flat_scratch, 0
	.set _ZN7rocprim17ROCPRIM_400000_NS6detail17trampoline_kernelINS0_14default_configENS1_35adjacent_difference_config_selectorILb0ElEEZNS1_24adjacent_difference_implIS3_Lb0ELb0EPlS7_N6thrust23THRUST_200600_302600_NS5minusIlEEEE10hipError_tPvRmT2_T3_mT4_P12ihipStream_tbEUlT_E_NS1_11comp_targetILNS1_3genE5ELNS1_11target_archE942ELNS1_3gpuE9ELNS1_3repE0EEENS1_30default_config_static_selectorELNS0_4arch9wavefront6targetE0EEEvT1_.has_dyn_sized_stack, 0
	.set _ZN7rocprim17ROCPRIM_400000_NS6detail17trampoline_kernelINS0_14default_configENS1_35adjacent_difference_config_selectorILb0ElEEZNS1_24adjacent_difference_implIS3_Lb0ELb0EPlS7_N6thrust23THRUST_200600_302600_NS5minusIlEEEE10hipError_tPvRmT2_T3_mT4_P12ihipStream_tbEUlT_E_NS1_11comp_targetILNS1_3genE5ELNS1_11target_archE942ELNS1_3gpuE9ELNS1_3repE0EEENS1_30default_config_static_selectorELNS0_4arch9wavefront6targetE0EEEvT1_.has_recursion, 0
	.set _ZN7rocprim17ROCPRIM_400000_NS6detail17trampoline_kernelINS0_14default_configENS1_35adjacent_difference_config_selectorILb0ElEEZNS1_24adjacent_difference_implIS3_Lb0ELb0EPlS7_N6thrust23THRUST_200600_302600_NS5minusIlEEEE10hipError_tPvRmT2_T3_mT4_P12ihipStream_tbEUlT_E_NS1_11comp_targetILNS1_3genE5ELNS1_11target_archE942ELNS1_3gpuE9ELNS1_3repE0EEENS1_30default_config_static_selectorELNS0_4arch9wavefront6targetE0EEEvT1_.has_indirect_call, 0
	.section	.AMDGPU.csdata,"",@progbits
; Kernel info:
; codeLenInByte = 0
; TotalNumSgprs: 0
; NumVgprs: 0
; ScratchSize: 0
; MemoryBound: 0
; FloatMode: 240
; IeeeMode: 1
; LDSByteSize: 0 bytes/workgroup (compile time only)
; SGPRBlocks: 0
; VGPRBlocks: 0
; NumSGPRsForWavesPerEU: 1
; NumVGPRsForWavesPerEU: 1
; NamedBarCnt: 0
; Occupancy: 16
; WaveLimiterHint : 0
; COMPUTE_PGM_RSRC2:SCRATCH_EN: 0
; COMPUTE_PGM_RSRC2:USER_SGPR: 2
; COMPUTE_PGM_RSRC2:TRAP_HANDLER: 0
; COMPUTE_PGM_RSRC2:TGID_X_EN: 1
; COMPUTE_PGM_RSRC2:TGID_Y_EN: 0
; COMPUTE_PGM_RSRC2:TGID_Z_EN: 0
; COMPUTE_PGM_RSRC2:TIDIG_COMP_CNT: 0
	.section	.text._ZN7rocprim17ROCPRIM_400000_NS6detail17trampoline_kernelINS0_14default_configENS1_35adjacent_difference_config_selectorILb0ElEEZNS1_24adjacent_difference_implIS3_Lb0ELb0EPlS7_N6thrust23THRUST_200600_302600_NS5minusIlEEEE10hipError_tPvRmT2_T3_mT4_P12ihipStream_tbEUlT_E_NS1_11comp_targetILNS1_3genE4ELNS1_11target_archE910ELNS1_3gpuE8ELNS1_3repE0EEENS1_30default_config_static_selectorELNS0_4arch9wavefront6targetE0EEEvT1_,"axG",@progbits,_ZN7rocprim17ROCPRIM_400000_NS6detail17trampoline_kernelINS0_14default_configENS1_35adjacent_difference_config_selectorILb0ElEEZNS1_24adjacent_difference_implIS3_Lb0ELb0EPlS7_N6thrust23THRUST_200600_302600_NS5minusIlEEEE10hipError_tPvRmT2_T3_mT4_P12ihipStream_tbEUlT_E_NS1_11comp_targetILNS1_3genE4ELNS1_11target_archE910ELNS1_3gpuE8ELNS1_3repE0EEENS1_30default_config_static_selectorELNS0_4arch9wavefront6targetE0EEEvT1_,comdat
	.protected	_ZN7rocprim17ROCPRIM_400000_NS6detail17trampoline_kernelINS0_14default_configENS1_35adjacent_difference_config_selectorILb0ElEEZNS1_24adjacent_difference_implIS3_Lb0ELb0EPlS7_N6thrust23THRUST_200600_302600_NS5minusIlEEEE10hipError_tPvRmT2_T3_mT4_P12ihipStream_tbEUlT_E_NS1_11comp_targetILNS1_3genE4ELNS1_11target_archE910ELNS1_3gpuE8ELNS1_3repE0EEENS1_30default_config_static_selectorELNS0_4arch9wavefront6targetE0EEEvT1_ ; -- Begin function _ZN7rocprim17ROCPRIM_400000_NS6detail17trampoline_kernelINS0_14default_configENS1_35adjacent_difference_config_selectorILb0ElEEZNS1_24adjacent_difference_implIS3_Lb0ELb0EPlS7_N6thrust23THRUST_200600_302600_NS5minusIlEEEE10hipError_tPvRmT2_T3_mT4_P12ihipStream_tbEUlT_E_NS1_11comp_targetILNS1_3genE4ELNS1_11target_archE910ELNS1_3gpuE8ELNS1_3repE0EEENS1_30default_config_static_selectorELNS0_4arch9wavefront6targetE0EEEvT1_
	.globl	_ZN7rocprim17ROCPRIM_400000_NS6detail17trampoline_kernelINS0_14default_configENS1_35adjacent_difference_config_selectorILb0ElEEZNS1_24adjacent_difference_implIS3_Lb0ELb0EPlS7_N6thrust23THRUST_200600_302600_NS5minusIlEEEE10hipError_tPvRmT2_T3_mT4_P12ihipStream_tbEUlT_E_NS1_11comp_targetILNS1_3genE4ELNS1_11target_archE910ELNS1_3gpuE8ELNS1_3repE0EEENS1_30default_config_static_selectorELNS0_4arch9wavefront6targetE0EEEvT1_
	.p2align	8
	.type	_ZN7rocprim17ROCPRIM_400000_NS6detail17trampoline_kernelINS0_14default_configENS1_35adjacent_difference_config_selectorILb0ElEEZNS1_24adjacent_difference_implIS3_Lb0ELb0EPlS7_N6thrust23THRUST_200600_302600_NS5minusIlEEEE10hipError_tPvRmT2_T3_mT4_P12ihipStream_tbEUlT_E_NS1_11comp_targetILNS1_3genE4ELNS1_11target_archE910ELNS1_3gpuE8ELNS1_3repE0EEENS1_30default_config_static_selectorELNS0_4arch9wavefront6targetE0EEEvT1_,@function
_ZN7rocprim17ROCPRIM_400000_NS6detail17trampoline_kernelINS0_14default_configENS1_35adjacent_difference_config_selectorILb0ElEEZNS1_24adjacent_difference_implIS3_Lb0ELb0EPlS7_N6thrust23THRUST_200600_302600_NS5minusIlEEEE10hipError_tPvRmT2_T3_mT4_P12ihipStream_tbEUlT_E_NS1_11comp_targetILNS1_3genE4ELNS1_11target_archE910ELNS1_3gpuE8ELNS1_3repE0EEENS1_30default_config_static_selectorELNS0_4arch9wavefront6targetE0EEEvT1_: ; @_ZN7rocprim17ROCPRIM_400000_NS6detail17trampoline_kernelINS0_14default_configENS1_35adjacent_difference_config_selectorILb0ElEEZNS1_24adjacent_difference_implIS3_Lb0ELb0EPlS7_N6thrust23THRUST_200600_302600_NS5minusIlEEEE10hipError_tPvRmT2_T3_mT4_P12ihipStream_tbEUlT_E_NS1_11comp_targetILNS1_3genE4ELNS1_11target_archE910ELNS1_3gpuE8ELNS1_3repE0EEENS1_30default_config_static_selectorELNS0_4arch9wavefront6targetE0EEEvT1_
; %bb.0:
	.section	.rodata,"a",@progbits
	.p2align	6, 0x0
	.amdhsa_kernel _ZN7rocprim17ROCPRIM_400000_NS6detail17trampoline_kernelINS0_14default_configENS1_35adjacent_difference_config_selectorILb0ElEEZNS1_24adjacent_difference_implIS3_Lb0ELb0EPlS7_N6thrust23THRUST_200600_302600_NS5minusIlEEEE10hipError_tPvRmT2_T3_mT4_P12ihipStream_tbEUlT_E_NS1_11comp_targetILNS1_3genE4ELNS1_11target_archE910ELNS1_3gpuE8ELNS1_3repE0EEENS1_30default_config_static_selectorELNS0_4arch9wavefront6targetE0EEEvT1_
		.amdhsa_group_segment_fixed_size 0
		.amdhsa_private_segment_fixed_size 0
		.amdhsa_kernarg_size 56
		.amdhsa_user_sgpr_count 2
		.amdhsa_user_sgpr_dispatch_ptr 0
		.amdhsa_user_sgpr_queue_ptr 0
		.amdhsa_user_sgpr_kernarg_segment_ptr 1
		.amdhsa_user_sgpr_dispatch_id 0
		.amdhsa_user_sgpr_kernarg_preload_length 0
		.amdhsa_user_sgpr_kernarg_preload_offset 0
		.amdhsa_user_sgpr_private_segment_size 0
		.amdhsa_wavefront_size32 1
		.amdhsa_uses_dynamic_stack 0
		.amdhsa_enable_private_segment 0
		.amdhsa_system_sgpr_workgroup_id_x 1
		.amdhsa_system_sgpr_workgroup_id_y 0
		.amdhsa_system_sgpr_workgroup_id_z 0
		.amdhsa_system_sgpr_workgroup_info 0
		.amdhsa_system_vgpr_workitem_id 0
		.amdhsa_next_free_vgpr 1
		.amdhsa_next_free_sgpr 1
		.amdhsa_named_barrier_count 0
		.amdhsa_reserve_vcc 0
		.amdhsa_float_round_mode_32 0
		.amdhsa_float_round_mode_16_64 0
		.amdhsa_float_denorm_mode_32 3
		.amdhsa_float_denorm_mode_16_64 3
		.amdhsa_fp16_overflow 0
		.amdhsa_memory_ordered 1
		.amdhsa_forward_progress 1
		.amdhsa_inst_pref_size 0
		.amdhsa_round_robin_scheduling 0
		.amdhsa_exception_fp_ieee_invalid_op 0
		.amdhsa_exception_fp_denorm_src 0
		.amdhsa_exception_fp_ieee_div_zero 0
		.amdhsa_exception_fp_ieee_overflow 0
		.amdhsa_exception_fp_ieee_underflow 0
		.amdhsa_exception_fp_ieee_inexact 0
		.amdhsa_exception_int_div_zero 0
	.end_amdhsa_kernel
	.section	.text._ZN7rocprim17ROCPRIM_400000_NS6detail17trampoline_kernelINS0_14default_configENS1_35adjacent_difference_config_selectorILb0ElEEZNS1_24adjacent_difference_implIS3_Lb0ELb0EPlS7_N6thrust23THRUST_200600_302600_NS5minusIlEEEE10hipError_tPvRmT2_T3_mT4_P12ihipStream_tbEUlT_E_NS1_11comp_targetILNS1_3genE4ELNS1_11target_archE910ELNS1_3gpuE8ELNS1_3repE0EEENS1_30default_config_static_selectorELNS0_4arch9wavefront6targetE0EEEvT1_,"axG",@progbits,_ZN7rocprim17ROCPRIM_400000_NS6detail17trampoline_kernelINS0_14default_configENS1_35adjacent_difference_config_selectorILb0ElEEZNS1_24adjacent_difference_implIS3_Lb0ELb0EPlS7_N6thrust23THRUST_200600_302600_NS5minusIlEEEE10hipError_tPvRmT2_T3_mT4_P12ihipStream_tbEUlT_E_NS1_11comp_targetILNS1_3genE4ELNS1_11target_archE910ELNS1_3gpuE8ELNS1_3repE0EEENS1_30default_config_static_selectorELNS0_4arch9wavefront6targetE0EEEvT1_,comdat
.Lfunc_end239:
	.size	_ZN7rocprim17ROCPRIM_400000_NS6detail17trampoline_kernelINS0_14default_configENS1_35adjacent_difference_config_selectorILb0ElEEZNS1_24adjacent_difference_implIS3_Lb0ELb0EPlS7_N6thrust23THRUST_200600_302600_NS5minusIlEEEE10hipError_tPvRmT2_T3_mT4_P12ihipStream_tbEUlT_E_NS1_11comp_targetILNS1_3genE4ELNS1_11target_archE910ELNS1_3gpuE8ELNS1_3repE0EEENS1_30default_config_static_selectorELNS0_4arch9wavefront6targetE0EEEvT1_, .Lfunc_end239-_ZN7rocprim17ROCPRIM_400000_NS6detail17trampoline_kernelINS0_14default_configENS1_35adjacent_difference_config_selectorILb0ElEEZNS1_24adjacent_difference_implIS3_Lb0ELb0EPlS7_N6thrust23THRUST_200600_302600_NS5minusIlEEEE10hipError_tPvRmT2_T3_mT4_P12ihipStream_tbEUlT_E_NS1_11comp_targetILNS1_3genE4ELNS1_11target_archE910ELNS1_3gpuE8ELNS1_3repE0EEENS1_30default_config_static_selectorELNS0_4arch9wavefront6targetE0EEEvT1_
                                        ; -- End function
	.set _ZN7rocprim17ROCPRIM_400000_NS6detail17trampoline_kernelINS0_14default_configENS1_35adjacent_difference_config_selectorILb0ElEEZNS1_24adjacent_difference_implIS3_Lb0ELb0EPlS7_N6thrust23THRUST_200600_302600_NS5minusIlEEEE10hipError_tPvRmT2_T3_mT4_P12ihipStream_tbEUlT_E_NS1_11comp_targetILNS1_3genE4ELNS1_11target_archE910ELNS1_3gpuE8ELNS1_3repE0EEENS1_30default_config_static_selectorELNS0_4arch9wavefront6targetE0EEEvT1_.num_vgpr, 0
	.set _ZN7rocprim17ROCPRIM_400000_NS6detail17trampoline_kernelINS0_14default_configENS1_35adjacent_difference_config_selectorILb0ElEEZNS1_24adjacent_difference_implIS3_Lb0ELb0EPlS7_N6thrust23THRUST_200600_302600_NS5minusIlEEEE10hipError_tPvRmT2_T3_mT4_P12ihipStream_tbEUlT_E_NS1_11comp_targetILNS1_3genE4ELNS1_11target_archE910ELNS1_3gpuE8ELNS1_3repE0EEENS1_30default_config_static_selectorELNS0_4arch9wavefront6targetE0EEEvT1_.num_agpr, 0
	.set _ZN7rocprim17ROCPRIM_400000_NS6detail17trampoline_kernelINS0_14default_configENS1_35adjacent_difference_config_selectorILb0ElEEZNS1_24adjacent_difference_implIS3_Lb0ELb0EPlS7_N6thrust23THRUST_200600_302600_NS5minusIlEEEE10hipError_tPvRmT2_T3_mT4_P12ihipStream_tbEUlT_E_NS1_11comp_targetILNS1_3genE4ELNS1_11target_archE910ELNS1_3gpuE8ELNS1_3repE0EEENS1_30default_config_static_selectorELNS0_4arch9wavefront6targetE0EEEvT1_.numbered_sgpr, 0
	.set _ZN7rocprim17ROCPRIM_400000_NS6detail17trampoline_kernelINS0_14default_configENS1_35adjacent_difference_config_selectorILb0ElEEZNS1_24adjacent_difference_implIS3_Lb0ELb0EPlS7_N6thrust23THRUST_200600_302600_NS5minusIlEEEE10hipError_tPvRmT2_T3_mT4_P12ihipStream_tbEUlT_E_NS1_11comp_targetILNS1_3genE4ELNS1_11target_archE910ELNS1_3gpuE8ELNS1_3repE0EEENS1_30default_config_static_selectorELNS0_4arch9wavefront6targetE0EEEvT1_.num_named_barrier, 0
	.set _ZN7rocprim17ROCPRIM_400000_NS6detail17trampoline_kernelINS0_14default_configENS1_35adjacent_difference_config_selectorILb0ElEEZNS1_24adjacent_difference_implIS3_Lb0ELb0EPlS7_N6thrust23THRUST_200600_302600_NS5minusIlEEEE10hipError_tPvRmT2_T3_mT4_P12ihipStream_tbEUlT_E_NS1_11comp_targetILNS1_3genE4ELNS1_11target_archE910ELNS1_3gpuE8ELNS1_3repE0EEENS1_30default_config_static_selectorELNS0_4arch9wavefront6targetE0EEEvT1_.private_seg_size, 0
	.set _ZN7rocprim17ROCPRIM_400000_NS6detail17trampoline_kernelINS0_14default_configENS1_35adjacent_difference_config_selectorILb0ElEEZNS1_24adjacent_difference_implIS3_Lb0ELb0EPlS7_N6thrust23THRUST_200600_302600_NS5minusIlEEEE10hipError_tPvRmT2_T3_mT4_P12ihipStream_tbEUlT_E_NS1_11comp_targetILNS1_3genE4ELNS1_11target_archE910ELNS1_3gpuE8ELNS1_3repE0EEENS1_30default_config_static_selectorELNS0_4arch9wavefront6targetE0EEEvT1_.uses_vcc, 0
	.set _ZN7rocprim17ROCPRIM_400000_NS6detail17trampoline_kernelINS0_14default_configENS1_35adjacent_difference_config_selectorILb0ElEEZNS1_24adjacent_difference_implIS3_Lb0ELb0EPlS7_N6thrust23THRUST_200600_302600_NS5minusIlEEEE10hipError_tPvRmT2_T3_mT4_P12ihipStream_tbEUlT_E_NS1_11comp_targetILNS1_3genE4ELNS1_11target_archE910ELNS1_3gpuE8ELNS1_3repE0EEENS1_30default_config_static_selectorELNS0_4arch9wavefront6targetE0EEEvT1_.uses_flat_scratch, 0
	.set _ZN7rocprim17ROCPRIM_400000_NS6detail17trampoline_kernelINS0_14default_configENS1_35adjacent_difference_config_selectorILb0ElEEZNS1_24adjacent_difference_implIS3_Lb0ELb0EPlS7_N6thrust23THRUST_200600_302600_NS5minusIlEEEE10hipError_tPvRmT2_T3_mT4_P12ihipStream_tbEUlT_E_NS1_11comp_targetILNS1_3genE4ELNS1_11target_archE910ELNS1_3gpuE8ELNS1_3repE0EEENS1_30default_config_static_selectorELNS0_4arch9wavefront6targetE0EEEvT1_.has_dyn_sized_stack, 0
	.set _ZN7rocprim17ROCPRIM_400000_NS6detail17trampoline_kernelINS0_14default_configENS1_35adjacent_difference_config_selectorILb0ElEEZNS1_24adjacent_difference_implIS3_Lb0ELb0EPlS7_N6thrust23THRUST_200600_302600_NS5minusIlEEEE10hipError_tPvRmT2_T3_mT4_P12ihipStream_tbEUlT_E_NS1_11comp_targetILNS1_3genE4ELNS1_11target_archE910ELNS1_3gpuE8ELNS1_3repE0EEENS1_30default_config_static_selectorELNS0_4arch9wavefront6targetE0EEEvT1_.has_recursion, 0
	.set _ZN7rocprim17ROCPRIM_400000_NS6detail17trampoline_kernelINS0_14default_configENS1_35adjacent_difference_config_selectorILb0ElEEZNS1_24adjacent_difference_implIS3_Lb0ELb0EPlS7_N6thrust23THRUST_200600_302600_NS5minusIlEEEE10hipError_tPvRmT2_T3_mT4_P12ihipStream_tbEUlT_E_NS1_11comp_targetILNS1_3genE4ELNS1_11target_archE910ELNS1_3gpuE8ELNS1_3repE0EEENS1_30default_config_static_selectorELNS0_4arch9wavefront6targetE0EEEvT1_.has_indirect_call, 0
	.section	.AMDGPU.csdata,"",@progbits
; Kernel info:
; codeLenInByte = 0
; TotalNumSgprs: 0
; NumVgprs: 0
; ScratchSize: 0
; MemoryBound: 0
; FloatMode: 240
; IeeeMode: 1
; LDSByteSize: 0 bytes/workgroup (compile time only)
; SGPRBlocks: 0
; VGPRBlocks: 0
; NumSGPRsForWavesPerEU: 1
; NumVGPRsForWavesPerEU: 1
; NamedBarCnt: 0
; Occupancy: 16
; WaveLimiterHint : 0
; COMPUTE_PGM_RSRC2:SCRATCH_EN: 0
; COMPUTE_PGM_RSRC2:USER_SGPR: 2
; COMPUTE_PGM_RSRC2:TRAP_HANDLER: 0
; COMPUTE_PGM_RSRC2:TGID_X_EN: 1
; COMPUTE_PGM_RSRC2:TGID_Y_EN: 0
; COMPUTE_PGM_RSRC2:TGID_Z_EN: 0
; COMPUTE_PGM_RSRC2:TIDIG_COMP_CNT: 0
	.section	.text._ZN7rocprim17ROCPRIM_400000_NS6detail17trampoline_kernelINS0_14default_configENS1_35adjacent_difference_config_selectorILb0ElEEZNS1_24adjacent_difference_implIS3_Lb0ELb0EPlS7_N6thrust23THRUST_200600_302600_NS5minusIlEEEE10hipError_tPvRmT2_T3_mT4_P12ihipStream_tbEUlT_E_NS1_11comp_targetILNS1_3genE3ELNS1_11target_archE908ELNS1_3gpuE7ELNS1_3repE0EEENS1_30default_config_static_selectorELNS0_4arch9wavefront6targetE0EEEvT1_,"axG",@progbits,_ZN7rocprim17ROCPRIM_400000_NS6detail17trampoline_kernelINS0_14default_configENS1_35adjacent_difference_config_selectorILb0ElEEZNS1_24adjacent_difference_implIS3_Lb0ELb0EPlS7_N6thrust23THRUST_200600_302600_NS5minusIlEEEE10hipError_tPvRmT2_T3_mT4_P12ihipStream_tbEUlT_E_NS1_11comp_targetILNS1_3genE3ELNS1_11target_archE908ELNS1_3gpuE7ELNS1_3repE0EEENS1_30default_config_static_selectorELNS0_4arch9wavefront6targetE0EEEvT1_,comdat
	.protected	_ZN7rocprim17ROCPRIM_400000_NS6detail17trampoline_kernelINS0_14default_configENS1_35adjacent_difference_config_selectorILb0ElEEZNS1_24adjacent_difference_implIS3_Lb0ELb0EPlS7_N6thrust23THRUST_200600_302600_NS5minusIlEEEE10hipError_tPvRmT2_T3_mT4_P12ihipStream_tbEUlT_E_NS1_11comp_targetILNS1_3genE3ELNS1_11target_archE908ELNS1_3gpuE7ELNS1_3repE0EEENS1_30default_config_static_selectorELNS0_4arch9wavefront6targetE0EEEvT1_ ; -- Begin function _ZN7rocprim17ROCPRIM_400000_NS6detail17trampoline_kernelINS0_14default_configENS1_35adjacent_difference_config_selectorILb0ElEEZNS1_24adjacent_difference_implIS3_Lb0ELb0EPlS7_N6thrust23THRUST_200600_302600_NS5minusIlEEEE10hipError_tPvRmT2_T3_mT4_P12ihipStream_tbEUlT_E_NS1_11comp_targetILNS1_3genE3ELNS1_11target_archE908ELNS1_3gpuE7ELNS1_3repE0EEENS1_30default_config_static_selectorELNS0_4arch9wavefront6targetE0EEEvT1_
	.globl	_ZN7rocprim17ROCPRIM_400000_NS6detail17trampoline_kernelINS0_14default_configENS1_35adjacent_difference_config_selectorILb0ElEEZNS1_24adjacent_difference_implIS3_Lb0ELb0EPlS7_N6thrust23THRUST_200600_302600_NS5minusIlEEEE10hipError_tPvRmT2_T3_mT4_P12ihipStream_tbEUlT_E_NS1_11comp_targetILNS1_3genE3ELNS1_11target_archE908ELNS1_3gpuE7ELNS1_3repE0EEENS1_30default_config_static_selectorELNS0_4arch9wavefront6targetE0EEEvT1_
	.p2align	8
	.type	_ZN7rocprim17ROCPRIM_400000_NS6detail17trampoline_kernelINS0_14default_configENS1_35adjacent_difference_config_selectorILb0ElEEZNS1_24adjacent_difference_implIS3_Lb0ELb0EPlS7_N6thrust23THRUST_200600_302600_NS5minusIlEEEE10hipError_tPvRmT2_T3_mT4_P12ihipStream_tbEUlT_E_NS1_11comp_targetILNS1_3genE3ELNS1_11target_archE908ELNS1_3gpuE7ELNS1_3repE0EEENS1_30default_config_static_selectorELNS0_4arch9wavefront6targetE0EEEvT1_,@function
_ZN7rocprim17ROCPRIM_400000_NS6detail17trampoline_kernelINS0_14default_configENS1_35adjacent_difference_config_selectorILb0ElEEZNS1_24adjacent_difference_implIS3_Lb0ELb0EPlS7_N6thrust23THRUST_200600_302600_NS5minusIlEEEE10hipError_tPvRmT2_T3_mT4_P12ihipStream_tbEUlT_E_NS1_11comp_targetILNS1_3genE3ELNS1_11target_archE908ELNS1_3gpuE7ELNS1_3repE0EEENS1_30default_config_static_selectorELNS0_4arch9wavefront6targetE0EEEvT1_: ; @_ZN7rocprim17ROCPRIM_400000_NS6detail17trampoline_kernelINS0_14default_configENS1_35adjacent_difference_config_selectorILb0ElEEZNS1_24adjacent_difference_implIS3_Lb0ELb0EPlS7_N6thrust23THRUST_200600_302600_NS5minusIlEEEE10hipError_tPvRmT2_T3_mT4_P12ihipStream_tbEUlT_E_NS1_11comp_targetILNS1_3genE3ELNS1_11target_archE908ELNS1_3gpuE7ELNS1_3repE0EEENS1_30default_config_static_selectorELNS0_4arch9wavefront6targetE0EEEvT1_
; %bb.0:
	.section	.rodata,"a",@progbits
	.p2align	6, 0x0
	.amdhsa_kernel _ZN7rocprim17ROCPRIM_400000_NS6detail17trampoline_kernelINS0_14default_configENS1_35adjacent_difference_config_selectorILb0ElEEZNS1_24adjacent_difference_implIS3_Lb0ELb0EPlS7_N6thrust23THRUST_200600_302600_NS5minusIlEEEE10hipError_tPvRmT2_T3_mT4_P12ihipStream_tbEUlT_E_NS1_11comp_targetILNS1_3genE3ELNS1_11target_archE908ELNS1_3gpuE7ELNS1_3repE0EEENS1_30default_config_static_selectorELNS0_4arch9wavefront6targetE0EEEvT1_
		.amdhsa_group_segment_fixed_size 0
		.amdhsa_private_segment_fixed_size 0
		.amdhsa_kernarg_size 56
		.amdhsa_user_sgpr_count 2
		.amdhsa_user_sgpr_dispatch_ptr 0
		.amdhsa_user_sgpr_queue_ptr 0
		.amdhsa_user_sgpr_kernarg_segment_ptr 1
		.amdhsa_user_sgpr_dispatch_id 0
		.amdhsa_user_sgpr_kernarg_preload_length 0
		.amdhsa_user_sgpr_kernarg_preload_offset 0
		.amdhsa_user_sgpr_private_segment_size 0
		.amdhsa_wavefront_size32 1
		.amdhsa_uses_dynamic_stack 0
		.amdhsa_enable_private_segment 0
		.amdhsa_system_sgpr_workgroup_id_x 1
		.amdhsa_system_sgpr_workgroup_id_y 0
		.amdhsa_system_sgpr_workgroup_id_z 0
		.amdhsa_system_sgpr_workgroup_info 0
		.amdhsa_system_vgpr_workitem_id 0
		.amdhsa_next_free_vgpr 1
		.amdhsa_next_free_sgpr 1
		.amdhsa_named_barrier_count 0
		.amdhsa_reserve_vcc 0
		.amdhsa_float_round_mode_32 0
		.amdhsa_float_round_mode_16_64 0
		.amdhsa_float_denorm_mode_32 3
		.amdhsa_float_denorm_mode_16_64 3
		.amdhsa_fp16_overflow 0
		.amdhsa_memory_ordered 1
		.amdhsa_forward_progress 1
		.amdhsa_inst_pref_size 0
		.amdhsa_round_robin_scheduling 0
		.amdhsa_exception_fp_ieee_invalid_op 0
		.amdhsa_exception_fp_denorm_src 0
		.amdhsa_exception_fp_ieee_div_zero 0
		.amdhsa_exception_fp_ieee_overflow 0
		.amdhsa_exception_fp_ieee_underflow 0
		.amdhsa_exception_fp_ieee_inexact 0
		.amdhsa_exception_int_div_zero 0
	.end_amdhsa_kernel
	.section	.text._ZN7rocprim17ROCPRIM_400000_NS6detail17trampoline_kernelINS0_14default_configENS1_35adjacent_difference_config_selectorILb0ElEEZNS1_24adjacent_difference_implIS3_Lb0ELb0EPlS7_N6thrust23THRUST_200600_302600_NS5minusIlEEEE10hipError_tPvRmT2_T3_mT4_P12ihipStream_tbEUlT_E_NS1_11comp_targetILNS1_3genE3ELNS1_11target_archE908ELNS1_3gpuE7ELNS1_3repE0EEENS1_30default_config_static_selectorELNS0_4arch9wavefront6targetE0EEEvT1_,"axG",@progbits,_ZN7rocprim17ROCPRIM_400000_NS6detail17trampoline_kernelINS0_14default_configENS1_35adjacent_difference_config_selectorILb0ElEEZNS1_24adjacent_difference_implIS3_Lb0ELb0EPlS7_N6thrust23THRUST_200600_302600_NS5minusIlEEEE10hipError_tPvRmT2_T3_mT4_P12ihipStream_tbEUlT_E_NS1_11comp_targetILNS1_3genE3ELNS1_11target_archE908ELNS1_3gpuE7ELNS1_3repE0EEENS1_30default_config_static_selectorELNS0_4arch9wavefront6targetE0EEEvT1_,comdat
.Lfunc_end240:
	.size	_ZN7rocprim17ROCPRIM_400000_NS6detail17trampoline_kernelINS0_14default_configENS1_35adjacent_difference_config_selectorILb0ElEEZNS1_24adjacent_difference_implIS3_Lb0ELb0EPlS7_N6thrust23THRUST_200600_302600_NS5minusIlEEEE10hipError_tPvRmT2_T3_mT4_P12ihipStream_tbEUlT_E_NS1_11comp_targetILNS1_3genE3ELNS1_11target_archE908ELNS1_3gpuE7ELNS1_3repE0EEENS1_30default_config_static_selectorELNS0_4arch9wavefront6targetE0EEEvT1_, .Lfunc_end240-_ZN7rocprim17ROCPRIM_400000_NS6detail17trampoline_kernelINS0_14default_configENS1_35adjacent_difference_config_selectorILb0ElEEZNS1_24adjacent_difference_implIS3_Lb0ELb0EPlS7_N6thrust23THRUST_200600_302600_NS5minusIlEEEE10hipError_tPvRmT2_T3_mT4_P12ihipStream_tbEUlT_E_NS1_11comp_targetILNS1_3genE3ELNS1_11target_archE908ELNS1_3gpuE7ELNS1_3repE0EEENS1_30default_config_static_selectorELNS0_4arch9wavefront6targetE0EEEvT1_
                                        ; -- End function
	.set _ZN7rocprim17ROCPRIM_400000_NS6detail17trampoline_kernelINS0_14default_configENS1_35adjacent_difference_config_selectorILb0ElEEZNS1_24adjacent_difference_implIS3_Lb0ELb0EPlS7_N6thrust23THRUST_200600_302600_NS5minusIlEEEE10hipError_tPvRmT2_T3_mT4_P12ihipStream_tbEUlT_E_NS1_11comp_targetILNS1_3genE3ELNS1_11target_archE908ELNS1_3gpuE7ELNS1_3repE0EEENS1_30default_config_static_selectorELNS0_4arch9wavefront6targetE0EEEvT1_.num_vgpr, 0
	.set _ZN7rocprim17ROCPRIM_400000_NS6detail17trampoline_kernelINS0_14default_configENS1_35adjacent_difference_config_selectorILb0ElEEZNS1_24adjacent_difference_implIS3_Lb0ELb0EPlS7_N6thrust23THRUST_200600_302600_NS5minusIlEEEE10hipError_tPvRmT2_T3_mT4_P12ihipStream_tbEUlT_E_NS1_11comp_targetILNS1_3genE3ELNS1_11target_archE908ELNS1_3gpuE7ELNS1_3repE0EEENS1_30default_config_static_selectorELNS0_4arch9wavefront6targetE0EEEvT1_.num_agpr, 0
	.set _ZN7rocprim17ROCPRIM_400000_NS6detail17trampoline_kernelINS0_14default_configENS1_35adjacent_difference_config_selectorILb0ElEEZNS1_24adjacent_difference_implIS3_Lb0ELb0EPlS7_N6thrust23THRUST_200600_302600_NS5minusIlEEEE10hipError_tPvRmT2_T3_mT4_P12ihipStream_tbEUlT_E_NS1_11comp_targetILNS1_3genE3ELNS1_11target_archE908ELNS1_3gpuE7ELNS1_3repE0EEENS1_30default_config_static_selectorELNS0_4arch9wavefront6targetE0EEEvT1_.numbered_sgpr, 0
	.set _ZN7rocprim17ROCPRIM_400000_NS6detail17trampoline_kernelINS0_14default_configENS1_35adjacent_difference_config_selectorILb0ElEEZNS1_24adjacent_difference_implIS3_Lb0ELb0EPlS7_N6thrust23THRUST_200600_302600_NS5minusIlEEEE10hipError_tPvRmT2_T3_mT4_P12ihipStream_tbEUlT_E_NS1_11comp_targetILNS1_3genE3ELNS1_11target_archE908ELNS1_3gpuE7ELNS1_3repE0EEENS1_30default_config_static_selectorELNS0_4arch9wavefront6targetE0EEEvT1_.num_named_barrier, 0
	.set _ZN7rocprim17ROCPRIM_400000_NS6detail17trampoline_kernelINS0_14default_configENS1_35adjacent_difference_config_selectorILb0ElEEZNS1_24adjacent_difference_implIS3_Lb0ELb0EPlS7_N6thrust23THRUST_200600_302600_NS5minusIlEEEE10hipError_tPvRmT2_T3_mT4_P12ihipStream_tbEUlT_E_NS1_11comp_targetILNS1_3genE3ELNS1_11target_archE908ELNS1_3gpuE7ELNS1_3repE0EEENS1_30default_config_static_selectorELNS0_4arch9wavefront6targetE0EEEvT1_.private_seg_size, 0
	.set _ZN7rocprim17ROCPRIM_400000_NS6detail17trampoline_kernelINS0_14default_configENS1_35adjacent_difference_config_selectorILb0ElEEZNS1_24adjacent_difference_implIS3_Lb0ELb0EPlS7_N6thrust23THRUST_200600_302600_NS5minusIlEEEE10hipError_tPvRmT2_T3_mT4_P12ihipStream_tbEUlT_E_NS1_11comp_targetILNS1_3genE3ELNS1_11target_archE908ELNS1_3gpuE7ELNS1_3repE0EEENS1_30default_config_static_selectorELNS0_4arch9wavefront6targetE0EEEvT1_.uses_vcc, 0
	.set _ZN7rocprim17ROCPRIM_400000_NS6detail17trampoline_kernelINS0_14default_configENS1_35adjacent_difference_config_selectorILb0ElEEZNS1_24adjacent_difference_implIS3_Lb0ELb0EPlS7_N6thrust23THRUST_200600_302600_NS5minusIlEEEE10hipError_tPvRmT2_T3_mT4_P12ihipStream_tbEUlT_E_NS1_11comp_targetILNS1_3genE3ELNS1_11target_archE908ELNS1_3gpuE7ELNS1_3repE0EEENS1_30default_config_static_selectorELNS0_4arch9wavefront6targetE0EEEvT1_.uses_flat_scratch, 0
	.set _ZN7rocprim17ROCPRIM_400000_NS6detail17trampoline_kernelINS0_14default_configENS1_35adjacent_difference_config_selectorILb0ElEEZNS1_24adjacent_difference_implIS3_Lb0ELb0EPlS7_N6thrust23THRUST_200600_302600_NS5minusIlEEEE10hipError_tPvRmT2_T3_mT4_P12ihipStream_tbEUlT_E_NS1_11comp_targetILNS1_3genE3ELNS1_11target_archE908ELNS1_3gpuE7ELNS1_3repE0EEENS1_30default_config_static_selectorELNS0_4arch9wavefront6targetE0EEEvT1_.has_dyn_sized_stack, 0
	.set _ZN7rocprim17ROCPRIM_400000_NS6detail17trampoline_kernelINS0_14default_configENS1_35adjacent_difference_config_selectorILb0ElEEZNS1_24adjacent_difference_implIS3_Lb0ELb0EPlS7_N6thrust23THRUST_200600_302600_NS5minusIlEEEE10hipError_tPvRmT2_T3_mT4_P12ihipStream_tbEUlT_E_NS1_11comp_targetILNS1_3genE3ELNS1_11target_archE908ELNS1_3gpuE7ELNS1_3repE0EEENS1_30default_config_static_selectorELNS0_4arch9wavefront6targetE0EEEvT1_.has_recursion, 0
	.set _ZN7rocprim17ROCPRIM_400000_NS6detail17trampoline_kernelINS0_14default_configENS1_35adjacent_difference_config_selectorILb0ElEEZNS1_24adjacent_difference_implIS3_Lb0ELb0EPlS7_N6thrust23THRUST_200600_302600_NS5minusIlEEEE10hipError_tPvRmT2_T3_mT4_P12ihipStream_tbEUlT_E_NS1_11comp_targetILNS1_3genE3ELNS1_11target_archE908ELNS1_3gpuE7ELNS1_3repE0EEENS1_30default_config_static_selectorELNS0_4arch9wavefront6targetE0EEEvT1_.has_indirect_call, 0
	.section	.AMDGPU.csdata,"",@progbits
; Kernel info:
; codeLenInByte = 0
; TotalNumSgprs: 0
; NumVgprs: 0
; ScratchSize: 0
; MemoryBound: 0
; FloatMode: 240
; IeeeMode: 1
; LDSByteSize: 0 bytes/workgroup (compile time only)
; SGPRBlocks: 0
; VGPRBlocks: 0
; NumSGPRsForWavesPerEU: 1
; NumVGPRsForWavesPerEU: 1
; NamedBarCnt: 0
; Occupancy: 16
; WaveLimiterHint : 0
; COMPUTE_PGM_RSRC2:SCRATCH_EN: 0
; COMPUTE_PGM_RSRC2:USER_SGPR: 2
; COMPUTE_PGM_RSRC2:TRAP_HANDLER: 0
; COMPUTE_PGM_RSRC2:TGID_X_EN: 1
; COMPUTE_PGM_RSRC2:TGID_Y_EN: 0
; COMPUTE_PGM_RSRC2:TGID_Z_EN: 0
; COMPUTE_PGM_RSRC2:TIDIG_COMP_CNT: 0
	.section	.text._ZN7rocprim17ROCPRIM_400000_NS6detail17trampoline_kernelINS0_14default_configENS1_35adjacent_difference_config_selectorILb0ElEEZNS1_24adjacent_difference_implIS3_Lb0ELb0EPlS7_N6thrust23THRUST_200600_302600_NS5minusIlEEEE10hipError_tPvRmT2_T3_mT4_P12ihipStream_tbEUlT_E_NS1_11comp_targetILNS1_3genE2ELNS1_11target_archE906ELNS1_3gpuE6ELNS1_3repE0EEENS1_30default_config_static_selectorELNS0_4arch9wavefront6targetE0EEEvT1_,"axG",@progbits,_ZN7rocprim17ROCPRIM_400000_NS6detail17trampoline_kernelINS0_14default_configENS1_35adjacent_difference_config_selectorILb0ElEEZNS1_24adjacent_difference_implIS3_Lb0ELb0EPlS7_N6thrust23THRUST_200600_302600_NS5minusIlEEEE10hipError_tPvRmT2_T3_mT4_P12ihipStream_tbEUlT_E_NS1_11comp_targetILNS1_3genE2ELNS1_11target_archE906ELNS1_3gpuE6ELNS1_3repE0EEENS1_30default_config_static_selectorELNS0_4arch9wavefront6targetE0EEEvT1_,comdat
	.protected	_ZN7rocprim17ROCPRIM_400000_NS6detail17trampoline_kernelINS0_14default_configENS1_35adjacent_difference_config_selectorILb0ElEEZNS1_24adjacent_difference_implIS3_Lb0ELb0EPlS7_N6thrust23THRUST_200600_302600_NS5minusIlEEEE10hipError_tPvRmT2_T3_mT4_P12ihipStream_tbEUlT_E_NS1_11comp_targetILNS1_3genE2ELNS1_11target_archE906ELNS1_3gpuE6ELNS1_3repE0EEENS1_30default_config_static_selectorELNS0_4arch9wavefront6targetE0EEEvT1_ ; -- Begin function _ZN7rocprim17ROCPRIM_400000_NS6detail17trampoline_kernelINS0_14default_configENS1_35adjacent_difference_config_selectorILb0ElEEZNS1_24adjacent_difference_implIS3_Lb0ELb0EPlS7_N6thrust23THRUST_200600_302600_NS5minusIlEEEE10hipError_tPvRmT2_T3_mT4_P12ihipStream_tbEUlT_E_NS1_11comp_targetILNS1_3genE2ELNS1_11target_archE906ELNS1_3gpuE6ELNS1_3repE0EEENS1_30default_config_static_selectorELNS0_4arch9wavefront6targetE0EEEvT1_
	.globl	_ZN7rocprim17ROCPRIM_400000_NS6detail17trampoline_kernelINS0_14default_configENS1_35adjacent_difference_config_selectorILb0ElEEZNS1_24adjacent_difference_implIS3_Lb0ELb0EPlS7_N6thrust23THRUST_200600_302600_NS5minusIlEEEE10hipError_tPvRmT2_T3_mT4_P12ihipStream_tbEUlT_E_NS1_11comp_targetILNS1_3genE2ELNS1_11target_archE906ELNS1_3gpuE6ELNS1_3repE0EEENS1_30default_config_static_selectorELNS0_4arch9wavefront6targetE0EEEvT1_
	.p2align	8
	.type	_ZN7rocprim17ROCPRIM_400000_NS6detail17trampoline_kernelINS0_14default_configENS1_35adjacent_difference_config_selectorILb0ElEEZNS1_24adjacent_difference_implIS3_Lb0ELb0EPlS7_N6thrust23THRUST_200600_302600_NS5minusIlEEEE10hipError_tPvRmT2_T3_mT4_P12ihipStream_tbEUlT_E_NS1_11comp_targetILNS1_3genE2ELNS1_11target_archE906ELNS1_3gpuE6ELNS1_3repE0EEENS1_30default_config_static_selectorELNS0_4arch9wavefront6targetE0EEEvT1_,@function
_ZN7rocprim17ROCPRIM_400000_NS6detail17trampoline_kernelINS0_14default_configENS1_35adjacent_difference_config_selectorILb0ElEEZNS1_24adjacent_difference_implIS3_Lb0ELb0EPlS7_N6thrust23THRUST_200600_302600_NS5minusIlEEEE10hipError_tPvRmT2_T3_mT4_P12ihipStream_tbEUlT_E_NS1_11comp_targetILNS1_3genE2ELNS1_11target_archE906ELNS1_3gpuE6ELNS1_3repE0EEENS1_30default_config_static_selectorELNS0_4arch9wavefront6targetE0EEEvT1_: ; @_ZN7rocprim17ROCPRIM_400000_NS6detail17trampoline_kernelINS0_14default_configENS1_35adjacent_difference_config_selectorILb0ElEEZNS1_24adjacent_difference_implIS3_Lb0ELb0EPlS7_N6thrust23THRUST_200600_302600_NS5minusIlEEEE10hipError_tPvRmT2_T3_mT4_P12ihipStream_tbEUlT_E_NS1_11comp_targetILNS1_3genE2ELNS1_11target_archE906ELNS1_3gpuE6ELNS1_3repE0EEENS1_30default_config_static_selectorELNS0_4arch9wavefront6targetE0EEEvT1_
; %bb.0:
	.section	.rodata,"a",@progbits
	.p2align	6, 0x0
	.amdhsa_kernel _ZN7rocprim17ROCPRIM_400000_NS6detail17trampoline_kernelINS0_14default_configENS1_35adjacent_difference_config_selectorILb0ElEEZNS1_24adjacent_difference_implIS3_Lb0ELb0EPlS7_N6thrust23THRUST_200600_302600_NS5minusIlEEEE10hipError_tPvRmT2_T3_mT4_P12ihipStream_tbEUlT_E_NS1_11comp_targetILNS1_3genE2ELNS1_11target_archE906ELNS1_3gpuE6ELNS1_3repE0EEENS1_30default_config_static_selectorELNS0_4arch9wavefront6targetE0EEEvT1_
		.amdhsa_group_segment_fixed_size 0
		.amdhsa_private_segment_fixed_size 0
		.amdhsa_kernarg_size 56
		.amdhsa_user_sgpr_count 2
		.amdhsa_user_sgpr_dispatch_ptr 0
		.amdhsa_user_sgpr_queue_ptr 0
		.amdhsa_user_sgpr_kernarg_segment_ptr 1
		.amdhsa_user_sgpr_dispatch_id 0
		.amdhsa_user_sgpr_kernarg_preload_length 0
		.amdhsa_user_sgpr_kernarg_preload_offset 0
		.amdhsa_user_sgpr_private_segment_size 0
		.amdhsa_wavefront_size32 1
		.amdhsa_uses_dynamic_stack 0
		.amdhsa_enable_private_segment 0
		.amdhsa_system_sgpr_workgroup_id_x 1
		.amdhsa_system_sgpr_workgroup_id_y 0
		.amdhsa_system_sgpr_workgroup_id_z 0
		.amdhsa_system_sgpr_workgroup_info 0
		.amdhsa_system_vgpr_workitem_id 0
		.amdhsa_next_free_vgpr 1
		.amdhsa_next_free_sgpr 1
		.amdhsa_named_barrier_count 0
		.amdhsa_reserve_vcc 0
		.amdhsa_float_round_mode_32 0
		.amdhsa_float_round_mode_16_64 0
		.amdhsa_float_denorm_mode_32 3
		.amdhsa_float_denorm_mode_16_64 3
		.amdhsa_fp16_overflow 0
		.amdhsa_memory_ordered 1
		.amdhsa_forward_progress 1
		.amdhsa_inst_pref_size 0
		.amdhsa_round_robin_scheduling 0
		.amdhsa_exception_fp_ieee_invalid_op 0
		.amdhsa_exception_fp_denorm_src 0
		.amdhsa_exception_fp_ieee_div_zero 0
		.amdhsa_exception_fp_ieee_overflow 0
		.amdhsa_exception_fp_ieee_underflow 0
		.amdhsa_exception_fp_ieee_inexact 0
		.amdhsa_exception_int_div_zero 0
	.end_amdhsa_kernel
	.section	.text._ZN7rocprim17ROCPRIM_400000_NS6detail17trampoline_kernelINS0_14default_configENS1_35adjacent_difference_config_selectorILb0ElEEZNS1_24adjacent_difference_implIS3_Lb0ELb0EPlS7_N6thrust23THRUST_200600_302600_NS5minusIlEEEE10hipError_tPvRmT2_T3_mT4_P12ihipStream_tbEUlT_E_NS1_11comp_targetILNS1_3genE2ELNS1_11target_archE906ELNS1_3gpuE6ELNS1_3repE0EEENS1_30default_config_static_selectorELNS0_4arch9wavefront6targetE0EEEvT1_,"axG",@progbits,_ZN7rocprim17ROCPRIM_400000_NS6detail17trampoline_kernelINS0_14default_configENS1_35adjacent_difference_config_selectorILb0ElEEZNS1_24adjacent_difference_implIS3_Lb0ELb0EPlS7_N6thrust23THRUST_200600_302600_NS5minusIlEEEE10hipError_tPvRmT2_T3_mT4_P12ihipStream_tbEUlT_E_NS1_11comp_targetILNS1_3genE2ELNS1_11target_archE906ELNS1_3gpuE6ELNS1_3repE0EEENS1_30default_config_static_selectorELNS0_4arch9wavefront6targetE0EEEvT1_,comdat
.Lfunc_end241:
	.size	_ZN7rocprim17ROCPRIM_400000_NS6detail17trampoline_kernelINS0_14default_configENS1_35adjacent_difference_config_selectorILb0ElEEZNS1_24adjacent_difference_implIS3_Lb0ELb0EPlS7_N6thrust23THRUST_200600_302600_NS5minusIlEEEE10hipError_tPvRmT2_T3_mT4_P12ihipStream_tbEUlT_E_NS1_11comp_targetILNS1_3genE2ELNS1_11target_archE906ELNS1_3gpuE6ELNS1_3repE0EEENS1_30default_config_static_selectorELNS0_4arch9wavefront6targetE0EEEvT1_, .Lfunc_end241-_ZN7rocprim17ROCPRIM_400000_NS6detail17trampoline_kernelINS0_14default_configENS1_35adjacent_difference_config_selectorILb0ElEEZNS1_24adjacent_difference_implIS3_Lb0ELb0EPlS7_N6thrust23THRUST_200600_302600_NS5minusIlEEEE10hipError_tPvRmT2_T3_mT4_P12ihipStream_tbEUlT_E_NS1_11comp_targetILNS1_3genE2ELNS1_11target_archE906ELNS1_3gpuE6ELNS1_3repE0EEENS1_30default_config_static_selectorELNS0_4arch9wavefront6targetE0EEEvT1_
                                        ; -- End function
	.set _ZN7rocprim17ROCPRIM_400000_NS6detail17trampoline_kernelINS0_14default_configENS1_35adjacent_difference_config_selectorILb0ElEEZNS1_24adjacent_difference_implIS3_Lb0ELb0EPlS7_N6thrust23THRUST_200600_302600_NS5minusIlEEEE10hipError_tPvRmT2_T3_mT4_P12ihipStream_tbEUlT_E_NS1_11comp_targetILNS1_3genE2ELNS1_11target_archE906ELNS1_3gpuE6ELNS1_3repE0EEENS1_30default_config_static_selectorELNS0_4arch9wavefront6targetE0EEEvT1_.num_vgpr, 0
	.set _ZN7rocprim17ROCPRIM_400000_NS6detail17trampoline_kernelINS0_14default_configENS1_35adjacent_difference_config_selectorILb0ElEEZNS1_24adjacent_difference_implIS3_Lb0ELb0EPlS7_N6thrust23THRUST_200600_302600_NS5minusIlEEEE10hipError_tPvRmT2_T3_mT4_P12ihipStream_tbEUlT_E_NS1_11comp_targetILNS1_3genE2ELNS1_11target_archE906ELNS1_3gpuE6ELNS1_3repE0EEENS1_30default_config_static_selectorELNS0_4arch9wavefront6targetE0EEEvT1_.num_agpr, 0
	.set _ZN7rocprim17ROCPRIM_400000_NS6detail17trampoline_kernelINS0_14default_configENS1_35adjacent_difference_config_selectorILb0ElEEZNS1_24adjacent_difference_implIS3_Lb0ELb0EPlS7_N6thrust23THRUST_200600_302600_NS5minusIlEEEE10hipError_tPvRmT2_T3_mT4_P12ihipStream_tbEUlT_E_NS1_11comp_targetILNS1_3genE2ELNS1_11target_archE906ELNS1_3gpuE6ELNS1_3repE0EEENS1_30default_config_static_selectorELNS0_4arch9wavefront6targetE0EEEvT1_.numbered_sgpr, 0
	.set _ZN7rocprim17ROCPRIM_400000_NS6detail17trampoline_kernelINS0_14default_configENS1_35adjacent_difference_config_selectorILb0ElEEZNS1_24adjacent_difference_implIS3_Lb0ELb0EPlS7_N6thrust23THRUST_200600_302600_NS5minusIlEEEE10hipError_tPvRmT2_T3_mT4_P12ihipStream_tbEUlT_E_NS1_11comp_targetILNS1_3genE2ELNS1_11target_archE906ELNS1_3gpuE6ELNS1_3repE0EEENS1_30default_config_static_selectorELNS0_4arch9wavefront6targetE0EEEvT1_.num_named_barrier, 0
	.set _ZN7rocprim17ROCPRIM_400000_NS6detail17trampoline_kernelINS0_14default_configENS1_35adjacent_difference_config_selectorILb0ElEEZNS1_24adjacent_difference_implIS3_Lb0ELb0EPlS7_N6thrust23THRUST_200600_302600_NS5minusIlEEEE10hipError_tPvRmT2_T3_mT4_P12ihipStream_tbEUlT_E_NS1_11comp_targetILNS1_3genE2ELNS1_11target_archE906ELNS1_3gpuE6ELNS1_3repE0EEENS1_30default_config_static_selectorELNS0_4arch9wavefront6targetE0EEEvT1_.private_seg_size, 0
	.set _ZN7rocprim17ROCPRIM_400000_NS6detail17trampoline_kernelINS0_14default_configENS1_35adjacent_difference_config_selectorILb0ElEEZNS1_24adjacent_difference_implIS3_Lb0ELb0EPlS7_N6thrust23THRUST_200600_302600_NS5minusIlEEEE10hipError_tPvRmT2_T3_mT4_P12ihipStream_tbEUlT_E_NS1_11comp_targetILNS1_3genE2ELNS1_11target_archE906ELNS1_3gpuE6ELNS1_3repE0EEENS1_30default_config_static_selectorELNS0_4arch9wavefront6targetE0EEEvT1_.uses_vcc, 0
	.set _ZN7rocprim17ROCPRIM_400000_NS6detail17trampoline_kernelINS0_14default_configENS1_35adjacent_difference_config_selectorILb0ElEEZNS1_24adjacent_difference_implIS3_Lb0ELb0EPlS7_N6thrust23THRUST_200600_302600_NS5minusIlEEEE10hipError_tPvRmT2_T3_mT4_P12ihipStream_tbEUlT_E_NS1_11comp_targetILNS1_3genE2ELNS1_11target_archE906ELNS1_3gpuE6ELNS1_3repE0EEENS1_30default_config_static_selectorELNS0_4arch9wavefront6targetE0EEEvT1_.uses_flat_scratch, 0
	.set _ZN7rocprim17ROCPRIM_400000_NS6detail17trampoline_kernelINS0_14default_configENS1_35adjacent_difference_config_selectorILb0ElEEZNS1_24adjacent_difference_implIS3_Lb0ELb0EPlS7_N6thrust23THRUST_200600_302600_NS5minusIlEEEE10hipError_tPvRmT2_T3_mT4_P12ihipStream_tbEUlT_E_NS1_11comp_targetILNS1_3genE2ELNS1_11target_archE906ELNS1_3gpuE6ELNS1_3repE0EEENS1_30default_config_static_selectorELNS0_4arch9wavefront6targetE0EEEvT1_.has_dyn_sized_stack, 0
	.set _ZN7rocprim17ROCPRIM_400000_NS6detail17trampoline_kernelINS0_14default_configENS1_35adjacent_difference_config_selectorILb0ElEEZNS1_24adjacent_difference_implIS3_Lb0ELb0EPlS7_N6thrust23THRUST_200600_302600_NS5minusIlEEEE10hipError_tPvRmT2_T3_mT4_P12ihipStream_tbEUlT_E_NS1_11comp_targetILNS1_3genE2ELNS1_11target_archE906ELNS1_3gpuE6ELNS1_3repE0EEENS1_30default_config_static_selectorELNS0_4arch9wavefront6targetE0EEEvT1_.has_recursion, 0
	.set _ZN7rocprim17ROCPRIM_400000_NS6detail17trampoline_kernelINS0_14default_configENS1_35adjacent_difference_config_selectorILb0ElEEZNS1_24adjacent_difference_implIS3_Lb0ELb0EPlS7_N6thrust23THRUST_200600_302600_NS5minusIlEEEE10hipError_tPvRmT2_T3_mT4_P12ihipStream_tbEUlT_E_NS1_11comp_targetILNS1_3genE2ELNS1_11target_archE906ELNS1_3gpuE6ELNS1_3repE0EEENS1_30default_config_static_selectorELNS0_4arch9wavefront6targetE0EEEvT1_.has_indirect_call, 0
	.section	.AMDGPU.csdata,"",@progbits
; Kernel info:
; codeLenInByte = 0
; TotalNumSgprs: 0
; NumVgprs: 0
; ScratchSize: 0
; MemoryBound: 0
; FloatMode: 240
; IeeeMode: 1
; LDSByteSize: 0 bytes/workgroup (compile time only)
; SGPRBlocks: 0
; VGPRBlocks: 0
; NumSGPRsForWavesPerEU: 1
; NumVGPRsForWavesPerEU: 1
; NamedBarCnt: 0
; Occupancy: 16
; WaveLimiterHint : 0
; COMPUTE_PGM_RSRC2:SCRATCH_EN: 0
; COMPUTE_PGM_RSRC2:USER_SGPR: 2
; COMPUTE_PGM_RSRC2:TRAP_HANDLER: 0
; COMPUTE_PGM_RSRC2:TGID_X_EN: 1
; COMPUTE_PGM_RSRC2:TGID_Y_EN: 0
; COMPUTE_PGM_RSRC2:TGID_Z_EN: 0
; COMPUTE_PGM_RSRC2:TIDIG_COMP_CNT: 0
	.section	.text._ZN7rocprim17ROCPRIM_400000_NS6detail17trampoline_kernelINS0_14default_configENS1_35adjacent_difference_config_selectorILb0ElEEZNS1_24adjacent_difference_implIS3_Lb0ELb0EPlS7_N6thrust23THRUST_200600_302600_NS5minusIlEEEE10hipError_tPvRmT2_T3_mT4_P12ihipStream_tbEUlT_E_NS1_11comp_targetILNS1_3genE9ELNS1_11target_archE1100ELNS1_3gpuE3ELNS1_3repE0EEENS1_30default_config_static_selectorELNS0_4arch9wavefront6targetE0EEEvT1_,"axG",@progbits,_ZN7rocprim17ROCPRIM_400000_NS6detail17trampoline_kernelINS0_14default_configENS1_35adjacent_difference_config_selectorILb0ElEEZNS1_24adjacent_difference_implIS3_Lb0ELb0EPlS7_N6thrust23THRUST_200600_302600_NS5minusIlEEEE10hipError_tPvRmT2_T3_mT4_P12ihipStream_tbEUlT_E_NS1_11comp_targetILNS1_3genE9ELNS1_11target_archE1100ELNS1_3gpuE3ELNS1_3repE0EEENS1_30default_config_static_selectorELNS0_4arch9wavefront6targetE0EEEvT1_,comdat
	.protected	_ZN7rocprim17ROCPRIM_400000_NS6detail17trampoline_kernelINS0_14default_configENS1_35adjacent_difference_config_selectorILb0ElEEZNS1_24adjacent_difference_implIS3_Lb0ELb0EPlS7_N6thrust23THRUST_200600_302600_NS5minusIlEEEE10hipError_tPvRmT2_T3_mT4_P12ihipStream_tbEUlT_E_NS1_11comp_targetILNS1_3genE9ELNS1_11target_archE1100ELNS1_3gpuE3ELNS1_3repE0EEENS1_30default_config_static_selectorELNS0_4arch9wavefront6targetE0EEEvT1_ ; -- Begin function _ZN7rocprim17ROCPRIM_400000_NS6detail17trampoline_kernelINS0_14default_configENS1_35adjacent_difference_config_selectorILb0ElEEZNS1_24adjacent_difference_implIS3_Lb0ELb0EPlS7_N6thrust23THRUST_200600_302600_NS5minusIlEEEE10hipError_tPvRmT2_T3_mT4_P12ihipStream_tbEUlT_E_NS1_11comp_targetILNS1_3genE9ELNS1_11target_archE1100ELNS1_3gpuE3ELNS1_3repE0EEENS1_30default_config_static_selectorELNS0_4arch9wavefront6targetE0EEEvT1_
	.globl	_ZN7rocprim17ROCPRIM_400000_NS6detail17trampoline_kernelINS0_14default_configENS1_35adjacent_difference_config_selectorILb0ElEEZNS1_24adjacent_difference_implIS3_Lb0ELb0EPlS7_N6thrust23THRUST_200600_302600_NS5minusIlEEEE10hipError_tPvRmT2_T3_mT4_P12ihipStream_tbEUlT_E_NS1_11comp_targetILNS1_3genE9ELNS1_11target_archE1100ELNS1_3gpuE3ELNS1_3repE0EEENS1_30default_config_static_selectorELNS0_4arch9wavefront6targetE0EEEvT1_
	.p2align	8
	.type	_ZN7rocprim17ROCPRIM_400000_NS6detail17trampoline_kernelINS0_14default_configENS1_35adjacent_difference_config_selectorILb0ElEEZNS1_24adjacent_difference_implIS3_Lb0ELb0EPlS7_N6thrust23THRUST_200600_302600_NS5minusIlEEEE10hipError_tPvRmT2_T3_mT4_P12ihipStream_tbEUlT_E_NS1_11comp_targetILNS1_3genE9ELNS1_11target_archE1100ELNS1_3gpuE3ELNS1_3repE0EEENS1_30default_config_static_selectorELNS0_4arch9wavefront6targetE0EEEvT1_,@function
_ZN7rocprim17ROCPRIM_400000_NS6detail17trampoline_kernelINS0_14default_configENS1_35adjacent_difference_config_selectorILb0ElEEZNS1_24adjacent_difference_implIS3_Lb0ELb0EPlS7_N6thrust23THRUST_200600_302600_NS5minusIlEEEE10hipError_tPvRmT2_T3_mT4_P12ihipStream_tbEUlT_E_NS1_11comp_targetILNS1_3genE9ELNS1_11target_archE1100ELNS1_3gpuE3ELNS1_3repE0EEENS1_30default_config_static_selectorELNS0_4arch9wavefront6targetE0EEEvT1_: ; @_ZN7rocprim17ROCPRIM_400000_NS6detail17trampoline_kernelINS0_14default_configENS1_35adjacent_difference_config_selectorILb0ElEEZNS1_24adjacent_difference_implIS3_Lb0ELb0EPlS7_N6thrust23THRUST_200600_302600_NS5minusIlEEEE10hipError_tPvRmT2_T3_mT4_P12ihipStream_tbEUlT_E_NS1_11comp_targetILNS1_3genE9ELNS1_11target_archE1100ELNS1_3gpuE3ELNS1_3repE0EEENS1_30default_config_static_selectorELNS0_4arch9wavefront6targetE0EEEvT1_
; %bb.0:
	.section	.rodata,"a",@progbits
	.p2align	6, 0x0
	.amdhsa_kernel _ZN7rocprim17ROCPRIM_400000_NS6detail17trampoline_kernelINS0_14default_configENS1_35adjacent_difference_config_selectorILb0ElEEZNS1_24adjacent_difference_implIS3_Lb0ELb0EPlS7_N6thrust23THRUST_200600_302600_NS5minusIlEEEE10hipError_tPvRmT2_T3_mT4_P12ihipStream_tbEUlT_E_NS1_11comp_targetILNS1_3genE9ELNS1_11target_archE1100ELNS1_3gpuE3ELNS1_3repE0EEENS1_30default_config_static_selectorELNS0_4arch9wavefront6targetE0EEEvT1_
		.amdhsa_group_segment_fixed_size 0
		.amdhsa_private_segment_fixed_size 0
		.amdhsa_kernarg_size 56
		.amdhsa_user_sgpr_count 2
		.amdhsa_user_sgpr_dispatch_ptr 0
		.amdhsa_user_sgpr_queue_ptr 0
		.amdhsa_user_sgpr_kernarg_segment_ptr 1
		.amdhsa_user_sgpr_dispatch_id 0
		.amdhsa_user_sgpr_kernarg_preload_length 0
		.amdhsa_user_sgpr_kernarg_preload_offset 0
		.amdhsa_user_sgpr_private_segment_size 0
		.amdhsa_wavefront_size32 1
		.amdhsa_uses_dynamic_stack 0
		.amdhsa_enable_private_segment 0
		.amdhsa_system_sgpr_workgroup_id_x 1
		.amdhsa_system_sgpr_workgroup_id_y 0
		.amdhsa_system_sgpr_workgroup_id_z 0
		.amdhsa_system_sgpr_workgroup_info 0
		.amdhsa_system_vgpr_workitem_id 0
		.amdhsa_next_free_vgpr 1
		.amdhsa_next_free_sgpr 1
		.amdhsa_named_barrier_count 0
		.amdhsa_reserve_vcc 0
		.amdhsa_float_round_mode_32 0
		.amdhsa_float_round_mode_16_64 0
		.amdhsa_float_denorm_mode_32 3
		.amdhsa_float_denorm_mode_16_64 3
		.amdhsa_fp16_overflow 0
		.amdhsa_memory_ordered 1
		.amdhsa_forward_progress 1
		.amdhsa_inst_pref_size 0
		.amdhsa_round_robin_scheduling 0
		.amdhsa_exception_fp_ieee_invalid_op 0
		.amdhsa_exception_fp_denorm_src 0
		.amdhsa_exception_fp_ieee_div_zero 0
		.amdhsa_exception_fp_ieee_overflow 0
		.amdhsa_exception_fp_ieee_underflow 0
		.amdhsa_exception_fp_ieee_inexact 0
		.amdhsa_exception_int_div_zero 0
	.end_amdhsa_kernel
	.section	.text._ZN7rocprim17ROCPRIM_400000_NS6detail17trampoline_kernelINS0_14default_configENS1_35adjacent_difference_config_selectorILb0ElEEZNS1_24adjacent_difference_implIS3_Lb0ELb0EPlS7_N6thrust23THRUST_200600_302600_NS5minusIlEEEE10hipError_tPvRmT2_T3_mT4_P12ihipStream_tbEUlT_E_NS1_11comp_targetILNS1_3genE9ELNS1_11target_archE1100ELNS1_3gpuE3ELNS1_3repE0EEENS1_30default_config_static_selectorELNS0_4arch9wavefront6targetE0EEEvT1_,"axG",@progbits,_ZN7rocprim17ROCPRIM_400000_NS6detail17trampoline_kernelINS0_14default_configENS1_35adjacent_difference_config_selectorILb0ElEEZNS1_24adjacent_difference_implIS3_Lb0ELb0EPlS7_N6thrust23THRUST_200600_302600_NS5minusIlEEEE10hipError_tPvRmT2_T3_mT4_P12ihipStream_tbEUlT_E_NS1_11comp_targetILNS1_3genE9ELNS1_11target_archE1100ELNS1_3gpuE3ELNS1_3repE0EEENS1_30default_config_static_selectorELNS0_4arch9wavefront6targetE0EEEvT1_,comdat
.Lfunc_end242:
	.size	_ZN7rocprim17ROCPRIM_400000_NS6detail17trampoline_kernelINS0_14default_configENS1_35adjacent_difference_config_selectorILb0ElEEZNS1_24adjacent_difference_implIS3_Lb0ELb0EPlS7_N6thrust23THRUST_200600_302600_NS5minusIlEEEE10hipError_tPvRmT2_T3_mT4_P12ihipStream_tbEUlT_E_NS1_11comp_targetILNS1_3genE9ELNS1_11target_archE1100ELNS1_3gpuE3ELNS1_3repE0EEENS1_30default_config_static_selectorELNS0_4arch9wavefront6targetE0EEEvT1_, .Lfunc_end242-_ZN7rocprim17ROCPRIM_400000_NS6detail17trampoline_kernelINS0_14default_configENS1_35adjacent_difference_config_selectorILb0ElEEZNS1_24adjacent_difference_implIS3_Lb0ELb0EPlS7_N6thrust23THRUST_200600_302600_NS5minusIlEEEE10hipError_tPvRmT2_T3_mT4_P12ihipStream_tbEUlT_E_NS1_11comp_targetILNS1_3genE9ELNS1_11target_archE1100ELNS1_3gpuE3ELNS1_3repE0EEENS1_30default_config_static_selectorELNS0_4arch9wavefront6targetE0EEEvT1_
                                        ; -- End function
	.set _ZN7rocprim17ROCPRIM_400000_NS6detail17trampoline_kernelINS0_14default_configENS1_35adjacent_difference_config_selectorILb0ElEEZNS1_24adjacent_difference_implIS3_Lb0ELb0EPlS7_N6thrust23THRUST_200600_302600_NS5minusIlEEEE10hipError_tPvRmT2_T3_mT4_P12ihipStream_tbEUlT_E_NS1_11comp_targetILNS1_3genE9ELNS1_11target_archE1100ELNS1_3gpuE3ELNS1_3repE0EEENS1_30default_config_static_selectorELNS0_4arch9wavefront6targetE0EEEvT1_.num_vgpr, 0
	.set _ZN7rocprim17ROCPRIM_400000_NS6detail17trampoline_kernelINS0_14default_configENS1_35adjacent_difference_config_selectorILb0ElEEZNS1_24adjacent_difference_implIS3_Lb0ELb0EPlS7_N6thrust23THRUST_200600_302600_NS5minusIlEEEE10hipError_tPvRmT2_T3_mT4_P12ihipStream_tbEUlT_E_NS1_11comp_targetILNS1_3genE9ELNS1_11target_archE1100ELNS1_3gpuE3ELNS1_3repE0EEENS1_30default_config_static_selectorELNS0_4arch9wavefront6targetE0EEEvT1_.num_agpr, 0
	.set _ZN7rocprim17ROCPRIM_400000_NS6detail17trampoline_kernelINS0_14default_configENS1_35adjacent_difference_config_selectorILb0ElEEZNS1_24adjacent_difference_implIS3_Lb0ELb0EPlS7_N6thrust23THRUST_200600_302600_NS5minusIlEEEE10hipError_tPvRmT2_T3_mT4_P12ihipStream_tbEUlT_E_NS1_11comp_targetILNS1_3genE9ELNS1_11target_archE1100ELNS1_3gpuE3ELNS1_3repE0EEENS1_30default_config_static_selectorELNS0_4arch9wavefront6targetE0EEEvT1_.numbered_sgpr, 0
	.set _ZN7rocprim17ROCPRIM_400000_NS6detail17trampoline_kernelINS0_14default_configENS1_35adjacent_difference_config_selectorILb0ElEEZNS1_24adjacent_difference_implIS3_Lb0ELb0EPlS7_N6thrust23THRUST_200600_302600_NS5minusIlEEEE10hipError_tPvRmT2_T3_mT4_P12ihipStream_tbEUlT_E_NS1_11comp_targetILNS1_3genE9ELNS1_11target_archE1100ELNS1_3gpuE3ELNS1_3repE0EEENS1_30default_config_static_selectorELNS0_4arch9wavefront6targetE0EEEvT1_.num_named_barrier, 0
	.set _ZN7rocprim17ROCPRIM_400000_NS6detail17trampoline_kernelINS0_14default_configENS1_35adjacent_difference_config_selectorILb0ElEEZNS1_24adjacent_difference_implIS3_Lb0ELb0EPlS7_N6thrust23THRUST_200600_302600_NS5minusIlEEEE10hipError_tPvRmT2_T3_mT4_P12ihipStream_tbEUlT_E_NS1_11comp_targetILNS1_3genE9ELNS1_11target_archE1100ELNS1_3gpuE3ELNS1_3repE0EEENS1_30default_config_static_selectorELNS0_4arch9wavefront6targetE0EEEvT1_.private_seg_size, 0
	.set _ZN7rocprim17ROCPRIM_400000_NS6detail17trampoline_kernelINS0_14default_configENS1_35adjacent_difference_config_selectorILb0ElEEZNS1_24adjacent_difference_implIS3_Lb0ELb0EPlS7_N6thrust23THRUST_200600_302600_NS5minusIlEEEE10hipError_tPvRmT2_T3_mT4_P12ihipStream_tbEUlT_E_NS1_11comp_targetILNS1_3genE9ELNS1_11target_archE1100ELNS1_3gpuE3ELNS1_3repE0EEENS1_30default_config_static_selectorELNS0_4arch9wavefront6targetE0EEEvT1_.uses_vcc, 0
	.set _ZN7rocprim17ROCPRIM_400000_NS6detail17trampoline_kernelINS0_14default_configENS1_35adjacent_difference_config_selectorILb0ElEEZNS1_24adjacent_difference_implIS3_Lb0ELb0EPlS7_N6thrust23THRUST_200600_302600_NS5minusIlEEEE10hipError_tPvRmT2_T3_mT4_P12ihipStream_tbEUlT_E_NS1_11comp_targetILNS1_3genE9ELNS1_11target_archE1100ELNS1_3gpuE3ELNS1_3repE0EEENS1_30default_config_static_selectorELNS0_4arch9wavefront6targetE0EEEvT1_.uses_flat_scratch, 0
	.set _ZN7rocprim17ROCPRIM_400000_NS6detail17trampoline_kernelINS0_14default_configENS1_35adjacent_difference_config_selectorILb0ElEEZNS1_24adjacent_difference_implIS3_Lb0ELb0EPlS7_N6thrust23THRUST_200600_302600_NS5minusIlEEEE10hipError_tPvRmT2_T3_mT4_P12ihipStream_tbEUlT_E_NS1_11comp_targetILNS1_3genE9ELNS1_11target_archE1100ELNS1_3gpuE3ELNS1_3repE0EEENS1_30default_config_static_selectorELNS0_4arch9wavefront6targetE0EEEvT1_.has_dyn_sized_stack, 0
	.set _ZN7rocprim17ROCPRIM_400000_NS6detail17trampoline_kernelINS0_14default_configENS1_35adjacent_difference_config_selectorILb0ElEEZNS1_24adjacent_difference_implIS3_Lb0ELb0EPlS7_N6thrust23THRUST_200600_302600_NS5minusIlEEEE10hipError_tPvRmT2_T3_mT4_P12ihipStream_tbEUlT_E_NS1_11comp_targetILNS1_3genE9ELNS1_11target_archE1100ELNS1_3gpuE3ELNS1_3repE0EEENS1_30default_config_static_selectorELNS0_4arch9wavefront6targetE0EEEvT1_.has_recursion, 0
	.set _ZN7rocprim17ROCPRIM_400000_NS6detail17trampoline_kernelINS0_14default_configENS1_35adjacent_difference_config_selectorILb0ElEEZNS1_24adjacent_difference_implIS3_Lb0ELb0EPlS7_N6thrust23THRUST_200600_302600_NS5minusIlEEEE10hipError_tPvRmT2_T3_mT4_P12ihipStream_tbEUlT_E_NS1_11comp_targetILNS1_3genE9ELNS1_11target_archE1100ELNS1_3gpuE3ELNS1_3repE0EEENS1_30default_config_static_selectorELNS0_4arch9wavefront6targetE0EEEvT1_.has_indirect_call, 0
	.section	.AMDGPU.csdata,"",@progbits
; Kernel info:
; codeLenInByte = 0
; TotalNumSgprs: 0
; NumVgprs: 0
; ScratchSize: 0
; MemoryBound: 0
; FloatMode: 240
; IeeeMode: 1
; LDSByteSize: 0 bytes/workgroup (compile time only)
; SGPRBlocks: 0
; VGPRBlocks: 0
; NumSGPRsForWavesPerEU: 1
; NumVGPRsForWavesPerEU: 1
; NamedBarCnt: 0
; Occupancy: 16
; WaveLimiterHint : 0
; COMPUTE_PGM_RSRC2:SCRATCH_EN: 0
; COMPUTE_PGM_RSRC2:USER_SGPR: 2
; COMPUTE_PGM_RSRC2:TRAP_HANDLER: 0
; COMPUTE_PGM_RSRC2:TGID_X_EN: 1
; COMPUTE_PGM_RSRC2:TGID_Y_EN: 0
; COMPUTE_PGM_RSRC2:TGID_Z_EN: 0
; COMPUTE_PGM_RSRC2:TIDIG_COMP_CNT: 0
	.section	.text._ZN7rocprim17ROCPRIM_400000_NS6detail17trampoline_kernelINS0_14default_configENS1_35adjacent_difference_config_selectorILb0ElEEZNS1_24adjacent_difference_implIS3_Lb0ELb0EPlS7_N6thrust23THRUST_200600_302600_NS5minusIlEEEE10hipError_tPvRmT2_T3_mT4_P12ihipStream_tbEUlT_E_NS1_11comp_targetILNS1_3genE8ELNS1_11target_archE1030ELNS1_3gpuE2ELNS1_3repE0EEENS1_30default_config_static_selectorELNS0_4arch9wavefront6targetE0EEEvT1_,"axG",@progbits,_ZN7rocprim17ROCPRIM_400000_NS6detail17trampoline_kernelINS0_14default_configENS1_35adjacent_difference_config_selectorILb0ElEEZNS1_24adjacent_difference_implIS3_Lb0ELb0EPlS7_N6thrust23THRUST_200600_302600_NS5minusIlEEEE10hipError_tPvRmT2_T3_mT4_P12ihipStream_tbEUlT_E_NS1_11comp_targetILNS1_3genE8ELNS1_11target_archE1030ELNS1_3gpuE2ELNS1_3repE0EEENS1_30default_config_static_selectorELNS0_4arch9wavefront6targetE0EEEvT1_,comdat
	.protected	_ZN7rocprim17ROCPRIM_400000_NS6detail17trampoline_kernelINS0_14default_configENS1_35adjacent_difference_config_selectorILb0ElEEZNS1_24adjacent_difference_implIS3_Lb0ELb0EPlS7_N6thrust23THRUST_200600_302600_NS5minusIlEEEE10hipError_tPvRmT2_T3_mT4_P12ihipStream_tbEUlT_E_NS1_11comp_targetILNS1_3genE8ELNS1_11target_archE1030ELNS1_3gpuE2ELNS1_3repE0EEENS1_30default_config_static_selectorELNS0_4arch9wavefront6targetE0EEEvT1_ ; -- Begin function _ZN7rocprim17ROCPRIM_400000_NS6detail17trampoline_kernelINS0_14default_configENS1_35adjacent_difference_config_selectorILb0ElEEZNS1_24adjacent_difference_implIS3_Lb0ELb0EPlS7_N6thrust23THRUST_200600_302600_NS5minusIlEEEE10hipError_tPvRmT2_T3_mT4_P12ihipStream_tbEUlT_E_NS1_11comp_targetILNS1_3genE8ELNS1_11target_archE1030ELNS1_3gpuE2ELNS1_3repE0EEENS1_30default_config_static_selectorELNS0_4arch9wavefront6targetE0EEEvT1_
	.globl	_ZN7rocprim17ROCPRIM_400000_NS6detail17trampoline_kernelINS0_14default_configENS1_35adjacent_difference_config_selectorILb0ElEEZNS1_24adjacent_difference_implIS3_Lb0ELb0EPlS7_N6thrust23THRUST_200600_302600_NS5minusIlEEEE10hipError_tPvRmT2_T3_mT4_P12ihipStream_tbEUlT_E_NS1_11comp_targetILNS1_3genE8ELNS1_11target_archE1030ELNS1_3gpuE2ELNS1_3repE0EEENS1_30default_config_static_selectorELNS0_4arch9wavefront6targetE0EEEvT1_
	.p2align	8
	.type	_ZN7rocprim17ROCPRIM_400000_NS6detail17trampoline_kernelINS0_14default_configENS1_35adjacent_difference_config_selectorILb0ElEEZNS1_24adjacent_difference_implIS3_Lb0ELb0EPlS7_N6thrust23THRUST_200600_302600_NS5minusIlEEEE10hipError_tPvRmT2_T3_mT4_P12ihipStream_tbEUlT_E_NS1_11comp_targetILNS1_3genE8ELNS1_11target_archE1030ELNS1_3gpuE2ELNS1_3repE0EEENS1_30default_config_static_selectorELNS0_4arch9wavefront6targetE0EEEvT1_,@function
_ZN7rocprim17ROCPRIM_400000_NS6detail17trampoline_kernelINS0_14default_configENS1_35adjacent_difference_config_selectorILb0ElEEZNS1_24adjacent_difference_implIS3_Lb0ELb0EPlS7_N6thrust23THRUST_200600_302600_NS5minusIlEEEE10hipError_tPvRmT2_T3_mT4_P12ihipStream_tbEUlT_E_NS1_11comp_targetILNS1_3genE8ELNS1_11target_archE1030ELNS1_3gpuE2ELNS1_3repE0EEENS1_30default_config_static_selectorELNS0_4arch9wavefront6targetE0EEEvT1_: ; @_ZN7rocprim17ROCPRIM_400000_NS6detail17trampoline_kernelINS0_14default_configENS1_35adjacent_difference_config_selectorILb0ElEEZNS1_24adjacent_difference_implIS3_Lb0ELb0EPlS7_N6thrust23THRUST_200600_302600_NS5minusIlEEEE10hipError_tPvRmT2_T3_mT4_P12ihipStream_tbEUlT_E_NS1_11comp_targetILNS1_3genE8ELNS1_11target_archE1030ELNS1_3gpuE2ELNS1_3repE0EEENS1_30default_config_static_selectorELNS0_4arch9wavefront6targetE0EEEvT1_
; %bb.0:
	.section	.rodata,"a",@progbits
	.p2align	6, 0x0
	.amdhsa_kernel _ZN7rocprim17ROCPRIM_400000_NS6detail17trampoline_kernelINS0_14default_configENS1_35adjacent_difference_config_selectorILb0ElEEZNS1_24adjacent_difference_implIS3_Lb0ELb0EPlS7_N6thrust23THRUST_200600_302600_NS5minusIlEEEE10hipError_tPvRmT2_T3_mT4_P12ihipStream_tbEUlT_E_NS1_11comp_targetILNS1_3genE8ELNS1_11target_archE1030ELNS1_3gpuE2ELNS1_3repE0EEENS1_30default_config_static_selectorELNS0_4arch9wavefront6targetE0EEEvT1_
		.amdhsa_group_segment_fixed_size 0
		.amdhsa_private_segment_fixed_size 0
		.amdhsa_kernarg_size 56
		.amdhsa_user_sgpr_count 2
		.amdhsa_user_sgpr_dispatch_ptr 0
		.amdhsa_user_sgpr_queue_ptr 0
		.amdhsa_user_sgpr_kernarg_segment_ptr 1
		.amdhsa_user_sgpr_dispatch_id 0
		.amdhsa_user_sgpr_kernarg_preload_length 0
		.amdhsa_user_sgpr_kernarg_preload_offset 0
		.amdhsa_user_sgpr_private_segment_size 0
		.amdhsa_wavefront_size32 1
		.amdhsa_uses_dynamic_stack 0
		.amdhsa_enable_private_segment 0
		.amdhsa_system_sgpr_workgroup_id_x 1
		.amdhsa_system_sgpr_workgroup_id_y 0
		.amdhsa_system_sgpr_workgroup_id_z 0
		.amdhsa_system_sgpr_workgroup_info 0
		.amdhsa_system_vgpr_workitem_id 0
		.amdhsa_next_free_vgpr 1
		.amdhsa_next_free_sgpr 1
		.amdhsa_named_barrier_count 0
		.amdhsa_reserve_vcc 0
		.amdhsa_float_round_mode_32 0
		.amdhsa_float_round_mode_16_64 0
		.amdhsa_float_denorm_mode_32 3
		.amdhsa_float_denorm_mode_16_64 3
		.amdhsa_fp16_overflow 0
		.amdhsa_memory_ordered 1
		.amdhsa_forward_progress 1
		.amdhsa_inst_pref_size 0
		.amdhsa_round_robin_scheduling 0
		.amdhsa_exception_fp_ieee_invalid_op 0
		.amdhsa_exception_fp_denorm_src 0
		.amdhsa_exception_fp_ieee_div_zero 0
		.amdhsa_exception_fp_ieee_overflow 0
		.amdhsa_exception_fp_ieee_underflow 0
		.amdhsa_exception_fp_ieee_inexact 0
		.amdhsa_exception_int_div_zero 0
	.end_amdhsa_kernel
	.section	.text._ZN7rocprim17ROCPRIM_400000_NS6detail17trampoline_kernelINS0_14default_configENS1_35adjacent_difference_config_selectorILb0ElEEZNS1_24adjacent_difference_implIS3_Lb0ELb0EPlS7_N6thrust23THRUST_200600_302600_NS5minusIlEEEE10hipError_tPvRmT2_T3_mT4_P12ihipStream_tbEUlT_E_NS1_11comp_targetILNS1_3genE8ELNS1_11target_archE1030ELNS1_3gpuE2ELNS1_3repE0EEENS1_30default_config_static_selectorELNS0_4arch9wavefront6targetE0EEEvT1_,"axG",@progbits,_ZN7rocprim17ROCPRIM_400000_NS6detail17trampoline_kernelINS0_14default_configENS1_35adjacent_difference_config_selectorILb0ElEEZNS1_24adjacent_difference_implIS3_Lb0ELb0EPlS7_N6thrust23THRUST_200600_302600_NS5minusIlEEEE10hipError_tPvRmT2_T3_mT4_P12ihipStream_tbEUlT_E_NS1_11comp_targetILNS1_3genE8ELNS1_11target_archE1030ELNS1_3gpuE2ELNS1_3repE0EEENS1_30default_config_static_selectorELNS0_4arch9wavefront6targetE0EEEvT1_,comdat
.Lfunc_end243:
	.size	_ZN7rocprim17ROCPRIM_400000_NS6detail17trampoline_kernelINS0_14default_configENS1_35adjacent_difference_config_selectorILb0ElEEZNS1_24adjacent_difference_implIS3_Lb0ELb0EPlS7_N6thrust23THRUST_200600_302600_NS5minusIlEEEE10hipError_tPvRmT2_T3_mT4_P12ihipStream_tbEUlT_E_NS1_11comp_targetILNS1_3genE8ELNS1_11target_archE1030ELNS1_3gpuE2ELNS1_3repE0EEENS1_30default_config_static_selectorELNS0_4arch9wavefront6targetE0EEEvT1_, .Lfunc_end243-_ZN7rocprim17ROCPRIM_400000_NS6detail17trampoline_kernelINS0_14default_configENS1_35adjacent_difference_config_selectorILb0ElEEZNS1_24adjacent_difference_implIS3_Lb0ELb0EPlS7_N6thrust23THRUST_200600_302600_NS5minusIlEEEE10hipError_tPvRmT2_T3_mT4_P12ihipStream_tbEUlT_E_NS1_11comp_targetILNS1_3genE8ELNS1_11target_archE1030ELNS1_3gpuE2ELNS1_3repE0EEENS1_30default_config_static_selectorELNS0_4arch9wavefront6targetE0EEEvT1_
                                        ; -- End function
	.set _ZN7rocprim17ROCPRIM_400000_NS6detail17trampoline_kernelINS0_14default_configENS1_35adjacent_difference_config_selectorILb0ElEEZNS1_24adjacent_difference_implIS3_Lb0ELb0EPlS7_N6thrust23THRUST_200600_302600_NS5minusIlEEEE10hipError_tPvRmT2_T3_mT4_P12ihipStream_tbEUlT_E_NS1_11comp_targetILNS1_3genE8ELNS1_11target_archE1030ELNS1_3gpuE2ELNS1_3repE0EEENS1_30default_config_static_selectorELNS0_4arch9wavefront6targetE0EEEvT1_.num_vgpr, 0
	.set _ZN7rocprim17ROCPRIM_400000_NS6detail17trampoline_kernelINS0_14default_configENS1_35adjacent_difference_config_selectorILb0ElEEZNS1_24adjacent_difference_implIS3_Lb0ELb0EPlS7_N6thrust23THRUST_200600_302600_NS5minusIlEEEE10hipError_tPvRmT2_T3_mT4_P12ihipStream_tbEUlT_E_NS1_11comp_targetILNS1_3genE8ELNS1_11target_archE1030ELNS1_3gpuE2ELNS1_3repE0EEENS1_30default_config_static_selectorELNS0_4arch9wavefront6targetE0EEEvT1_.num_agpr, 0
	.set _ZN7rocprim17ROCPRIM_400000_NS6detail17trampoline_kernelINS0_14default_configENS1_35adjacent_difference_config_selectorILb0ElEEZNS1_24adjacent_difference_implIS3_Lb0ELb0EPlS7_N6thrust23THRUST_200600_302600_NS5minusIlEEEE10hipError_tPvRmT2_T3_mT4_P12ihipStream_tbEUlT_E_NS1_11comp_targetILNS1_3genE8ELNS1_11target_archE1030ELNS1_3gpuE2ELNS1_3repE0EEENS1_30default_config_static_selectorELNS0_4arch9wavefront6targetE0EEEvT1_.numbered_sgpr, 0
	.set _ZN7rocprim17ROCPRIM_400000_NS6detail17trampoline_kernelINS0_14default_configENS1_35adjacent_difference_config_selectorILb0ElEEZNS1_24adjacent_difference_implIS3_Lb0ELb0EPlS7_N6thrust23THRUST_200600_302600_NS5minusIlEEEE10hipError_tPvRmT2_T3_mT4_P12ihipStream_tbEUlT_E_NS1_11comp_targetILNS1_3genE8ELNS1_11target_archE1030ELNS1_3gpuE2ELNS1_3repE0EEENS1_30default_config_static_selectorELNS0_4arch9wavefront6targetE0EEEvT1_.num_named_barrier, 0
	.set _ZN7rocprim17ROCPRIM_400000_NS6detail17trampoline_kernelINS0_14default_configENS1_35adjacent_difference_config_selectorILb0ElEEZNS1_24adjacent_difference_implIS3_Lb0ELb0EPlS7_N6thrust23THRUST_200600_302600_NS5minusIlEEEE10hipError_tPvRmT2_T3_mT4_P12ihipStream_tbEUlT_E_NS1_11comp_targetILNS1_3genE8ELNS1_11target_archE1030ELNS1_3gpuE2ELNS1_3repE0EEENS1_30default_config_static_selectorELNS0_4arch9wavefront6targetE0EEEvT1_.private_seg_size, 0
	.set _ZN7rocprim17ROCPRIM_400000_NS6detail17trampoline_kernelINS0_14default_configENS1_35adjacent_difference_config_selectorILb0ElEEZNS1_24adjacent_difference_implIS3_Lb0ELb0EPlS7_N6thrust23THRUST_200600_302600_NS5minusIlEEEE10hipError_tPvRmT2_T3_mT4_P12ihipStream_tbEUlT_E_NS1_11comp_targetILNS1_3genE8ELNS1_11target_archE1030ELNS1_3gpuE2ELNS1_3repE0EEENS1_30default_config_static_selectorELNS0_4arch9wavefront6targetE0EEEvT1_.uses_vcc, 0
	.set _ZN7rocprim17ROCPRIM_400000_NS6detail17trampoline_kernelINS0_14default_configENS1_35adjacent_difference_config_selectorILb0ElEEZNS1_24adjacent_difference_implIS3_Lb0ELb0EPlS7_N6thrust23THRUST_200600_302600_NS5minusIlEEEE10hipError_tPvRmT2_T3_mT4_P12ihipStream_tbEUlT_E_NS1_11comp_targetILNS1_3genE8ELNS1_11target_archE1030ELNS1_3gpuE2ELNS1_3repE0EEENS1_30default_config_static_selectorELNS0_4arch9wavefront6targetE0EEEvT1_.uses_flat_scratch, 0
	.set _ZN7rocprim17ROCPRIM_400000_NS6detail17trampoline_kernelINS0_14default_configENS1_35adjacent_difference_config_selectorILb0ElEEZNS1_24adjacent_difference_implIS3_Lb0ELb0EPlS7_N6thrust23THRUST_200600_302600_NS5minusIlEEEE10hipError_tPvRmT2_T3_mT4_P12ihipStream_tbEUlT_E_NS1_11comp_targetILNS1_3genE8ELNS1_11target_archE1030ELNS1_3gpuE2ELNS1_3repE0EEENS1_30default_config_static_selectorELNS0_4arch9wavefront6targetE0EEEvT1_.has_dyn_sized_stack, 0
	.set _ZN7rocprim17ROCPRIM_400000_NS6detail17trampoline_kernelINS0_14default_configENS1_35adjacent_difference_config_selectorILb0ElEEZNS1_24adjacent_difference_implIS3_Lb0ELb0EPlS7_N6thrust23THRUST_200600_302600_NS5minusIlEEEE10hipError_tPvRmT2_T3_mT4_P12ihipStream_tbEUlT_E_NS1_11comp_targetILNS1_3genE8ELNS1_11target_archE1030ELNS1_3gpuE2ELNS1_3repE0EEENS1_30default_config_static_selectorELNS0_4arch9wavefront6targetE0EEEvT1_.has_recursion, 0
	.set _ZN7rocprim17ROCPRIM_400000_NS6detail17trampoline_kernelINS0_14default_configENS1_35adjacent_difference_config_selectorILb0ElEEZNS1_24adjacent_difference_implIS3_Lb0ELb0EPlS7_N6thrust23THRUST_200600_302600_NS5minusIlEEEE10hipError_tPvRmT2_T3_mT4_P12ihipStream_tbEUlT_E_NS1_11comp_targetILNS1_3genE8ELNS1_11target_archE1030ELNS1_3gpuE2ELNS1_3repE0EEENS1_30default_config_static_selectorELNS0_4arch9wavefront6targetE0EEEvT1_.has_indirect_call, 0
	.section	.AMDGPU.csdata,"",@progbits
; Kernel info:
; codeLenInByte = 0
; TotalNumSgprs: 0
; NumVgprs: 0
; ScratchSize: 0
; MemoryBound: 0
; FloatMode: 240
; IeeeMode: 1
; LDSByteSize: 0 bytes/workgroup (compile time only)
; SGPRBlocks: 0
; VGPRBlocks: 0
; NumSGPRsForWavesPerEU: 1
; NumVGPRsForWavesPerEU: 1
; NamedBarCnt: 0
; Occupancy: 16
; WaveLimiterHint : 0
; COMPUTE_PGM_RSRC2:SCRATCH_EN: 0
; COMPUTE_PGM_RSRC2:USER_SGPR: 2
; COMPUTE_PGM_RSRC2:TRAP_HANDLER: 0
; COMPUTE_PGM_RSRC2:TGID_X_EN: 1
; COMPUTE_PGM_RSRC2:TGID_Y_EN: 0
; COMPUTE_PGM_RSRC2:TGID_Z_EN: 0
; COMPUTE_PGM_RSRC2:TIDIG_COMP_CNT: 0
	.section	.text._ZN7rocprim17ROCPRIM_400000_NS6detail17trampoline_kernelINS0_14default_configENS1_25transform_config_selectorIlLb0EEEZNS1_14transform_implILb0ES3_S5_NS0_18transform_iteratorINS0_17counting_iteratorImlEEZNS1_24adjacent_difference_implIS3_Lb1ELb0EPlSB_N6thrust23THRUST_200600_302600_NS5minusIlEEEE10hipError_tPvRmT2_T3_mT4_P12ihipStream_tbEUlmE_lEESB_NS0_8identityIvEEEESG_SJ_SK_mSL_SN_bEUlT_E_NS1_11comp_targetILNS1_3genE0ELNS1_11target_archE4294967295ELNS1_3gpuE0ELNS1_3repE0EEENS1_30default_config_static_selectorELNS0_4arch9wavefront6targetE0EEEvT1_,"axG",@progbits,_ZN7rocprim17ROCPRIM_400000_NS6detail17trampoline_kernelINS0_14default_configENS1_25transform_config_selectorIlLb0EEEZNS1_14transform_implILb0ES3_S5_NS0_18transform_iteratorINS0_17counting_iteratorImlEEZNS1_24adjacent_difference_implIS3_Lb1ELb0EPlSB_N6thrust23THRUST_200600_302600_NS5minusIlEEEE10hipError_tPvRmT2_T3_mT4_P12ihipStream_tbEUlmE_lEESB_NS0_8identityIvEEEESG_SJ_SK_mSL_SN_bEUlT_E_NS1_11comp_targetILNS1_3genE0ELNS1_11target_archE4294967295ELNS1_3gpuE0ELNS1_3repE0EEENS1_30default_config_static_selectorELNS0_4arch9wavefront6targetE0EEEvT1_,comdat
	.protected	_ZN7rocprim17ROCPRIM_400000_NS6detail17trampoline_kernelINS0_14default_configENS1_25transform_config_selectorIlLb0EEEZNS1_14transform_implILb0ES3_S5_NS0_18transform_iteratorINS0_17counting_iteratorImlEEZNS1_24adjacent_difference_implIS3_Lb1ELb0EPlSB_N6thrust23THRUST_200600_302600_NS5minusIlEEEE10hipError_tPvRmT2_T3_mT4_P12ihipStream_tbEUlmE_lEESB_NS0_8identityIvEEEESG_SJ_SK_mSL_SN_bEUlT_E_NS1_11comp_targetILNS1_3genE0ELNS1_11target_archE4294967295ELNS1_3gpuE0ELNS1_3repE0EEENS1_30default_config_static_selectorELNS0_4arch9wavefront6targetE0EEEvT1_ ; -- Begin function _ZN7rocprim17ROCPRIM_400000_NS6detail17trampoline_kernelINS0_14default_configENS1_25transform_config_selectorIlLb0EEEZNS1_14transform_implILb0ES3_S5_NS0_18transform_iteratorINS0_17counting_iteratorImlEEZNS1_24adjacent_difference_implIS3_Lb1ELb0EPlSB_N6thrust23THRUST_200600_302600_NS5minusIlEEEE10hipError_tPvRmT2_T3_mT4_P12ihipStream_tbEUlmE_lEESB_NS0_8identityIvEEEESG_SJ_SK_mSL_SN_bEUlT_E_NS1_11comp_targetILNS1_3genE0ELNS1_11target_archE4294967295ELNS1_3gpuE0ELNS1_3repE0EEENS1_30default_config_static_selectorELNS0_4arch9wavefront6targetE0EEEvT1_
	.globl	_ZN7rocprim17ROCPRIM_400000_NS6detail17trampoline_kernelINS0_14default_configENS1_25transform_config_selectorIlLb0EEEZNS1_14transform_implILb0ES3_S5_NS0_18transform_iteratorINS0_17counting_iteratorImlEEZNS1_24adjacent_difference_implIS3_Lb1ELb0EPlSB_N6thrust23THRUST_200600_302600_NS5minusIlEEEE10hipError_tPvRmT2_T3_mT4_P12ihipStream_tbEUlmE_lEESB_NS0_8identityIvEEEESG_SJ_SK_mSL_SN_bEUlT_E_NS1_11comp_targetILNS1_3genE0ELNS1_11target_archE4294967295ELNS1_3gpuE0ELNS1_3repE0EEENS1_30default_config_static_selectorELNS0_4arch9wavefront6targetE0EEEvT1_
	.p2align	8
	.type	_ZN7rocprim17ROCPRIM_400000_NS6detail17trampoline_kernelINS0_14default_configENS1_25transform_config_selectorIlLb0EEEZNS1_14transform_implILb0ES3_S5_NS0_18transform_iteratorINS0_17counting_iteratorImlEEZNS1_24adjacent_difference_implIS3_Lb1ELb0EPlSB_N6thrust23THRUST_200600_302600_NS5minusIlEEEE10hipError_tPvRmT2_T3_mT4_P12ihipStream_tbEUlmE_lEESB_NS0_8identityIvEEEESG_SJ_SK_mSL_SN_bEUlT_E_NS1_11comp_targetILNS1_3genE0ELNS1_11target_archE4294967295ELNS1_3gpuE0ELNS1_3repE0EEENS1_30default_config_static_selectorELNS0_4arch9wavefront6targetE0EEEvT1_,@function
_ZN7rocprim17ROCPRIM_400000_NS6detail17trampoline_kernelINS0_14default_configENS1_25transform_config_selectorIlLb0EEEZNS1_14transform_implILb0ES3_S5_NS0_18transform_iteratorINS0_17counting_iteratorImlEEZNS1_24adjacent_difference_implIS3_Lb1ELb0EPlSB_N6thrust23THRUST_200600_302600_NS5minusIlEEEE10hipError_tPvRmT2_T3_mT4_P12ihipStream_tbEUlmE_lEESB_NS0_8identityIvEEEESG_SJ_SK_mSL_SN_bEUlT_E_NS1_11comp_targetILNS1_3genE0ELNS1_11target_archE4294967295ELNS1_3gpuE0ELNS1_3repE0EEENS1_30default_config_static_selectorELNS0_4arch9wavefront6targetE0EEEvT1_: ; @_ZN7rocprim17ROCPRIM_400000_NS6detail17trampoline_kernelINS0_14default_configENS1_25transform_config_selectorIlLb0EEEZNS1_14transform_implILb0ES3_S5_NS0_18transform_iteratorINS0_17counting_iteratorImlEEZNS1_24adjacent_difference_implIS3_Lb1ELb0EPlSB_N6thrust23THRUST_200600_302600_NS5minusIlEEEE10hipError_tPvRmT2_T3_mT4_P12ihipStream_tbEUlmE_lEESB_NS0_8identityIvEEEESG_SJ_SK_mSL_SN_bEUlT_E_NS1_11comp_targetILNS1_3genE0ELNS1_11target_archE4294967295ELNS1_3gpuE0ELNS1_3repE0EEENS1_30default_config_static_selectorELNS0_4arch9wavefront6targetE0EEEvT1_
; %bb.0:
	s_clause 0x1
	s_load_b32 s2, s[0:1], 0x38
	s_load_b32 s3, s[0:1], 0x20
	s_bfe_u32 s4, ttmp6, 0x4000c
	s_and_b32 s5, ttmp6, 15
	s_add_co_i32 s4, s4, 1
	s_getreg_b32 s6, hwreg(HW_REG_IB_STS2, 6, 4)
	s_mul_i32 s4, ttmp9, s4
	s_delay_alu instid0(SALU_CYCLE_1)
	s_add_co_i32 s5, s5, s4
	s_cmp_eq_u32 s6, 0
	s_cselect_b32 s4, ttmp9, s5
	s_wait_kmcnt 0x0
	s_add_co_i32 s5, s2, -1
	s_lshl_b32 s2, s4, 7
	s_cmp_lg_u32 s4, s5
	s_cselect_b32 s4, -1, 0
	s_sub_co_i32 s3, s3, s2
	s_delay_alu instid0(SALU_CYCLE_1) | instskip(SKIP_2) | instid1(SALU_CYCLE_1)
	v_cmp_gt_u32_e32 vcc_lo, s3, v0
	s_mov_b32 s3, 0
	s_or_b32 s4, s4, vcc_lo
	s_and_saveexec_b32 s5, s4
	s_cbranch_execz .LBB244_2
; %bb.1:
	s_clause 0x3
	s_load_b64 s[8:9], s[0:1], 0x18
	s_load_b128 s[4:7], s[0:1], 0x0
	s_load_b32 s10, s[0:1], 0x10
	s_load_b64 s[12:13], s[0:1], 0x28
	v_mov_b32_e32 v1, 0
	s_mov_b32 s11, s3
	s_wait_kmcnt 0x0
	s_add_nc_u64 s[0:1], s[4:5], s[8:9]
	s_delay_alu instid0(SALU_CYCLE_1) | instskip(SKIP_3) | instid1(SALU_CYCLE_1)
	s_add_nc_u64 s[0:1], s[0:1], s[2:3]
	s_lshl_b64 s[2:3], s[2:3], 3
	v_add_nc_u64_e32 v[2:3], s[0:1], v[0:1]
	s_lshl_b64 s[0:1], s[8:9], 3
	s_add_nc_u64 s[0:1], s[12:13], s[0:1]
	s_delay_alu instid0(SALU_CYCLE_1) | instskip(NEXT) | instid1(VALU_DEP_1)
	s_add_nc_u64 s[0:1], s[0:1], s[2:3]
	v_mul_u64_e32 v[2:3], s[10:11], v[2:3]
	s_delay_alu instid0(VALU_DEP_1)
	v_lshl_add_u64 v[2:3], v[2:3], 3, s[6:7]
	global_load_b64 v[2:3], v[2:3], off
	s_wait_loadcnt 0x0
	global_store_b64 v0, v[2:3], s[0:1] scale_offset
.LBB244_2:
	s_endpgm
	.section	.rodata,"a",@progbits
	.p2align	6, 0x0
	.amdhsa_kernel _ZN7rocprim17ROCPRIM_400000_NS6detail17trampoline_kernelINS0_14default_configENS1_25transform_config_selectorIlLb0EEEZNS1_14transform_implILb0ES3_S5_NS0_18transform_iteratorINS0_17counting_iteratorImlEEZNS1_24adjacent_difference_implIS3_Lb1ELb0EPlSB_N6thrust23THRUST_200600_302600_NS5minusIlEEEE10hipError_tPvRmT2_T3_mT4_P12ihipStream_tbEUlmE_lEESB_NS0_8identityIvEEEESG_SJ_SK_mSL_SN_bEUlT_E_NS1_11comp_targetILNS1_3genE0ELNS1_11target_archE4294967295ELNS1_3gpuE0ELNS1_3repE0EEENS1_30default_config_static_selectorELNS0_4arch9wavefront6targetE0EEEvT1_
		.amdhsa_group_segment_fixed_size 0
		.amdhsa_private_segment_fixed_size 0
		.amdhsa_kernarg_size 312
		.amdhsa_user_sgpr_count 2
		.amdhsa_user_sgpr_dispatch_ptr 0
		.amdhsa_user_sgpr_queue_ptr 0
		.amdhsa_user_sgpr_kernarg_segment_ptr 1
		.amdhsa_user_sgpr_dispatch_id 0
		.amdhsa_user_sgpr_kernarg_preload_length 0
		.amdhsa_user_sgpr_kernarg_preload_offset 0
		.amdhsa_user_sgpr_private_segment_size 0
		.amdhsa_wavefront_size32 1
		.amdhsa_uses_dynamic_stack 0
		.amdhsa_enable_private_segment 0
		.amdhsa_system_sgpr_workgroup_id_x 1
		.amdhsa_system_sgpr_workgroup_id_y 0
		.amdhsa_system_sgpr_workgroup_id_z 0
		.amdhsa_system_sgpr_workgroup_info 0
		.amdhsa_system_vgpr_workitem_id 0
		.amdhsa_next_free_vgpr 4
		.amdhsa_next_free_sgpr 14
		.amdhsa_named_barrier_count 0
		.amdhsa_reserve_vcc 1
		.amdhsa_float_round_mode_32 0
		.amdhsa_float_round_mode_16_64 0
		.amdhsa_float_denorm_mode_32 3
		.amdhsa_float_denorm_mode_16_64 3
		.amdhsa_fp16_overflow 0
		.amdhsa_memory_ordered 1
		.amdhsa_forward_progress 1
		.amdhsa_inst_pref_size 2
		.amdhsa_round_robin_scheduling 0
		.amdhsa_exception_fp_ieee_invalid_op 0
		.amdhsa_exception_fp_denorm_src 0
		.amdhsa_exception_fp_ieee_div_zero 0
		.amdhsa_exception_fp_ieee_overflow 0
		.amdhsa_exception_fp_ieee_underflow 0
		.amdhsa_exception_fp_ieee_inexact 0
		.amdhsa_exception_int_div_zero 0
	.end_amdhsa_kernel
	.section	.text._ZN7rocprim17ROCPRIM_400000_NS6detail17trampoline_kernelINS0_14default_configENS1_25transform_config_selectorIlLb0EEEZNS1_14transform_implILb0ES3_S5_NS0_18transform_iteratorINS0_17counting_iteratorImlEEZNS1_24adjacent_difference_implIS3_Lb1ELb0EPlSB_N6thrust23THRUST_200600_302600_NS5minusIlEEEE10hipError_tPvRmT2_T3_mT4_P12ihipStream_tbEUlmE_lEESB_NS0_8identityIvEEEESG_SJ_SK_mSL_SN_bEUlT_E_NS1_11comp_targetILNS1_3genE0ELNS1_11target_archE4294967295ELNS1_3gpuE0ELNS1_3repE0EEENS1_30default_config_static_selectorELNS0_4arch9wavefront6targetE0EEEvT1_,"axG",@progbits,_ZN7rocprim17ROCPRIM_400000_NS6detail17trampoline_kernelINS0_14default_configENS1_25transform_config_selectorIlLb0EEEZNS1_14transform_implILb0ES3_S5_NS0_18transform_iteratorINS0_17counting_iteratorImlEEZNS1_24adjacent_difference_implIS3_Lb1ELb0EPlSB_N6thrust23THRUST_200600_302600_NS5minusIlEEEE10hipError_tPvRmT2_T3_mT4_P12ihipStream_tbEUlmE_lEESB_NS0_8identityIvEEEESG_SJ_SK_mSL_SN_bEUlT_E_NS1_11comp_targetILNS1_3genE0ELNS1_11target_archE4294967295ELNS1_3gpuE0ELNS1_3repE0EEENS1_30default_config_static_selectorELNS0_4arch9wavefront6targetE0EEEvT1_,comdat
.Lfunc_end244:
	.size	_ZN7rocprim17ROCPRIM_400000_NS6detail17trampoline_kernelINS0_14default_configENS1_25transform_config_selectorIlLb0EEEZNS1_14transform_implILb0ES3_S5_NS0_18transform_iteratorINS0_17counting_iteratorImlEEZNS1_24adjacent_difference_implIS3_Lb1ELb0EPlSB_N6thrust23THRUST_200600_302600_NS5minusIlEEEE10hipError_tPvRmT2_T3_mT4_P12ihipStream_tbEUlmE_lEESB_NS0_8identityIvEEEESG_SJ_SK_mSL_SN_bEUlT_E_NS1_11comp_targetILNS1_3genE0ELNS1_11target_archE4294967295ELNS1_3gpuE0ELNS1_3repE0EEENS1_30default_config_static_selectorELNS0_4arch9wavefront6targetE0EEEvT1_, .Lfunc_end244-_ZN7rocprim17ROCPRIM_400000_NS6detail17trampoline_kernelINS0_14default_configENS1_25transform_config_selectorIlLb0EEEZNS1_14transform_implILb0ES3_S5_NS0_18transform_iteratorINS0_17counting_iteratorImlEEZNS1_24adjacent_difference_implIS3_Lb1ELb0EPlSB_N6thrust23THRUST_200600_302600_NS5minusIlEEEE10hipError_tPvRmT2_T3_mT4_P12ihipStream_tbEUlmE_lEESB_NS0_8identityIvEEEESG_SJ_SK_mSL_SN_bEUlT_E_NS1_11comp_targetILNS1_3genE0ELNS1_11target_archE4294967295ELNS1_3gpuE0ELNS1_3repE0EEENS1_30default_config_static_selectorELNS0_4arch9wavefront6targetE0EEEvT1_
                                        ; -- End function
	.set _ZN7rocprim17ROCPRIM_400000_NS6detail17trampoline_kernelINS0_14default_configENS1_25transform_config_selectorIlLb0EEEZNS1_14transform_implILb0ES3_S5_NS0_18transform_iteratorINS0_17counting_iteratorImlEEZNS1_24adjacent_difference_implIS3_Lb1ELb0EPlSB_N6thrust23THRUST_200600_302600_NS5minusIlEEEE10hipError_tPvRmT2_T3_mT4_P12ihipStream_tbEUlmE_lEESB_NS0_8identityIvEEEESG_SJ_SK_mSL_SN_bEUlT_E_NS1_11comp_targetILNS1_3genE0ELNS1_11target_archE4294967295ELNS1_3gpuE0ELNS1_3repE0EEENS1_30default_config_static_selectorELNS0_4arch9wavefront6targetE0EEEvT1_.num_vgpr, 4
	.set _ZN7rocprim17ROCPRIM_400000_NS6detail17trampoline_kernelINS0_14default_configENS1_25transform_config_selectorIlLb0EEEZNS1_14transform_implILb0ES3_S5_NS0_18transform_iteratorINS0_17counting_iteratorImlEEZNS1_24adjacent_difference_implIS3_Lb1ELb0EPlSB_N6thrust23THRUST_200600_302600_NS5minusIlEEEE10hipError_tPvRmT2_T3_mT4_P12ihipStream_tbEUlmE_lEESB_NS0_8identityIvEEEESG_SJ_SK_mSL_SN_bEUlT_E_NS1_11comp_targetILNS1_3genE0ELNS1_11target_archE4294967295ELNS1_3gpuE0ELNS1_3repE0EEENS1_30default_config_static_selectorELNS0_4arch9wavefront6targetE0EEEvT1_.num_agpr, 0
	.set _ZN7rocprim17ROCPRIM_400000_NS6detail17trampoline_kernelINS0_14default_configENS1_25transform_config_selectorIlLb0EEEZNS1_14transform_implILb0ES3_S5_NS0_18transform_iteratorINS0_17counting_iteratorImlEEZNS1_24adjacent_difference_implIS3_Lb1ELb0EPlSB_N6thrust23THRUST_200600_302600_NS5minusIlEEEE10hipError_tPvRmT2_T3_mT4_P12ihipStream_tbEUlmE_lEESB_NS0_8identityIvEEEESG_SJ_SK_mSL_SN_bEUlT_E_NS1_11comp_targetILNS1_3genE0ELNS1_11target_archE4294967295ELNS1_3gpuE0ELNS1_3repE0EEENS1_30default_config_static_selectorELNS0_4arch9wavefront6targetE0EEEvT1_.numbered_sgpr, 14
	.set _ZN7rocprim17ROCPRIM_400000_NS6detail17trampoline_kernelINS0_14default_configENS1_25transform_config_selectorIlLb0EEEZNS1_14transform_implILb0ES3_S5_NS0_18transform_iteratorINS0_17counting_iteratorImlEEZNS1_24adjacent_difference_implIS3_Lb1ELb0EPlSB_N6thrust23THRUST_200600_302600_NS5minusIlEEEE10hipError_tPvRmT2_T3_mT4_P12ihipStream_tbEUlmE_lEESB_NS0_8identityIvEEEESG_SJ_SK_mSL_SN_bEUlT_E_NS1_11comp_targetILNS1_3genE0ELNS1_11target_archE4294967295ELNS1_3gpuE0ELNS1_3repE0EEENS1_30default_config_static_selectorELNS0_4arch9wavefront6targetE0EEEvT1_.num_named_barrier, 0
	.set _ZN7rocprim17ROCPRIM_400000_NS6detail17trampoline_kernelINS0_14default_configENS1_25transform_config_selectorIlLb0EEEZNS1_14transform_implILb0ES3_S5_NS0_18transform_iteratorINS0_17counting_iteratorImlEEZNS1_24adjacent_difference_implIS3_Lb1ELb0EPlSB_N6thrust23THRUST_200600_302600_NS5minusIlEEEE10hipError_tPvRmT2_T3_mT4_P12ihipStream_tbEUlmE_lEESB_NS0_8identityIvEEEESG_SJ_SK_mSL_SN_bEUlT_E_NS1_11comp_targetILNS1_3genE0ELNS1_11target_archE4294967295ELNS1_3gpuE0ELNS1_3repE0EEENS1_30default_config_static_selectorELNS0_4arch9wavefront6targetE0EEEvT1_.private_seg_size, 0
	.set _ZN7rocprim17ROCPRIM_400000_NS6detail17trampoline_kernelINS0_14default_configENS1_25transform_config_selectorIlLb0EEEZNS1_14transform_implILb0ES3_S5_NS0_18transform_iteratorINS0_17counting_iteratorImlEEZNS1_24adjacent_difference_implIS3_Lb1ELb0EPlSB_N6thrust23THRUST_200600_302600_NS5minusIlEEEE10hipError_tPvRmT2_T3_mT4_P12ihipStream_tbEUlmE_lEESB_NS0_8identityIvEEEESG_SJ_SK_mSL_SN_bEUlT_E_NS1_11comp_targetILNS1_3genE0ELNS1_11target_archE4294967295ELNS1_3gpuE0ELNS1_3repE0EEENS1_30default_config_static_selectorELNS0_4arch9wavefront6targetE0EEEvT1_.uses_vcc, 1
	.set _ZN7rocprim17ROCPRIM_400000_NS6detail17trampoline_kernelINS0_14default_configENS1_25transform_config_selectorIlLb0EEEZNS1_14transform_implILb0ES3_S5_NS0_18transform_iteratorINS0_17counting_iteratorImlEEZNS1_24adjacent_difference_implIS3_Lb1ELb0EPlSB_N6thrust23THRUST_200600_302600_NS5minusIlEEEE10hipError_tPvRmT2_T3_mT4_P12ihipStream_tbEUlmE_lEESB_NS0_8identityIvEEEESG_SJ_SK_mSL_SN_bEUlT_E_NS1_11comp_targetILNS1_3genE0ELNS1_11target_archE4294967295ELNS1_3gpuE0ELNS1_3repE0EEENS1_30default_config_static_selectorELNS0_4arch9wavefront6targetE0EEEvT1_.uses_flat_scratch, 0
	.set _ZN7rocprim17ROCPRIM_400000_NS6detail17trampoline_kernelINS0_14default_configENS1_25transform_config_selectorIlLb0EEEZNS1_14transform_implILb0ES3_S5_NS0_18transform_iteratorINS0_17counting_iteratorImlEEZNS1_24adjacent_difference_implIS3_Lb1ELb0EPlSB_N6thrust23THRUST_200600_302600_NS5minusIlEEEE10hipError_tPvRmT2_T3_mT4_P12ihipStream_tbEUlmE_lEESB_NS0_8identityIvEEEESG_SJ_SK_mSL_SN_bEUlT_E_NS1_11comp_targetILNS1_3genE0ELNS1_11target_archE4294967295ELNS1_3gpuE0ELNS1_3repE0EEENS1_30default_config_static_selectorELNS0_4arch9wavefront6targetE0EEEvT1_.has_dyn_sized_stack, 0
	.set _ZN7rocprim17ROCPRIM_400000_NS6detail17trampoline_kernelINS0_14default_configENS1_25transform_config_selectorIlLb0EEEZNS1_14transform_implILb0ES3_S5_NS0_18transform_iteratorINS0_17counting_iteratorImlEEZNS1_24adjacent_difference_implIS3_Lb1ELb0EPlSB_N6thrust23THRUST_200600_302600_NS5minusIlEEEE10hipError_tPvRmT2_T3_mT4_P12ihipStream_tbEUlmE_lEESB_NS0_8identityIvEEEESG_SJ_SK_mSL_SN_bEUlT_E_NS1_11comp_targetILNS1_3genE0ELNS1_11target_archE4294967295ELNS1_3gpuE0ELNS1_3repE0EEENS1_30default_config_static_selectorELNS0_4arch9wavefront6targetE0EEEvT1_.has_recursion, 0
	.set _ZN7rocprim17ROCPRIM_400000_NS6detail17trampoline_kernelINS0_14default_configENS1_25transform_config_selectorIlLb0EEEZNS1_14transform_implILb0ES3_S5_NS0_18transform_iteratorINS0_17counting_iteratorImlEEZNS1_24adjacent_difference_implIS3_Lb1ELb0EPlSB_N6thrust23THRUST_200600_302600_NS5minusIlEEEE10hipError_tPvRmT2_T3_mT4_P12ihipStream_tbEUlmE_lEESB_NS0_8identityIvEEEESG_SJ_SK_mSL_SN_bEUlT_E_NS1_11comp_targetILNS1_3genE0ELNS1_11target_archE4294967295ELNS1_3gpuE0ELNS1_3repE0EEENS1_30default_config_static_selectorELNS0_4arch9wavefront6targetE0EEEvT1_.has_indirect_call, 0
	.section	.AMDGPU.csdata,"",@progbits
; Kernel info:
; codeLenInByte = 240
; TotalNumSgprs: 16
; NumVgprs: 4
; ScratchSize: 0
; MemoryBound: 0
; FloatMode: 240
; IeeeMode: 1
; LDSByteSize: 0 bytes/workgroup (compile time only)
; SGPRBlocks: 0
; VGPRBlocks: 0
; NumSGPRsForWavesPerEU: 16
; NumVGPRsForWavesPerEU: 4
; NamedBarCnt: 0
; Occupancy: 16
; WaveLimiterHint : 0
; COMPUTE_PGM_RSRC2:SCRATCH_EN: 0
; COMPUTE_PGM_RSRC2:USER_SGPR: 2
; COMPUTE_PGM_RSRC2:TRAP_HANDLER: 0
; COMPUTE_PGM_RSRC2:TGID_X_EN: 1
; COMPUTE_PGM_RSRC2:TGID_Y_EN: 0
; COMPUTE_PGM_RSRC2:TGID_Z_EN: 0
; COMPUTE_PGM_RSRC2:TIDIG_COMP_CNT: 0
	.section	.text._ZN7rocprim17ROCPRIM_400000_NS6detail17trampoline_kernelINS0_14default_configENS1_25transform_config_selectorIlLb0EEEZNS1_14transform_implILb0ES3_S5_NS0_18transform_iteratorINS0_17counting_iteratorImlEEZNS1_24adjacent_difference_implIS3_Lb1ELb0EPlSB_N6thrust23THRUST_200600_302600_NS5minusIlEEEE10hipError_tPvRmT2_T3_mT4_P12ihipStream_tbEUlmE_lEESB_NS0_8identityIvEEEESG_SJ_SK_mSL_SN_bEUlT_E_NS1_11comp_targetILNS1_3genE5ELNS1_11target_archE942ELNS1_3gpuE9ELNS1_3repE0EEENS1_30default_config_static_selectorELNS0_4arch9wavefront6targetE0EEEvT1_,"axG",@progbits,_ZN7rocprim17ROCPRIM_400000_NS6detail17trampoline_kernelINS0_14default_configENS1_25transform_config_selectorIlLb0EEEZNS1_14transform_implILb0ES3_S5_NS0_18transform_iteratorINS0_17counting_iteratorImlEEZNS1_24adjacent_difference_implIS3_Lb1ELb0EPlSB_N6thrust23THRUST_200600_302600_NS5minusIlEEEE10hipError_tPvRmT2_T3_mT4_P12ihipStream_tbEUlmE_lEESB_NS0_8identityIvEEEESG_SJ_SK_mSL_SN_bEUlT_E_NS1_11comp_targetILNS1_3genE5ELNS1_11target_archE942ELNS1_3gpuE9ELNS1_3repE0EEENS1_30default_config_static_selectorELNS0_4arch9wavefront6targetE0EEEvT1_,comdat
	.protected	_ZN7rocprim17ROCPRIM_400000_NS6detail17trampoline_kernelINS0_14default_configENS1_25transform_config_selectorIlLb0EEEZNS1_14transform_implILb0ES3_S5_NS0_18transform_iteratorINS0_17counting_iteratorImlEEZNS1_24adjacent_difference_implIS3_Lb1ELb0EPlSB_N6thrust23THRUST_200600_302600_NS5minusIlEEEE10hipError_tPvRmT2_T3_mT4_P12ihipStream_tbEUlmE_lEESB_NS0_8identityIvEEEESG_SJ_SK_mSL_SN_bEUlT_E_NS1_11comp_targetILNS1_3genE5ELNS1_11target_archE942ELNS1_3gpuE9ELNS1_3repE0EEENS1_30default_config_static_selectorELNS0_4arch9wavefront6targetE0EEEvT1_ ; -- Begin function _ZN7rocprim17ROCPRIM_400000_NS6detail17trampoline_kernelINS0_14default_configENS1_25transform_config_selectorIlLb0EEEZNS1_14transform_implILb0ES3_S5_NS0_18transform_iteratorINS0_17counting_iteratorImlEEZNS1_24adjacent_difference_implIS3_Lb1ELb0EPlSB_N6thrust23THRUST_200600_302600_NS5minusIlEEEE10hipError_tPvRmT2_T3_mT4_P12ihipStream_tbEUlmE_lEESB_NS0_8identityIvEEEESG_SJ_SK_mSL_SN_bEUlT_E_NS1_11comp_targetILNS1_3genE5ELNS1_11target_archE942ELNS1_3gpuE9ELNS1_3repE0EEENS1_30default_config_static_selectorELNS0_4arch9wavefront6targetE0EEEvT1_
	.globl	_ZN7rocprim17ROCPRIM_400000_NS6detail17trampoline_kernelINS0_14default_configENS1_25transform_config_selectorIlLb0EEEZNS1_14transform_implILb0ES3_S5_NS0_18transform_iteratorINS0_17counting_iteratorImlEEZNS1_24adjacent_difference_implIS3_Lb1ELb0EPlSB_N6thrust23THRUST_200600_302600_NS5minusIlEEEE10hipError_tPvRmT2_T3_mT4_P12ihipStream_tbEUlmE_lEESB_NS0_8identityIvEEEESG_SJ_SK_mSL_SN_bEUlT_E_NS1_11comp_targetILNS1_3genE5ELNS1_11target_archE942ELNS1_3gpuE9ELNS1_3repE0EEENS1_30default_config_static_selectorELNS0_4arch9wavefront6targetE0EEEvT1_
	.p2align	8
	.type	_ZN7rocprim17ROCPRIM_400000_NS6detail17trampoline_kernelINS0_14default_configENS1_25transform_config_selectorIlLb0EEEZNS1_14transform_implILb0ES3_S5_NS0_18transform_iteratorINS0_17counting_iteratorImlEEZNS1_24adjacent_difference_implIS3_Lb1ELb0EPlSB_N6thrust23THRUST_200600_302600_NS5minusIlEEEE10hipError_tPvRmT2_T3_mT4_P12ihipStream_tbEUlmE_lEESB_NS0_8identityIvEEEESG_SJ_SK_mSL_SN_bEUlT_E_NS1_11comp_targetILNS1_3genE5ELNS1_11target_archE942ELNS1_3gpuE9ELNS1_3repE0EEENS1_30default_config_static_selectorELNS0_4arch9wavefront6targetE0EEEvT1_,@function
_ZN7rocprim17ROCPRIM_400000_NS6detail17trampoline_kernelINS0_14default_configENS1_25transform_config_selectorIlLb0EEEZNS1_14transform_implILb0ES3_S5_NS0_18transform_iteratorINS0_17counting_iteratorImlEEZNS1_24adjacent_difference_implIS3_Lb1ELb0EPlSB_N6thrust23THRUST_200600_302600_NS5minusIlEEEE10hipError_tPvRmT2_T3_mT4_P12ihipStream_tbEUlmE_lEESB_NS0_8identityIvEEEESG_SJ_SK_mSL_SN_bEUlT_E_NS1_11comp_targetILNS1_3genE5ELNS1_11target_archE942ELNS1_3gpuE9ELNS1_3repE0EEENS1_30default_config_static_selectorELNS0_4arch9wavefront6targetE0EEEvT1_: ; @_ZN7rocprim17ROCPRIM_400000_NS6detail17trampoline_kernelINS0_14default_configENS1_25transform_config_selectorIlLb0EEEZNS1_14transform_implILb0ES3_S5_NS0_18transform_iteratorINS0_17counting_iteratorImlEEZNS1_24adjacent_difference_implIS3_Lb1ELb0EPlSB_N6thrust23THRUST_200600_302600_NS5minusIlEEEE10hipError_tPvRmT2_T3_mT4_P12ihipStream_tbEUlmE_lEESB_NS0_8identityIvEEEESG_SJ_SK_mSL_SN_bEUlT_E_NS1_11comp_targetILNS1_3genE5ELNS1_11target_archE942ELNS1_3gpuE9ELNS1_3repE0EEENS1_30default_config_static_selectorELNS0_4arch9wavefront6targetE0EEEvT1_
; %bb.0:
	.section	.rodata,"a",@progbits
	.p2align	6, 0x0
	.amdhsa_kernel _ZN7rocprim17ROCPRIM_400000_NS6detail17trampoline_kernelINS0_14default_configENS1_25transform_config_selectorIlLb0EEEZNS1_14transform_implILb0ES3_S5_NS0_18transform_iteratorINS0_17counting_iteratorImlEEZNS1_24adjacent_difference_implIS3_Lb1ELb0EPlSB_N6thrust23THRUST_200600_302600_NS5minusIlEEEE10hipError_tPvRmT2_T3_mT4_P12ihipStream_tbEUlmE_lEESB_NS0_8identityIvEEEESG_SJ_SK_mSL_SN_bEUlT_E_NS1_11comp_targetILNS1_3genE5ELNS1_11target_archE942ELNS1_3gpuE9ELNS1_3repE0EEENS1_30default_config_static_selectorELNS0_4arch9wavefront6targetE0EEEvT1_
		.amdhsa_group_segment_fixed_size 0
		.amdhsa_private_segment_fixed_size 0
		.amdhsa_kernarg_size 56
		.amdhsa_user_sgpr_count 2
		.amdhsa_user_sgpr_dispatch_ptr 0
		.amdhsa_user_sgpr_queue_ptr 0
		.amdhsa_user_sgpr_kernarg_segment_ptr 1
		.amdhsa_user_sgpr_dispatch_id 0
		.amdhsa_user_sgpr_kernarg_preload_length 0
		.amdhsa_user_sgpr_kernarg_preload_offset 0
		.amdhsa_user_sgpr_private_segment_size 0
		.amdhsa_wavefront_size32 1
		.amdhsa_uses_dynamic_stack 0
		.amdhsa_enable_private_segment 0
		.amdhsa_system_sgpr_workgroup_id_x 1
		.amdhsa_system_sgpr_workgroup_id_y 0
		.amdhsa_system_sgpr_workgroup_id_z 0
		.amdhsa_system_sgpr_workgroup_info 0
		.amdhsa_system_vgpr_workitem_id 0
		.amdhsa_next_free_vgpr 1
		.amdhsa_next_free_sgpr 1
		.amdhsa_named_barrier_count 0
		.amdhsa_reserve_vcc 0
		.amdhsa_float_round_mode_32 0
		.amdhsa_float_round_mode_16_64 0
		.amdhsa_float_denorm_mode_32 3
		.amdhsa_float_denorm_mode_16_64 3
		.amdhsa_fp16_overflow 0
		.amdhsa_memory_ordered 1
		.amdhsa_forward_progress 1
		.amdhsa_inst_pref_size 0
		.amdhsa_round_robin_scheduling 0
		.amdhsa_exception_fp_ieee_invalid_op 0
		.amdhsa_exception_fp_denorm_src 0
		.amdhsa_exception_fp_ieee_div_zero 0
		.amdhsa_exception_fp_ieee_overflow 0
		.amdhsa_exception_fp_ieee_underflow 0
		.amdhsa_exception_fp_ieee_inexact 0
		.amdhsa_exception_int_div_zero 0
	.end_amdhsa_kernel
	.section	.text._ZN7rocprim17ROCPRIM_400000_NS6detail17trampoline_kernelINS0_14default_configENS1_25transform_config_selectorIlLb0EEEZNS1_14transform_implILb0ES3_S5_NS0_18transform_iteratorINS0_17counting_iteratorImlEEZNS1_24adjacent_difference_implIS3_Lb1ELb0EPlSB_N6thrust23THRUST_200600_302600_NS5minusIlEEEE10hipError_tPvRmT2_T3_mT4_P12ihipStream_tbEUlmE_lEESB_NS0_8identityIvEEEESG_SJ_SK_mSL_SN_bEUlT_E_NS1_11comp_targetILNS1_3genE5ELNS1_11target_archE942ELNS1_3gpuE9ELNS1_3repE0EEENS1_30default_config_static_selectorELNS0_4arch9wavefront6targetE0EEEvT1_,"axG",@progbits,_ZN7rocprim17ROCPRIM_400000_NS6detail17trampoline_kernelINS0_14default_configENS1_25transform_config_selectorIlLb0EEEZNS1_14transform_implILb0ES3_S5_NS0_18transform_iteratorINS0_17counting_iteratorImlEEZNS1_24adjacent_difference_implIS3_Lb1ELb0EPlSB_N6thrust23THRUST_200600_302600_NS5minusIlEEEE10hipError_tPvRmT2_T3_mT4_P12ihipStream_tbEUlmE_lEESB_NS0_8identityIvEEEESG_SJ_SK_mSL_SN_bEUlT_E_NS1_11comp_targetILNS1_3genE5ELNS1_11target_archE942ELNS1_3gpuE9ELNS1_3repE0EEENS1_30default_config_static_selectorELNS0_4arch9wavefront6targetE0EEEvT1_,comdat
.Lfunc_end245:
	.size	_ZN7rocprim17ROCPRIM_400000_NS6detail17trampoline_kernelINS0_14default_configENS1_25transform_config_selectorIlLb0EEEZNS1_14transform_implILb0ES3_S5_NS0_18transform_iteratorINS0_17counting_iteratorImlEEZNS1_24adjacent_difference_implIS3_Lb1ELb0EPlSB_N6thrust23THRUST_200600_302600_NS5minusIlEEEE10hipError_tPvRmT2_T3_mT4_P12ihipStream_tbEUlmE_lEESB_NS0_8identityIvEEEESG_SJ_SK_mSL_SN_bEUlT_E_NS1_11comp_targetILNS1_3genE5ELNS1_11target_archE942ELNS1_3gpuE9ELNS1_3repE0EEENS1_30default_config_static_selectorELNS0_4arch9wavefront6targetE0EEEvT1_, .Lfunc_end245-_ZN7rocprim17ROCPRIM_400000_NS6detail17trampoline_kernelINS0_14default_configENS1_25transform_config_selectorIlLb0EEEZNS1_14transform_implILb0ES3_S5_NS0_18transform_iteratorINS0_17counting_iteratorImlEEZNS1_24adjacent_difference_implIS3_Lb1ELb0EPlSB_N6thrust23THRUST_200600_302600_NS5minusIlEEEE10hipError_tPvRmT2_T3_mT4_P12ihipStream_tbEUlmE_lEESB_NS0_8identityIvEEEESG_SJ_SK_mSL_SN_bEUlT_E_NS1_11comp_targetILNS1_3genE5ELNS1_11target_archE942ELNS1_3gpuE9ELNS1_3repE0EEENS1_30default_config_static_selectorELNS0_4arch9wavefront6targetE0EEEvT1_
                                        ; -- End function
	.set _ZN7rocprim17ROCPRIM_400000_NS6detail17trampoline_kernelINS0_14default_configENS1_25transform_config_selectorIlLb0EEEZNS1_14transform_implILb0ES3_S5_NS0_18transform_iteratorINS0_17counting_iteratorImlEEZNS1_24adjacent_difference_implIS3_Lb1ELb0EPlSB_N6thrust23THRUST_200600_302600_NS5minusIlEEEE10hipError_tPvRmT2_T3_mT4_P12ihipStream_tbEUlmE_lEESB_NS0_8identityIvEEEESG_SJ_SK_mSL_SN_bEUlT_E_NS1_11comp_targetILNS1_3genE5ELNS1_11target_archE942ELNS1_3gpuE9ELNS1_3repE0EEENS1_30default_config_static_selectorELNS0_4arch9wavefront6targetE0EEEvT1_.num_vgpr, 0
	.set _ZN7rocprim17ROCPRIM_400000_NS6detail17trampoline_kernelINS0_14default_configENS1_25transform_config_selectorIlLb0EEEZNS1_14transform_implILb0ES3_S5_NS0_18transform_iteratorINS0_17counting_iteratorImlEEZNS1_24adjacent_difference_implIS3_Lb1ELb0EPlSB_N6thrust23THRUST_200600_302600_NS5minusIlEEEE10hipError_tPvRmT2_T3_mT4_P12ihipStream_tbEUlmE_lEESB_NS0_8identityIvEEEESG_SJ_SK_mSL_SN_bEUlT_E_NS1_11comp_targetILNS1_3genE5ELNS1_11target_archE942ELNS1_3gpuE9ELNS1_3repE0EEENS1_30default_config_static_selectorELNS0_4arch9wavefront6targetE0EEEvT1_.num_agpr, 0
	.set _ZN7rocprim17ROCPRIM_400000_NS6detail17trampoline_kernelINS0_14default_configENS1_25transform_config_selectorIlLb0EEEZNS1_14transform_implILb0ES3_S5_NS0_18transform_iteratorINS0_17counting_iteratorImlEEZNS1_24adjacent_difference_implIS3_Lb1ELb0EPlSB_N6thrust23THRUST_200600_302600_NS5minusIlEEEE10hipError_tPvRmT2_T3_mT4_P12ihipStream_tbEUlmE_lEESB_NS0_8identityIvEEEESG_SJ_SK_mSL_SN_bEUlT_E_NS1_11comp_targetILNS1_3genE5ELNS1_11target_archE942ELNS1_3gpuE9ELNS1_3repE0EEENS1_30default_config_static_selectorELNS0_4arch9wavefront6targetE0EEEvT1_.numbered_sgpr, 0
	.set _ZN7rocprim17ROCPRIM_400000_NS6detail17trampoline_kernelINS0_14default_configENS1_25transform_config_selectorIlLb0EEEZNS1_14transform_implILb0ES3_S5_NS0_18transform_iteratorINS0_17counting_iteratorImlEEZNS1_24adjacent_difference_implIS3_Lb1ELb0EPlSB_N6thrust23THRUST_200600_302600_NS5minusIlEEEE10hipError_tPvRmT2_T3_mT4_P12ihipStream_tbEUlmE_lEESB_NS0_8identityIvEEEESG_SJ_SK_mSL_SN_bEUlT_E_NS1_11comp_targetILNS1_3genE5ELNS1_11target_archE942ELNS1_3gpuE9ELNS1_3repE0EEENS1_30default_config_static_selectorELNS0_4arch9wavefront6targetE0EEEvT1_.num_named_barrier, 0
	.set _ZN7rocprim17ROCPRIM_400000_NS6detail17trampoline_kernelINS0_14default_configENS1_25transform_config_selectorIlLb0EEEZNS1_14transform_implILb0ES3_S5_NS0_18transform_iteratorINS0_17counting_iteratorImlEEZNS1_24adjacent_difference_implIS3_Lb1ELb0EPlSB_N6thrust23THRUST_200600_302600_NS5minusIlEEEE10hipError_tPvRmT2_T3_mT4_P12ihipStream_tbEUlmE_lEESB_NS0_8identityIvEEEESG_SJ_SK_mSL_SN_bEUlT_E_NS1_11comp_targetILNS1_3genE5ELNS1_11target_archE942ELNS1_3gpuE9ELNS1_3repE0EEENS1_30default_config_static_selectorELNS0_4arch9wavefront6targetE0EEEvT1_.private_seg_size, 0
	.set _ZN7rocprim17ROCPRIM_400000_NS6detail17trampoline_kernelINS0_14default_configENS1_25transform_config_selectorIlLb0EEEZNS1_14transform_implILb0ES3_S5_NS0_18transform_iteratorINS0_17counting_iteratorImlEEZNS1_24adjacent_difference_implIS3_Lb1ELb0EPlSB_N6thrust23THRUST_200600_302600_NS5minusIlEEEE10hipError_tPvRmT2_T3_mT4_P12ihipStream_tbEUlmE_lEESB_NS0_8identityIvEEEESG_SJ_SK_mSL_SN_bEUlT_E_NS1_11comp_targetILNS1_3genE5ELNS1_11target_archE942ELNS1_3gpuE9ELNS1_3repE0EEENS1_30default_config_static_selectorELNS0_4arch9wavefront6targetE0EEEvT1_.uses_vcc, 0
	.set _ZN7rocprim17ROCPRIM_400000_NS6detail17trampoline_kernelINS0_14default_configENS1_25transform_config_selectorIlLb0EEEZNS1_14transform_implILb0ES3_S5_NS0_18transform_iteratorINS0_17counting_iteratorImlEEZNS1_24adjacent_difference_implIS3_Lb1ELb0EPlSB_N6thrust23THRUST_200600_302600_NS5minusIlEEEE10hipError_tPvRmT2_T3_mT4_P12ihipStream_tbEUlmE_lEESB_NS0_8identityIvEEEESG_SJ_SK_mSL_SN_bEUlT_E_NS1_11comp_targetILNS1_3genE5ELNS1_11target_archE942ELNS1_3gpuE9ELNS1_3repE0EEENS1_30default_config_static_selectorELNS0_4arch9wavefront6targetE0EEEvT1_.uses_flat_scratch, 0
	.set _ZN7rocprim17ROCPRIM_400000_NS6detail17trampoline_kernelINS0_14default_configENS1_25transform_config_selectorIlLb0EEEZNS1_14transform_implILb0ES3_S5_NS0_18transform_iteratorINS0_17counting_iteratorImlEEZNS1_24adjacent_difference_implIS3_Lb1ELb0EPlSB_N6thrust23THRUST_200600_302600_NS5minusIlEEEE10hipError_tPvRmT2_T3_mT4_P12ihipStream_tbEUlmE_lEESB_NS0_8identityIvEEEESG_SJ_SK_mSL_SN_bEUlT_E_NS1_11comp_targetILNS1_3genE5ELNS1_11target_archE942ELNS1_3gpuE9ELNS1_3repE0EEENS1_30default_config_static_selectorELNS0_4arch9wavefront6targetE0EEEvT1_.has_dyn_sized_stack, 0
	.set _ZN7rocprim17ROCPRIM_400000_NS6detail17trampoline_kernelINS0_14default_configENS1_25transform_config_selectorIlLb0EEEZNS1_14transform_implILb0ES3_S5_NS0_18transform_iteratorINS0_17counting_iteratorImlEEZNS1_24adjacent_difference_implIS3_Lb1ELb0EPlSB_N6thrust23THRUST_200600_302600_NS5minusIlEEEE10hipError_tPvRmT2_T3_mT4_P12ihipStream_tbEUlmE_lEESB_NS0_8identityIvEEEESG_SJ_SK_mSL_SN_bEUlT_E_NS1_11comp_targetILNS1_3genE5ELNS1_11target_archE942ELNS1_3gpuE9ELNS1_3repE0EEENS1_30default_config_static_selectorELNS0_4arch9wavefront6targetE0EEEvT1_.has_recursion, 0
	.set _ZN7rocprim17ROCPRIM_400000_NS6detail17trampoline_kernelINS0_14default_configENS1_25transform_config_selectorIlLb0EEEZNS1_14transform_implILb0ES3_S5_NS0_18transform_iteratorINS0_17counting_iteratorImlEEZNS1_24adjacent_difference_implIS3_Lb1ELb0EPlSB_N6thrust23THRUST_200600_302600_NS5minusIlEEEE10hipError_tPvRmT2_T3_mT4_P12ihipStream_tbEUlmE_lEESB_NS0_8identityIvEEEESG_SJ_SK_mSL_SN_bEUlT_E_NS1_11comp_targetILNS1_3genE5ELNS1_11target_archE942ELNS1_3gpuE9ELNS1_3repE0EEENS1_30default_config_static_selectorELNS0_4arch9wavefront6targetE0EEEvT1_.has_indirect_call, 0
	.section	.AMDGPU.csdata,"",@progbits
; Kernel info:
; codeLenInByte = 0
; TotalNumSgprs: 0
; NumVgprs: 0
; ScratchSize: 0
; MemoryBound: 0
; FloatMode: 240
; IeeeMode: 1
; LDSByteSize: 0 bytes/workgroup (compile time only)
; SGPRBlocks: 0
; VGPRBlocks: 0
; NumSGPRsForWavesPerEU: 1
; NumVGPRsForWavesPerEU: 1
; NamedBarCnt: 0
; Occupancy: 16
; WaveLimiterHint : 0
; COMPUTE_PGM_RSRC2:SCRATCH_EN: 0
; COMPUTE_PGM_RSRC2:USER_SGPR: 2
; COMPUTE_PGM_RSRC2:TRAP_HANDLER: 0
; COMPUTE_PGM_RSRC2:TGID_X_EN: 1
; COMPUTE_PGM_RSRC2:TGID_Y_EN: 0
; COMPUTE_PGM_RSRC2:TGID_Z_EN: 0
; COMPUTE_PGM_RSRC2:TIDIG_COMP_CNT: 0
	.section	.text._ZN7rocprim17ROCPRIM_400000_NS6detail17trampoline_kernelINS0_14default_configENS1_25transform_config_selectorIlLb0EEEZNS1_14transform_implILb0ES3_S5_NS0_18transform_iteratorINS0_17counting_iteratorImlEEZNS1_24adjacent_difference_implIS3_Lb1ELb0EPlSB_N6thrust23THRUST_200600_302600_NS5minusIlEEEE10hipError_tPvRmT2_T3_mT4_P12ihipStream_tbEUlmE_lEESB_NS0_8identityIvEEEESG_SJ_SK_mSL_SN_bEUlT_E_NS1_11comp_targetILNS1_3genE4ELNS1_11target_archE910ELNS1_3gpuE8ELNS1_3repE0EEENS1_30default_config_static_selectorELNS0_4arch9wavefront6targetE0EEEvT1_,"axG",@progbits,_ZN7rocprim17ROCPRIM_400000_NS6detail17trampoline_kernelINS0_14default_configENS1_25transform_config_selectorIlLb0EEEZNS1_14transform_implILb0ES3_S5_NS0_18transform_iteratorINS0_17counting_iteratorImlEEZNS1_24adjacent_difference_implIS3_Lb1ELb0EPlSB_N6thrust23THRUST_200600_302600_NS5minusIlEEEE10hipError_tPvRmT2_T3_mT4_P12ihipStream_tbEUlmE_lEESB_NS0_8identityIvEEEESG_SJ_SK_mSL_SN_bEUlT_E_NS1_11comp_targetILNS1_3genE4ELNS1_11target_archE910ELNS1_3gpuE8ELNS1_3repE0EEENS1_30default_config_static_selectorELNS0_4arch9wavefront6targetE0EEEvT1_,comdat
	.protected	_ZN7rocprim17ROCPRIM_400000_NS6detail17trampoline_kernelINS0_14default_configENS1_25transform_config_selectorIlLb0EEEZNS1_14transform_implILb0ES3_S5_NS0_18transform_iteratorINS0_17counting_iteratorImlEEZNS1_24adjacent_difference_implIS3_Lb1ELb0EPlSB_N6thrust23THRUST_200600_302600_NS5minusIlEEEE10hipError_tPvRmT2_T3_mT4_P12ihipStream_tbEUlmE_lEESB_NS0_8identityIvEEEESG_SJ_SK_mSL_SN_bEUlT_E_NS1_11comp_targetILNS1_3genE4ELNS1_11target_archE910ELNS1_3gpuE8ELNS1_3repE0EEENS1_30default_config_static_selectorELNS0_4arch9wavefront6targetE0EEEvT1_ ; -- Begin function _ZN7rocprim17ROCPRIM_400000_NS6detail17trampoline_kernelINS0_14default_configENS1_25transform_config_selectorIlLb0EEEZNS1_14transform_implILb0ES3_S5_NS0_18transform_iteratorINS0_17counting_iteratorImlEEZNS1_24adjacent_difference_implIS3_Lb1ELb0EPlSB_N6thrust23THRUST_200600_302600_NS5minusIlEEEE10hipError_tPvRmT2_T3_mT4_P12ihipStream_tbEUlmE_lEESB_NS0_8identityIvEEEESG_SJ_SK_mSL_SN_bEUlT_E_NS1_11comp_targetILNS1_3genE4ELNS1_11target_archE910ELNS1_3gpuE8ELNS1_3repE0EEENS1_30default_config_static_selectorELNS0_4arch9wavefront6targetE0EEEvT1_
	.globl	_ZN7rocprim17ROCPRIM_400000_NS6detail17trampoline_kernelINS0_14default_configENS1_25transform_config_selectorIlLb0EEEZNS1_14transform_implILb0ES3_S5_NS0_18transform_iteratorINS0_17counting_iteratorImlEEZNS1_24adjacent_difference_implIS3_Lb1ELb0EPlSB_N6thrust23THRUST_200600_302600_NS5minusIlEEEE10hipError_tPvRmT2_T3_mT4_P12ihipStream_tbEUlmE_lEESB_NS0_8identityIvEEEESG_SJ_SK_mSL_SN_bEUlT_E_NS1_11comp_targetILNS1_3genE4ELNS1_11target_archE910ELNS1_3gpuE8ELNS1_3repE0EEENS1_30default_config_static_selectorELNS0_4arch9wavefront6targetE0EEEvT1_
	.p2align	8
	.type	_ZN7rocprim17ROCPRIM_400000_NS6detail17trampoline_kernelINS0_14default_configENS1_25transform_config_selectorIlLb0EEEZNS1_14transform_implILb0ES3_S5_NS0_18transform_iteratorINS0_17counting_iteratorImlEEZNS1_24adjacent_difference_implIS3_Lb1ELb0EPlSB_N6thrust23THRUST_200600_302600_NS5minusIlEEEE10hipError_tPvRmT2_T3_mT4_P12ihipStream_tbEUlmE_lEESB_NS0_8identityIvEEEESG_SJ_SK_mSL_SN_bEUlT_E_NS1_11comp_targetILNS1_3genE4ELNS1_11target_archE910ELNS1_3gpuE8ELNS1_3repE0EEENS1_30default_config_static_selectorELNS0_4arch9wavefront6targetE0EEEvT1_,@function
_ZN7rocprim17ROCPRIM_400000_NS6detail17trampoline_kernelINS0_14default_configENS1_25transform_config_selectorIlLb0EEEZNS1_14transform_implILb0ES3_S5_NS0_18transform_iteratorINS0_17counting_iteratorImlEEZNS1_24adjacent_difference_implIS3_Lb1ELb0EPlSB_N6thrust23THRUST_200600_302600_NS5minusIlEEEE10hipError_tPvRmT2_T3_mT4_P12ihipStream_tbEUlmE_lEESB_NS0_8identityIvEEEESG_SJ_SK_mSL_SN_bEUlT_E_NS1_11comp_targetILNS1_3genE4ELNS1_11target_archE910ELNS1_3gpuE8ELNS1_3repE0EEENS1_30default_config_static_selectorELNS0_4arch9wavefront6targetE0EEEvT1_: ; @_ZN7rocprim17ROCPRIM_400000_NS6detail17trampoline_kernelINS0_14default_configENS1_25transform_config_selectorIlLb0EEEZNS1_14transform_implILb0ES3_S5_NS0_18transform_iteratorINS0_17counting_iteratorImlEEZNS1_24adjacent_difference_implIS3_Lb1ELb0EPlSB_N6thrust23THRUST_200600_302600_NS5minusIlEEEE10hipError_tPvRmT2_T3_mT4_P12ihipStream_tbEUlmE_lEESB_NS0_8identityIvEEEESG_SJ_SK_mSL_SN_bEUlT_E_NS1_11comp_targetILNS1_3genE4ELNS1_11target_archE910ELNS1_3gpuE8ELNS1_3repE0EEENS1_30default_config_static_selectorELNS0_4arch9wavefront6targetE0EEEvT1_
; %bb.0:
	.section	.rodata,"a",@progbits
	.p2align	6, 0x0
	.amdhsa_kernel _ZN7rocprim17ROCPRIM_400000_NS6detail17trampoline_kernelINS0_14default_configENS1_25transform_config_selectorIlLb0EEEZNS1_14transform_implILb0ES3_S5_NS0_18transform_iteratorINS0_17counting_iteratorImlEEZNS1_24adjacent_difference_implIS3_Lb1ELb0EPlSB_N6thrust23THRUST_200600_302600_NS5minusIlEEEE10hipError_tPvRmT2_T3_mT4_P12ihipStream_tbEUlmE_lEESB_NS0_8identityIvEEEESG_SJ_SK_mSL_SN_bEUlT_E_NS1_11comp_targetILNS1_3genE4ELNS1_11target_archE910ELNS1_3gpuE8ELNS1_3repE0EEENS1_30default_config_static_selectorELNS0_4arch9wavefront6targetE0EEEvT1_
		.amdhsa_group_segment_fixed_size 0
		.amdhsa_private_segment_fixed_size 0
		.amdhsa_kernarg_size 56
		.amdhsa_user_sgpr_count 2
		.amdhsa_user_sgpr_dispatch_ptr 0
		.amdhsa_user_sgpr_queue_ptr 0
		.amdhsa_user_sgpr_kernarg_segment_ptr 1
		.amdhsa_user_sgpr_dispatch_id 0
		.amdhsa_user_sgpr_kernarg_preload_length 0
		.amdhsa_user_sgpr_kernarg_preload_offset 0
		.amdhsa_user_sgpr_private_segment_size 0
		.amdhsa_wavefront_size32 1
		.amdhsa_uses_dynamic_stack 0
		.amdhsa_enable_private_segment 0
		.amdhsa_system_sgpr_workgroup_id_x 1
		.amdhsa_system_sgpr_workgroup_id_y 0
		.amdhsa_system_sgpr_workgroup_id_z 0
		.amdhsa_system_sgpr_workgroup_info 0
		.amdhsa_system_vgpr_workitem_id 0
		.amdhsa_next_free_vgpr 1
		.amdhsa_next_free_sgpr 1
		.amdhsa_named_barrier_count 0
		.amdhsa_reserve_vcc 0
		.amdhsa_float_round_mode_32 0
		.amdhsa_float_round_mode_16_64 0
		.amdhsa_float_denorm_mode_32 3
		.amdhsa_float_denorm_mode_16_64 3
		.amdhsa_fp16_overflow 0
		.amdhsa_memory_ordered 1
		.amdhsa_forward_progress 1
		.amdhsa_inst_pref_size 0
		.amdhsa_round_robin_scheduling 0
		.amdhsa_exception_fp_ieee_invalid_op 0
		.amdhsa_exception_fp_denorm_src 0
		.amdhsa_exception_fp_ieee_div_zero 0
		.amdhsa_exception_fp_ieee_overflow 0
		.amdhsa_exception_fp_ieee_underflow 0
		.amdhsa_exception_fp_ieee_inexact 0
		.amdhsa_exception_int_div_zero 0
	.end_amdhsa_kernel
	.section	.text._ZN7rocprim17ROCPRIM_400000_NS6detail17trampoline_kernelINS0_14default_configENS1_25transform_config_selectorIlLb0EEEZNS1_14transform_implILb0ES3_S5_NS0_18transform_iteratorINS0_17counting_iteratorImlEEZNS1_24adjacent_difference_implIS3_Lb1ELb0EPlSB_N6thrust23THRUST_200600_302600_NS5minusIlEEEE10hipError_tPvRmT2_T3_mT4_P12ihipStream_tbEUlmE_lEESB_NS0_8identityIvEEEESG_SJ_SK_mSL_SN_bEUlT_E_NS1_11comp_targetILNS1_3genE4ELNS1_11target_archE910ELNS1_3gpuE8ELNS1_3repE0EEENS1_30default_config_static_selectorELNS0_4arch9wavefront6targetE0EEEvT1_,"axG",@progbits,_ZN7rocprim17ROCPRIM_400000_NS6detail17trampoline_kernelINS0_14default_configENS1_25transform_config_selectorIlLb0EEEZNS1_14transform_implILb0ES3_S5_NS0_18transform_iteratorINS0_17counting_iteratorImlEEZNS1_24adjacent_difference_implIS3_Lb1ELb0EPlSB_N6thrust23THRUST_200600_302600_NS5minusIlEEEE10hipError_tPvRmT2_T3_mT4_P12ihipStream_tbEUlmE_lEESB_NS0_8identityIvEEEESG_SJ_SK_mSL_SN_bEUlT_E_NS1_11comp_targetILNS1_3genE4ELNS1_11target_archE910ELNS1_3gpuE8ELNS1_3repE0EEENS1_30default_config_static_selectorELNS0_4arch9wavefront6targetE0EEEvT1_,comdat
.Lfunc_end246:
	.size	_ZN7rocprim17ROCPRIM_400000_NS6detail17trampoline_kernelINS0_14default_configENS1_25transform_config_selectorIlLb0EEEZNS1_14transform_implILb0ES3_S5_NS0_18transform_iteratorINS0_17counting_iteratorImlEEZNS1_24adjacent_difference_implIS3_Lb1ELb0EPlSB_N6thrust23THRUST_200600_302600_NS5minusIlEEEE10hipError_tPvRmT2_T3_mT4_P12ihipStream_tbEUlmE_lEESB_NS0_8identityIvEEEESG_SJ_SK_mSL_SN_bEUlT_E_NS1_11comp_targetILNS1_3genE4ELNS1_11target_archE910ELNS1_3gpuE8ELNS1_3repE0EEENS1_30default_config_static_selectorELNS0_4arch9wavefront6targetE0EEEvT1_, .Lfunc_end246-_ZN7rocprim17ROCPRIM_400000_NS6detail17trampoline_kernelINS0_14default_configENS1_25transform_config_selectorIlLb0EEEZNS1_14transform_implILb0ES3_S5_NS0_18transform_iteratorINS0_17counting_iteratorImlEEZNS1_24adjacent_difference_implIS3_Lb1ELb0EPlSB_N6thrust23THRUST_200600_302600_NS5minusIlEEEE10hipError_tPvRmT2_T3_mT4_P12ihipStream_tbEUlmE_lEESB_NS0_8identityIvEEEESG_SJ_SK_mSL_SN_bEUlT_E_NS1_11comp_targetILNS1_3genE4ELNS1_11target_archE910ELNS1_3gpuE8ELNS1_3repE0EEENS1_30default_config_static_selectorELNS0_4arch9wavefront6targetE0EEEvT1_
                                        ; -- End function
	.set _ZN7rocprim17ROCPRIM_400000_NS6detail17trampoline_kernelINS0_14default_configENS1_25transform_config_selectorIlLb0EEEZNS1_14transform_implILb0ES3_S5_NS0_18transform_iteratorINS0_17counting_iteratorImlEEZNS1_24adjacent_difference_implIS3_Lb1ELb0EPlSB_N6thrust23THRUST_200600_302600_NS5minusIlEEEE10hipError_tPvRmT2_T3_mT4_P12ihipStream_tbEUlmE_lEESB_NS0_8identityIvEEEESG_SJ_SK_mSL_SN_bEUlT_E_NS1_11comp_targetILNS1_3genE4ELNS1_11target_archE910ELNS1_3gpuE8ELNS1_3repE0EEENS1_30default_config_static_selectorELNS0_4arch9wavefront6targetE0EEEvT1_.num_vgpr, 0
	.set _ZN7rocprim17ROCPRIM_400000_NS6detail17trampoline_kernelINS0_14default_configENS1_25transform_config_selectorIlLb0EEEZNS1_14transform_implILb0ES3_S5_NS0_18transform_iteratorINS0_17counting_iteratorImlEEZNS1_24adjacent_difference_implIS3_Lb1ELb0EPlSB_N6thrust23THRUST_200600_302600_NS5minusIlEEEE10hipError_tPvRmT2_T3_mT4_P12ihipStream_tbEUlmE_lEESB_NS0_8identityIvEEEESG_SJ_SK_mSL_SN_bEUlT_E_NS1_11comp_targetILNS1_3genE4ELNS1_11target_archE910ELNS1_3gpuE8ELNS1_3repE0EEENS1_30default_config_static_selectorELNS0_4arch9wavefront6targetE0EEEvT1_.num_agpr, 0
	.set _ZN7rocprim17ROCPRIM_400000_NS6detail17trampoline_kernelINS0_14default_configENS1_25transform_config_selectorIlLb0EEEZNS1_14transform_implILb0ES3_S5_NS0_18transform_iteratorINS0_17counting_iteratorImlEEZNS1_24adjacent_difference_implIS3_Lb1ELb0EPlSB_N6thrust23THRUST_200600_302600_NS5minusIlEEEE10hipError_tPvRmT2_T3_mT4_P12ihipStream_tbEUlmE_lEESB_NS0_8identityIvEEEESG_SJ_SK_mSL_SN_bEUlT_E_NS1_11comp_targetILNS1_3genE4ELNS1_11target_archE910ELNS1_3gpuE8ELNS1_3repE0EEENS1_30default_config_static_selectorELNS0_4arch9wavefront6targetE0EEEvT1_.numbered_sgpr, 0
	.set _ZN7rocprim17ROCPRIM_400000_NS6detail17trampoline_kernelINS0_14default_configENS1_25transform_config_selectorIlLb0EEEZNS1_14transform_implILb0ES3_S5_NS0_18transform_iteratorINS0_17counting_iteratorImlEEZNS1_24adjacent_difference_implIS3_Lb1ELb0EPlSB_N6thrust23THRUST_200600_302600_NS5minusIlEEEE10hipError_tPvRmT2_T3_mT4_P12ihipStream_tbEUlmE_lEESB_NS0_8identityIvEEEESG_SJ_SK_mSL_SN_bEUlT_E_NS1_11comp_targetILNS1_3genE4ELNS1_11target_archE910ELNS1_3gpuE8ELNS1_3repE0EEENS1_30default_config_static_selectorELNS0_4arch9wavefront6targetE0EEEvT1_.num_named_barrier, 0
	.set _ZN7rocprim17ROCPRIM_400000_NS6detail17trampoline_kernelINS0_14default_configENS1_25transform_config_selectorIlLb0EEEZNS1_14transform_implILb0ES3_S5_NS0_18transform_iteratorINS0_17counting_iteratorImlEEZNS1_24adjacent_difference_implIS3_Lb1ELb0EPlSB_N6thrust23THRUST_200600_302600_NS5minusIlEEEE10hipError_tPvRmT2_T3_mT4_P12ihipStream_tbEUlmE_lEESB_NS0_8identityIvEEEESG_SJ_SK_mSL_SN_bEUlT_E_NS1_11comp_targetILNS1_3genE4ELNS1_11target_archE910ELNS1_3gpuE8ELNS1_3repE0EEENS1_30default_config_static_selectorELNS0_4arch9wavefront6targetE0EEEvT1_.private_seg_size, 0
	.set _ZN7rocprim17ROCPRIM_400000_NS6detail17trampoline_kernelINS0_14default_configENS1_25transform_config_selectorIlLb0EEEZNS1_14transform_implILb0ES3_S5_NS0_18transform_iteratorINS0_17counting_iteratorImlEEZNS1_24adjacent_difference_implIS3_Lb1ELb0EPlSB_N6thrust23THRUST_200600_302600_NS5minusIlEEEE10hipError_tPvRmT2_T3_mT4_P12ihipStream_tbEUlmE_lEESB_NS0_8identityIvEEEESG_SJ_SK_mSL_SN_bEUlT_E_NS1_11comp_targetILNS1_3genE4ELNS1_11target_archE910ELNS1_3gpuE8ELNS1_3repE0EEENS1_30default_config_static_selectorELNS0_4arch9wavefront6targetE0EEEvT1_.uses_vcc, 0
	.set _ZN7rocprim17ROCPRIM_400000_NS6detail17trampoline_kernelINS0_14default_configENS1_25transform_config_selectorIlLb0EEEZNS1_14transform_implILb0ES3_S5_NS0_18transform_iteratorINS0_17counting_iteratorImlEEZNS1_24adjacent_difference_implIS3_Lb1ELb0EPlSB_N6thrust23THRUST_200600_302600_NS5minusIlEEEE10hipError_tPvRmT2_T3_mT4_P12ihipStream_tbEUlmE_lEESB_NS0_8identityIvEEEESG_SJ_SK_mSL_SN_bEUlT_E_NS1_11comp_targetILNS1_3genE4ELNS1_11target_archE910ELNS1_3gpuE8ELNS1_3repE0EEENS1_30default_config_static_selectorELNS0_4arch9wavefront6targetE0EEEvT1_.uses_flat_scratch, 0
	.set _ZN7rocprim17ROCPRIM_400000_NS6detail17trampoline_kernelINS0_14default_configENS1_25transform_config_selectorIlLb0EEEZNS1_14transform_implILb0ES3_S5_NS0_18transform_iteratorINS0_17counting_iteratorImlEEZNS1_24adjacent_difference_implIS3_Lb1ELb0EPlSB_N6thrust23THRUST_200600_302600_NS5minusIlEEEE10hipError_tPvRmT2_T3_mT4_P12ihipStream_tbEUlmE_lEESB_NS0_8identityIvEEEESG_SJ_SK_mSL_SN_bEUlT_E_NS1_11comp_targetILNS1_3genE4ELNS1_11target_archE910ELNS1_3gpuE8ELNS1_3repE0EEENS1_30default_config_static_selectorELNS0_4arch9wavefront6targetE0EEEvT1_.has_dyn_sized_stack, 0
	.set _ZN7rocprim17ROCPRIM_400000_NS6detail17trampoline_kernelINS0_14default_configENS1_25transform_config_selectorIlLb0EEEZNS1_14transform_implILb0ES3_S5_NS0_18transform_iteratorINS0_17counting_iteratorImlEEZNS1_24adjacent_difference_implIS3_Lb1ELb0EPlSB_N6thrust23THRUST_200600_302600_NS5minusIlEEEE10hipError_tPvRmT2_T3_mT4_P12ihipStream_tbEUlmE_lEESB_NS0_8identityIvEEEESG_SJ_SK_mSL_SN_bEUlT_E_NS1_11comp_targetILNS1_3genE4ELNS1_11target_archE910ELNS1_3gpuE8ELNS1_3repE0EEENS1_30default_config_static_selectorELNS0_4arch9wavefront6targetE0EEEvT1_.has_recursion, 0
	.set _ZN7rocprim17ROCPRIM_400000_NS6detail17trampoline_kernelINS0_14default_configENS1_25transform_config_selectorIlLb0EEEZNS1_14transform_implILb0ES3_S5_NS0_18transform_iteratorINS0_17counting_iteratorImlEEZNS1_24adjacent_difference_implIS3_Lb1ELb0EPlSB_N6thrust23THRUST_200600_302600_NS5minusIlEEEE10hipError_tPvRmT2_T3_mT4_P12ihipStream_tbEUlmE_lEESB_NS0_8identityIvEEEESG_SJ_SK_mSL_SN_bEUlT_E_NS1_11comp_targetILNS1_3genE4ELNS1_11target_archE910ELNS1_3gpuE8ELNS1_3repE0EEENS1_30default_config_static_selectorELNS0_4arch9wavefront6targetE0EEEvT1_.has_indirect_call, 0
	.section	.AMDGPU.csdata,"",@progbits
; Kernel info:
; codeLenInByte = 0
; TotalNumSgprs: 0
; NumVgprs: 0
; ScratchSize: 0
; MemoryBound: 0
; FloatMode: 240
; IeeeMode: 1
; LDSByteSize: 0 bytes/workgroup (compile time only)
; SGPRBlocks: 0
; VGPRBlocks: 0
; NumSGPRsForWavesPerEU: 1
; NumVGPRsForWavesPerEU: 1
; NamedBarCnt: 0
; Occupancy: 16
; WaveLimiterHint : 0
; COMPUTE_PGM_RSRC2:SCRATCH_EN: 0
; COMPUTE_PGM_RSRC2:USER_SGPR: 2
; COMPUTE_PGM_RSRC2:TRAP_HANDLER: 0
; COMPUTE_PGM_RSRC2:TGID_X_EN: 1
; COMPUTE_PGM_RSRC2:TGID_Y_EN: 0
; COMPUTE_PGM_RSRC2:TGID_Z_EN: 0
; COMPUTE_PGM_RSRC2:TIDIG_COMP_CNT: 0
	.section	.text._ZN7rocprim17ROCPRIM_400000_NS6detail17trampoline_kernelINS0_14default_configENS1_25transform_config_selectorIlLb0EEEZNS1_14transform_implILb0ES3_S5_NS0_18transform_iteratorINS0_17counting_iteratorImlEEZNS1_24adjacent_difference_implIS3_Lb1ELb0EPlSB_N6thrust23THRUST_200600_302600_NS5minusIlEEEE10hipError_tPvRmT2_T3_mT4_P12ihipStream_tbEUlmE_lEESB_NS0_8identityIvEEEESG_SJ_SK_mSL_SN_bEUlT_E_NS1_11comp_targetILNS1_3genE3ELNS1_11target_archE908ELNS1_3gpuE7ELNS1_3repE0EEENS1_30default_config_static_selectorELNS0_4arch9wavefront6targetE0EEEvT1_,"axG",@progbits,_ZN7rocprim17ROCPRIM_400000_NS6detail17trampoline_kernelINS0_14default_configENS1_25transform_config_selectorIlLb0EEEZNS1_14transform_implILb0ES3_S5_NS0_18transform_iteratorINS0_17counting_iteratorImlEEZNS1_24adjacent_difference_implIS3_Lb1ELb0EPlSB_N6thrust23THRUST_200600_302600_NS5minusIlEEEE10hipError_tPvRmT2_T3_mT4_P12ihipStream_tbEUlmE_lEESB_NS0_8identityIvEEEESG_SJ_SK_mSL_SN_bEUlT_E_NS1_11comp_targetILNS1_3genE3ELNS1_11target_archE908ELNS1_3gpuE7ELNS1_3repE0EEENS1_30default_config_static_selectorELNS0_4arch9wavefront6targetE0EEEvT1_,comdat
	.protected	_ZN7rocprim17ROCPRIM_400000_NS6detail17trampoline_kernelINS0_14default_configENS1_25transform_config_selectorIlLb0EEEZNS1_14transform_implILb0ES3_S5_NS0_18transform_iteratorINS0_17counting_iteratorImlEEZNS1_24adjacent_difference_implIS3_Lb1ELb0EPlSB_N6thrust23THRUST_200600_302600_NS5minusIlEEEE10hipError_tPvRmT2_T3_mT4_P12ihipStream_tbEUlmE_lEESB_NS0_8identityIvEEEESG_SJ_SK_mSL_SN_bEUlT_E_NS1_11comp_targetILNS1_3genE3ELNS1_11target_archE908ELNS1_3gpuE7ELNS1_3repE0EEENS1_30default_config_static_selectorELNS0_4arch9wavefront6targetE0EEEvT1_ ; -- Begin function _ZN7rocprim17ROCPRIM_400000_NS6detail17trampoline_kernelINS0_14default_configENS1_25transform_config_selectorIlLb0EEEZNS1_14transform_implILb0ES3_S5_NS0_18transform_iteratorINS0_17counting_iteratorImlEEZNS1_24adjacent_difference_implIS3_Lb1ELb0EPlSB_N6thrust23THRUST_200600_302600_NS5minusIlEEEE10hipError_tPvRmT2_T3_mT4_P12ihipStream_tbEUlmE_lEESB_NS0_8identityIvEEEESG_SJ_SK_mSL_SN_bEUlT_E_NS1_11comp_targetILNS1_3genE3ELNS1_11target_archE908ELNS1_3gpuE7ELNS1_3repE0EEENS1_30default_config_static_selectorELNS0_4arch9wavefront6targetE0EEEvT1_
	.globl	_ZN7rocprim17ROCPRIM_400000_NS6detail17trampoline_kernelINS0_14default_configENS1_25transform_config_selectorIlLb0EEEZNS1_14transform_implILb0ES3_S5_NS0_18transform_iteratorINS0_17counting_iteratorImlEEZNS1_24adjacent_difference_implIS3_Lb1ELb0EPlSB_N6thrust23THRUST_200600_302600_NS5minusIlEEEE10hipError_tPvRmT2_T3_mT4_P12ihipStream_tbEUlmE_lEESB_NS0_8identityIvEEEESG_SJ_SK_mSL_SN_bEUlT_E_NS1_11comp_targetILNS1_3genE3ELNS1_11target_archE908ELNS1_3gpuE7ELNS1_3repE0EEENS1_30default_config_static_selectorELNS0_4arch9wavefront6targetE0EEEvT1_
	.p2align	8
	.type	_ZN7rocprim17ROCPRIM_400000_NS6detail17trampoline_kernelINS0_14default_configENS1_25transform_config_selectorIlLb0EEEZNS1_14transform_implILb0ES3_S5_NS0_18transform_iteratorINS0_17counting_iteratorImlEEZNS1_24adjacent_difference_implIS3_Lb1ELb0EPlSB_N6thrust23THRUST_200600_302600_NS5minusIlEEEE10hipError_tPvRmT2_T3_mT4_P12ihipStream_tbEUlmE_lEESB_NS0_8identityIvEEEESG_SJ_SK_mSL_SN_bEUlT_E_NS1_11comp_targetILNS1_3genE3ELNS1_11target_archE908ELNS1_3gpuE7ELNS1_3repE0EEENS1_30default_config_static_selectorELNS0_4arch9wavefront6targetE0EEEvT1_,@function
_ZN7rocprim17ROCPRIM_400000_NS6detail17trampoline_kernelINS0_14default_configENS1_25transform_config_selectorIlLb0EEEZNS1_14transform_implILb0ES3_S5_NS0_18transform_iteratorINS0_17counting_iteratorImlEEZNS1_24adjacent_difference_implIS3_Lb1ELb0EPlSB_N6thrust23THRUST_200600_302600_NS5minusIlEEEE10hipError_tPvRmT2_T3_mT4_P12ihipStream_tbEUlmE_lEESB_NS0_8identityIvEEEESG_SJ_SK_mSL_SN_bEUlT_E_NS1_11comp_targetILNS1_3genE3ELNS1_11target_archE908ELNS1_3gpuE7ELNS1_3repE0EEENS1_30default_config_static_selectorELNS0_4arch9wavefront6targetE0EEEvT1_: ; @_ZN7rocprim17ROCPRIM_400000_NS6detail17trampoline_kernelINS0_14default_configENS1_25transform_config_selectorIlLb0EEEZNS1_14transform_implILb0ES3_S5_NS0_18transform_iteratorINS0_17counting_iteratorImlEEZNS1_24adjacent_difference_implIS3_Lb1ELb0EPlSB_N6thrust23THRUST_200600_302600_NS5minusIlEEEE10hipError_tPvRmT2_T3_mT4_P12ihipStream_tbEUlmE_lEESB_NS0_8identityIvEEEESG_SJ_SK_mSL_SN_bEUlT_E_NS1_11comp_targetILNS1_3genE3ELNS1_11target_archE908ELNS1_3gpuE7ELNS1_3repE0EEENS1_30default_config_static_selectorELNS0_4arch9wavefront6targetE0EEEvT1_
; %bb.0:
	.section	.rodata,"a",@progbits
	.p2align	6, 0x0
	.amdhsa_kernel _ZN7rocprim17ROCPRIM_400000_NS6detail17trampoline_kernelINS0_14default_configENS1_25transform_config_selectorIlLb0EEEZNS1_14transform_implILb0ES3_S5_NS0_18transform_iteratorINS0_17counting_iteratorImlEEZNS1_24adjacent_difference_implIS3_Lb1ELb0EPlSB_N6thrust23THRUST_200600_302600_NS5minusIlEEEE10hipError_tPvRmT2_T3_mT4_P12ihipStream_tbEUlmE_lEESB_NS0_8identityIvEEEESG_SJ_SK_mSL_SN_bEUlT_E_NS1_11comp_targetILNS1_3genE3ELNS1_11target_archE908ELNS1_3gpuE7ELNS1_3repE0EEENS1_30default_config_static_selectorELNS0_4arch9wavefront6targetE0EEEvT1_
		.amdhsa_group_segment_fixed_size 0
		.amdhsa_private_segment_fixed_size 0
		.amdhsa_kernarg_size 56
		.amdhsa_user_sgpr_count 2
		.amdhsa_user_sgpr_dispatch_ptr 0
		.amdhsa_user_sgpr_queue_ptr 0
		.amdhsa_user_sgpr_kernarg_segment_ptr 1
		.amdhsa_user_sgpr_dispatch_id 0
		.amdhsa_user_sgpr_kernarg_preload_length 0
		.amdhsa_user_sgpr_kernarg_preload_offset 0
		.amdhsa_user_sgpr_private_segment_size 0
		.amdhsa_wavefront_size32 1
		.amdhsa_uses_dynamic_stack 0
		.amdhsa_enable_private_segment 0
		.amdhsa_system_sgpr_workgroup_id_x 1
		.amdhsa_system_sgpr_workgroup_id_y 0
		.amdhsa_system_sgpr_workgroup_id_z 0
		.amdhsa_system_sgpr_workgroup_info 0
		.amdhsa_system_vgpr_workitem_id 0
		.amdhsa_next_free_vgpr 1
		.amdhsa_next_free_sgpr 1
		.amdhsa_named_barrier_count 0
		.amdhsa_reserve_vcc 0
		.amdhsa_float_round_mode_32 0
		.amdhsa_float_round_mode_16_64 0
		.amdhsa_float_denorm_mode_32 3
		.amdhsa_float_denorm_mode_16_64 3
		.amdhsa_fp16_overflow 0
		.amdhsa_memory_ordered 1
		.amdhsa_forward_progress 1
		.amdhsa_inst_pref_size 0
		.amdhsa_round_robin_scheduling 0
		.amdhsa_exception_fp_ieee_invalid_op 0
		.amdhsa_exception_fp_denorm_src 0
		.amdhsa_exception_fp_ieee_div_zero 0
		.amdhsa_exception_fp_ieee_overflow 0
		.amdhsa_exception_fp_ieee_underflow 0
		.amdhsa_exception_fp_ieee_inexact 0
		.amdhsa_exception_int_div_zero 0
	.end_amdhsa_kernel
	.section	.text._ZN7rocprim17ROCPRIM_400000_NS6detail17trampoline_kernelINS0_14default_configENS1_25transform_config_selectorIlLb0EEEZNS1_14transform_implILb0ES3_S5_NS0_18transform_iteratorINS0_17counting_iteratorImlEEZNS1_24adjacent_difference_implIS3_Lb1ELb0EPlSB_N6thrust23THRUST_200600_302600_NS5minusIlEEEE10hipError_tPvRmT2_T3_mT4_P12ihipStream_tbEUlmE_lEESB_NS0_8identityIvEEEESG_SJ_SK_mSL_SN_bEUlT_E_NS1_11comp_targetILNS1_3genE3ELNS1_11target_archE908ELNS1_3gpuE7ELNS1_3repE0EEENS1_30default_config_static_selectorELNS0_4arch9wavefront6targetE0EEEvT1_,"axG",@progbits,_ZN7rocprim17ROCPRIM_400000_NS6detail17trampoline_kernelINS0_14default_configENS1_25transform_config_selectorIlLb0EEEZNS1_14transform_implILb0ES3_S5_NS0_18transform_iteratorINS0_17counting_iteratorImlEEZNS1_24adjacent_difference_implIS3_Lb1ELb0EPlSB_N6thrust23THRUST_200600_302600_NS5minusIlEEEE10hipError_tPvRmT2_T3_mT4_P12ihipStream_tbEUlmE_lEESB_NS0_8identityIvEEEESG_SJ_SK_mSL_SN_bEUlT_E_NS1_11comp_targetILNS1_3genE3ELNS1_11target_archE908ELNS1_3gpuE7ELNS1_3repE0EEENS1_30default_config_static_selectorELNS0_4arch9wavefront6targetE0EEEvT1_,comdat
.Lfunc_end247:
	.size	_ZN7rocprim17ROCPRIM_400000_NS6detail17trampoline_kernelINS0_14default_configENS1_25transform_config_selectorIlLb0EEEZNS1_14transform_implILb0ES3_S5_NS0_18transform_iteratorINS0_17counting_iteratorImlEEZNS1_24adjacent_difference_implIS3_Lb1ELb0EPlSB_N6thrust23THRUST_200600_302600_NS5minusIlEEEE10hipError_tPvRmT2_T3_mT4_P12ihipStream_tbEUlmE_lEESB_NS0_8identityIvEEEESG_SJ_SK_mSL_SN_bEUlT_E_NS1_11comp_targetILNS1_3genE3ELNS1_11target_archE908ELNS1_3gpuE7ELNS1_3repE0EEENS1_30default_config_static_selectorELNS0_4arch9wavefront6targetE0EEEvT1_, .Lfunc_end247-_ZN7rocprim17ROCPRIM_400000_NS6detail17trampoline_kernelINS0_14default_configENS1_25transform_config_selectorIlLb0EEEZNS1_14transform_implILb0ES3_S5_NS0_18transform_iteratorINS0_17counting_iteratorImlEEZNS1_24adjacent_difference_implIS3_Lb1ELb0EPlSB_N6thrust23THRUST_200600_302600_NS5minusIlEEEE10hipError_tPvRmT2_T3_mT4_P12ihipStream_tbEUlmE_lEESB_NS0_8identityIvEEEESG_SJ_SK_mSL_SN_bEUlT_E_NS1_11comp_targetILNS1_3genE3ELNS1_11target_archE908ELNS1_3gpuE7ELNS1_3repE0EEENS1_30default_config_static_selectorELNS0_4arch9wavefront6targetE0EEEvT1_
                                        ; -- End function
	.set _ZN7rocprim17ROCPRIM_400000_NS6detail17trampoline_kernelINS0_14default_configENS1_25transform_config_selectorIlLb0EEEZNS1_14transform_implILb0ES3_S5_NS0_18transform_iteratorINS0_17counting_iteratorImlEEZNS1_24adjacent_difference_implIS3_Lb1ELb0EPlSB_N6thrust23THRUST_200600_302600_NS5minusIlEEEE10hipError_tPvRmT2_T3_mT4_P12ihipStream_tbEUlmE_lEESB_NS0_8identityIvEEEESG_SJ_SK_mSL_SN_bEUlT_E_NS1_11comp_targetILNS1_3genE3ELNS1_11target_archE908ELNS1_3gpuE7ELNS1_3repE0EEENS1_30default_config_static_selectorELNS0_4arch9wavefront6targetE0EEEvT1_.num_vgpr, 0
	.set _ZN7rocprim17ROCPRIM_400000_NS6detail17trampoline_kernelINS0_14default_configENS1_25transform_config_selectorIlLb0EEEZNS1_14transform_implILb0ES3_S5_NS0_18transform_iteratorINS0_17counting_iteratorImlEEZNS1_24adjacent_difference_implIS3_Lb1ELb0EPlSB_N6thrust23THRUST_200600_302600_NS5minusIlEEEE10hipError_tPvRmT2_T3_mT4_P12ihipStream_tbEUlmE_lEESB_NS0_8identityIvEEEESG_SJ_SK_mSL_SN_bEUlT_E_NS1_11comp_targetILNS1_3genE3ELNS1_11target_archE908ELNS1_3gpuE7ELNS1_3repE0EEENS1_30default_config_static_selectorELNS0_4arch9wavefront6targetE0EEEvT1_.num_agpr, 0
	.set _ZN7rocprim17ROCPRIM_400000_NS6detail17trampoline_kernelINS0_14default_configENS1_25transform_config_selectorIlLb0EEEZNS1_14transform_implILb0ES3_S5_NS0_18transform_iteratorINS0_17counting_iteratorImlEEZNS1_24adjacent_difference_implIS3_Lb1ELb0EPlSB_N6thrust23THRUST_200600_302600_NS5minusIlEEEE10hipError_tPvRmT2_T3_mT4_P12ihipStream_tbEUlmE_lEESB_NS0_8identityIvEEEESG_SJ_SK_mSL_SN_bEUlT_E_NS1_11comp_targetILNS1_3genE3ELNS1_11target_archE908ELNS1_3gpuE7ELNS1_3repE0EEENS1_30default_config_static_selectorELNS0_4arch9wavefront6targetE0EEEvT1_.numbered_sgpr, 0
	.set _ZN7rocprim17ROCPRIM_400000_NS6detail17trampoline_kernelINS0_14default_configENS1_25transform_config_selectorIlLb0EEEZNS1_14transform_implILb0ES3_S5_NS0_18transform_iteratorINS0_17counting_iteratorImlEEZNS1_24adjacent_difference_implIS3_Lb1ELb0EPlSB_N6thrust23THRUST_200600_302600_NS5minusIlEEEE10hipError_tPvRmT2_T3_mT4_P12ihipStream_tbEUlmE_lEESB_NS0_8identityIvEEEESG_SJ_SK_mSL_SN_bEUlT_E_NS1_11comp_targetILNS1_3genE3ELNS1_11target_archE908ELNS1_3gpuE7ELNS1_3repE0EEENS1_30default_config_static_selectorELNS0_4arch9wavefront6targetE0EEEvT1_.num_named_barrier, 0
	.set _ZN7rocprim17ROCPRIM_400000_NS6detail17trampoline_kernelINS0_14default_configENS1_25transform_config_selectorIlLb0EEEZNS1_14transform_implILb0ES3_S5_NS0_18transform_iteratorINS0_17counting_iteratorImlEEZNS1_24adjacent_difference_implIS3_Lb1ELb0EPlSB_N6thrust23THRUST_200600_302600_NS5minusIlEEEE10hipError_tPvRmT2_T3_mT4_P12ihipStream_tbEUlmE_lEESB_NS0_8identityIvEEEESG_SJ_SK_mSL_SN_bEUlT_E_NS1_11comp_targetILNS1_3genE3ELNS1_11target_archE908ELNS1_3gpuE7ELNS1_3repE0EEENS1_30default_config_static_selectorELNS0_4arch9wavefront6targetE0EEEvT1_.private_seg_size, 0
	.set _ZN7rocprim17ROCPRIM_400000_NS6detail17trampoline_kernelINS0_14default_configENS1_25transform_config_selectorIlLb0EEEZNS1_14transform_implILb0ES3_S5_NS0_18transform_iteratorINS0_17counting_iteratorImlEEZNS1_24adjacent_difference_implIS3_Lb1ELb0EPlSB_N6thrust23THRUST_200600_302600_NS5minusIlEEEE10hipError_tPvRmT2_T3_mT4_P12ihipStream_tbEUlmE_lEESB_NS0_8identityIvEEEESG_SJ_SK_mSL_SN_bEUlT_E_NS1_11comp_targetILNS1_3genE3ELNS1_11target_archE908ELNS1_3gpuE7ELNS1_3repE0EEENS1_30default_config_static_selectorELNS0_4arch9wavefront6targetE0EEEvT1_.uses_vcc, 0
	.set _ZN7rocprim17ROCPRIM_400000_NS6detail17trampoline_kernelINS0_14default_configENS1_25transform_config_selectorIlLb0EEEZNS1_14transform_implILb0ES3_S5_NS0_18transform_iteratorINS0_17counting_iteratorImlEEZNS1_24adjacent_difference_implIS3_Lb1ELb0EPlSB_N6thrust23THRUST_200600_302600_NS5minusIlEEEE10hipError_tPvRmT2_T3_mT4_P12ihipStream_tbEUlmE_lEESB_NS0_8identityIvEEEESG_SJ_SK_mSL_SN_bEUlT_E_NS1_11comp_targetILNS1_3genE3ELNS1_11target_archE908ELNS1_3gpuE7ELNS1_3repE0EEENS1_30default_config_static_selectorELNS0_4arch9wavefront6targetE0EEEvT1_.uses_flat_scratch, 0
	.set _ZN7rocprim17ROCPRIM_400000_NS6detail17trampoline_kernelINS0_14default_configENS1_25transform_config_selectorIlLb0EEEZNS1_14transform_implILb0ES3_S5_NS0_18transform_iteratorINS0_17counting_iteratorImlEEZNS1_24adjacent_difference_implIS3_Lb1ELb0EPlSB_N6thrust23THRUST_200600_302600_NS5minusIlEEEE10hipError_tPvRmT2_T3_mT4_P12ihipStream_tbEUlmE_lEESB_NS0_8identityIvEEEESG_SJ_SK_mSL_SN_bEUlT_E_NS1_11comp_targetILNS1_3genE3ELNS1_11target_archE908ELNS1_3gpuE7ELNS1_3repE0EEENS1_30default_config_static_selectorELNS0_4arch9wavefront6targetE0EEEvT1_.has_dyn_sized_stack, 0
	.set _ZN7rocprim17ROCPRIM_400000_NS6detail17trampoline_kernelINS0_14default_configENS1_25transform_config_selectorIlLb0EEEZNS1_14transform_implILb0ES3_S5_NS0_18transform_iteratorINS0_17counting_iteratorImlEEZNS1_24adjacent_difference_implIS3_Lb1ELb0EPlSB_N6thrust23THRUST_200600_302600_NS5minusIlEEEE10hipError_tPvRmT2_T3_mT4_P12ihipStream_tbEUlmE_lEESB_NS0_8identityIvEEEESG_SJ_SK_mSL_SN_bEUlT_E_NS1_11comp_targetILNS1_3genE3ELNS1_11target_archE908ELNS1_3gpuE7ELNS1_3repE0EEENS1_30default_config_static_selectorELNS0_4arch9wavefront6targetE0EEEvT1_.has_recursion, 0
	.set _ZN7rocprim17ROCPRIM_400000_NS6detail17trampoline_kernelINS0_14default_configENS1_25transform_config_selectorIlLb0EEEZNS1_14transform_implILb0ES3_S5_NS0_18transform_iteratorINS0_17counting_iteratorImlEEZNS1_24adjacent_difference_implIS3_Lb1ELb0EPlSB_N6thrust23THRUST_200600_302600_NS5minusIlEEEE10hipError_tPvRmT2_T3_mT4_P12ihipStream_tbEUlmE_lEESB_NS0_8identityIvEEEESG_SJ_SK_mSL_SN_bEUlT_E_NS1_11comp_targetILNS1_3genE3ELNS1_11target_archE908ELNS1_3gpuE7ELNS1_3repE0EEENS1_30default_config_static_selectorELNS0_4arch9wavefront6targetE0EEEvT1_.has_indirect_call, 0
	.section	.AMDGPU.csdata,"",@progbits
; Kernel info:
; codeLenInByte = 0
; TotalNumSgprs: 0
; NumVgprs: 0
; ScratchSize: 0
; MemoryBound: 0
; FloatMode: 240
; IeeeMode: 1
; LDSByteSize: 0 bytes/workgroup (compile time only)
; SGPRBlocks: 0
; VGPRBlocks: 0
; NumSGPRsForWavesPerEU: 1
; NumVGPRsForWavesPerEU: 1
; NamedBarCnt: 0
; Occupancy: 16
; WaveLimiterHint : 0
; COMPUTE_PGM_RSRC2:SCRATCH_EN: 0
; COMPUTE_PGM_RSRC2:USER_SGPR: 2
; COMPUTE_PGM_RSRC2:TRAP_HANDLER: 0
; COMPUTE_PGM_RSRC2:TGID_X_EN: 1
; COMPUTE_PGM_RSRC2:TGID_Y_EN: 0
; COMPUTE_PGM_RSRC2:TGID_Z_EN: 0
; COMPUTE_PGM_RSRC2:TIDIG_COMP_CNT: 0
	.section	.text._ZN7rocprim17ROCPRIM_400000_NS6detail17trampoline_kernelINS0_14default_configENS1_25transform_config_selectorIlLb0EEEZNS1_14transform_implILb0ES3_S5_NS0_18transform_iteratorINS0_17counting_iteratorImlEEZNS1_24adjacent_difference_implIS3_Lb1ELb0EPlSB_N6thrust23THRUST_200600_302600_NS5minusIlEEEE10hipError_tPvRmT2_T3_mT4_P12ihipStream_tbEUlmE_lEESB_NS0_8identityIvEEEESG_SJ_SK_mSL_SN_bEUlT_E_NS1_11comp_targetILNS1_3genE2ELNS1_11target_archE906ELNS1_3gpuE6ELNS1_3repE0EEENS1_30default_config_static_selectorELNS0_4arch9wavefront6targetE0EEEvT1_,"axG",@progbits,_ZN7rocprim17ROCPRIM_400000_NS6detail17trampoline_kernelINS0_14default_configENS1_25transform_config_selectorIlLb0EEEZNS1_14transform_implILb0ES3_S5_NS0_18transform_iteratorINS0_17counting_iteratorImlEEZNS1_24adjacent_difference_implIS3_Lb1ELb0EPlSB_N6thrust23THRUST_200600_302600_NS5minusIlEEEE10hipError_tPvRmT2_T3_mT4_P12ihipStream_tbEUlmE_lEESB_NS0_8identityIvEEEESG_SJ_SK_mSL_SN_bEUlT_E_NS1_11comp_targetILNS1_3genE2ELNS1_11target_archE906ELNS1_3gpuE6ELNS1_3repE0EEENS1_30default_config_static_selectorELNS0_4arch9wavefront6targetE0EEEvT1_,comdat
	.protected	_ZN7rocprim17ROCPRIM_400000_NS6detail17trampoline_kernelINS0_14default_configENS1_25transform_config_selectorIlLb0EEEZNS1_14transform_implILb0ES3_S5_NS0_18transform_iteratorINS0_17counting_iteratorImlEEZNS1_24adjacent_difference_implIS3_Lb1ELb0EPlSB_N6thrust23THRUST_200600_302600_NS5minusIlEEEE10hipError_tPvRmT2_T3_mT4_P12ihipStream_tbEUlmE_lEESB_NS0_8identityIvEEEESG_SJ_SK_mSL_SN_bEUlT_E_NS1_11comp_targetILNS1_3genE2ELNS1_11target_archE906ELNS1_3gpuE6ELNS1_3repE0EEENS1_30default_config_static_selectorELNS0_4arch9wavefront6targetE0EEEvT1_ ; -- Begin function _ZN7rocprim17ROCPRIM_400000_NS6detail17trampoline_kernelINS0_14default_configENS1_25transform_config_selectorIlLb0EEEZNS1_14transform_implILb0ES3_S5_NS0_18transform_iteratorINS0_17counting_iteratorImlEEZNS1_24adjacent_difference_implIS3_Lb1ELb0EPlSB_N6thrust23THRUST_200600_302600_NS5minusIlEEEE10hipError_tPvRmT2_T3_mT4_P12ihipStream_tbEUlmE_lEESB_NS0_8identityIvEEEESG_SJ_SK_mSL_SN_bEUlT_E_NS1_11comp_targetILNS1_3genE2ELNS1_11target_archE906ELNS1_3gpuE6ELNS1_3repE0EEENS1_30default_config_static_selectorELNS0_4arch9wavefront6targetE0EEEvT1_
	.globl	_ZN7rocprim17ROCPRIM_400000_NS6detail17trampoline_kernelINS0_14default_configENS1_25transform_config_selectorIlLb0EEEZNS1_14transform_implILb0ES3_S5_NS0_18transform_iteratorINS0_17counting_iteratorImlEEZNS1_24adjacent_difference_implIS3_Lb1ELb0EPlSB_N6thrust23THRUST_200600_302600_NS5minusIlEEEE10hipError_tPvRmT2_T3_mT4_P12ihipStream_tbEUlmE_lEESB_NS0_8identityIvEEEESG_SJ_SK_mSL_SN_bEUlT_E_NS1_11comp_targetILNS1_3genE2ELNS1_11target_archE906ELNS1_3gpuE6ELNS1_3repE0EEENS1_30default_config_static_selectorELNS0_4arch9wavefront6targetE0EEEvT1_
	.p2align	8
	.type	_ZN7rocprim17ROCPRIM_400000_NS6detail17trampoline_kernelINS0_14default_configENS1_25transform_config_selectorIlLb0EEEZNS1_14transform_implILb0ES3_S5_NS0_18transform_iteratorINS0_17counting_iteratorImlEEZNS1_24adjacent_difference_implIS3_Lb1ELb0EPlSB_N6thrust23THRUST_200600_302600_NS5minusIlEEEE10hipError_tPvRmT2_T3_mT4_P12ihipStream_tbEUlmE_lEESB_NS0_8identityIvEEEESG_SJ_SK_mSL_SN_bEUlT_E_NS1_11comp_targetILNS1_3genE2ELNS1_11target_archE906ELNS1_3gpuE6ELNS1_3repE0EEENS1_30default_config_static_selectorELNS0_4arch9wavefront6targetE0EEEvT1_,@function
_ZN7rocprim17ROCPRIM_400000_NS6detail17trampoline_kernelINS0_14default_configENS1_25transform_config_selectorIlLb0EEEZNS1_14transform_implILb0ES3_S5_NS0_18transform_iteratorINS0_17counting_iteratorImlEEZNS1_24adjacent_difference_implIS3_Lb1ELb0EPlSB_N6thrust23THRUST_200600_302600_NS5minusIlEEEE10hipError_tPvRmT2_T3_mT4_P12ihipStream_tbEUlmE_lEESB_NS0_8identityIvEEEESG_SJ_SK_mSL_SN_bEUlT_E_NS1_11comp_targetILNS1_3genE2ELNS1_11target_archE906ELNS1_3gpuE6ELNS1_3repE0EEENS1_30default_config_static_selectorELNS0_4arch9wavefront6targetE0EEEvT1_: ; @_ZN7rocprim17ROCPRIM_400000_NS6detail17trampoline_kernelINS0_14default_configENS1_25transform_config_selectorIlLb0EEEZNS1_14transform_implILb0ES3_S5_NS0_18transform_iteratorINS0_17counting_iteratorImlEEZNS1_24adjacent_difference_implIS3_Lb1ELb0EPlSB_N6thrust23THRUST_200600_302600_NS5minusIlEEEE10hipError_tPvRmT2_T3_mT4_P12ihipStream_tbEUlmE_lEESB_NS0_8identityIvEEEESG_SJ_SK_mSL_SN_bEUlT_E_NS1_11comp_targetILNS1_3genE2ELNS1_11target_archE906ELNS1_3gpuE6ELNS1_3repE0EEENS1_30default_config_static_selectorELNS0_4arch9wavefront6targetE0EEEvT1_
; %bb.0:
	.section	.rodata,"a",@progbits
	.p2align	6, 0x0
	.amdhsa_kernel _ZN7rocprim17ROCPRIM_400000_NS6detail17trampoline_kernelINS0_14default_configENS1_25transform_config_selectorIlLb0EEEZNS1_14transform_implILb0ES3_S5_NS0_18transform_iteratorINS0_17counting_iteratorImlEEZNS1_24adjacent_difference_implIS3_Lb1ELb0EPlSB_N6thrust23THRUST_200600_302600_NS5minusIlEEEE10hipError_tPvRmT2_T3_mT4_P12ihipStream_tbEUlmE_lEESB_NS0_8identityIvEEEESG_SJ_SK_mSL_SN_bEUlT_E_NS1_11comp_targetILNS1_3genE2ELNS1_11target_archE906ELNS1_3gpuE6ELNS1_3repE0EEENS1_30default_config_static_selectorELNS0_4arch9wavefront6targetE0EEEvT1_
		.amdhsa_group_segment_fixed_size 0
		.amdhsa_private_segment_fixed_size 0
		.amdhsa_kernarg_size 56
		.amdhsa_user_sgpr_count 2
		.amdhsa_user_sgpr_dispatch_ptr 0
		.amdhsa_user_sgpr_queue_ptr 0
		.amdhsa_user_sgpr_kernarg_segment_ptr 1
		.amdhsa_user_sgpr_dispatch_id 0
		.amdhsa_user_sgpr_kernarg_preload_length 0
		.amdhsa_user_sgpr_kernarg_preload_offset 0
		.amdhsa_user_sgpr_private_segment_size 0
		.amdhsa_wavefront_size32 1
		.amdhsa_uses_dynamic_stack 0
		.amdhsa_enable_private_segment 0
		.amdhsa_system_sgpr_workgroup_id_x 1
		.amdhsa_system_sgpr_workgroup_id_y 0
		.amdhsa_system_sgpr_workgroup_id_z 0
		.amdhsa_system_sgpr_workgroup_info 0
		.amdhsa_system_vgpr_workitem_id 0
		.amdhsa_next_free_vgpr 1
		.amdhsa_next_free_sgpr 1
		.amdhsa_named_barrier_count 0
		.amdhsa_reserve_vcc 0
		.amdhsa_float_round_mode_32 0
		.amdhsa_float_round_mode_16_64 0
		.amdhsa_float_denorm_mode_32 3
		.amdhsa_float_denorm_mode_16_64 3
		.amdhsa_fp16_overflow 0
		.amdhsa_memory_ordered 1
		.amdhsa_forward_progress 1
		.amdhsa_inst_pref_size 0
		.amdhsa_round_robin_scheduling 0
		.amdhsa_exception_fp_ieee_invalid_op 0
		.amdhsa_exception_fp_denorm_src 0
		.amdhsa_exception_fp_ieee_div_zero 0
		.amdhsa_exception_fp_ieee_overflow 0
		.amdhsa_exception_fp_ieee_underflow 0
		.amdhsa_exception_fp_ieee_inexact 0
		.amdhsa_exception_int_div_zero 0
	.end_amdhsa_kernel
	.section	.text._ZN7rocprim17ROCPRIM_400000_NS6detail17trampoline_kernelINS0_14default_configENS1_25transform_config_selectorIlLb0EEEZNS1_14transform_implILb0ES3_S5_NS0_18transform_iteratorINS0_17counting_iteratorImlEEZNS1_24adjacent_difference_implIS3_Lb1ELb0EPlSB_N6thrust23THRUST_200600_302600_NS5minusIlEEEE10hipError_tPvRmT2_T3_mT4_P12ihipStream_tbEUlmE_lEESB_NS0_8identityIvEEEESG_SJ_SK_mSL_SN_bEUlT_E_NS1_11comp_targetILNS1_3genE2ELNS1_11target_archE906ELNS1_3gpuE6ELNS1_3repE0EEENS1_30default_config_static_selectorELNS0_4arch9wavefront6targetE0EEEvT1_,"axG",@progbits,_ZN7rocprim17ROCPRIM_400000_NS6detail17trampoline_kernelINS0_14default_configENS1_25transform_config_selectorIlLb0EEEZNS1_14transform_implILb0ES3_S5_NS0_18transform_iteratorINS0_17counting_iteratorImlEEZNS1_24adjacent_difference_implIS3_Lb1ELb0EPlSB_N6thrust23THRUST_200600_302600_NS5minusIlEEEE10hipError_tPvRmT2_T3_mT4_P12ihipStream_tbEUlmE_lEESB_NS0_8identityIvEEEESG_SJ_SK_mSL_SN_bEUlT_E_NS1_11comp_targetILNS1_3genE2ELNS1_11target_archE906ELNS1_3gpuE6ELNS1_3repE0EEENS1_30default_config_static_selectorELNS0_4arch9wavefront6targetE0EEEvT1_,comdat
.Lfunc_end248:
	.size	_ZN7rocprim17ROCPRIM_400000_NS6detail17trampoline_kernelINS0_14default_configENS1_25transform_config_selectorIlLb0EEEZNS1_14transform_implILb0ES3_S5_NS0_18transform_iteratorINS0_17counting_iteratorImlEEZNS1_24adjacent_difference_implIS3_Lb1ELb0EPlSB_N6thrust23THRUST_200600_302600_NS5minusIlEEEE10hipError_tPvRmT2_T3_mT4_P12ihipStream_tbEUlmE_lEESB_NS0_8identityIvEEEESG_SJ_SK_mSL_SN_bEUlT_E_NS1_11comp_targetILNS1_3genE2ELNS1_11target_archE906ELNS1_3gpuE6ELNS1_3repE0EEENS1_30default_config_static_selectorELNS0_4arch9wavefront6targetE0EEEvT1_, .Lfunc_end248-_ZN7rocprim17ROCPRIM_400000_NS6detail17trampoline_kernelINS0_14default_configENS1_25transform_config_selectorIlLb0EEEZNS1_14transform_implILb0ES3_S5_NS0_18transform_iteratorINS0_17counting_iteratorImlEEZNS1_24adjacent_difference_implIS3_Lb1ELb0EPlSB_N6thrust23THRUST_200600_302600_NS5minusIlEEEE10hipError_tPvRmT2_T3_mT4_P12ihipStream_tbEUlmE_lEESB_NS0_8identityIvEEEESG_SJ_SK_mSL_SN_bEUlT_E_NS1_11comp_targetILNS1_3genE2ELNS1_11target_archE906ELNS1_3gpuE6ELNS1_3repE0EEENS1_30default_config_static_selectorELNS0_4arch9wavefront6targetE0EEEvT1_
                                        ; -- End function
	.set _ZN7rocprim17ROCPRIM_400000_NS6detail17trampoline_kernelINS0_14default_configENS1_25transform_config_selectorIlLb0EEEZNS1_14transform_implILb0ES3_S5_NS0_18transform_iteratorINS0_17counting_iteratorImlEEZNS1_24adjacent_difference_implIS3_Lb1ELb0EPlSB_N6thrust23THRUST_200600_302600_NS5minusIlEEEE10hipError_tPvRmT2_T3_mT4_P12ihipStream_tbEUlmE_lEESB_NS0_8identityIvEEEESG_SJ_SK_mSL_SN_bEUlT_E_NS1_11comp_targetILNS1_3genE2ELNS1_11target_archE906ELNS1_3gpuE6ELNS1_3repE0EEENS1_30default_config_static_selectorELNS0_4arch9wavefront6targetE0EEEvT1_.num_vgpr, 0
	.set _ZN7rocprim17ROCPRIM_400000_NS6detail17trampoline_kernelINS0_14default_configENS1_25transform_config_selectorIlLb0EEEZNS1_14transform_implILb0ES3_S5_NS0_18transform_iteratorINS0_17counting_iteratorImlEEZNS1_24adjacent_difference_implIS3_Lb1ELb0EPlSB_N6thrust23THRUST_200600_302600_NS5minusIlEEEE10hipError_tPvRmT2_T3_mT4_P12ihipStream_tbEUlmE_lEESB_NS0_8identityIvEEEESG_SJ_SK_mSL_SN_bEUlT_E_NS1_11comp_targetILNS1_3genE2ELNS1_11target_archE906ELNS1_3gpuE6ELNS1_3repE0EEENS1_30default_config_static_selectorELNS0_4arch9wavefront6targetE0EEEvT1_.num_agpr, 0
	.set _ZN7rocprim17ROCPRIM_400000_NS6detail17trampoline_kernelINS0_14default_configENS1_25transform_config_selectorIlLb0EEEZNS1_14transform_implILb0ES3_S5_NS0_18transform_iteratorINS0_17counting_iteratorImlEEZNS1_24adjacent_difference_implIS3_Lb1ELb0EPlSB_N6thrust23THRUST_200600_302600_NS5minusIlEEEE10hipError_tPvRmT2_T3_mT4_P12ihipStream_tbEUlmE_lEESB_NS0_8identityIvEEEESG_SJ_SK_mSL_SN_bEUlT_E_NS1_11comp_targetILNS1_3genE2ELNS1_11target_archE906ELNS1_3gpuE6ELNS1_3repE0EEENS1_30default_config_static_selectorELNS0_4arch9wavefront6targetE0EEEvT1_.numbered_sgpr, 0
	.set _ZN7rocprim17ROCPRIM_400000_NS6detail17trampoline_kernelINS0_14default_configENS1_25transform_config_selectorIlLb0EEEZNS1_14transform_implILb0ES3_S5_NS0_18transform_iteratorINS0_17counting_iteratorImlEEZNS1_24adjacent_difference_implIS3_Lb1ELb0EPlSB_N6thrust23THRUST_200600_302600_NS5minusIlEEEE10hipError_tPvRmT2_T3_mT4_P12ihipStream_tbEUlmE_lEESB_NS0_8identityIvEEEESG_SJ_SK_mSL_SN_bEUlT_E_NS1_11comp_targetILNS1_3genE2ELNS1_11target_archE906ELNS1_3gpuE6ELNS1_3repE0EEENS1_30default_config_static_selectorELNS0_4arch9wavefront6targetE0EEEvT1_.num_named_barrier, 0
	.set _ZN7rocprim17ROCPRIM_400000_NS6detail17trampoline_kernelINS0_14default_configENS1_25transform_config_selectorIlLb0EEEZNS1_14transform_implILb0ES3_S5_NS0_18transform_iteratorINS0_17counting_iteratorImlEEZNS1_24adjacent_difference_implIS3_Lb1ELb0EPlSB_N6thrust23THRUST_200600_302600_NS5minusIlEEEE10hipError_tPvRmT2_T3_mT4_P12ihipStream_tbEUlmE_lEESB_NS0_8identityIvEEEESG_SJ_SK_mSL_SN_bEUlT_E_NS1_11comp_targetILNS1_3genE2ELNS1_11target_archE906ELNS1_3gpuE6ELNS1_3repE0EEENS1_30default_config_static_selectorELNS0_4arch9wavefront6targetE0EEEvT1_.private_seg_size, 0
	.set _ZN7rocprim17ROCPRIM_400000_NS6detail17trampoline_kernelINS0_14default_configENS1_25transform_config_selectorIlLb0EEEZNS1_14transform_implILb0ES3_S5_NS0_18transform_iteratorINS0_17counting_iteratorImlEEZNS1_24adjacent_difference_implIS3_Lb1ELb0EPlSB_N6thrust23THRUST_200600_302600_NS5minusIlEEEE10hipError_tPvRmT2_T3_mT4_P12ihipStream_tbEUlmE_lEESB_NS0_8identityIvEEEESG_SJ_SK_mSL_SN_bEUlT_E_NS1_11comp_targetILNS1_3genE2ELNS1_11target_archE906ELNS1_3gpuE6ELNS1_3repE0EEENS1_30default_config_static_selectorELNS0_4arch9wavefront6targetE0EEEvT1_.uses_vcc, 0
	.set _ZN7rocprim17ROCPRIM_400000_NS6detail17trampoline_kernelINS0_14default_configENS1_25transform_config_selectorIlLb0EEEZNS1_14transform_implILb0ES3_S5_NS0_18transform_iteratorINS0_17counting_iteratorImlEEZNS1_24adjacent_difference_implIS3_Lb1ELb0EPlSB_N6thrust23THRUST_200600_302600_NS5minusIlEEEE10hipError_tPvRmT2_T3_mT4_P12ihipStream_tbEUlmE_lEESB_NS0_8identityIvEEEESG_SJ_SK_mSL_SN_bEUlT_E_NS1_11comp_targetILNS1_3genE2ELNS1_11target_archE906ELNS1_3gpuE6ELNS1_3repE0EEENS1_30default_config_static_selectorELNS0_4arch9wavefront6targetE0EEEvT1_.uses_flat_scratch, 0
	.set _ZN7rocprim17ROCPRIM_400000_NS6detail17trampoline_kernelINS0_14default_configENS1_25transform_config_selectorIlLb0EEEZNS1_14transform_implILb0ES3_S5_NS0_18transform_iteratorINS0_17counting_iteratorImlEEZNS1_24adjacent_difference_implIS3_Lb1ELb0EPlSB_N6thrust23THRUST_200600_302600_NS5minusIlEEEE10hipError_tPvRmT2_T3_mT4_P12ihipStream_tbEUlmE_lEESB_NS0_8identityIvEEEESG_SJ_SK_mSL_SN_bEUlT_E_NS1_11comp_targetILNS1_3genE2ELNS1_11target_archE906ELNS1_3gpuE6ELNS1_3repE0EEENS1_30default_config_static_selectorELNS0_4arch9wavefront6targetE0EEEvT1_.has_dyn_sized_stack, 0
	.set _ZN7rocprim17ROCPRIM_400000_NS6detail17trampoline_kernelINS0_14default_configENS1_25transform_config_selectorIlLb0EEEZNS1_14transform_implILb0ES3_S5_NS0_18transform_iteratorINS0_17counting_iteratorImlEEZNS1_24adjacent_difference_implIS3_Lb1ELb0EPlSB_N6thrust23THRUST_200600_302600_NS5minusIlEEEE10hipError_tPvRmT2_T3_mT4_P12ihipStream_tbEUlmE_lEESB_NS0_8identityIvEEEESG_SJ_SK_mSL_SN_bEUlT_E_NS1_11comp_targetILNS1_3genE2ELNS1_11target_archE906ELNS1_3gpuE6ELNS1_3repE0EEENS1_30default_config_static_selectorELNS0_4arch9wavefront6targetE0EEEvT1_.has_recursion, 0
	.set _ZN7rocprim17ROCPRIM_400000_NS6detail17trampoline_kernelINS0_14default_configENS1_25transform_config_selectorIlLb0EEEZNS1_14transform_implILb0ES3_S5_NS0_18transform_iteratorINS0_17counting_iteratorImlEEZNS1_24adjacent_difference_implIS3_Lb1ELb0EPlSB_N6thrust23THRUST_200600_302600_NS5minusIlEEEE10hipError_tPvRmT2_T3_mT4_P12ihipStream_tbEUlmE_lEESB_NS0_8identityIvEEEESG_SJ_SK_mSL_SN_bEUlT_E_NS1_11comp_targetILNS1_3genE2ELNS1_11target_archE906ELNS1_3gpuE6ELNS1_3repE0EEENS1_30default_config_static_selectorELNS0_4arch9wavefront6targetE0EEEvT1_.has_indirect_call, 0
	.section	.AMDGPU.csdata,"",@progbits
; Kernel info:
; codeLenInByte = 0
; TotalNumSgprs: 0
; NumVgprs: 0
; ScratchSize: 0
; MemoryBound: 0
; FloatMode: 240
; IeeeMode: 1
; LDSByteSize: 0 bytes/workgroup (compile time only)
; SGPRBlocks: 0
; VGPRBlocks: 0
; NumSGPRsForWavesPerEU: 1
; NumVGPRsForWavesPerEU: 1
; NamedBarCnt: 0
; Occupancy: 16
; WaveLimiterHint : 0
; COMPUTE_PGM_RSRC2:SCRATCH_EN: 0
; COMPUTE_PGM_RSRC2:USER_SGPR: 2
; COMPUTE_PGM_RSRC2:TRAP_HANDLER: 0
; COMPUTE_PGM_RSRC2:TGID_X_EN: 1
; COMPUTE_PGM_RSRC2:TGID_Y_EN: 0
; COMPUTE_PGM_RSRC2:TGID_Z_EN: 0
; COMPUTE_PGM_RSRC2:TIDIG_COMP_CNT: 0
	.section	.text._ZN7rocprim17ROCPRIM_400000_NS6detail17trampoline_kernelINS0_14default_configENS1_25transform_config_selectorIlLb0EEEZNS1_14transform_implILb0ES3_S5_NS0_18transform_iteratorINS0_17counting_iteratorImlEEZNS1_24adjacent_difference_implIS3_Lb1ELb0EPlSB_N6thrust23THRUST_200600_302600_NS5minusIlEEEE10hipError_tPvRmT2_T3_mT4_P12ihipStream_tbEUlmE_lEESB_NS0_8identityIvEEEESG_SJ_SK_mSL_SN_bEUlT_E_NS1_11comp_targetILNS1_3genE10ELNS1_11target_archE1201ELNS1_3gpuE5ELNS1_3repE0EEENS1_30default_config_static_selectorELNS0_4arch9wavefront6targetE0EEEvT1_,"axG",@progbits,_ZN7rocprim17ROCPRIM_400000_NS6detail17trampoline_kernelINS0_14default_configENS1_25transform_config_selectorIlLb0EEEZNS1_14transform_implILb0ES3_S5_NS0_18transform_iteratorINS0_17counting_iteratorImlEEZNS1_24adjacent_difference_implIS3_Lb1ELb0EPlSB_N6thrust23THRUST_200600_302600_NS5minusIlEEEE10hipError_tPvRmT2_T3_mT4_P12ihipStream_tbEUlmE_lEESB_NS0_8identityIvEEEESG_SJ_SK_mSL_SN_bEUlT_E_NS1_11comp_targetILNS1_3genE10ELNS1_11target_archE1201ELNS1_3gpuE5ELNS1_3repE0EEENS1_30default_config_static_selectorELNS0_4arch9wavefront6targetE0EEEvT1_,comdat
	.protected	_ZN7rocprim17ROCPRIM_400000_NS6detail17trampoline_kernelINS0_14default_configENS1_25transform_config_selectorIlLb0EEEZNS1_14transform_implILb0ES3_S5_NS0_18transform_iteratorINS0_17counting_iteratorImlEEZNS1_24adjacent_difference_implIS3_Lb1ELb0EPlSB_N6thrust23THRUST_200600_302600_NS5minusIlEEEE10hipError_tPvRmT2_T3_mT4_P12ihipStream_tbEUlmE_lEESB_NS0_8identityIvEEEESG_SJ_SK_mSL_SN_bEUlT_E_NS1_11comp_targetILNS1_3genE10ELNS1_11target_archE1201ELNS1_3gpuE5ELNS1_3repE0EEENS1_30default_config_static_selectorELNS0_4arch9wavefront6targetE0EEEvT1_ ; -- Begin function _ZN7rocprim17ROCPRIM_400000_NS6detail17trampoline_kernelINS0_14default_configENS1_25transform_config_selectorIlLb0EEEZNS1_14transform_implILb0ES3_S5_NS0_18transform_iteratorINS0_17counting_iteratorImlEEZNS1_24adjacent_difference_implIS3_Lb1ELb0EPlSB_N6thrust23THRUST_200600_302600_NS5minusIlEEEE10hipError_tPvRmT2_T3_mT4_P12ihipStream_tbEUlmE_lEESB_NS0_8identityIvEEEESG_SJ_SK_mSL_SN_bEUlT_E_NS1_11comp_targetILNS1_3genE10ELNS1_11target_archE1201ELNS1_3gpuE5ELNS1_3repE0EEENS1_30default_config_static_selectorELNS0_4arch9wavefront6targetE0EEEvT1_
	.globl	_ZN7rocprim17ROCPRIM_400000_NS6detail17trampoline_kernelINS0_14default_configENS1_25transform_config_selectorIlLb0EEEZNS1_14transform_implILb0ES3_S5_NS0_18transform_iteratorINS0_17counting_iteratorImlEEZNS1_24adjacent_difference_implIS3_Lb1ELb0EPlSB_N6thrust23THRUST_200600_302600_NS5minusIlEEEE10hipError_tPvRmT2_T3_mT4_P12ihipStream_tbEUlmE_lEESB_NS0_8identityIvEEEESG_SJ_SK_mSL_SN_bEUlT_E_NS1_11comp_targetILNS1_3genE10ELNS1_11target_archE1201ELNS1_3gpuE5ELNS1_3repE0EEENS1_30default_config_static_selectorELNS0_4arch9wavefront6targetE0EEEvT1_
	.p2align	8
	.type	_ZN7rocprim17ROCPRIM_400000_NS6detail17trampoline_kernelINS0_14default_configENS1_25transform_config_selectorIlLb0EEEZNS1_14transform_implILb0ES3_S5_NS0_18transform_iteratorINS0_17counting_iteratorImlEEZNS1_24adjacent_difference_implIS3_Lb1ELb0EPlSB_N6thrust23THRUST_200600_302600_NS5minusIlEEEE10hipError_tPvRmT2_T3_mT4_P12ihipStream_tbEUlmE_lEESB_NS0_8identityIvEEEESG_SJ_SK_mSL_SN_bEUlT_E_NS1_11comp_targetILNS1_3genE10ELNS1_11target_archE1201ELNS1_3gpuE5ELNS1_3repE0EEENS1_30default_config_static_selectorELNS0_4arch9wavefront6targetE0EEEvT1_,@function
_ZN7rocprim17ROCPRIM_400000_NS6detail17trampoline_kernelINS0_14default_configENS1_25transform_config_selectorIlLb0EEEZNS1_14transform_implILb0ES3_S5_NS0_18transform_iteratorINS0_17counting_iteratorImlEEZNS1_24adjacent_difference_implIS3_Lb1ELb0EPlSB_N6thrust23THRUST_200600_302600_NS5minusIlEEEE10hipError_tPvRmT2_T3_mT4_P12ihipStream_tbEUlmE_lEESB_NS0_8identityIvEEEESG_SJ_SK_mSL_SN_bEUlT_E_NS1_11comp_targetILNS1_3genE10ELNS1_11target_archE1201ELNS1_3gpuE5ELNS1_3repE0EEENS1_30default_config_static_selectorELNS0_4arch9wavefront6targetE0EEEvT1_: ; @_ZN7rocprim17ROCPRIM_400000_NS6detail17trampoline_kernelINS0_14default_configENS1_25transform_config_selectorIlLb0EEEZNS1_14transform_implILb0ES3_S5_NS0_18transform_iteratorINS0_17counting_iteratorImlEEZNS1_24adjacent_difference_implIS3_Lb1ELb0EPlSB_N6thrust23THRUST_200600_302600_NS5minusIlEEEE10hipError_tPvRmT2_T3_mT4_P12ihipStream_tbEUlmE_lEESB_NS0_8identityIvEEEESG_SJ_SK_mSL_SN_bEUlT_E_NS1_11comp_targetILNS1_3genE10ELNS1_11target_archE1201ELNS1_3gpuE5ELNS1_3repE0EEENS1_30default_config_static_selectorELNS0_4arch9wavefront6targetE0EEEvT1_
; %bb.0:
	.section	.rodata,"a",@progbits
	.p2align	6, 0x0
	.amdhsa_kernel _ZN7rocprim17ROCPRIM_400000_NS6detail17trampoline_kernelINS0_14default_configENS1_25transform_config_selectorIlLb0EEEZNS1_14transform_implILb0ES3_S5_NS0_18transform_iteratorINS0_17counting_iteratorImlEEZNS1_24adjacent_difference_implIS3_Lb1ELb0EPlSB_N6thrust23THRUST_200600_302600_NS5minusIlEEEE10hipError_tPvRmT2_T3_mT4_P12ihipStream_tbEUlmE_lEESB_NS0_8identityIvEEEESG_SJ_SK_mSL_SN_bEUlT_E_NS1_11comp_targetILNS1_3genE10ELNS1_11target_archE1201ELNS1_3gpuE5ELNS1_3repE0EEENS1_30default_config_static_selectorELNS0_4arch9wavefront6targetE0EEEvT1_
		.amdhsa_group_segment_fixed_size 0
		.amdhsa_private_segment_fixed_size 0
		.amdhsa_kernarg_size 56
		.amdhsa_user_sgpr_count 2
		.amdhsa_user_sgpr_dispatch_ptr 0
		.amdhsa_user_sgpr_queue_ptr 0
		.amdhsa_user_sgpr_kernarg_segment_ptr 1
		.amdhsa_user_sgpr_dispatch_id 0
		.amdhsa_user_sgpr_kernarg_preload_length 0
		.amdhsa_user_sgpr_kernarg_preload_offset 0
		.amdhsa_user_sgpr_private_segment_size 0
		.amdhsa_wavefront_size32 1
		.amdhsa_uses_dynamic_stack 0
		.amdhsa_enable_private_segment 0
		.amdhsa_system_sgpr_workgroup_id_x 1
		.amdhsa_system_sgpr_workgroup_id_y 0
		.amdhsa_system_sgpr_workgroup_id_z 0
		.amdhsa_system_sgpr_workgroup_info 0
		.amdhsa_system_vgpr_workitem_id 0
		.amdhsa_next_free_vgpr 1
		.amdhsa_next_free_sgpr 1
		.amdhsa_named_barrier_count 0
		.amdhsa_reserve_vcc 0
		.amdhsa_float_round_mode_32 0
		.amdhsa_float_round_mode_16_64 0
		.amdhsa_float_denorm_mode_32 3
		.amdhsa_float_denorm_mode_16_64 3
		.amdhsa_fp16_overflow 0
		.amdhsa_memory_ordered 1
		.amdhsa_forward_progress 1
		.amdhsa_inst_pref_size 0
		.amdhsa_round_robin_scheduling 0
		.amdhsa_exception_fp_ieee_invalid_op 0
		.amdhsa_exception_fp_denorm_src 0
		.amdhsa_exception_fp_ieee_div_zero 0
		.amdhsa_exception_fp_ieee_overflow 0
		.amdhsa_exception_fp_ieee_underflow 0
		.amdhsa_exception_fp_ieee_inexact 0
		.amdhsa_exception_int_div_zero 0
	.end_amdhsa_kernel
	.section	.text._ZN7rocprim17ROCPRIM_400000_NS6detail17trampoline_kernelINS0_14default_configENS1_25transform_config_selectorIlLb0EEEZNS1_14transform_implILb0ES3_S5_NS0_18transform_iteratorINS0_17counting_iteratorImlEEZNS1_24adjacent_difference_implIS3_Lb1ELb0EPlSB_N6thrust23THRUST_200600_302600_NS5minusIlEEEE10hipError_tPvRmT2_T3_mT4_P12ihipStream_tbEUlmE_lEESB_NS0_8identityIvEEEESG_SJ_SK_mSL_SN_bEUlT_E_NS1_11comp_targetILNS1_3genE10ELNS1_11target_archE1201ELNS1_3gpuE5ELNS1_3repE0EEENS1_30default_config_static_selectorELNS0_4arch9wavefront6targetE0EEEvT1_,"axG",@progbits,_ZN7rocprim17ROCPRIM_400000_NS6detail17trampoline_kernelINS0_14default_configENS1_25transform_config_selectorIlLb0EEEZNS1_14transform_implILb0ES3_S5_NS0_18transform_iteratorINS0_17counting_iteratorImlEEZNS1_24adjacent_difference_implIS3_Lb1ELb0EPlSB_N6thrust23THRUST_200600_302600_NS5minusIlEEEE10hipError_tPvRmT2_T3_mT4_P12ihipStream_tbEUlmE_lEESB_NS0_8identityIvEEEESG_SJ_SK_mSL_SN_bEUlT_E_NS1_11comp_targetILNS1_3genE10ELNS1_11target_archE1201ELNS1_3gpuE5ELNS1_3repE0EEENS1_30default_config_static_selectorELNS0_4arch9wavefront6targetE0EEEvT1_,comdat
.Lfunc_end249:
	.size	_ZN7rocprim17ROCPRIM_400000_NS6detail17trampoline_kernelINS0_14default_configENS1_25transform_config_selectorIlLb0EEEZNS1_14transform_implILb0ES3_S5_NS0_18transform_iteratorINS0_17counting_iteratorImlEEZNS1_24adjacent_difference_implIS3_Lb1ELb0EPlSB_N6thrust23THRUST_200600_302600_NS5minusIlEEEE10hipError_tPvRmT2_T3_mT4_P12ihipStream_tbEUlmE_lEESB_NS0_8identityIvEEEESG_SJ_SK_mSL_SN_bEUlT_E_NS1_11comp_targetILNS1_3genE10ELNS1_11target_archE1201ELNS1_3gpuE5ELNS1_3repE0EEENS1_30default_config_static_selectorELNS0_4arch9wavefront6targetE0EEEvT1_, .Lfunc_end249-_ZN7rocprim17ROCPRIM_400000_NS6detail17trampoline_kernelINS0_14default_configENS1_25transform_config_selectorIlLb0EEEZNS1_14transform_implILb0ES3_S5_NS0_18transform_iteratorINS0_17counting_iteratorImlEEZNS1_24adjacent_difference_implIS3_Lb1ELb0EPlSB_N6thrust23THRUST_200600_302600_NS5minusIlEEEE10hipError_tPvRmT2_T3_mT4_P12ihipStream_tbEUlmE_lEESB_NS0_8identityIvEEEESG_SJ_SK_mSL_SN_bEUlT_E_NS1_11comp_targetILNS1_3genE10ELNS1_11target_archE1201ELNS1_3gpuE5ELNS1_3repE0EEENS1_30default_config_static_selectorELNS0_4arch9wavefront6targetE0EEEvT1_
                                        ; -- End function
	.set _ZN7rocprim17ROCPRIM_400000_NS6detail17trampoline_kernelINS0_14default_configENS1_25transform_config_selectorIlLb0EEEZNS1_14transform_implILb0ES3_S5_NS0_18transform_iteratorINS0_17counting_iteratorImlEEZNS1_24adjacent_difference_implIS3_Lb1ELb0EPlSB_N6thrust23THRUST_200600_302600_NS5minusIlEEEE10hipError_tPvRmT2_T3_mT4_P12ihipStream_tbEUlmE_lEESB_NS0_8identityIvEEEESG_SJ_SK_mSL_SN_bEUlT_E_NS1_11comp_targetILNS1_3genE10ELNS1_11target_archE1201ELNS1_3gpuE5ELNS1_3repE0EEENS1_30default_config_static_selectorELNS0_4arch9wavefront6targetE0EEEvT1_.num_vgpr, 0
	.set _ZN7rocprim17ROCPRIM_400000_NS6detail17trampoline_kernelINS0_14default_configENS1_25transform_config_selectorIlLb0EEEZNS1_14transform_implILb0ES3_S5_NS0_18transform_iteratorINS0_17counting_iteratorImlEEZNS1_24adjacent_difference_implIS3_Lb1ELb0EPlSB_N6thrust23THRUST_200600_302600_NS5minusIlEEEE10hipError_tPvRmT2_T3_mT4_P12ihipStream_tbEUlmE_lEESB_NS0_8identityIvEEEESG_SJ_SK_mSL_SN_bEUlT_E_NS1_11comp_targetILNS1_3genE10ELNS1_11target_archE1201ELNS1_3gpuE5ELNS1_3repE0EEENS1_30default_config_static_selectorELNS0_4arch9wavefront6targetE0EEEvT1_.num_agpr, 0
	.set _ZN7rocprim17ROCPRIM_400000_NS6detail17trampoline_kernelINS0_14default_configENS1_25transform_config_selectorIlLb0EEEZNS1_14transform_implILb0ES3_S5_NS0_18transform_iteratorINS0_17counting_iteratorImlEEZNS1_24adjacent_difference_implIS3_Lb1ELb0EPlSB_N6thrust23THRUST_200600_302600_NS5minusIlEEEE10hipError_tPvRmT2_T3_mT4_P12ihipStream_tbEUlmE_lEESB_NS0_8identityIvEEEESG_SJ_SK_mSL_SN_bEUlT_E_NS1_11comp_targetILNS1_3genE10ELNS1_11target_archE1201ELNS1_3gpuE5ELNS1_3repE0EEENS1_30default_config_static_selectorELNS0_4arch9wavefront6targetE0EEEvT1_.numbered_sgpr, 0
	.set _ZN7rocprim17ROCPRIM_400000_NS6detail17trampoline_kernelINS0_14default_configENS1_25transform_config_selectorIlLb0EEEZNS1_14transform_implILb0ES3_S5_NS0_18transform_iteratorINS0_17counting_iteratorImlEEZNS1_24adjacent_difference_implIS3_Lb1ELb0EPlSB_N6thrust23THRUST_200600_302600_NS5minusIlEEEE10hipError_tPvRmT2_T3_mT4_P12ihipStream_tbEUlmE_lEESB_NS0_8identityIvEEEESG_SJ_SK_mSL_SN_bEUlT_E_NS1_11comp_targetILNS1_3genE10ELNS1_11target_archE1201ELNS1_3gpuE5ELNS1_3repE0EEENS1_30default_config_static_selectorELNS0_4arch9wavefront6targetE0EEEvT1_.num_named_barrier, 0
	.set _ZN7rocprim17ROCPRIM_400000_NS6detail17trampoline_kernelINS0_14default_configENS1_25transform_config_selectorIlLb0EEEZNS1_14transform_implILb0ES3_S5_NS0_18transform_iteratorINS0_17counting_iteratorImlEEZNS1_24adjacent_difference_implIS3_Lb1ELb0EPlSB_N6thrust23THRUST_200600_302600_NS5minusIlEEEE10hipError_tPvRmT2_T3_mT4_P12ihipStream_tbEUlmE_lEESB_NS0_8identityIvEEEESG_SJ_SK_mSL_SN_bEUlT_E_NS1_11comp_targetILNS1_3genE10ELNS1_11target_archE1201ELNS1_3gpuE5ELNS1_3repE0EEENS1_30default_config_static_selectorELNS0_4arch9wavefront6targetE0EEEvT1_.private_seg_size, 0
	.set _ZN7rocprim17ROCPRIM_400000_NS6detail17trampoline_kernelINS0_14default_configENS1_25transform_config_selectorIlLb0EEEZNS1_14transform_implILb0ES3_S5_NS0_18transform_iteratorINS0_17counting_iteratorImlEEZNS1_24adjacent_difference_implIS3_Lb1ELb0EPlSB_N6thrust23THRUST_200600_302600_NS5minusIlEEEE10hipError_tPvRmT2_T3_mT4_P12ihipStream_tbEUlmE_lEESB_NS0_8identityIvEEEESG_SJ_SK_mSL_SN_bEUlT_E_NS1_11comp_targetILNS1_3genE10ELNS1_11target_archE1201ELNS1_3gpuE5ELNS1_3repE0EEENS1_30default_config_static_selectorELNS0_4arch9wavefront6targetE0EEEvT1_.uses_vcc, 0
	.set _ZN7rocprim17ROCPRIM_400000_NS6detail17trampoline_kernelINS0_14default_configENS1_25transform_config_selectorIlLb0EEEZNS1_14transform_implILb0ES3_S5_NS0_18transform_iteratorINS0_17counting_iteratorImlEEZNS1_24adjacent_difference_implIS3_Lb1ELb0EPlSB_N6thrust23THRUST_200600_302600_NS5minusIlEEEE10hipError_tPvRmT2_T3_mT4_P12ihipStream_tbEUlmE_lEESB_NS0_8identityIvEEEESG_SJ_SK_mSL_SN_bEUlT_E_NS1_11comp_targetILNS1_3genE10ELNS1_11target_archE1201ELNS1_3gpuE5ELNS1_3repE0EEENS1_30default_config_static_selectorELNS0_4arch9wavefront6targetE0EEEvT1_.uses_flat_scratch, 0
	.set _ZN7rocprim17ROCPRIM_400000_NS6detail17trampoline_kernelINS0_14default_configENS1_25transform_config_selectorIlLb0EEEZNS1_14transform_implILb0ES3_S5_NS0_18transform_iteratorINS0_17counting_iteratorImlEEZNS1_24adjacent_difference_implIS3_Lb1ELb0EPlSB_N6thrust23THRUST_200600_302600_NS5minusIlEEEE10hipError_tPvRmT2_T3_mT4_P12ihipStream_tbEUlmE_lEESB_NS0_8identityIvEEEESG_SJ_SK_mSL_SN_bEUlT_E_NS1_11comp_targetILNS1_3genE10ELNS1_11target_archE1201ELNS1_3gpuE5ELNS1_3repE0EEENS1_30default_config_static_selectorELNS0_4arch9wavefront6targetE0EEEvT1_.has_dyn_sized_stack, 0
	.set _ZN7rocprim17ROCPRIM_400000_NS6detail17trampoline_kernelINS0_14default_configENS1_25transform_config_selectorIlLb0EEEZNS1_14transform_implILb0ES3_S5_NS0_18transform_iteratorINS0_17counting_iteratorImlEEZNS1_24adjacent_difference_implIS3_Lb1ELb0EPlSB_N6thrust23THRUST_200600_302600_NS5minusIlEEEE10hipError_tPvRmT2_T3_mT4_P12ihipStream_tbEUlmE_lEESB_NS0_8identityIvEEEESG_SJ_SK_mSL_SN_bEUlT_E_NS1_11comp_targetILNS1_3genE10ELNS1_11target_archE1201ELNS1_3gpuE5ELNS1_3repE0EEENS1_30default_config_static_selectorELNS0_4arch9wavefront6targetE0EEEvT1_.has_recursion, 0
	.set _ZN7rocprim17ROCPRIM_400000_NS6detail17trampoline_kernelINS0_14default_configENS1_25transform_config_selectorIlLb0EEEZNS1_14transform_implILb0ES3_S5_NS0_18transform_iteratorINS0_17counting_iteratorImlEEZNS1_24adjacent_difference_implIS3_Lb1ELb0EPlSB_N6thrust23THRUST_200600_302600_NS5minusIlEEEE10hipError_tPvRmT2_T3_mT4_P12ihipStream_tbEUlmE_lEESB_NS0_8identityIvEEEESG_SJ_SK_mSL_SN_bEUlT_E_NS1_11comp_targetILNS1_3genE10ELNS1_11target_archE1201ELNS1_3gpuE5ELNS1_3repE0EEENS1_30default_config_static_selectorELNS0_4arch9wavefront6targetE0EEEvT1_.has_indirect_call, 0
	.section	.AMDGPU.csdata,"",@progbits
; Kernel info:
; codeLenInByte = 0
; TotalNumSgprs: 0
; NumVgprs: 0
; ScratchSize: 0
; MemoryBound: 0
; FloatMode: 240
; IeeeMode: 1
; LDSByteSize: 0 bytes/workgroup (compile time only)
; SGPRBlocks: 0
; VGPRBlocks: 0
; NumSGPRsForWavesPerEU: 1
; NumVGPRsForWavesPerEU: 1
; NamedBarCnt: 0
; Occupancy: 16
; WaveLimiterHint : 0
; COMPUTE_PGM_RSRC2:SCRATCH_EN: 0
; COMPUTE_PGM_RSRC2:USER_SGPR: 2
; COMPUTE_PGM_RSRC2:TRAP_HANDLER: 0
; COMPUTE_PGM_RSRC2:TGID_X_EN: 1
; COMPUTE_PGM_RSRC2:TGID_Y_EN: 0
; COMPUTE_PGM_RSRC2:TGID_Z_EN: 0
; COMPUTE_PGM_RSRC2:TIDIG_COMP_CNT: 0
	.section	.text._ZN7rocprim17ROCPRIM_400000_NS6detail17trampoline_kernelINS0_14default_configENS1_25transform_config_selectorIlLb0EEEZNS1_14transform_implILb0ES3_S5_NS0_18transform_iteratorINS0_17counting_iteratorImlEEZNS1_24adjacent_difference_implIS3_Lb1ELb0EPlSB_N6thrust23THRUST_200600_302600_NS5minusIlEEEE10hipError_tPvRmT2_T3_mT4_P12ihipStream_tbEUlmE_lEESB_NS0_8identityIvEEEESG_SJ_SK_mSL_SN_bEUlT_E_NS1_11comp_targetILNS1_3genE10ELNS1_11target_archE1200ELNS1_3gpuE4ELNS1_3repE0EEENS1_30default_config_static_selectorELNS0_4arch9wavefront6targetE0EEEvT1_,"axG",@progbits,_ZN7rocprim17ROCPRIM_400000_NS6detail17trampoline_kernelINS0_14default_configENS1_25transform_config_selectorIlLb0EEEZNS1_14transform_implILb0ES3_S5_NS0_18transform_iteratorINS0_17counting_iteratorImlEEZNS1_24adjacent_difference_implIS3_Lb1ELb0EPlSB_N6thrust23THRUST_200600_302600_NS5minusIlEEEE10hipError_tPvRmT2_T3_mT4_P12ihipStream_tbEUlmE_lEESB_NS0_8identityIvEEEESG_SJ_SK_mSL_SN_bEUlT_E_NS1_11comp_targetILNS1_3genE10ELNS1_11target_archE1200ELNS1_3gpuE4ELNS1_3repE0EEENS1_30default_config_static_selectorELNS0_4arch9wavefront6targetE0EEEvT1_,comdat
	.protected	_ZN7rocprim17ROCPRIM_400000_NS6detail17trampoline_kernelINS0_14default_configENS1_25transform_config_selectorIlLb0EEEZNS1_14transform_implILb0ES3_S5_NS0_18transform_iteratorINS0_17counting_iteratorImlEEZNS1_24adjacent_difference_implIS3_Lb1ELb0EPlSB_N6thrust23THRUST_200600_302600_NS5minusIlEEEE10hipError_tPvRmT2_T3_mT4_P12ihipStream_tbEUlmE_lEESB_NS0_8identityIvEEEESG_SJ_SK_mSL_SN_bEUlT_E_NS1_11comp_targetILNS1_3genE10ELNS1_11target_archE1200ELNS1_3gpuE4ELNS1_3repE0EEENS1_30default_config_static_selectorELNS0_4arch9wavefront6targetE0EEEvT1_ ; -- Begin function _ZN7rocprim17ROCPRIM_400000_NS6detail17trampoline_kernelINS0_14default_configENS1_25transform_config_selectorIlLb0EEEZNS1_14transform_implILb0ES3_S5_NS0_18transform_iteratorINS0_17counting_iteratorImlEEZNS1_24adjacent_difference_implIS3_Lb1ELb0EPlSB_N6thrust23THRUST_200600_302600_NS5minusIlEEEE10hipError_tPvRmT2_T3_mT4_P12ihipStream_tbEUlmE_lEESB_NS0_8identityIvEEEESG_SJ_SK_mSL_SN_bEUlT_E_NS1_11comp_targetILNS1_3genE10ELNS1_11target_archE1200ELNS1_3gpuE4ELNS1_3repE0EEENS1_30default_config_static_selectorELNS0_4arch9wavefront6targetE0EEEvT1_
	.globl	_ZN7rocprim17ROCPRIM_400000_NS6detail17trampoline_kernelINS0_14default_configENS1_25transform_config_selectorIlLb0EEEZNS1_14transform_implILb0ES3_S5_NS0_18transform_iteratorINS0_17counting_iteratorImlEEZNS1_24adjacent_difference_implIS3_Lb1ELb0EPlSB_N6thrust23THRUST_200600_302600_NS5minusIlEEEE10hipError_tPvRmT2_T3_mT4_P12ihipStream_tbEUlmE_lEESB_NS0_8identityIvEEEESG_SJ_SK_mSL_SN_bEUlT_E_NS1_11comp_targetILNS1_3genE10ELNS1_11target_archE1200ELNS1_3gpuE4ELNS1_3repE0EEENS1_30default_config_static_selectorELNS0_4arch9wavefront6targetE0EEEvT1_
	.p2align	8
	.type	_ZN7rocprim17ROCPRIM_400000_NS6detail17trampoline_kernelINS0_14default_configENS1_25transform_config_selectorIlLb0EEEZNS1_14transform_implILb0ES3_S5_NS0_18transform_iteratorINS0_17counting_iteratorImlEEZNS1_24adjacent_difference_implIS3_Lb1ELb0EPlSB_N6thrust23THRUST_200600_302600_NS5minusIlEEEE10hipError_tPvRmT2_T3_mT4_P12ihipStream_tbEUlmE_lEESB_NS0_8identityIvEEEESG_SJ_SK_mSL_SN_bEUlT_E_NS1_11comp_targetILNS1_3genE10ELNS1_11target_archE1200ELNS1_3gpuE4ELNS1_3repE0EEENS1_30default_config_static_selectorELNS0_4arch9wavefront6targetE0EEEvT1_,@function
_ZN7rocprim17ROCPRIM_400000_NS6detail17trampoline_kernelINS0_14default_configENS1_25transform_config_selectorIlLb0EEEZNS1_14transform_implILb0ES3_S5_NS0_18transform_iteratorINS0_17counting_iteratorImlEEZNS1_24adjacent_difference_implIS3_Lb1ELb0EPlSB_N6thrust23THRUST_200600_302600_NS5minusIlEEEE10hipError_tPvRmT2_T3_mT4_P12ihipStream_tbEUlmE_lEESB_NS0_8identityIvEEEESG_SJ_SK_mSL_SN_bEUlT_E_NS1_11comp_targetILNS1_3genE10ELNS1_11target_archE1200ELNS1_3gpuE4ELNS1_3repE0EEENS1_30default_config_static_selectorELNS0_4arch9wavefront6targetE0EEEvT1_: ; @_ZN7rocprim17ROCPRIM_400000_NS6detail17trampoline_kernelINS0_14default_configENS1_25transform_config_selectorIlLb0EEEZNS1_14transform_implILb0ES3_S5_NS0_18transform_iteratorINS0_17counting_iteratorImlEEZNS1_24adjacent_difference_implIS3_Lb1ELb0EPlSB_N6thrust23THRUST_200600_302600_NS5minusIlEEEE10hipError_tPvRmT2_T3_mT4_P12ihipStream_tbEUlmE_lEESB_NS0_8identityIvEEEESG_SJ_SK_mSL_SN_bEUlT_E_NS1_11comp_targetILNS1_3genE10ELNS1_11target_archE1200ELNS1_3gpuE4ELNS1_3repE0EEENS1_30default_config_static_selectorELNS0_4arch9wavefront6targetE0EEEvT1_
; %bb.0:
	.section	.rodata,"a",@progbits
	.p2align	6, 0x0
	.amdhsa_kernel _ZN7rocprim17ROCPRIM_400000_NS6detail17trampoline_kernelINS0_14default_configENS1_25transform_config_selectorIlLb0EEEZNS1_14transform_implILb0ES3_S5_NS0_18transform_iteratorINS0_17counting_iteratorImlEEZNS1_24adjacent_difference_implIS3_Lb1ELb0EPlSB_N6thrust23THRUST_200600_302600_NS5minusIlEEEE10hipError_tPvRmT2_T3_mT4_P12ihipStream_tbEUlmE_lEESB_NS0_8identityIvEEEESG_SJ_SK_mSL_SN_bEUlT_E_NS1_11comp_targetILNS1_3genE10ELNS1_11target_archE1200ELNS1_3gpuE4ELNS1_3repE0EEENS1_30default_config_static_selectorELNS0_4arch9wavefront6targetE0EEEvT1_
		.amdhsa_group_segment_fixed_size 0
		.amdhsa_private_segment_fixed_size 0
		.amdhsa_kernarg_size 56
		.amdhsa_user_sgpr_count 2
		.amdhsa_user_sgpr_dispatch_ptr 0
		.amdhsa_user_sgpr_queue_ptr 0
		.amdhsa_user_sgpr_kernarg_segment_ptr 1
		.amdhsa_user_sgpr_dispatch_id 0
		.amdhsa_user_sgpr_kernarg_preload_length 0
		.amdhsa_user_sgpr_kernarg_preload_offset 0
		.amdhsa_user_sgpr_private_segment_size 0
		.amdhsa_wavefront_size32 1
		.amdhsa_uses_dynamic_stack 0
		.amdhsa_enable_private_segment 0
		.amdhsa_system_sgpr_workgroup_id_x 1
		.amdhsa_system_sgpr_workgroup_id_y 0
		.amdhsa_system_sgpr_workgroup_id_z 0
		.amdhsa_system_sgpr_workgroup_info 0
		.amdhsa_system_vgpr_workitem_id 0
		.amdhsa_next_free_vgpr 1
		.amdhsa_next_free_sgpr 1
		.amdhsa_named_barrier_count 0
		.amdhsa_reserve_vcc 0
		.amdhsa_float_round_mode_32 0
		.amdhsa_float_round_mode_16_64 0
		.amdhsa_float_denorm_mode_32 3
		.amdhsa_float_denorm_mode_16_64 3
		.amdhsa_fp16_overflow 0
		.amdhsa_memory_ordered 1
		.amdhsa_forward_progress 1
		.amdhsa_inst_pref_size 0
		.amdhsa_round_robin_scheduling 0
		.amdhsa_exception_fp_ieee_invalid_op 0
		.amdhsa_exception_fp_denorm_src 0
		.amdhsa_exception_fp_ieee_div_zero 0
		.amdhsa_exception_fp_ieee_overflow 0
		.amdhsa_exception_fp_ieee_underflow 0
		.amdhsa_exception_fp_ieee_inexact 0
		.amdhsa_exception_int_div_zero 0
	.end_amdhsa_kernel
	.section	.text._ZN7rocprim17ROCPRIM_400000_NS6detail17trampoline_kernelINS0_14default_configENS1_25transform_config_selectorIlLb0EEEZNS1_14transform_implILb0ES3_S5_NS0_18transform_iteratorINS0_17counting_iteratorImlEEZNS1_24adjacent_difference_implIS3_Lb1ELb0EPlSB_N6thrust23THRUST_200600_302600_NS5minusIlEEEE10hipError_tPvRmT2_T3_mT4_P12ihipStream_tbEUlmE_lEESB_NS0_8identityIvEEEESG_SJ_SK_mSL_SN_bEUlT_E_NS1_11comp_targetILNS1_3genE10ELNS1_11target_archE1200ELNS1_3gpuE4ELNS1_3repE0EEENS1_30default_config_static_selectorELNS0_4arch9wavefront6targetE0EEEvT1_,"axG",@progbits,_ZN7rocprim17ROCPRIM_400000_NS6detail17trampoline_kernelINS0_14default_configENS1_25transform_config_selectorIlLb0EEEZNS1_14transform_implILb0ES3_S5_NS0_18transform_iteratorINS0_17counting_iteratorImlEEZNS1_24adjacent_difference_implIS3_Lb1ELb0EPlSB_N6thrust23THRUST_200600_302600_NS5minusIlEEEE10hipError_tPvRmT2_T3_mT4_P12ihipStream_tbEUlmE_lEESB_NS0_8identityIvEEEESG_SJ_SK_mSL_SN_bEUlT_E_NS1_11comp_targetILNS1_3genE10ELNS1_11target_archE1200ELNS1_3gpuE4ELNS1_3repE0EEENS1_30default_config_static_selectorELNS0_4arch9wavefront6targetE0EEEvT1_,comdat
.Lfunc_end250:
	.size	_ZN7rocprim17ROCPRIM_400000_NS6detail17trampoline_kernelINS0_14default_configENS1_25transform_config_selectorIlLb0EEEZNS1_14transform_implILb0ES3_S5_NS0_18transform_iteratorINS0_17counting_iteratorImlEEZNS1_24adjacent_difference_implIS3_Lb1ELb0EPlSB_N6thrust23THRUST_200600_302600_NS5minusIlEEEE10hipError_tPvRmT2_T3_mT4_P12ihipStream_tbEUlmE_lEESB_NS0_8identityIvEEEESG_SJ_SK_mSL_SN_bEUlT_E_NS1_11comp_targetILNS1_3genE10ELNS1_11target_archE1200ELNS1_3gpuE4ELNS1_3repE0EEENS1_30default_config_static_selectorELNS0_4arch9wavefront6targetE0EEEvT1_, .Lfunc_end250-_ZN7rocprim17ROCPRIM_400000_NS6detail17trampoline_kernelINS0_14default_configENS1_25transform_config_selectorIlLb0EEEZNS1_14transform_implILb0ES3_S5_NS0_18transform_iteratorINS0_17counting_iteratorImlEEZNS1_24adjacent_difference_implIS3_Lb1ELb0EPlSB_N6thrust23THRUST_200600_302600_NS5minusIlEEEE10hipError_tPvRmT2_T3_mT4_P12ihipStream_tbEUlmE_lEESB_NS0_8identityIvEEEESG_SJ_SK_mSL_SN_bEUlT_E_NS1_11comp_targetILNS1_3genE10ELNS1_11target_archE1200ELNS1_3gpuE4ELNS1_3repE0EEENS1_30default_config_static_selectorELNS0_4arch9wavefront6targetE0EEEvT1_
                                        ; -- End function
	.set _ZN7rocprim17ROCPRIM_400000_NS6detail17trampoline_kernelINS0_14default_configENS1_25transform_config_selectorIlLb0EEEZNS1_14transform_implILb0ES3_S5_NS0_18transform_iteratorINS0_17counting_iteratorImlEEZNS1_24adjacent_difference_implIS3_Lb1ELb0EPlSB_N6thrust23THRUST_200600_302600_NS5minusIlEEEE10hipError_tPvRmT2_T3_mT4_P12ihipStream_tbEUlmE_lEESB_NS0_8identityIvEEEESG_SJ_SK_mSL_SN_bEUlT_E_NS1_11comp_targetILNS1_3genE10ELNS1_11target_archE1200ELNS1_3gpuE4ELNS1_3repE0EEENS1_30default_config_static_selectorELNS0_4arch9wavefront6targetE0EEEvT1_.num_vgpr, 0
	.set _ZN7rocprim17ROCPRIM_400000_NS6detail17trampoline_kernelINS0_14default_configENS1_25transform_config_selectorIlLb0EEEZNS1_14transform_implILb0ES3_S5_NS0_18transform_iteratorINS0_17counting_iteratorImlEEZNS1_24adjacent_difference_implIS3_Lb1ELb0EPlSB_N6thrust23THRUST_200600_302600_NS5minusIlEEEE10hipError_tPvRmT2_T3_mT4_P12ihipStream_tbEUlmE_lEESB_NS0_8identityIvEEEESG_SJ_SK_mSL_SN_bEUlT_E_NS1_11comp_targetILNS1_3genE10ELNS1_11target_archE1200ELNS1_3gpuE4ELNS1_3repE0EEENS1_30default_config_static_selectorELNS0_4arch9wavefront6targetE0EEEvT1_.num_agpr, 0
	.set _ZN7rocprim17ROCPRIM_400000_NS6detail17trampoline_kernelINS0_14default_configENS1_25transform_config_selectorIlLb0EEEZNS1_14transform_implILb0ES3_S5_NS0_18transform_iteratorINS0_17counting_iteratorImlEEZNS1_24adjacent_difference_implIS3_Lb1ELb0EPlSB_N6thrust23THRUST_200600_302600_NS5minusIlEEEE10hipError_tPvRmT2_T3_mT4_P12ihipStream_tbEUlmE_lEESB_NS0_8identityIvEEEESG_SJ_SK_mSL_SN_bEUlT_E_NS1_11comp_targetILNS1_3genE10ELNS1_11target_archE1200ELNS1_3gpuE4ELNS1_3repE0EEENS1_30default_config_static_selectorELNS0_4arch9wavefront6targetE0EEEvT1_.numbered_sgpr, 0
	.set _ZN7rocprim17ROCPRIM_400000_NS6detail17trampoline_kernelINS0_14default_configENS1_25transform_config_selectorIlLb0EEEZNS1_14transform_implILb0ES3_S5_NS0_18transform_iteratorINS0_17counting_iteratorImlEEZNS1_24adjacent_difference_implIS3_Lb1ELb0EPlSB_N6thrust23THRUST_200600_302600_NS5minusIlEEEE10hipError_tPvRmT2_T3_mT4_P12ihipStream_tbEUlmE_lEESB_NS0_8identityIvEEEESG_SJ_SK_mSL_SN_bEUlT_E_NS1_11comp_targetILNS1_3genE10ELNS1_11target_archE1200ELNS1_3gpuE4ELNS1_3repE0EEENS1_30default_config_static_selectorELNS0_4arch9wavefront6targetE0EEEvT1_.num_named_barrier, 0
	.set _ZN7rocprim17ROCPRIM_400000_NS6detail17trampoline_kernelINS0_14default_configENS1_25transform_config_selectorIlLb0EEEZNS1_14transform_implILb0ES3_S5_NS0_18transform_iteratorINS0_17counting_iteratorImlEEZNS1_24adjacent_difference_implIS3_Lb1ELb0EPlSB_N6thrust23THRUST_200600_302600_NS5minusIlEEEE10hipError_tPvRmT2_T3_mT4_P12ihipStream_tbEUlmE_lEESB_NS0_8identityIvEEEESG_SJ_SK_mSL_SN_bEUlT_E_NS1_11comp_targetILNS1_3genE10ELNS1_11target_archE1200ELNS1_3gpuE4ELNS1_3repE0EEENS1_30default_config_static_selectorELNS0_4arch9wavefront6targetE0EEEvT1_.private_seg_size, 0
	.set _ZN7rocprim17ROCPRIM_400000_NS6detail17trampoline_kernelINS0_14default_configENS1_25transform_config_selectorIlLb0EEEZNS1_14transform_implILb0ES3_S5_NS0_18transform_iteratorINS0_17counting_iteratorImlEEZNS1_24adjacent_difference_implIS3_Lb1ELb0EPlSB_N6thrust23THRUST_200600_302600_NS5minusIlEEEE10hipError_tPvRmT2_T3_mT4_P12ihipStream_tbEUlmE_lEESB_NS0_8identityIvEEEESG_SJ_SK_mSL_SN_bEUlT_E_NS1_11comp_targetILNS1_3genE10ELNS1_11target_archE1200ELNS1_3gpuE4ELNS1_3repE0EEENS1_30default_config_static_selectorELNS0_4arch9wavefront6targetE0EEEvT1_.uses_vcc, 0
	.set _ZN7rocprim17ROCPRIM_400000_NS6detail17trampoline_kernelINS0_14default_configENS1_25transform_config_selectorIlLb0EEEZNS1_14transform_implILb0ES3_S5_NS0_18transform_iteratorINS0_17counting_iteratorImlEEZNS1_24adjacent_difference_implIS3_Lb1ELb0EPlSB_N6thrust23THRUST_200600_302600_NS5minusIlEEEE10hipError_tPvRmT2_T3_mT4_P12ihipStream_tbEUlmE_lEESB_NS0_8identityIvEEEESG_SJ_SK_mSL_SN_bEUlT_E_NS1_11comp_targetILNS1_3genE10ELNS1_11target_archE1200ELNS1_3gpuE4ELNS1_3repE0EEENS1_30default_config_static_selectorELNS0_4arch9wavefront6targetE0EEEvT1_.uses_flat_scratch, 0
	.set _ZN7rocprim17ROCPRIM_400000_NS6detail17trampoline_kernelINS0_14default_configENS1_25transform_config_selectorIlLb0EEEZNS1_14transform_implILb0ES3_S5_NS0_18transform_iteratorINS0_17counting_iteratorImlEEZNS1_24adjacent_difference_implIS3_Lb1ELb0EPlSB_N6thrust23THRUST_200600_302600_NS5minusIlEEEE10hipError_tPvRmT2_T3_mT4_P12ihipStream_tbEUlmE_lEESB_NS0_8identityIvEEEESG_SJ_SK_mSL_SN_bEUlT_E_NS1_11comp_targetILNS1_3genE10ELNS1_11target_archE1200ELNS1_3gpuE4ELNS1_3repE0EEENS1_30default_config_static_selectorELNS0_4arch9wavefront6targetE0EEEvT1_.has_dyn_sized_stack, 0
	.set _ZN7rocprim17ROCPRIM_400000_NS6detail17trampoline_kernelINS0_14default_configENS1_25transform_config_selectorIlLb0EEEZNS1_14transform_implILb0ES3_S5_NS0_18transform_iteratorINS0_17counting_iteratorImlEEZNS1_24adjacent_difference_implIS3_Lb1ELb0EPlSB_N6thrust23THRUST_200600_302600_NS5minusIlEEEE10hipError_tPvRmT2_T3_mT4_P12ihipStream_tbEUlmE_lEESB_NS0_8identityIvEEEESG_SJ_SK_mSL_SN_bEUlT_E_NS1_11comp_targetILNS1_3genE10ELNS1_11target_archE1200ELNS1_3gpuE4ELNS1_3repE0EEENS1_30default_config_static_selectorELNS0_4arch9wavefront6targetE0EEEvT1_.has_recursion, 0
	.set _ZN7rocprim17ROCPRIM_400000_NS6detail17trampoline_kernelINS0_14default_configENS1_25transform_config_selectorIlLb0EEEZNS1_14transform_implILb0ES3_S5_NS0_18transform_iteratorINS0_17counting_iteratorImlEEZNS1_24adjacent_difference_implIS3_Lb1ELb0EPlSB_N6thrust23THRUST_200600_302600_NS5minusIlEEEE10hipError_tPvRmT2_T3_mT4_P12ihipStream_tbEUlmE_lEESB_NS0_8identityIvEEEESG_SJ_SK_mSL_SN_bEUlT_E_NS1_11comp_targetILNS1_3genE10ELNS1_11target_archE1200ELNS1_3gpuE4ELNS1_3repE0EEENS1_30default_config_static_selectorELNS0_4arch9wavefront6targetE0EEEvT1_.has_indirect_call, 0
	.section	.AMDGPU.csdata,"",@progbits
; Kernel info:
; codeLenInByte = 0
; TotalNumSgprs: 0
; NumVgprs: 0
; ScratchSize: 0
; MemoryBound: 0
; FloatMode: 240
; IeeeMode: 1
; LDSByteSize: 0 bytes/workgroup (compile time only)
; SGPRBlocks: 0
; VGPRBlocks: 0
; NumSGPRsForWavesPerEU: 1
; NumVGPRsForWavesPerEU: 1
; NamedBarCnt: 0
; Occupancy: 16
; WaveLimiterHint : 0
; COMPUTE_PGM_RSRC2:SCRATCH_EN: 0
; COMPUTE_PGM_RSRC2:USER_SGPR: 2
; COMPUTE_PGM_RSRC2:TRAP_HANDLER: 0
; COMPUTE_PGM_RSRC2:TGID_X_EN: 1
; COMPUTE_PGM_RSRC2:TGID_Y_EN: 0
; COMPUTE_PGM_RSRC2:TGID_Z_EN: 0
; COMPUTE_PGM_RSRC2:TIDIG_COMP_CNT: 0
	.section	.text._ZN7rocprim17ROCPRIM_400000_NS6detail17trampoline_kernelINS0_14default_configENS1_25transform_config_selectorIlLb0EEEZNS1_14transform_implILb0ES3_S5_NS0_18transform_iteratorINS0_17counting_iteratorImlEEZNS1_24adjacent_difference_implIS3_Lb1ELb0EPlSB_N6thrust23THRUST_200600_302600_NS5minusIlEEEE10hipError_tPvRmT2_T3_mT4_P12ihipStream_tbEUlmE_lEESB_NS0_8identityIvEEEESG_SJ_SK_mSL_SN_bEUlT_E_NS1_11comp_targetILNS1_3genE9ELNS1_11target_archE1100ELNS1_3gpuE3ELNS1_3repE0EEENS1_30default_config_static_selectorELNS0_4arch9wavefront6targetE0EEEvT1_,"axG",@progbits,_ZN7rocprim17ROCPRIM_400000_NS6detail17trampoline_kernelINS0_14default_configENS1_25transform_config_selectorIlLb0EEEZNS1_14transform_implILb0ES3_S5_NS0_18transform_iteratorINS0_17counting_iteratorImlEEZNS1_24adjacent_difference_implIS3_Lb1ELb0EPlSB_N6thrust23THRUST_200600_302600_NS5minusIlEEEE10hipError_tPvRmT2_T3_mT4_P12ihipStream_tbEUlmE_lEESB_NS0_8identityIvEEEESG_SJ_SK_mSL_SN_bEUlT_E_NS1_11comp_targetILNS1_3genE9ELNS1_11target_archE1100ELNS1_3gpuE3ELNS1_3repE0EEENS1_30default_config_static_selectorELNS0_4arch9wavefront6targetE0EEEvT1_,comdat
	.protected	_ZN7rocprim17ROCPRIM_400000_NS6detail17trampoline_kernelINS0_14default_configENS1_25transform_config_selectorIlLb0EEEZNS1_14transform_implILb0ES3_S5_NS0_18transform_iteratorINS0_17counting_iteratorImlEEZNS1_24adjacent_difference_implIS3_Lb1ELb0EPlSB_N6thrust23THRUST_200600_302600_NS5minusIlEEEE10hipError_tPvRmT2_T3_mT4_P12ihipStream_tbEUlmE_lEESB_NS0_8identityIvEEEESG_SJ_SK_mSL_SN_bEUlT_E_NS1_11comp_targetILNS1_3genE9ELNS1_11target_archE1100ELNS1_3gpuE3ELNS1_3repE0EEENS1_30default_config_static_selectorELNS0_4arch9wavefront6targetE0EEEvT1_ ; -- Begin function _ZN7rocprim17ROCPRIM_400000_NS6detail17trampoline_kernelINS0_14default_configENS1_25transform_config_selectorIlLb0EEEZNS1_14transform_implILb0ES3_S5_NS0_18transform_iteratorINS0_17counting_iteratorImlEEZNS1_24adjacent_difference_implIS3_Lb1ELb0EPlSB_N6thrust23THRUST_200600_302600_NS5minusIlEEEE10hipError_tPvRmT2_T3_mT4_P12ihipStream_tbEUlmE_lEESB_NS0_8identityIvEEEESG_SJ_SK_mSL_SN_bEUlT_E_NS1_11comp_targetILNS1_3genE9ELNS1_11target_archE1100ELNS1_3gpuE3ELNS1_3repE0EEENS1_30default_config_static_selectorELNS0_4arch9wavefront6targetE0EEEvT1_
	.globl	_ZN7rocprim17ROCPRIM_400000_NS6detail17trampoline_kernelINS0_14default_configENS1_25transform_config_selectorIlLb0EEEZNS1_14transform_implILb0ES3_S5_NS0_18transform_iteratorINS0_17counting_iteratorImlEEZNS1_24adjacent_difference_implIS3_Lb1ELb0EPlSB_N6thrust23THRUST_200600_302600_NS5minusIlEEEE10hipError_tPvRmT2_T3_mT4_P12ihipStream_tbEUlmE_lEESB_NS0_8identityIvEEEESG_SJ_SK_mSL_SN_bEUlT_E_NS1_11comp_targetILNS1_3genE9ELNS1_11target_archE1100ELNS1_3gpuE3ELNS1_3repE0EEENS1_30default_config_static_selectorELNS0_4arch9wavefront6targetE0EEEvT1_
	.p2align	8
	.type	_ZN7rocprim17ROCPRIM_400000_NS6detail17trampoline_kernelINS0_14default_configENS1_25transform_config_selectorIlLb0EEEZNS1_14transform_implILb0ES3_S5_NS0_18transform_iteratorINS0_17counting_iteratorImlEEZNS1_24adjacent_difference_implIS3_Lb1ELb0EPlSB_N6thrust23THRUST_200600_302600_NS5minusIlEEEE10hipError_tPvRmT2_T3_mT4_P12ihipStream_tbEUlmE_lEESB_NS0_8identityIvEEEESG_SJ_SK_mSL_SN_bEUlT_E_NS1_11comp_targetILNS1_3genE9ELNS1_11target_archE1100ELNS1_3gpuE3ELNS1_3repE0EEENS1_30default_config_static_selectorELNS0_4arch9wavefront6targetE0EEEvT1_,@function
_ZN7rocprim17ROCPRIM_400000_NS6detail17trampoline_kernelINS0_14default_configENS1_25transform_config_selectorIlLb0EEEZNS1_14transform_implILb0ES3_S5_NS0_18transform_iteratorINS0_17counting_iteratorImlEEZNS1_24adjacent_difference_implIS3_Lb1ELb0EPlSB_N6thrust23THRUST_200600_302600_NS5minusIlEEEE10hipError_tPvRmT2_T3_mT4_P12ihipStream_tbEUlmE_lEESB_NS0_8identityIvEEEESG_SJ_SK_mSL_SN_bEUlT_E_NS1_11comp_targetILNS1_3genE9ELNS1_11target_archE1100ELNS1_3gpuE3ELNS1_3repE0EEENS1_30default_config_static_selectorELNS0_4arch9wavefront6targetE0EEEvT1_: ; @_ZN7rocprim17ROCPRIM_400000_NS6detail17trampoline_kernelINS0_14default_configENS1_25transform_config_selectorIlLb0EEEZNS1_14transform_implILb0ES3_S5_NS0_18transform_iteratorINS0_17counting_iteratorImlEEZNS1_24adjacent_difference_implIS3_Lb1ELb0EPlSB_N6thrust23THRUST_200600_302600_NS5minusIlEEEE10hipError_tPvRmT2_T3_mT4_P12ihipStream_tbEUlmE_lEESB_NS0_8identityIvEEEESG_SJ_SK_mSL_SN_bEUlT_E_NS1_11comp_targetILNS1_3genE9ELNS1_11target_archE1100ELNS1_3gpuE3ELNS1_3repE0EEENS1_30default_config_static_selectorELNS0_4arch9wavefront6targetE0EEEvT1_
; %bb.0:
	.section	.rodata,"a",@progbits
	.p2align	6, 0x0
	.amdhsa_kernel _ZN7rocprim17ROCPRIM_400000_NS6detail17trampoline_kernelINS0_14default_configENS1_25transform_config_selectorIlLb0EEEZNS1_14transform_implILb0ES3_S5_NS0_18transform_iteratorINS0_17counting_iteratorImlEEZNS1_24adjacent_difference_implIS3_Lb1ELb0EPlSB_N6thrust23THRUST_200600_302600_NS5minusIlEEEE10hipError_tPvRmT2_T3_mT4_P12ihipStream_tbEUlmE_lEESB_NS0_8identityIvEEEESG_SJ_SK_mSL_SN_bEUlT_E_NS1_11comp_targetILNS1_3genE9ELNS1_11target_archE1100ELNS1_3gpuE3ELNS1_3repE0EEENS1_30default_config_static_selectorELNS0_4arch9wavefront6targetE0EEEvT1_
		.amdhsa_group_segment_fixed_size 0
		.amdhsa_private_segment_fixed_size 0
		.amdhsa_kernarg_size 56
		.amdhsa_user_sgpr_count 2
		.amdhsa_user_sgpr_dispatch_ptr 0
		.amdhsa_user_sgpr_queue_ptr 0
		.amdhsa_user_sgpr_kernarg_segment_ptr 1
		.amdhsa_user_sgpr_dispatch_id 0
		.amdhsa_user_sgpr_kernarg_preload_length 0
		.amdhsa_user_sgpr_kernarg_preload_offset 0
		.amdhsa_user_sgpr_private_segment_size 0
		.amdhsa_wavefront_size32 1
		.amdhsa_uses_dynamic_stack 0
		.amdhsa_enable_private_segment 0
		.amdhsa_system_sgpr_workgroup_id_x 1
		.amdhsa_system_sgpr_workgroup_id_y 0
		.amdhsa_system_sgpr_workgroup_id_z 0
		.amdhsa_system_sgpr_workgroup_info 0
		.amdhsa_system_vgpr_workitem_id 0
		.amdhsa_next_free_vgpr 1
		.amdhsa_next_free_sgpr 1
		.amdhsa_named_barrier_count 0
		.amdhsa_reserve_vcc 0
		.amdhsa_float_round_mode_32 0
		.amdhsa_float_round_mode_16_64 0
		.amdhsa_float_denorm_mode_32 3
		.amdhsa_float_denorm_mode_16_64 3
		.amdhsa_fp16_overflow 0
		.amdhsa_memory_ordered 1
		.amdhsa_forward_progress 1
		.amdhsa_inst_pref_size 0
		.amdhsa_round_robin_scheduling 0
		.amdhsa_exception_fp_ieee_invalid_op 0
		.amdhsa_exception_fp_denorm_src 0
		.amdhsa_exception_fp_ieee_div_zero 0
		.amdhsa_exception_fp_ieee_overflow 0
		.amdhsa_exception_fp_ieee_underflow 0
		.amdhsa_exception_fp_ieee_inexact 0
		.amdhsa_exception_int_div_zero 0
	.end_amdhsa_kernel
	.section	.text._ZN7rocprim17ROCPRIM_400000_NS6detail17trampoline_kernelINS0_14default_configENS1_25transform_config_selectorIlLb0EEEZNS1_14transform_implILb0ES3_S5_NS0_18transform_iteratorINS0_17counting_iteratorImlEEZNS1_24adjacent_difference_implIS3_Lb1ELb0EPlSB_N6thrust23THRUST_200600_302600_NS5minusIlEEEE10hipError_tPvRmT2_T3_mT4_P12ihipStream_tbEUlmE_lEESB_NS0_8identityIvEEEESG_SJ_SK_mSL_SN_bEUlT_E_NS1_11comp_targetILNS1_3genE9ELNS1_11target_archE1100ELNS1_3gpuE3ELNS1_3repE0EEENS1_30default_config_static_selectorELNS0_4arch9wavefront6targetE0EEEvT1_,"axG",@progbits,_ZN7rocprim17ROCPRIM_400000_NS6detail17trampoline_kernelINS0_14default_configENS1_25transform_config_selectorIlLb0EEEZNS1_14transform_implILb0ES3_S5_NS0_18transform_iteratorINS0_17counting_iteratorImlEEZNS1_24adjacent_difference_implIS3_Lb1ELb0EPlSB_N6thrust23THRUST_200600_302600_NS5minusIlEEEE10hipError_tPvRmT2_T3_mT4_P12ihipStream_tbEUlmE_lEESB_NS0_8identityIvEEEESG_SJ_SK_mSL_SN_bEUlT_E_NS1_11comp_targetILNS1_3genE9ELNS1_11target_archE1100ELNS1_3gpuE3ELNS1_3repE0EEENS1_30default_config_static_selectorELNS0_4arch9wavefront6targetE0EEEvT1_,comdat
.Lfunc_end251:
	.size	_ZN7rocprim17ROCPRIM_400000_NS6detail17trampoline_kernelINS0_14default_configENS1_25transform_config_selectorIlLb0EEEZNS1_14transform_implILb0ES3_S5_NS0_18transform_iteratorINS0_17counting_iteratorImlEEZNS1_24adjacent_difference_implIS3_Lb1ELb0EPlSB_N6thrust23THRUST_200600_302600_NS5minusIlEEEE10hipError_tPvRmT2_T3_mT4_P12ihipStream_tbEUlmE_lEESB_NS0_8identityIvEEEESG_SJ_SK_mSL_SN_bEUlT_E_NS1_11comp_targetILNS1_3genE9ELNS1_11target_archE1100ELNS1_3gpuE3ELNS1_3repE0EEENS1_30default_config_static_selectorELNS0_4arch9wavefront6targetE0EEEvT1_, .Lfunc_end251-_ZN7rocprim17ROCPRIM_400000_NS6detail17trampoline_kernelINS0_14default_configENS1_25transform_config_selectorIlLb0EEEZNS1_14transform_implILb0ES3_S5_NS0_18transform_iteratorINS0_17counting_iteratorImlEEZNS1_24adjacent_difference_implIS3_Lb1ELb0EPlSB_N6thrust23THRUST_200600_302600_NS5minusIlEEEE10hipError_tPvRmT2_T3_mT4_P12ihipStream_tbEUlmE_lEESB_NS0_8identityIvEEEESG_SJ_SK_mSL_SN_bEUlT_E_NS1_11comp_targetILNS1_3genE9ELNS1_11target_archE1100ELNS1_3gpuE3ELNS1_3repE0EEENS1_30default_config_static_selectorELNS0_4arch9wavefront6targetE0EEEvT1_
                                        ; -- End function
	.set _ZN7rocprim17ROCPRIM_400000_NS6detail17trampoline_kernelINS0_14default_configENS1_25transform_config_selectorIlLb0EEEZNS1_14transform_implILb0ES3_S5_NS0_18transform_iteratorINS0_17counting_iteratorImlEEZNS1_24adjacent_difference_implIS3_Lb1ELb0EPlSB_N6thrust23THRUST_200600_302600_NS5minusIlEEEE10hipError_tPvRmT2_T3_mT4_P12ihipStream_tbEUlmE_lEESB_NS0_8identityIvEEEESG_SJ_SK_mSL_SN_bEUlT_E_NS1_11comp_targetILNS1_3genE9ELNS1_11target_archE1100ELNS1_3gpuE3ELNS1_3repE0EEENS1_30default_config_static_selectorELNS0_4arch9wavefront6targetE0EEEvT1_.num_vgpr, 0
	.set _ZN7rocprim17ROCPRIM_400000_NS6detail17trampoline_kernelINS0_14default_configENS1_25transform_config_selectorIlLb0EEEZNS1_14transform_implILb0ES3_S5_NS0_18transform_iteratorINS0_17counting_iteratorImlEEZNS1_24adjacent_difference_implIS3_Lb1ELb0EPlSB_N6thrust23THRUST_200600_302600_NS5minusIlEEEE10hipError_tPvRmT2_T3_mT4_P12ihipStream_tbEUlmE_lEESB_NS0_8identityIvEEEESG_SJ_SK_mSL_SN_bEUlT_E_NS1_11comp_targetILNS1_3genE9ELNS1_11target_archE1100ELNS1_3gpuE3ELNS1_3repE0EEENS1_30default_config_static_selectorELNS0_4arch9wavefront6targetE0EEEvT1_.num_agpr, 0
	.set _ZN7rocprim17ROCPRIM_400000_NS6detail17trampoline_kernelINS0_14default_configENS1_25transform_config_selectorIlLb0EEEZNS1_14transform_implILb0ES3_S5_NS0_18transform_iteratorINS0_17counting_iteratorImlEEZNS1_24adjacent_difference_implIS3_Lb1ELb0EPlSB_N6thrust23THRUST_200600_302600_NS5minusIlEEEE10hipError_tPvRmT2_T3_mT4_P12ihipStream_tbEUlmE_lEESB_NS0_8identityIvEEEESG_SJ_SK_mSL_SN_bEUlT_E_NS1_11comp_targetILNS1_3genE9ELNS1_11target_archE1100ELNS1_3gpuE3ELNS1_3repE0EEENS1_30default_config_static_selectorELNS0_4arch9wavefront6targetE0EEEvT1_.numbered_sgpr, 0
	.set _ZN7rocprim17ROCPRIM_400000_NS6detail17trampoline_kernelINS0_14default_configENS1_25transform_config_selectorIlLb0EEEZNS1_14transform_implILb0ES3_S5_NS0_18transform_iteratorINS0_17counting_iteratorImlEEZNS1_24adjacent_difference_implIS3_Lb1ELb0EPlSB_N6thrust23THRUST_200600_302600_NS5minusIlEEEE10hipError_tPvRmT2_T3_mT4_P12ihipStream_tbEUlmE_lEESB_NS0_8identityIvEEEESG_SJ_SK_mSL_SN_bEUlT_E_NS1_11comp_targetILNS1_3genE9ELNS1_11target_archE1100ELNS1_3gpuE3ELNS1_3repE0EEENS1_30default_config_static_selectorELNS0_4arch9wavefront6targetE0EEEvT1_.num_named_barrier, 0
	.set _ZN7rocprim17ROCPRIM_400000_NS6detail17trampoline_kernelINS0_14default_configENS1_25transform_config_selectorIlLb0EEEZNS1_14transform_implILb0ES3_S5_NS0_18transform_iteratorINS0_17counting_iteratorImlEEZNS1_24adjacent_difference_implIS3_Lb1ELb0EPlSB_N6thrust23THRUST_200600_302600_NS5minusIlEEEE10hipError_tPvRmT2_T3_mT4_P12ihipStream_tbEUlmE_lEESB_NS0_8identityIvEEEESG_SJ_SK_mSL_SN_bEUlT_E_NS1_11comp_targetILNS1_3genE9ELNS1_11target_archE1100ELNS1_3gpuE3ELNS1_3repE0EEENS1_30default_config_static_selectorELNS0_4arch9wavefront6targetE0EEEvT1_.private_seg_size, 0
	.set _ZN7rocprim17ROCPRIM_400000_NS6detail17trampoline_kernelINS0_14default_configENS1_25transform_config_selectorIlLb0EEEZNS1_14transform_implILb0ES3_S5_NS0_18transform_iteratorINS0_17counting_iteratorImlEEZNS1_24adjacent_difference_implIS3_Lb1ELb0EPlSB_N6thrust23THRUST_200600_302600_NS5minusIlEEEE10hipError_tPvRmT2_T3_mT4_P12ihipStream_tbEUlmE_lEESB_NS0_8identityIvEEEESG_SJ_SK_mSL_SN_bEUlT_E_NS1_11comp_targetILNS1_3genE9ELNS1_11target_archE1100ELNS1_3gpuE3ELNS1_3repE0EEENS1_30default_config_static_selectorELNS0_4arch9wavefront6targetE0EEEvT1_.uses_vcc, 0
	.set _ZN7rocprim17ROCPRIM_400000_NS6detail17trampoline_kernelINS0_14default_configENS1_25transform_config_selectorIlLb0EEEZNS1_14transform_implILb0ES3_S5_NS0_18transform_iteratorINS0_17counting_iteratorImlEEZNS1_24adjacent_difference_implIS3_Lb1ELb0EPlSB_N6thrust23THRUST_200600_302600_NS5minusIlEEEE10hipError_tPvRmT2_T3_mT4_P12ihipStream_tbEUlmE_lEESB_NS0_8identityIvEEEESG_SJ_SK_mSL_SN_bEUlT_E_NS1_11comp_targetILNS1_3genE9ELNS1_11target_archE1100ELNS1_3gpuE3ELNS1_3repE0EEENS1_30default_config_static_selectorELNS0_4arch9wavefront6targetE0EEEvT1_.uses_flat_scratch, 0
	.set _ZN7rocprim17ROCPRIM_400000_NS6detail17trampoline_kernelINS0_14default_configENS1_25transform_config_selectorIlLb0EEEZNS1_14transform_implILb0ES3_S5_NS0_18transform_iteratorINS0_17counting_iteratorImlEEZNS1_24adjacent_difference_implIS3_Lb1ELb0EPlSB_N6thrust23THRUST_200600_302600_NS5minusIlEEEE10hipError_tPvRmT2_T3_mT4_P12ihipStream_tbEUlmE_lEESB_NS0_8identityIvEEEESG_SJ_SK_mSL_SN_bEUlT_E_NS1_11comp_targetILNS1_3genE9ELNS1_11target_archE1100ELNS1_3gpuE3ELNS1_3repE0EEENS1_30default_config_static_selectorELNS0_4arch9wavefront6targetE0EEEvT1_.has_dyn_sized_stack, 0
	.set _ZN7rocprim17ROCPRIM_400000_NS6detail17trampoline_kernelINS0_14default_configENS1_25transform_config_selectorIlLb0EEEZNS1_14transform_implILb0ES3_S5_NS0_18transform_iteratorINS0_17counting_iteratorImlEEZNS1_24adjacent_difference_implIS3_Lb1ELb0EPlSB_N6thrust23THRUST_200600_302600_NS5minusIlEEEE10hipError_tPvRmT2_T3_mT4_P12ihipStream_tbEUlmE_lEESB_NS0_8identityIvEEEESG_SJ_SK_mSL_SN_bEUlT_E_NS1_11comp_targetILNS1_3genE9ELNS1_11target_archE1100ELNS1_3gpuE3ELNS1_3repE0EEENS1_30default_config_static_selectorELNS0_4arch9wavefront6targetE0EEEvT1_.has_recursion, 0
	.set _ZN7rocprim17ROCPRIM_400000_NS6detail17trampoline_kernelINS0_14default_configENS1_25transform_config_selectorIlLb0EEEZNS1_14transform_implILb0ES3_S5_NS0_18transform_iteratorINS0_17counting_iteratorImlEEZNS1_24adjacent_difference_implIS3_Lb1ELb0EPlSB_N6thrust23THRUST_200600_302600_NS5minusIlEEEE10hipError_tPvRmT2_T3_mT4_P12ihipStream_tbEUlmE_lEESB_NS0_8identityIvEEEESG_SJ_SK_mSL_SN_bEUlT_E_NS1_11comp_targetILNS1_3genE9ELNS1_11target_archE1100ELNS1_3gpuE3ELNS1_3repE0EEENS1_30default_config_static_selectorELNS0_4arch9wavefront6targetE0EEEvT1_.has_indirect_call, 0
	.section	.AMDGPU.csdata,"",@progbits
; Kernel info:
; codeLenInByte = 0
; TotalNumSgprs: 0
; NumVgprs: 0
; ScratchSize: 0
; MemoryBound: 0
; FloatMode: 240
; IeeeMode: 1
; LDSByteSize: 0 bytes/workgroup (compile time only)
; SGPRBlocks: 0
; VGPRBlocks: 0
; NumSGPRsForWavesPerEU: 1
; NumVGPRsForWavesPerEU: 1
; NamedBarCnt: 0
; Occupancy: 16
; WaveLimiterHint : 0
; COMPUTE_PGM_RSRC2:SCRATCH_EN: 0
; COMPUTE_PGM_RSRC2:USER_SGPR: 2
; COMPUTE_PGM_RSRC2:TRAP_HANDLER: 0
; COMPUTE_PGM_RSRC2:TGID_X_EN: 1
; COMPUTE_PGM_RSRC2:TGID_Y_EN: 0
; COMPUTE_PGM_RSRC2:TGID_Z_EN: 0
; COMPUTE_PGM_RSRC2:TIDIG_COMP_CNT: 0
	.section	.text._ZN7rocprim17ROCPRIM_400000_NS6detail17trampoline_kernelINS0_14default_configENS1_25transform_config_selectorIlLb0EEEZNS1_14transform_implILb0ES3_S5_NS0_18transform_iteratorINS0_17counting_iteratorImlEEZNS1_24adjacent_difference_implIS3_Lb1ELb0EPlSB_N6thrust23THRUST_200600_302600_NS5minusIlEEEE10hipError_tPvRmT2_T3_mT4_P12ihipStream_tbEUlmE_lEESB_NS0_8identityIvEEEESG_SJ_SK_mSL_SN_bEUlT_E_NS1_11comp_targetILNS1_3genE8ELNS1_11target_archE1030ELNS1_3gpuE2ELNS1_3repE0EEENS1_30default_config_static_selectorELNS0_4arch9wavefront6targetE0EEEvT1_,"axG",@progbits,_ZN7rocprim17ROCPRIM_400000_NS6detail17trampoline_kernelINS0_14default_configENS1_25transform_config_selectorIlLb0EEEZNS1_14transform_implILb0ES3_S5_NS0_18transform_iteratorINS0_17counting_iteratorImlEEZNS1_24adjacent_difference_implIS3_Lb1ELb0EPlSB_N6thrust23THRUST_200600_302600_NS5minusIlEEEE10hipError_tPvRmT2_T3_mT4_P12ihipStream_tbEUlmE_lEESB_NS0_8identityIvEEEESG_SJ_SK_mSL_SN_bEUlT_E_NS1_11comp_targetILNS1_3genE8ELNS1_11target_archE1030ELNS1_3gpuE2ELNS1_3repE0EEENS1_30default_config_static_selectorELNS0_4arch9wavefront6targetE0EEEvT1_,comdat
	.protected	_ZN7rocprim17ROCPRIM_400000_NS6detail17trampoline_kernelINS0_14default_configENS1_25transform_config_selectorIlLb0EEEZNS1_14transform_implILb0ES3_S5_NS0_18transform_iteratorINS0_17counting_iteratorImlEEZNS1_24adjacent_difference_implIS3_Lb1ELb0EPlSB_N6thrust23THRUST_200600_302600_NS5minusIlEEEE10hipError_tPvRmT2_T3_mT4_P12ihipStream_tbEUlmE_lEESB_NS0_8identityIvEEEESG_SJ_SK_mSL_SN_bEUlT_E_NS1_11comp_targetILNS1_3genE8ELNS1_11target_archE1030ELNS1_3gpuE2ELNS1_3repE0EEENS1_30default_config_static_selectorELNS0_4arch9wavefront6targetE0EEEvT1_ ; -- Begin function _ZN7rocprim17ROCPRIM_400000_NS6detail17trampoline_kernelINS0_14default_configENS1_25transform_config_selectorIlLb0EEEZNS1_14transform_implILb0ES3_S5_NS0_18transform_iteratorINS0_17counting_iteratorImlEEZNS1_24adjacent_difference_implIS3_Lb1ELb0EPlSB_N6thrust23THRUST_200600_302600_NS5minusIlEEEE10hipError_tPvRmT2_T3_mT4_P12ihipStream_tbEUlmE_lEESB_NS0_8identityIvEEEESG_SJ_SK_mSL_SN_bEUlT_E_NS1_11comp_targetILNS1_3genE8ELNS1_11target_archE1030ELNS1_3gpuE2ELNS1_3repE0EEENS1_30default_config_static_selectorELNS0_4arch9wavefront6targetE0EEEvT1_
	.globl	_ZN7rocprim17ROCPRIM_400000_NS6detail17trampoline_kernelINS0_14default_configENS1_25transform_config_selectorIlLb0EEEZNS1_14transform_implILb0ES3_S5_NS0_18transform_iteratorINS0_17counting_iteratorImlEEZNS1_24adjacent_difference_implIS3_Lb1ELb0EPlSB_N6thrust23THRUST_200600_302600_NS5minusIlEEEE10hipError_tPvRmT2_T3_mT4_P12ihipStream_tbEUlmE_lEESB_NS0_8identityIvEEEESG_SJ_SK_mSL_SN_bEUlT_E_NS1_11comp_targetILNS1_3genE8ELNS1_11target_archE1030ELNS1_3gpuE2ELNS1_3repE0EEENS1_30default_config_static_selectorELNS0_4arch9wavefront6targetE0EEEvT1_
	.p2align	8
	.type	_ZN7rocprim17ROCPRIM_400000_NS6detail17trampoline_kernelINS0_14default_configENS1_25transform_config_selectorIlLb0EEEZNS1_14transform_implILb0ES3_S5_NS0_18transform_iteratorINS0_17counting_iteratorImlEEZNS1_24adjacent_difference_implIS3_Lb1ELb0EPlSB_N6thrust23THRUST_200600_302600_NS5minusIlEEEE10hipError_tPvRmT2_T3_mT4_P12ihipStream_tbEUlmE_lEESB_NS0_8identityIvEEEESG_SJ_SK_mSL_SN_bEUlT_E_NS1_11comp_targetILNS1_3genE8ELNS1_11target_archE1030ELNS1_3gpuE2ELNS1_3repE0EEENS1_30default_config_static_selectorELNS0_4arch9wavefront6targetE0EEEvT1_,@function
_ZN7rocprim17ROCPRIM_400000_NS6detail17trampoline_kernelINS0_14default_configENS1_25transform_config_selectorIlLb0EEEZNS1_14transform_implILb0ES3_S5_NS0_18transform_iteratorINS0_17counting_iteratorImlEEZNS1_24adjacent_difference_implIS3_Lb1ELb0EPlSB_N6thrust23THRUST_200600_302600_NS5minusIlEEEE10hipError_tPvRmT2_T3_mT4_P12ihipStream_tbEUlmE_lEESB_NS0_8identityIvEEEESG_SJ_SK_mSL_SN_bEUlT_E_NS1_11comp_targetILNS1_3genE8ELNS1_11target_archE1030ELNS1_3gpuE2ELNS1_3repE0EEENS1_30default_config_static_selectorELNS0_4arch9wavefront6targetE0EEEvT1_: ; @_ZN7rocprim17ROCPRIM_400000_NS6detail17trampoline_kernelINS0_14default_configENS1_25transform_config_selectorIlLb0EEEZNS1_14transform_implILb0ES3_S5_NS0_18transform_iteratorINS0_17counting_iteratorImlEEZNS1_24adjacent_difference_implIS3_Lb1ELb0EPlSB_N6thrust23THRUST_200600_302600_NS5minusIlEEEE10hipError_tPvRmT2_T3_mT4_P12ihipStream_tbEUlmE_lEESB_NS0_8identityIvEEEESG_SJ_SK_mSL_SN_bEUlT_E_NS1_11comp_targetILNS1_3genE8ELNS1_11target_archE1030ELNS1_3gpuE2ELNS1_3repE0EEENS1_30default_config_static_selectorELNS0_4arch9wavefront6targetE0EEEvT1_
; %bb.0:
	.section	.rodata,"a",@progbits
	.p2align	6, 0x0
	.amdhsa_kernel _ZN7rocprim17ROCPRIM_400000_NS6detail17trampoline_kernelINS0_14default_configENS1_25transform_config_selectorIlLb0EEEZNS1_14transform_implILb0ES3_S5_NS0_18transform_iteratorINS0_17counting_iteratorImlEEZNS1_24adjacent_difference_implIS3_Lb1ELb0EPlSB_N6thrust23THRUST_200600_302600_NS5minusIlEEEE10hipError_tPvRmT2_T3_mT4_P12ihipStream_tbEUlmE_lEESB_NS0_8identityIvEEEESG_SJ_SK_mSL_SN_bEUlT_E_NS1_11comp_targetILNS1_3genE8ELNS1_11target_archE1030ELNS1_3gpuE2ELNS1_3repE0EEENS1_30default_config_static_selectorELNS0_4arch9wavefront6targetE0EEEvT1_
		.amdhsa_group_segment_fixed_size 0
		.amdhsa_private_segment_fixed_size 0
		.amdhsa_kernarg_size 56
		.amdhsa_user_sgpr_count 2
		.amdhsa_user_sgpr_dispatch_ptr 0
		.amdhsa_user_sgpr_queue_ptr 0
		.amdhsa_user_sgpr_kernarg_segment_ptr 1
		.amdhsa_user_sgpr_dispatch_id 0
		.amdhsa_user_sgpr_kernarg_preload_length 0
		.amdhsa_user_sgpr_kernarg_preload_offset 0
		.amdhsa_user_sgpr_private_segment_size 0
		.amdhsa_wavefront_size32 1
		.amdhsa_uses_dynamic_stack 0
		.amdhsa_enable_private_segment 0
		.amdhsa_system_sgpr_workgroup_id_x 1
		.amdhsa_system_sgpr_workgroup_id_y 0
		.amdhsa_system_sgpr_workgroup_id_z 0
		.amdhsa_system_sgpr_workgroup_info 0
		.amdhsa_system_vgpr_workitem_id 0
		.amdhsa_next_free_vgpr 1
		.amdhsa_next_free_sgpr 1
		.amdhsa_named_barrier_count 0
		.amdhsa_reserve_vcc 0
		.amdhsa_float_round_mode_32 0
		.amdhsa_float_round_mode_16_64 0
		.amdhsa_float_denorm_mode_32 3
		.amdhsa_float_denorm_mode_16_64 3
		.amdhsa_fp16_overflow 0
		.amdhsa_memory_ordered 1
		.amdhsa_forward_progress 1
		.amdhsa_inst_pref_size 0
		.amdhsa_round_robin_scheduling 0
		.amdhsa_exception_fp_ieee_invalid_op 0
		.amdhsa_exception_fp_denorm_src 0
		.amdhsa_exception_fp_ieee_div_zero 0
		.amdhsa_exception_fp_ieee_overflow 0
		.amdhsa_exception_fp_ieee_underflow 0
		.amdhsa_exception_fp_ieee_inexact 0
		.amdhsa_exception_int_div_zero 0
	.end_amdhsa_kernel
	.section	.text._ZN7rocprim17ROCPRIM_400000_NS6detail17trampoline_kernelINS0_14default_configENS1_25transform_config_selectorIlLb0EEEZNS1_14transform_implILb0ES3_S5_NS0_18transform_iteratorINS0_17counting_iteratorImlEEZNS1_24adjacent_difference_implIS3_Lb1ELb0EPlSB_N6thrust23THRUST_200600_302600_NS5minusIlEEEE10hipError_tPvRmT2_T3_mT4_P12ihipStream_tbEUlmE_lEESB_NS0_8identityIvEEEESG_SJ_SK_mSL_SN_bEUlT_E_NS1_11comp_targetILNS1_3genE8ELNS1_11target_archE1030ELNS1_3gpuE2ELNS1_3repE0EEENS1_30default_config_static_selectorELNS0_4arch9wavefront6targetE0EEEvT1_,"axG",@progbits,_ZN7rocprim17ROCPRIM_400000_NS6detail17trampoline_kernelINS0_14default_configENS1_25transform_config_selectorIlLb0EEEZNS1_14transform_implILb0ES3_S5_NS0_18transform_iteratorINS0_17counting_iteratorImlEEZNS1_24adjacent_difference_implIS3_Lb1ELb0EPlSB_N6thrust23THRUST_200600_302600_NS5minusIlEEEE10hipError_tPvRmT2_T3_mT4_P12ihipStream_tbEUlmE_lEESB_NS0_8identityIvEEEESG_SJ_SK_mSL_SN_bEUlT_E_NS1_11comp_targetILNS1_3genE8ELNS1_11target_archE1030ELNS1_3gpuE2ELNS1_3repE0EEENS1_30default_config_static_selectorELNS0_4arch9wavefront6targetE0EEEvT1_,comdat
.Lfunc_end252:
	.size	_ZN7rocprim17ROCPRIM_400000_NS6detail17trampoline_kernelINS0_14default_configENS1_25transform_config_selectorIlLb0EEEZNS1_14transform_implILb0ES3_S5_NS0_18transform_iteratorINS0_17counting_iteratorImlEEZNS1_24adjacent_difference_implIS3_Lb1ELb0EPlSB_N6thrust23THRUST_200600_302600_NS5minusIlEEEE10hipError_tPvRmT2_T3_mT4_P12ihipStream_tbEUlmE_lEESB_NS0_8identityIvEEEESG_SJ_SK_mSL_SN_bEUlT_E_NS1_11comp_targetILNS1_3genE8ELNS1_11target_archE1030ELNS1_3gpuE2ELNS1_3repE0EEENS1_30default_config_static_selectorELNS0_4arch9wavefront6targetE0EEEvT1_, .Lfunc_end252-_ZN7rocprim17ROCPRIM_400000_NS6detail17trampoline_kernelINS0_14default_configENS1_25transform_config_selectorIlLb0EEEZNS1_14transform_implILb0ES3_S5_NS0_18transform_iteratorINS0_17counting_iteratorImlEEZNS1_24adjacent_difference_implIS3_Lb1ELb0EPlSB_N6thrust23THRUST_200600_302600_NS5minusIlEEEE10hipError_tPvRmT2_T3_mT4_P12ihipStream_tbEUlmE_lEESB_NS0_8identityIvEEEESG_SJ_SK_mSL_SN_bEUlT_E_NS1_11comp_targetILNS1_3genE8ELNS1_11target_archE1030ELNS1_3gpuE2ELNS1_3repE0EEENS1_30default_config_static_selectorELNS0_4arch9wavefront6targetE0EEEvT1_
                                        ; -- End function
	.set _ZN7rocprim17ROCPRIM_400000_NS6detail17trampoline_kernelINS0_14default_configENS1_25transform_config_selectorIlLb0EEEZNS1_14transform_implILb0ES3_S5_NS0_18transform_iteratorINS0_17counting_iteratorImlEEZNS1_24adjacent_difference_implIS3_Lb1ELb0EPlSB_N6thrust23THRUST_200600_302600_NS5minusIlEEEE10hipError_tPvRmT2_T3_mT4_P12ihipStream_tbEUlmE_lEESB_NS0_8identityIvEEEESG_SJ_SK_mSL_SN_bEUlT_E_NS1_11comp_targetILNS1_3genE8ELNS1_11target_archE1030ELNS1_3gpuE2ELNS1_3repE0EEENS1_30default_config_static_selectorELNS0_4arch9wavefront6targetE0EEEvT1_.num_vgpr, 0
	.set _ZN7rocprim17ROCPRIM_400000_NS6detail17trampoline_kernelINS0_14default_configENS1_25transform_config_selectorIlLb0EEEZNS1_14transform_implILb0ES3_S5_NS0_18transform_iteratorINS0_17counting_iteratorImlEEZNS1_24adjacent_difference_implIS3_Lb1ELb0EPlSB_N6thrust23THRUST_200600_302600_NS5minusIlEEEE10hipError_tPvRmT2_T3_mT4_P12ihipStream_tbEUlmE_lEESB_NS0_8identityIvEEEESG_SJ_SK_mSL_SN_bEUlT_E_NS1_11comp_targetILNS1_3genE8ELNS1_11target_archE1030ELNS1_3gpuE2ELNS1_3repE0EEENS1_30default_config_static_selectorELNS0_4arch9wavefront6targetE0EEEvT1_.num_agpr, 0
	.set _ZN7rocprim17ROCPRIM_400000_NS6detail17trampoline_kernelINS0_14default_configENS1_25transform_config_selectorIlLb0EEEZNS1_14transform_implILb0ES3_S5_NS0_18transform_iteratorINS0_17counting_iteratorImlEEZNS1_24adjacent_difference_implIS3_Lb1ELb0EPlSB_N6thrust23THRUST_200600_302600_NS5minusIlEEEE10hipError_tPvRmT2_T3_mT4_P12ihipStream_tbEUlmE_lEESB_NS0_8identityIvEEEESG_SJ_SK_mSL_SN_bEUlT_E_NS1_11comp_targetILNS1_3genE8ELNS1_11target_archE1030ELNS1_3gpuE2ELNS1_3repE0EEENS1_30default_config_static_selectorELNS0_4arch9wavefront6targetE0EEEvT1_.numbered_sgpr, 0
	.set _ZN7rocprim17ROCPRIM_400000_NS6detail17trampoline_kernelINS0_14default_configENS1_25transform_config_selectorIlLb0EEEZNS1_14transform_implILb0ES3_S5_NS0_18transform_iteratorINS0_17counting_iteratorImlEEZNS1_24adjacent_difference_implIS3_Lb1ELb0EPlSB_N6thrust23THRUST_200600_302600_NS5minusIlEEEE10hipError_tPvRmT2_T3_mT4_P12ihipStream_tbEUlmE_lEESB_NS0_8identityIvEEEESG_SJ_SK_mSL_SN_bEUlT_E_NS1_11comp_targetILNS1_3genE8ELNS1_11target_archE1030ELNS1_3gpuE2ELNS1_3repE0EEENS1_30default_config_static_selectorELNS0_4arch9wavefront6targetE0EEEvT1_.num_named_barrier, 0
	.set _ZN7rocprim17ROCPRIM_400000_NS6detail17trampoline_kernelINS0_14default_configENS1_25transform_config_selectorIlLb0EEEZNS1_14transform_implILb0ES3_S5_NS0_18transform_iteratorINS0_17counting_iteratorImlEEZNS1_24adjacent_difference_implIS3_Lb1ELb0EPlSB_N6thrust23THRUST_200600_302600_NS5minusIlEEEE10hipError_tPvRmT2_T3_mT4_P12ihipStream_tbEUlmE_lEESB_NS0_8identityIvEEEESG_SJ_SK_mSL_SN_bEUlT_E_NS1_11comp_targetILNS1_3genE8ELNS1_11target_archE1030ELNS1_3gpuE2ELNS1_3repE0EEENS1_30default_config_static_selectorELNS0_4arch9wavefront6targetE0EEEvT1_.private_seg_size, 0
	.set _ZN7rocprim17ROCPRIM_400000_NS6detail17trampoline_kernelINS0_14default_configENS1_25transform_config_selectorIlLb0EEEZNS1_14transform_implILb0ES3_S5_NS0_18transform_iteratorINS0_17counting_iteratorImlEEZNS1_24adjacent_difference_implIS3_Lb1ELb0EPlSB_N6thrust23THRUST_200600_302600_NS5minusIlEEEE10hipError_tPvRmT2_T3_mT4_P12ihipStream_tbEUlmE_lEESB_NS0_8identityIvEEEESG_SJ_SK_mSL_SN_bEUlT_E_NS1_11comp_targetILNS1_3genE8ELNS1_11target_archE1030ELNS1_3gpuE2ELNS1_3repE0EEENS1_30default_config_static_selectorELNS0_4arch9wavefront6targetE0EEEvT1_.uses_vcc, 0
	.set _ZN7rocprim17ROCPRIM_400000_NS6detail17trampoline_kernelINS0_14default_configENS1_25transform_config_selectorIlLb0EEEZNS1_14transform_implILb0ES3_S5_NS0_18transform_iteratorINS0_17counting_iteratorImlEEZNS1_24adjacent_difference_implIS3_Lb1ELb0EPlSB_N6thrust23THRUST_200600_302600_NS5minusIlEEEE10hipError_tPvRmT2_T3_mT4_P12ihipStream_tbEUlmE_lEESB_NS0_8identityIvEEEESG_SJ_SK_mSL_SN_bEUlT_E_NS1_11comp_targetILNS1_3genE8ELNS1_11target_archE1030ELNS1_3gpuE2ELNS1_3repE0EEENS1_30default_config_static_selectorELNS0_4arch9wavefront6targetE0EEEvT1_.uses_flat_scratch, 0
	.set _ZN7rocprim17ROCPRIM_400000_NS6detail17trampoline_kernelINS0_14default_configENS1_25transform_config_selectorIlLb0EEEZNS1_14transform_implILb0ES3_S5_NS0_18transform_iteratorINS0_17counting_iteratorImlEEZNS1_24adjacent_difference_implIS3_Lb1ELb0EPlSB_N6thrust23THRUST_200600_302600_NS5minusIlEEEE10hipError_tPvRmT2_T3_mT4_P12ihipStream_tbEUlmE_lEESB_NS0_8identityIvEEEESG_SJ_SK_mSL_SN_bEUlT_E_NS1_11comp_targetILNS1_3genE8ELNS1_11target_archE1030ELNS1_3gpuE2ELNS1_3repE0EEENS1_30default_config_static_selectorELNS0_4arch9wavefront6targetE0EEEvT1_.has_dyn_sized_stack, 0
	.set _ZN7rocprim17ROCPRIM_400000_NS6detail17trampoline_kernelINS0_14default_configENS1_25transform_config_selectorIlLb0EEEZNS1_14transform_implILb0ES3_S5_NS0_18transform_iteratorINS0_17counting_iteratorImlEEZNS1_24adjacent_difference_implIS3_Lb1ELb0EPlSB_N6thrust23THRUST_200600_302600_NS5minusIlEEEE10hipError_tPvRmT2_T3_mT4_P12ihipStream_tbEUlmE_lEESB_NS0_8identityIvEEEESG_SJ_SK_mSL_SN_bEUlT_E_NS1_11comp_targetILNS1_3genE8ELNS1_11target_archE1030ELNS1_3gpuE2ELNS1_3repE0EEENS1_30default_config_static_selectorELNS0_4arch9wavefront6targetE0EEEvT1_.has_recursion, 0
	.set _ZN7rocprim17ROCPRIM_400000_NS6detail17trampoline_kernelINS0_14default_configENS1_25transform_config_selectorIlLb0EEEZNS1_14transform_implILb0ES3_S5_NS0_18transform_iteratorINS0_17counting_iteratorImlEEZNS1_24adjacent_difference_implIS3_Lb1ELb0EPlSB_N6thrust23THRUST_200600_302600_NS5minusIlEEEE10hipError_tPvRmT2_T3_mT4_P12ihipStream_tbEUlmE_lEESB_NS0_8identityIvEEEESG_SJ_SK_mSL_SN_bEUlT_E_NS1_11comp_targetILNS1_3genE8ELNS1_11target_archE1030ELNS1_3gpuE2ELNS1_3repE0EEENS1_30default_config_static_selectorELNS0_4arch9wavefront6targetE0EEEvT1_.has_indirect_call, 0
	.section	.AMDGPU.csdata,"",@progbits
; Kernel info:
; codeLenInByte = 0
; TotalNumSgprs: 0
; NumVgprs: 0
; ScratchSize: 0
; MemoryBound: 0
; FloatMode: 240
; IeeeMode: 1
; LDSByteSize: 0 bytes/workgroup (compile time only)
; SGPRBlocks: 0
; VGPRBlocks: 0
; NumSGPRsForWavesPerEU: 1
; NumVGPRsForWavesPerEU: 1
; NamedBarCnt: 0
; Occupancy: 16
; WaveLimiterHint : 0
; COMPUTE_PGM_RSRC2:SCRATCH_EN: 0
; COMPUTE_PGM_RSRC2:USER_SGPR: 2
; COMPUTE_PGM_RSRC2:TRAP_HANDLER: 0
; COMPUTE_PGM_RSRC2:TGID_X_EN: 1
; COMPUTE_PGM_RSRC2:TGID_Y_EN: 0
; COMPUTE_PGM_RSRC2:TGID_Z_EN: 0
; COMPUTE_PGM_RSRC2:TIDIG_COMP_CNT: 0
	.section	.text._ZN7rocprim17ROCPRIM_400000_NS6detail17trampoline_kernelINS0_14default_configENS1_35adjacent_difference_config_selectorILb1ElEEZNS1_24adjacent_difference_implIS3_Lb1ELb0EPlS7_N6thrust23THRUST_200600_302600_NS5minusIlEEEE10hipError_tPvRmT2_T3_mT4_P12ihipStream_tbEUlT_E_NS1_11comp_targetILNS1_3genE0ELNS1_11target_archE4294967295ELNS1_3gpuE0ELNS1_3repE0EEENS1_30default_config_static_selectorELNS0_4arch9wavefront6targetE0EEEvT1_,"axG",@progbits,_ZN7rocprim17ROCPRIM_400000_NS6detail17trampoline_kernelINS0_14default_configENS1_35adjacent_difference_config_selectorILb1ElEEZNS1_24adjacent_difference_implIS3_Lb1ELb0EPlS7_N6thrust23THRUST_200600_302600_NS5minusIlEEEE10hipError_tPvRmT2_T3_mT4_P12ihipStream_tbEUlT_E_NS1_11comp_targetILNS1_3genE0ELNS1_11target_archE4294967295ELNS1_3gpuE0ELNS1_3repE0EEENS1_30default_config_static_selectorELNS0_4arch9wavefront6targetE0EEEvT1_,comdat
	.protected	_ZN7rocprim17ROCPRIM_400000_NS6detail17trampoline_kernelINS0_14default_configENS1_35adjacent_difference_config_selectorILb1ElEEZNS1_24adjacent_difference_implIS3_Lb1ELb0EPlS7_N6thrust23THRUST_200600_302600_NS5minusIlEEEE10hipError_tPvRmT2_T3_mT4_P12ihipStream_tbEUlT_E_NS1_11comp_targetILNS1_3genE0ELNS1_11target_archE4294967295ELNS1_3gpuE0ELNS1_3repE0EEENS1_30default_config_static_selectorELNS0_4arch9wavefront6targetE0EEEvT1_ ; -- Begin function _ZN7rocprim17ROCPRIM_400000_NS6detail17trampoline_kernelINS0_14default_configENS1_35adjacent_difference_config_selectorILb1ElEEZNS1_24adjacent_difference_implIS3_Lb1ELb0EPlS7_N6thrust23THRUST_200600_302600_NS5minusIlEEEE10hipError_tPvRmT2_T3_mT4_P12ihipStream_tbEUlT_E_NS1_11comp_targetILNS1_3genE0ELNS1_11target_archE4294967295ELNS1_3gpuE0ELNS1_3repE0EEENS1_30default_config_static_selectorELNS0_4arch9wavefront6targetE0EEEvT1_
	.globl	_ZN7rocprim17ROCPRIM_400000_NS6detail17trampoline_kernelINS0_14default_configENS1_35adjacent_difference_config_selectorILb1ElEEZNS1_24adjacent_difference_implIS3_Lb1ELb0EPlS7_N6thrust23THRUST_200600_302600_NS5minusIlEEEE10hipError_tPvRmT2_T3_mT4_P12ihipStream_tbEUlT_E_NS1_11comp_targetILNS1_3genE0ELNS1_11target_archE4294967295ELNS1_3gpuE0ELNS1_3repE0EEENS1_30default_config_static_selectorELNS0_4arch9wavefront6targetE0EEEvT1_
	.p2align	8
	.type	_ZN7rocprim17ROCPRIM_400000_NS6detail17trampoline_kernelINS0_14default_configENS1_35adjacent_difference_config_selectorILb1ElEEZNS1_24adjacent_difference_implIS3_Lb1ELb0EPlS7_N6thrust23THRUST_200600_302600_NS5minusIlEEEE10hipError_tPvRmT2_T3_mT4_P12ihipStream_tbEUlT_E_NS1_11comp_targetILNS1_3genE0ELNS1_11target_archE4294967295ELNS1_3gpuE0ELNS1_3repE0EEENS1_30default_config_static_selectorELNS0_4arch9wavefront6targetE0EEEvT1_,@function
_ZN7rocprim17ROCPRIM_400000_NS6detail17trampoline_kernelINS0_14default_configENS1_35adjacent_difference_config_selectorILb1ElEEZNS1_24adjacent_difference_implIS3_Lb1ELb0EPlS7_N6thrust23THRUST_200600_302600_NS5minusIlEEEE10hipError_tPvRmT2_T3_mT4_P12ihipStream_tbEUlT_E_NS1_11comp_targetILNS1_3genE0ELNS1_11target_archE4294967295ELNS1_3gpuE0ELNS1_3repE0EEENS1_30default_config_static_selectorELNS0_4arch9wavefront6targetE0EEEvT1_: ; @_ZN7rocprim17ROCPRIM_400000_NS6detail17trampoline_kernelINS0_14default_configENS1_35adjacent_difference_config_selectorILb1ElEEZNS1_24adjacent_difference_implIS3_Lb1ELb0EPlS7_N6thrust23THRUST_200600_302600_NS5minusIlEEEE10hipError_tPvRmT2_T3_mT4_P12ihipStream_tbEUlT_E_NS1_11comp_targetILNS1_3genE0ELNS1_11target_archE4294967295ELNS1_3gpuE0ELNS1_3repE0EEENS1_30default_config_static_selectorELNS0_4arch9wavefront6targetE0EEEvT1_
; %bb.0:
	s_load_b256 s[4:11], s[0:1], 0x0
	s_bfe_u32 s2, ttmp6, 0x4000c
	s_and_b32 s3, ttmp6, 15
	s_add_co_i32 s2, s2, 1
	s_getreg_b32 s12, hwreg(HW_REG_IB_STS2, 6, 4)
	s_mul_i32 s2, ttmp9, s2
	s_mov_b32 s21, 0
	s_add_co_i32 s3, s3, s2
	s_wait_kmcnt 0x0
	s_lshl_b64 s[16:17], s[6:7], 3
	s_cmp_eq_u32 s12, 0
	s_load_b128 s[12:15], s[0:1], 0x28
	s_cselect_b32 s3, ttmp9, s3
	s_and_b64 s[6:7], s[10:11], 0x3ff
	s_wait_xcnt 0x0
	s_lshr_b64 s[0:1], s[10:11], 10
	s_lshl_b32 s2, s3, 10
	s_cmp_lg_u64 s[6:7], 0
	s_add_nc_u64 s[4:5], s[4:5], s[16:17]
	s_cselect_b32 s6, -1, 0
	s_delay_alu instid0(SALU_CYCLE_1) | instskip(NEXT) | instid1(VALU_DEP_1)
	v_cndmask_b32_e64 v1, 0, 1, s6
	v_readfirstlane_b32 s20, v1
	s_add_nc_u64 s[18:19], s[0:1], s[20:21]
	s_mov_b32 s20, s3
	s_add_nc_u64 s[6:7], s[18:19], -1
	s_wait_kmcnt 0x0
	s_add_nc_u64 s[0:1], s[14:15], s[20:21]
	s_mov_b32 s3, -1
	v_cmp_ge_u64_e64 s11, s[0:1], s[6:7]
	s_and_b32 vcc_lo, exec_lo, s11
	s_cbranch_vccz .LBB253_6
; %bb.1:
	v_mov_b32_e32 v2, 0
	s_lshl_b32 s3, s6, 10
	s_delay_alu instid0(SALU_CYCLE_1) | instskip(SKIP_1) | instid1(VALU_DEP_1)
	s_sub_co_i32 s24, s10, s3
	s_mov_b32 s3, s21
	v_dual_mov_b32 v3, v2 :: v_dual_mov_b32 v4, v2
	v_mov_b32_e32 v5, v2
	s_lshl_b64 s[22:23], s[2:3], 3
	s_mov_b32 s3, exec_lo
	s_add_nc_u64 s[22:23], s[4:5], s[22:23]
	v_cmpx_gt_u32_e64 s24, v0
	s_cbranch_execz .LBB253_3
; %bb.2:
	global_load_b64 v[4:5], v0, s[22:23] scale_offset
	v_dual_mov_b32 v6, v2 :: v_dual_mov_b32 v7, v2
	s_wait_loadcnt 0x0
	v_mov_b64_e32 v[2:3], v[4:5]
	s_delay_alu instid0(VALU_DEP_2)
	v_mov_b64_e32 v[4:5], v[6:7]
.LBB253_3:
	s_or_b32 exec_lo, exec_lo, s3
	v_or_b32_e32 v1, 0x200, v0
	s_mov_b32 s3, exec_lo
	s_delay_alu instid0(VALU_DEP_1)
	v_cmpx_gt_u32_e64 s24, v1
	s_cbranch_execz .LBB253_5
; %bb.4:
	global_load_b64 v[4:5], v0, s[22:23] offset:4096 scale_offset
.LBB253_5:
	s_wait_xcnt 0x0
	s_or_b32 exec_lo, exec_lo, s3
	v_dual_lshrrev_b32 v6, 2, v0 :: v_dual_lshrrev_b32 v1, 2, v1
	v_lshlrev_b32_e32 v7, 3, v0
	s_mov_b32 s3, 0
	s_delay_alu instid0(VALU_DEP_2) | instskip(NEXT) | instid1(VALU_DEP_3)
	v_and_b32_e32 v6, 0x78, v6
	v_and_b32_e32 v1, 0xf8, v1
	s_delay_alu instid0(VALU_DEP_1)
	v_dual_add_nc_u32 v6, v6, v7 :: v_dual_add_nc_u32 v1, v1, v7
	ds_store_b64 v6, v[2:3]
	s_wait_loadcnt 0x0
	ds_store_b64 v1, v[4:5] offset:4096
	s_wait_dscnt 0x0
	s_barrier_signal -1
	s_barrier_wait -1
.LBB253_6:
	v_dual_lshrrev_b32 v1, 2, v0 :: v_dual_lshlrev_b32 v6, 3, v0
	v_or_b32_e32 v12, 0x200, v0
	s_and_b32 vcc_lo, exec_lo, s3
	s_cbranch_vccz .LBB253_8
; %bb.7:
	s_mov_b32 s3, 0
	v_and_b32_e32 v8, 0x78, v1
	s_lshl_b64 s[22:23], s[2:3], 3
	v_lshrrev_b32_e32 v7, 2, v12
	s_add_nc_u64 s[4:5], s[4:5], s[22:23]
	s_clause 0x1
	global_load_b64 v[2:3], v0, s[4:5] scale_offset
	global_load_b64 v[4:5], v0, s[4:5] offset:4096 scale_offset
	v_add_nc_u32_e32 v8, v8, v6
	v_and_b32_e32 v7, 0xf8, v7
	s_delay_alu instid0(VALU_DEP_1)
	v_add_nc_u32_e32 v7, v7, v6
	s_wait_loadcnt 0x1
	ds_store_b64 v8, v[2:3]
	s_wait_loadcnt 0x0
	ds_store_b64 v7, v[4:5] offset:4096
	s_wait_dscnt 0x0
	s_barrier_signal -1
	s_barrier_wait -1
.LBB253_8:
	v_lshrrev_b32_e32 v2, 1, v0
	s_cmp_eq_u64 s[0:1], 0
	s_delay_alu instid0(VALU_DEP_1) | instskip(NEXT) | instid1(VALU_DEP_1)
	v_and_b32_e32 v2, 0xf8, v2
	v_lshl_add_u32 v13, v0, 4, v2
	ds_load_2addr_b64 v[2:5], v13 offset1:1
	s_wait_dscnt 0x0
	s_barrier_signal -1
	s_barrier_wait -1
	s_cbranch_scc1 .LBB253_13
; %bb.9:
	s_lshl_b64 s[4:5], s[14:15], 3
	s_delay_alu instid0(SALU_CYCLE_1) | instskip(SKIP_3) | instid1(SALU_CYCLE_1)
	s_add_nc_u64 s[4:5], s[12:13], s[4:5]
	s_lshl_b64 s[12:13], s[20:21], 3
	s_cmp_eq_u64 s[0:1], s[6:7]
	s_add_nc_u64 s[4:5], s[4:5], s[12:13]
	s_add_nc_u64 s[4:5], s[4:5], -8
	s_load_b64 s[4:5], s[4:5], 0x0
	s_cbranch_scc1 .LBB253_14
; %bb.10:
	s_wait_kmcnt 0x0
	v_mov_b64_e32 v[10:11], s[4:5]
	s_mov_b32 s1, 0
	s_mov_b32 s3, exec_lo
	ds_store_b64 v6, v[4:5]
	s_wait_dscnt 0x0
	s_barrier_signal -1
	s_barrier_wait -1
	v_cmpx_ne_u32_e32 0, v0
; %bb.11:
	v_add_nc_u32_e32 v7, -8, v6
	ds_load_b64 v[10:11], v7
; %bb.12:
	s_or_b32 exec_lo, exec_lo, s3
	v_sub_nc_u64_e32 v[8:9], v[4:5], v[2:3]
	s_and_not1_b32 vcc_lo, exec_lo, s1
	s_cbranch_vccz .LBB253_15
	s_branch .LBB253_18
.LBB253_13:
	s_mov_b32 s3, 0
                                        ; implicit-def: $vgpr10_vgpr11
                                        ; implicit-def: $vgpr8_vgpr9
	s_branch .LBB253_19
.LBB253_14:
                                        ; implicit-def: $vgpr8_vgpr9
                                        ; implicit-def: $vgpr10_vgpr11
.LBB253_15:
	v_lshlrev_b32_e32 v7, 1, v0
	s_lshl_b32 s0, s0, 10
	s_wait_dscnt 0x0
	s_wait_kmcnt 0x0
	v_mov_b64_e32 v[10:11], s[4:5]
	s_sub_co_i32 s1, s10, s0
	s_mov_b32 s3, exec_lo
	v_or_b32_e32 v8, 1, v7
	ds_store_b64 v6, v[4:5]
	s_wait_dscnt 0x0
	s_barrier_signal -1
	s_barrier_wait -1
	v_cmp_gt_u32_e32 vcc_lo, s1, v8
	v_dual_cndmask_b32 v9, 0, v3 :: v_dual_cndmask_b32 v8, 0, v2
	v_cmpx_ne_u32_e32 0, v0
; %bb.16:
	v_add_nc_u32_e32 v10, -8, v6
	ds_load_b64 v[10:11], v10
; %bb.17:
	s_or_b32 exec_lo, exec_lo, s3
	v_cmp_gt_u32_e32 vcc_lo, s1, v7
	v_sub_nc_u64_e32 v[8:9], v[4:5], v[8:9]
	s_wait_dscnt 0x0
	v_dual_cndmask_b32 v11, 0, v11 :: v_dual_cndmask_b32 v10, 0, v10
.LBB253_18:
	s_mov_b32 s3, -1
	s_cbranch_execnz .LBB253_27
.LBB253_19:
	s_cmp_lg_u64 s[18:19], 1
	v_cmp_ne_u32_e32 vcc_lo, 0, v0
	s_cbranch_scc0 .LBB253_23
; %bb.20:
	s_mov_b32 s0, 0
	ds_store_b64 v6, v[4:5]
	s_wait_dscnt 0x0
	s_barrier_signal -1
	s_barrier_wait -1
                                        ; implicit-def: $vgpr10_vgpr11
	s_and_saveexec_b32 s1, vcc_lo
; %bb.21:
	v_add_nc_u32_e32 v7, -8, v6
	s_or_b32 s3, s3, exec_lo
	ds_load_b64 v[10:11], v7
; %bb.22:
	s_or_b32 exec_lo, exec_lo, s1
	v_sub_nc_u64_e32 v[8:9], v[4:5], v[2:3]
	s_and_b32 vcc_lo, exec_lo, s0
	s_cbranch_vccnz .LBB253_24
	s_branch .LBB253_27
.LBB253_23:
                                        ; implicit-def: $vgpr8_vgpr9
                                        ; implicit-def: $vgpr10_vgpr11
	s_cbranch_execz .LBB253_27
.LBB253_24:
	v_lshlrev_b32_e32 v7, 1, v0
	v_cmp_ne_u32_e64 s0, 0, v0
	ds_store_b64 v6, v[4:5]
	s_wait_dscnt 0x0
	s_barrier_signal -1
	v_or_b32_e32 v8, 1, v7
	s_barrier_wait -1
                                        ; implicit-def: $vgpr10_vgpr11
	s_delay_alu instid0(VALU_DEP_1) | instskip(SKIP_4) | instid1(SALU_CYCLE_1)
	v_cmp_gt_u32_e32 vcc_lo, s10, v8
	v_cndmask_b32_e32 v9, 0, v3, vcc_lo
	v_cmp_gt_u32_e64 s1, s10, v7
	v_cndmask_b32_e32 v8, 0, v2, vcc_lo
	s_and_b32 s1, s0, s1
	s_and_saveexec_b32 s0, s1
; %bb.25:
	v_add_nc_u32_e32 v7, -8, v6
	s_or_b32 s3, s3, exec_lo
	ds_load_b64 v[10:11], v7
; %bb.26:
	s_or_b32 exec_lo, exec_lo, s0
	v_sub_nc_u64_e32 v[8:9], v[4:5], v[8:9]
.LBB253_27:
	s_and_saveexec_b32 s0, s3
	s_cbranch_execz .LBB253_29
; %bb.28:
	s_wait_dscnt 0x0
	v_sub_nc_u64_e32 v[2:3], v[2:3], v[10:11]
.LBB253_29:
	s_or_b32 exec_lo, exec_lo, s0
	s_add_nc_u64 s[0:1], s[8:9], s[16:17]
	s_and_b32 vcc_lo, exec_lo, s11
	s_wait_dscnt 0x0
	s_barrier_signal -1
	s_barrier_wait -1
	s_cbranch_vccz .LBB253_33
; %bb.30:
	v_dual_mov_b32 v4, v8 :: v_dual_lshrrev_b32 v7, 2, v12
	s_mov_b32 s3, 0
	s_lshl_b32 s8, s6, 10
	s_wait_kmcnt 0x0
	s_lshl_b64 s[4:5], s[2:3], 3
	v_and_b32_e32 v7, 0xf8, v7
	v_mov_b32_e32 v5, v9
	s_add_nc_u64 s[6:7], s[0:1], s[4:5]
	s_sub_co_i32 s4, s10, s8
	s_mov_b32 s5, exec_lo
	ds_store_2addr_b64 v13, v[2:3], v[4:5] offset1:1
	v_add_nc_u32_e32 v4, v7, v6
	s_wait_dscnt 0x0
	s_barrier_signal -1
	s_barrier_wait -1
	ds_load_b64 v[4:5], v4 offset:4096
	v_mov_b32_e32 v7, 0
	s_delay_alu instid0(VALU_DEP_1)
	v_add_nc_u64_e32 v[10:11], s[6:7], v[6:7]
	v_cmpx_gt_u32_e64 s4, v0
	s_cbranch_execz .LBB253_32
; %bb.31:
	v_and_b32_e32 v7, 0x78, v1
	s_delay_alu instid0(VALU_DEP_1)
	v_lshl_add_u32 v7, v0, 3, v7
	ds_load_b64 v[14:15], v7
	s_wait_dscnt 0x0
	global_store_b64 v[10:11], v[14:15], off
.LBB253_32:
	s_wait_xcnt 0x0
	s_or_b32 exec_lo, exec_lo, s5
	v_cmp_gt_u32_e64 s4, s4, v12
	s_and_b32 vcc_lo, exec_lo, s3
	s_cbranch_vccnz .LBB253_34
	s_branch .LBB253_35
.LBB253_33:
	s_wait_kmcnt 0x0
	s_mov_b32 s4, 0
                                        ; implicit-def: $vgpr4_vgpr5
                                        ; implicit-def: $vgpr10_vgpr11
	s_cbranch_execz .LBB253_35
.LBB253_34:
	v_and_b32_e32 v1, 0x78, v1
	s_wait_dscnt 0x0
	v_lshrrev_b32_e32 v4, 2, v12
	ds_store_2addr_b64 v13, v[2:3], v[8:9] offset1:1
	s_wait_storecnt_dscnt 0x0
	s_barrier_signal -1
	v_add_nc_u32_e32 v1, v1, v6
	v_and_b32_e32 v4, 0xf8, v4
	s_barrier_wait -1
	s_mov_b32 s3, 0
	s_delay_alu instid0(VALU_DEP_1)
	v_dual_mov_b32 v7, 0 :: v_dual_add_nc_u32 v4, v4, v6
	s_lshl_b64 s[2:3], s[2:3], 3
	s_or_b32 s4, s4, exec_lo
	ds_load_b64 v[2:3], v1
	ds_load_b64 v[4:5], v4 offset:4096
	s_add_nc_u64 s[0:1], s[0:1], s[2:3]
	s_delay_alu instid0(SALU_CYCLE_1)
	v_add_nc_u64_e32 v[10:11], s[0:1], v[6:7]
	s_wait_dscnt 0x1
	global_store_b64 v0, v[2:3], s[0:1] scale_offset
.LBB253_35:
	s_wait_xcnt 0x0
	s_and_saveexec_b32 s0, s4
	s_cbranch_execnz .LBB253_37
; %bb.36:
	s_endpgm
.LBB253_37:
	s_wait_dscnt 0x0
	global_store_b64 v[10:11], v[4:5], off offset:4096
	s_endpgm
	.section	.rodata,"a",@progbits
	.p2align	6, 0x0
	.amdhsa_kernel _ZN7rocprim17ROCPRIM_400000_NS6detail17trampoline_kernelINS0_14default_configENS1_35adjacent_difference_config_selectorILb1ElEEZNS1_24adjacent_difference_implIS3_Lb1ELb0EPlS7_N6thrust23THRUST_200600_302600_NS5minusIlEEEE10hipError_tPvRmT2_T3_mT4_P12ihipStream_tbEUlT_E_NS1_11comp_targetILNS1_3genE0ELNS1_11target_archE4294967295ELNS1_3gpuE0ELNS1_3repE0EEENS1_30default_config_static_selectorELNS0_4arch9wavefront6targetE0EEEvT1_
		.amdhsa_group_segment_fixed_size 8448
		.amdhsa_private_segment_fixed_size 0
		.amdhsa_kernarg_size 56
		.amdhsa_user_sgpr_count 2
		.amdhsa_user_sgpr_dispatch_ptr 0
		.amdhsa_user_sgpr_queue_ptr 0
		.amdhsa_user_sgpr_kernarg_segment_ptr 1
		.amdhsa_user_sgpr_dispatch_id 0
		.amdhsa_user_sgpr_kernarg_preload_length 0
		.amdhsa_user_sgpr_kernarg_preload_offset 0
		.amdhsa_user_sgpr_private_segment_size 0
		.amdhsa_wavefront_size32 1
		.amdhsa_uses_dynamic_stack 0
		.amdhsa_enable_private_segment 0
		.amdhsa_system_sgpr_workgroup_id_x 1
		.amdhsa_system_sgpr_workgroup_id_y 0
		.amdhsa_system_sgpr_workgroup_id_z 0
		.amdhsa_system_sgpr_workgroup_info 0
		.amdhsa_system_vgpr_workitem_id 0
		.amdhsa_next_free_vgpr 16
		.amdhsa_next_free_sgpr 25
		.amdhsa_named_barrier_count 0
		.amdhsa_reserve_vcc 1
		.amdhsa_float_round_mode_32 0
		.amdhsa_float_round_mode_16_64 0
		.amdhsa_float_denorm_mode_32 3
		.amdhsa_float_denorm_mode_16_64 3
		.amdhsa_fp16_overflow 0
		.amdhsa_memory_ordered 1
		.amdhsa_forward_progress 1
		.amdhsa_inst_pref_size 11
		.amdhsa_round_robin_scheduling 0
		.amdhsa_exception_fp_ieee_invalid_op 0
		.amdhsa_exception_fp_denorm_src 0
		.amdhsa_exception_fp_ieee_div_zero 0
		.amdhsa_exception_fp_ieee_overflow 0
		.amdhsa_exception_fp_ieee_underflow 0
		.amdhsa_exception_fp_ieee_inexact 0
		.amdhsa_exception_int_div_zero 0
	.end_amdhsa_kernel
	.section	.text._ZN7rocprim17ROCPRIM_400000_NS6detail17trampoline_kernelINS0_14default_configENS1_35adjacent_difference_config_selectorILb1ElEEZNS1_24adjacent_difference_implIS3_Lb1ELb0EPlS7_N6thrust23THRUST_200600_302600_NS5minusIlEEEE10hipError_tPvRmT2_T3_mT4_P12ihipStream_tbEUlT_E_NS1_11comp_targetILNS1_3genE0ELNS1_11target_archE4294967295ELNS1_3gpuE0ELNS1_3repE0EEENS1_30default_config_static_selectorELNS0_4arch9wavefront6targetE0EEEvT1_,"axG",@progbits,_ZN7rocprim17ROCPRIM_400000_NS6detail17trampoline_kernelINS0_14default_configENS1_35adjacent_difference_config_selectorILb1ElEEZNS1_24adjacent_difference_implIS3_Lb1ELb0EPlS7_N6thrust23THRUST_200600_302600_NS5minusIlEEEE10hipError_tPvRmT2_T3_mT4_P12ihipStream_tbEUlT_E_NS1_11comp_targetILNS1_3genE0ELNS1_11target_archE4294967295ELNS1_3gpuE0ELNS1_3repE0EEENS1_30default_config_static_selectorELNS0_4arch9wavefront6targetE0EEEvT1_,comdat
.Lfunc_end253:
	.size	_ZN7rocprim17ROCPRIM_400000_NS6detail17trampoline_kernelINS0_14default_configENS1_35adjacent_difference_config_selectorILb1ElEEZNS1_24adjacent_difference_implIS3_Lb1ELb0EPlS7_N6thrust23THRUST_200600_302600_NS5minusIlEEEE10hipError_tPvRmT2_T3_mT4_P12ihipStream_tbEUlT_E_NS1_11comp_targetILNS1_3genE0ELNS1_11target_archE4294967295ELNS1_3gpuE0ELNS1_3repE0EEENS1_30default_config_static_selectorELNS0_4arch9wavefront6targetE0EEEvT1_, .Lfunc_end253-_ZN7rocprim17ROCPRIM_400000_NS6detail17trampoline_kernelINS0_14default_configENS1_35adjacent_difference_config_selectorILb1ElEEZNS1_24adjacent_difference_implIS3_Lb1ELb0EPlS7_N6thrust23THRUST_200600_302600_NS5minusIlEEEE10hipError_tPvRmT2_T3_mT4_P12ihipStream_tbEUlT_E_NS1_11comp_targetILNS1_3genE0ELNS1_11target_archE4294967295ELNS1_3gpuE0ELNS1_3repE0EEENS1_30default_config_static_selectorELNS0_4arch9wavefront6targetE0EEEvT1_
                                        ; -- End function
	.set _ZN7rocprim17ROCPRIM_400000_NS6detail17trampoline_kernelINS0_14default_configENS1_35adjacent_difference_config_selectorILb1ElEEZNS1_24adjacent_difference_implIS3_Lb1ELb0EPlS7_N6thrust23THRUST_200600_302600_NS5minusIlEEEE10hipError_tPvRmT2_T3_mT4_P12ihipStream_tbEUlT_E_NS1_11comp_targetILNS1_3genE0ELNS1_11target_archE4294967295ELNS1_3gpuE0ELNS1_3repE0EEENS1_30default_config_static_selectorELNS0_4arch9wavefront6targetE0EEEvT1_.num_vgpr, 16
	.set _ZN7rocprim17ROCPRIM_400000_NS6detail17trampoline_kernelINS0_14default_configENS1_35adjacent_difference_config_selectorILb1ElEEZNS1_24adjacent_difference_implIS3_Lb1ELb0EPlS7_N6thrust23THRUST_200600_302600_NS5minusIlEEEE10hipError_tPvRmT2_T3_mT4_P12ihipStream_tbEUlT_E_NS1_11comp_targetILNS1_3genE0ELNS1_11target_archE4294967295ELNS1_3gpuE0ELNS1_3repE0EEENS1_30default_config_static_selectorELNS0_4arch9wavefront6targetE0EEEvT1_.num_agpr, 0
	.set _ZN7rocprim17ROCPRIM_400000_NS6detail17trampoline_kernelINS0_14default_configENS1_35adjacent_difference_config_selectorILb1ElEEZNS1_24adjacent_difference_implIS3_Lb1ELb0EPlS7_N6thrust23THRUST_200600_302600_NS5minusIlEEEE10hipError_tPvRmT2_T3_mT4_P12ihipStream_tbEUlT_E_NS1_11comp_targetILNS1_3genE0ELNS1_11target_archE4294967295ELNS1_3gpuE0ELNS1_3repE0EEENS1_30default_config_static_selectorELNS0_4arch9wavefront6targetE0EEEvT1_.numbered_sgpr, 25
	.set _ZN7rocprim17ROCPRIM_400000_NS6detail17trampoline_kernelINS0_14default_configENS1_35adjacent_difference_config_selectorILb1ElEEZNS1_24adjacent_difference_implIS3_Lb1ELb0EPlS7_N6thrust23THRUST_200600_302600_NS5minusIlEEEE10hipError_tPvRmT2_T3_mT4_P12ihipStream_tbEUlT_E_NS1_11comp_targetILNS1_3genE0ELNS1_11target_archE4294967295ELNS1_3gpuE0ELNS1_3repE0EEENS1_30default_config_static_selectorELNS0_4arch9wavefront6targetE0EEEvT1_.num_named_barrier, 0
	.set _ZN7rocprim17ROCPRIM_400000_NS6detail17trampoline_kernelINS0_14default_configENS1_35adjacent_difference_config_selectorILb1ElEEZNS1_24adjacent_difference_implIS3_Lb1ELb0EPlS7_N6thrust23THRUST_200600_302600_NS5minusIlEEEE10hipError_tPvRmT2_T3_mT4_P12ihipStream_tbEUlT_E_NS1_11comp_targetILNS1_3genE0ELNS1_11target_archE4294967295ELNS1_3gpuE0ELNS1_3repE0EEENS1_30default_config_static_selectorELNS0_4arch9wavefront6targetE0EEEvT1_.private_seg_size, 0
	.set _ZN7rocprim17ROCPRIM_400000_NS6detail17trampoline_kernelINS0_14default_configENS1_35adjacent_difference_config_selectorILb1ElEEZNS1_24adjacent_difference_implIS3_Lb1ELb0EPlS7_N6thrust23THRUST_200600_302600_NS5minusIlEEEE10hipError_tPvRmT2_T3_mT4_P12ihipStream_tbEUlT_E_NS1_11comp_targetILNS1_3genE0ELNS1_11target_archE4294967295ELNS1_3gpuE0ELNS1_3repE0EEENS1_30default_config_static_selectorELNS0_4arch9wavefront6targetE0EEEvT1_.uses_vcc, 1
	.set _ZN7rocprim17ROCPRIM_400000_NS6detail17trampoline_kernelINS0_14default_configENS1_35adjacent_difference_config_selectorILb1ElEEZNS1_24adjacent_difference_implIS3_Lb1ELb0EPlS7_N6thrust23THRUST_200600_302600_NS5minusIlEEEE10hipError_tPvRmT2_T3_mT4_P12ihipStream_tbEUlT_E_NS1_11comp_targetILNS1_3genE0ELNS1_11target_archE4294967295ELNS1_3gpuE0ELNS1_3repE0EEENS1_30default_config_static_selectorELNS0_4arch9wavefront6targetE0EEEvT1_.uses_flat_scratch, 0
	.set _ZN7rocprim17ROCPRIM_400000_NS6detail17trampoline_kernelINS0_14default_configENS1_35adjacent_difference_config_selectorILb1ElEEZNS1_24adjacent_difference_implIS3_Lb1ELb0EPlS7_N6thrust23THRUST_200600_302600_NS5minusIlEEEE10hipError_tPvRmT2_T3_mT4_P12ihipStream_tbEUlT_E_NS1_11comp_targetILNS1_3genE0ELNS1_11target_archE4294967295ELNS1_3gpuE0ELNS1_3repE0EEENS1_30default_config_static_selectorELNS0_4arch9wavefront6targetE0EEEvT1_.has_dyn_sized_stack, 0
	.set _ZN7rocprim17ROCPRIM_400000_NS6detail17trampoline_kernelINS0_14default_configENS1_35adjacent_difference_config_selectorILb1ElEEZNS1_24adjacent_difference_implIS3_Lb1ELb0EPlS7_N6thrust23THRUST_200600_302600_NS5minusIlEEEE10hipError_tPvRmT2_T3_mT4_P12ihipStream_tbEUlT_E_NS1_11comp_targetILNS1_3genE0ELNS1_11target_archE4294967295ELNS1_3gpuE0ELNS1_3repE0EEENS1_30default_config_static_selectorELNS0_4arch9wavefront6targetE0EEEvT1_.has_recursion, 0
	.set _ZN7rocprim17ROCPRIM_400000_NS6detail17trampoline_kernelINS0_14default_configENS1_35adjacent_difference_config_selectorILb1ElEEZNS1_24adjacent_difference_implIS3_Lb1ELb0EPlS7_N6thrust23THRUST_200600_302600_NS5minusIlEEEE10hipError_tPvRmT2_T3_mT4_P12ihipStream_tbEUlT_E_NS1_11comp_targetILNS1_3genE0ELNS1_11target_archE4294967295ELNS1_3gpuE0ELNS1_3repE0EEENS1_30default_config_static_selectorELNS0_4arch9wavefront6targetE0EEEvT1_.has_indirect_call, 0
	.section	.AMDGPU.csdata,"",@progbits
; Kernel info:
; codeLenInByte = 1360
; TotalNumSgprs: 27
; NumVgprs: 16
; ScratchSize: 0
; MemoryBound: 0
; FloatMode: 240
; IeeeMode: 1
; LDSByteSize: 8448 bytes/workgroup (compile time only)
; SGPRBlocks: 0
; VGPRBlocks: 0
; NumSGPRsForWavesPerEU: 27
; NumVGPRsForWavesPerEU: 16
; NamedBarCnt: 0
; Occupancy: 16
; WaveLimiterHint : 1
; COMPUTE_PGM_RSRC2:SCRATCH_EN: 0
; COMPUTE_PGM_RSRC2:USER_SGPR: 2
; COMPUTE_PGM_RSRC2:TRAP_HANDLER: 0
; COMPUTE_PGM_RSRC2:TGID_X_EN: 1
; COMPUTE_PGM_RSRC2:TGID_Y_EN: 0
; COMPUTE_PGM_RSRC2:TGID_Z_EN: 0
; COMPUTE_PGM_RSRC2:TIDIG_COMP_CNT: 0
	.section	.text._ZN7rocprim17ROCPRIM_400000_NS6detail17trampoline_kernelINS0_14default_configENS1_35adjacent_difference_config_selectorILb1ElEEZNS1_24adjacent_difference_implIS3_Lb1ELb0EPlS7_N6thrust23THRUST_200600_302600_NS5minusIlEEEE10hipError_tPvRmT2_T3_mT4_P12ihipStream_tbEUlT_E_NS1_11comp_targetILNS1_3genE10ELNS1_11target_archE1201ELNS1_3gpuE5ELNS1_3repE0EEENS1_30default_config_static_selectorELNS0_4arch9wavefront6targetE0EEEvT1_,"axG",@progbits,_ZN7rocprim17ROCPRIM_400000_NS6detail17trampoline_kernelINS0_14default_configENS1_35adjacent_difference_config_selectorILb1ElEEZNS1_24adjacent_difference_implIS3_Lb1ELb0EPlS7_N6thrust23THRUST_200600_302600_NS5minusIlEEEE10hipError_tPvRmT2_T3_mT4_P12ihipStream_tbEUlT_E_NS1_11comp_targetILNS1_3genE10ELNS1_11target_archE1201ELNS1_3gpuE5ELNS1_3repE0EEENS1_30default_config_static_selectorELNS0_4arch9wavefront6targetE0EEEvT1_,comdat
	.protected	_ZN7rocprim17ROCPRIM_400000_NS6detail17trampoline_kernelINS0_14default_configENS1_35adjacent_difference_config_selectorILb1ElEEZNS1_24adjacent_difference_implIS3_Lb1ELb0EPlS7_N6thrust23THRUST_200600_302600_NS5minusIlEEEE10hipError_tPvRmT2_T3_mT4_P12ihipStream_tbEUlT_E_NS1_11comp_targetILNS1_3genE10ELNS1_11target_archE1201ELNS1_3gpuE5ELNS1_3repE0EEENS1_30default_config_static_selectorELNS0_4arch9wavefront6targetE0EEEvT1_ ; -- Begin function _ZN7rocprim17ROCPRIM_400000_NS6detail17trampoline_kernelINS0_14default_configENS1_35adjacent_difference_config_selectorILb1ElEEZNS1_24adjacent_difference_implIS3_Lb1ELb0EPlS7_N6thrust23THRUST_200600_302600_NS5minusIlEEEE10hipError_tPvRmT2_T3_mT4_P12ihipStream_tbEUlT_E_NS1_11comp_targetILNS1_3genE10ELNS1_11target_archE1201ELNS1_3gpuE5ELNS1_3repE0EEENS1_30default_config_static_selectorELNS0_4arch9wavefront6targetE0EEEvT1_
	.globl	_ZN7rocprim17ROCPRIM_400000_NS6detail17trampoline_kernelINS0_14default_configENS1_35adjacent_difference_config_selectorILb1ElEEZNS1_24adjacent_difference_implIS3_Lb1ELb0EPlS7_N6thrust23THRUST_200600_302600_NS5minusIlEEEE10hipError_tPvRmT2_T3_mT4_P12ihipStream_tbEUlT_E_NS1_11comp_targetILNS1_3genE10ELNS1_11target_archE1201ELNS1_3gpuE5ELNS1_3repE0EEENS1_30default_config_static_selectorELNS0_4arch9wavefront6targetE0EEEvT1_
	.p2align	8
	.type	_ZN7rocprim17ROCPRIM_400000_NS6detail17trampoline_kernelINS0_14default_configENS1_35adjacent_difference_config_selectorILb1ElEEZNS1_24adjacent_difference_implIS3_Lb1ELb0EPlS7_N6thrust23THRUST_200600_302600_NS5minusIlEEEE10hipError_tPvRmT2_T3_mT4_P12ihipStream_tbEUlT_E_NS1_11comp_targetILNS1_3genE10ELNS1_11target_archE1201ELNS1_3gpuE5ELNS1_3repE0EEENS1_30default_config_static_selectorELNS0_4arch9wavefront6targetE0EEEvT1_,@function
_ZN7rocprim17ROCPRIM_400000_NS6detail17trampoline_kernelINS0_14default_configENS1_35adjacent_difference_config_selectorILb1ElEEZNS1_24adjacent_difference_implIS3_Lb1ELb0EPlS7_N6thrust23THRUST_200600_302600_NS5minusIlEEEE10hipError_tPvRmT2_T3_mT4_P12ihipStream_tbEUlT_E_NS1_11comp_targetILNS1_3genE10ELNS1_11target_archE1201ELNS1_3gpuE5ELNS1_3repE0EEENS1_30default_config_static_selectorELNS0_4arch9wavefront6targetE0EEEvT1_: ; @_ZN7rocprim17ROCPRIM_400000_NS6detail17trampoline_kernelINS0_14default_configENS1_35adjacent_difference_config_selectorILb1ElEEZNS1_24adjacent_difference_implIS3_Lb1ELb0EPlS7_N6thrust23THRUST_200600_302600_NS5minusIlEEEE10hipError_tPvRmT2_T3_mT4_P12ihipStream_tbEUlT_E_NS1_11comp_targetILNS1_3genE10ELNS1_11target_archE1201ELNS1_3gpuE5ELNS1_3repE0EEENS1_30default_config_static_selectorELNS0_4arch9wavefront6targetE0EEEvT1_
; %bb.0:
	.section	.rodata,"a",@progbits
	.p2align	6, 0x0
	.amdhsa_kernel _ZN7rocprim17ROCPRIM_400000_NS6detail17trampoline_kernelINS0_14default_configENS1_35adjacent_difference_config_selectorILb1ElEEZNS1_24adjacent_difference_implIS3_Lb1ELb0EPlS7_N6thrust23THRUST_200600_302600_NS5minusIlEEEE10hipError_tPvRmT2_T3_mT4_P12ihipStream_tbEUlT_E_NS1_11comp_targetILNS1_3genE10ELNS1_11target_archE1201ELNS1_3gpuE5ELNS1_3repE0EEENS1_30default_config_static_selectorELNS0_4arch9wavefront6targetE0EEEvT1_
		.amdhsa_group_segment_fixed_size 0
		.amdhsa_private_segment_fixed_size 0
		.amdhsa_kernarg_size 56
		.amdhsa_user_sgpr_count 2
		.amdhsa_user_sgpr_dispatch_ptr 0
		.amdhsa_user_sgpr_queue_ptr 0
		.amdhsa_user_sgpr_kernarg_segment_ptr 1
		.amdhsa_user_sgpr_dispatch_id 0
		.amdhsa_user_sgpr_kernarg_preload_length 0
		.amdhsa_user_sgpr_kernarg_preload_offset 0
		.amdhsa_user_sgpr_private_segment_size 0
		.amdhsa_wavefront_size32 1
		.amdhsa_uses_dynamic_stack 0
		.amdhsa_enable_private_segment 0
		.amdhsa_system_sgpr_workgroup_id_x 1
		.amdhsa_system_sgpr_workgroup_id_y 0
		.amdhsa_system_sgpr_workgroup_id_z 0
		.amdhsa_system_sgpr_workgroup_info 0
		.amdhsa_system_vgpr_workitem_id 0
		.amdhsa_next_free_vgpr 1
		.amdhsa_next_free_sgpr 1
		.amdhsa_named_barrier_count 0
		.amdhsa_reserve_vcc 0
		.amdhsa_float_round_mode_32 0
		.amdhsa_float_round_mode_16_64 0
		.amdhsa_float_denorm_mode_32 3
		.amdhsa_float_denorm_mode_16_64 3
		.amdhsa_fp16_overflow 0
		.amdhsa_memory_ordered 1
		.amdhsa_forward_progress 1
		.amdhsa_inst_pref_size 0
		.amdhsa_round_robin_scheduling 0
		.amdhsa_exception_fp_ieee_invalid_op 0
		.amdhsa_exception_fp_denorm_src 0
		.amdhsa_exception_fp_ieee_div_zero 0
		.amdhsa_exception_fp_ieee_overflow 0
		.amdhsa_exception_fp_ieee_underflow 0
		.amdhsa_exception_fp_ieee_inexact 0
		.amdhsa_exception_int_div_zero 0
	.end_amdhsa_kernel
	.section	.text._ZN7rocprim17ROCPRIM_400000_NS6detail17trampoline_kernelINS0_14default_configENS1_35adjacent_difference_config_selectorILb1ElEEZNS1_24adjacent_difference_implIS3_Lb1ELb0EPlS7_N6thrust23THRUST_200600_302600_NS5minusIlEEEE10hipError_tPvRmT2_T3_mT4_P12ihipStream_tbEUlT_E_NS1_11comp_targetILNS1_3genE10ELNS1_11target_archE1201ELNS1_3gpuE5ELNS1_3repE0EEENS1_30default_config_static_selectorELNS0_4arch9wavefront6targetE0EEEvT1_,"axG",@progbits,_ZN7rocprim17ROCPRIM_400000_NS6detail17trampoline_kernelINS0_14default_configENS1_35adjacent_difference_config_selectorILb1ElEEZNS1_24adjacent_difference_implIS3_Lb1ELb0EPlS7_N6thrust23THRUST_200600_302600_NS5minusIlEEEE10hipError_tPvRmT2_T3_mT4_P12ihipStream_tbEUlT_E_NS1_11comp_targetILNS1_3genE10ELNS1_11target_archE1201ELNS1_3gpuE5ELNS1_3repE0EEENS1_30default_config_static_selectorELNS0_4arch9wavefront6targetE0EEEvT1_,comdat
.Lfunc_end254:
	.size	_ZN7rocprim17ROCPRIM_400000_NS6detail17trampoline_kernelINS0_14default_configENS1_35adjacent_difference_config_selectorILb1ElEEZNS1_24adjacent_difference_implIS3_Lb1ELb0EPlS7_N6thrust23THRUST_200600_302600_NS5minusIlEEEE10hipError_tPvRmT2_T3_mT4_P12ihipStream_tbEUlT_E_NS1_11comp_targetILNS1_3genE10ELNS1_11target_archE1201ELNS1_3gpuE5ELNS1_3repE0EEENS1_30default_config_static_selectorELNS0_4arch9wavefront6targetE0EEEvT1_, .Lfunc_end254-_ZN7rocprim17ROCPRIM_400000_NS6detail17trampoline_kernelINS0_14default_configENS1_35adjacent_difference_config_selectorILb1ElEEZNS1_24adjacent_difference_implIS3_Lb1ELb0EPlS7_N6thrust23THRUST_200600_302600_NS5minusIlEEEE10hipError_tPvRmT2_T3_mT4_P12ihipStream_tbEUlT_E_NS1_11comp_targetILNS1_3genE10ELNS1_11target_archE1201ELNS1_3gpuE5ELNS1_3repE0EEENS1_30default_config_static_selectorELNS0_4arch9wavefront6targetE0EEEvT1_
                                        ; -- End function
	.set _ZN7rocprim17ROCPRIM_400000_NS6detail17trampoline_kernelINS0_14default_configENS1_35adjacent_difference_config_selectorILb1ElEEZNS1_24adjacent_difference_implIS3_Lb1ELb0EPlS7_N6thrust23THRUST_200600_302600_NS5minusIlEEEE10hipError_tPvRmT2_T3_mT4_P12ihipStream_tbEUlT_E_NS1_11comp_targetILNS1_3genE10ELNS1_11target_archE1201ELNS1_3gpuE5ELNS1_3repE0EEENS1_30default_config_static_selectorELNS0_4arch9wavefront6targetE0EEEvT1_.num_vgpr, 0
	.set _ZN7rocprim17ROCPRIM_400000_NS6detail17trampoline_kernelINS0_14default_configENS1_35adjacent_difference_config_selectorILb1ElEEZNS1_24adjacent_difference_implIS3_Lb1ELb0EPlS7_N6thrust23THRUST_200600_302600_NS5minusIlEEEE10hipError_tPvRmT2_T3_mT4_P12ihipStream_tbEUlT_E_NS1_11comp_targetILNS1_3genE10ELNS1_11target_archE1201ELNS1_3gpuE5ELNS1_3repE0EEENS1_30default_config_static_selectorELNS0_4arch9wavefront6targetE0EEEvT1_.num_agpr, 0
	.set _ZN7rocprim17ROCPRIM_400000_NS6detail17trampoline_kernelINS0_14default_configENS1_35adjacent_difference_config_selectorILb1ElEEZNS1_24adjacent_difference_implIS3_Lb1ELb0EPlS7_N6thrust23THRUST_200600_302600_NS5minusIlEEEE10hipError_tPvRmT2_T3_mT4_P12ihipStream_tbEUlT_E_NS1_11comp_targetILNS1_3genE10ELNS1_11target_archE1201ELNS1_3gpuE5ELNS1_3repE0EEENS1_30default_config_static_selectorELNS0_4arch9wavefront6targetE0EEEvT1_.numbered_sgpr, 0
	.set _ZN7rocprim17ROCPRIM_400000_NS6detail17trampoline_kernelINS0_14default_configENS1_35adjacent_difference_config_selectorILb1ElEEZNS1_24adjacent_difference_implIS3_Lb1ELb0EPlS7_N6thrust23THRUST_200600_302600_NS5minusIlEEEE10hipError_tPvRmT2_T3_mT4_P12ihipStream_tbEUlT_E_NS1_11comp_targetILNS1_3genE10ELNS1_11target_archE1201ELNS1_3gpuE5ELNS1_3repE0EEENS1_30default_config_static_selectorELNS0_4arch9wavefront6targetE0EEEvT1_.num_named_barrier, 0
	.set _ZN7rocprim17ROCPRIM_400000_NS6detail17trampoline_kernelINS0_14default_configENS1_35adjacent_difference_config_selectorILb1ElEEZNS1_24adjacent_difference_implIS3_Lb1ELb0EPlS7_N6thrust23THRUST_200600_302600_NS5minusIlEEEE10hipError_tPvRmT2_T3_mT4_P12ihipStream_tbEUlT_E_NS1_11comp_targetILNS1_3genE10ELNS1_11target_archE1201ELNS1_3gpuE5ELNS1_3repE0EEENS1_30default_config_static_selectorELNS0_4arch9wavefront6targetE0EEEvT1_.private_seg_size, 0
	.set _ZN7rocprim17ROCPRIM_400000_NS6detail17trampoline_kernelINS0_14default_configENS1_35adjacent_difference_config_selectorILb1ElEEZNS1_24adjacent_difference_implIS3_Lb1ELb0EPlS7_N6thrust23THRUST_200600_302600_NS5minusIlEEEE10hipError_tPvRmT2_T3_mT4_P12ihipStream_tbEUlT_E_NS1_11comp_targetILNS1_3genE10ELNS1_11target_archE1201ELNS1_3gpuE5ELNS1_3repE0EEENS1_30default_config_static_selectorELNS0_4arch9wavefront6targetE0EEEvT1_.uses_vcc, 0
	.set _ZN7rocprim17ROCPRIM_400000_NS6detail17trampoline_kernelINS0_14default_configENS1_35adjacent_difference_config_selectorILb1ElEEZNS1_24adjacent_difference_implIS3_Lb1ELb0EPlS7_N6thrust23THRUST_200600_302600_NS5minusIlEEEE10hipError_tPvRmT2_T3_mT4_P12ihipStream_tbEUlT_E_NS1_11comp_targetILNS1_3genE10ELNS1_11target_archE1201ELNS1_3gpuE5ELNS1_3repE0EEENS1_30default_config_static_selectorELNS0_4arch9wavefront6targetE0EEEvT1_.uses_flat_scratch, 0
	.set _ZN7rocprim17ROCPRIM_400000_NS6detail17trampoline_kernelINS0_14default_configENS1_35adjacent_difference_config_selectorILb1ElEEZNS1_24adjacent_difference_implIS3_Lb1ELb0EPlS7_N6thrust23THRUST_200600_302600_NS5minusIlEEEE10hipError_tPvRmT2_T3_mT4_P12ihipStream_tbEUlT_E_NS1_11comp_targetILNS1_3genE10ELNS1_11target_archE1201ELNS1_3gpuE5ELNS1_3repE0EEENS1_30default_config_static_selectorELNS0_4arch9wavefront6targetE0EEEvT1_.has_dyn_sized_stack, 0
	.set _ZN7rocprim17ROCPRIM_400000_NS6detail17trampoline_kernelINS0_14default_configENS1_35adjacent_difference_config_selectorILb1ElEEZNS1_24adjacent_difference_implIS3_Lb1ELb0EPlS7_N6thrust23THRUST_200600_302600_NS5minusIlEEEE10hipError_tPvRmT2_T3_mT4_P12ihipStream_tbEUlT_E_NS1_11comp_targetILNS1_3genE10ELNS1_11target_archE1201ELNS1_3gpuE5ELNS1_3repE0EEENS1_30default_config_static_selectorELNS0_4arch9wavefront6targetE0EEEvT1_.has_recursion, 0
	.set _ZN7rocprim17ROCPRIM_400000_NS6detail17trampoline_kernelINS0_14default_configENS1_35adjacent_difference_config_selectorILb1ElEEZNS1_24adjacent_difference_implIS3_Lb1ELb0EPlS7_N6thrust23THRUST_200600_302600_NS5minusIlEEEE10hipError_tPvRmT2_T3_mT4_P12ihipStream_tbEUlT_E_NS1_11comp_targetILNS1_3genE10ELNS1_11target_archE1201ELNS1_3gpuE5ELNS1_3repE0EEENS1_30default_config_static_selectorELNS0_4arch9wavefront6targetE0EEEvT1_.has_indirect_call, 0
	.section	.AMDGPU.csdata,"",@progbits
; Kernel info:
; codeLenInByte = 0
; TotalNumSgprs: 0
; NumVgprs: 0
; ScratchSize: 0
; MemoryBound: 0
; FloatMode: 240
; IeeeMode: 1
; LDSByteSize: 0 bytes/workgroup (compile time only)
; SGPRBlocks: 0
; VGPRBlocks: 0
; NumSGPRsForWavesPerEU: 1
; NumVGPRsForWavesPerEU: 1
; NamedBarCnt: 0
; Occupancy: 16
; WaveLimiterHint : 0
; COMPUTE_PGM_RSRC2:SCRATCH_EN: 0
; COMPUTE_PGM_RSRC2:USER_SGPR: 2
; COMPUTE_PGM_RSRC2:TRAP_HANDLER: 0
; COMPUTE_PGM_RSRC2:TGID_X_EN: 1
; COMPUTE_PGM_RSRC2:TGID_Y_EN: 0
; COMPUTE_PGM_RSRC2:TGID_Z_EN: 0
; COMPUTE_PGM_RSRC2:TIDIG_COMP_CNT: 0
	.section	.text._ZN7rocprim17ROCPRIM_400000_NS6detail17trampoline_kernelINS0_14default_configENS1_35adjacent_difference_config_selectorILb1ElEEZNS1_24adjacent_difference_implIS3_Lb1ELb0EPlS7_N6thrust23THRUST_200600_302600_NS5minusIlEEEE10hipError_tPvRmT2_T3_mT4_P12ihipStream_tbEUlT_E_NS1_11comp_targetILNS1_3genE5ELNS1_11target_archE942ELNS1_3gpuE9ELNS1_3repE0EEENS1_30default_config_static_selectorELNS0_4arch9wavefront6targetE0EEEvT1_,"axG",@progbits,_ZN7rocprim17ROCPRIM_400000_NS6detail17trampoline_kernelINS0_14default_configENS1_35adjacent_difference_config_selectorILb1ElEEZNS1_24adjacent_difference_implIS3_Lb1ELb0EPlS7_N6thrust23THRUST_200600_302600_NS5minusIlEEEE10hipError_tPvRmT2_T3_mT4_P12ihipStream_tbEUlT_E_NS1_11comp_targetILNS1_3genE5ELNS1_11target_archE942ELNS1_3gpuE9ELNS1_3repE0EEENS1_30default_config_static_selectorELNS0_4arch9wavefront6targetE0EEEvT1_,comdat
	.protected	_ZN7rocprim17ROCPRIM_400000_NS6detail17trampoline_kernelINS0_14default_configENS1_35adjacent_difference_config_selectorILb1ElEEZNS1_24adjacent_difference_implIS3_Lb1ELb0EPlS7_N6thrust23THRUST_200600_302600_NS5minusIlEEEE10hipError_tPvRmT2_T3_mT4_P12ihipStream_tbEUlT_E_NS1_11comp_targetILNS1_3genE5ELNS1_11target_archE942ELNS1_3gpuE9ELNS1_3repE0EEENS1_30default_config_static_selectorELNS0_4arch9wavefront6targetE0EEEvT1_ ; -- Begin function _ZN7rocprim17ROCPRIM_400000_NS6detail17trampoline_kernelINS0_14default_configENS1_35adjacent_difference_config_selectorILb1ElEEZNS1_24adjacent_difference_implIS3_Lb1ELb0EPlS7_N6thrust23THRUST_200600_302600_NS5minusIlEEEE10hipError_tPvRmT2_T3_mT4_P12ihipStream_tbEUlT_E_NS1_11comp_targetILNS1_3genE5ELNS1_11target_archE942ELNS1_3gpuE9ELNS1_3repE0EEENS1_30default_config_static_selectorELNS0_4arch9wavefront6targetE0EEEvT1_
	.globl	_ZN7rocprim17ROCPRIM_400000_NS6detail17trampoline_kernelINS0_14default_configENS1_35adjacent_difference_config_selectorILb1ElEEZNS1_24adjacent_difference_implIS3_Lb1ELb0EPlS7_N6thrust23THRUST_200600_302600_NS5minusIlEEEE10hipError_tPvRmT2_T3_mT4_P12ihipStream_tbEUlT_E_NS1_11comp_targetILNS1_3genE5ELNS1_11target_archE942ELNS1_3gpuE9ELNS1_3repE0EEENS1_30default_config_static_selectorELNS0_4arch9wavefront6targetE0EEEvT1_
	.p2align	8
	.type	_ZN7rocprim17ROCPRIM_400000_NS6detail17trampoline_kernelINS0_14default_configENS1_35adjacent_difference_config_selectorILb1ElEEZNS1_24adjacent_difference_implIS3_Lb1ELb0EPlS7_N6thrust23THRUST_200600_302600_NS5minusIlEEEE10hipError_tPvRmT2_T3_mT4_P12ihipStream_tbEUlT_E_NS1_11comp_targetILNS1_3genE5ELNS1_11target_archE942ELNS1_3gpuE9ELNS1_3repE0EEENS1_30default_config_static_selectorELNS0_4arch9wavefront6targetE0EEEvT1_,@function
_ZN7rocprim17ROCPRIM_400000_NS6detail17trampoline_kernelINS0_14default_configENS1_35adjacent_difference_config_selectorILb1ElEEZNS1_24adjacent_difference_implIS3_Lb1ELb0EPlS7_N6thrust23THRUST_200600_302600_NS5minusIlEEEE10hipError_tPvRmT2_T3_mT4_P12ihipStream_tbEUlT_E_NS1_11comp_targetILNS1_3genE5ELNS1_11target_archE942ELNS1_3gpuE9ELNS1_3repE0EEENS1_30default_config_static_selectorELNS0_4arch9wavefront6targetE0EEEvT1_: ; @_ZN7rocprim17ROCPRIM_400000_NS6detail17trampoline_kernelINS0_14default_configENS1_35adjacent_difference_config_selectorILb1ElEEZNS1_24adjacent_difference_implIS3_Lb1ELb0EPlS7_N6thrust23THRUST_200600_302600_NS5minusIlEEEE10hipError_tPvRmT2_T3_mT4_P12ihipStream_tbEUlT_E_NS1_11comp_targetILNS1_3genE5ELNS1_11target_archE942ELNS1_3gpuE9ELNS1_3repE0EEENS1_30default_config_static_selectorELNS0_4arch9wavefront6targetE0EEEvT1_
; %bb.0:
	.section	.rodata,"a",@progbits
	.p2align	6, 0x0
	.amdhsa_kernel _ZN7rocprim17ROCPRIM_400000_NS6detail17trampoline_kernelINS0_14default_configENS1_35adjacent_difference_config_selectorILb1ElEEZNS1_24adjacent_difference_implIS3_Lb1ELb0EPlS7_N6thrust23THRUST_200600_302600_NS5minusIlEEEE10hipError_tPvRmT2_T3_mT4_P12ihipStream_tbEUlT_E_NS1_11comp_targetILNS1_3genE5ELNS1_11target_archE942ELNS1_3gpuE9ELNS1_3repE0EEENS1_30default_config_static_selectorELNS0_4arch9wavefront6targetE0EEEvT1_
		.amdhsa_group_segment_fixed_size 0
		.amdhsa_private_segment_fixed_size 0
		.amdhsa_kernarg_size 56
		.amdhsa_user_sgpr_count 2
		.amdhsa_user_sgpr_dispatch_ptr 0
		.amdhsa_user_sgpr_queue_ptr 0
		.amdhsa_user_sgpr_kernarg_segment_ptr 1
		.amdhsa_user_sgpr_dispatch_id 0
		.amdhsa_user_sgpr_kernarg_preload_length 0
		.amdhsa_user_sgpr_kernarg_preload_offset 0
		.amdhsa_user_sgpr_private_segment_size 0
		.amdhsa_wavefront_size32 1
		.amdhsa_uses_dynamic_stack 0
		.amdhsa_enable_private_segment 0
		.amdhsa_system_sgpr_workgroup_id_x 1
		.amdhsa_system_sgpr_workgroup_id_y 0
		.amdhsa_system_sgpr_workgroup_id_z 0
		.amdhsa_system_sgpr_workgroup_info 0
		.amdhsa_system_vgpr_workitem_id 0
		.amdhsa_next_free_vgpr 1
		.amdhsa_next_free_sgpr 1
		.amdhsa_named_barrier_count 0
		.amdhsa_reserve_vcc 0
		.amdhsa_float_round_mode_32 0
		.amdhsa_float_round_mode_16_64 0
		.amdhsa_float_denorm_mode_32 3
		.amdhsa_float_denorm_mode_16_64 3
		.amdhsa_fp16_overflow 0
		.amdhsa_memory_ordered 1
		.amdhsa_forward_progress 1
		.amdhsa_inst_pref_size 0
		.amdhsa_round_robin_scheduling 0
		.amdhsa_exception_fp_ieee_invalid_op 0
		.amdhsa_exception_fp_denorm_src 0
		.amdhsa_exception_fp_ieee_div_zero 0
		.amdhsa_exception_fp_ieee_overflow 0
		.amdhsa_exception_fp_ieee_underflow 0
		.amdhsa_exception_fp_ieee_inexact 0
		.amdhsa_exception_int_div_zero 0
	.end_amdhsa_kernel
	.section	.text._ZN7rocprim17ROCPRIM_400000_NS6detail17trampoline_kernelINS0_14default_configENS1_35adjacent_difference_config_selectorILb1ElEEZNS1_24adjacent_difference_implIS3_Lb1ELb0EPlS7_N6thrust23THRUST_200600_302600_NS5minusIlEEEE10hipError_tPvRmT2_T3_mT4_P12ihipStream_tbEUlT_E_NS1_11comp_targetILNS1_3genE5ELNS1_11target_archE942ELNS1_3gpuE9ELNS1_3repE0EEENS1_30default_config_static_selectorELNS0_4arch9wavefront6targetE0EEEvT1_,"axG",@progbits,_ZN7rocprim17ROCPRIM_400000_NS6detail17trampoline_kernelINS0_14default_configENS1_35adjacent_difference_config_selectorILb1ElEEZNS1_24adjacent_difference_implIS3_Lb1ELb0EPlS7_N6thrust23THRUST_200600_302600_NS5minusIlEEEE10hipError_tPvRmT2_T3_mT4_P12ihipStream_tbEUlT_E_NS1_11comp_targetILNS1_3genE5ELNS1_11target_archE942ELNS1_3gpuE9ELNS1_3repE0EEENS1_30default_config_static_selectorELNS0_4arch9wavefront6targetE0EEEvT1_,comdat
.Lfunc_end255:
	.size	_ZN7rocprim17ROCPRIM_400000_NS6detail17trampoline_kernelINS0_14default_configENS1_35adjacent_difference_config_selectorILb1ElEEZNS1_24adjacent_difference_implIS3_Lb1ELb0EPlS7_N6thrust23THRUST_200600_302600_NS5minusIlEEEE10hipError_tPvRmT2_T3_mT4_P12ihipStream_tbEUlT_E_NS1_11comp_targetILNS1_3genE5ELNS1_11target_archE942ELNS1_3gpuE9ELNS1_3repE0EEENS1_30default_config_static_selectorELNS0_4arch9wavefront6targetE0EEEvT1_, .Lfunc_end255-_ZN7rocprim17ROCPRIM_400000_NS6detail17trampoline_kernelINS0_14default_configENS1_35adjacent_difference_config_selectorILb1ElEEZNS1_24adjacent_difference_implIS3_Lb1ELb0EPlS7_N6thrust23THRUST_200600_302600_NS5minusIlEEEE10hipError_tPvRmT2_T3_mT4_P12ihipStream_tbEUlT_E_NS1_11comp_targetILNS1_3genE5ELNS1_11target_archE942ELNS1_3gpuE9ELNS1_3repE0EEENS1_30default_config_static_selectorELNS0_4arch9wavefront6targetE0EEEvT1_
                                        ; -- End function
	.set _ZN7rocprim17ROCPRIM_400000_NS6detail17trampoline_kernelINS0_14default_configENS1_35adjacent_difference_config_selectorILb1ElEEZNS1_24adjacent_difference_implIS3_Lb1ELb0EPlS7_N6thrust23THRUST_200600_302600_NS5minusIlEEEE10hipError_tPvRmT2_T3_mT4_P12ihipStream_tbEUlT_E_NS1_11comp_targetILNS1_3genE5ELNS1_11target_archE942ELNS1_3gpuE9ELNS1_3repE0EEENS1_30default_config_static_selectorELNS0_4arch9wavefront6targetE0EEEvT1_.num_vgpr, 0
	.set _ZN7rocprim17ROCPRIM_400000_NS6detail17trampoline_kernelINS0_14default_configENS1_35adjacent_difference_config_selectorILb1ElEEZNS1_24adjacent_difference_implIS3_Lb1ELb0EPlS7_N6thrust23THRUST_200600_302600_NS5minusIlEEEE10hipError_tPvRmT2_T3_mT4_P12ihipStream_tbEUlT_E_NS1_11comp_targetILNS1_3genE5ELNS1_11target_archE942ELNS1_3gpuE9ELNS1_3repE0EEENS1_30default_config_static_selectorELNS0_4arch9wavefront6targetE0EEEvT1_.num_agpr, 0
	.set _ZN7rocprim17ROCPRIM_400000_NS6detail17trampoline_kernelINS0_14default_configENS1_35adjacent_difference_config_selectorILb1ElEEZNS1_24adjacent_difference_implIS3_Lb1ELb0EPlS7_N6thrust23THRUST_200600_302600_NS5minusIlEEEE10hipError_tPvRmT2_T3_mT4_P12ihipStream_tbEUlT_E_NS1_11comp_targetILNS1_3genE5ELNS1_11target_archE942ELNS1_3gpuE9ELNS1_3repE0EEENS1_30default_config_static_selectorELNS0_4arch9wavefront6targetE0EEEvT1_.numbered_sgpr, 0
	.set _ZN7rocprim17ROCPRIM_400000_NS6detail17trampoline_kernelINS0_14default_configENS1_35adjacent_difference_config_selectorILb1ElEEZNS1_24adjacent_difference_implIS3_Lb1ELb0EPlS7_N6thrust23THRUST_200600_302600_NS5minusIlEEEE10hipError_tPvRmT2_T3_mT4_P12ihipStream_tbEUlT_E_NS1_11comp_targetILNS1_3genE5ELNS1_11target_archE942ELNS1_3gpuE9ELNS1_3repE0EEENS1_30default_config_static_selectorELNS0_4arch9wavefront6targetE0EEEvT1_.num_named_barrier, 0
	.set _ZN7rocprim17ROCPRIM_400000_NS6detail17trampoline_kernelINS0_14default_configENS1_35adjacent_difference_config_selectorILb1ElEEZNS1_24adjacent_difference_implIS3_Lb1ELb0EPlS7_N6thrust23THRUST_200600_302600_NS5minusIlEEEE10hipError_tPvRmT2_T3_mT4_P12ihipStream_tbEUlT_E_NS1_11comp_targetILNS1_3genE5ELNS1_11target_archE942ELNS1_3gpuE9ELNS1_3repE0EEENS1_30default_config_static_selectorELNS0_4arch9wavefront6targetE0EEEvT1_.private_seg_size, 0
	.set _ZN7rocprim17ROCPRIM_400000_NS6detail17trampoline_kernelINS0_14default_configENS1_35adjacent_difference_config_selectorILb1ElEEZNS1_24adjacent_difference_implIS3_Lb1ELb0EPlS7_N6thrust23THRUST_200600_302600_NS5minusIlEEEE10hipError_tPvRmT2_T3_mT4_P12ihipStream_tbEUlT_E_NS1_11comp_targetILNS1_3genE5ELNS1_11target_archE942ELNS1_3gpuE9ELNS1_3repE0EEENS1_30default_config_static_selectorELNS0_4arch9wavefront6targetE0EEEvT1_.uses_vcc, 0
	.set _ZN7rocprim17ROCPRIM_400000_NS6detail17trampoline_kernelINS0_14default_configENS1_35adjacent_difference_config_selectorILb1ElEEZNS1_24adjacent_difference_implIS3_Lb1ELb0EPlS7_N6thrust23THRUST_200600_302600_NS5minusIlEEEE10hipError_tPvRmT2_T3_mT4_P12ihipStream_tbEUlT_E_NS1_11comp_targetILNS1_3genE5ELNS1_11target_archE942ELNS1_3gpuE9ELNS1_3repE0EEENS1_30default_config_static_selectorELNS0_4arch9wavefront6targetE0EEEvT1_.uses_flat_scratch, 0
	.set _ZN7rocprim17ROCPRIM_400000_NS6detail17trampoline_kernelINS0_14default_configENS1_35adjacent_difference_config_selectorILb1ElEEZNS1_24adjacent_difference_implIS3_Lb1ELb0EPlS7_N6thrust23THRUST_200600_302600_NS5minusIlEEEE10hipError_tPvRmT2_T3_mT4_P12ihipStream_tbEUlT_E_NS1_11comp_targetILNS1_3genE5ELNS1_11target_archE942ELNS1_3gpuE9ELNS1_3repE0EEENS1_30default_config_static_selectorELNS0_4arch9wavefront6targetE0EEEvT1_.has_dyn_sized_stack, 0
	.set _ZN7rocprim17ROCPRIM_400000_NS6detail17trampoline_kernelINS0_14default_configENS1_35adjacent_difference_config_selectorILb1ElEEZNS1_24adjacent_difference_implIS3_Lb1ELb0EPlS7_N6thrust23THRUST_200600_302600_NS5minusIlEEEE10hipError_tPvRmT2_T3_mT4_P12ihipStream_tbEUlT_E_NS1_11comp_targetILNS1_3genE5ELNS1_11target_archE942ELNS1_3gpuE9ELNS1_3repE0EEENS1_30default_config_static_selectorELNS0_4arch9wavefront6targetE0EEEvT1_.has_recursion, 0
	.set _ZN7rocprim17ROCPRIM_400000_NS6detail17trampoline_kernelINS0_14default_configENS1_35adjacent_difference_config_selectorILb1ElEEZNS1_24adjacent_difference_implIS3_Lb1ELb0EPlS7_N6thrust23THRUST_200600_302600_NS5minusIlEEEE10hipError_tPvRmT2_T3_mT4_P12ihipStream_tbEUlT_E_NS1_11comp_targetILNS1_3genE5ELNS1_11target_archE942ELNS1_3gpuE9ELNS1_3repE0EEENS1_30default_config_static_selectorELNS0_4arch9wavefront6targetE0EEEvT1_.has_indirect_call, 0
	.section	.AMDGPU.csdata,"",@progbits
; Kernel info:
; codeLenInByte = 0
; TotalNumSgprs: 0
; NumVgprs: 0
; ScratchSize: 0
; MemoryBound: 0
; FloatMode: 240
; IeeeMode: 1
; LDSByteSize: 0 bytes/workgroup (compile time only)
; SGPRBlocks: 0
; VGPRBlocks: 0
; NumSGPRsForWavesPerEU: 1
; NumVGPRsForWavesPerEU: 1
; NamedBarCnt: 0
; Occupancy: 16
; WaveLimiterHint : 0
; COMPUTE_PGM_RSRC2:SCRATCH_EN: 0
; COMPUTE_PGM_RSRC2:USER_SGPR: 2
; COMPUTE_PGM_RSRC2:TRAP_HANDLER: 0
; COMPUTE_PGM_RSRC2:TGID_X_EN: 1
; COMPUTE_PGM_RSRC2:TGID_Y_EN: 0
; COMPUTE_PGM_RSRC2:TGID_Z_EN: 0
; COMPUTE_PGM_RSRC2:TIDIG_COMP_CNT: 0
	.section	.text._ZN7rocprim17ROCPRIM_400000_NS6detail17trampoline_kernelINS0_14default_configENS1_35adjacent_difference_config_selectorILb1ElEEZNS1_24adjacent_difference_implIS3_Lb1ELb0EPlS7_N6thrust23THRUST_200600_302600_NS5minusIlEEEE10hipError_tPvRmT2_T3_mT4_P12ihipStream_tbEUlT_E_NS1_11comp_targetILNS1_3genE4ELNS1_11target_archE910ELNS1_3gpuE8ELNS1_3repE0EEENS1_30default_config_static_selectorELNS0_4arch9wavefront6targetE0EEEvT1_,"axG",@progbits,_ZN7rocprim17ROCPRIM_400000_NS6detail17trampoline_kernelINS0_14default_configENS1_35adjacent_difference_config_selectorILb1ElEEZNS1_24adjacent_difference_implIS3_Lb1ELb0EPlS7_N6thrust23THRUST_200600_302600_NS5minusIlEEEE10hipError_tPvRmT2_T3_mT4_P12ihipStream_tbEUlT_E_NS1_11comp_targetILNS1_3genE4ELNS1_11target_archE910ELNS1_3gpuE8ELNS1_3repE0EEENS1_30default_config_static_selectorELNS0_4arch9wavefront6targetE0EEEvT1_,comdat
	.protected	_ZN7rocprim17ROCPRIM_400000_NS6detail17trampoline_kernelINS0_14default_configENS1_35adjacent_difference_config_selectorILb1ElEEZNS1_24adjacent_difference_implIS3_Lb1ELb0EPlS7_N6thrust23THRUST_200600_302600_NS5minusIlEEEE10hipError_tPvRmT2_T3_mT4_P12ihipStream_tbEUlT_E_NS1_11comp_targetILNS1_3genE4ELNS1_11target_archE910ELNS1_3gpuE8ELNS1_3repE0EEENS1_30default_config_static_selectorELNS0_4arch9wavefront6targetE0EEEvT1_ ; -- Begin function _ZN7rocprim17ROCPRIM_400000_NS6detail17trampoline_kernelINS0_14default_configENS1_35adjacent_difference_config_selectorILb1ElEEZNS1_24adjacent_difference_implIS3_Lb1ELb0EPlS7_N6thrust23THRUST_200600_302600_NS5minusIlEEEE10hipError_tPvRmT2_T3_mT4_P12ihipStream_tbEUlT_E_NS1_11comp_targetILNS1_3genE4ELNS1_11target_archE910ELNS1_3gpuE8ELNS1_3repE0EEENS1_30default_config_static_selectorELNS0_4arch9wavefront6targetE0EEEvT1_
	.globl	_ZN7rocprim17ROCPRIM_400000_NS6detail17trampoline_kernelINS0_14default_configENS1_35adjacent_difference_config_selectorILb1ElEEZNS1_24adjacent_difference_implIS3_Lb1ELb0EPlS7_N6thrust23THRUST_200600_302600_NS5minusIlEEEE10hipError_tPvRmT2_T3_mT4_P12ihipStream_tbEUlT_E_NS1_11comp_targetILNS1_3genE4ELNS1_11target_archE910ELNS1_3gpuE8ELNS1_3repE0EEENS1_30default_config_static_selectorELNS0_4arch9wavefront6targetE0EEEvT1_
	.p2align	8
	.type	_ZN7rocprim17ROCPRIM_400000_NS6detail17trampoline_kernelINS0_14default_configENS1_35adjacent_difference_config_selectorILb1ElEEZNS1_24adjacent_difference_implIS3_Lb1ELb0EPlS7_N6thrust23THRUST_200600_302600_NS5minusIlEEEE10hipError_tPvRmT2_T3_mT4_P12ihipStream_tbEUlT_E_NS1_11comp_targetILNS1_3genE4ELNS1_11target_archE910ELNS1_3gpuE8ELNS1_3repE0EEENS1_30default_config_static_selectorELNS0_4arch9wavefront6targetE0EEEvT1_,@function
_ZN7rocprim17ROCPRIM_400000_NS6detail17trampoline_kernelINS0_14default_configENS1_35adjacent_difference_config_selectorILb1ElEEZNS1_24adjacent_difference_implIS3_Lb1ELb0EPlS7_N6thrust23THRUST_200600_302600_NS5minusIlEEEE10hipError_tPvRmT2_T3_mT4_P12ihipStream_tbEUlT_E_NS1_11comp_targetILNS1_3genE4ELNS1_11target_archE910ELNS1_3gpuE8ELNS1_3repE0EEENS1_30default_config_static_selectorELNS0_4arch9wavefront6targetE0EEEvT1_: ; @_ZN7rocprim17ROCPRIM_400000_NS6detail17trampoline_kernelINS0_14default_configENS1_35adjacent_difference_config_selectorILb1ElEEZNS1_24adjacent_difference_implIS3_Lb1ELb0EPlS7_N6thrust23THRUST_200600_302600_NS5minusIlEEEE10hipError_tPvRmT2_T3_mT4_P12ihipStream_tbEUlT_E_NS1_11comp_targetILNS1_3genE4ELNS1_11target_archE910ELNS1_3gpuE8ELNS1_3repE0EEENS1_30default_config_static_selectorELNS0_4arch9wavefront6targetE0EEEvT1_
; %bb.0:
	.section	.rodata,"a",@progbits
	.p2align	6, 0x0
	.amdhsa_kernel _ZN7rocprim17ROCPRIM_400000_NS6detail17trampoline_kernelINS0_14default_configENS1_35adjacent_difference_config_selectorILb1ElEEZNS1_24adjacent_difference_implIS3_Lb1ELb0EPlS7_N6thrust23THRUST_200600_302600_NS5minusIlEEEE10hipError_tPvRmT2_T3_mT4_P12ihipStream_tbEUlT_E_NS1_11comp_targetILNS1_3genE4ELNS1_11target_archE910ELNS1_3gpuE8ELNS1_3repE0EEENS1_30default_config_static_selectorELNS0_4arch9wavefront6targetE0EEEvT1_
		.amdhsa_group_segment_fixed_size 0
		.amdhsa_private_segment_fixed_size 0
		.amdhsa_kernarg_size 56
		.amdhsa_user_sgpr_count 2
		.amdhsa_user_sgpr_dispatch_ptr 0
		.amdhsa_user_sgpr_queue_ptr 0
		.amdhsa_user_sgpr_kernarg_segment_ptr 1
		.amdhsa_user_sgpr_dispatch_id 0
		.amdhsa_user_sgpr_kernarg_preload_length 0
		.amdhsa_user_sgpr_kernarg_preload_offset 0
		.amdhsa_user_sgpr_private_segment_size 0
		.amdhsa_wavefront_size32 1
		.amdhsa_uses_dynamic_stack 0
		.amdhsa_enable_private_segment 0
		.amdhsa_system_sgpr_workgroup_id_x 1
		.amdhsa_system_sgpr_workgroup_id_y 0
		.amdhsa_system_sgpr_workgroup_id_z 0
		.amdhsa_system_sgpr_workgroup_info 0
		.amdhsa_system_vgpr_workitem_id 0
		.amdhsa_next_free_vgpr 1
		.amdhsa_next_free_sgpr 1
		.amdhsa_named_barrier_count 0
		.amdhsa_reserve_vcc 0
		.amdhsa_float_round_mode_32 0
		.amdhsa_float_round_mode_16_64 0
		.amdhsa_float_denorm_mode_32 3
		.amdhsa_float_denorm_mode_16_64 3
		.amdhsa_fp16_overflow 0
		.amdhsa_memory_ordered 1
		.amdhsa_forward_progress 1
		.amdhsa_inst_pref_size 0
		.amdhsa_round_robin_scheduling 0
		.amdhsa_exception_fp_ieee_invalid_op 0
		.amdhsa_exception_fp_denorm_src 0
		.amdhsa_exception_fp_ieee_div_zero 0
		.amdhsa_exception_fp_ieee_overflow 0
		.amdhsa_exception_fp_ieee_underflow 0
		.amdhsa_exception_fp_ieee_inexact 0
		.amdhsa_exception_int_div_zero 0
	.end_amdhsa_kernel
	.section	.text._ZN7rocprim17ROCPRIM_400000_NS6detail17trampoline_kernelINS0_14default_configENS1_35adjacent_difference_config_selectorILb1ElEEZNS1_24adjacent_difference_implIS3_Lb1ELb0EPlS7_N6thrust23THRUST_200600_302600_NS5minusIlEEEE10hipError_tPvRmT2_T3_mT4_P12ihipStream_tbEUlT_E_NS1_11comp_targetILNS1_3genE4ELNS1_11target_archE910ELNS1_3gpuE8ELNS1_3repE0EEENS1_30default_config_static_selectorELNS0_4arch9wavefront6targetE0EEEvT1_,"axG",@progbits,_ZN7rocprim17ROCPRIM_400000_NS6detail17trampoline_kernelINS0_14default_configENS1_35adjacent_difference_config_selectorILb1ElEEZNS1_24adjacent_difference_implIS3_Lb1ELb0EPlS7_N6thrust23THRUST_200600_302600_NS5minusIlEEEE10hipError_tPvRmT2_T3_mT4_P12ihipStream_tbEUlT_E_NS1_11comp_targetILNS1_3genE4ELNS1_11target_archE910ELNS1_3gpuE8ELNS1_3repE0EEENS1_30default_config_static_selectorELNS0_4arch9wavefront6targetE0EEEvT1_,comdat
.Lfunc_end256:
	.size	_ZN7rocprim17ROCPRIM_400000_NS6detail17trampoline_kernelINS0_14default_configENS1_35adjacent_difference_config_selectorILb1ElEEZNS1_24adjacent_difference_implIS3_Lb1ELb0EPlS7_N6thrust23THRUST_200600_302600_NS5minusIlEEEE10hipError_tPvRmT2_T3_mT4_P12ihipStream_tbEUlT_E_NS1_11comp_targetILNS1_3genE4ELNS1_11target_archE910ELNS1_3gpuE8ELNS1_3repE0EEENS1_30default_config_static_selectorELNS0_4arch9wavefront6targetE0EEEvT1_, .Lfunc_end256-_ZN7rocprim17ROCPRIM_400000_NS6detail17trampoline_kernelINS0_14default_configENS1_35adjacent_difference_config_selectorILb1ElEEZNS1_24adjacent_difference_implIS3_Lb1ELb0EPlS7_N6thrust23THRUST_200600_302600_NS5minusIlEEEE10hipError_tPvRmT2_T3_mT4_P12ihipStream_tbEUlT_E_NS1_11comp_targetILNS1_3genE4ELNS1_11target_archE910ELNS1_3gpuE8ELNS1_3repE0EEENS1_30default_config_static_selectorELNS0_4arch9wavefront6targetE0EEEvT1_
                                        ; -- End function
	.set _ZN7rocprim17ROCPRIM_400000_NS6detail17trampoline_kernelINS0_14default_configENS1_35adjacent_difference_config_selectorILb1ElEEZNS1_24adjacent_difference_implIS3_Lb1ELb0EPlS7_N6thrust23THRUST_200600_302600_NS5minusIlEEEE10hipError_tPvRmT2_T3_mT4_P12ihipStream_tbEUlT_E_NS1_11comp_targetILNS1_3genE4ELNS1_11target_archE910ELNS1_3gpuE8ELNS1_3repE0EEENS1_30default_config_static_selectorELNS0_4arch9wavefront6targetE0EEEvT1_.num_vgpr, 0
	.set _ZN7rocprim17ROCPRIM_400000_NS6detail17trampoline_kernelINS0_14default_configENS1_35adjacent_difference_config_selectorILb1ElEEZNS1_24adjacent_difference_implIS3_Lb1ELb0EPlS7_N6thrust23THRUST_200600_302600_NS5minusIlEEEE10hipError_tPvRmT2_T3_mT4_P12ihipStream_tbEUlT_E_NS1_11comp_targetILNS1_3genE4ELNS1_11target_archE910ELNS1_3gpuE8ELNS1_3repE0EEENS1_30default_config_static_selectorELNS0_4arch9wavefront6targetE0EEEvT1_.num_agpr, 0
	.set _ZN7rocprim17ROCPRIM_400000_NS6detail17trampoline_kernelINS0_14default_configENS1_35adjacent_difference_config_selectorILb1ElEEZNS1_24adjacent_difference_implIS3_Lb1ELb0EPlS7_N6thrust23THRUST_200600_302600_NS5minusIlEEEE10hipError_tPvRmT2_T3_mT4_P12ihipStream_tbEUlT_E_NS1_11comp_targetILNS1_3genE4ELNS1_11target_archE910ELNS1_3gpuE8ELNS1_3repE0EEENS1_30default_config_static_selectorELNS0_4arch9wavefront6targetE0EEEvT1_.numbered_sgpr, 0
	.set _ZN7rocprim17ROCPRIM_400000_NS6detail17trampoline_kernelINS0_14default_configENS1_35adjacent_difference_config_selectorILb1ElEEZNS1_24adjacent_difference_implIS3_Lb1ELb0EPlS7_N6thrust23THRUST_200600_302600_NS5minusIlEEEE10hipError_tPvRmT2_T3_mT4_P12ihipStream_tbEUlT_E_NS1_11comp_targetILNS1_3genE4ELNS1_11target_archE910ELNS1_3gpuE8ELNS1_3repE0EEENS1_30default_config_static_selectorELNS0_4arch9wavefront6targetE0EEEvT1_.num_named_barrier, 0
	.set _ZN7rocprim17ROCPRIM_400000_NS6detail17trampoline_kernelINS0_14default_configENS1_35adjacent_difference_config_selectorILb1ElEEZNS1_24adjacent_difference_implIS3_Lb1ELb0EPlS7_N6thrust23THRUST_200600_302600_NS5minusIlEEEE10hipError_tPvRmT2_T3_mT4_P12ihipStream_tbEUlT_E_NS1_11comp_targetILNS1_3genE4ELNS1_11target_archE910ELNS1_3gpuE8ELNS1_3repE0EEENS1_30default_config_static_selectorELNS0_4arch9wavefront6targetE0EEEvT1_.private_seg_size, 0
	.set _ZN7rocprim17ROCPRIM_400000_NS6detail17trampoline_kernelINS0_14default_configENS1_35adjacent_difference_config_selectorILb1ElEEZNS1_24adjacent_difference_implIS3_Lb1ELb0EPlS7_N6thrust23THRUST_200600_302600_NS5minusIlEEEE10hipError_tPvRmT2_T3_mT4_P12ihipStream_tbEUlT_E_NS1_11comp_targetILNS1_3genE4ELNS1_11target_archE910ELNS1_3gpuE8ELNS1_3repE0EEENS1_30default_config_static_selectorELNS0_4arch9wavefront6targetE0EEEvT1_.uses_vcc, 0
	.set _ZN7rocprim17ROCPRIM_400000_NS6detail17trampoline_kernelINS0_14default_configENS1_35adjacent_difference_config_selectorILb1ElEEZNS1_24adjacent_difference_implIS3_Lb1ELb0EPlS7_N6thrust23THRUST_200600_302600_NS5minusIlEEEE10hipError_tPvRmT2_T3_mT4_P12ihipStream_tbEUlT_E_NS1_11comp_targetILNS1_3genE4ELNS1_11target_archE910ELNS1_3gpuE8ELNS1_3repE0EEENS1_30default_config_static_selectorELNS0_4arch9wavefront6targetE0EEEvT1_.uses_flat_scratch, 0
	.set _ZN7rocprim17ROCPRIM_400000_NS6detail17trampoline_kernelINS0_14default_configENS1_35adjacent_difference_config_selectorILb1ElEEZNS1_24adjacent_difference_implIS3_Lb1ELb0EPlS7_N6thrust23THRUST_200600_302600_NS5minusIlEEEE10hipError_tPvRmT2_T3_mT4_P12ihipStream_tbEUlT_E_NS1_11comp_targetILNS1_3genE4ELNS1_11target_archE910ELNS1_3gpuE8ELNS1_3repE0EEENS1_30default_config_static_selectorELNS0_4arch9wavefront6targetE0EEEvT1_.has_dyn_sized_stack, 0
	.set _ZN7rocprim17ROCPRIM_400000_NS6detail17trampoline_kernelINS0_14default_configENS1_35adjacent_difference_config_selectorILb1ElEEZNS1_24adjacent_difference_implIS3_Lb1ELb0EPlS7_N6thrust23THRUST_200600_302600_NS5minusIlEEEE10hipError_tPvRmT2_T3_mT4_P12ihipStream_tbEUlT_E_NS1_11comp_targetILNS1_3genE4ELNS1_11target_archE910ELNS1_3gpuE8ELNS1_3repE0EEENS1_30default_config_static_selectorELNS0_4arch9wavefront6targetE0EEEvT1_.has_recursion, 0
	.set _ZN7rocprim17ROCPRIM_400000_NS6detail17trampoline_kernelINS0_14default_configENS1_35adjacent_difference_config_selectorILb1ElEEZNS1_24adjacent_difference_implIS3_Lb1ELb0EPlS7_N6thrust23THRUST_200600_302600_NS5minusIlEEEE10hipError_tPvRmT2_T3_mT4_P12ihipStream_tbEUlT_E_NS1_11comp_targetILNS1_3genE4ELNS1_11target_archE910ELNS1_3gpuE8ELNS1_3repE0EEENS1_30default_config_static_selectorELNS0_4arch9wavefront6targetE0EEEvT1_.has_indirect_call, 0
	.section	.AMDGPU.csdata,"",@progbits
; Kernel info:
; codeLenInByte = 0
; TotalNumSgprs: 0
; NumVgprs: 0
; ScratchSize: 0
; MemoryBound: 0
; FloatMode: 240
; IeeeMode: 1
; LDSByteSize: 0 bytes/workgroup (compile time only)
; SGPRBlocks: 0
; VGPRBlocks: 0
; NumSGPRsForWavesPerEU: 1
; NumVGPRsForWavesPerEU: 1
; NamedBarCnt: 0
; Occupancy: 16
; WaveLimiterHint : 0
; COMPUTE_PGM_RSRC2:SCRATCH_EN: 0
; COMPUTE_PGM_RSRC2:USER_SGPR: 2
; COMPUTE_PGM_RSRC2:TRAP_HANDLER: 0
; COMPUTE_PGM_RSRC2:TGID_X_EN: 1
; COMPUTE_PGM_RSRC2:TGID_Y_EN: 0
; COMPUTE_PGM_RSRC2:TGID_Z_EN: 0
; COMPUTE_PGM_RSRC2:TIDIG_COMP_CNT: 0
	.section	.text._ZN7rocprim17ROCPRIM_400000_NS6detail17trampoline_kernelINS0_14default_configENS1_35adjacent_difference_config_selectorILb1ElEEZNS1_24adjacent_difference_implIS3_Lb1ELb0EPlS7_N6thrust23THRUST_200600_302600_NS5minusIlEEEE10hipError_tPvRmT2_T3_mT4_P12ihipStream_tbEUlT_E_NS1_11comp_targetILNS1_3genE3ELNS1_11target_archE908ELNS1_3gpuE7ELNS1_3repE0EEENS1_30default_config_static_selectorELNS0_4arch9wavefront6targetE0EEEvT1_,"axG",@progbits,_ZN7rocprim17ROCPRIM_400000_NS6detail17trampoline_kernelINS0_14default_configENS1_35adjacent_difference_config_selectorILb1ElEEZNS1_24adjacent_difference_implIS3_Lb1ELb0EPlS7_N6thrust23THRUST_200600_302600_NS5minusIlEEEE10hipError_tPvRmT2_T3_mT4_P12ihipStream_tbEUlT_E_NS1_11comp_targetILNS1_3genE3ELNS1_11target_archE908ELNS1_3gpuE7ELNS1_3repE0EEENS1_30default_config_static_selectorELNS0_4arch9wavefront6targetE0EEEvT1_,comdat
	.protected	_ZN7rocprim17ROCPRIM_400000_NS6detail17trampoline_kernelINS0_14default_configENS1_35adjacent_difference_config_selectorILb1ElEEZNS1_24adjacent_difference_implIS3_Lb1ELb0EPlS7_N6thrust23THRUST_200600_302600_NS5minusIlEEEE10hipError_tPvRmT2_T3_mT4_P12ihipStream_tbEUlT_E_NS1_11comp_targetILNS1_3genE3ELNS1_11target_archE908ELNS1_3gpuE7ELNS1_3repE0EEENS1_30default_config_static_selectorELNS0_4arch9wavefront6targetE0EEEvT1_ ; -- Begin function _ZN7rocprim17ROCPRIM_400000_NS6detail17trampoline_kernelINS0_14default_configENS1_35adjacent_difference_config_selectorILb1ElEEZNS1_24adjacent_difference_implIS3_Lb1ELb0EPlS7_N6thrust23THRUST_200600_302600_NS5minusIlEEEE10hipError_tPvRmT2_T3_mT4_P12ihipStream_tbEUlT_E_NS1_11comp_targetILNS1_3genE3ELNS1_11target_archE908ELNS1_3gpuE7ELNS1_3repE0EEENS1_30default_config_static_selectorELNS0_4arch9wavefront6targetE0EEEvT1_
	.globl	_ZN7rocprim17ROCPRIM_400000_NS6detail17trampoline_kernelINS0_14default_configENS1_35adjacent_difference_config_selectorILb1ElEEZNS1_24adjacent_difference_implIS3_Lb1ELb0EPlS7_N6thrust23THRUST_200600_302600_NS5minusIlEEEE10hipError_tPvRmT2_T3_mT4_P12ihipStream_tbEUlT_E_NS1_11comp_targetILNS1_3genE3ELNS1_11target_archE908ELNS1_3gpuE7ELNS1_3repE0EEENS1_30default_config_static_selectorELNS0_4arch9wavefront6targetE0EEEvT1_
	.p2align	8
	.type	_ZN7rocprim17ROCPRIM_400000_NS6detail17trampoline_kernelINS0_14default_configENS1_35adjacent_difference_config_selectorILb1ElEEZNS1_24adjacent_difference_implIS3_Lb1ELb0EPlS7_N6thrust23THRUST_200600_302600_NS5minusIlEEEE10hipError_tPvRmT2_T3_mT4_P12ihipStream_tbEUlT_E_NS1_11comp_targetILNS1_3genE3ELNS1_11target_archE908ELNS1_3gpuE7ELNS1_3repE0EEENS1_30default_config_static_selectorELNS0_4arch9wavefront6targetE0EEEvT1_,@function
_ZN7rocprim17ROCPRIM_400000_NS6detail17trampoline_kernelINS0_14default_configENS1_35adjacent_difference_config_selectorILb1ElEEZNS1_24adjacent_difference_implIS3_Lb1ELb0EPlS7_N6thrust23THRUST_200600_302600_NS5minusIlEEEE10hipError_tPvRmT2_T3_mT4_P12ihipStream_tbEUlT_E_NS1_11comp_targetILNS1_3genE3ELNS1_11target_archE908ELNS1_3gpuE7ELNS1_3repE0EEENS1_30default_config_static_selectorELNS0_4arch9wavefront6targetE0EEEvT1_: ; @_ZN7rocprim17ROCPRIM_400000_NS6detail17trampoline_kernelINS0_14default_configENS1_35adjacent_difference_config_selectorILb1ElEEZNS1_24adjacent_difference_implIS3_Lb1ELb0EPlS7_N6thrust23THRUST_200600_302600_NS5minusIlEEEE10hipError_tPvRmT2_T3_mT4_P12ihipStream_tbEUlT_E_NS1_11comp_targetILNS1_3genE3ELNS1_11target_archE908ELNS1_3gpuE7ELNS1_3repE0EEENS1_30default_config_static_selectorELNS0_4arch9wavefront6targetE0EEEvT1_
; %bb.0:
	.section	.rodata,"a",@progbits
	.p2align	6, 0x0
	.amdhsa_kernel _ZN7rocprim17ROCPRIM_400000_NS6detail17trampoline_kernelINS0_14default_configENS1_35adjacent_difference_config_selectorILb1ElEEZNS1_24adjacent_difference_implIS3_Lb1ELb0EPlS7_N6thrust23THRUST_200600_302600_NS5minusIlEEEE10hipError_tPvRmT2_T3_mT4_P12ihipStream_tbEUlT_E_NS1_11comp_targetILNS1_3genE3ELNS1_11target_archE908ELNS1_3gpuE7ELNS1_3repE0EEENS1_30default_config_static_selectorELNS0_4arch9wavefront6targetE0EEEvT1_
		.amdhsa_group_segment_fixed_size 0
		.amdhsa_private_segment_fixed_size 0
		.amdhsa_kernarg_size 56
		.amdhsa_user_sgpr_count 2
		.amdhsa_user_sgpr_dispatch_ptr 0
		.amdhsa_user_sgpr_queue_ptr 0
		.amdhsa_user_sgpr_kernarg_segment_ptr 1
		.amdhsa_user_sgpr_dispatch_id 0
		.amdhsa_user_sgpr_kernarg_preload_length 0
		.amdhsa_user_sgpr_kernarg_preload_offset 0
		.amdhsa_user_sgpr_private_segment_size 0
		.amdhsa_wavefront_size32 1
		.amdhsa_uses_dynamic_stack 0
		.amdhsa_enable_private_segment 0
		.amdhsa_system_sgpr_workgroup_id_x 1
		.amdhsa_system_sgpr_workgroup_id_y 0
		.amdhsa_system_sgpr_workgroup_id_z 0
		.amdhsa_system_sgpr_workgroup_info 0
		.amdhsa_system_vgpr_workitem_id 0
		.amdhsa_next_free_vgpr 1
		.amdhsa_next_free_sgpr 1
		.amdhsa_named_barrier_count 0
		.amdhsa_reserve_vcc 0
		.amdhsa_float_round_mode_32 0
		.amdhsa_float_round_mode_16_64 0
		.amdhsa_float_denorm_mode_32 3
		.amdhsa_float_denorm_mode_16_64 3
		.amdhsa_fp16_overflow 0
		.amdhsa_memory_ordered 1
		.amdhsa_forward_progress 1
		.amdhsa_inst_pref_size 0
		.amdhsa_round_robin_scheduling 0
		.amdhsa_exception_fp_ieee_invalid_op 0
		.amdhsa_exception_fp_denorm_src 0
		.amdhsa_exception_fp_ieee_div_zero 0
		.amdhsa_exception_fp_ieee_overflow 0
		.amdhsa_exception_fp_ieee_underflow 0
		.amdhsa_exception_fp_ieee_inexact 0
		.amdhsa_exception_int_div_zero 0
	.end_amdhsa_kernel
	.section	.text._ZN7rocprim17ROCPRIM_400000_NS6detail17trampoline_kernelINS0_14default_configENS1_35adjacent_difference_config_selectorILb1ElEEZNS1_24adjacent_difference_implIS3_Lb1ELb0EPlS7_N6thrust23THRUST_200600_302600_NS5minusIlEEEE10hipError_tPvRmT2_T3_mT4_P12ihipStream_tbEUlT_E_NS1_11comp_targetILNS1_3genE3ELNS1_11target_archE908ELNS1_3gpuE7ELNS1_3repE0EEENS1_30default_config_static_selectorELNS0_4arch9wavefront6targetE0EEEvT1_,"axG",@progbits,_ZN7rocprim17ROCPRIM_400000_NS6detail17trampoline_kernelINS0_14default_configENS1_35adjacent_difference_config_selectorILb1ElEEZNS1_24adjacent_difference_implIS3_Lb1ELb0EPlS7_N6thrust23THRUST_200600_302600_NS5minusIlEEEE10hipError_tPvRmT2_T3_mT4_P12ihipStream_tbEUlT_E_NS1_11comp_targetILNS1_3genE3ELNS1_11target_archE908ELNS1_3gpuE7ELNS1_3repE0EEENS1_30default_config_static_selectorELNS0_4arch9wavefront6targetE0EEEvT1_,comdat
.Lfunc_end257:
	.size	_ZN7rocprim17ROCPRIM_400000_NS6detail17trampoline_kernelINS0_14default_configENS1_35adjacent_difference_config_selectorILb1ElEEZNS1_24adjacent_difference_implIS3_Lb1ELb0EPlS7_N6thrust23THRUST_200600_302600_NS5minusIlEEEE10hipError_tPvRmT2_T3_mT4_P12ihipStream_tbEUlT_E_NS1_11comp_targetILNS1_3genE3ELNS1_11target_archE908ELNS1_3gpuE7ELNS1_3repE0EEENS1_30default_config_static_selectorELNS0_4arch9wavefront6targetE0EEEvT1_, .Lfunc_end257-_ZN7rocprim17ROCPRIM_400000_NS6detail17trampoline_kernelINS0_14default_configENS1_35adjacent_difference_config_selectorILb1ElEEZNS1_24adjacent_difference_implIS3_Lb1ELb0EPlS7_N6thrust23THRUST_200600_302600_NS5minusIlEEEE10hipError_tPvRmT2_T3_mT4_P12ihipStream_tbEUlT_E_NS1_11comp_targetILNS1_3genE3ELNS1_11target_archE908ELNS1_3gpuE7ELNS1_3repE0EEENS1_30default_config_static_selectorELNS0_4arch9wavefront6targetE0EEEvT1_
                                        ; -- End function
	.set _ZN7rocprim17ROCPRIM_400000_NS6detail17trampoline_kernelINS0_14default_configENS1_35adjacent_difference_config_selectorILb1ElEEZNS1_24adjacent_difference_implIS3_Lb1ELb0EPlS7_N6thrust23THRUST_200600_302600_NS5minusIlEEEE10hipError_tPvRmT2_T3_mT4_P12ihipStream_tbEUlT_E_NS1_11comp_targetILNS1_3genE3ELNS1_11target_archE908ELNS1_3gpuE7ELNS1_3repE0EEENS1_30default_config_static_selectorELNS0_4arch9wavefront6targetE0EEEvT1_.num_vgpr, 0
	.set _ZN7rocprim17ROCPRIM_400000_NS6detail17trampoline_kernelINS0_14default_configENS1_35adjacent_difference_config_selectorILb1ElEEZNS1_24adjacent_difference_implIS3_Lb1ELb0EPlS7_N6thrust23THRUST_200600_302600_NS5minusIlEEEE10hipError_tPvRmT2_T3_mT4_P12ihipStream_tbEUlT_E_NS1_11comp_targetILNS1_3genE3ELNS1_11target_archE908ELNS1_3gpuE7ELNS1_3repE0EEENS1_30default_config_static_selectorELNS0_4arch9wavefront6targetE0EEEvT1_.num_agpr, 0
	.set _ZN7rocprim17ROCPRIM_400000_NS6detail17trampoline_kernelINS0_14default_configENS1_35adjacent_difference_config_selectorILb1ElEEZNS1_24adjacent_difference_implIS3_Lb1ELb0EPlS7_N6thrust23THRUST_200600_302600_NS5minusIlEEEE10hipError_tPvRmT2_T3_mT4_P12ihipStream_tbEUlT_E_NS1_11comp_targetILNS1_3genE3ELNS1_11target_archE908ELNS1_3gpuE7ELNS1_3repE0EEENS1_30default_config_static_selectorELNS0_4arch9wavefront6targetE0EEEvT1_.numbered_sgpr, 0
	.set _ZN7rocprim17ROCPRIM_400000_NS6detail17trampoline_kernelINS0_14default_configENS1_35adjacent_difference_config_selectorILb1ElEEZNS1_24adjacent_difference_implIS3_Lb1ELb0EPlS7_N6thrust23THRUST_200600_302600_NS5minusIlEEEE10hipError_tPvRmT2_T3_mT4_P12ihipStream_tbEUlT_E_NS1_11comp_targetILNS1_3genE3ELNS1_11target_archE908ELNS1_3gpuE7ELNS1_3repE0EEENS1_30default_config_static_selectorELNS0_4arch9wavefront6targetE0EEEvT1_.num_named_barrier, 0
	.set _ZN7rocprim17ROCPRIM_400000_NS6detail17trampoline_kernelINS0_14default_configENS1_35adjacent_difference_config_selectorILb1ElEEZNS1_24adjacent_difference_implIS3_Lb1ELb0EPlS7_N6thrust23THRUST_200600_302600_NS5minusIlEEEE10hipError_tPvRmT2_T3_mT4_P12ihipStream_tbEUlT_E_NS1_11comp_targetILNS1_3genE3ELNS1_11target_archE908ELNS1_3gpuE7ELNS1_3repE0EEENS1_30default_config_static_selectorELNS0_4arch9wavefront6targetE0EEEvT1_.private_seg_size, 0
	.set _ZN7rocprim17ROCPRIM_400000_NS6detail17trampoline_kernelINS0_14default_configENS1_35adjacent_difference_config_selectorILb1ElEEZNS1_24adjacent_difference_implIS3_Lb1ELb0EPlS7_N6thrust23THRUST_200600_302600_NS5minusIlEEEE10hipError_tPvRmT2_T3_mT4_P12ihipStream_tbEUlT_E_NS1_11comp_targetILNS1_3genE3ELNS1_11target_archE908ELNS1_3gpuE7ELNS1_3repE0EEENS1_30default_config_static_selectorELNS0_4arch9wavefront6targetE0EEEvT1_.uses_vcc, 0
	.set _ZN7rocprim17ROCPRIM_400000_NS6detail17trampoline_kernelINS0_14default_configENS1_35adjacent_difference_config_selectorILb1ElEEZNS1_24adjacent_difference_implIS3_Lb1ELb0EPlS7_N6thrust23THRUST_200600_302600_NS5minusIlEEEE10hipError_tPvRmT2_T3_mT4_P12ihipStream_tbEUlT_E_NS1_11comp_targetILNS1_3genE3ELNS1_11target_archE908ELNS1_3gpuE7ELNS1_3repE0EEENS1_30default_config_static_selectorELNS0_4arch9wavefront6targetE0EEEvT1_.uses_flat_scratch, 0
	.set _ZN7rocprim17ROCPRIM_400000_NS6detail17trampoline_kernelINS0_14default_configENS1_35adjacent_difference_config_selectorILb1ElEEZNS1_24adjacent_difference_implIS3_Lb1ELb0EPlS7_N6thrust23THRUST_200600_302600_NS5minusIlEEEE10hipError_tPvRmT2_T3_mT4_P12ihipStream_tbEUlT_E_NS1_11comp_targetILNS1_3genE3ELNS1_11target_archE908ELNS1_3gpuE7ELNS1_3repE0EEENS1_30default_config_static_selectorELNS0_4arch9wavefront6targetE0EEEvT1_.has_dyn_sized_stack, 0
	.set _ZN7rocprim17ROCPRIM_400000_NS6detail17trampoline_kernelINS0_14default_configENS1_35adjacent_difference_config_selectorILb1ElEEZNS1_24adjacent_difference_implIS3_Lb1ELb0EPlS7_N6thrust23THRUST_200600_302600_NS5minusIlEEEE10hipError_tPvRmT2_T3_mT4_P12ihipStream_tbEUlT_E_NS1_11comp_targetILNS1_3genE3ELNS1_11target_archE908ELNS1_3gpuE7ELNS1_3repE0EEENS1_30default_config_static_selectorELNS0_4arch9wavefront6targetE0EEEvT1_.has_recursion, 0
	.set _ZN7rocprim17ROCPRIM_400000_NS6detail17trampoline_kernelINS0_14default_configENS1_35adjacent_difference_config_selectorILb1ElEEZNS1_24adjacent_difference_implIS3_Lb1ELb0EPlS7_N6thrust23THRUST_200600_302600_NS5minusIlEEEE10hipError_tPvRmT2_T3_mT4_P12ihipStream_tbEUlT_E_NS1_11comp_targetILNS1_3genE3ELNS1_11target_archE908ELNS1_3gpuE7ELNS1_3repE0EEENS1_30default_config_static_selectorELNS0_4arch9wavefront6targetE0EEEvT1_.has_indirect_call, 0
	.section	.AMDGPU.csdata,"",@progbits
; Kernel info:
; codeLenInByte = 0
; TotalNumSgprs: 0
; NumVgprs: 0
; ScratchSize: 0
; MemoryBound: 0
; FloatMode: 240
; IeeeMode: 1
; LDSByteSize: 0 bytes/workgroup (compile time only)
; SGPRBlocks: 0
; VGPRBlocks: 0
; NumSGPRsForWavesPerEU: 1
; NumVGPRsForWavesPerEU: 1
; NamedBarCnt: 0
; Occupancy: 16
; WaveLimiterHint : 0
; COMPUTE_PGM_RSRC2:SCRATCH_EN: 0
; COMPUTE_PGM_RSRC2:USER_SGPR: 2
; COMPUTE_PGM_RSRC2:TRAP_HANDLER: 0
; COMPUTE_PGM_RSRC2:TGID_X_EN: 1
; COMPUTE_PGM_RSRC2:TGID_Y_EN: 0
; COMPUTE_PGM_RSRC2:TGID_Z_EN: 0
; COMPUTE_PGM_RSRC2:TIDIG_COMP_CNT: 0
	.section	.text._ZN7rocprim17ROCPRIM_400000_NS6detail17trampoline_kernelINS0_14default_configENS1_35adjacent_difference_config_selectorILb1ElEEZNS1_24adjacent_difference_implIS3_Lb1ELb0EPlS7_N6thrust23THRUST_200600_302600_NS5minusIlEEEE10hipError_tPvRmT2_T3_mT4_P12ihipStream_tbEUlT_E_NS1_11comp_targetILNS1_3genE2ELNS1_11target_archE906ELNS1_3gpuE6ELNS1_3repE0EEENS1_30default_config_static_selectorELNS0_4arch9wavefront6targetE0EEEvT1_,"axG",@progbits,_ZN7rocprim17ROCPRIM_400000_NS6detail17trampoline_kernelINS0_14default_configENS1_35adjacent_difference_config_selectorILb1ElEEZNS1_24adjacent_difference_implIS3_Lb1ELb0EPlS7_N6thrust23THRUST_200600_302600_NS5minusIlEEEE10hipError_tPvRmT2_T3_mT4_P12ihipStream_tbEUlT_E_NS1_11comp_targetILNS1_3genE2ELNS1_11target_archE906ELNS1_3gpuE6ELNS1_3repE0EEENS1_30default_config_static_selectorELNS0_4arch9wavefront6targetE0EEEvT1_,comdat
	.protected	_ZN7rocprim17ROCPRIM_400000_NS6detail17trampoline_kernelINS0_14default_configENS1_35adjacent_difference_config_selectorILb1ElEEZNS1_24adjacent_difference_implIS3_Lb1ELb0EPlS7_N6thrust23THRUST_200600_302600_NS5minusIlEEEE10hipError_tPvRmT2_T3_mT4_P12ihipStream_tbEUlT_E_NS1_11comp_targetILNS1_3genE2ELNS1_11target_archE906ELNS1_3gpuE6ELNS1_3repE0EEENS1_30default_config_static_selectorELNS0_4arch9wavefront6targetE0EEEvT1_ ; -- Begin function _ZN7rocprim17ROCPRIM_400000_NS6detail17trampoline_kernelINS0_14default_configENS1_35adjacent_difference_config_selectorILb1ElEEZNS1_24adjacent_difference_implIS3_Lb1ELb0EPlS7_N6thrust23THRUST_200600_302600_NS5minusIlEEEE10hipError_tPvRmT2_T3_mT4_P12ihipStream_tbEUlT_E_NS1_11comp_targetILNS1_3genE2ELNS1_11target_archE906ELNS1_3gpuE6ELNS1_3repE0EEENS1_30default_config_static_selectorELNS0_4arch9wavefront6targetE0EEEvT1_
	.globl	_ZN7rocprim17ROCPRIM_400000_NS6detail17trampoline_kernelINS0_14default_configENS1_35adjacent_difference_config_selectorILb1ElEEZNS1_24adjacent_difference_implIS3_Lb1ELb0EPlS7_N6thrust23THRUST_200600_302600_NS5minusIlEEEE10hipError_tPvRmT2_T3_mT4_P12ihipStream_tbEUlT_E_NS1_11comp_targetILNS1_3genE2ELNS1_11target_archE906ELNS1_3gpuE6ELNS1_3repE0EEENS1_30default_config_static_selectorELNS0_4arch9wavefront6targetE0EEEvT1_
	.p2align	8
	.type	_ZN7rocprim17ROCPRIM_400000_NS6detail17trampoline_kernelINS0_14default_configENS1_35adjacent_difference_config_selectorILb1ElEEZNS1_24adjacent_difference_implIS3_Lb1ELb0EPlS7_N6thrust23THRUST_200600_302600_NS5minusIlEEEE10hipError_tPvRmT2_T3_mT4_P12ihipStream_tbEUlT_E_NS1_11comp_targetILNS1_3genE2ELNS1_11target_archE906ELNS1_3gpuE6ELNS1_3repE0EEENS1_30default_config_static_selectorELNS0_4arch9wavefront6targetE0EEEvT1_,@function
_ZN7rocprim17ROCPRIM_400000_NS6detail17trampoline_kernelINS0_14default_configENS1_35adjacent_difference_config_selectorILb1ElEEZNS1_24adjacent_difference_implIS3_Lb1ELb0EPlS7_N6thrust23THRUST_200600_302600_NS5minusIlEEEE10hipError_tPvRmT2_T3_mT4_P12ihipStream_tbEUlT_E_NS1_11comp_targetILNS1_3genE2ELNS1_11target_archE906ELNS1_3gpuE6ELNS1_3repE0EEENS1_30default_config_static_selectorELNS0_4arch9wavefront6targetE0EEEvT1_: ; @_ZN7rocprim17ROCPRIM_400000_NS6detail17trampoline_kernelINS0_14default_configENS1_35adjacent_difference_config_selectorILb1ElEEZNS1_24adjacent_difference_implIS3_Lb1ELb0EPlS7_N6thrust23THRUST_200600_302600_NS5minusIlEEEE10hipError_tPvRmT2_T3_mT4_P12ihipStream_tbEUlT_E_NS1_11comp_targetILNS1_3genE2ELNS1_11target_archE906ELNS1_3gpuE6ELNS1_3repE0EEENS1_30default_config_static_selectorELNS0_4arch9wavefront6targetE0EEEvT1_
; %bb.0:
	.section	.rodata,"a",@progbits
	.p2align	6, 0x0
	.amdhsa_kernel _ZN7rocprim17ROCPRIM_400000_NS6detail17trampoline_kernelINS0_14default_configENS1_35adjacent_difference_config_selectorILb1ElEEZNS1_24adjacent_difference_implIS3_Lb1ELb0EPlS7_N6thrust23THRUST_200600_302600_NS5minusIlEEEE10hipError_tPvRmT2_T3_mT4_P12ihipStream_tbEUlT_E_NS1_11comp_targetILNS1_3genE2ELNS1_11target_archE906ELNS1_3gpuE6ELNS1_3repE0EEENS1_30default_config_static_selectorELNS0_4arch9wavefront6targetE0EEEvT1_
		.amdhsa_group_segment_fixed_size 0
		.amdhsa_private_segment_fixed_size 0
		.amdhsa_kernarg_size 56
		.amdhsa_user_sgpr_count 2
		.amdhsa_user_sgpr_dispatch_ptr 0
		.amdhsa_user_sgpr_queue_ptr 0
		.amdhsa_user_sgpr_kernarg_segment_ptr 1
		.amdhsa_user_sgpr_dispatch_id 0
		.amdhsa_user_sgpr_kernarg_preload_length 0
		.amdhsa_user_sgpr_kernarg_preload_offset 0
		.amdhsa_user_sgpr_private_segment_size 0
		.amdhsa_wavefront_size32 1
		.amdhsa_uses_dynamic_stack 0
		.amdhsa_enable_private_segment 0
		.amdhsa_system_sgpr_workgroup_id_x 1
		.amdhsa_system_sgpr_workgroup_id_y 0
		.amdhsa_system_sgpr_workgroup_id_z 0
		.amdhsa_system_sgpr_workgroup_info 0
		.amdhsa_system_vgpr_workitem_id 0
		.amdhsa_next_free_vgpr 1
		.amdhsa_next_free_sgpr 1
		.amdhsa_named_barrier_count 0
		.amdhsa_reserve_vcc 0
		.amdhsa_float_round_mode_32 0
		.amdhsa_float_round_mode_16_64 0
		.amdhsa_float_denorm_mode_32 3
		.amdhsa_float_denorm_mode_16_64 3
		.amdhsa_fp16_overflow 0
		.amdhsa_memory_ordered 1
		.amdhsa_forward_progress 1
		.amdhsa_inst_pref_size 0
		.amdhsa_round_robin_scheduling 0
		.amdhsa_exception_fp_ieee_invalid_op 0
		.amdhsa_exception_fp_denorm_src 0
		.amdhsa_exception_fp_ieee_div_zero 0
		.amdhsa_exception_fp_ieee_overflow 0
		.amdhsa_exception_fp_ieee_underflow 0
		.amdhsa_exception_fp_ieee_inexact 0
		.amdhsa_exception_int_div_zero 0
	.end_amdhsa_kernel
	.section	.text._ZN7rocprim17ROCPRIM_400000_NS6detail17trampoline_kernelINS0_14default_configENS1_35adjacent_difference_config_selectorILb1ElEEZNS1_24adjacent_difference_implIS3_Lb1ELb0EPlS7_N6thrust23THRUST_200600_302600_NS5minusIlEEEE10hipError_tPvRmT2_T3_mT4_P12ihipStream_tbEUlT_E_NS1_11comp_targetILNS1_3genE2ELNS1_11target_archE906ELNS1_3gpuE6ELNS1_3repE0EEENS1_30default_config_static_selectorELNS0_4arch9wavefront6targetE0EEEvT1_,"axG",@progbits,_ZN7rocprim17ROCPRIM_400000_NS6detail17trampoline_kernelINS0_14default_configENS1_35adjacent_difference_config_selectorILb1ElEEZNS1_24adjacent_difference_implIS3_Lb1ELb0EPlS7_N6thrust23THRUST_200600_302600_NS5minusIlEEEE10hipError_tPvRmT2_T3_mT4_P12ihipStream_tbEUlT_E_NS1_11comp_targetILNS1_3genE2ELNS1_11target_archE906ELNS1_3gpuE6ELNS1_3repE0EEENS1_30default_config_static_selectorELNS0_4arch9wavefront6targetE0EEEvT1_,comdat
.Lfunc_end258:
	.size	_ZN7rocprim17ROCPRIM_400000_NS6detail17trampoline_kernelINS0_14default_configENS1_35adjacent_difference_config_selectorILb1ElEEZNS1_24adjacent_difference_implIS3_Lb1ELb0EPlS7_N6thrust23THRUST_200600_302600_NS5minusIlEEEE10hipError_tPvRmT2_T3_mT4_P12ihipStream_tbEUlT_E_NS1_11comp_targetILNS1_3genE2ELNS1_11target_archE906ELNS1_3gpuE6ELNS1_3repE0EEENS1_30default_config_static_selectorELNS0_4arch9wavefront6targetE0EEEvT1_, .Lfunc_end258-_ZN7rocprim17ROCPRIM_400000_NS6detail17trampoline_kernelINS0_14default_configENS1_35adjacent_difference_config_selectorILb1ElEEZNS1_24adjacent_difference_implIS3_Lb1ELb0EPlS7_N6thrust23THRUST_200600_302600_NS5minusIlEEEE10hipError_tPvRmT2_T3_mT4_P12ihipStream_tbEUlT_E_NS1_11comp_targetILNS1_3genE2ELNS1_11target_archE906ELNS1_3gpuE6ELNS1_3repE0EEENS1_30default_config_static_selectorELNS0_4arch9wavefront6targetE0EEEvT1_
                                        ; -- End function
	.set _ZN7rocprim17ROCPRIM_400000_NS6detail17trampoline_kernelINS0_14default_configENS1_35adjacent_difference_config_selectorILb1ElEEZNS1_24adjacent_difference_implIS3_Lb1ELb0EPlS7_N6thrust23THRUST_200600_302600_NS5minusIlEEEE10hipError_tPvRmT2_T3_mT4_P12ihipStream_tbEUlT_E_NS1_11comp_targetILNS1_3genE2ELNS1_11target_archE906ELNS1_3gpuE6ELNS1_3repE0EEENS1_30default_config_static_selectorELNS0_4arch9wavefront6targetE0EEEvT1_.num_vgpr, 0
	.set _ZN7rocprim17ROCPRIM_400000_NS6detail17trampoline_kernelINS0_14default_configENS1_35adjacent_difference_config_selectorILb1ElEEZNS1_24adjacent_difference_implIS3_Lb1ELb0EPlS7_N6thrust23THRUST_200600_302600_NS5minusIlEEEE10hipError_tPvRmT2_T3_mT4_P12ihipStream_tbEUlT_E_NS1_11comp_targetILNS1_3genE2ELNS1_11target_archE906ELNS1_3gpuE6ELNS1_3repE0EEENS1_30default_config_static_selectorELNS0_4arch9wavefront6targetE0EEEvT1_.num_agpr, 0
	.set _ZN7rocprim17ROCPRIM_400000_NS6detail17trampoline_kernelINS0_14default_configENS1_35adjacent_difference_config_selectorILb1ElEEZNS1_24adjacent_difference_implIS3_Lb1ELb0EPlS7_N6thrust23THRUST_200600_302600_NS5minusIlEEEE10hipError_tPvRmT2_T3_mT4_P12ihipStream_tbEUlT_E_NS1_11comp_targetILNS1_3genE2ELNS1_11target_archE906ELNS1_3gpuE6ELNS1_3repE0EEENS1_30default_config_static_selectorELNS0_4arch9wavefront6targetE0EEEvT1_.numbered_sgpr, 0
	.set _ZN7rocprim17ROCPRIM_400000_NS6detail17trampoline_kernelINS0_14default_configENS1_35adjacent_difference_config_selectorILb1ElEEZNS1_24adjacent_difference_implIS3_Lb1ELb0EPlS7_N6thrust23THRUST_200600_302600_NS5minusIlEEEE10hipError_tPvRmT2_T3_mT4_P12ihipStream_tbEUlT_E_NS1_11comp_targetILNS1_3genE2ELNS1_11target_archE906ELNS1_3gpuE6ELNS1_3repE0EEENS1_30default_config_static_selectorELNS0_4arch9wavefront6targetE0EEEvT1_.num_named_barrier, 0
	.set _ZN7rocprim17ROCPRIM_400000_NS6detail17trampoline_kernelINS0_14default_configENS1_35adjacent_difference_config_selectorILb1ElEEZNS1_24adjacent_difference_implIS3_Lb1ELb0EPlS7_N6thrust23THRUST_200600_302600_NS5minusIlEEEE10hipError_tPvRmT2_T3_mT4_P12ihipStream_tbEUlT_E_NS1_11comp_targetILNS1_3genE2ELNS1_11target_archE906ELNS1_3gpuE6ELNS1_3repE0EEENS1_30default_config_static_selectorELNS0_4arch9wavefront6targetE0EEEvT1_.private_seg_size, 0
	.set _ZN7rocprim17ROCPRIM_400000_NS6detail17trampoline_kernelINS0_14default_configENS1_35adjacent_difference_config_selectorILb1ElEEZNS1_24adjacent_difference_implIS3_Lb1ELb0EPlS7_N6thrust23THRUST_200600_302600_NS5minusIlEEEE10hipError_tPvRmT2_T3_mT4_P12ihipStream_tbEUlT_E_NS1_11comp_targetILNS1_3genE2ELNS1_11target_archE906ELNS1_3gpuE6ELNS1_3repE0EEENS1_30default_config_static_selectorELNS0_4arch9wavefront6targetE0EEEvT1_.uses_vcc, 0
	.set _ZN7rocprim17ROCPRIM_400000_NS6detail17trampoline_kernelINS0_14default_configENS1_35adjacent_difference_config_selectorILb1ElEEZNS1_24adjacent_difference_implIS3_Lb1ELb0EPlS7_N6thrust23THRUST_200600_302600_NS5minusIlEEEE10hipError_tPvRmT2_T3_mT4_P12ihipStream_tbEUlT_E_NS1_11comp_targetILNS1_3genE2ELNS1_11target_archE906ELNS1_3gpuE6ELNS1_3repE0EEENS1_30default_config_static_selectorELNS0_4arch9wavefront6targetE0EEEvT1_.uses_flat_scratch, 0
	.set _ZN7rocprim17ROCPRIM_400000_NS6detail17trampoline_kernelINS0_14default_configENS1_35adjacent_difference_config_selectorILb1ElEEZNS1_24adjacent_difference_implIS3_Lb1ELb0EPlS7_N6thrust23THRUST_200600_302600_NS5minusIlEEEE10hipError_tPvRmT2_T3_mT4_P12ihipStream_tbEUlT_E_NS1_11comp_targetILNS1_3genE2ELNS1_11target_archE906ELNS1_3gpuE6ELNS1_3repE0EEENS1_30default_config_static_selectorELNS0_4arch9wavefront6targetE0EEEvT1_.has_dyn_sized_stack, 0
	.set _ZN7rocprim17ROCPRIM_400000_NS6detail17trampoline_kernelINS0_14default_configENS1_35adjacent_difference_config_selectorILb1ElEEZNS1_24adjacent_difference_implIS3_Lb1ELb0EPlS7_N6thrust23THRUST_200600_302600_NS5minusIlEEEE10hipError_tPvRmT2_T3_mT4_P12ihipStream_tbEUlT_E_NS1_11comp_targetILNS1_3genE2ELNS1_11target_archE906ELNS1_3gpuE6ELNS1_3repE0EEENS1_30default_config_static_selectorELNS0_4arch9wavefront6targetE0EEEvT1_.has_recursion, 0
	.set _ZN7rocprim17ROCPRIM_400000_NS6detail17trampoline_kernelINS0_14default_configENS1_35adjacent_difference_config_selectorILb1ElEEZNS1_24adjacent_difference_implIS3_Lb1ELb0EPlS7_N6thrust23THRUST_200600_302600_NS5minusIlEEEE10hipError_tPvRmT2_T3_mT4_P12ihipStream_tbEUlT_E_NS1_11comp_targetILNS1_3genE2ELNS1_11target_archE906ELNS1_3gpuE6ELNS1_3repE0EEENS1_30default_config_static_selectorELNS0_4arch9wavefront6targetE0EEEvT1_.has_indirect_call, 0
	.section	.AMDGPU.csdata,"",@progbits
; Kernel info:
; codeLenInByte = 0
; TotalNumSgprs: 0
; NumVgprs: 0
; ScratchSize: 0
; MemoryBound: 0
; FloatMode: 240
; IeeeMode: 1
; LDSByteSize: 0 bytes/workgroup (compile time only)
; SGPRBlocks: 0
; VGPRBlocks: 0
; NumSGPRsForWavesPerEU: 1
; NumVGPRsForWavesPerEU: 1
; NamedBarCnt: 0
; Occupancy: 16
; WaveLimiterHint : 0
; COMPUTE_PGM_RSRC2:SCRATCH_EN: 0
; COMPUTE_PGM_RSRC2:USER_SGPR: 2
; COMPUTE_PGM_RSRC2:TRAP_HANDLER: 0
; COMPUTE_PGM_RSRC2:TGID_X_EN: 1
; COMPUTE_PGM_RSRC2:TGID_Y_EN: 0
; COMPUTE_PGM_RSRC2:TGID_Z_EN: 0
; COMPUTE_PGM_RSRC2:TIDIG_COMP_CNT: 0
	.section	.text._ZN7rocprim17ROCPRIM_400000_NS6detail17trampoline_kernelINS0_14default_configENS1_35adjacent_difference_config_selectorILb1ElEEZNS1_24adjacent_difference_implIS3_Lb1ELb0EPlS7_N6thrust23THRUST_200600_302600_NS5minusIlEEEE10hipError_tPvRmT2_T3_mT4_P12ihipStream_tbEUlT_E_NS1_11comp_targetILNS1_3genE9ELNS1_11target_archE1100ELNS1_3gpuE3ELNS1_3repE0EEENS1_30default_config_static_selectorELNS0_4arch9wavefront6targetE0EEEvT1_,"axG",@progbits,_ZN7rocprim17ROCPRIM_400000_NS6detail17trampoline_kernelINS0_14default_configENS1_35adjacent_difference_config_selectorILb1ElEEZNS1_24adjacent_difference_implIS3_Lb1ELb0EPlS7_N6thrust23THRUST_200600_302600_NS5minusIlEEEE10hipError_tPvRmT2_T3_mT4_P12ihipStream_tbEUlT_E_NS1_11comp_targetILNS1_3genE9ELNS1_11target_archE1100ELNS1_3gpuE3ELNS1_3repE0EEENS1_30default_config_static_selectorELNS0_4arch9wavefront6targetE0EEEvT1_,comdat
	.protected	_ZN7rocprim17ROCPRIM_400000_NS6detail17trampoline_kernelINS0_14default_configENS1_35adjacent_difference_config_selectorILb1ElEEZNS1_24adjacent_difference_implIS3_Lb1ELb0EPlS7_N6thrust23THRUST_200600_302600_NS5minusIlEEEE10hipError_tPvRmT2_T3_mT4_P12ihipStream_tbEUlT_E_NS1_11comp_targetILNS1_3genE9ELNS1_11target_archE1100ELNS1_3gpuE3ELNS1_3repE0EEENS1_30default_config_static_selectorELNS0_4arch9wavefront6targetE0EEEvT1_ ; -- Begin function _ZN7rocprim17ROCPRIM_400000_NS6detail17trampoline_kernelINS0_14default_configENS1_35adjacent_difference_config_selectorILb1ElEEZNS1_24adjacent_difference_implIS3_Lb1ELb0EPlS7_N6thrust23THRUST_200600_302600_NS5minusIlEEEE10hipError_tPvRmT2_T3_mT4_P12ihipStream_tbEUlT_E_NS1_11comp_targetILNS1_3genE9ELNS1_11target_archE1100ELNS1_3gpuE3ELNS1_3repE0EEENS1_30default_config_static_selectorELNS0_4arch9wavefront6targetE0EEEvT1_
	.globl	_ZN7rocprim17ROCPRIM_400000_NS6detail17trampoline_kernelINS0_14default_configENS1_35adjacent_difference_config_selectorILb1ElEEZNS1_24adjacent_difference_implIS3_Lb1ELb0EPlS7_N6thrust23THRUST_200600_302600_NS5minusIlEEEE10hipError_tPvRmT2_T3_mT4_P12ihipStream_tbEUlT_E_NS1_11comp_targetILNS1_3genE9ELNS1_11target_archE1100ELNS1_3gpuE3ELNS1_3repE0EEENS1_30default_config_static_selectorELNS0_4arch9wavefront6targetE0EEEvT1_
	.p2align	8
	.type	_ZN7rocprim17ROCPRIM_400000_NS6detail17trampoline_kernelINS0_14default_configENS1_35adjacent_difference_config_selectorILb1ElEEZNS1_24adjacent_difference_implIS3_Lb1ELb0EPlS7_N6thrust23THRUST_200600_302600_NS5minusIlEEEE10hipError_tPvRmT2_T3_mT4_P12ihipStream_tbEUlT_E_NS1_11comp_targetILNS1_3genE9ELNS1_11target_archE1100ELNS1_3gpuE3ELNS1_3repE0EEENS1_30default_config_static_selectorELNS0_4arch9wavefront6targetE0EEEvT1_,@function
_ZN7rocprim17ROCPRIM_400000_NS6detail17trampoline_kernelINS0_14default_configENS1_35adjacent_difference_config_selectorILb1ElEEZNS1_24adjacent_difference_implIS3_Lb1ELb0EPlS7_N6thrust23THRUST_200600_302600_NS5minusIlEEEE10hipError_tPvRmT2_T3_mT4_P12ihipStream_tbEUlT_E_NS1_11comp_targetILNS1_3genE9ELNS1_11target_archE1100ELNS1_3gpuE3ELNS1_3repE0EEENS1_30default_config_static_selectorELNS0_4arch9wavefront6targetE0EEEvT1_: ; @_ZN7rocprim17ROCPRIM_400000_NS6detail17trampoline_kernelINS0_14default_configENS1_35adjacent_difference_config_selectorILb1ElEEZNS1_24adjacent_difference_implIS3_Lb1ELb0EPlS7_N6thrust23THRUST_200600_302600_NS5minusIlEEEE10hipError_tPvRmT2_T3_mT4_P12ihipStream_tbEUlT_E_NS1_11comp_targetILNS1_3genE9ELNS1_11target_archE1100ELNS1_3gpuE3ELNS1_3repE0EEENS1_30default_config_static_selectorELNS0_4arch9wavefront6targetE0EEEvT1_
; %bb.0:
	.section	.rodata,"a",@progbits
	.p2align	6, 0x0
	.amdhsa_kernel _ZN7rocprim17ROCPRIM_400000_NS6detail17trampoline_kernelINS0_14default_configENS1_35adjacent_difference_config_selectorILb1ElEEZNS1_24adjacent_difference_implIS3_Lb1ELb0EPlS7_N6thrust23THRUST_200600_302600_NS5minusIlEEEE10hipError_tPvRmT2_T3_mT4_P12ihipStream_tbEUlT_E_NS1_11comp_targetILNS1_3genE9ELNS1_11target_archE1100ELNS1_3gpuE3ELNS1_3repE0EEENS1_30default_config_static_selectorELNS0_4arch9wavefront6targetE0EEEvT1_
		.amdhsa_group_segment_fixed_size 0
		.amdhsa_private_segment_fixed_size 0
		.amdhsa_kernarg_size 56
		.amdhsa_user_sgpr_count 2
		.amdhsa_user_sgpr_dispatch_ptr 0
		.amdhsa_user_sgpr_queue_ptr 0
		.amdhsa_user_sgpr_kernarg_segment_ptr 1
		.amdhsa_user_sgpr_dispatch_id 0
		.amdhsa_user_sgpr_kernarg_preload_length 0
		.amdhsa_user_sgpr_kernarg_preload_offset 0
		.amdhsa_user_sgpr_private_segment_size 0
		.amdhsa_wavefront_size32 1
		.amdhsa_uses_dynamic_stack 0
		.amdhsa_enable_private_segment 0
		.amdhsa_system_sgpr_workgroup_id_x 1
		.amdhsa_system_sgpr_workgroup_id_y 0
		.amdhsa_system_sgpr_workgroup_id_z 0
		.amdhsa_system_sgpr_workgroup_info 0
		.amdhsa_system_vgpr_workitem_id 0
		.amdhsa_next_free_vgpr 1
		.amdhsa_next_free_sgpr 1
		.amdhsa_named_barrier_count 0
		.amdhsa_reserve_vcc 0
		.amdhsa_float_round_mode_32 0
		.amdhsa_float_round_mode_16_64 0
		.amdhsa_float_denorm_mode_32 3
		.amdhsa_float_denorm_mode_16_64 3
		.amdhsa_fp16_overflow 0
		.amdhsa_memory_ordered 1
		.amdhsa_forward_progress 1
		.amdhsa_inst_pref_size 0
		.amdhsa_round_robin_scheduling 0
		.amdhsa_exception_fp_ieee_invalid_op 0
		.amdhsa_exception_fp_denorm_src 0
		.amdhsa_exception_fp_ieee_div_zero 0
		.amdhsa_exception_fp_ieee_overflow 0
		.amdhsa_exception_fp_ieee_underflow 0
		.amdhsa_exception_fp_ieee_inexact 0
		.amdhsa_exception_int_div_zero 0
	.end_amdhsa_kernel
	.section	.text._ZN7rocprim17ROCPRIM_400000_NS6detail17trampoline_kernelINS0_14default_configENS1_35adjacent_difference_config_selectorILb1ElEEZNS1_24adjacent_difference_implIS3_Lb1ELb0EPlS7_N6thrust23THRUST_200600_302600_NS5minusIlEEEE10hipError_tPvRmT2_T3_mT4_P12ihipStream_tbEUlT_E_NS1_11comp_targetILNS1_3genE9ELNS1_11target_archE1100ELNS1_3gpuE3ELNS1_3repE0EEENS1_30default_config_static_selectorELNS0_4arch9wavefront6targetE0EEEvT1_,"axG",@progbits,_ZN7rocprim17ROCPRIM_400000_NS6detail17trampoline_kernelINS0_14default_configENS1_35adjacent_difference_config_selectorILb1ElEEZNS1_24adjacent_difference_implIS3_Lb1ELb0EPlS7_N6thrust23THRUST_200600_302600_NS5minusIlEEEE10hipError_tPvRmT2_T3_mT4_P12ihipStream_tbEUlT_E_NS1_11comp_targetILNS1_3genE9ELNS1_11target_archE1100ELNS1_3gpuE3ELNS1_3repE0EEENS1_30default_config_static_selectorELNS0_4arch9wavefront6targetE0EEEvT1_,comdat
.Lfunc_end259:
	.size	_ZN7rocprim17ROCPRIM_400000_NS6detail17trampoline_kernelINS0_14default_configENS1_35adjacent_difference_config_selectorILb1ElEEZNS1_24adjacent_difference_implIS3_Lb1ELb0EPlS7_N6thrust23THRUST_200600_302600_NS5minusIlEEEE10hipError_tPvRmT2_T3_mT4_P12ihipStream_tbEUlT_E_NS1_11comp_targetILNS1_3genE9ELNS1_11target_archE1100ELNS1_3gpuE3ELNS1_3repE0EEENS1_30default_config_static_selectorELNS0_4arch9wavefront6targetE0EEEvT1_, .Lfunc_end259-_ZN7rocprim17ROCPRIM_400000_NS6detail17trampoline_kernelINS0_14default_configENS1_35adjacent_difference_config_selectorILb1ElEEZNS1_24adjacent_difference_implIS3_Lb1ELb0EPlS7_N6thrust23THRUST_200600_302600_NS5minusIlEEEE10hipError_tPvRmT2_T3_mT4_P12ihipStream_tbEUlT_E_NS1_11comp_targetILNS1_3genE9ELNS1_11target_archE1100ELNS1_3gpuE3ELNS1_3repE0EEENS1_30default_config_static_selectorELNS0_4arch9wavefront6targetE0EEEvT1_
                                        ; -- End function
	.set _ZN7rocprim17ROCPRIM_400000_NS6detail17trampoline_kernelINS0_14default_configENS1_35adjacent_difference_config_selectorILb1ElEEZNS1_24adjacent_difference_implIS3_Lb1ELb0EPlS7_N6thrust23THRUST_200600_302600_NS5minusIlEEEE10hipError_tPvRmT2_T3_mT4_P12ihipStream_tbEUlT_E_NS1_11comp_targetILNS1_3genE9ELNS1_11target_archE1100ELNS1_3gpuE3ELNS1_3repE0EEENS1_30default_config_static_selectorELNS0_4arch9wavefront6targetE0EEEvT1_.num_vgpr, 0
	.set _ZN7rocprim17ROCPRIM_400000_NS6detail17trampoline_kernelINS0_14default_configENS1_35adjacent_difference_config_selectorILb1ElEEZNS1_24adjacent_difference_implIS3_Lb1ELb0EPlS7_N6thrust23THRUST_200600_302600_NS5minusIlEEEE10hipError_tPvRmT2_T3_mT4_P12ihipStream_tbEUlT_E_NS1_11comp_targetILNS1_3genE9ELNS1_11target_archE1100ELNS1_3gpuE3ELNS1_3repE0EEENS1_30default_config_static_selectorELNS0_4arch9wavefront6targetE0EEEvT1_.num_agpr, 0
	.set _ZN7rocprim17ROCPRIM_400000_NS6detail17trampoline_kernelINS0_14default_configENS1_35adjacent_difference_config_selectorILb1ElEEZNS1_24adjacent_difference_implIS3_Lb1ELb0EPlS7_N6thrust23THRUST_200600_302600_NS5minusIlEEEE10hipError_tPvRmT2_T3_mT4_P12ihipStream_tbEUlT_E_NS1_11comp_targetILNS1_3genE9ELNS1_11target_archE1100ELNS1_3gpuE3ELNS1_3repE0EEENS1_30default_config_static_selectorELNS0_4arch9wavefront6targetE0EEEvT1_.numbered_sgpr, 0
	.set _ZN7rocprim17ROCPRIM_400000_NS6detail17trampoline_kernelINS0_14default_configENS1_35adjacent_difference_config_selectorILb1ElEEZNS1_24adjacent_difference_implIS3_Lb1ELb0EPlS7_N6thrust23THRUST_200600_302600_NS5minusIlEEEE10hipError_tPvRmT2_T3_mT4_P12ihipStream_tbEUlT_E_NS1_11comp_targetILNS1_3genE9ELNS1_11target_archE1100ELNS1_3gpuE3ELNS1_3repE0EEENS1_30default_config_static_selectorELNS0_4arch9wavefront6targetE0EEEvT1_.num_named_barrier, 0
	.set _ZN7rocprim17ROCPRIM_400000_NS6detail17trampoline_kernelINS0_14default_configENS1_35adjacent_difference_config_selectorILb1ElEEZNS1_24adjacent_difference_implIS3_Lb1ELb0EPlS7_N6thrust23THRUST_200600_302600_NS5minusIlEEEE10hipError_tPvRmT2_T3_mT4_P12ihipStream_tbEUlT_E_NS1_11comp_targetILNS1_3genE9ELNS1_11target_archE1100ELNS1_3gpuE3ELNS1_3repE0EEENS1_30default_config_static_selectorELNS0_4arch9wavefront6targetE0EEEvT1_.private_seg_size, 0
	.set _ZN7rocprim17ROCPRIM_400000_NS6detail17trampoline_kernelINS0_14default_configENS1_35adjacent_difference_config_selectorILb1ElEEZNS1_24adjacent_difference_implIS3_Lb1ELb0EPlS7_N6thrust23THRUST_200600_302600_NS5minusIlEEEE10hipError_tPvRmT2_T3_mT4_P12ihipStream_tbEUlT_E_NS1_11comp_targetILNS1_3genE9ELNS1_11target_archE1100ELNS1_3gpuE3ELNS1_3repE0EEENS1_30default_config_static_selectorELNS0_4arch9wavefront6targetE0EEEvT1_.uses_vcc, 0
	.set _ZN7rocprim17ROCPRIM_400000_NS6detail17trampoline_kernelINS0_14default_configENS1_35adjacent_difference_config_selectorILb1ElEEZNS1_24adjacent_difference_implIS3_Lb1ELb0EPlS7_N6thrust23THRUST_200600_302600_NS5minusIlEEEE10hipError_tPvRmT2_T3_mT4_P12ihipStream_tbEUlT_E_NS1_11comp_targetILNS1_3genE9ELNS1_11target_archE1100ELNS1_3gpuE3ELNS1_3repE0EEENS1_30default_config_static_selectorELNS0_4arch9wavefront6targetE0EEEvT1_.uses_flat_scratch, 0
	.set _ZN7rocprim17ROCPRIM_400000_NS6detail17trampoline_kernelINS0_14default_configENS1_35adjacent_difference_config_selectorILb1ElEEZNS1_24adjacent_difference_implIS3_Lb1ELb0EPlS7_N6thrust23THRUST_200600_302600_NS5minusIlEEEE10hipError_tPvRmT2_T3_mT4_P12ihipStream_tbEUlT_E_NS1_11comp_targetILNS1_3genE9ELNS1_11target_archE1100ELNS1_3gpuE3ELNS1_3repE0EEENS1_30default_config_static_selectorELNS0_4arch9wavefront6targetE0EEEvT1_.has_dyn_sized_stack, 0
	.set _ZN7rocprim17ROCPRIM_400000_NS6detail17trampoline_kernelINS0_14default_configENS1_35adjacent_difference_config_selectorILb1ElEEZNS1_24adjacent_difference_implIS3_Lb1ELb0EPlS7_N6thrust23THRUST_200600_302600_NS5minusIlEEEE10hipError_tPvRmT2_T3_mT4_P12ihipStream_tbEUlT_E_NS1_11comp_targetILNS1_3genE9ELNS1_11target_archE1100ELNS1_3gpuE3ELNS1_3repE0EEENS1_30default_config_static_selectorELNS0_4arch9wavefront6targetE0EEEvT1_.has_recursion, 0
	.set _ZN7rocprim17ROCPRIM_400000_NS6detail17trampoline_kernelINS0_14default_configENS1_35adjacent_difference_config_selectorILb1ElEEZNS1_24adjacent_difference_implIS3_Lb1ELb0EPlS7_N6thrust23THRUST_200600_302600_NS5minusIlEEEE10hipError_tPvRmT2_T3_mT4_P12ihipStream_tbEUlT_E_NS1_11comp_targetILNS1_3genE9ELNS1_11target_archE1100ELNS1_3gpuE3ELNS1_3repE0EEENS1_30default_config_static_selectorELNS0_4arch9wavefront6targetE0EEEvT1_.has_indirect_call, 0
	.section	.AMDGPU.csdata,"",@progbits
; Kernel info:
; codeLenInByte = 0
; TotalNumSgprs: 0
; NumVgprs: 0
; ScratchSize: 0
; MemoryBound: 0
; FloatMode: 240
; IeeeMode: 1
; LDSByteSize: 0 bytes/workgroup (compile time only)
; SGPRBlocks: 0
; VGPRBlocks: 0
; NumSGPRsForWavesPerEU: 1
; NumVGPRsForWavesPerEU: 1
; NamedBarCnt: 0
; Occupancy: 16
; WaveLimiterHint : 0
; COMPUTE_PGM_RSRC2:SCRATCH_EN: 0
; COMPUTE_PGM_RSRC2:USER_SGPR: 2
; COMPUTE_PGM_RSRC2:TRAP_HANDLER: 0
; COMPUTE_PGM_RSRC2:TGID_X_EN: 1
; COMPUTE_PGM_RSRC2:TGID_Y_EN: 0
; COMPUTE_PGM_RSRC2:TGID_Z_EN: 0
; COMPUTE_PGM_RSRC2:TIDIG_COMP_CNT: 0
	.section	.text._ZN7rocprim17ROCPRIM_400000_NS6detail17trampoline_kernelINS0_14default_configENS1_35adjacent_difference_config_selectorILb1ElEEZNS1_24adjacent_difference_implIS3_Lb1ELb0EPlS7_N6thrust23THRUST_200600_302600_NS5minusIlEEEE10hipError_tPvRmT2_T3_mT4_P12ihipStream_tbEUlT_E_NS1_11comp_targetILNS1_3genE8ELNS1_11target_archE1030ELNS1_3gpuE2ELNS1_3repE0EEENS1_30default_config_static_selectorELNS0_4arch9wavefront6targetE0EEEvT1_,"axG",@progbits,_ZN7rocprim17ROCPRIM_400000_NS6detail17trampoline_kernelINS0_14default_configENS1_35adjacent_difference_config_selectorILb1ElEEZNS1_24adjacent_difference_implIS3_Lb1ELb0EPlS7_N6thrust23THRUST_200600_302600_NS5minusIlEEEE10hipError_tPvRmT2_T3_mT4_P12ihipStream_tbEUlT_E_NS1_11comp_targetILNS1_3genE8ELNS1_11target_archE1030ELNS1_3gpuE2ELNS1_3repE0EEENS1_30default_config_static_selectorELNS0_4arch9wavefront6targetE0EEEvT1_,comdat
	.protected	_ZN7rocprim17ROCPRIM_400000_NS6detail17trampoline_kernelINS0_14default_configENS1_35adjacent_difference_config_selectorILb1ElEEZNS1_24adjacent_difference_implIS3_Lb1ELb0EPlS7_N6thrust23THRUST_200600_302600_NS5minusIlEEEE10hipError_tPvRmT2_T3_mT4_P12ihipStream_tbEUlT_E_NS1_11comp_targetILNS1_3genE8ELNS1_11target_archE1030ELNS1_3gpuE2ELNS1_3repE0EEENS1_30default_config_static_selectorELNS0_4arch9wavefront6targetE0EEEvT1_ ; -- Begin function _ZN7rocprim17ROCPRIM_400000_NS6detail17trampoline_kernelINS0_14default_configENS1_35adjacent_difference_config_selectorILb1ElEEZNS1_24adjacent_difference_implIS3_Lb1ELb0EPlS7_N6thrust23THRUST_200600_302600_NS5minusIlEEEE10hipError_tPvRmT2_T3_mT4_P12ihipStream_tbEUlT_E_NS1_11comp_targetILNS1_3genE8ELNS1_11target_archE1030ELNS1_3gpuE2ELNS1_3repE0EEENS1_30default_config_static_selectorELNS0_4arch9wavefront6targetE0EEEvT1_
	.globl	_ZN7rocprim17ROCPRIM_400000_NS6detail17trampoline_kernelINS0_14default_configENS1_35adjacent_difference_config_selectorILb1ElEEZNS1_24adjacent_difference_implIS3_Lb1ELb0EPlS7_N6thrust23THRUST_200600_302600_NS5minusIlEEEE10hipError_tPvRmT2_T3_mT4_P12ihipStream_tbEUlT_E_NS1_11comp_targetILNS1_3genE8ELNS1_11target_archE1030ELNS1_3gpuE2ELNS1_3repE0EEENS1_30default_config_static_selectorELNS0_4arch9wavefront6targetE0EEEvT1_
	.p2align	8
	.type	_ZN7rocprim17ROCPRIM_400000_NS6detail17trampoline_kernelINS0_14default_configENS1_35adjacent_difference_config_selectorILb1ElEEZNS1_24adjacent_difference_implIS3_Lb1ELb0EPlS7_N6thrust23THRUST_200600_302600_NS5minusIlEEEE10hipError_tPvRmT2_T3_mT4_P12ihipStream_tbEUlT_E_NS1_11comp_targetILNS1_3genE8ELNS1_11target_archE1030ELNS1_3gpuE2ELNS1_3repE0EEENS1_30default_config_static_selectorELNS0_4arch9wavefront6targetE0EEEvT1_,@function
_ZN7rocprim17ROCPRIM_400000_NS6detail17trampoline_kernelINS0_14default_configENS1_35adjacent_difference_config_selectorILb1ElEEZNS1_24adjacent_difference_implIS3_Lb1ELb0EPlS7_N6thrust23THRUST_200600_302600_NS5minusIlEEEE10hipError_tPvRmT2_T3_mT4_P12ihipStream_tbEUlT_E_NS1_11comp_targetILNS1_3genE8ELNS1_11target_archE1030ELNS1_3gpuE2ELNS1_3repE0EEENS1_30default_config_static_selectorELNS0_4arch9wavefront6targetE0EEEvT1_: ; @_ZN7rocprim17ROCPRIM_400000_NS6detail17trampoline_kernelINS0_14default_configENS1_35adjacent_difference_config_selectorILb1ElEEZNS1_24adjacent_difference_implIS3_Lb1ELb0EPlS7_N6thrust23THRUST_200600_302600_NS5minusIlEEEE10hipError_tPvRmT2_T3_mT4_P12ihipStream_tbEUlT_E_NS1_11comp_targetILNS1_3genE8ELNS1_11target_archE1030ELNS1_3gpuE2ELNS1_3repE0EEENS1_30default_config_static_selectorELNS0_4arch9wavefront6targetE0EEEvT1_
; %bb.0:
	.section	.rodata,"a",@progbits
	.p2align	6, 0x0
	.amdhsa_kernel _ZN7rocprim17ROCPRIM_400000_NS6detail17trampoline_kernelINS0_14default_configENS1_35adjacent_difference_config_selectorILb1ElEEZNS1_24adjacent_difference_implIS3_Lb1ELb0EPlS7_N6thrust23THRUST_200600_302600_NS5minusIlEEEE10hipError_tPvRmT2_T3_mT4_P12ihipStream_tbEUlT_E_NS1_11comp_targetILNS1_3genE8ELNS1_11target_archE1030ELNS1_3gpuE2ELNS1_3repE0EEENS1_30default_config_static_selectorELNS0_4arch9wavefront6targetE0EEEvT1_
		.amdhsa_group_segment_fixed_size 0
		.amdhsa_private_segment_fixed_size 0
		.amdhsa_kernarg_size 56
		.amdhsa_user_sgpr_count 2
		.amdhsa_user_sgpr_dispatch_ptr 0
		.amdhsa_user_sgpr_queue_ptr 0
		.amdhsa_user_sgpr_kernarg_segment_ptr 1
		.amdhsa_user_sgpr_dispatch_id 0
		.amdhsa_user_sgpr_kernarg_preload_length 0
		.amdhsa_user_sgpr_kernarg_preload_offset 0
		.amdhsa_user_sgpr_private_segment_size 0
		.amdhsa_wavefront_size32 1
		.amdhsa_uses_dynamic_stack 0
		.amdhsa_enable_private_segment 0
		.amdhsa_system_sgpr_workgroup_id_x 1
		.amdhsa_system_sgpr_workgroup_id_y 0
		.amdhsa_system_sgpr_workgroup_id_z 0
		.amdhsa_system_sgpr_workgroup_info 0
		.amdhsa_system_vgpr_workitem_id 0
		.amdhsa_next_free_vgpr 1
		.amdhsa_next_free_sgpr 1
		.amdhsa_named_barrier_count 0
		.amdhsa_reserve_vcc 0
		.amdhsa_float_round_mode_32 0
		.amdhsa_float_round_mode_16_64 0
		.amdhsa_float_denorm_mode_32 3
		.amdhsa_float_denorm_mode_16_64 3
		.amdhsa_fp16_overflow 0
		.amdhsa_memory_ordered 1
		.amdhsa_forward_progress 1
		.amdhsa_inst_pref_size 0
		.amdhsa_round_robin_scheduling 0
		.amdhsa_exception_fp_ieee_invalid_op 0
		.amdhsa_exception_fp_denorm_src 0
		.amdhsa_exception_fp_ieee_div_zero 0
		.amdhsa_exception_fp_ieee_overflow 0
		.amdhsa_exception_fp_ieee_underflow 0
		.amdhsa_exception_fp_ieee_inexact 0
		.amdhsa_exception_int_div_zero 0
	.end_amdhsa_kernel
	.section	.text._ZN7rocprim17ROCPRIM_400000_NS6detail17trampoline_kernelINS0_14default_configENS1_35adjacent_difference_config_selectorILb1ElEEZNS1_24adjacent_difference_implIS3_Lb1ELb0EPlS7_N6thrust23THRUST_200600_302600_NS5minusIlEEEE10hipError_tPvRmT2_T3_mT4_P12ihipStream_tbEUlT_E_NS1_11comp_targetILNS1_3genE8ELNS1_11target_archE1030ELNS1_3gpuE2ELNS1_3repE0EEENS1_30default_config_static_selectorELNS0_4arch9wavefront6targetE0EEEvT1_,"axG",@progbits,_ZN7rocprim17ROCPRIM_400000_NS6detail17trampoline_kernelINS0_14default_configENS1_35adjacent_difference_config_selectorILb1ElEEZNS1_24adjacent_difference_implIS3_Lb1ELb0EPlS7_N6thrust23THRUST_200600_302600_NS5minusIlEEEE10hipError_tPvRmT2_T3_mT4_P12ihipStream_tbEUlT_E_NS1_11comp_targetILNS1_3genE8ELNS1_11target_archE1030ELNS1_3gpuE2ELNS1_3repE0EEENS1_30default_config_static_selectorELNS0_4arch9wavefront6targetE0EEEvT1_,comdat
.Lfunc_end260:
	.size	_ZN7rocprim17ROCPRIM_400000_NS6detail17trampoline_kernelINS0_14default_configENS1_35adjacent_difference_config_selectorILb1ElEEZNS1_24adjacent_difference_implIS3_Lb1ELb0EPlS7_N6thrust23THRUST_200600_302600_NS5minusIlEEEE10hipError_tPvRmT2_T3_mT4_P12ihipStream_tbEUlT_E_NS1_11comp_targetILNS1_3genE8ELNS1_11target_archE1030ELNS1_3gpuE2ELNS1_3repE0EEENS1_30default_config_static_selectorELNS0_4arch9wavefront6targetE0EEEvT1_, .Lfunc_end260-_ZN7rocprim17ROCPRIM_400000_NS6detail17trampoline_kernelINS0_14default_configENS1_35adjacent_difference_config_selectorILb1ElEEZNS1_24adjacent_difference_implIS3_Lb1ELb0EPlS7_N6thrust23THRUST_200600_302600_NS5minusIlEEEE10hipError_tPvRmT2_T3_mT4_P12ihipStream_tbEUlT_E_NS1_11comp_targetILNS1_3genE8ELNS1_11target_archE1030ELNS1_3gpuE2ELNS1_3repE0EEENS1_30default_config_static_selectorELNS0_4arch9wavefront6targetE0EEEvT1_
                                        ; -- End function
	.set _ZN7rocprim17ROCPRIM_400000_NS6detail17trampoline_kernelINS0_14default_configENS1_35adjacent_difference_config_selectorILb1ElEEZNS1_24adjacent_difference_implIS3_Lb1ELb0EPlS7_N6thrust23THRUST_200600_302600_NS5minusIlEEEE10hipError_tPvRmT2_T3_mT4_P12ihipStream_tbEUlT_E_NS1_11comp_targetILNS1_3genE8ELNS1_11target_archE1030ELNS1_3gpuE2ELNS1_3repE0EEENS1_30default_config_static_selectorELNS0_4arch9wavefront6targetE0EEEvT1_.num_vgpr, 0
	.set _ZN7rocprim17ROCPRIM_400000_NS6detail17trampoline_kernelINS0_14default_configENS1_35adjacent_difference_config_selectorILb1ElEEZNS1_24adjacent_difference_implIS3_Lb1ELb0EPlS7_N6thrust23THRUST_200600_302600_NS5minusIlEEEE10hipError_tPvRmT2_T3_mT4_P12ihipStream_tbEUlT_E_NS1_11comp_targetILNS1_3genE8ELNS1_11target_archE1030ELNS1_3gpuE2ELNS1_3repE0EEENS1_30default_config_static_selectorELNS0_4arch9wavefront6targetE0EEEvT1_.num_agpr, 0
	.set _ZN7rocprim17ROCPRIM_400000_NS6detail17trampoline_kernelINS0_14default_configENS1_35adjacent_difference_config_selectorILb1ElEEZNS1_24adjacent_difference_implIS3_Lb1ELb0EPlS7_N6thrust23THRUST_200600_302600_NS5minusIlEEEE10hipError_tPvRmT2_T3_mT4_P12ihipStream_tbEUlT_E_NS1_11comp_targetILNS1_3genE8ELNS1_11target_archE1030ELNS1_3gpuE2ELNS1_3repE0EEENS1_30default_config_static_selectorELNS0_4arch9wavefront6targetE0EEEvT1_.numbered_sgpr, 0
	.set _ZN7rocprim17ROCPRIM_400000_NS6detail17trampoline_kernelINS0_14default_configENS1_35adjacent_difference_config_selectorILb1ElEEZNS1_24adjacent_difference_implIS3_Lb1ELb0EPlS7_N6thrust23THRUST_200600_302600_NS5minusIlEEEE10hipError_tPvRmT2_T3_mT4_P12ihipStream_tbEUlT_E_NS1_11comp_targetILNS1_3genE8ELNS1_11target_archE1030ELNS1_3gpuE2ELNS1_3repE0EEENS1_30default_config_static_selectorELNS0_4arch9wavefront6targetE0EEEvT1_.num_named_barrier, 0
	.set _ZN7rocprim17ROCPRIM_400000_NS6detail17trampoline_kernelINS0_14default_configENS1_35adjacent_difference_config_selectorILb1ElEEZNS1_24adjacent_difference_implIS3_Lb1ELb0EPlS7_N6thrust23THRUST_200600_302600_NS5minusIlEEEE10hipError_tPvRmT2_T3_mT4_P12ihipStream_tbEUlT_E_NS1_11comp_targetILNS1_3genE8ELNS1_11target_archE1030ELNS1_3gpuE2ELNS1_3repE0EEENS1_30default_config_static_selectorELNS0_4arch9wavefront6targetE0EEEvT1_.private_seg_size, 0
	.set _ZN7rocprim17ROCPRIM_400000_NS6detail17trampoline_kernelINS0_14default_configENS1_35adjacent_difference_config_selectorILb1ElEEZNS1_24adjacent_difference_implIS3_Lb1ELb0EPlS7_N6thrust23THRUST_200600_302600_NS5minusIlEEEE10hipError_tPvRmT2_T3_mT4_P12ihipStream_tbEUlT_E_NS1_11comp_targetILNS1_3genE8ELNS1_11target_archE1030ELNS1_3gpuE2ELNS1_3repE0EEENS1_30default_config_static_selectorELNS0_4arch9wavefront6targetE0EEEvT1_.uses_vcc, 0
	.set _ZN7rocprim17ROCPRIM_400000_NS6detail17trampoline_kernelINS0_14default_configENS1_35adjacent_difference_config_selectorILb1ElEEZNS1_24adjacent_difference_implIS3_Lb1ELb0EPlS7_N6thrust23THRUST_200600_302600_NS5minusIlEEEE10hipError_tPvRmT2_T3_mT4_P12ihipStream_tbEUlT_E_NS1_11comp_targetILNS1_3genE8ELNS1_11target_archE1030ELNS1_3gpuE2ELNS1_3repE0EEENS1_30default_config_static_selectorELNS0_4arch9wavefront6targetE0EEEvT1_.uses_flat_scratch, 0
	.set _ZN7rocprim17ROCPRIM_400000_NS6detail17trampoline_kernelINS0_14default_configENS1_35adjacent_difference_config_selectorILb1ElEEZNS1_24adjacent_difference_implIS3_Lb1ELb0EPlS7_N6thrust23THRUST_200600_302600_NS5minusIlEEEE10hipError_tPvRmT2_T3_mT4_P12ihipStream_tbEUlT_E_NS1_11comp_targetILNS1_3genE8ELNS1_11target_archE1030ELNS1_3gpuE2ELNS1_3repE0EEENS1_30default_config_static_selectorELNS0_4arch9wavefront6targetE0EEEvT1_.has_dyn_sized_stack, 0
	.set _ZN7rocprim17ROCPRIM_400000_NS6detail17trampoline_kernelINS0_14default_configENS1_35adjacent_difference_config_selectorILb1ElEEZNS1_24adjacent_difference_implIS3_Lb1ELb0EPlS7_N6thrust23THRUST_200600_302600_NS5minusIlEEEE10hipError_tPvRmT2_T3_mT4_P12ihipStream_tbEUlT_E_NS1_11comp_targetILNS1_3genE8ELNS1_11target_archE1030ELNS1_3gpuE2ELNS1_3repE0EEENS1_30default_config_static_selectorELNS0_4arch9wavefront6targetE0EEEvT1_.has_recursion, 0
	.set _ZN7rocprim17ROCPRIM_400000_NS6detail17trampoline_kernelINS0_14default_configENS1_35adjacent_difference_config_selectorILb1ElEEZNS1_24adjacent_difference_implIS3_Lb1ELb0EPlS7_N6thrust23THRUST_200600_302600_NS5minusIlEEEE10hipError_tPvRmT2_T3_mT4_P12ihipStream_tbEUlT_E_NS1_11comp_targetILNS1_3genE8ELNS1_11target_archE1030ELNS1_3gpuE2ELNS1_3repE0EEENS1_30default_config_static_selectorELNS0_4arch9wavefront6targetE0EEEvT1_.has_indirect_call, 0
	.section	.AMDGPU.csdata,"",@progbits
; Kernel info:
; codeLenInByte = 0
; TotalNumSgprs: 0
; NumVgprs: 0
; ScratchSize: 0
; MemoryBound: 0
; FloatMode: 240
; IeeeMode: 1
; LDSByteSize: 0 bytes/workgroup (compile time only)
; SGPRBlocks: 0
; VGPRBlocks: 0
; NumSGPRsForWavesPerEU: 1
; NumVGPRsForWavesPerEU: 1
; NamedBarCnt: 0
; Occupancy: 16
; WaveLimiterHint : 0
; COMPUTE_PGM_RSRC2:SCRATCH_EN: 0
; COMPUTE_PGM_RSRC2:USER_SGPR: 2
; COMPUTE_PGM_RSRC2:TRAP_HANDLER: 0
; COMPUTE_PGM_RSRC2:TGID_X_EN: 1
; COMPUTE_PGM_RSRC2:TGID_Y_EN: 0
; COMPUTE_PGM_RSRC2:TGID_Z_EN: 0
; COMPUTE_PGM_RSRC2:TIDIG_COMP_CNT: 0
	.section	.text._ZN7rocprim17ROCPRIM_400000_NS6detail17trampoline_kernelINS0_14default_configENS1_37merge_sort_block_sort_config_selectorIlNS0_10empty_typeEEEZNS1_21merge_sort_block_sortIS3_PlS8_PS5_S9_ZN2at6native12_GLOBAL__N_124unique_dim_cuda_templateIaEESt5tupleIJNSA_6TensorESF_SF_EERKSF_lbbbEUlllE_EE10hipError_tT0_T1_T2_T3_mRjT4_P12ihipStream_tbNS1_7vsmem_tEEUlT_E_NS1_11comp_targetILNS1_3genE0ELNS1_11target_archE4294967295ELNS1_3gpuE0ELNS1_3repE0EEENS1_30default_config_static_selectorELNS0_4arch9wavefront6targetE0EEEvSM_,"axG",@progbits,_ZN7rocprim17ROCPRIM_400000_NS6detail17trampoline_kernelINS0_14default_configENS1_37merge_sort_block_sort_config_selectorIlNS0_10empty_typeEEEZNS1_21merge_sort_block_sortIS3_PlS8_PS5_S9_ZN2at6native12_GLOBAL__N_124unique_dim_cuda_templateIaEESt5tupleIJNSA_6TensorESF_SF_EERKSF_lbbbEUlllE_EE10hipError_tT0_T1_T2_T3_mRjT4_P12ihipStream_tbNS1_7vsmem_tEEUlT_E_NS1_11comp_targetILNS1_3genE0ELNS1_11target_archE4294967295ELNS1_3gpuE0ELNS1_3repE0EEENS1_30default_config_static_selectorELNS0_4arch9wavefront6targetE0EEEvSM_,comdat
	.globl	_ZN7rocprim17ROCPRIM_400000_NS6detail17trampoline_kernelINS0_14default_configENS1_37merge_sort_block_sort_config_selectorIlNS0_10empty_typeEEEZNS1_21merge_sort_block_sortIS3_PlS8_PS5_S9_ZN2at6native12_GLOBAL__N_124unique_dim_cuda_templateIaEESt5tupleIJNSA_6TensorESF_SF_EERKSF_lbbbEUlllE_EE10hipError_tT0_T1_T2_T3_mRjT4_P12ihipStream_tbNS1_7vsmem_tEEUlT_E_NS1_11comp_targetILNS1_3genE0ELNS1_11target_archE4294967295ELNS1_3gpuE0ELNS1_3repE0EEENS1_30default_config_static_selectorELNS0_4arch9wavefront6targetE0EEEvSM_ ; -- Begin function _ZN7rocprim17ROCPRIM_400000_NS6detail17trampoline_kernelINS0_14default_configENS1_37merge_sort_block_sort_config_selectorIlNS0_10empty_typeEEEZNS1_21merge_sort_block_sortIS3_PlS8_PS5_S9_ZN2at6native12_GLOBAL__N_124unique_dim_cuda_templateIaEESt5tupleIJNSA_6TensorESF_SF_EERKSF_lbbbEUlllE_EE10hipError_tT0_T1_T2_T3_mRjT4_P12ihipStream_tbNS1_7vsmem_tEEUlT_E_NS1_11comp_targetILNS1_3genE0ELNS1_11target_archE4294967295ELNS1_3gpuE0ELNS1_3repE0EEENS1_30default_config_static_selectorELNS0_4arch9wavefront6targetE0EEEvSM_
	.p2align	8
	.type	_ZN7rocprim17ROCPRIM_400000_NS6detail17trampoline_kernelINS0_14default_configENS1_37merge_sort_block_sort_config_selectorIlNS0_10empty_typeEEEZNS1_21merge_sort_block_sortIS3_PlS8_PS5_S9_ZN2at6native12_GLOBAL__N_124unique_dim_cuda_templateIaEESt5tupleIJNSA_6TensorESF_SF_EERKSF_lbbbEUlllE_EE10hipError_tT0_T1_T2_T3_mRjT4_P12ihipStream_tbNS1_7vsmem_tEEUlT_E_NS1_11comp_targetILNS1_3genE0ELNS1_11target_archE4294967295ELNS1_3gpuE0ELNS1_3repE0EEENS1_30default_config_static_selectorELNS0_4arch9wavefront6targetE0EEEvSM_,@function
_ZN7rocprim17ROCPRIM_400000_NS6detail17trampoline_kernelINS0_14default_configENS1_37merge_sort_block_sort_config_selectorIlNS0_10empty_typeEEEZNS1_21merge_sort_block_sortIS3_PlS8_PS5_S9_ZN2at6native12_GLOBAL__N_124unique_dim_cuda_templateIaEESt5tupleIJNSA_6TensorESF_SF_EERKSF_lbbbEUlllE_EE10hipError_tT0_T1_T2_T3_mRjT4_P12ihipStream_tbNS1_7vsmem_tEEUlT_E_NS1_11comp_targetILNS1_3genE0ELNS1_11target_archE4294967295ELNS1_3gpuE0ELNS1_3repE0EEENS1_30default_config_static_selectorELNS0_4arch9wavefront6targetE0EEEvSM_: ; @_ZN7rocprim17ROCPRIM_400000_NS6detail17trampoline_kernelINS0_14default_configENS1_37merge_sort_block_sort_config_selectorIlNS0_10empty_typeEEEZNS1_21merge_sort_block_sortIS3_PlS8_PS5_S9_ZN2at6native12_GLOBAL__N_124unique_dim_cuda_templateIaEESt5tupleIJNSA_6TensorESF_SF_EERKSF_lbbbEUlllE_EE10hipError_tT0_T1_T2_T3_mRjT4_P12ihipStream_tbNS1_7vsmem_tEEUlT_E_NS1_11comp_targetILNS1_3genE0ELNS1_11target_archE4294967295ELNS1_3gpuE0ELNS1_3repE0EEENS1_30default_config_static_selectorELNS0_4arch9wavefront6targetE0EEEvSM_
; %bb.0:
	s_clause 0x1
	s_load_b32 s4, s[0:1], 0x0
	s_load_b64 s[8:9], s[0:1], 0x48
	s_bfe_u32 s2, ttmp6, 0x40010
	s_and_b32 s3, ttmp7, 0xffff
	s_add_co_i32 s2, s2, 1
	s_bfe_u32 s6, ttmp6, 0x4000c
	s_mul_i32 s2, s3, s2
	s_bfe_u32 s5, ttmp6, 0x40004
	s_add_co_i32 s6, s6, 1
	s_bfe_u32 s7, ttmp6, 0x40014
	s_add_co_i32 s5, s5, s2
	s_and_b32 s2, ttmp6, 15
	s_mul_i32 s6, ttmp9, s6
	s_lshr_b32 s10, ttmp7, 16
	s_add_co_i32 s7, s7, 1
	s_add_co_i32 s2, s2, s6
	s_mul_i32 s6, s10, s7
	s_bfe_u32 s7, ttmp6, 0x40008
	s_getreg_b32 s11, hwreg(HW_REG_IB_STS2, 6, 4)
	s_add_co_i32 s7, s7, s6
	s_cmp_eq_u32 s11, 0
	s_cselect_b32 s6, s10, s7
	s_cselect_b32 s3, s3, s5
	s_wait_kmcnt 0x0
	s_mul_i32 s6, s9, s6
	s_cselect_b32 s9, ttmp9, s2
	s_add_co_i32 s2, s6, s3
	s_mov_b32 s3, 0
	s_mul_i32 s2, s2, s8
	s_delay_alu instid0(SALU_CYCLE_1) | instskip(NEXT) | instid1(SALU_CYCLE_1)
	s_add_co_i32 s2, s2, s9
	s_cmp_ge_u32 s2, s4
	s_cbranch_scc1 .LBB261_1486
; %bb.1:
	s_clause 0x2
	s_load_b64 s[4:5], s[0:1], 0x8
	s_load_b128 s[12:15], s[0:1], 0x18
	s_load_b128 s[16:19], s[0:1], 0x38
	v_and_b32_e32 v18, 0x3ff, v0
	s_add_nc_u64 s[10:11], s[0:1], 0x48
	s_wait_xcnt 0x0
	s_lshl_b64 s[0:1], s[2:3], 14
	s_wait_kmcnt 0x0
	s_lshr_b64 s[6:7], s[4:5], 11
	s_add_nc_u64 s[12:13], s[12:13], s[0:1]
	s_cmp_lg_u64 s[6:7], s[2:3]
	s_add_nc_u64 s[20:21], s[14:15], s[0:1]
	s_cbranch_scc0 .LBB261_8
; %bb.2:
	s_clause 0x7
	global_load_b64 v[2:3], v18, s[12:13] scale_offset
	global_load_b64 v[4:5], v18, s[12:13] offset:2048 scale_offset
	global_load_b64 v[6:7], v18, s[12:13] offset:4096 scale_offset
	;; [unrolled: 1-line block ×7, first 2 shown]
	v_dual_lshrrev_b32 v19, 2, v18 :: v_dual_lshlrev_b32 v1, 3, v18
	v_add_nc_u32_e32 v20, 0x100, v18
	v_add_nc_u32_e32 v21, 0x200, v18
	;; [unrolled: 1-line block ×3, first 2 shown]
	v_or_b32_e32 v23, 0x400, v18
	v_add_nc_u32_e32 v24, 0x500, v18
	v_add_nc_u32_e32 v25, 0x600, v18
	;; [unrolled: 1-line block ×3, first 2 shown]
	v_dual_lshlrev_b32 v27, 1, v18 :: v_dual_lshrrev_b32 v20, 2, v20
	v_and_b32_e32 v19, 0xf8, v19
	v_dual_lshrrev_b32 v21, 2, v21 :: v_dual_lshrrev_b32 v22, 2, v22
	v_dual_lshrrev_b32 v23, 2, v23 :: v_dual_lshrrev_b32 v24, 2, v24
	;; [unrolled: 1-line block ×3, first 2 shown]
	v_and_b32_e32 v27, 0x7f8, v27
	v_add_nc_u32_e32 v26, v19, v1
	v_and_b32_e32 v19, 0x1f8, v20
	v_and_b32_e32 v20, 0x1f8, v21
	;; [unrolled: 1-line block ×7, first 2 shown]
	v_lshl_add_u32 v34, v18, 6, v27
	v_dual_add_nc_u32 v27, v19, v1 :: v_dual_add_nc_u32 v28, v20, v1
	v_add_nc_u32_e32 v29, v21, v1
	s_cmp_lt_u32 s9, s8
	v_dual_add_nc_u32 v30, v22, v1 :: v_dual_add_nc_u32 v31, v23, v1
	v_dual_add_nc_u32 v32, v24, v1 :: v_dual_add_nc_u32 v33, v25, v1
	s_mov_b32 s1, 0
	s_cselect_b32 s0, 12, 18
	v_bfe_u32 v19, v0, 10, 10
	s_add_nc_u64 s[0:1], s[10:11], s[0:1]
	v_bfe_u32 v20, v0, 20, 10
	v_cmp_gt_i64_e64 s14, s[16:17], 0
	s_wait_loadcnt 0x7
	ds_store_b64 v26, v[2:3]
	s_wait_loadcnt 0x6
	ds_store_b64 v27, v[4:5] offset:2048
	s_wait_loadcnt 0x5
	ds_store_b64 v28, v[6:7] offset:4096
	;; [unrolled: 2-line block ×7, first 2 shown]
	s_wait_dscnt 0x0
	s_barrier_signal -1
	s_barrier_wait -1
	ds_load_2addr_b64 v[14:17], v34 offset1:1
	ds_load_2addr_b64 v[10:13], v34 offset0:2 offset1:3
	ds_load_2addr_b64 v[6:9], v34 offset0:4 offset1:5
	;; [unrolled: 1-line block ×3, first 2 shown]
	s_wait_dscnt 0x0
	s_barrier_signal -1
	s_barrier_wait -1
	s_load_u16 s5, s[10:11], 0xe
	v_cndmask_b32_e64 v35, 0, 1, s14
	s_load_u16 s0, s[0:1], 0x0
	s_wait_kmcnt 0x0
	v_mad_u32_u24 v19, v20, s5, v19
	s_mov_b32 s5, exec_lo
	s_delay_alu instid0(VALU_DEP_1) | instskip(NEXT) | instid1(VALU_DEP_1)
	v_mul_lo_u32 v19, v19, s0
	v_add_lshl_u32 v24, v19, v18, 3
	v_mov_b32_e32 v19, 0
	s_delay_alu instid0(VALU_DEP_2)
	v_cmpx_gt_u32_e32 0x800, v24
	s_cbranch_execz .LBB261_188
; %bb.3:
	s_and_not1_b32 vcc_lo, exec_lo, s14
	s_cbranch_vccnz .LBB261_18
; %bb.4:
	v_mad_nc_u64_u32 v[20:21], v16, s16, s[18:19]
	v_mad_nc_u64_u32 v[22:23], v14, s16, s[18:19]
	s_mov_b32 s22, 0
	s_mov_b64 s[6:7], s[16:17]
                                        ; implicit-def: $sgpr15
                                        ; implicit-def: $sgpr23
                                        ; implicit-def: $sgpr25
                                        ; implicit-def: $sgpr24
                                        ; implicit-def: $sgpr26
	s_delay_alu instid0(VALU_DEP_2) | instskip(NEXT) | instid1(VALU_DEP_2)
	v_mad_u32 v21, v17, s16, v21
	v_mad_u32 v23, v15, s16, v23
	s_delay_alu instid0(VALU_DEP_2) | instskip(NEXT) | instid1(VALU_DEP_2)
	v_mad_u32 v21, v16, s17, v21
	v_mad_u32 v23, v14, s17, v23
	s_branch .LBB261_6
.LBB261_5:                              ;   in Loop: Header=BB261_6 Depth=1
	s_or_b32 exec_lo, exec_lo, s27
	s_and_b32 s0, s0, s26
	s_delay_alu instid0(SALU_CYCLE_1) | instskip(SKIP_1) | instid1(SALU_CYCLE_1)
	s_or_b32 s0, vcc_lo, s0
	s_and_b32 s1, exec_lo, s25
	s_or_b32 s22, s1, s22
	s_and_not1_b32 s1, s26, exec_lo
	s_and_b32 s0, s0, exec_lo
	s_and_not1_b32 s23, s23, exec_lo
	s_and_b32 s27, s24, exec_lo
	s_or_b32 s26, s1, s0
	s_and_not1_b32 s1, s15, exec_lo
	s_or_b32 s23, s23, s27
	s_or_b32 s15, s1, s0
	s_and_not1_b32 exec_lo, exec_lo, s22
	s_cbranch_execz .LBB261_9
.LBB261_6:                              ; =>This Inner Loop Header: Depth=1
	global_load_u8 v25, v[20:21], off
	global_load_u8 v36, v[22:23], off
	s_or_b32 s24, s24, exec_lo
	s_or_b32 s25, s25, exec_lo
	s_mov_b32 s27, exec_lo
	s_wait_loadcnt 0x1
	v_bfe_i32 v37, v25, 0, 8
	s_wait_loadcnt 0x0
	v_bfe_i32 v38, v36, 0, 8
	v_and_b32_e32 v25, 0xff, v25
	v_and_b32_e32 v36, 0xff, v36
	s_delay_alu instid0(VALU_DEP_3) | instskip(SKIP_1) | instid1(VALU_DEP_3)
	v_cmp_le_i16_e64 s0, v37, v38
	v_cmp_lt_i16_e32 vcc_lo, v37, v38
	v_cmpx_eq_u16_e64 v25, v36
	s_cbranch_execz .LBB261_5
; %bb.7:                                ;   in Loop: Header=BB261_6 Depth=1
	s_add_nc_u64 s[6:7], s[6:7], -1
	v_add_nc_u64_e32 v[20:21], 1, v[20:21]
	s_cmp_eq_u64 s[6:7], 0
	v_add_nc_u64_e32 v[22:23], 1, v[22:23]
	s_cselect_b32 s1, -1, 0
	s_and_not1_b32 s25, s25, exec_lo
	s_and_b32 s1, s1, exec_lo
	s_and_not1_b32 s24, s24, exec_lo
	s_or_b32 s25, s25, s1
	s_branch .LBB261_5
.LBB261_8:
	s_mov_b32 s24, s3
                                        ; implicit-def: $vgpr2_vgpr3
	s_cbranch_execnz .LBB261_698
	s_branch .LBB261_1484
.LBB261_9:
	s_or_b32 exec_lo, exec_lo, s22
	s_and_saveexec_b32 s0, s23
	s_delay_alu instid0(SALU_CYCLE_1)
	s_xor_b32 s0, exec_lo, s0
; %bb.10:
	v_dual_cndmask_b32 v21, v17, v15, s15 :: v_dual_cndmask_b32 v20, v16, v14, s15
	v_dual_cndmask_b32 v15, v15, v17, s15 :: v_dual_cndmask_b32 v14, v14, v16, s15
	s_delay_alu instid0(VALU_DEP_2)
	v_mov_b64_e32 v[16:17], v[20:21]
; %bb.11:
	s_or_b32 exec_lo, exec_lo, s0
	v_mad_nc_u64_u32 v[20:21], v12, s16, s[18:19]
	v_mad_nc_u64_u32 v[22:23], v10, s16, s[18:19]
	s_mov_b32 s22, 0
	s_mov_b64 s[6:7], s[16:17]
                                        ; implicit-def: $sgpr15
                                        ; implicit-def: $sgpr23
                                        ; implicit-def: $sgpr25
                                        ; implicit-def: $sgpr24
                                        ; implicit-def: $sgpr26
	s_delay_alu instid0(VALU_DEP_2) | instskip(NEXT) | instid1(VALU_DEP_2)
	v_mad_u32 v21, v13, s16, v21
	v_mad_u32 v23, v11, s16, v23
	s_delay_alu instid0(VALU_DEP_2) | instskip(NEXT) | instid1(VALU_DEP_2)
	v_mad_u32 v21, v12, s17, v21
	v_mad_u32 v23, v10, s17, v23
	s_branch .LBB261_13
.LBB261_12:                             ;   in Loop: Header=BB261_13 Depth=1
	s_or_b32 exec_lo, exec_lo, s27
	s_and_b32 s0, s0, s26
	s_delay_alu instid0(SALU_CYCLE_1) | instskip(SKIP_1) | instid1(SALU_CYCLE_1)
	s_or_b32 s0, vcc_lo, s0
	s_and_b32 s1, exec_lo, s25
	s_or_b32 s22, s1, s22
	s_and_not1_b32 s1, s26, exec_lo
	s_and_b32 s0, s0, exec_lo
	s_and_not1_b32 s23, s23, exec_lo
	s_and_b32 s27, s24, exec_lo
	s_or_b32 s26, s1, s0
	s_and_not1_b32 s1, s15, exec_lo
	s_or_b32 s23, s23, s27
	s_or_b32 s15, s1, s0
	s_and_not1_b32 exec_lo, exec_lo, s22
	s_cbranch_execz .LBB261_15
.LBB261_13:                             ; =>This Inner Loop Header: Depth=1
	global_load_u8 v25, v[20:21], off
	global_load_u8 v36, v[22:23], off
	s_or_b32 s24, s24, exec_lo
	s_or_b32 s25, s25, exec_lo
	s_mov_b32 s27, exec_lo
	s_wait_loadcnt 0x1
	v_bfe_i32 v37, v25, 0, 8
	s_wait_loadcnt 0x0
	v_bfe_i32 v38, v36, 0, 8
	v_and_b32_e32 v25, 0xff, v25
	v_and_b32_e32 v36, 0xff, v36
	s_delay_alu instid0(VALU_DEP_3) | instskip(SKIP_1) | instid1(VALU_DEP_3)
	v_cmp_le_i16_e64 s0, v37, v38
	v_cmp_lt_i16_e32 vcc_lo, v37, v38
	v_cmpx_eq_u16_e64 v25, v36
	s_cbranch_execz .LBB261_12
; %bb.14:                               ;   in Loop: Header=BB261_13 Depth=1
	s_add_nc_u64 s[6:7], s[6:7], -1
	v_add_nc_u64_e32 v[20:21], 1, v[20:21]
	s_cmp_eq_u64 s[6:7], 0
	v_add_nc_u64_e32 v[22:23], 1, v[22:23]
	s_cselect_b32 s1, -1, 0
	s_and_not1_b32 s25, s25, exec_lo
	s_and_b32 s1, s1, exec_lo
	s_and_not1_b32 s24, s24, exec_lo
	s_or_b32 s25, s25, s1
	s_branch .LBB261_12
.LBB261_15:
	s_or_b32 exec_lo, exec_lo, s22
	s_and_saveexec_b32 s0, s23
	s_delay_alu instid0(SALU_CYCLE_1)
	s_xor_b32 s0, exec_lo, s0
; %bb.16:
	v_dual_cndmask_b32 v21, v11, v13, s15 :: v_dual_cndmask_b32 v20, v10, v12, s15
	v_dual_cndmask_b32 v13, v13, v11, s15 :: v_dual_cndmask_b32 v12, v12, v10, s15
	s_delay_alu instid0(VALU_DEP_2)
	v_mov_b64_e32 v[10:11], v[20:21]
; %bb.17:
	s_or_b32 exec_lo, exec_lo, s0
.LBB261_18:
	s_delay_alu instid0(SALU_CYCLE_1)
	s_and_not1_b32 vcc_lo, exec_lo, s14
	s_cbranch_vccnz .LBB261_32
; %bb.19:
	v_mad_nc_u64_u32 v[20:21], v8, s16, s[18:19]
	v_mad_nc_u64_u32 v[22:23], v6, s16, s[18:19]
	s_mov_b32 s22, 0
	s_mov_b64 s[6:7], s[16:17]
                                        ; implicit-def: $sgpr15
                                        ; implicit-def: $sgpr23
                                        ; implicit-def: $sgpr25
                                        ; implicit-def: $sgpr24
                                        ; implicit-def: $sgpr26
	s_delay_alu instid0(VALU_DEP_2) | instskip(NEXT) | instid1(VALU_DEP_2)
	v_mad_u32 v21, v9, s16, v21
	v_mad_u32 v23, v7, s16, v23
	s_delay_alu instid0(VALU_DEP_2) | instskip(NEXT) | instid1(VALU_DEP_2)
	v_mad_u32 v21, v8, s17, v21
	v_mad_u32 v23, v6, s17, v23
	s_branch .LBB261_21
.LBB261_20:                             ;   in Loop: Header=BB261_21 Depth=1
	s_or_b32 exec_lo, exec_lo, s27
	s_and_b32 s0, s0, s26
	s_delay_alu instid0(SALU_CYCLE_1) | instskip(SKIP_1) | instid1(SALU_CYCLE_1)
	s_or_b32 s0, vcc_lo, s0
	s_and_b32 s1, exec_lo, s25
	s_or_b32 s22, s1, s22
	s_and_not1_b32 s1, s26, exec_lo
	s_and_b32 s0, s0, exec_lo
	s_and_not1_b32 s23, s23, exec_lo
	s_and_b32 s27, s24, exec_lo
	s_or_b32 s26, s1, s0
	s_and_not1_b32 s1, s15, exec_lo
	s_or_b32 s23, s23, s27
	s_or_b32 s15, s1, s0
	s_and_not1_b32 exec_lo, exec_lo, s22
	s_cbranch_execz .LBB261_23
.LBB261_21:                             ; =>This Inner Loop Header: Depth=1
	global_load_u8 v25, v[20:21], off
	global_load_u8 v36, v[22:23], off
	s_or_b32 s24, s24, exec_lo
	s_or_b32 s25, s25, exec_lo
	s_mov_b32 s27, exec_lo
	s_wait_loadcnt 0x1
	v_bfe_i32 v37, v25, 0, 8
	s_wait_loadcnt 0x0
	v_bfe_i32 v38, v36, 0, 8
	v_and_b32_e32 v25, 0xff, v25
	v_and_b32_e32 v36, 0xff, v36
	s_delay_alu instid0(VALU_DEP_3) | instskip(SKIP_1) | instid1(VALU_DEP_3)
	v_cmp_le_i16_e64 s0, v37, v38
	v_cmp_lt_i16_e32 vcc_lo, v37, v38
	v_cmpx_eq_u16_e64 v25, v36
	s_cbranch_execz .LBB261_20
; %bb.22:                               ;   in Loop: Header=BB261_21 Depth=1
	s_add_nc_u64 s[6:7], s[6:7], -1
	v_add_nc_u64_e32 v[20:21], 1, v[20:21]
	s_cmp_eq_u64 s[6:7], 0
	v_add_nc_u64_e32 v[22:23], 1, v[22:23]
	s_cselect_b32 s1, -1, 0
	s_and_not1_b32 s25, s25, exec_lo
	s_and_b32 s1, s1, exec_lo
	s_and_not1_b32 s24, s24, exec_lo
	s_or_b32 s25, s25, s1
	s_branch .LBB261_20
.LBB261_23:
	s_or_b32 exec_lo, exec_lo, s22
	s_and_saveexec_b32 s0, s23
	s_delay_alu instid0(SALU_CYCLE_1)
	s_xor_b32 s0, exec_lo, s0
; %bb.24:
	v_dual_cndmask_b32 v21, v7, v9, s15 :: v_dual_cndmask_b32 v20, v6, v8, s15
	v_dual_cndmask_b32 v9, v9, v7, s15 :: v_dual_cndmask_b32 v8, v8, v6, s15
	s_delay_alu instid0(VALU_DEP_2)
	v_mov_b64_e32 v[6:7], v[20:21]
; %bb.25:
	s_or_b32 exec_lo, exec_lo, s0
	v_mad_nc_u64_u32 v[20:21], v4, s16, s[18:19]
	v_mad_nc_u64_u32 v[22:23], v2, s16, s[18:19]
	s_mov_b32 s22, 0
	s_mov_b64 s[6:7], s[16:17]
                                        ; implicit-def: $sgpr15
                                        ; implicit-def: $sgpr23
                                        ; implicit-def: $sgpr25
                                        ; implicit-def: $sgpr24
                                        ; implicit-def: $sgpr26
	s_delay_alu instid0(VALU_DEP_2) | instskip(NEXT) | instid1(VALU_DEP_2)
	v_mad_u32 v21, v5, s16, v21
	v_mad_u32 v23, v3, s16, v23
	s_delay_alu instid0(VALU_DEP_2) | instskip(NEXT) | instid1(VALU_DEP_2)
	v_mad_u32 v21, v4, s17, v21
	v_mad_u32 v23, v2, s17, v23
	s_branch .LBB261_27
.LBB261_26:                             ;   in Loop: Header=BB261_27 Depth=1
	s_or_b32 exec_lo, exec_lo, s27
	s_and_b32 s0, s0, s26
	s_delay_alu instid0(SALU_CYCLE_1) | instskip(SKIP_1) | instid1(SALU_CYCLE_1)
	s_or_b32 s0, vcc_lo, s0
	s_and_b32 s1, exec_lo, s25
	s_or_b32 s22, s1, s22
	s_and_not1_b32 s1, s26, exec_lo
	s_and_b32 s0, s0, exec_lo
	s_and_not1_b32 s23, s23, exec_lo
	s_and_b32 s27, s24, exec_lo
	s_or_b32 s26, s1, s0
	s_and_not1_b32 s1, s15, exec_lo
	s_or_b32 s23, s23, s27
	s_or_b32 s15, s1, s0
	s_and_not1_b32 exec_lo, exec_lo, s22
	s_cbranch_execz .LBB261_29
.LBB261_27:                             ; =>This Inner Loop Header: Depth=1
	global_load_u8 v25, v[20:21], off
	global_load_u8 v36, v[22:23], off
	s_or_b32 s24, s24, exec_lo
	s_or_b32 s25, s25, exec_lo
	s_mov_b32 s27, exec_lo
	s_wait_loadcnt 0x1
	v_bfe_i32 v37, v25, 0, 8
	s_wait_loadcnt 0x0
	v_bfe_i32 v38, v36, 0, 8
	v_and_b32_e32 v25, 0xff, v25
	v_and_b32_e32 v36, 0xff, v36
	s_delay_alu instid0(VALU_DEP_3) | instskip(SKIP_1) | instid1(VALU_DEP_3)
	v_cmp_le_i16_e64 s0, v37, v38
	v_cmp_lt_i16_e32 vcc_lo, v37, v38
	v_cmpx_eq_u16_e64 v25, v36
	s_cbranch_execz .LBB261_26
; %bb.28:                               ;   in Loop: Header=BB261_27 Depth=1
	s_add_nc_u64 s[6:7], s[6:7], -1
	v_add_nc_u64_e32 v[20:21], 1, v[20:21]
	s_cmp_eq_u64 s[6:7], 0
	v_add_nc_u64_e32 v[22:23], 1, v[22:23]
	s_cselect_b32 s1, -1, 0
	s_and_not1_b32 s25, s25, exec_lo
	s_and_b32 s1, s1, exec_lo
	s_and_not1_b32 s24, s24, exec_lo
	s_or_b32 s25, s25, s1
	s_branch .LBB261_26
.LBB261_29:
	s_or_b32 exec_lo, exec_lo, s22
	s_and_saveexec_b32 s0, s23
	s_delay_alu instid0(SALU_CYCLE_1)
	s_xor_b32 s0, exec_lo, s0
; %bb.30:
	v_dual_cndmask_b32 v21, v3, v5, s15 :: v_dual_cndmask_b32 v20, v2, v4, s15
	v_dual_cndmask_b32 v5, v5, v3, s15 :: v_dual_cndmask_b32 v4, v4, v2, s15
	s_delay_alu instid0(VALU_DEP_2)
	v_mov_b64_e32 v[2:3], v[20:21]
; %bb.31:
	s_or_b32 exec_lo, exec_lo, s0
.LBB261_32:
	s_delay_alu instid0(SALU_CYCLE_1)
	s_and_b32 vcc_lo, exec_lo, s14
	s_cbranch_vccz .LBB261_46
; %bb.33:
	s_delay_alu instid0(VALU_DEP_1) | instskip(SKIP_3) | instid1(VALU_DEP_2)
	v_mad_nc_u64_u32 v[20:21], v10, s16, s[18:19]
	v_mad_nc_u64_u32 v[22:23], v16, s16, s[18:19]
	s_mov_b32 s15, 0
	s_mov_b64 s[6:7], s[16:17]
                                        ; implicit-def: $sgpr14
                                        ; implicit-def: $sgpr22
                                        ; implicit-def: $sgpr24
                                        ; implicit-def: $sgpr23
                                        ; implicit-def: $sgpr25
	v_mad_u32 v21, v11, s16, v21
	s_delay_alu instid0(VALU_DEP_2) | instskip(NEXT) | instid1(VALU_DEP_2)
	v_mad_u32 v23, v17, s16, v23
	v_mad_u32 v21, v10, s17, v21
	s_delay_alu instid0(VALU_DEP_2)
	v_mad_u32 v23, v16, s17, v23
	s_branch .LBB261_35
.LBB261_34:                             ;   in Loop: Header=BB261_35 Depth=1
	s_or_b32 exec_lo, exec_lo, s26
	s_and_b32 s0, s0, s25
	s_delay_alu instid0(SALU_CYCLE_1) | instskip(SKIP_1) | instid1(SALU_CYCLE_1)
	s_or_b32 s0, vcc_lo, s0
	s_and_b32 s1, exec_lo, s24
	s_or_b32 s15, s1, s15
	s_and_not1_b32 s1, s25, exec_lo
	s_and_b32 s0, s0, exec_lo
	s_and_not1_b32 s22, s22, exec_lo
	s_and_b32 s26, s23, exec_lo
	s_or_b32 s25, s1, s0
	s_and_not1_b32 s1, s14, exec_lo
	s_or_b32 s22, s22, s26
	s_or_b32 s14, s1, s0
	s_and_not1_b32 exec_lo, exec_lo, s15
	s_cbranch_execz .LBB261_37
.LBB261_35:                             ; =>This Inner Loop Header: Depth=1
	global_load_u8 v25, v[20:21], off
	global_load_u8 v36, v[22:23], off
	s_or_b32 s23, s23, exec_lo
	s_or_b32 s24, s24, exec_lo
	s_mov_b32 s26, exec_lo
	s_wait_loadcnt 0x1
	v_bfe_i32 v37, v25, 0, 8
	s_wait_loadcnt 0x0
	v_bfe_i32 v38, v36, 0, 8
	v_and_b32_e32 v25, 0xff, v25
	v_and_b32_e32 v36, 0xff, v36
	s_delay_alu instid0(VALU_DEP_3) | instskip(SKIP_1) | instid1(VALU_DEP_3)
	v_cmp_le_i16_e64 s0, v37, v38
	v_cmp_lt_i16_e32 vcc_lo, v37, v38
	v_cmpx_eq_u16_e64 v25, v36
	s_cbranch_execz .LBB261_34
; %bb.36:                               ;   in Loop: Header=BB261_35 Depth=1
	s_add_nc_u64 s[6:7], s[6:7], -1
	v_add_nc_u64_e32 v[20:21], 1, v[20:21]
	s_cmp_eq_u64 s[6:7], 0
	v_add_nc_u64_e32 v[22:23], 1, v[22:23]
	s_cselect_b32 s1, -1, 0
	s_and_not1_b32 s24, s24, exec_lo
	s_and_b32 s1, s1, exec_lo
	s_and_not1_b32 s23, s23, exec_lo
	s_or_b32 s24, s24, s1
	s_branch .LBB261_34
.LBB261_37:
	s_or_b32 exec_lo, exec_lo, s15
	s_and_saveexec_b32 s0, s22
	s_delay_alu instid0(SALU_CYCLE_1)
	s_xor_b32 s0, exec_lo, s0
; %bb.38:
	v_dual_cndmask_b32 v21, v17, v11, s14 :: v_dual_cndmask_b32 v20, v16, v10, s14
	v_dual_cndmask_b32 v11, v11, v17, s14 :: v_dual_cndmask_b32 v10, v10, v16, s14
	s_delay_alu instid0(VALU_DEP_2)
	v_mov_b64_e32 v[16:17], v[20:21]
; %bb.39:
	s_or_b32 exec_lo, exec_lo, s0
	v_mad_nc_u64_u32 v[20:21], v6, s16, s[18:19]
	v_mad_nc_u64_u32 v[22:23], v12, s16, s[18:19]
	s_mov_b32 s15, 0
	s_mov_b64 s[6:7], s[16:17]
                                        ; implicit-def: $sgpr14
                                        ; implicit-def: $sgpr22
                                        ; implicit-def: $sgpr24
                                        ; implicit-def: $sgpr23
                                        ; implicit-def: $sgpr25
	s_delay_alu instid0(VALU_DEP_2) | instskip(NEXT) | instid1(VALU_DEP_2)
	v_mad_u32 v21, v7, s16, v21
	v_mad_u32 v23, v13, s16, v23
	s_delay_alu instid0(VALU_DEP_2) | instskip(NEXT) | instid1(VALU_DEP_2)
	v_mad_u32 v21, v6, s17, v21
	v_mad_u32 v23, v12, s17, v23
	s_branch .LBB261_41
.LBB261_40:                             ;   in Loop: Header=BB261_41 Depth=1
	s_or_b32 exec_lo, exec_lo, s26
	s_and_b32 s0, s0, s25
	s_delay_alu instid0(SALU_CYCLE_1) | instskip(SKIP_1) | instid1(SALU_CYCLE_1)
	s_or_b32 s0, vcc_lo, s0
	s_and_b32 s1, exec_lo, s24
	s_or_b32 s15, s1, s15
	s_and_not1_b32 s1, s25, exec_lo
	s_and_b32 s0, s0, exec_lo
	s_and_not1_b32 s22, s22, exec_lo
	s_and_b32 s26, s23, exec_lo
	s_or_b32 s25, s1, s0
	s_and_not1_b32 s1, s14, exec_lo
	s_or_b32 s22, s22, s26
	s_or_b32 s14, s1, s0
	s_and_not1_b32 exec_lo, exec_lo, s15
	s_cbranch_execz .LBB261_43
.LBB261_41:                             ; =>This Inner Loop Header: Depth=1
	global_load_u8 v25, v[20:21], off
	global_load_u8 v36, v[22:23], off
	s_or_b32 s23, s23, exec_lo
	s_or_b32 s24, s24, exec_lo
	s_mov_b32 s26, exec_lo
	s_wait_loadcnt 0x1
	v_bfe_i32 v37, v25, 0, 8
	s_wait_loadcnt 0x0
	v_bfe_i32 v38, v36, 0, 8
	v_and_b32_e32 v25, 0xff, v25
	v_and_b32_e32 v36, 0xff, v36
	s_delay_alu instid0(VALU_DEP_3) | instskip(SKIP_1) | instid1(VALU_DEP_3)
	v_cmp_le_i16_e64 s0, v37, v38
	v_cmp_lt_i16_e32 vcc_lo, v37, v38
	v_cmpx_eq_u16_e64 v25, v36
	s_cbranch_execz .LBB261_40
; %bb.42:                               ;   in Loop: Header=BB261_41 Depth=1
	s_add_nc_u64 s[6:7], s[6:7], -1
	v_add_nc_u64_e32 v[20:21], 1, v[20:21]
	s_cmp_eq_u64 s[6:7], 0
	v_add_nc_u64_e32 v[22:23], 1, v[22:23]
	s_cselect_b32 s1, -1, 0
	s_and_not1_b32 s24, s24, exec_lo
	s_and_b32 s1, s1, exec_lo
	s_and_not1_b32 s23, s23, exec_lo
	s_or_b32 s24, s24, s1
	s_branch .LBB261_40
.LBB261_43:
	s_or_b32 exec_lo, exec_lo, s15
	s_and_saveexec_b32 s0, s22
	s_delay_alu instid0(SALU_CYCLE_1)
	s_xor_b32 s0, exec_lo, s0
; %bb.44:
	v_dual_cndmask_b32 v21, v13, v7, s14 :: v_dual_cndmask_b32 v20, v12, v6, s14
	v_dual_cndmask_b32 v7, v7, v13, s14 :: v_dual_cndmask_b32 v6, v6, v12, s14
	s_delay_alu instid0(VALU_DEP_2)
	v_mov_b64_e32 v[12:13], v[20:21]
; %bb.45:
	s_or_b32 exec_lo, exec_lo, s0
.LBB261_46:
	v_cmp_ne_u32_e32 vcc_lo, 1, v35
	s_cbranch_vccnz .LBB261_72
; %bb.47:
	s_delay_alu instid0(VALU_DEP_2) | instskip(SKIP_3) | instid1(VALU_DEP_2)
	v_mad_nc_u64_u32 v[20:21], v2, s16, s[18:19]
	v_mad_nc_u64_u32 v[22:23], v8, s16, s[18:19]
	s_mov_b32 s15, 0
	s_mov_b64 s[6:7], s[16:17]
                                        ; implicit-def: $sgpr14
                                        ; implicit-def: $sgpr22
                                        ; implicit-def: $sgpr24
                                        ; implicit-def: $sgpr23
                                        ; implicit-def: $sgpr25
	v_mad_u32 v21, v3, s16, v21
	s_delay_alu instid0(VALU_DEP_2) | instskip(NEXT) | instid1(VALU_DEP_2)
	v_mad_u32 v23, v9, s16, v23
	v_mad_u32 v21, v2, s17, v21
	s_delay_alu instid0(VALU_DEP_2)
	v_mad_u32 v23, v8, s17, v23
	s_branch .LBB261_49
.LBB261_48:                             ;   in Loop: Header=BB261_49 Depth=1
	s_or_b32 exec_lo, exec_lo, s26
	s_and_b32 s0, s0, s25
	s_delay_alu instid0(SALU_CYCLE_1) | instskip(SKIP_1) | instid1(SALU_CYCLE_1)
	s_or_b32 s0, vcc_lo, s0
	s_and_b32 s1, exec_lo, s24
	s_or_b32 s15, s1, s15
	s_and_not1_b32 s1, s25, exec_lo
	s_and_b32 s0, s0, exec_lo
	s_and_not1_b32 s22, s22, exec_lo
	s_and_b32 s26, s23, exec_lo
	s_or_b32 s25, s1, s0
	s_and_not1_b32 s1, s14, exec_lo
	s_or_b32 s22, s22, s26
	s_or_b32 s14, s1, s0
	s_and_not1_b32 exec_lo, exec_lo, s15
	s_cbranch_execz .LBB261_51
.LBB261_49:                             ; =>This Inner Loop Header: Depth=1
	global_load_u8 v25, v[20:21], off
	global_load_u8 v36, v[22:23], off
	s_or_b32 s23, s23, exec_lo
	s_or_b32 s24, s24, exec_lo
	s_mov_b32 s26, exec_lo
	s_wait_loadcnt 0x1
	v_bfe_i32 v37, v25, 0, 8
	s_wait_loadcnt 0x0
	v_bfe_i32 v38, v36, 0, 8
	v_and_b32_e32 v25, 0xff, v25
	v_and_b32_e32 v36, 0xff, v36
	s_delay_alu instid0(VALU_DEP_3) | instskip(SKIP_1) | instid1(VALU_DEP_3)
	v_cmp_le_i16_e64 s0, v37, v38
	v_cmp_lt_i16_e32 vcc_lo, v37, v38
	v_cmpx_eq_u16_e64 v25, v36
	s_cbranch_execz .LBB261_48
; %bb.50:                               ;   in Loop: Header=BB261_49 Depth=1
	s_add_nc_u64 s[6:7], s[6:7], -1
	v_add_nc_u64_e32 v[20:21], 1, v[20:21]
	s_cmp_eq_u64 s[6:7], 0
	v_add_nc_u64_e32 v[22:23], 1, v[22:23]
	s_cselect_b32 s1, -1, 0
	s_and_not1_b32 s24, s24, exec_lo
	s_and_b32 s1, s1, exec_lo
	s_and_not1_b32 s23, s23, exec_lo
	s_or_b32 s24, s24, s1
	s_branch .LBB261_48
.LBB261_51:
	s_or_b32 exec_lo, exec_lo, s15
	s_and_saveexec_b32 s0, s22
	s_delay_alu instid0(SALU_CYCLE_1)
	s_xor_b32 s0, exec_lo, s0
; %bb.52:
	v_dual_cndmask_b32 v21, v9, v3, s14 :: v_dual_cndmask_b32 v20, v8, v2, s14
	v_dual_cndmask_b32 v3, v3, v9, s14 :: v_dual_cndmask_b32 v2, v2, v8, s14
	s_delay_alu instid0(VALU_DEP_2)
	v_mov_b64_e32 v[8:9], v[20:21]
; %bb.53:
	s_or_b32 exec_lo, exec_lo, s0
	v_mad_nc_u64_u32 v[20:21], v16, s16, s[18:19]
	v_mad_nc_u64_u32 v[22:23], v14, s16, s[18:19]
	s_mov_b32 s15, 0
	s_mov_b64 s[6:7], s[16:17]
                                        ; implicit-def: $sgpr14
                                        ; implicit-def: $sgpr22
                                        ; implicit-def: $sgpr24
                                        ; implicit-def: $sgpr23
                                        ; implicit-def: $sgpr25
	s_delay_alu instid0(VALU_DEP_2) | instskip(NEXT) | instid1(VALU_DEP_2)
	v_mad_u32 v21, v17, s16, v21
	v_mad_u32 v23, v15, s16, v23
	s_delay_alu instid0(VALU_DEP_2) | instskip(NEXT) | instid1(VALU_DEP_2)
	v_mad_u32 v21, v16, s17, v21
	v_mad_u32 v23, v14, s17, v23
	s_branch .LBB261_55
.LBB261_54:                             ;   in Loop: Header=BB261_55 Depth=1
	s_or_b32 exec_lo, exec_lo, s26
	s_and_b32 s0, s0, s25
	s_delay_alu instid0(SALU_CYCLE_1) | instskip(SKIP_1) | instid1(SALU_CYCLE_1)
	s_or_b32 s0, vcc_lo, s0
	s_and_b32 s1, exec_lo, s24
	s_or_b32 s15, s1, s15
	s_and_not1_b32 s1, s25, exec_lo
	s_and_b32 s0, s0, exec_lo
	s_and_not1_b32 s22, s22, exec_lo
	s_and_b32 s26, s23, exec_lo
	s_or_b32 s25, s1, s0
	s_and_not1_b32 s1, s14, exec_lo
	s_or_b32 s22, s22, s26
	s_or_b32 s14, s1, s0
	s_and_not1_b32 exec_lo, exec_lo, s15
	s_cbranch_execz .LBB261_57
.LBB261_55:                             ; =>This Inner Loop Header: Depth=1
	global_load_u8 v25, v[20:21], off
	global_load_u8 v36, v[22:23], off
	s_or_b32 s23, s23, exec_lo
	s_or_b32 s24, s24, exec_lo
	s_mov_b32 s26, exec_lo
	s_wait_loadcnt 0x1
	v_bfe_i32 v37, v25, 0, 8
	s_wait_loadcnt 0x0
	v_bfe_i32 v38, v36, 0, 8
	v_and_b32_e32 v25, 0xff, v25
	v_and_b32_e32 v36, 0xff, v36
	s_delay_alu instid0(VALU_DEP_3) | instskip(SKIP_1) | instid1(VALU_DEP_3)
	v_cmp_le_i16_e64 s0, v37, v38
	v_cmp_lt_i16_e32 vcc_lo, v37, v38
	v_cmpx_eq_u16_e64 v25, v36
	s_cbranch_execz .LBB261_54
; %bb.56:                               ;   in Loop: Header=BB261_55 Depth=1
	s_add_nc_u64 s[6:7], s[6:7], -1
	v_add_nc_u64_e32 v[20:21], 1, v[20:21]
	s_cmp_eq_u64 s[6:7], 0
	v_add_nc_u64_e32 v[22:23], 1, v[22:23]
	s_cselect_b32 s1, -1, 0
	s_and_not1_b32 s24, s24, exec_lo
	s_and_b32 s1, s1, exec_lo
	s_and_not1_b32 s23, s23, exec_lo
	s_or_b32 s24, s24, s1
	s_branch .LBB261_54
.LBB261_57:
	s_or_b32 exec_lo, exec_lo, s15
	s_and_saveexec_b32 s0, s22
	s_delay_alu instid0(SALU_CYCLE_1)
	s_xor_b32 s0, exec_lo, s0
; %bb.58:
	v_dual_cndmask_b32 v21, v17, v15, s14 :: v_dual_cndmask_b32 v20, v16, v14, s14
	v_dual_cndmask_b32 v15, v15, v17, s14 :: v_dual_cndmask_b32 v14, v14, v16, s14
	s_delay_alu instid0(VALU_DEP_2)
	v_mov_b64_e32 v[16:17], v[20:21]
; %bb.59:
	s_or_b32 exec_lo, exec_lo, s0
	v_mad_nc_u64_u32 v[20:21], v12, s16, s[18:19]
	v_mad_nc_u64_u32 v[22:23], v10, s16, s[18:19]
	s_mov_b32 s15, 0
	s_mov_b64 s[6:7], s[16:17]
                                        ; implicit-def: $sgpr14
                                        ; implicit-def: $sgpr22
                                        ; implicit-def: $sgpr24
                                        ; implicit-def: $sgpr23
                                        ; implicit-def: $sgpr25
	s_delay_alu instid0(VALU_DEP_2) | instskip(NEXT) | instid1(VALU_DEP_2)
	v_mad_u32 v21, v13, s16, v21
	v_mad_u32 v23, v11, s16, v23
	s_delay_alu instid0(VALU_DEP_2) | instskip(NEXT) | instid1(VALU_DEP_2)
	v_mad_u32 v21, v12, s17, v21
	v_mad_u32 v23, v10, s17, v23
	s_branch .LBB261_61
.LBB261_60:                             ;   in Loop: Header=BB261_61 Depth=1
	s_or_b32 exec_lo, exec_lo, s26
	s_and_b32 s0, s0, s25
	s_delay_alu instid0(SALU_CYCLE_1) | instskip(SKIP_1) | instid1(SALU_CYCLE_1)
	s_or_b32 s0, vcc_lo, s0
	s_and_b32 s1, exec_lo, s24
	s_or_b32 s15, s1, s15
	s_and_not1_b32 s1, s25, exec_lo
	s_and_b32 s0, s0, exec_lo
	s_and_not1_b32 s22, s22, exec_lo
	s_and_b32 s26, s23, exec_lo
	s_or_b32 s25, s1, s0
	s_and_not1_b32 s1, s14, exec_lo
	s_or_b32 s22, s22, s26
	s_or_b32 s14, s1, s0
	s_and_not1_b32 exec_lo, exec_lo, s15
	s_cbranch_execz .LBB261_63
.LBB261_61:                             ; =>This Inner Loop Header: Depth=1
	global_load_u8 v25, v[20:21], off
	global_load_u8 v36, v[22:23], off
	s_or_b32 s23, s23, exec_lo
	s_or_b32 s24, s24, exec_lo
	s_mov_b32 s26, exec_lo
	s_wait_loadcnt 0x1
	v_bfe_i32 v37, v25, 0, 8
	s_wait_loadcnt 0x0
	v_bfe_i32 v38, v36, 0, 8
	v_and_b32_e32 v25, 0xff, v25
	v_and_b32_e32 v36, 0xff, v36
	s_delay_alu instid0(VALU_DEP_3) | instskip(SKIP_1) | instid1(VALU_DEP_3)
	v_cmp_le_i16_e64 s0, v37, v38
	v_cmp_lt_i16_e32 vcc_lo, v37, v38
	v_cmpx_eq_u16_e64 v25, v36
	s_cbranch_execz .LBB261_60
; %bb.62:                               ;   in Loop: Header=BB261_61 Depth=1
	s_add_nc_u64 s[6:7], s[6:7], -1
	v_add_nc_u64_e32 v[20:21], 1, v[20:21]
	s_cmp_eq_u64 s[6:7], 0
	v_add_nc_u64_e32 v[22:23], 1, v[22:23]
	s_cselect_b32 s1, -1, 0
	s_and_not1_b32 s24, s24, exec_lo
	s_and_b32 s1, s1, exec_lo
	s_and_not1_b32 s23, s23, exec_lo
	s_or_b32 s24, s24, s1
	s_branch .LBB261_60
.LBB261_63:
	s_or_b32 exec_lo, exec_lo, s15
	s_and_saveexec_b32 s0, s22
	s_delay_alu instid0(SALU_CYCLE_1)
	s_xor_b32 s0, exec_lo, s0
; %bb.64:
	v_dual_cndmask_b32 v21, v11, v13, s14 :: v_dual_cndmask_b32 v20, v10, v12, s14
	v_dual_cndmask_b32 v13, v13, v11, s14 :: v_dual_cndmask_b32 v12, v12, v10, s14
	s_delay_alu instid0(VALU_DEP_2)
	v_mov_b64_e32 v[10:11], v[20:21]
; %bb.65:
	s_or_b32 exec_lo, exec_lo, s0
	v_mad_nc_u64_u32 v[20:21], v8, s16, s[18:19]
	v_mad_nc_u64_u32 v[22:23], v6, s16, s[18:19]
	s_mov_b32 s15, 0
	s_mov_b64 s[6:7], s[16:17]
                                        ; implicit-def: $sgpr14
                                        ; implicit-def: $sgpr22
                                        ; implicit-def: $sgpr24
                                        ; implicit-def: $sgpr23
                                        ; implicit-def: $sgpr25
	s_delay_alu instid0(VALU_DEP_2) | instskip(NEXT) | instid1(VALU_DEP_2)
	v_mad_u32 v21, v9, s16, v21
	v_mad_u32 v23, v7, s16, v23
	s_delay_alu instid0(VALU_DEP_2) | instskip(NEXT) | instid1(VALU_DEP_2)
	v_mad_u32 v21, v8, s17, v21
	v_mad_u32 v23, v6, s17, v23
	s_branch .LBB261_67
.LBB261_66:                             ;   in Loop: Header=BB261_67 Depth=1
	s_or_b32 exec_lo, exec_lo, s26
	s_and_b32 s0, s0, s25
	s_delay_alu instid0(SALU_CYCLE_1) | instskip(SKIP_1) | instid1(SALU_CYCLE_1)
	s_or_b32 s0, vcc_lo, s0
	s_and_b32 s1, exec_lo, s24
	s_or_b32 s15, s1, s15
	s_and_not1_b32 s1, s25, exec_lo
	s_and_b32 s0, s0, exec_lo
	s_and_not1_b32 s22, s22, exec_lo
	s_and_b32 s26, s23, exec_lo
	s_or_b32 s25, s1, s0
	s_and_not1_b32 s1, s14, exec_lo
	s_or_b32 s22, s22, s26
	s_or_b32 s14, s1, s0
	s_and_not1_b32 exec_lo, exec_lo, s15
	s_cbranch_execz .LBB261_69
.LBB261_67:                             ; =>This Inner Loop Header: Depth=1
	global_load_u8 v25, v[20:21], off
	global_load_u8 v36, v[22:23], off
	s_or_b32 s23, s23, exec_lo
	s_or_b32 s24, s24, exec_lo
	s_mov_b32 s26, exec_lo
	s_wait_loadcnt 0x1
	v_bfe_i32 v37, v25, 0, 8
	s_wait_loadcnt 0x0
	v_bfe_i32 v38, v36, 0, 8
	v_and_b32_e32 v25, 0xff, v25
	v_and_b32_e32 v36, 0xff, v36
	s_delay_alu instid0(VALU_DEP_3) | instskip(SKIP_1) | instid1(VALU_DEP_3)
	v_cmp_le_i16_e64 s0, v37, v38
	v_cmp_lt_i16_e32 vcc_lo, v37, v38
	v_cmpx_eq_u16_e64 v25, v36
	s_cbranch_execz .LBB261_66
; %bb.68:                               ;   in Loop: Header=BB261_67 Depth=1
	s_add_nc_u64 s[6:7], s[6:7], -1
	v_add_nc_u64_e32 v[20:21], 1, v[20:21]
	s_cmp_eq_u64 s[6:7], 0
	v_add_nc_u64_e32 v[22:23], 1, v[22:23]
	s_cselect_b32 s1, -1, 0
	s_and_not1_b32 s24, s24, exec_lo
	s_and_b32 s1, s1, exec_lo
	s_and_not1_b32 s23, s23, exec_lo
	s_or_b32 s24, s24, s1
	s_branch .LBB261_66
.LBB261_69:
	s_or_b32 exec_lo, exec_lo, s15
	s_and_saveexec_b32 s0, s22
	s_delay_alu instid0(SALU_CYCLE_1)
	s_xor_b32 s0, exec_lo, s0
; %bb.70:
	v_dual_cndmask_b32 v21, v7, v9, s14 :: v_dual_cndmask_b32 v20, v6, v8, s14
	v_dual_cndmask_b32 v9, v9, v7, s14 :: v_dual_cndmask_b32 v8, v8, v6, s14
	s_delay_alu instid0(VALU_DEP_2)
	v_mov_b64_e32 v[6:7], v[20:21]
; %bb.71:
	s_or_b32 exec_lo, exec_lo, s0
.LBB261_72:
	v_cmp_ne_u32_e32 vcc_lo, 1, v35
	s_cbranch_vccnz .LBB261_86
; %bb.73:
	v_mad_nc_u64_u32 v[20:21], v4, s16, s[18:19]
	v_mad_nc_u64_u32 v[22:23], v2, s16, s[18:19]
	s_mov_b32 s15, 0
	s_mov_b64 s[6:7], s[16:17]
                                        ; implicit-def: $sgpr14
                                        ; implicit-def: $sgpr22
                                        ; implicit-def: $sgpr24
                                        ; implicit-def: $sgpr23
                                        ; implicit-def: $sgpr25
	s_delay_alu instid0(VALU_DEP_2) | instskip(NEXT) | instid1(VALU_DEP_2)
	v_mad_u32 v21, v5, s16, v21
	v_mad_u32 v23, v3, s16, v23
	s_delay_alu instid0(VALU_DEP_2) | instskip(NEXT) | instid1(VALU_DEP_2)
	v_mad_u32 v21, v4, s17, v21
	v_mad_u32 v23, v2, s17, v23
	s_branch .LBB261_75
.LBB261_74:                             ;   in Loop: Header=BB261_75 Depth=1
	s_or_b32 exec_lo, exec_lo, s26
	s_and_b32 s0, s0, s25
	s_delay_alu instid0(SALU_CYCLE_1) | instskip(SKIP_1) | instid1(SALU_CYCLE_1)
	s_or_b32 s0, vcc_lo, s0
	s_and_b32 s1, exec_lo, s24
	s_or_b32 s15, s1, s15
	s_and_not1_b32 s1, s25, exec_lo
	s_and_b32 s0, s0, exec_lo
	s_and_not1_b32 s22, s22, exec_lo
	s_and_b32 s26, s23, exec_lo
	s_or_b32 s25, s1, s0
	s_and_not1_b32 s1, s14, exec_lo
	s_or_b32 s22, s22, s26
	s_or_b32 s14, s1, s0
	s_and_not1_b32 exec_lo, exec_lo, s15
	s_cbranch_execz .LBB261_77
.LBB261_75:                             ; =>This Inner Loop Header: Depth=1
	global_load_u8 v25, v[20:21], off
	global_load_u8 v36, v[22:23], off
	s_or_b32 s23, s23, exec_lo
	s_or_b32 s24, s24, exec_lo
	s_mov_b32 s26, exec_lo
	s_wait_loadcnt 0x1
	v_bfe_i32 v37, v25, 0, 8
	s_wait_loadcnt 0x0
	v_bfe_i32 v38, v36, 0, 8
	v_and_b32_e32 v25, 0xff, v25
	v_and_b32_e32 v36, 0xff, v36
	s_delay_alu instid0(VALU_DEP_3) | instskip(SKIP_1) | instid1(VALU_DEP_3)
	v_cmp_le_i16_e64 s0, v37, v38
	v_cmp_lt_i16_e32 vcc_lo, v37, v38
	v_cmpx_eq_u16_e64 v25, v36
	s_cbranch_execz .LBB261_74
; %bb.76:                               ;   in Loop: Header=BB261_75 Depth=1
	s_add_nc_u64 s[6:7], s[6:7], -1
	v_add_nc_u64_e32 v[20:21], 1, v[20:21]
	s_cmp_eq_u64 s[6:7], 0
	v_add_nc_u64_e32 v[22:23], 1, v[22:23]
	s_cselect_b32 s1, -1, 0
	s_and_not1_b32 s24, s24, exec_lo
	s_and_b32 s1, s1, exec_lo
	s_and_not1_b32 s23, s23, exec_lo
	s_or_b32 s24, s24, s1
	s_branch .LBB261_74
.LBB261_77:
	s_or_b32 exec_lo, exec_lo, s15
	s_and_saveexec_b32 s0, s22
	s_delay_alu instid0(SALU_CYCLE_1)
	s_xor_b32 s0, exec_lo, s0
; %bb.78:
	v_dual_cndmask_b32 v21, v3, v5, s14 :: v_dual_cndmask_b32 v20, v2, v4, s14
	v_dual_cndmask_b32 v5, v5, v3, s14 :: v_dual_cndmask_b32 v4, v4, v2, s14
	s_delay_alu instid0(VALU_DEP_2)
	v_mov_b64_e32 v[2:3], v[20:21]
; %bb.79:
	s_or_b32 exec_lo, exec_lo, s0
	v_mad_nc_u64_u32 v[20:21], v10, s16, s[18:19]
	v_mad_nc_u64_u32 v[22:23], v16, s16, s[18:19]
	s_mov_b32 s15, 0
	s_mov_b64 s[6:7], s[16:17]
                                        ; implicit-def: $sgpr14
                                        ; implicit-def: $sgpr22
                                        ; implicit-def: $sgpr24
                                        ; implicit-def: $sgpr23
                                        ; implicit-def: $sgpr25
	s_delay_alu instid0(VALU_DEP_2) | instskip(NEXT) | instid1(VALU_DEP_2)
	v_mad_u32 v21, v11, s16, v21
	v_mad_u32 v23, v17, s16, v23
	s_delay_alu instid0(VALU_DEP_2) | instskip(NEXT) | instid1(VALU_DEP_2)
	v_mad_u32 v21, v10, s17, v21
	v_mad_u32 v23, v16, s17, v23
	s_branch .LBB261_81
.LBB261_80:                             ;   in Loop: Header=BB261_81 Depth=1
	s_or_b32 exec_lo, exec_lo, s26
	s_and_b32 s0, s0, s25
	s_delay_alu instid0(SALU_CYCLE_1) | instskip(SKIP_1) | instid1(SALU_CYCLE_1)
	s_or_b32 s0, vcc_lo, s0
	s_and_b32 s1, exec_lo, s24
	s_or_b32 s15, s1, s15
	s_and_not1_b32 s1, s25, exec_lo
	s_and_b32 s0, s0, exec_lo
	s_and_not1_b32 s22, s22, exec_lo
	s_and_b32 s26, s23, exec_lo
	s_or_b32 s25, s1, s0
	s_and_not1_b32 s1, s14, exec_lo
	s_or_b32 s22, s22, s26
	s_or_b32 s14, s1, s0
	s_and_not1_b32 exec_lo, exec_lo, s15
	s_cbranch_execz .LBB261_83
.LBB261_81:                             ; =>This Inner Loop Header: Depth=1
	global_load_u8 v25, v[20:21], off
	global_load_u8 v36, v[22:23], off
	s_or_b32 s23, s23, exec_lo
	s_or_b32 s24, s24, exec_lo
	s_mov_b32 s26, exec_lo
	s_wait_loadcnt 0x1
	v_bfe_i32 v37, v25, 0, 8
	s_wait_loadcnt 0x0
	v_bfe_i32 v38, v36, 0, 8
	v_and_b32_e32 v25, 0xff, v25
	v_and_b32_e32 v36, 0xff, v36
	s_delay_alu instid0(VALU_DEP_3) | instskip(SKIP_1) | instid1(VALU_DEP_3)
	v_cmp_le_i16_e64 s0, v37, v38
	v_cmp_lt_i16_e32 vcc_lo, v37, v38
	v_cmpx_eq_u16_e64 v25, v36
	s_cbranch_execz .LBB261_80
; %bb.82:                               ;   in Loop: Header=BB261_81 Depth=1
	s_add_nc_u64 s[6:7], s[6:7], -1
	v_add_nc_u64_e32 v[20:21], 1, v[20:21]
	s_cmp_eq_u64 s[6:7], 0
	v_add_nc_u64_e32 v[22:23], 1, v[22:23]
	s_cselect_b32 s1, -1, 0
	s_and_not1_b32 s24, s24, exec_lo
	s_and_b32 s1, s1, exec_lo
	s_and_not1_b32 s23, s23, exec_lo
	s_or_b32 s24, s24, s1
	s_branch .LBB261_80
.LBB261_83:
	s_or_b32 exec_lo, exec_lo, s15
	s_and_saveexec_b32 s0, s22
	s_delay_alu instid0(SALU_CYCLE_1)
	s_xor_b32 s0, exec_lo, s0
; %bb.84:
	v_dual_cndmask_b32 v21, v17, v11, s14 :: v_dual_cndmask_b32 v20, v16, v10, s14
	v_dual_cndmask_b32 v11, v11, v17, s14 :: v_dual_cndmask_b32 v10, v10, v16, s14
	s_delay_alu instid0(VALU_DEP_2)
	v_mov_b64_e32 v[16:17], v[20:21]
; %bb.85:
	s_or_b32 exec_lo, exec_lo, s0
.LBB261_86:
	v_cmp_ne_u32_e32 vcc_lo, 1, v35
	s_cbranch_vccnz .LBB261_100
; %bb.87:
	s_delay_alu instid0(VALU_DEP_3) | instskip(SKIP_3) | instid1(VALU_DEP_2)
	v_mad_nc_u64_u32 v[20:21], v6, s16, s[18:19]
	v_mad_nc_u64_u32 v[22:23], v12, s16, s[18:19]
	s_mov_b32 s15, 0
	s_mov_b64 s[6:7], s[16:17]
                                        ; implicit-def: $sgpr14
                                        ; implicit-def: $sgpr22
                                        ; implicit-def: $sgpr24
                                        ; implicit-def: $sgpr23
                                        ; implicit-def: $sgpr25
	v_mad_u32 v21, v7, s16, v21
	s_delay_alu instid0(VALU_DEP_2) | instskip(NEXT) | instid1(VALU_DEP_2)
	v_mad_u32 v23, v13, s16, v23
	v_mad_u32 v21, v6, s17, v21
	s_delay_alu instid0(VALU_DEP_2)
	v_mad_u32 v23, v12, s17, v23
	s_branch .LBB261_89
.LBB261_88:                             ;   in Loop: Header=BB261_89 Depth=1
	s_or_b32 exec_lo, exec_lo, s26
	s_and_b32 s0, s0, s25
	s_delay_alu instid0(SALU_CYCLE_1) | instskip(SKIP_1) | instid1(SALU_CYCLE_1)
	s_or_b32 s0, vcc_lo, s0
	s_and_b32 s1, exec_lo, s24
	s_or_b32 s15, s1, s15
	s_and_not1_b32 s1, s25, exec_lo
	s_and_b32 s0, s0, exec_lo
	s_and_not1_b32 s22, s22, exec_lo
	s_and_b32 s26, s23, exec_lo
	s_or_b32 s25, s1, s0
	s_and_not1_b32 s1, s14, exec_lo
	s_or_b32 s22, s22, s26
	s_or_b32 s14, s1, s0
	s_and_not1_b32 exec_lo, exec_lo, s15
	s_cbranch_execz .LBB261_91
.LBB261_89:                             ; =>This Inner Loop Header: Depth=1
	global_load_u8 v25, v[20:21], off
	global_load_u8 v36, v[22:23], off
	s_or_b32 s23, s23, exec_lo
	s_or_b32 s24, s24, exec_lo
	s_mov_b32 s26, exec_lo
	s_wait_loadcnt 0x1
	v_bfe_i32 v37, v25, 0, 8
	s_wait_loadcnt 0x0
	v_bfe_i32 v38, v36, 0, 8
	v_and_b32_e32 v25, 0xff, v25
	v_and_b32_e32 v36, 0xff, v36
	s_delay_alu instid0(VALU_DEP_3) | instskip(SKIP_1) | instid1(VALU_DEP_3)
	v_cmp_le_i16_e64 s0, v37, v38
	v_cmp_lt_i16_e32 vcc_lo, v37, v38
	v_cmpx_eq_u16_e64 v25, v36
	s_cbranch_execz .LBB261_88
; %bb.90:                               ;   in Loop: Header=BB261_89 Depth=1
	s_add_nc_u64 s[6:7], s[6:7], -1
	v_add_nc_u64_e32 v[20:21], 1, v[20:21]
	s_cmp_eq_u64 s[6:7], 0
	v_add_nc_u64_e32 v[22:23], 1, v[22:23]
	s_cselect_b32 s1, -1, 0
	s_and_not1_b32 s24, s24, exec_lo
	s_and_b32 s1, s1, exec_lo
	s_and_not1_b32 s23, s23, exec_lo
	s_or_b32 s24, s24, s1
	s_branch .LBB261_88
.LBB261_91:
	s_or_b32 exec_lo, exec_lo, s15
	s_and_saveexec_b32 s0, s22
	s_delay_alu instid0(SALU_CYCLE_1)
	s_xor_b32 s0, exec_lo, s0
; %bb.92:
	v_dual_cndmask_b32 v21, v13, v7, s14 :: v_dual_cndmask_b32 v20, v12, v6, s14
	v_dual_cndmask_b32 v7, v7, v13, s14 :: v_dual_cndmask_b32 v6, v6, v12, s14
	s_delay_alu instid0(VALU_DEP_2)
	v_mov_b64_e32 v[12:13], v[20:21]
; %bb.93:
	s_or_b32 exec_lo, exec_lo, s0
	v_mad_nc_u64_u32 v[20:21], v2, s16, s[18:19]
	v_mad_nc_u64_u32 v[22:23], v8, s16, s[18:19]
	s_mov_b32 s15, 0
	s_mov_b64 s[6:7], s[16:17]
                                        ; implicit-def: $sgpr14
                                        ; implicit-def: $sgpr22
                                        ; implicit-def: $sgpr24
                                        ; implicit-def: $sgpr23
                                        ; implicit-def: $sgpr25
	s_delay_alu instid0(VALU_DEP_2) | instskip(NEXT) | instid1(VALU_DEP_2)
	v_mad_u32 v21, v3, s16, v21
	v_mad_u32 v23, v9, s16, v23
	s_delay_alu instid0(VALU_DEP_2) | instskip(NEXT) | instid1(VALU_DEP_2)
	v_mad_u32 v21, v2, s17, v21
	v_mad_u32 v23, v8, s17, v23
	s_branch .LBB261_95
.LBB261_94:                             ;   in Loop: Header=BB261_95 Depth=1
	s_or_b32 exec_lo, exec_lo, s26
	s_and_b32 s0, s0, s25
	s_delay_alu instid0(SALU_CYCLE_1) | instskip(SKIP_1) | instid1(SALU_CYCLE_1)
	s_or_b32 s0, vcc_lo, s0
	s_and_b32 s1, exec_lo, s24
	s_or_b32 s15, s1, s15
	s_and_not1_b32 s1, s25, exec_lo
	s_and_b32 s0, s0, exec_lo
	s_and_not1_b32 s22, s22, exec_lo
	s_and_b32 s26, s23, exec_lo
	s_or_b32 s25, s1, s0
	s_and_not1_b32 s1, s14, exec_lo
	s_or_b32 s22, s22, s26
	s_or_b32 s14, s1, s0
	s_and_not1_b32 exec_lo, exec_lo, s15
	s_cbranch_execz .LBB261_97
.LBB261_95:                             ; =>This Inner Loop Header: Depth=1
	global_load_u8 v25, v[20:21], off
	global_load_u8 v36, v[22:23], off
	s_or_b32 s23, s23, exec_lo
	s_or_b32 s24, s24, exec_lo
	s_mov_b32 s26, exec_lo
	s_wait_loadcnt 0x1
	v_bfe_i32 v37, v25, 0, 8
	s_wait_loadcnt 0x0
	v_bfe_i32 v38, v36, 0, 8
	v_and_b32_e32 v25, 0xff, v25
	v_and_b32_e32 v36, 0xff, v36
	s_delay_alu instid0(VALU_DEP_3) | instskip(SKIP_1) | instid1(VALU_DEP_3)
	v_cmp_le_i16_e64 s0, v37, v38
	v_cmp_lt_i16_e32 vcc_lo, v37, v38
	v_cmpx_eq_u16_e64 v25, v36
	s_cbranch_execz .LBB261_94
; %bb.96:                               ;   in Loop: Header=BB261_95 Depth=1
	s_add_nc_u64 s[6:7], s[6:7], -1
	v_add_nc_u64_e32 v[20:21], 1, v[20:21]
	s_cmp_eq_u64 s[6:7], 0
	v_add_nc_u64_e32 v[22:23], 1, v[22:23]
	s_cselect_b32 s1, -1, 0
	s_and_not1_b32 s24, s24, exec_lo
	s_and_b32 s1, s1, exec_lo
	s_and_not1_b32 s23, s23, exec_lo
	s_or_b32 s24, s24, s1
	s_branch .LBB261_94
.LBB261_97:
	s_or_b32 exec_lo, exec_lo, s15
	s_and_saveexec_b32 s0, s22
	s_delay_alu instid0(SALU_CYCLE_1)
	s_xor_b32 s0, exec_lo, s0
; %bb.98:
	v_dual_cndmask_b32 v21, v9, v3, s14 :: v_dual_cndmask_b32 v20, v8, v2, s14
	v_dual_cndmask_b32 v3, v3, v9, s14 :: v_dual_cndmask_b32 v2, v2, v8, s14
	s_delay_alu instid0(VALU_DEP_2)
	v_mov_b64_e32 v[8:9], v[20:21]
; %bb.99:
	s_or_b32 exec_lo, exec_lo, s0
.LBB261_100:
	v_cmp_ne_u32_e32 vcc_lo, 1, v35
	s_cbranch_vccnz .LBB261_114
; %bb.101:
	s_delay_alu instid0(VALU_DEP_3) | instskip(SKIP_3) | instid1(VALU_DEP_2)
	v_mad_nc_u64_u32 v[20:21], v16, s16, s[18:19]
	v_mad_nc_u64_u32 v[22:23], v14, s16, s[18:19]
	s_mov_b32 s15, 0
	s_mov_b64 s[6:7], s[16:17]
                                        ; implicit-def: $sgpr14
                                        ; implicit-def: $sgpr22
                                        ; implicit-def: $sgpr24
                                        ; implicit-def: $sgpr23
                                        ; implicit-def: $sgpr25
	v_mad_u32 v21, v17, s16, v21
	s_delay_alu instid0(VALU_DEP_2) | instskip(NEXT) | instid1(VALU_DEP_2)
	v_mad_u32 v23, v15, s16, v23
	v_mad_u32 v21, v16, s17, v21
	s_delay_alu instid0(VALU_DEP_2)
	v_mad_u32 v23, v14, s17, v23
	s_branch .LBB261_103
.LBB261_102:                            ;   in Loop: Header=BB261_103 Depth=1
	s_or_b32 exec_lo, exec_lo, s26
	s_and_b32 s0, s0, s25
	s_delay_alu instid0(SALU_CYCLE_1) | instskip(SKIP_1) | instid1(SALU_CYCLE_1)
	s_or_b32 s0, vcc_lo, s0
	s_and_b32 s1, exec_lo, s24
	s_or_b32 s15, s1, s15
	s_and_not1_b32 s1, s25, exec_lo
	s_and_b32 s0, s0, exec_lo
	s_and_not1_b32 s22, s22, exec_lo
	s_and_b32 s26, s23, exec_lo
	s_or_b32 s25, s1, s0
	s_and_not1_b32 s1, s14, exec_lo
	s_or_b32 s22, s22, s26
	s_or_b32 s14, s1, s0
	s_and_not1_b32 exec_lo, exec_lo, s15
	s_cbranch_execz .LBB261_105
.LBB261_103:                            ; =>This Inner Loop Header: Depth=1
	global_load_u8 v25, v[20:21], off
	global_load_u8 v36, v[22:23], off
	s_or_b32 s23, s23, exec_lo
	s_or_b32 s24, s24, exec_lo
	s_mov_b32 s26, exec_lo
	s_wait_loadcnt 0x1
	v_bfe_i32 v37, v25, 0, 8
	s_wait_loadcnt 0x0
	v_bfe_i32 v38, v36, 0, 8
	v_and_b32_e32 v25, 0xff, v25
	v_and_b32_e32 v36, 0xff, v36
	s_delay_alu instid0(VALU_DEP_3) | instskip(SKIP_1) | instid1(VALU_DEP_3)
	v_cmp_le_i16_e64 s0, v37, v38
	v_cmp_lt_i16_e32 vcc_lo, v37, v38
	v_cmpx_eq_u16_e64 v25, v36
	s_cbranch_execz .LBB261_102
; %bb.104:                              ;   in Loop: Header=BB261_103 Depth=1
	s_add_nc_u64 s[6:7], s[6:7], -1
	v_add_nc_u64_e32 v[20:21], 1, v[20:21]
	s_cmp_eq_u64 s[6:7], 0
	v_add_nc_u64_e32 v[22:23], 1, v[22:23]
	s_cselect_b32 s1, -1, 0
	s_and_not1_b32 s24, s24, exec_lo
	s_and_b32 s1, s1, exec_lo
	s_and_not1_b32 s23, s23, exec_lo
	s_or_b32 s24, s24, s1
	s_branch .LBB261_102
.LBB261_105:
	s_or_b32 exec_lo, exec_lo, s15
	s_and_saveexec_b32 s0, s22
	s_delay_alu instid0(SALU_CYCLE_1)
	s_xor_b32 s0, exec_lo, s0
; %bb.106:
	v_dual_cndmask_b32 v21, v17, v15, s14 :: v_dual_cndmask_b32 v20, v16, v14, s14
	v_dual_cndmask_b32 v15, v15, v17, s14 :: v_dual_cndmask_b32 v14, v14, v16, s14
	s_delay_alu instid0(VALU_DEP_2)
	v_mov_b64_e32 v[16:17], v[20:21]
; %bb.107:
	s_or_b32 exec_lo, exec_lo, s0
	v_mad_nc_u64_u32 v[20:21], v12, s16, s[18:19]
	v_mad_nc_u64_u32 v[22:23], v10, s16, s[18:19]
	s_mov_b32 s15, 0
	s_mov_b64 s[6:7], s[16:17]
                                        ; implicit-def: $sgpr14
                                        ; implicit-def: $sgpr22
                                        ; implicit-def: $sgpr24
                                        ; implicit-def: $sgpr23
                                        ; implicit-def: $sgpr25
	s_delay_alu instid0(VALU_DEP_2) | instskip(NEXT) | instid1(VALU_DEP_2)
	v_mad_u32 v21, v13, s16, v21
	v_mad_u32 v23, v11, s16, v23
	s_delay_alu instid0(VALU_DEP_2) | instskip(NEXT) | instid1(VALU_DEP_2)
	v_mad_u32 v21, v12, s17, v21
	v_mad_u32 v23, v10, s17, v23
	s_branch .LBB261_109
.LBB261_108:                            ;   in Loop: Header=BB261_109 Depth=1
	s_or_b32 exec_lo, exec_lo, s26
	s_and_b32 s0, s0, s25
	s_delay_alu instid0(SALU_CYCLE_1) | instskip(SKIP_1) | instid1(SALU_CYCLE_1)
	s_or_b32 s0, vcc_lo, s0
	s_and_b32 s1, exec_lo, s24
	s_or_b32 s15, s1, s15
	s_and_not1_b32 s1, s25, exec_lo
	s_and_b32 s0, s0, exec_lo
	s_and_not1_b32 s22, s22, exec_lo
	s_and_b32 s26, s23, exec_lo
	s_or_b32 s25, s1, s0
	s_and_not1_b32 s1, s14, exec_lo
	s_or_b32 s22, s22, s26
	s_or_b32 s14, s1, s0
	s_and_not1_b32 exec_lo, exec_lo, s15
	s_cbranch_execz .LBB261_111
.LBB261_109:                            ; =>This Inner Loop Header: Depth=1
	global_load_u8 v25, v[20:21], off
	global_load_u8 v36, v[22:23], off
	s_or_b32 s23, s23, exec_lo
	s_or_b32 s24, s24, exec_lo
	s_mov_b32 s26, exec_lo
	s_wait_loadcnt 0x1
	v_bfe_i32 v37, v25, 0, 8
	s_wait_loadcnt 0x0
	v_bfe_i32 v38, v36, 0, 8
	v_and_b32_e32 v25, 0xff, v25
	v_and_b32_e32 v36, 0xff, v36
	s_delay_alu instid0(VALU_DEP_3) | instskip(SKIP_1) | instid1(VALU_DEP_3)
	v_cmp_le_i16_e64 s0, v37, v38
	v_cmp_lt_i16_e32 vcc_lo, v37, v38
	v_cmpx_eq_u16_e64 v25, v36
	s_cbranch_execz .LBB261_108
; %bb.110:                              ;   in Loop: Header=BB261_109 Depth=1
	s_add_nc_u64 s[6:7], s[6:7], -1
	v_add_nc_u64_e32 v[20:21], 1, v[20:21]
	s_cmp_eq_u64 s[6:7], 0
	v_add_nc_u64_e32 v[22:23], 1, v[22:23]
	s_cselect_b32 s1, -1, 0
	s_and_not1_b32 s24, s24, exec_lo
	s_and_b32 s1, s1, exec_lo
	s_and_not1_b32 s23, s23, exec_lo
	s_or_b32 s24, s24, s1
	s_branch .LBB261_108
.LBB261_111:
	s_or_b32 exec_lo, exec_lo, s15
	s_and_saveexec_b32 s0, s22
	s_delay_alu instid0(SALU_CYCLE_1)
	s_xor_b32 s0, exec_lo, s0
; %bb.112:
	v_dual_cndmask_b32 v21, v11, v13, s14 :: v_dual_cndmask_b32 v20, v10, v12, s14
	v_dual_cndmask_b32 v13, v13, v11, s14 :: v_dual_cndmask_b32 v12, v12, v10, s14
	s_delay_alu instid0(VALU_DEP_2)
	v_mov_b64_e32 v[10:11], v[20:21]
; %bb.113:
	s_or_b32 exec_lo, exec_lo, s0
.LBB261_114:
	v_cmp_ne_u32_e32 vcc_lo, 1, v35
	s_cbranch_vccnz .LBB261_188
; %bb.115:
	s_delay_alu instid0(VALU_DEP_3) | instskip(SKIP_3) | instid1(VALU_DEP_2)
	v_mad_nc_u64_u32 v[20:21], v8, s16, s[18:19]
	v_mad_nc_u64_u32 v[22:23], v6, s16, s[18:19]
	s_mov_b32 s15, 0
	s_mov_b64 s[6:7], s[16:17]
                                        ; implicit-def: $sgpr14
                                        ; implicit-def: $sgpr22
                                        ; implicit-def: $sgpr24
                                        ; implicit-def: $sgpr23
                                        ; implicit-def: $sgpr25
	v_mad_u32 v21, v9, s16, v21
	s_delay_alu instid0(VALU_DEP_2) | instskip(NEXT) | instid1(VALU_DEP_2)
	v_mad_u32 v23, v7, s16, v23
	v_mad_u32 v21, v8, s17, v21
	s_delay_alu instid0(VALU_DEP_2)
	v_mad_u32 v23, v6, s17, v23
	s_branch .LBB261_117
.LBB261_116:                            ;   in Loop: Header=BB261_117 Depth=1
	s_or_b32 exec_lo, exec_lo, s26
	s_and_b32 s0, s0, s25
	s_delay_alu instid0(SALU_CYCLE_1) | instskip(SKIP_1) | instid1(SALU_CYCLE_1)
	s_or_b32 s0, vcc_lo, s0
	s_and_b32 s1, exec_lo, s24
	s_or_b32 s15, s1, s15
	s_and_not1_b32 s1, s25, exec_lo
	s_and_b32 s0, s0, exec_lo
	s_and_not1_b32 s22, s22, exec_lo
	s_and_b32 s26, s23, exec_lo
	s_or_b32 s25, s1, s0
	s_and_not1_b32 s1, s14, exec_lo
	s_or_b32 s22, s22, s26
	s_or_b32 s14, s1, s0
	s_and_not1_b32 exec_lo, exec_lo, s15
	s_cbranch_execz .LBB261_119
.LBB261_117:                            ; =>This Inner Loop Header: Depth=1
	global_load_u8 v25, v[20:21], off
	global_load_u8 v36, v[22:23], off
	s_or_b32 s23, s23, exec_lo
	s_or_b32 s24, s24, exec_lo
	s_mov_b32 s26, exec_lo
	s_wait_loadcnt 0x1
	v_bfe_i32 v37, v25, 0, 8
	s_wait_loadcnt 0x0
	v_bfe_i32 v38, v36, 0, 8
	v_and_b32_e32 v25, 0xff, v25
	v_and_b32_e32 v36, 0xff, v36
	s_delay_alu instid0(VALU_DEP_3) | instskip(SKIP_1) | instid1(VALU_DEP_3)
	v_cmp_le_i16_e64 s0, v37, v38
	v_cmp_lt_i16_e32 vcc_lo, v37, v38
	v_cmpx_eq_u16_e64 v25, v36
	s_cbranch_execz .LBB261_116
; %bb.118:                              ;   in Loop: Header=BB261_117 Depth=1
	s_add_nc_u64 s[6:7], s[6:7], -1
	v_add_nc_u64_e32 v[20:21], 1, v[20:21]
	s_cmp_eq_u64 s[6:7], 0
	v_add_nc_u64_e32 v[22:23], 1, v[22:23]
	s_cselect_b32 s1, -1, 0
	s_and_not1_b32 s24, s24, exec_lo
	s_and_b32 s1, s1, exec_lo
	s_and_not1_b32 s23, s23, exec_lo
	s_or_b32 s24, s24, s1
	s_branch .LBB261_116
.LBB261_119:
	s_or_b32 exec_lo, exec_lo, s15
	s_and_saveexec_b32 s0, s22
	s_delay_alu instid0(SALU_CYCLE_1)
	s_xor_b32 s0, exec_lo, s0
; %bb.120:
	v_dual_cndmask_b32 v21, v7, v9, s14 :: v_dual_cndmask_b32 v20, v6, v8, s14
	v_dual_cndmask_b32 v9, v9, v7, s14 :: v_dual_cndmask_b32 v8, v8, v6, s14
	s_delay_alu instid0(VALU_DEP_2)
	v_mov_b64_e32 v[6:7], v[20:21]
; %bb.121:
	s_or_b32 exec_lo, exec_lo, s0
	v_mad_nc_u64_u32 v[20:21], v4, s16, s[18:19]
	v_mad_nc_u64_u32 v[22:23], v2, s16, s[18:19]
	s_mov_b32 s15, 0
	s_mov_b64 s[6:7], s[16:17]
                                        ; implicit-def: $sgpr14
                                        ; implicit-def: $sgpr22
                                        ; implicit-def: $sgpr24
                                        ; implicit-def: $sgpr23
                                        ; implicit-def: $sgpr25
	s_delay_alu instid0(VALU_DEP_2) | instskip(NEXT) | instid1(VALU_DEP_2)
	v_mad_u32 v21, v5, s16, v21
	v_mad_u32 v23, v3, s16, v23
	s_delay_alu instid0(VALU_DEP_2) | instskip(NEXT) | instid1(VALU_DEP_2)
	v_mad_u32 v21, v4, s17, v21
	v_mad_u32 v23, v2, s17, v23
	s_branch .LBB261_123
.LBB261_122:                            ;   in Loop: Header=BB261_123 Depth=1
	s_or_b32 exec_lo, exec_lo, s26
	s_and_b32 s0, s0, s25
	s_delay_alu instid0(SALU_CYCLE_1) | instskip(SKIP_1) | instid1(SALU_CYCLE_1)
	s_or_b32 s0, vcc_lo, s0
	s_and_b32 s1, exec_lo, s24
	s_or_b32 s15, s1, s15
	s_and_not1_b32 s1, s25, exec_lo
	s_and_b32 s0, s0, exec_lo
	s_and_not1_b32 s22, s22, exec_lo
	s_and_b32 s26, s23, exec_lo
	s_or_b32 s25, s1, s0
	s_and_not1_b32 s1, s14, exec_lo
	s_or_b32 s22, s22, s26
	s_or_b32 s14, s1, s0
	s_and_not1_b32 exec_lo, exec_lo, s15
	s_cbranch_execz .LBB261_125
.LBB261_123:                            ; =>This Inner Loop Header: Depth=1
	global_load_u8 v25, v[20:21], off
	global_load_u8 v36, v[22:23], off
	s_or_b32 s23, s23, exec_lo
	s_or_b32 s24, s24, exec_lo
	s_mov_b32 s26, exec_lo
	s_wait_loadcnt 0x1
	v_bfe_i32 v37, v25, 0, 8
	s_wait_loadcnt 0x0
	v_bfe_i32 v38, v36, 0, 8
	v_and_b32_e32 v25, 0xff, v25
	v_and_b32_e32 v36, 0xff, v36
	s_delay_alu instid0(VALU_DEP_3) | instskip(SKIP_1) | instid1(VALU_DEP_3)
	v_cmp_le_i16_e64 s0, v37, v38
	v_cmp_lt_i16_e32 vcc_lo, v37, v38
	v_cmpx_eq_u16_e64 v25, v36
	s_cbranch_execz .LBB261_122
; %bb.124:                              ;   in Loop: Header=BB261_123 Depth=1
	s_add_nc_u64 s[6:7], s[6:7], -1
	v_add_nc_u64_e32 v[20:21], 1, v[20:21]
	s_cmp_eq_u64 s[6:7], 0
	v_add_nc_u64_e32 v[22:23], 1, v[22:23]
	s_cselect_b32 s1, -1, 0
	s_and_not1_b32 s24, s24, exec_lo
	s_and_b32 s1, s1, exec_lo
	s_and_not1_b32 s23, s23, exec_lo
	s_or_b32 s24, s24, s1
	s_branch .LBB261_122
.LBB261_125:
	s_or_b32 exec_lo, exec_lo, s15
	s_and_saveexec_b32 s0, s22
	s_delay_alu instid0(SALU_CYCLE_1)
	s_xor_b32 s0, exec_lo, s0
; %bb.126:
	v_dual_cndmask_b32 v21, v3, v5, s14 :: v_dual_cndmask_b32 v20, v2, v4, s14
	v_dual_cndmask_b32 v5, v5, v3, s14 :: v_dual_cndmask_b32 v4, v4, v2, s14
	s_delay_alu instid0(VALU_DEP_2)
	v_mov_b64_e32 v[2:3], v[20:21]
; %bb.127:
	s_or_b32 exec_lo, exec_lo, s0
	v_mad_nc_u64_u32 v[20:21], v10, s16, s[18:19]
	v_mad_nc_u64_u32 v[22:23], v16, s16, s[18:19]
	s_mov_b32 s15, 0
	s_mov_b64 s[6:7], s[16:17]
                                        ; implicit-def: $sgpr14
                                        ; implicit-def: $sgpr22
                                        ; implicit-def: $sgpr24
                                        ; implicit-def: $sgpr23
                                        ; implicit-def: $sgpr25
	s_delay_alu instid0(VALU_DEP_2) | instskip(NEXT) | instid1(VALU_DEP_2)
	v_mad_u32 v21, v11, s16, v21
	v_mad_u32 v23, v17, s16, v23
	s_delay_alu instid0(VALU_DEP_2) | instskip(NEXT) | instid1(VALU_DEP_2)
	v_mad_u32 v21, v10, s17, v21
	v_mad_u32 v23, v16, s17, v23
	s_branch .LBB261_129
.LBB261_128:                            ;   in Loop: Header=BB261_129 Depth=1
	s_or_b32 exec_lo, exec_lo, s26
	s_and_b32 s0, s0, s25
	s_delay_alu instid0(SALU_CYCLE_1) | instskip(SKIP_1) | instid1(SALU_CYCLE_1)
	s_or_b32 s0, vcc_lo, s0
	s_and_b32 s1, exec_lo, s24
	s_or_b32 s15, s1, s15
	s_and_not1_b32 s1, s25, exec_lo
	s_and_b32 s0, s0, exec_lo
	s_and_not1_b32 s22, s22, exec_lo
	s_and_b32 s26, s23, exec_lo
	s_or_b32 s25, s1, s0
	s_and_not1_b32 s1, s14, exec_lo
	s_or_b32 s22, s22, s26
	s_or_b32 s14, s1, s0
	s_and_not1_b32 exec_lo, exec_lo, s15
	s_cbranch_execz .LBB261_131
.LBB261_129:                            ; =>This Inner Loop Header: Depth=1
	global_load_u8 v25, v[20:21], off
	global_load_u8 v36, v[22:23], off
	s_or_b32 s23, s23, exec_lo
	s_or_b32 s24, s24, exec_lo
	s_mov_b32 s26, exec_lo
	s_wait_loadcnt 0x1
	v_bfe_i32 v37, v25, 0, 8
	s_wait_loadcnt 0x0
	v_bfe_i32 v38, v36, 0, 8
	v_and_b32_e32 v25, 0xff, v25
	v_and_b32_e32 v36, 0xff, v36
	s_delay_alu instid0(VALU_DEP_3) | instskip(SKIP_1) | instid1(VALU_DEP_3)
	v_cmp_le_i16_e64 s0, v37, v38
	v_cmp_lt_i16_e32 vcc_lo, v37, v38
	v_cmpx_eq_u16_e64 v25, v36
	s_cbranch_execz .LBB261_128
; %bb.130:                              ;   in Loop: Header=BB261_129 Depth=1
	s_add_nc_u64 s[6:7], s[6:7], -1
	v_add_nc_u64_e32 v[20:21], 1, v[20:21]
	s_cmp_eq_u64 s[6:7], 0
	v_add_nc_u64_e32 v[22:23], 1, v[22:23]
	s_cselect_b32 s1, -1, 0
	s_and_not1_b32 s24, s24, exec_lo
	s_and_b32 s1, s1, exec_lo
	s_and_not1_b32 s23, s23, exec_lo
	s_or_b32 s24, s24, s1
	s_branch .LBB261_128
.LBB261_131:
	s_or_b32 exec_lo, exec_lo, s15
	s_and_saveexec_b32 s0, s22
	s_delay_alu instid0(SALU_CYCLE_1)
	s_xor_b32 s0, exec_lo, s0
; %bb.132:
	v_dual_cndmask_b32 v21, v17, v11, s14 :: v_dual_cndmask_b32 v20, v16, v10, s14
	v_dual_cndmask_b32 v11, v11, v17, s14 :: v_dual_cndmask_b32 v10, v10, v16, s14
	s_delay_alu instid0(VALU_DEP_2)
	v_mov_b64_e32 v[16:17], v[20:21]
; %bb.133:
	s_or_b32 exec_lo, exec_lo, s0
	v_mad_nc_u64_u32 v[20:21], v6, s16, s[18:19]
	v_mad_nc_u64_u32 v[22:23], v12, s16, s[18:19]
	s_mov_b32 s15, 0
	s_mov_b64 s[6:7], s[16:17]
                                        ; implicit-def: $sgpr14
                                        ; implicit-def: $sgpr22
                                        ; implicit-def: $sgpr24
                                        ; implicit-def: $sgpr23
                                        ; implicit-def: $sgpr25
	s_delay_alu instid0(VALU_DEP_2) | instskip(NEXT) | instid1(VALU_DEP_2)
	v_mad_u32 v21, v7, s16, v21
	v_mad_u32 v23, v13, s16, v23
	s_delay_alu instid0(VALU_DEP_2) | instskip(NEXT) | instid1(VALU_DEP_2)
	v_mad_u32 v21, v6, s17, v21
	v_mad_u32 v23, v12, s17, v23
	s_branch .LBB261_135
.LBB261_134:                            ;   in Loop: Header=BB261_135 Depth=1
	s_or_b32 exec_lo, exec_lo, s26
	s_and_b32 s0, s0, s25
	s_delay_alu instid0(SALU_CYCLE_1) | instskip(SKIP_1) | instid1(SALU_CYCLE_1)
	s_or_b32 s0, vcc_lo, s0
	s_and_b32 s1, exec_lo, s24
	s_or_b32 s15, s1, s15
	s_and_not1_b32 s1, s25, exec_lo
	s_and_b32 s0, s0, exec_lo
	s_and_not1_b32 s22, s22, exec_lo
	s_and_b32 s26, s23, exec_lo
	s_or_b32 s25, s1, s0
	s_and_not1_b32 s1, s14, exec_lo
	s_or_b32 s22, s22, s26
	s_or_b32 s14, s1, s0
	s_and_not1_b32 exec_lo, exec_lo, s15
	s_cbranch_execz .LBB261_137
.LBB261_135:                            ; =>This Inner Loop Header: Depth=1
	global_load_u8 v25, v[20:21], off
	global_load_u8 v36, v[22:23], off
	s_or_b32 s23, s23, exec_lo
	s_or_b32 s24, s24, exec_lo
	s_mov_b32 s26, exec_lo
	s_wait_loadcnt 0x1
	v_bfe_i32 v37, v25, 0, 8
	s_wait_loadcnt 0x0
	v_bfe_i32 v38, v36, 0, 8
	v_and_b32_e32 v25, 0xff, v25
	v_and_b32_e32 v36, 0xff, v36
	s_delay_alu instid0(VALU_DEP_3) | instskip(SKIP_1) | instid1(VALU_DEP_3)
	v_cmp_le_i16_e64 s0, v37, v38
	v_cmp_lt_i16_e32 vcc_lo, v37, v38
	v_cmpx_eq_u16_e64 v25, v36
	s_cbranch_execz .LBB261_134
; %bb.136:                              ;   in Loop: Header=BB261_135 Depth=1
	s_add_nc_u64 s[6:7], s[6:7], -1
	v_add_nc_u64_e32 v[20:21], 1, v[20:21]
	s_cmp_eq_u64 s[6:7], 0
	v_add_nc_u64_e32 v[22:23], 1, v[22:23]
	s_cselect_b32 s1, -1, 0
	s_and_not1_b32 s24, s24, exec_lo
	s_and_b32 s1, s1, exec_lo
	s_and_not1_b32 s23, s23, exec_lo
	s_or_b32 s24, s24, s1
	s_branch .LBB261_134
.LBB261_137:
	s_or_b32 exec_lo, exec_lo, s15
	s_and_saveexec_b32 s0, s22
	s_delay_alu instid0(SALU_CYCLE_1)
	s_xor_b32 s0, exec_lo, s0
; %bb.138:
	v_dual_cndmask_b32 v21, v13, v7, s14 :: v_dual_cndmask_b32 v20, v12, v6, s14
	v_dual_cndmask_b32 v7, v7, v13, s14 :: v_dual_cndmask_b32 v6, v6, v12, s14
	s_delay_alu instid0(VALU_DEP_2)
	v_mov_b64_e32 v[12:13], v[20:21]
; %bb.139:
	s_or_b32 exec_lo, exec_lo, s0
	v_mad_nc_u64_u32 v[20:21], v2, s16, s[18:19]
	v_mad_nc_u64_u32 v[22:23], v8, s16, s[18:19]
	s_mov_b32 s15, 0
	s_mov_b64 s[6:7], s[16:17]
                                        ; implicit-def: $sgpr14
                                        ; implicit-def: $sgpr22
                                        ; implicit-def: $sgpr24
                                        ; implicit-def: $sgpr23
                                        ; implicit-def: $sgpr25
	s_delay_alu instid0(VALU_DEP_2) | instskip(NEXT) | instid1(VALU_DEP_2)
	v_mad_u32 v21, v3, s16, v21
	v_mad_u32 v23, v9, s16, v23
	s_delay_alu instid0(VALU_DEP_2) | instskip(NEXT) | instid1(VALU_DEP_2)
	v_mad_u32 v21, v2, s17, v21
	v_mad_u32 v23, v8, s17, v23
	s_branch .LBB261_141
.LBB261_140:                            ;   in Loop: Header=BB261_141 Depth=1
	s_or_b32 exec_lo, exec_lo, s26
	s_and_b32 s0, s0, s25
	s_delay_alu instid0(SALU_CYCLE_1) | instskip(SKIP_1) | instid1(SALU_CYCLE_1)
	s_or_b32 s0, vcc_lo, s0
	s_and_b32 s1, exec_lo, s24
	s_or_b32 s15, s1, s15
	s_and_not1_b32 s1, s25, exec_lo
	s_and_b32 s0, s0, exec_lo
	s_and_not1_b32 s22, s22, exec_lo
	s_and_b32 s26, s23, exec_lo
	s_or_b32 s25, s1, s0
	s_and_not1_b32 s1, s14, exec_lo
	s_or_b32 s22, s22, s26
	s_or_b32 s14, s1, s0
	s_and_not1_b32 exec_lo, exec_lo, s15
	s_cbranch_execz .LBB261_143
.LBB261_141:                            ; =>This Inner Loop Header: Depth=1
	global_load_u8 v25, v[20:21], off
	global_load_u8 v36, v[22:23], off
	s_or_b32 s23, s23, exec_lo
	s_or_b32 s24, s24, exec_lo
	s_mov_b32 s26, exec_lo
	s_wait_loadcnt 0x1
	v_bfe_i32 v37, v25, 0, 8
	s_wait_loadcnt 0x0
	v_bfe_i32 v38, v36, 0, 8
	v_and_b32_e32 v25, 0xff, v25
	v_and_b32_e32 v36, 0xff, v36
	s_delay_alu instid0(VALU_DEP_3) | instskip(SKIP_1) | instid1(VALU_DEP_3)
	v_cmp_le_i16_e64 s0, v37, v38
	v_cmp_lt_i16_e32 vcc_lo, v37, v38
	v_cmpx_eq_u16_e64 v25, v36
	s_cbranch_execz .LBB261_140
; %bb.142:                              ;   in Loop: Header=BB261_141 Depth=1
	s_add_nc_u64 s[6:7], s[6:7], -1
	v_add_nc_u64_e32 v[20:21], 1, v[20:21]
	s_cmp_eq_u64 s[6:7], 0
	v_add_nc_u64_e32 v[22:23], 1, v[22:23]
	s_cselect_b32 s1, -1, 0
	s_and_not1_b32 s24, s24, exec_lo
	s_and_b32 s1, s1, exec_lo
	s_and_not1_b32 s23, s23, exec_lo
	s_or_b32 s24, s24, s1
	s_branch .LBB261_140
.LBB261_143:
	s_or_b32 exec_lo, exec_lo, s15
	s_and_saveexec_b32 s0, s22
	s_delay_alu instid0(SALU_CYCLE_1)
	s_xor_b32 s0, exec_lo, s0
; %bb.144:
	v_dual_cndmask_b32 v21, v9, v3, s14 :: v_dual_cndmask_b32 v20, v8, v2, s14
	v_dual_cndmask_b32 v3, v3, v9, s14 :: v_dual_cndmask_b32 v2, v2, v8, s14
	s_delay_alu instid0(VALU_DEP_2)
	v_mov_b64_e32 v[8:9], v[20:21]
; %bb.145:
	s_or_b32 exec_lo, exec_lo, s0
	v_mad_nc_u64_u32 v[20:21], v16, s16, s[18:19]
	v_mad_nc_u64_u32 v[22:23], v14, s16, s[18:19]
	s_mov_b32 s15, 0
	s_mov_b64 s[6:7], s[16:17]
                                        ; implicit-def: $sgpr14
                                        ; implicit-def: $sgpr22
                                        ; implicit-def: $sgpr24
                                        ; implicit-def: $sgpr23
                                        ; implicit-def: $sgpr25
	s_delay_alu instid0(VALU_DEP_2) | instskip(NEXT) | instid1(VALU_DEP_2)
	v_mad_u32 v21, v17, s16, v21
	v_mad_u32 v23, v15, s16, v23
	s_delay_alu instid0(VALU_DEP_2) | instskip(NEXT) | instid1(VALU_DEP_2)
	v_mad_u32 v21, v16, s17, v21
	v_mad_u32 v23, v14, s17, v23
	s_branch .LBB261_147
.LBB261_146:                            ;   in Loop: Header=BB261_147 Depth=1
	s_or_b32 exec_lo, exec_lo, s26
	s_and_b32 s0, s0, s25
	s_delay_alu instid0(SALU_CYCLE_1) | instskip(SKIP_1) | instid1(SALU_CYCLE_1)
	s_or_b32 s0, vcc_lo, s0
	s_and_b32 s1, exec_lo, s24
	s_or_b32 s15, s1, s15
	s_and_not1_b32 s1, s25, exec_lo
	s_and_b32 s0, s0, exec_lo
	s_and_not1_b32 s22, s22, exec_lo
	s_and_b32 s26, s23, exec_lo
	s_or_b32 s25, s1, s0
	s_and_not1_b32 s1, s14, exec_lo
	s_or_b32 s22, s22, s26
	s_or_b32 s14, s1, s0
	s_and_not1_b32 exec_lo, exec_lo, s15
	s_cbranch_execz .LBB261_149
.LBB261_147:                            ; =>This Inner Loop Header: Depth=1
	global_load_u8 v25, v[20:21], off
	global_load_u8 v36, v[22:23], off
	s_or_b32 s23, s23, exec_lo
	s_or_b32 s24, s24, exec_lo
	s_mov_b32 s26, exec_lo
	s_wait_loadcnt 0x1
	v_bfe_i32 v37, v25, 0, 8
	s_wait_loadcnt 0x0
	v_bfe_i32 v38, v36, 0, 8
	v_and_b32_e32 v25, 0xff, v25
	v_and_b32_e32 v36, 0xff, v36
	s_delay_alu instid0(VALU_DEP_3) | instskip(SKIP_1) | instid1(VALU_DEP_3)
	v_cmp_le_i16_e64 s0, v37, v38
	v_cmp_lt_i16_e32 vcc_lo, v37, v38
	v_cmpx_eq_u16_e64 v25, v36
	s_cbranch_execz .LBB261_146
; %bb.148:                              ;   in Loop: Header=BB261_147 Depth=1
	s_add_nc_u64 s[6:7], s[6:7], -1
	v_add_nc_u64_e32 v[20:21], 1, v[20:21]
	s_cmp_eq_u64 s[6:7], 0
	v_add_nc_u64_e32 v[22:23], 1, v[22:23]
	s_cselect_b32 s1, -1, 0
	s_and_not1_b32 s24, s24, exec_lo
	s_and_b32 s1, s1, exec_lo
	s_and_not1_b32 s23, s23, exec_lo
	s_or_b32 s24, s24, s1
	s_branch .LBB261_146
.LBB261_149:
	s_or_b32 exec_lo, exec_lo, s15
	s_and_saveexec_b32 s0, s22
	s_delay_alu instid0(SALU_CYCLE_1)
	s_xor_b32 s0, exec_lo, s0
; %bb.150:
	v_dual_cndmask_b32 v21, v17, v15, s14 :: v_dual_cndmask_b32 v20, v16, v14, s14
	v_dual_cndmask_b32 v15, v15, v17, s14 :: v_dual_cndmask_b32 v14, v14, v16, s14
	s_delay_alu instid0(VALU_DEP_2)
	v_mov_b64_e32 v[16:17], v[20:21]
; %bb.151:
	s_or_b32 exec_lo, exec_lo, s0
	v_mad_nc_u64_u32 v[20:21], v12, s16, s[18:19]
	v_mad_nc_u64_u32 v[22:23], v10, s16, s[18:19]
	s_mov_b32 s15, 0
	s_mov_b64 s[6:7], s[16:17]
                                        ; implicit-def: $sgpr14
                                        ; implicit-def: $sgpr22
                                        ; implicit-def: $sgpr24
                                        ; implicit-def: $sgpr23
                                        ; implicit-def: $sgpr25
	s_delay_alu instid0(VALU_DEP_2) | instskip(NEXT) | instid1(VALU_DEP_2)
	v_mad_u32 v21, v13, s16, v21
	v_mad_u32 v23, v11, s16, v23
	s_delay_alu instid0(VALU_DEP_2) | instskip(NEXT) | instid1(VALU_DEP_2)
	v_mad_u32 v21, v12, s17, v21
	v_mad_u32 v23, v10, s17, v23
	s_branch .LBB261_153
.LBB261_152:                            ;   in Loop: Header=BB261_153 Depth=1
	s_or_b32 exec_lo, exec_lo, s26
	s_and_b32 s0, s0, s25
	s_delay_alu instid0(SALU_CYCLE_1) | instskip(SKIP_1) | instid1(SALU_CYCLE_1)
	s_or_b32 s0, vcc_lo, s0
	s_and_b32 s1, exec_lo, s24
	s_or_b32 s15, s1, s15
	s_and_not1_b32 s1, s25, exec_lo
	s_and_b32 s0, s0, exec_lo
	s_and_not1_b32 s22, s22, exec_lo
	s_and_b32 s26, s23, exec_lo
	s_or_b32 s25, s1, s0
	s_and_not1_b32 s1, s14, exec_lo
	s_or_b32 s22, s22, s26
	s_or_b32 s14, s1, s0
	s_and_not1_b32 exec_lo, exec_lo, s15
	s_cbranch_execz .LBB261_155
.LBB261_153:                            ; =>This Inner Loop Header: Depth=1
	global_load_u8 v25, v[20:21], off
	global_load_u8 v36, v[22:23], off
	s_or_b32 s23, s23, exec_lo
	s_or_b32 s24, s24, exec_lo
	s_mov_b32 s26, exec_lo
	s_wait_loadcnt 0x1
	v_bfe_i32 v37, v25, 0, 8
	s_wait_loadcnt 0x0
	v_bfe_i32 v38, v36, 0, 8
	v_and_b32_e32 v25, 0xff, v25
	v_and_b32_e32 v36, 0xff, v36
	s_delay_alu instid0(VALU_DEP_3) | instskip(SKIP_1) | instid1(VALU_DEP_3)
	v_cmp_le_i16_e64 s0, v37, v38
	v_cmp_lt_i16_e32 vcc_lo, v37, v38
	v_cmpx_eq_u16_e64 v25, v36
	s_cbranch_execz .LBB261_152
; %bb.154:                              ;   in Loop: Header=BB261_153 Depth=1
	s_add_nc_u64 s[6:7], s[6:7], -1
	v_add_nc_u64_e32 v[20:21], 1, v[20:21]
	s_cmp_eq_u64 s[6:7], 0
	v_add_nc_u64_e32 v[22:23], 1, v[22:23]
	s_cselect_b32 s1, -1, 0
	s_and_not1_b32 s24, s24, exec_lo
	s_and_b32 s1, s1, exec_lo
	s_and_not1_b32 s23, s23, exec_lo
	s_or_b32 s24, s24, s1
	s_branch .LBB261_152
.LBB261_155:
	s_or_b32 exec_lo, exec_lo, s15
	s_and_saveexec_b32 s0, s22
	s_delay_alu instid0(SALU_CYCLE_1)
	s_xor_b32 s0, exec_lo, s0
; %bb.156:
	v_dual_cndmask_b32 v21, v11, v13, s14 :: v_dual_cndmask_b32 v20, v10, v12, s14
	v_dual_cndmask_b32 v13, v13, v11, s14 :: v_dual_cndmask_b32 v12, v12, v10, s14
	s_delay_alu instid0(VALU_DEP_2)
	v_mov_b64_e32 v[10:11], v[20:21]
; %bb.157:
	s_or_b32 exec_lo, exec_lo, s0
	v_mad_nc_u64_u32 v[20:21], v8, s16, s[18:19]
	v_mad_nc_u64_u32 v[22:23], v6, s16, s[18:19]
	s_mov_b32 s15, 0
	s_mov_b64 s[6:7], s[16:17]
                                        ; implicit-def: $sgpr14
                                        ; implicit-def: $sgpr22
                                        ; implicit-def: $sgpr24
                                        ; implicit-def: $sgpr23
                                        ; implicit-def: $sgpr25
	s_delay_alu instid0(VALU_DEP_2) | instskip(NEXT) | instid1(VALU_DEP_2)
	v_mad_u32 v21, v9, s16, v21
	v_mad_u32 v23, v7, s16, v23
	s_delay_alu instid0(VALU_DEP_2) | instskip(NEXT) | instid1(VALU_DEP_2)
	v_mad_u32 v21, v8, s17, v21
	v_mad_u32 v23, v6, s17, v23
	s_branch .LBB261_159
.LBB261_158:                            ;   in Loop: Header=BB261_159 Depth=1
	s_or_b32 exec_lo, exec_lo, s26
	s_and_b32 s0, s0, s25
	s_delay_alu instid0(SALU_CYCLE_1) | instskip(SKIP_1) | instid1(SALU_CYCLE_1)
	s_or_b32 s0, vcc_lo, s0
	s_and_b32 s1, exec_lo, s24
	s_or_b32 s15, s1, s15
	s_and_not1_b32 s1, s25, exec_lo
	s_and_b32 s0, s0, exec_lo
	s_and_not1_b32 s22, s22, exec_lo
	s_and_b32 s26, s23, exec_lo
	s_or_b32 s25, s1, s0
	s_and_not1_b32 s1, s14, exec_lo
	s_or_b32 s22, s22, s26
	s_or_b32 s14, s1, s0
	s_and_not1_b32 exec_lo, exec_lo, s15
	s_cbranch_execz .LBB261_161
.LBB261_159:                            ; =>This Inner Loop Header: Depth=1
	global_load_u8 v25, v[20:21], off
	global_load_u8 v36, v[22:23], off
	s_or_b32 s23, s23, exec_lo
	s_or_b32 s24, s24, exec_lo
	s_mov_b32 s26, exec_lo
	s_wait_loadcnt 0x1
	v_bfe_i32 v37, v25, 0, 8
	s_wait_loadcnt 0x0
	v_bfe_i32 v38, v36, 0, 8
	v_and_b32_e32 v25, 0xff, v25
	v_and_b32_e32 v36, 0xff, v36
	s_delay_alu instid0(VALU_DEP_3) | instskip(SKIP_1) | instid1(VALU_DEP_3)
	v_cmp_le_i16_e64 s0, v37, v38
	v_cmp_lt_i16_e32 vcc_lo, v37, v38
	v_cmpx_eq_u16_e64 v25, v36
	s_cbranch_execz .LBB261_158
; %bb.160:                              ;   in Loop: Header=BB261_159 Depth=1
	s_add_nc_u64 s[6:7], s[6:7], -1
	v_add_nc_u64_e32 v[20:21], 1, v[20:21]
	s_cmp_eq_u64 s[6:7], 0
	v_add_nc_u64_e32 v[22:23], 1, v[22:23]
	s_cselect_b32 s1, -1, 0
	s_and_not1_b32 s24, s24, exec_lo
	s_and_b32 s1, s1, exec_lo
	s_and_not1_b32 s23, s23, exec_lo
	s_or_b32 s24, s24, s1
	s_branch .LBB261_158
.LBB261_161:
	s_or_b32 exec_lo, exec_lo, s15
	s_and_saveexec_b32 s0, s22
	s_delay_alu instid0(SALU_CYCLE_1)
	s_xor_b32 s0, exec_lo, s0
; %bb.162:
	v_dual_cndmask_b32 v21, v7, v9, s14 :: v_dual_cndmask_b32 v20, v6, v8, s14
	v_dual_cndmask_b32 v9, v9, v7, s14 :: v_dual_cndmask_b32 v8, v8, v6, s14
	s_delay_alu instid0(VALU_DEP_2)
	v_mov_b64_e32 v[6:7], v[20:21]
; %bb.163:
	s_or_b32 exec_lo, exec_lo, s0
	v_mad_nc_u64_u32 v[20:21], v4, s16, s[18:19]
	v_mad_nc_u64_u32 v[22:23], v2, s16, s[18:19]
	s_mov_b32 s15, 0
	s_mov_b64 s[6:7], s[16:17]
                                        ; implicit-def: $sgpr14
                                        ; implicit-def: $sgpr22
                                        ; implicit-def: $sgpr24
                                        ; implicit-def: $sgpr23
                                        ; implicit-def: $sgpr25
	s_delay_alu instid0(VALU_DEP_2) | instskip(NEXT) | instid1(VALU_DEP_2)
	v_mad_u32 v21, v5, s16, v21
	v_mad_u32 v23, v3, s16, v23
	s_delay_alu instid0(VALU_DEP_2) | instskip(NEXT) | instid1(VALU_DEP_2)
	v_mad_u32 v21, v4, s17, v21
	v_mad_u32 v23, v2, s17, v23
	s_branch .LBB261_165
.LBB261_164:                            ;   in Loop: Header=BB261_165 Depth=1
	s_or_b32 exec_lo, exec_lo, s26
	s_and_b32 s0, s0, s25
	s_delay_alu instid0(SALU_CYCLE_1) | instskip(SKIP_1) | instid1(SALU_CYCLE_1)
	s_or_b32 s0, vcc_lo, s0
	s_and_b32 s1, exec_lo, s24
	s_or_b32 s15, s1, s15
	s_and_not1_b32 s1, s25, exec_lo
	s_and_b32 s0, s0, exec_lo
	s_and_not1_b32 s22, s22, exec_lo
	s_and_b32 s26, s23, exec_lo
	s_or_b32 s25, s1, s0
	s_and_not1_b32 s1, s14, exec_lo
	s_or_b32 s22, s22, s26
	s_or_b32 s14, s1, s0
	s_and_not1_b32 exec_lo, exec_lo, s15
	s_cbranch_execz .LBB261_167
.LBB261_165:                            ; =>This Inner Loop Header: Depth=1
	global_load_u8 v25, v[20:21], off
	global_load_u8 v36, v[22:23], off
	s_or_b32 s23, s23, exec_lo
	s_or_b32 s24, s24, exec_lo
	s_mov_b32 s26, exec_lo
	s_wait_loadcnt 0x1
	v_bfe_i32 v37, v25, 0, 8
	s_wait_loadcnt 0x0
	v_bfe_i32 v38, v36, 0, 8
	v_and_b32_e32 v25, 0xff, v25
	v_and_b32_e32 v36, 0xff, v36
	s_delay_alu instid0(VALU_DEP_3) | instskip(SKIP_1) | instid1(VALU_DEP_3)
	v_cmp_le_i16_e64 s0, v37, v38
	v_cmp_lt_i16_e32 vcc_lo, v37, v38
	v_cmpx_eq_u16_e64 v25, v36
	s_cbranch_execz .LBB261_164
; %bb.166:                              ;   in Loop: Header=BB261_165 Depth=1
	s_add_nc_u64 s[6:7], s[6:7], -1
	v_add_nc_u64_e32 v[20:21], 1, v[20:21]
	s_cmp_eq_u64 s[6:7], 0
	v_add_nc_u64_e32 v[22:23], 1, v[22:23]
	s_cselect_b32 s1, -1, 0
	s_and_not1_b32 s24, s24, exec_lo
	s_and_b32 s1, s1, exec_lo
	s_and_not1_b32 s23, s23, exec_lo
	s_or_b32 s24, s24, s1
	s_branch .LBB261_164
.LBB261_167:
	s_or_b32 exec_lo, exec_lo, s15
	s_and_saveexec_b32 s0, s22
	s_delay_alu instid0(SALU_CYCLE_1)
	s_xor_b32 s0, exec_lo, s0
; %bb.168:
	v_dual_cndmask_b32 v21, v3, v5, s14 :: v_dual_cndmask_b32 v20, v2, v4, s14
	v_dual_cndmask_b32 v5, v5, v3, s14 :: v_dual_cndmask_b32 v4, v4, v2, s14
	s_delay_alu instid0(VALU_DEP_2)
	v_mov_b64_e32 v[2:3], v[20:21]
; %bb.169:
	s_or_b32 exec_lo, exec_lo, s0
	v_mad_nc_u64_u32 v[20:21], v10, s16, s[18:19]
	v_mad_nc_u64_u32 v[22:23], v16, s16, s[18:19]
	s_mov_b32 s15, 0
	s_mov_b64 s[6:7], s[16:17]
                                        ; implicit-def: $sgpr14
                                        ; implicit-def: $sgpr22
                                        ; implicit-def: $sgpr24
                                        ; implicit-def: $sgpr23
                                        ; implicit-def: $sgpr25
	s_delay_alu instid0(VALU_DEP_2) | instskip(NEXT) | instid1(VALU_DEP_2)
	v_mad_u32 v21, v11, s16, v21
	v_mad_u32 v23, v17, s16, v23
	s_delay_alu instid0(VALU_DEP_2) | instskip(NEXT) | instid1(VALU_DEP_2)
	v_mad_u32 v21, v10, s17, v21
	v_mad_u32 v23, v16, s17, v23
	s_branch .LBB261_171
.LBB261_170:                            ;   in Loop: Header=BB261_171 Depth=1
	s_or_b32 exec_lo, exec_lo, s26
	s_and_b32 s0, s0, s25
	s_delay_alu instid0(SALU_CYCLE_1) | instskip(SKIP_1) | instid1(SALU_CYCLE_1)
	s_or_b32 s0, vcc_lo, s0
	s_and_b32 s1, exec_lo, s24
	s_or_b32 s15, s1, s15
	s_and_not1_b32 s1, s25, exec_lo
	s_and_b32 s0, s0, exec_lo
	s_and_not1_b32 s22, s22, exec_lo
	s_and_b32 s26, s23, exec_lo
	s_or_b32 s25, s1, s0
	s_and_not1_b32 s1, s14, exec_lo
	s_or_b32 s22, s22, s26
	s_or_b32 s14, s1, s0
	s_and_not1_b32 exec_lo, exec_lo, s15
	s_cbranch_execz .LBB261_173
.LBB261_171:                            ; =>This Inner Loop Header: Depth=1
	global_load_u8 v25, v[20:21], off
	global_load_u8 v36, v[22:23], off
	s_or_b32 s23, s23, exec_lo
	s_or_b32 s24, s24, exec_lo
	s_mov_b32 s26, exec_lo
	s_wait_loadcnt 0x1
	v_bfe_i32 v37, v25, 0, 8
	s_wait_loadcnt 0x0
	v_bfe_i32 v38, v36, 0, 8
	v_and_b32_e32 v25, 0xff, v25
	v_and_b32_e32 v36, 0xff, v36
	s_delay_alu instid0(VALU_DEP_3) | instskip(SKIP_1) | instid1(VALU_DEP_3)
	v_cmp_le_i16_e64 s0, v37, v38
	v_cmp_lt_i16_e32 vcc_lo, v37, v38
	v_cmpx_eq_u16_e64 v25, v36
	s_cbranch_execz .LBB261_170
; %bb.172:                              ;   in Loop: Header=BB261_171 Depth=1
	s_add_nc_u64 s[6:7], s[6:7], -1
	v_add_nc_u64_e32 v[20:21], 1, v[20:21]
	s_cmp_eq_u64 s[6:7], 0
	v_add_nc_u64_e32 v[22:23], 1, v[22:23]
	s_cselect_b32 s1, -1, 0
	s_and_not1_b32 s24, s24, exec_lo
	s_and_b32 s1, s1, exec_lo
	s_and_not1_b32 s23, s23, exec_lo
	s_or_b32 s24, s24, s1
	s_branch .LBB261_170
.LBB261_173:
	s_or_b32 exec_lo, exec_lo, s15
	s_and_saveexec_b32 s0, s22
	s_delay_alu instid0(SALU_CYCLE_1)
	s_xor_b32 s0, exec_lo, s0
; %bb.174:
	v_dual_cndmask_b32 v21, v17, v11, s14 :: v_dual_cndmask_b32 v20, v16, v10, s14
	v_dual_cndmask_b32 v11, v11, v17, s14 :: v_dual_cndmask_b32 v10, v10, v16, s14
	s_delay_alu instid0(VALU_DEP_2)
	v_mov_b64_e32 v[16:17], v[20:21]
; %bb.175:
	s_or_b32 exec_lo, exec_lo, s0
	v_mad_nc_u64_u32 v[20:21], v6, s16, s[18:19]
	v_mad_nc_u64_u32 v[22:23], v12, s16, s[18:19]
	s_mov_b32 s15, 0
	s_mov_b64 s[6:7], s[16:17]
                                        ; implicit-def: $sgpr14
                                        ; implicit-def: $sgpr22
                                        ; implicit-def: $sgpr24
                                        ; implicit-def: $sgpr23
                                        ; implicit-def: $sgpr25
	s_delay_alu instid0(VALU_DEP_2) | instskip(NEXT) | instid1(VALU_DEP_2)
	v_mad_u32 v21, v7, s16, v21
	v_mad_u32 v23, v13, s16, v23
	s_delay_alu instid0(VALU_DEP_2) | instskip(NEXT) | instid1(VALU_DEP_2)
	v_mad_u32 v21, v6, s17, v21
	v_mad_u32 v23, v12, s17, v23
	s_branch .LBB261_177
.LBB261_176:                            ;   in Loop: Header=BB261_177 Depth=1
	s_or_b32 exec_lo, exec_lo, s26
	s_and_b32 s0, s0, s25
	s_delay_alu instid0(SALU_CYCLE_1) | instskip(SKIP_1) | instid1(SALU_CYCLE_1)
	s_or_b32 s0, vcc_lo, s0
	s_and_b32 s1, exec_lo, s24
	s_or_b32 s15, s1, s15
	s_and_not1_b32 s1, s25, exec_lo
	s_and_b32 s0, s0, exec_lo
	s_and_not1_b32 s22, s22, exec_lo
	s_and_b32 s26, s23, exec_lo
	s_or_b32 s25, s1, s0
	s_and_not1_b32 s1, s14, exec_lo
	s_or_b32 s22, s22, s26
	s_or_b32 s14, s1, s0
	s_and_not1_b32 exec_lo, exec_lo, s15
	s_cbranch_execz .LBB261_179
.LBB261_177:                            ; =>This Inner Loop Header: Depth=1
	global_load_u8 v25, v[20:21], off
	global_load_u8 v36, v[22:23], off
	s_or_b32 s23, s23, exec_lo
	s_or_b32 s24, s24, exec_lo
	s_mov_b32 s26, exec_lo
	s_wait_loadcnt 0x1
	v_bfe_i32 v37, v25, 0, 8
	s_wait_loadcnt 0x0
	v_bfe_i32 v38, v36, 0, 8
	v_and_b32_e32 v25, 0xff, v25
	v_and_b32_e32 v36, 0xff, v36
	s_delay_alu instid0(VALU_DEP_3) | instskip(SKIP_1) | instid1(VALU_DEP_3)
	v_cmp_le_i16_e64 s0, v37, v38
	v_cmp_lt_i16_e32 vcc_lo, v37, v38
	v_cmpx_eq_u16_e64 v25, v36
	s_cbranch_execz .LBB261_176
; %bb.178:                              ;   in Loop: Header=BB261_177 Depth=1
	s_add_nc_u64 s[6:7], s[6:7], -1
	v_add_nc_u64_e32 v[20:21], 1, v[20:21]
	s_cmp_eq_u64 s[6:7], 0
	v_add_nc_u64_e32 v[22:23], 1, v[22:23]
	s_cselect_b32 s1, -1, 0
	s_and_not1_b32 s24, s24, exec_lo
	s_and_b32 s1, s1, exec_lo
	s_and_not1_b32 s23, s23, exec_lo
	s_or_b32 s24, s24, s1
	s_branch .LBB261_176
.LBB261_179:
	s_or_b32 exec_lo, exec_lo, s15
	s_and_saveexec_b32 s0, s22
	s_delay_alu instid0(SALU_CYCLE_1)
	s_xor_b32 s0, exec_lo, s0
; %bb.180:
	v_dual_cndmask_b32 v21, v13, v7, s14 :: v_dual_cndmask_b32 v20, v12, v6, s14
	v_dual_cndmask_b32 v7, v7, v13, s14 :: v_dual_cndmask_b32 v6, v6, v12, s14
	s_delay_alu instid0(VALU_DEP_2)
	v_mov_b64_e32 v[12:13], v[20:21]
; %bb.181:
	s_or_b32 exec_lo, exec_lo, s0
	v_mad_nc_u64_u32 v[20:21], v2, s16, s[18:19]
	v_mad_nc_u64_u32 v[22:23], v8, s16, s[18:19]
	s_mov_b32 s15, 0
	s_mov_b64 s[6:7], s[16:17]
                                        ; implicit-def: $sgpr14
                                        ; implicit-def: $sgpr22
                                        ; implicit-def: $sgpr24
                                        ; implicit-def: $sgpr23
                                        ; implicit-def: $sgpr25
	s_delay_alu instid0(VALU_DEP_2) | instskip(NEXT) | instid1(VALU_DEP_2)
	v_mad_u32 v21, v3, s16, v21
	v_mad_u32 v23, v9, s16, v23
	s_delay_alu instid0(VALU_DEP_2) | instskip(NEXT) | instid1(VALU_DEP_2)
	v_mad_u32 v21, v2, s17, v21
	v_mad_u32 v23, v8, s17, v23
	s_branch .LBB261_183
.LBB261_182:                            ;   in Loop: Header=BB261_183 Depth=1
	s_or_b32 exec_lo, exec_lo, s26
	s_and_b32 s0, s0, s25
	s_delay_alu instid0(SALU_CYCLE_1) | instskip(SKIP_1) | instid1(SALU_CYCLE_1)
	s_or_b32 s0, vcc_lo, s0
	s_and_b32 s1, exec_lo, s24
	s_or_b32 s15, s1, s15
	s_and_not1_b32 s1, s25, exec_lo
	s_and_b32 s0, s0, exec_lo
	s_and_not1_b32 s22, s22, exec_lo
	s_and_b32 s26, s23, exec_lo
	s_or_b32 s25, s1, s0
	s_and_not1_b32 s1, s14, exec_lo
	s_or_b32 s22, s22, s26
	s_or_b32 s14, s1, s0
	s_and_not1_b32 exec_lo, exec_lo, s15
	s_cbranch_execz .LBB261_185
.LBB261_183:                            ; =>This Inner Loop Header: Depth=1
	global_load_u8 v25, v[20:21], off
	global_load_u8 v36, v[22:23], off
	s_or_b32 s23, s23, exec_lo
	s_or_b32 s24, s24, exec_lo
	s_mov_b32 s26, exec_lo
	s_wait_loadcnt 0x1
	v_bfe_i32 v37, v25, 0, 8
	s_wait_loadcnt 0x0
	v_bfe_i32 v38, v36, 0, 8
	v_and_b32_e32 v25, 0xff, v25
	v_and_b32_e32 v36, 0xff, v36
	s_delay_alu instid0(VALU_DEP_3) | instskip(SKIP_1) | instid1(VALU_DEP_3)
	v_cmp_le_i16_e64 s0, v37, v38
	v_cmp_lt_i16_e32 vcc_lo, v37, v38
	v_cmpx_eq_u16_e64 v25, v36
	s_cbranch_execz .LBB261_182
; %bb.184:                              ;   in Loop: Header=BB261_183 Depth=1
	s_add_nc_u64 s[6:7], s[6:7], -1
	v_add_nc_u64_e32 v[20:21], 1, v[20:21]
	s_cmp_eq_u64 s[6:7], 0
	v_add_nc_u64_e32 v[22:23], 1, v[22:23]
	s_cselect_b32 s1, -1, 0
	s_and_not1_b32 s24, s24, exec_lo
	s_and_b32 s1, s1, exec_lo
	s_and_not1_b32 s23, s23, exec_lo
	s_or_b32 s24, s24, s1
	s_branch .LBB261_182
.LBB261_185:
	s_or_b32 exec_lo, exec_lo, s15
	s_and_saveexec_b32 s0, s22
	s_delay_alu instid0(SALU_CYCLE_1)
	s_xor_b32 s0, exec_lo, s0
; %bb.186:
	v_dual_cndmask_b32 v21, v9, v3, s14 :: v_dual_cndmask_b32 v20, v8, v2, s14
	v_dual_cndmask_b32 v3, v3, v9, s14 :: v_dual_cndmask_b32 v2, v2, v8, s14
	s_delay_alu instid0(VALU_DEP_2)
	v_mov_b64_e32 v[8:9], v[20:21]
; %bb.187:
	s_or_b32 exec_lo, exec_lo, s0
.LBB261_188:
	s_delay_alu instid0(SALU_CYCLE_1) | instskip(SKIP_4) | instid1(VALU_DEP_1)
	s_or_b32 exec_lo, exec_lo, s5
	v_mbcnt_lo_u32_b32 v20, -1, 0
	v_and_b32_e32 v21, 0xffffff00, v24
	s_mov_b32 s1, 0
	s_mov_b32 s5, exec_lo
	v_dual_lshlrev_b32 v38, 3, v20 :: v_dual_lshlrev_b32 v36, 3, v21
	v_sub_nc_u32_e64 v37, 0x800, v21 clamp
	s_delay_alu instid0(VALU_DEP_2) | instskip(SKIP_1) | instid1(VALU_DEP_4)
	v_or_b32_e32 v22, 8, v38
	v_and_b32_e32 v42, 0xf0, v38
	v_lshl_or_b32 v39, v20, 6, v36
	ds_store_b128 v39, v[14:17]
	ds_store_b128 v39, v[10:13] offset:16
	v_min_u32_e32 v24, v37, v22
	v_and_b32_e32 v22, 8, v38
	v_lshl_or_b32 v41, v42, 3, v36
	ds_store_b128 v39, v[6:9] offset:32
	ds_store_b128 v39, v[2:5] offset:48
	v_add_min_u32_e64 v25, v24, 8, v37
	v_min_u32_e32 v43, v37, v22
	v_sub_nc_u32_e32 v22, v24, v42
	; wave barrier
	s_delay_alu instid0(VALU_DEP_3) | instskip(NEXT) | instid1(VALU_DEP_2)
	v_sub_nc_u32_e32 v21, v25, v24
	v_min_u32_e32 v44, v43, v22
	s_delay_alu instid0(VALU_DEP_2) | instskip(NEXT) | instid1(VALU_DEP_1)
	v_sub_nc_u32_e64 v40, v43, v21 clamp
	v_cmpx_lt_u32_e64 v40, v44
	s_cbranch_execz .LBB261_199
; %bb.189:
	v_dual_lshlrev_b32 v20, 3, v24 :: v_dual_lshlrev_b32 v21, 3, v43
	s_delay_alu instid0(VALU_DEP_1)
	v_add3_u32 v45, v36, v20, v21
	s_branch .LBB261_192
.LBB261_190:                            ;   in Loop: Header=BB261_192 Depth=1
	s_or_b32 exec_lo, exec_lo, s15
.LBB261_191:                            ;   in Loop: Header=BB261_192 Depth=1
	s_delay_alu instid0(VALU_DEP_1) | instskip(NEXT) | instid1(VALU_DEP_1)
	v_dual_add_nc_u32 v20, 1, v46 :: v_dual_cndmask_b32 v44, v44, v46, s14
	v_cndmask_b32_e64 v40, v20, v40, s14
	s_delay_alu instid0(VALU_DEP_1) | instskip(SKIP_1) | instid1(SALU_CYCLE_1)
	v_cmp_ge_u32_e32 vcc_lo, v40, v44
	s_or_b32 s1, vcc_lo, s1
	s_and_not1_b32 exec_lo, exec_lo, s1
	s_cbranch_execz .LBB261_198
.LBB261_192:                            ; =>This Loop Header: Depth=1
                                        ;     Child Loop BB261_195 Depth 2
	v_add_nc_u32_e32 v20, v44, v40
	v_cmp_ne_u32_e32 vcc_lo, 1, v35
	s_delay_alu instid0(VALU_DEP_2)
	v_lshrrev_b32_e32 v46, 1, v20
	s_cbranch_vccnz .LBB261_197
; %bb.193:                              ;   in Loop: Header=BB261_192 Depth=1
	s_delay_alu instid0(VALU_DEP_1) | instskip(SKIP_3) | instid1(VALU_DEP_2)
	v_not_b32_e32 v20, v46
	v_lshl_add_u32 v21, v46, 3, v41
	s_mov_b32 s15, 0
	s_mov_b64 s[6:7], s[16:17]
                                        ; implicit-def: $sgpr14
                                        ; implicit-def: $sgpr22
                                        ; implicit-def: $sgpr23
                                        ; implicit-def: $sgpr24
	v_lshl_add_u32 v20, v20, 3, v45
	ds_load_b64 v[48:49], v20
	ds_load_b64 v[50:51], v21
	s_wait_dscnt 0x1
	v_mad_nc_u64_u32 v[20:21], v48, s16, s[18:19]
	s_wait_dscnt 0x0
	v_mad_nc_u64_u32 v[22:23], v50, s16, s[18:19]
	s_delay_alu instid0(VALU_DEP_2) | instskip(NEXT) | instid1(VALU_DEP_2)
	v_mad_u32 v21, v49, s16, v21
	v_mad_u32 v23, v51, s16, v23
	s_delay_alu instid0(VALU_DEP_2) | instskip(NEXT) | instid1(VALU_DEP_2)
	v_mad_u32 v21, v48, s17, v21
	v_mad_u32 v23, v50, s17, v23
	s_branch .LBB261_195
.LBB261_194:                            ;   in Loop: Header=BB261_195 Depth=2
	s_or_b32 exec_lo, exec_lo, s25
	s_delay_alu instid0(SALU_CYCLE_1) | instskip(NEXT) | instid1(SALU_CYCLE_1)
	s_and_b32 s25, exec_lo, s22
	s_or_b32 s15, s25, s15
	s_and_not1_b32 s24, s24, exec_lo
	s_and_b32 s0, s0, exec_lo
	s_and_not1_b32 s14, s14, exec_lo
	s_and_b32 s25, s23, exec_lo
	s_or_b32 s24, s24, s0
	s_or_b32 s14, s14, s25
	s_and_not1_b32 exec_lo, exec_lo, s15
	s_cbranch_execz .LBB261_190
.LBB261_195:                            ;   Parent Loop BB261_192 Depth=1
                                        ; =>  This Inner Loop Header: Depth=2
	global_load_u8 v47, v[20:21], off
	global_load_u8 v48, v[22:23], off
	s_and_not1_b32 s23, s23, exec_lo
	s_or_b32 s22, s22, exec_lo
	s_wait_loadcnt 0x1
	v_bfe_i32 v49, v47, 0, 8
	s_wait_loadcnt 0x0
	v_bfe_i32 v50, v48, 0, 8
	v_and_b32_e32 v47, 0xff, v47
	v_and_b32_e32 v48, 0xff, v48
	s_delay_alu instid0(VALU_DEP_3) | instskip(SKIP_2) | instid1(SALU_CYCLE_1)
	v_cmp_le_i16_e32 vcc_lo, v49, v50
	v_cmp_lt_i16_e64 s0, v49, v50
	s_and_b32 s25, vcc_lo, s24
	s_or_b32 s0, s0, s25
	s_delay_alu instid0(SALU_CYCLE_1) | instskip(NEXT) | instid1(SALU_CYCLE_1)
	s_and_b32 s25, s0, exec_lo
	s_or_b32 s23, s23, s25
	s_mov_b32 s25, exec_lo
	v_cmpx_eq_u16_e64 v47, v48
	s_cbranch_execz .LBB261_194
; %bb.196:                              ;   in Loop: Header=BB261_195 Depth=2
	s_add_nc_u64 s[6:7], s[6:7], -1
	v_add_nc_u64_e32 v[20:21], 1, v[20:21]
	s_cmp_eq_u64 s[6:7], 0
	v_add_nc_u64_e32 v[22:23], 1, v[22:23]
	s_cselect_b32 s24, -1, 0
	s_and_not1_b32 s22, s22, exec_lo
	s_and_b32 s24, s24, exec_lo
	s_and_not1_b32 s23, s23, exec_lo
	s_or_b32 s22, s22, s24
                                        ; implicit-def: $sgpr24
	s_branch .LBB261_194
.LBB261_197:                            ;   in Loop: Header=BB261_192 Depth=1
	s_mov_b32 s14, 0
	s_branch .LBB261_191
.LBB261_198:
	s_or_b32 exec_lo, exec_lo, s1
.LBB261_199:
	s_delay_alu instid0(SALU_CYCLE_1) | instskip(SKIP_1) | instid1(VALU_DEP_1)
	s_or_b32 exec_lo, exec_lo, s5
	v_add_nc_u32_e32 v21, v24, v43
	v_dual_add_nc_u32 v20, v40, v42 :: v_dual_sub_nc_u32 v21, v21, v40
	s_delay_alu instid0(VALU_DEP_1) | instskip(NEXT) | instid1(VALU_DEP_2)
	v_cmp_le_u32_e32 vcc_lo, v20, v24
	v_cmp_le_u32_e64 s0, v21, v25
	s_or_b32 s0, vcc_lo, s0
	s_delay_alu instid0(SALU_CYCLE_1)
	s_and_saveexec_b32 s1, s0
	s_cbranch_execz .LBB261_290
; %bb.200:
	s_mov_b32 s5, exec_lo
	v_cmp_ge_u32_e32 vcc_lo, v20, v24
                                        ; implicit-def: $vgpr2_vgpr3
	v_cmpx_lt_u32_e64 v20, v24
; %bb.201:
	v_lshl_add_u32 v2, v40, 3, v41
	ds_load_b64 v[2:3], v2
; %bb.202:
	s_or_b32 exec_lo, exec_lo, s5
	v_cmp_ge_u32_e64 s5, v21, v25
	s_mov_b32 s6, exec_lo
                                        ; implicit-def: $vgpr4_vgpr5
	v_cmpx_lt_u32_e64 v21, v25
; %bb.203:
	v_lshl_add_u32 v4, v21, 3, v36
	ds_load_b64 v[4:5], v4
; %bb.204:
	s_or_b32 exec_lo, exec_lo, s6
	s_nor_b32 s0, vcc_lo, s5
	s_delay_alu instid0(SALU_CYCLE_1)
	s_and_saveexec_b32 s14, s0
	s_cbranch_execz .LBB261_213
; %bb.205:
	v_cmp_ne_u32_e32 vcc_lo, 1, v35
	s_cbranch_vccnz .LBB261_211
; %bb.206:
	s_wait_dscnt 0x0
	v_mad_nc_u64_u32 v[6:7], v4, s16, s[18:19]
	v_mad_nc_u64_u32 v[8:9], v2, s16, s[18:19]
	s_mov_b32 s15, 0
	s_mov_b64 s[6:7], s[16:17]
                                        ; implicit-def: $sgpr22
                                        ; implicit-def: $sgpr23
                                        ; implicit-def: $sgpr24
                                        ; implicit-def: $sgpr25
	s_delay_alu instid0(VALU_DEP_2) | instskip(NEXT) | instid1(VALU_DEP_2)
	v_mad_u32 v7, v5, s16, v7
	v_mad_u32 v9, v3, s16, v9
	s_delay_alu instid0(VALU_DEP_2) | instskip(NEXT) | instid1(VALU_DEP_2)
	v_mad_u32 v7, v4, s17, v7
	v_mad_u32 v9, v2, s17, v9
	s_branch .LBB261_208
.LBB261_207:                            ;   in Loop: Header=BB261_208 Depth=1
	s_or_b32 exec_lo, exec_lo, s26
	s_delay_alu instid0(SALU_CYCLE_1) | instskip(NEXT) | instid1(SALU_CYCLE_1)
	s_and_b32 s26, exec_lo, s23
	s_or_b32 s15, s26, s15
	s_and_not1_b32 s25, s25, exec_lo
	s_and_b32 s0, s0, exec_lo
	s_and_not1_b32 s22, s22, exec_lo
	s_and_b32 s26, s24, exec_lo
	s_or_b32 s25, s25, s0
	s_or_b32 s22, s22, s26
	s_and_not1_b32 exec_lo, exec_lo, s15
	s_cbranch_execz .LBB261_210
.LBB261_208:                            ; =>This Inner Loop Header: Depth=1
	global_load_u8 v10, v[6:7], off
	global_load_u8 v11, v[8:9], off
	s_and_not1_b32 s24, s24, exec_lo
	s_or_b32 s23, s23, exec_lo
	s_wait_loadcnt 0x1
	v_bfe_i32 v12, v10, 0, 8
	s_wait_loadcnt 0x0
	v_bfe_i32 v13, v11, 0, 8
	v_and_b32_e32 v10, 0xff, v10
	v_and_b32_e32 v11, 0xff, v11
	s_delay_alu instid0(VALU_DEP_3) | instskip(SKIP_2) | instid1(SALU_CYCLE_1)
	v_cmp_le_i16_e32 vcc_lo, v12, v13
	v_cmp_lt_i16_e64 s0, v12, v13
	s_and_b32 s26, vcc_lo, s25
	s_or_b32 s0, s0, s26
	s_delay_alu instid0(SALU_CYCLE_1) | instskip(NEXT) | instid1(SALU_CYCLE_1)
	s_and_b32 s26, s0, exec_lo
	s_or_b32 s24, s24, s26
	s_mov_b32 s26, exec_lo
	v_cmpx_eq_u16_e64 v10, v11
	s_cbranch_execz .LBB261_207
; %bb.209:                              ;   in Loop: Header=BB261_208 Depth=1
	s_add_nc_u64 s[6:7], s[6:7], -1
	v_add_nc_u64_e32 v[6:7], 1, v[6:7]
	s_cmp_eq_u64 s[6:7], 0
	v_add_nc_u64_e32 v[8:9], 1, v[8:9]
	s_cselect_b32 s25, -1, 0
	s_and_not1_b32 s23, s23, exec_lo
	s_and_b32 s25, s25, exec_lo
	s_and_not1_b32 s24, s24, exec_lo
	s_or_b32 s23, s23, s25
                                        ; implicit-def: $sgpr25
	s_branch .LBB261_207
.LBB261_210:
	s_or_b32 exec_lo, exec_lo, s15
	s_xor_b32 s0, s22, -1
	s_branch .LBB261_212
.LBB261_211:
	s_mov_b32 s0, -1
.LBB261_212:
	s_and_not1_b32 s5, s5, exec_lo
	s_and_b32 s0, s0, exec_lo
	s_delay_alu instid0(SALU_CYCLE_1)
	s_or_b32 s5, s5, s0
.LBB261_213:
	s_or_b32 exec_lo, exec_lo, s14
	v_cndmask_b32_e64 v6, v21, v20, s5
	v_cndmask_b32_e64 v7, v25, v24, s5
	s_mov_b32 s15, -1
	s_mov_b32 s14, -1
	s_mov_b32 s22, exec_lo
	v_add_nc_u32_e32 v8, 1, v6
	s_delay_alu instid0(VALU_DEP_1) | instskip(SKIP_1) | instid1(VALU_DEP_2)
	v_add_min_u32_e64 v6, v7, -1, v8
	v_cndmask_b32_e64 v10, v8, v21, s5
	v_lshl_add_u32 v6, v6, 3, v36
	ds_load_b64 v[6:7], v6
	s_wait_dscnt 0x0
	v_dual_cndmask_b32 v11, v20, v8, s5 :: v_dual_cndmask_b32 v14, v7, v5, s5
	v_dual_cndmask_b32 v15, v6, v4, s5 :: v_dual_cndmask_b32 v16, v3, v7, s5
	v_cndmask_b32_e64 v22, v2, v6, s5
	v_cmpx_lt_u32_e64 v10, v25
	s_cbranch_execz .LBB261_224
; %bb.214:
	s_mov_b32 s0, 0
	s_mov_b32 s14, exec_lo
	v_cmpx_lt_u32_e64 v11, v24
	s_cbranch_execz .LBB261_223
; %bb.215:
	v_cmp_ne_u32_e32 vcc_lo, 1, v35
	s_cbranch_vccnz .LBB261_221
; %bb.216:
	v_mad_nc_u64_u32 v[6:7], v15, s16, s[18:19]
	v_mad_nc_u64_u32 v[8:9], v22, s16, s[18:19]
	s_mov_b32 s23, 0
	s_mov_b64 s[6:7], s[16:17]
                                        ; implicit-def: $sgpr24
                                        ; implicit-def: $sgpr25
                                        ; implicit-def: $sgpr26
                                        ; implicit-def: $sgpr27
	s_delay_alu instid0(VALU_DEP_2) | instskip(NEXT) | instid1(VALU_DEP_2)
	v_mad_u32 v7, v14, s16, v7
	v_mad_u32 v9, v16, s16, v9
	s_delay_alu instid0(VALU_DEP_2) | instskip(NEXT) | instid1(VALU_DEP_2)
	v_mad_u32 v7, v15, s17, v7
	v_mad_u32 v9, v22, s17, v9
	s_branch .LBB261_218
.LBB261_217:                            ;   in Loop: Header=BB261_218 Depth=1
	s_or_b32 exec_lo, exec_lo, s28
	s_delay_alu instid0(SALU_CYCLE_1) | instskip(NEXT) | instid1(SALU_CYCLE_1)
	s_and_b32 s28, exec_lo, s25
	s_or_b32 s23, s28, s23
	s_and_not1_b32 s27, s27, exec_lo
	s_and_b32 s0, s0, exec_lo
	s_and_not1_b32 s24, s24, exec_lo
	s_and_b32 s28, s26, exec_lo
	s_or_b32 s27, s27, s0
	s_or_b32 s24, s24, s28
	s_and_not1_b32 exec_lo, exec_lo, s23
	s_cbranch_execz .LBB261_220
.LBB261_218:                            ; =>This Inner Loop Header: Depth=1
	global_load_u8 v12, v[6:7], off
	global_load_u8 v13, v[8:9], off
	s_and_not1_b32 s26, s26, exec_lo
	s_or_b32 s25, s25, exec_lo
	s_wait_loadcnt 0x1
	v_bfe_i32 v17, v12, 0, 8
	s_wait_loadcnt 0x0
	v_bfe_i32 v20, v13, 0, 8
	v_and_b32_e32 v12, 0xff, v12
	v_and_b32_e32 v13, 0xff, v13
	s_delay_alu instid0(VALU_DEP_3) | instskip(SKIP_2) | instid1(SALU_CYCLE_1)
	v_cmp_le_i16_e32 vcc_lo, v17, v20
	v_cmp_lt_i16_e64 s0, v17, v20
	s_and_b32 s28, vcc_lo, s27
	s_or_b32 s0, s0, s28
	s_delay_alu instid0(SALU_CYCLE_1) | instskip(NEXT) | instid1(SALU_CYCLE_1)
	s_and_b32 s28, s0, exec_lo
	s_or_b32 s26, s26, s28
	s_mov_b32 s28, exec_lo
	v_cmpx_eq_u16_e64 v12, v13
	s_cbranch_execz .LBB261_217
; %bb.219:                              ;   in Loop: Header=BB261_218 Depth=1
	s_add_nc_u64 s[6:7], s[6:7], -1
	v_add_nc_u64_e32 v[6:7], 1, v[6:7]
	s_cmp_eq_u64 s[6:7], 0
	v_add_nc_u64_e32 v[8:9], 1, v[8:9]
	s_cselect_b32 s27, -1, 0
	s_and_not1_b32 s25, s25, exec_lo
	s_and_b32 s27, s27, exec_lo
	s_and_not1_b32 s26, s26, exec_lo
	s_or_b32 s25, s25, s27
                                        ; implicit-def: $sgpr27
	s_branch .LBB261_217
.LBB261_220:
	s_or_b32 exec_lo, exec_lo, s23
	s_xor_b32 s0, s24, -1
	s_branch .LBB261_222
.LBB261_221:
	s_mov_b32 s0, -1
.LBB261_222:
	s_delay_alu instid0(SALU_CYCLE_1)
	s_and_b32 s0, s0, exec_lo
.LBB261_223:
	s_or_b32 exec_lo, exec_lo, s14
	s_delay_alu instid0(SALU_CYCLE_1)
	s_or_not1_b32 s14, s0, exec_lo
.LBB261_224:
	s_or_b32 exec_lo, exec_lo, s22
	v_dual_cndmask_b32 v6, v10, v11, s14 :: v_dual_cndmask_b32 v7, v25, v24, s14
	s_mov_b32 s22, exec_lo
	s_delay_alu instid0(VALU_DEP_1) | instskip(NEXT) | instid1(VALU_DEP_1)
	v_add_nc_u32_e32 v8, 1, v6
	v_add_min_u32_e64 v6, v7, -1, v8
	s_delay_alu instid0(VALU_DEP_1)
	v_lshl_add_u32 v6, v6, 3, v36
	ds_load_b64 v[6:7], v6
	s_wait_dscnt 0x0
	v_dual_cndmask_b32 v17, v6, v15, s14 :: v_dual_cndmask_b32 v12, v8, v10, s14
	v_cndmask_b32_e64 v13, v11, v8, s14
	v_dual_cndmask_b32 v10, v7, v14, s14 :: v_dual_cndmask_b32 v11, v16, v7, s14
	v_cndmask_b32_e64 v23, v22, v6, s14
	s_delay_alu instid0(VALU_DEP_4)
	v_cmpx_lt_u32_e64 v12, v25
	s_cbranch_execz .LBB261_235
; %bb.225:
	s_mov_b32 s0, 0
	s_mov_b32 s15, exec_lo
	v_cmpx_lt_u32_e64 v13, v24
	s_cbranch_execz .LBB261_234
; %bb.226:
	v_cmp_ne_u32_e32 vcc_lo, 1, v35
	s_cbranch_vccnz .LBB261_232
; %bb.227:
	v_mad_nc_u64_u32 v[6:7], v17, s16, s[18:19]
	v_mad_nc_u64_u32 v[8:9], v23, s16, s[18:19]
	s_mov_b32 s23, 0
	s_mov_b64 s[6:7], s[16:17]
                                        ; implicit-def: $sgpr24
                                        ; implicit-def: $sgpr25
                                        ; implicit-def: $sgpr26
                                        ; implicit-def: $sgpr27
	s_delay_alu instid0(VALU_DEP_2) | instskip(NEXT) | instid1(VALU_DEP_2)
	v_mad_u32 v7, v10, s16, v7
	v_mad_u32 v9, v11, s16, v9
	s_delay_alu instid0(VALU_DEP_2) | instskip(NEXT) | instid1(VALU_DEP_2)
	v_mad_u32 v7, v17, s17, v7
	v_mad_u32 v9, v23, s17, v9
	s_branch .LBB261_229
.LBB261_228:                            ;   in Loop: Header=BB261_229 Depth=1
	s_or_b32 exec_lo, exec_lo, s28
	s_delay_alu instid0(SALU_CYCLE_1) | instskip(NEXT) | instid1(SALU_CYCLE_1)
	s_and_b32 s28, exec_lo, s25
	s_or_b32 s23, s28, s23
	s_and_not1_b32 s27, s27, exec_lo
	s_and_b32 s0, s0, exec_lo
	s_and_not1_b32 s24, s24, exec_lo
	s_and_b32 s28, s26, exec_lo
	s_or_b32 s27, s27, s0
	s_or_b32 s24, s24, s28
	s_and_not1_b32 exec_lo, exec_lo, s23
	s_cbranch_execz .LBB261_231
.LBB261_229:                            ; =>This Inner Loop Header: Depth=1
	global_load_u8 v20, v[6:7], off
	global_load_u8 v21, v[8:9], off
	s_and_not1_b32 s26, s26, exec_lo
	s_or_b32 s25, s25, exec_lo
	s_wait_loadcnt 0x1
	v_bfe_i32 v40, v20, 0, 8
	s_wait_loadcnt 0x0
	v_bfe_i32 v41, v21, 0, 8
	v_and_b32_e32 v20, 0xff, v20
	v_and_b32_e32 v21, 0xff, v21
	s_delay_alu instid0(VALU_DEP_3) | instskip(SKIP_2) | instid1(SALU_CYCLE_1)
	v_cmp_le_i16_e32 vcc_lo, v40, v41
	v_cmp_lt_i16_e64 s0, v40, v41
	s_and_b32 s28, vcc_lo, s27
	s_or_b32 s0, s0, s28
	s_delay_alu instid0(SALU_CYCLE_1) | instskip(NEXT) | instid1(SALU_CYCLE_1)
	s_and_b32 s28, s0, exec_lo
	s_or_b32 s26, s26, s28
	s_mov_b32 s28, exec_lo
	v_cmpx_eq_u16_e64 v20, v21
	s_cbranch_execz .LBB261_228
; %bb.230:                              ;   in Loop: Header=BB261_229 Depth=1
	s_add_nc_u64 s[6:7], s[6:7], -1
	v_add_nc_u64_e32 v[6:7], 1, v[6:7]
	s_cmp_eq_u64 s[6:7], 0
	v_add_nc_u64_e32 v[8:9], 1, v[8:9]
	s_cselect_b32 s27, -1, 0
	s_and_not1_b32 s25, s25, exec_lo
	s_and_b32 s27, s27, exec_lo
	s_and_not1_b32 s26, s26, exec_lo
	s_or_b32 s25, s25, s27
                                        ; implicit-def: $sgpr27
	s_branch .LBB261_228
.LBB261_231:
	s_or_b32 exec_lo, exec_lo, s23
	s_xor_b32 s0, s24, -1
	s_branch .LBB261_233
.LBB261_232:
	s_mov_b32 s0, -1
.LBB261_233:
	s_delay_alu instid0(SALU_CYCLE_1)
	s_and_b32 s0, s0, exec_lo
.LBB261_234:
	s_or_b32 exec_lo, exec_lo, s15
	s_delay_alu instid0(SALU_CYCLE_1)
	s_or_not1_b32 s15, s0, exec_lo
.LBB261_235:
	s_or_b32 exec_lo, exec_lo, s22
	v_dual_cndmask_b32 v6, v12, v13, s15 :: v_dual_cndmask_b32 v7, v25, v24, s15
	s_mov_b32 s23, -1
	s_mov_b32 s22, -1
	s_mov_b32 s24, exec_lo
	s_delay_alu instid0(VALU_DEP_1) | instskip(NEXT) | instid1(VALU_DEP_1)
	v_add_nc_u32_e32 v8, 1, v6
	v_add_min_u32_e64 v6, v7, -1, v8
	s_delay_alu instid0(VALU_DEP_1)
	v_lshl_add_u32 v6, v6, 3, v36
	ds_load_b64 v[6:7], v6
	s_wait_dscnt 0x0
	v_dual_cndmask_b32 v40, v6, v17, s15 :: v_dual_cndmask_b32 v20, v8, v12, s15
	v_dual_cndmask_b32 v12, v7, v10, s15 :: v_dual_cndmask_b32 v21, v13, v8, s15
	v_cndmask_b32_e64 v13, v11, v7, s15
	v_cndmask_b32_e64 v41, v23, v6, s15
	s_delay_alu instid0(VALU_DEP_4)
	v_cmpx_lt_u32_e64 v20, v25
	s_cbranch_execz .LBB261_246
; %bb.236:
	s_mov_b32 s0, 0
	s_mov_b32 s22, exec_lo
	v_cmpx_lt_u32_e64 v21, v24
	s_cbranch_execz .LBB261_245
; %bb.237:
	v_cmp_ne_u32_e32 vcc_lo, 1, v35
	s_cbranch_vccnz .LBB261_243
; %bb.238:
	v_mad_nc_u64_u32 v[6:7], v40, s16, s[18:19]
	v_mad_nc_u64_u32 v[8:9], v41, s16, s[18:19]
	s_mov_b32 s25, 0
	s_mov_b64 s[6:7], s[16:17]
                                        ; implicit-def: $sgpr26
                                        ; implicit-def: $sgpr27
                                        ; implicit-def: $sgpr28
                                        ; implicit-def: $sgpr29
	s_delay_alu instid0(VALU_DEP_2) | instskip(NEXT) | instid1(VALU_DEP_2)
	v_mad_u32 v7, v12, s16, v7
	v_mad_u32 v9, v13, s16, v9
	s_delay_alu instid0(VALU_DEP_2) | instskip(NEXT) | instid1(VALU_DEP_2)
	v_mad_u32 v7, v40, s17, v7
	v_mad_u32 v9, v41, s17, v9
	s_branch .LBB261_240
.LBB261_239:                            ;   in Loop: Header=BB261_240 Depth=1
	s_or_b32 exec_lo, exec_lo, s30
	s_delay_alu instid0(SALU_CYCLE_1) | instskip(NEXT) | instid1(SALU_CYCLE_1)
	s_and_b32 s30, exec_lo, s27
	s_or_b32 s25, s30, s25
	s_and_not1_b32 s29, s29, exec_lo
	s_and_b32 s0, s0, exec_lo
	s_and_not1_b32 s26, s26, exec_lo
	s_and_b32 s30, s28, exec_lo
	s_or_b32 s29, s29, s0
	s_or_b32 s26, s26, s30
	s_and_not1_b32 exec_lo, exec_lo, s25
	s_cbranch_execz .LBB261_242
.LBB261_240:                            ; =>This Inner Loop Header: Depth=1
	global_load_u8 v42, v[6:7], off
	global_load_u8 v43, v[8:9], off
	s_and_not1_b32 s28, s28, exec_lo
	s_or_b32 s27, s27, exec_lo
	s_wait_loadcnt 0x1
	v_bfe_i32 v44, v42, 0, 8
	s_wait_loadcnt 0x0
	v_bfe_i32 v45, v43, 0, 8
	v_and_b32_e32 v42, 0xff, v42
	v_and_b32_e32 v43, 0xff, v43
	s_delay_alu instid0(VALU_DEP_3) | instskip(SKIP_2) | instid1(SALU_CYCLE_1)
	v_cmp_le_i16_e32 vcc_lo, v44, v45
	v_cmp_lt_i16_e64 s0, v44, v45
	s_and_b32 s30, vcc_lo, s29
	s_or_b32 s0, s0, s30
	s_delay_alu instid0(SALU_CYCLE_1) | instskip(NEXT) | instid1(SALU_CYCLE_1)
	s_and_b32 s30, s0, exec_lo
	s_or_b32 s28, s28, s30
	s_mov_b32 s30, exec_lo
	v_cmpx_eq_u16_e64 v42, v43
	s_cbranch_execz .LBB261_239
; %bb.241:                              ;   in Loop: Header=BB261_240 Depth=1
	s_add_nc_u64 s[6:7], s[6:7], -1
	v_add_nc_u64_e32 v[6:7], 1, v[6:7]
	s_cmp_eq_u64 s[6:7], 0
	v_add_nc_u64_e32 v[8:9], 1, v[8:9]
	s_cselect_b32 s29, -1, 0
	s_and_not1_b32 s27, s27, exec_lo
	s_and_b32 s29, s29, exec_lo
	s_and_not1_b32 s28, s28, exec_lo
	s_or_b32 s27, s27, s29
                                        ; implicit-def: $sgpr29
	s_branch .LBB261_239
.LBB261_242:
	s_or_b32 exec_lo, exec_lo, s25
	s_xor_b32 s0, s26, -1
	s_branch .LBB261_244
.LBB261_243:
	s_mov_b32 s0, -1
.LBB261_244:
	s_delay_alu instid0(SALU_CYCLE_1)
	s_and_b32 s0, s0, exec_lo
.LBB261_245:
	s_or_b32 exec_lo, exec_lo, s22
	s_delay_alu instid0(SALU_CYCLE_1)
	s_or_not1_b32 s22, s0, exec_lo
.LBB261_246:
	s_or_b32 exec_lo, exec_lo, s24
	v_dual_cndmask_b32 v6, v20, v21, s22 :: v_dual_cndmask_b32 v7, v25, v24, s22
	s_mov_b32 s24, exec_lo
	s_delay_alu instid0(VALU_DEP_1) | instskip(NEXT) | instid1(VALU_DEP_1)
	v_add_nc_u32_e32 v8, 1, v6
	v_add_min_u32_e64 v6, v7, -1, v8
	s_delay_alu instid0(VALU_DEP_1)
	v_lshl_add_u32 v6, v6, 3, v36
	ds_load_b64 v[6:7], v6
	s_wait_dscnt 0x0
	v_cndmask_b32_e64 v42, v7, v12, s22
	v_dual_cndmask_b32 v20, v8, v20, s22 :: v_dual_cndmask_b32 v44, v13, v7, s22
	v_cndmask_b32_e64 v21, v21, v8, s22
	v_dual_cndmask_b32 v43, v6, v40, s22 :: v_dual_cndmask_b32 v45, v41, v6, s22
	s_delay_alu instid0(VALU_DEP_3)
	v_cmpx_lt_u32_e64 v20, v25
	s_cbranch_execz .LBB261_257
; %bb.247:
	s_mov_b32 s0, 0
	s_mov_b32 s23, exec_lo
	v_cmpx_lt_u32_e64 v21, v24
	s_cbranch_execz .LBB261_256
; %bb.248:
	v_cmp_ne_u32_e32 vcc_lo, 1, v35
	s_cbranch_vccnz .LBB261_254
; %bb.249:
	v_mad_nc_u64_u32 v[6:7], v43, s16, s[18:19]
	v_mad_nc_u64_u32 v[8:9], v45, s16, s[18:19]
	s_mov_b32 s25, 0
	s_mov_b64 s[6:7], s[16:17]
                                        ; implicit-def: $sgpr26
                                        ; implicit-def: $sgpr27
                                        ; implicit-def: $sgpr28
                                        ; implicit-def: $sgpr29
	s_delay_alu instid0(VALU_DEP_2) | instskip(NEXT) | instid1(VALU_DEP_2)
	v_mad_u32 v7, v42, s16, v7
	v_mad_u32 v9, v44, s16, v9
	s_delay_alu instid0(VALU_DEP_2) | instskip(NEXT) | instid1(VALU_DEP_2)
	v_mad_u32 v7, v43, s17, v7
	v_mad_u32 v9, v45, s17, v9
	s_branch .LBB261_251
.LBB261_250:                            ;   in Loop: Header=BB261_251 Depth=1
	s_or_b32 exec_lo, exec_lo, s30
	s_delay_alu instid0(SALU_CYCLE_1) | instskip(NEXT) | instid1(SALU_CYCLE_1)
	s_and_b32 s30, exec_lo, s27
	s_or_b32 s25, s30, s25
	s_and_not1_b32 s29, s29, exec_lo
	s_and_b32 s0, s0, exec_lo
	s_and_not1_b32 s26, s26, exec_lo
	s_and_b32 s30, s28, exec_lo
	s_or_b32 s29, s29, s0
	s_or_b32 s26, s26, s30
	s_and_not1_b32 exec_lo, exec_lo, s25
	s_cbranch_execz .LBB261_253
.LBB261_251:                            ; =>This Inner Loop Header: Depth=1
	global_load_u8 v46, v[6:7], off
	global_load_u8 v47, v[8:9], off
	s_and_not1_b32 s28, s28, exec_lo
	s_or_b32 s27, s27, exec_lo
	s_wait_loadcnt 0x1
	v_bfe_i32 v48, v46, 0, 8
	s_wait_loadcnt 0x0
	v_bfe_i32 v49, v47, 0, 8
	v_and_b32_e32 v46, 0xff, v46
	v_and_b32_e32 v47, 0xff, v47
	s_delay_alu instid0(VALU_DEP_3) | instskip(SKIP_2) | instid1(SALU_CYCLE_1)
	v_cmp_le_i16_e32 vcc_lo, v48, v49
	v_cmp_lt_i16_e64 s0, v48, v49
	s_and_b32 s30, vcc_lo, s29
	s_or_b32 s0, s0, s30
	s_delay_alu instid0(SALU_CYCLE_1) | instskip(NEXT) | instid1(SALU_CYCLE_1)
	s_and_b32 s30, s0, exec_lo
	s_or_b32 s28, s28, s30
	s_mov_b32 s30, exec_lo
	v_cmpx_eq_u16_e64 v46, v47
	s_cbranch_execz .LBB261_250
; %bb.252:                              ;   in Loop: Header=BB261_251 Depth=1
	s_add_nc_u64 s[6:7], s[6:7], -1
	v_add_nc_u64_e32 v[6:7], 1, v[6:7]
	s_cmp_eq_u64 s[6:7], 0
	v_add_nc_u64_e32 v[8:9], 1, v[8:9]
	s_cselect_b32 s29, -1, 0
	s_and_not1_b32 s27, s27, exec_lo
	s_and_b32 s29, s29, exec_lo
	s_and_not1_b32 s28, s28, exec_lo
	s_or_b32 s27, s27, s29
                                        ; implicit-def: $sgpr29
	s_branch .LBB261_250
.LBB261_253:
	s_or_b32 exec_lo, exec_lo, s25
	s_xor_b32 s0, s26, -1
	s_branch .LBB261_255
.LBB261_254:
	s_mov_b32 s0, -1
.LBB261_255:
	s_delay_alu instid0(SALU_CYCLE_1)
	s_and_b32 s0, s0, exec_lo
.LBB261_256:
	s_or_b32 exec_lo, exec_lo, s23
	s_delay_alu instid0(SALU_CYCLE_1)
	s_or_not1_b32 s23, s0, exec_lo
.LBB261_257:
	s_or_b32 exec_lo, exec_lo, s24
	v_dual_cndmask_b32 v6, v20, v21, s23 :: v_dual_cndmask_b32 v7, v25, v24, s23
	s_mov_b32 s24, -1
	s_mov_b32 s25, -1
	s_mov_b32 s26, exec_lo
	s_delay_alu instid0(VALU_DEP_1) | instskip(NEXT) | instid1(VALU_DEP_1)
	v_add_nc_u32_e32 v8, 1, v6
	v_add_min_u32_e64 v6, v7, -1, v8
	s_delay_alu instid0(VALU_DEP_1)
	v_lshl_add_u32 v6, v6, 3, v36
	ds_load_b64 v[6:7], v6
	s_wait_dscnt 0x0
	v_dual_cndmask_b32 v46, v7, v42, s23 :: v_dual_cndmask_b32 v47, v6, v43, s23
	v_cndmask_b32_e64 v20, v8, v20, s23
	v_dual_cndmask_b32 v21, v21, v8, s23 :: v_dual_cndmask_b32 v48, v44, v7, s23
	v_cndmask_b32_e64 v49, v45, v6, s23
	s_delay_alu instid0(VALU_DEP_3)
	v_cmpx_lt_u32_e64 v20, v25
	s_cbranch_execz .LBB261_268
; %bb.258:
	s_mov_b32 s0, 0
	s_mov_b32 s25, exec_lo
	v_cmpx_lt_u32_e64 v21, v24
	s_cbranch_execz .LBB261_267
; %bb.259:
	v_cmp_ne_u32_e32 vcc_lo, 1, v35
	s_cbranch_vccnz .LBB261_265
; %bb.260:
	v_mad_nc_u64_u32 v[6:7], v47, s16, s[18:19]
	v_mad_nc_u64_u32 v[8:9], v49, s16, s[18:19]
	s_mov_b32 s27, 0
	s_mov_b64 s[6:7], s[16:17]
                                        ; implicit-def: $sgpr28
                                        ; implicit-def: $sgpr29
                                        ; implicit-def: $sgpr30
                                        ; implicit-def: $sgpr31
	s_delay_alu instid0(VALU_DEP_2) | instskip(NEXT) | instid1(VALU_DEP_2)
	v_mad_u32 v7, v46, s16, v7
	v_mad_u32 v9, v48, s16, v9
	s_delay_alu instid0(VALU_DEP_2) | instskip(NEXT) | instid1(VALU_DEP_2)
	v_mad_u32 v7, v47, s17, v7
	v_mad_u32 v9, v49, s17, v9
	s_branch .LBB261_262
.LBB261_261:                            ;   in Loop: Header=BB261_262 Depth=1
	s_or_b32 exec_lo, exec_lo, s33
	s_delay_alu instid0(SALU_CYCLE_1) | instskip(NEXT) | instid1(SALU_CYCLE_1)
	s_and_b32 s33, exec_lo, s29
	s_or_b32 s27, s33, s27
	s_and_not1_b32 s31, s31, exec_lo
	s_and_b32 s0, s0, exec_lo
	s_and_not1_b32 s28, s28, exec_lo
	s_and_b32 s33, s30, exec_lo
	s_or_b32 s31, s31, s0
	s_or_b32 s28, s28, s33
	s_and_not1_b32 exec_lo, exec_lo, s27
	s_cbranch_execz .LBB261_264
.LBB261_262:                            ; =>This Inner Loop Header: Depth=1
	global_load_u8 v50, v[6:7], off
	global_load_u8 v51, v[8:9], off
	s_and_not1_b32 s30, s30, exec_lo
	s_or_b32 s29, s29, exec_lo
	s_wait_loadcnt 0x1
	v_bfe_i32 v52, v50, 0, 8
	s_wait_loadcnt 0x0
	v_bfe_i32 v53, v51, 0, 8
	v_and_b32_e32 v50, 0xff, v50
	v_and_b32_e32 v51, 0xff, v51
	s_delay_alu instid0(VALU_DEP_3) | instskip(SKIP_2) | instid1(SALU_CYCLE_1)
	v_cmp_le_i16_e32 vcc_lo, v52, v53
	v_cmp_lt_i16_e64 s0, v52, v53
	s_and_b32 s33, vcc_lo, s31
	s_or_b32 s0, s0, s33
	s_delay_alu instid0(SALU_CYCLE_1) | instskip(NEXT) | instid1(SALU_CYCLE_1)
	s_and_b32 s33, s0, exec_lo
	s_or_b32 s30, s30, s33
	s_mov_b32 s33, exec_lo
	v_cmpx_eq_u16_e64 v50, v51
	s_cbranch_execz .LBB261_261
; %bb.263:                              ;   in Loop: Header=BB261_262 Depth=1
	s_add_nc_u64 s[6:7], s[6:7], -1
	v_add_nc_u64_e32 v[6:7], 1, v[6:7]
	s_cmp_eq_u64 s[6:7], 0
	v_add_nc_u64_e32 v[8:9], 1, v[8:9]
	s_cselect_b32 s31, -1, 0
	s_and_not1_b32 s29, s29, exec_lo
	s_and_b32 s31, s31, exec_lo
	s_and_not1_b32 s30, s30, exec_lo
	s_or_b32 s29, s29, s31
                                        ; implicit-def: $sgpr31
	s_branch .LBB261_261
.LBB261_264:
	s_or_b32 exec_lo, exec_lo, s27
	s_xor_b32 s0, s28, -1
	s_branch .LBB261_266
.LBB261_265:
	s_mov_b32 s0, -1
.LBB261_266:
	s_delay_alu instid0(SALU_CYCLE_1)
	s_and_b32 s0, s0, exec_lo
.LBB261_267:
	s_or_b32 exec_lo, exec_lo, s25
	s_delay_alu instid0(SALU_CYCLE_1)
	s_or_not1_b32 s25, s0, exec_lo
.LBB261_268:
	s_or_b32 exec_lo, exec_lo, s26
	v_dual_cndmask_b32 v6, v20, v21, s25 :: v_dual_cndmask_b32 v7, v25, v24, s25
	s_mov_b32 s26, exec_lo
	s_delay_alu instid0(VALU_DEP_1) | instskip(NEXT) | instid1(VALU_DEP_1)
	v_add_nc_u32_e32 v8, 1, v6
	v_add_min_u32_e64 v6, v7, -1, v8
	s_delay_alu instid0(VALU_DEP_1)
	v_lshl_add_u32 v6, v6, 3, v36
	ds_load_b64 v[6:7], v6
	s_wait_dscnt 0x0
	v_dual_cndmask_b32 v51, v7, v46, s25 :: v_dual_cndmask_b32 v52, v6, v47, s25
	v_cndmask_b32_e64 v53, v8, v20, s25
	v_dual_cndmask_b32 v50, v21, v8, s25 :: v_dual_cndmask_b32 v54, v48, v7, s25
	v_cndmask_b32_e64 v55, v49, v6, s25
	s_delay_alu instid0(VALU_DEP_3)
	v_cmpx_lt_u32_e64 v53, v25
	s_cbranch_execz .LBB261_279
; %bb.269:
	s_mov_b32 s0, 0
	s_mov_b32 s24, exec_lo
	v_cmpx_lt_u32_e64 v50, v24
	s_cbranch_execz .LBB261_278
; %bb.270:
	v_cmp_ne_u32_e32 vcc_lo, 1, v35
	s_cbranch_vccnz .LBB261_276
; %bb.271:
	v_mad_nc_u64_u32 v[6:7], v52, s16, s[18:19]
	v_mad_nc_u64_u32 v[8:9], v55, s16, s[18:19]
	s_mov_b32 s27, 0
	s_mov_b64 s[6:7], s[16:17]
                                        ; implicit-def: $sgpr28
                                        ; implicit-def: $sgpr29
                                        ; implicit-def: $sgpr30
                                        ; implicit-def: $sgpr31
	s_delay_alu instid0(VALU_DEP_2) | instskip(NEXT) | instid1(VALU_DEP_2)
	v_mad_u32 v7, v51, s16, v7
	v_mad_u32 v9, v54, s16, v9
	s_delay_alu instid0(VALU_DEP_2) | instskip(NEXT) | instid1(VALU_DEP_2)
	v_mad_u32 v7, v52, s17, v7
	v_mad_u32 v9, v55, s17, v9
	s_branch .LBB261_273
.LBB261_272:                            ;   in Loop: Header=BB261_273 Depth=1
	s_or_b32 exec_lo, exec_lo, s33
	s_delay_alu instid0(SALU_CYCLE_1) | instskip(NEXT) | instid1(SALU_CYCLE_1)
	s_and_b32 s33, exec_lo, s29
	s_or_b32 s27, s33, s27
	s_and_not1_b32 s31, s31, exec_lo
	s_and_b32 s0, s0, exec_lo
	s_and_not1_b32 s28, s28, exec_lo
	s_and_b32 s33, s30, exec_lo
	s_or_b32 s31, s31, s0
	s_or_b32 s28, s28, s33
	s_and_not1_b32 exec_lo, exec_lo, s27
	s_cbranch_execz .LBB261_275
.LBB261_273:                            ; =>This Inner Loop Header: Depth=1
	global_load_u8 v20, v[6:7], off
	global_load_u8 v21, v[8:9], off
	s_and_not1_b32 s30, s30, exec_lo
	s_or_b32 s29, s29, exec_lo
	s_wait_loadcnt 0x1
	v_bfe_i32 v56, v20, 0, 8
	s_wait_loadcnt 0x0
	v_bfe_i32 v57, v21, 0, 8
	v_and_b32_e32 v20, 0xff, v20
	v_and_b32_e32 v21, 0xff, v21
	s_delay_alu instid0(VALU_DEP_3) | instskip(SKIP_2) | instid1(SALU_CYCLE_1)
	v_cmp_le_i16_e32 vcc_lo, v56, v57
	v_cmp_lt_i16_e64 s0, v56, v57
	s_and_b32 s33, vcc_lo, s31
	s_or_b32 s0, s0, s33
	s_delay_alu instid0(SALU_CYCLE_1) | instskip(NEXT) | instid1(SALU_CYCLE_1)
	s_and_b32 s33, s0, exec_lo
	s_or_b32 s30, s30, s33
	s_mov_b32 s33, exec_lo
	v_cmpx_eq_u16_e64 v20, v21
	s_cbranch_execz .LBB261_272
; %bb.274:                              ;   in Loop: Header=BB261_273 Depth=1
	s_add_nc_u64 s[6:7], s[6:7], -1
	v_add_nc_u64_e32 v[6:7], 1, v[6:7]
	s_cmp_eq_u64 s[6:7], 0
	v_add_nc_u64_e32 v[8:9], 1, v[8:9]
	s_cselect_b32 s31, -1, 0
	s_and_not1_b32 s29, s29, exec_lo
	s_and_b32 s31, s31, exec_lo
	s_and_not1_b32 s30, s30, exec_lo
	s_or_b32 s29, s29, s31
                                        ; implicit-def: $sgpr31
	s_branch .LBB261_272
.LBB261_275:
	s_or_b32 exec_lo, exec_lo, s27
	s_xor_b32 s0, s28, -1
	s_branch .LBB261_277
.LBB261_276:
	s_mov_b32 s0, -1
.LBB261_277:
	s_delay_alu instid0(SALU_CYCLE_1)
	s_and_b32 s0, s0, exec_lo
.LBB261_278:
	s_or_b32 exec_lo, exec_lo, s24
	s_delay_alu instid0(SALU_CYCLE_1)
	s_or_not1_b32 s24, s0, exec_lo
.LBB261_279:
	s_or_b32 exec_lo, exec_lo, s26
	v_dual_cndmask_b32 v6, v53, v50, s24 :: v_dual_cndmask_b32 v9, v46, v48, s25
	v_dual_cndmask_b32 v7, v25, v24, s24 :: v_dual_cndmask_b32 v8, v47, v49, s25
	s_delay_alu instid0(VALU_DEP_2) | instskip(SKIP_2) | instid1(VALU_DEP_3)
	v_dual_cndmask_b32 v13, v12, v13, s22 :: v_dual_add_nc_u32 v56, 1, v6
	v_dual_cndmask_b32 v12, v40, v41, s22 :: v_dual_cndmask_b32 v11, v10, v11, s15
	v_dual_cndmask_b32 v10, v17, v23, s15 :: v_dual_cndmask_b32 v17, v14, v16, s14
	v_add_min_u32_e64 v6, v7, -1, v56
	v_dual_cndmask_b32 v7, v42, v44, s23 :: v_dual_cndmask_b32 v16, v15, v22, s14
	v_dual_cndmask_b32 v15, v5, v3, s5 :: v_dual_cndmask_b32 v22, v56, v53, s24
	v_cndmask_b32_e64 v3, v51, v54, s24
	s_delay_alu instid0(VALU_DEP_4)
	v_lshl_add_u32 v6, v6, 3, v36
	ds_load_b64 v[20:21], v6
	v_dual_cndmask_b32 v6, v43, v45, s23 :: v_dual_cndmask_b32 v14, v4, v2, s5
	v_cndmask_b32_e64 v2, v52, v55, s24
	s_mov_b32 s5, exec_lo
	s_wait_dscnt 0x0
	v_dual_cndmask_b32 v5, v54, v21, s24 :: v_dual_cndmask_b32 v4, v55, v20, s24
	v_cmpx_lt_u32_e64 v22, v25
	s_cbranch_execz .LBB261_289
; %bb.280:
	v_dual_cndmask_b32 v22, v50, v56, s24 :: v_dual_cndmask_b32 v21, v21, v51, s24
	v_cndmask_b32_e64 v20, v20, v52, s24
	s_mov_b32 s14, exec_lo
	s_delay_alu instid0(VALU_DEP_2)
	v_cmpx_lt_u32_e64 v22, v24
	s_cbranch_execz .LBB261_288
; %bb.281:
	v_cmp_ne_u32_e32 vcc_lo, 1, v35
	s_cbranch_vccnz .LBB261_287
; %bb.282:
	v_mad_nc_u64_u32 v[22:23], v20, s16, s[18:19]
	v_mad_nc_u64_u32 v[24:25], v4, s16, s[18:19]
	s_mov_b32 s15, 0
	s_mov_b64 s[6:7], s[16:17]
                                        ; implicit-def: $sgpr22
                                        ; implicit-def: $sgpr23
                                        ; implicit-def: $sgpr24
                                        ; implicit-def: $sgpr25
	s_delay_alu instid0(VALU_DEP_2) | instskip(NEXT) | instid1(VALU_DEP_2)
	v_mad_u32 v23, v21, s16, v23
	v_mad_u32 v25, v5, s16, v25
	s_delay_alu instid0(VALU_DEP_2) | instskip(NEXT) | instid1(VALU_DEP_2)
	v_mad_u32 v23, v20, s17, v23
	v_mad_u32 v25, v4, s17, v25
	s_branch .LBB261_284
.LBB261_283:                            ;   in Loop: Header=BB261_284 Depth=1
	s_or_b32 exec_lo, exec_lo, s26
	s_delay_alu instid0(SALU_CYCLE_1) | instskip(NEXT) | instid1(SALU_CYCLE_1)
	s_and_b32 s26, exec_lo, s23
	s_or_b32 s15, s26, s15
	s_and_not1_b32 s25, s25, exec_lo
	s_and_b32 s0, s0, exec_lo
	s_and_not1_b32 s22, s22, exec_lo
	s_and_b32 s26, s24, exec_lo
	s_or_b32 s25, s25, s0
	s_or_b32 s22, s22, s26
	s_and_not1_b32 exec_lo, exec_lo, s15
	s_cbranch_execz .LBB261_286
.LBB261_284:                            ; =>This Inner Loop Header: Depth=1
	global_load_u8 v40, v[22:23], off
	global_load_u8 v41, v[24:25], off
	s_and_not1_b32 s24, s24, exec_lo
	s_or_b32 s23, s23, exec_lo
	s_wait_loadcnt 0x1
	v_bfe_i32 v42, v40, 0, 8
	s_wait_loadcnt 0x0
	v_bfe_i32 v43, v41, 0, 8
	v_and_b32_e32 v40, 0xff, v40
	v_and_b32_e32 v41, 0xff, v41
	s_delay_alu instid0(VALU_DEP_3) | instskip(SKIP_2) | instid1(SALU_CYCLE_1)
	v_cmp_le_i16_e32 vcc_lo, v42, v43
	v_cmp_lt_i16_e64 s0, v42, v43
	s_and_b32 s26, vcc_lo, s25
	s_or_b32 s0, s0, s26
	s_delay_alu instid0(SALU_CYCLE_1) | instskip(NEXT) | instid1(SALU_CYCLE_1)
	s_and_b32 s26, s0, exec_lo
	s_or_b32 s24, s24, s26
	s_mov_b32 s26, exec_lo
	v_cmpx_eq_u16_e64 v40, v41
	s_cbranch_execz .LBB261_283
; %bb.285:                              ;   in Loop: Header=BB261_284 Depth=1
	s_add_nc_u64 s[6:7], s[6:7], -1
	v_add_nc_u64_e32 v[22:23], 1, v[22:23]
	s_cmp_eq_u64 s[6:7], 0
	v_add_nc_u64_e32 v[24:25], 1, v[24:25]
	s_cselect_b32 s25, -1, 0
	s_and_not1_b32 s23, s23, exec_lo
	s_and_b32 s25, s25, exec_lo
	s_and_not1_b32 s24, s24, exec_lo
	s_or_b32 s23, s23, s25
                                        ; implicit-def: $sgpr25
	s_branch .LBB261_283
.LBB261_286:
	s_or_b32 exec_lo, exec_lo, s15
	v_dual_cndmask_b32 v5, v5, v21, s22 :: v_dual_cndmask_b32 v4, v4, v20, s22
.LBB261_287:
	s_delay_alu instid0(VALU_DEP_1)
	v_mov_b64_e32 v[20:21], v[4:5]
.LBB261_288:
	s_or_b32 exec_lo, exec_lo, s14
	s_delay_alu instid0(VALU_DEP_1)
	v_mov_b64_e32 v[4:5], v[20:21]
.LBB261_289:
	s_or_b32 exec_lo, exec_lo, s5
.LBB261_290:
	s_delay_alu instid0(SALU_CYCLE_1)
	s_or_b32 exec_lo, exec_lo, s1
	v_and_b32_e32 v42, 0xe0, v38
	s_mov_b32 s1, exec_lo
	; wave barrier
	ds_store_b128 v39, v[14:17]
	ds_store_b128 v39, v[10:13] offset:16
	v_or_b32_e32 v20, 16, v42
	v_lshl_add_u32 v41, v42, 3, v36
	ds_store_b128 v39, v[6:9] offset:32
	ds_store_b128 v39, v[2:5] offset:48
	; wave barrier
	v_min_u32_e32 v24, v37, v20
	v_and_b32_e32 v20, 24, v38
	s_delay_alu instid0(VALU_DEP_2) | instskip(NEXT) | instid1(VALU_DEP_2)
	v_add_min_u32_e64 v25, v24, 16, v37
	v_min_u32_e32 v43, v37, v20
	s_delay_alu instid0(VALU_DEP_2) | instskip(NEXT) | instid1(VALU_DEP_1)
	v_dual_sub_nc_u32 v21, v24, v42 :: v_dual_sub_nc_u32 v20, v25, v24
	v_min_u32_e32 v44, v43, v21
	s_delay_alu instid0(VALU_DEP_2) | instskip(NEXT) | instid1(VALU_DEP_1)
	v_sub_nc_u32_e64 v40, v43, v20 clamp
	v_cmpx_lt_u32_e64 v40, v44
	s_cbranch_execz .LBB261_300
; %bb.291:
	v_dual_lshlrev_b32 v20, 3, v24 :: v_dual_lshlrev_b32 v21, 3, v43
	s_mov_b32 s5, 0
	s_delay_alu instid0(VALU_DEP_1)
	v_add3_u32 v45, v36, v20, v21
	s_branch .LBB261_294
.LBB261_292:                            ;   in Loop: Header=BB261_294 Depth=1
	s_or_b32 exec_lo, exec_lo, s15
.LBB261_293:                            ;   in Loop: Header=BB261_294 Depth=1
	s_delay_alu instid0(VALU_DEP_1) | instskip(NEXT) | instid1(VALU_DEP_1)
	v_dual_add_nc_u32 v20, 1, v46 :: v_dual_cndmask_b32 v44, v44, v46, s14
	v_cndmask_b32_e64 v40, v20, v40, s14
	s_delay_alu instid0(VALU_DEP_1) | instskip(SKIP_1) | instid1(SALU_CYCLE_1)
	v_cmp_ge_u32_e32 vcc_lo, v40, v44
	s_or_b32 s5, vcc_lo, s5
	s_and_not1_b32 exec_lo, exec_lo, s5
	s_cbranch_execz .LBB261_299
.LBB261_294:                            ; =>This Loop Header: Depth=1
                                        ;     Child Loop BB261_297 Depth 2
	v_add_nc_u32_e32 v20, v44, v40
	v_cmp_ne_u32_e32 vcc_lo, 1, v35
	s_mov_b32 s14, 0
	s_delay_alu instid0(VALU_DEP_2)
	v_lshrrev_b32_e32 v46, 1, v20
	s_cbranch_vccnz .LBB261_293
; %bb.295:                              ;   in Loop: Header=BB261_294 Depth=1
	s_delay_alu instid0(VALU_DEP_1) | instskip(SKIP_3) | instid1(VALU_DEP_2)
	v_not_b32_e32 v20, v46
	v_lshl_add_u32 v21, v46, 3, v41
	s_mov_b32 s15, 0
	s_mov_b64 s[6:7], s[16:17]
                                        ; implicit-def: $sgpr14
                                        ; implicit-def: $sgpr22
                                        ; implicit-def: $sgpr23
                                        ; implicit-def: $sgpr24
	v_lshl_add_u32 v20, v20, 3, v45
	ds_load_b64 v[48:49], v20
	ds_load_b64 v[50:51], v21
	s_wait_dscnt 0x1
	v_mad_nc_u64_u32 v[20:21], v48, s16, s[18:19]
	s_wait_dscnt 0x0
	v_mad_nc_u64_u32 v[22:23], v50, s16, s[18:19]
	s_delay_alu instid0(VALU_DEP_2) | instskip(NEXT) | instid1(VALU_DEP_2)
	v_mad_u32 v21, v49, s16, v21
	v_mad_u32 v23, v51, s16, v23
	s_delay_alu instid0(VALU_DEP_2) | instskip(NEXT) | instid1(VALU_DEP_2)
	v_mad_u32 v21, v48, s17, v21
	v_mad_u32 v23, v50, s17, v23
	s_branch .LBB261_297
.LBB261_296:                            ;   in Loop: Header=BB261_297 Depth=2
	s_or_b32 exec_lo, exec_lo, s25
	s_delay_alu instid0(SALU_CYCLE_1) | instskip(NEXT) | instid1(SALU_CYCLE_1)
	s_and_b32 s25, exec_lo, s22
	s_or_b32 s15, s25, s15
	s_and_not1_b32 s24, s24, exec_lo
	s_and_b32 s0, s0, exec_lo
	s_and_not1_b32 s14, s14, exec_lo
	s_and_b32 s25, s23, exec_lo
	s_or_b32 s24, s24, s0
	s_or_b32 s14, s14, s25
	s_and_not1_b32 exec_lo, exec_lo, s15
	s_cbranch_execz .LBB261_292
.LBB261_297:                            ;   Parent Loop BB261_294 Depth=1
                                        ; =>  This Inner Loop Header: Depth=2
	global_load_u8 v47, v[20:21], off
	global_load_u8 v48, v[22:23], off
	s_and_not1_b32 s23, s23, exec_lo
	s_or_b32 s22, s22, exec_lo
	s_wait_loadcnt 0x1
	v_bfe_i32 v49, v47, 0, 8
	s_wait_loadcnt 0x0
	v_bfe_i32 v50, v48, 0, 8
	v_and_b32_e32 v47, 0xff, v47
	v_and_b32_e32 v48, 0xff, v48
	s_delay_alu instid0(VALU_DEP_3) | instskip(SKIP_2) | instid1(SALU_CYCLE_1)
	v_cmp_le_i16_e32 vcc_lo, v49, v50
	v_cmp_lt_i16_e64 s0, v49, v50
	s_and_b32 s25, vcc_lo, s24
	s_or_b32 s0, s0, s25
	s_delay_alu instid0(SALU_CYCLE_1) | instskip(NEXT) | instid1(SALU_CYCLE_1)
	s_and_b32 s25, s0, exec_lo
	s_or_b32 s23, s23, s25
	s_mov_b32 s25, exec_lo
	v_cmpx_eq_u16_e64 v47, v48
	s_cbranch_execz .LBB261_296
; %bb.298:                              ;   in Loop: Header=BB261_297 Depth=2
	s_add_nc_u64 s[6:7], s[6:7], -1
	v_add_nc_u64_e32 v[20:21], 1, v[20:21]
	s_cmp_eq_u64 s[6:7], 0
	v_add_nc_u64_e32 v[22:23], 1, v[22:23]
	s_cselect_b32 s24, -1, 0
	s_and_not1_b32 s22, s22, exec_lo
	s_and_b32 s24, s24, exec_lo
	s_and_not1_b32 s23, s23, exec_lo
	s_or_b32 s22, s22, s24
                                        ; implicit-def: $sgpr24
	s_branch .LBB261_296
.LBB261_299:
	s_or_b32 exec_lo, exec_lo, s5
.LBB261_300:
	s_delay_alu instid0(SALU_CYCLE_1) | instskip(SKIP_1) | instid1(VALU_DEP_1)
	s_or_b32 exec_lo, exec_lo, s1
	v_add_nc_u32_e32 v21, v24, v43
	v_dual_add_nc_u32 v20, v40, v42 :: v_dual_sub_nc_u32 v21, v21, v40
	s_delay_alu instid0(VALU_DEP_1) | instskip(NEXT) | instid1(VALU_DEP_2)
	v_cmp_le_u32_e32 vcc_lo, v20, v24
	v_cmp_le_u32_e64 s0, v21, v25
	s_or_b32 s0, vcc_lo, s0
	s_delay_alu instid0(SALU_CYCLE_1)
	s_and_saveexec_b32 s1, s0
	s_cbranch_execz .LBB261_391
; %bb.301:
	s_mov_b32 s5, exec_lo
	v_cmp_ge_u32_e32 vcc_lo, v20, v24
                                        ; implicit-def: $vgpr2_vgpr3
	v_cmpx_lt_u32_e64 v20, v24
; %bb.302:
	v_lshl_add_u32 v2, v40, 3, v41
	ds_load_b64 v[2:3], v2
; %bb.303:
	s_or_b32 exec_lo, exec_lo, s5
	v_cmp_ge_u32_e64 s5, v21, v25
	s_mov_b32 s6, exec_lo
                                        ; implicit-def: $vgpr4_vgpr5
	v_cmpx_lt_u32_e64 v21, v25
; %bb.304:
	v_lshl_add_u32 v4, v21, 3, v36
	ds_load_b64 v[4:5], v4
; %bb.305:
	s_or_b32 exec_lo, exec_lo, s6
	s_nor_b32 s0, vcc_lo, s5
	s_delay_alu instid0(SALU_CYCLE_1)
	s_and_saveexec_b32 s14, s0
	s_cbranch_execz .LBB261_314
; %bb.306:
	v_cmp_ne_u32_e32 vcc_lo, 1, v35
	s_cbranch_vccnz .LBB261_312
; %bb.307:
	s_wait_dscnt 0x0
	v_mad_nc_u64_u32 v[6:7], v4, s16, s[18:19]
	v_mad_nc_u64_u32 v[8:9], v2, s16, s[18:19]
	s_mov_b32 s15, 0
	s_mov_b64 s[6:7], s[16:17]
                                        ; implicit-def: $sgpr22
                                        ; implicit-def: $sgpr23
                                        ; implicit-def: $sgpr24
                                        ; implicit-def: $sgpr25
	s_delay_alu instid0(VALU_DEP_2) | instskip(NEXT) | instid1(VALU_DEP_2)
	v_mad_u32 v7, v5, s16, v7
	v_mad_u32 v9, v3, s16, v9
	s_delay_alu instid0(VALU_DEP_2) | instskip(NEXT) | instid1(VALU_DEP_2)
	v_mad_u32 v7, v4, s17, v7
	v_mad_u32 v9, v2, s17, v9
	s_branch .LBB261_309
.LBB261_308:                            ;   in Loop: Header=BB261_309 Depth=1
	s_or_b32 exec_lo, exec_lo, s26
	s_delay_alu instid0(SALU_CYCLE_1) | instskip(NEXT) | instid1(SALU_CYCLE_1)
	s_and_b32 s26, exec_lo, s23
	s_or_b32 s15, s26, s15
	s_and_not1_b32 s25, s25, exec_lo
	s_and_b32 s0, s0, exec_lo
	s_and_not1_b32 s22, s22, exec_lo
	s_and_b32 s26, s24, exec_lo
	s_or_b32 s25, s25, s0
	s_or_b32 s22, s22, s26
	s_and_not1_b32 exec_lo, exec_lo, s15
	s_cbranch_execz .LBB261_311
.LBB261_309:                            ; =>This Inner Loop Header: Depth=1
	global_load_u8 v10, v[6:7], off
	global_load_u8 v11, v[8:9], off
	s_and_not1_b32 s24, s24, exec_lo
	s_or_b32 s23, s23, exec_lo
	s_wait_loadcnt 0x1
	v_bfe_i32 v12, v10, 0, 8
	s_wait_loadcnt 0x0
	v_bfe_i32 v13, v11, 0, 8
	v_and_b32_e32 v10, 0xff, v10
	v_and_b32_e32 v11, 0xff, v11
	s_delay_alu instid0(VALU_DEP_3) | instskip(SKIP_2) | instid1(SALU_CYCLE_1)
	v_cmp_le_i16_e32 vcc_lo, v12, v13
	v_cmp_lt_i16_e64 s0, v12, v13
	s_and_b32 s26, vcc_lo, s25
	s_or_b32 s0, s0, s26
	s_delay_alu instid0(SALU_CYCLE_1) | instskip(NEXT) | instid1(SALU_CYCLE_1)
	s_and_b32 s26, s0, exec_lo
	s_or_b32 s24, s24, s26
	s_mov_b32 s26, exec_lo
	v_cmpx_eq_u16_e64 v10, v11
	s_cbranch_execz .LBB261_308
; %bb.310:                              ;   in Loop: Header=BB261_309 Depth=1
	s_add_nc_u64 s[6:7], s[6:7], -1
	v_add_nc_u64_e32 v[6:7], 1, v[6:7]
	s_cmp_eq_u64 s[6:7], 0
	v_add_nc_u64_e32 v[8:9], 1, v[8:9]
	s_cselect_b32 s25, -1, 0
	s_and_not1_b32 s23, s23, exec_lo
	s_and_b32 s25, s25, exec_lo
	s_and_not1_b32 s24, s24, exec_lo
	s_or_b32 s23, s23, s25
                                        ; implicit-def: $sgpr25
	s_branch .LBB261_308
.LBB261_311:
	s_or_b32 exec_lo, exec_lo, s15
	s_xor_b32 s0, s22, -1
	s_branch .LBB261_313
.LBB261_312:
	s_mov_b32 s0, -1
.LBB261_313:
	s_and_not1_b32 s5, s5, exec_lo
	s_and_b32 s0, s0, exec_lo
	s_delay_alu instid0(SALU_CYCLE_1)
	s_or_b32 s5, s5, s0
.LBB261_314:
	s_or_b32 exec_lo, exec_lo, s14
	v_cndmask_b32_e64 v6, v21, v20, s5
	v_cndmask_b32_e64 v7, v25, v24, s5
	s_mov_b32 s15, -1
	s_mov_b32 s14, -1
	s_mov_b32 s22, exec_lo
	v_add_nc_u32_e32 v8, 1, v6
	s_delay_alu instid0(VALU_DEP_1) | instskip(SKIP_1) | instid1(VALU_DEP_2)
	v_add_min_u32_e64 v6, v7, -1, v8
	v_cndmask_b32_e64 v10, v8, v21, s5
	v_lshl_add_u32 v6, v6, 3, v36
	ds_load_b64 v[6:7], v6
	s_wait_dscnt 0x0
	v_dual_cndmask_b32 v11, v20, v8, s5 :: v_dual_cndmask_b32 v14, v7, v5, s5
	v_dual_cndmask_b32 v15, v6, v4, s5 :: v_dual_cndmask_b32 v16, v3, v7, s5
	v_cndmask_b32_e64 v22, v2, v6, s5
	v_cmpx_lt_u32_e64 v10, v25
	s_cbranch_execz .LBB261_325
; %bb.315:
	s_mov_b32 s0, 0
	s_mov_b32 s14, exec_lo
	v_cmpx_lt_u32_e64 v11, v24
	s_cbranch_execz .LBB261_324
; %bb.316:
	v_cmp_ne_u32_e32 vcc_lo, 1, v35
	s_cbranch_vccnz .LBB261_322
; %bb.317:
	v_mad_nc_u64_u32 v[6:7], v15, s16, s[18:19]
	v_mad_nc_u64_u32 v[8:9], v22, s16, s[18:19]
	s_mov_b32 s23, 0
	s_mov_b64 s[6:7], s[16:17]
                                        ; implicit-def: $sgpr24
                                        ; implicit-def: $sgpr25
                                        ; implicit-def: $sgpr26
                                        ; implicit-def: $sgpr27
	s_delay_alu instid0(VALU_DEP_2) | instskip(NEXT) | instid1(VALU_DEP_2)
	v_mad_u32 v7, v14, s16, v7
	v_mad_u32 v9, v16, s16, v9
	s_delay_alu instid0(VALU_DEP_2) | instskip(NEXT) | instid1(VALU_DEP_2)
	v_mad_u32 v7, v15, s17, v7
	v_mad_u32 v9, v22, s17, v9
	s_branch .LBB261_319
.LBB261_318:                            ;   in Loop: Header=BB261_319 Depth=1
	s_or_b32 exec_lo, exec_lo, s28
	s_delay_alu instid0(SALU_CYCLE_1) | instskip(NEXT) | instid1(SALU_CYCLE_1)
	s_and_b32 s28, exec_lo, s25
	s_or_b32 s23, s28, s23
	s_and_not1_b32 s27, s27, exec_lo
	s_and_b32 s0, s0, exec_lo
	s_and_not1_b32 s24, s24, exec_lo
	s_and_b32 s28, s26, exec_lo
	s_or_b32 s27, s27, s0
	s_or_b32 s24, s24, s28
	s_and_not1_b32 exec_lo, exec_lo, s23
	s_cbranch_execz .LBB261_321
.LBB261_319:                            ; =>This Inner Loop Header: Depth=1
	global_load_u8 v12, v[6:7], off
	global_load_u8 v13, v[8:9], off
	s_and_not1_b32 s26, s26, exec_lo
	s_or_b32 s25, s25, exec_lo
	s_wait_loadcnt 0x1
	v_bfe_i32 v17, v12, 0, 8
	s_wait_loadcnt 0x0
	v_bfe_i32 v20, v13, 0, 8
	v_and_b32_e32 v12, 0xff, v12
	v_and_b32_e32 v13, 0xff, v13
	s_delay_alu instid0(VALU_DEP_3) | instskip(SKIP_2) | instid1(SALU_CYCLE_1)
	v_cmp_le_i16_e32 vcc_lo, v17, v20
	v_cmp_lt_i16_e64 s0, v17, v20
	s_and_b32 s28, vcc_lo, s27
	s_or_b32 s0, s0, s28
	s_delay_alu instid0(SALU_CYCLE_1) | instskip(NEXT) | instid1(SALU_CYCLE_1)
	s_and_b32 s28, s0, exec_lo
	s_or_b32 s26, s26, s28
	s_mov_b32 s28, exec_lo
	v_cmpx_eq_u16_e64 v12, v13
	s_cbranch_execz .LBB261_318
; %bb.320:                              ;   in Loop: Header=BB261_319 Depth=1
	s_add_nc_u64 s[6:7], s[6:7], -1
	v_add_nc_u64_e32 v[6:7], 1, v[6:7]
	s_cmp_eq_u64 s[6:7], 0
	v_add_nc_u64_e32 v[8:9], 1, v[8:9]
	s_cselect_b32 s27, -1, 0
	s_and_not1_b32 s25, s25, exec_lo
	s_and_b32 s27, s27, exec_lo
	s_and_not1_b32 s26, s26, exec_lo
	s_or_b32 s25, s25, s27
                                        ; implicit-def: $sgpr27
	s_branch .LBB261_318
.LBB261_321:
	s_or_b32 exec_lo, exec_lo, s23
	s_xor_b32 s0, s24, -1
	s_branch .LBB261_323
.LBB261_322:
	s_mov_b32 s0, -1
.LBB261_323:
	s_delay_alu instid0(SALU_CYCLE_1)
	s_and_b32 s0, s0, exec_lo
.LBB261_324:
	s_or_b32 exec_lo, exec_lo, s14
	s_delay_alu instid0(SALU_CYCLE_1)
	s_or_not1_b32 s14, s0, exec_lo
.LBB261_325:
	s_or_b32 exec_lo, exec_lo, s22
	v_dual_cndmask_b32 v6, v10, v11, s14 :: v_dual_cndmask_b32 v7, v25, v24, s14
	s_mov_b32 s22, exec_lo
	s_delay_alu instid0(VALU_DEP_1) | instskip(NEXT) | instid1(VALU_DEP_1)
	v_add_nc_u32_e32 v8, 1, v6
	v_add_min_u32_e64 v6, v7, -1, v8
	s_delay_alu instid0(VALU_DEP_1)
	v_lshl_add_u32 v6, v6, 3, v36
	ds_load_b64 v[6:7], v6
	s_wait_dscnt 0x0
	v_dual_cndmask_b32 v17, v6, v15, s14 :: v_dual_cndmask_b32 v12, v8, v10, s14
	v_cndmask_b32_e64 v13, v11, v8, s14
	v_dual_cndmask_b32 v10, v7, v14, s14 :: v_dual_cndmask_b32 v11, v16, v7, s14
	v_cndmask_b32_e64 v23, v22, v6, s14
	s_delay_alu instid0(VALU_DEP_4)
	v_cmpx_lt_u32_e64 v12, v25
	s_cbranch_execz .LBB261_336
; %bb.326:
	s_mov_b32 s0, 0
	s_mov_b32 s15, exec_lo
	v_cmpx_lt_u32_e64 v13, v24
	s_cbranch_execz .LBB261_335
; %bb.327:
	v_cmp_ne_u32_e32 vcc_lo, 1, v35
	s_cbranch_vccnz .LBB261_333
; %bb.328:
	v_mad_nc_u64_u32 v[6:7], v17, s16, s[18:19]
	v_mad_nc_u64_u32 v[8:9], v23, s16, s[18:19]
	s_mov_b32 s23, 0
	s_mov_b64 s[6:7], s[16:17]
                                        ; implicit-def: $sgpr24
                                        ; implicit-def: $sgpr25
                                        ; implicit-def: $sgpr26
                                        ; implicit-def: $sgpr27
	s_delay_alu instid0(VALU_DEP_2) | instskip(NEXT) | instid1(VALU_DEP_2)
	v_mad_u32 v7, v10, s16, v7
	v_mad_u32 v9, v11, s16, v9
	s_delay_alu instid0(VALU_DEP_2) | instskip(NEXT) | instid1(VALU_DEP_2)
	v_mad_u32 v7, v17, s17, v7
	v_mad_u32 v9, v23, s17, v9
	s_branch .LBB261_330
.LBB261_329:                            ;   in Loop: Header=BB261_330 Depth=1
	s_or_b32 exec_lo, exec_lo, s28
	s_delay_alu instid0(SALU_CYCLE_1) | instskip(NEXT) | instid1(SALU_CYCLE_1)
	s_and_b32 s28, exec_lo, s25
	s_or_b32 s23, s28, s23
	s_and_not1_b32 s27, s27, exec_lo
	s_and_b32 s0, s0, exec_lo
	s_and_not1_b32 s24, s24, exec_lo
	s_and_b32 s28, s26, exec_lo
	s_or_b32 s27, s27, s0
	s_or_b32 s24, s24, s28
	s_and_not1_b32 exec_lo, exec_lo, s23
	s_cbranch_execz .LBB261_332
.LBB261_330:                            ; =>This Inner Loop Header: Depth=1
	global_load_u8 v20, v[6:7], off
	global_load_u8 v21, v[8:9], off
	s_and_not1_b32 s26, s26, exec_lo
	s_or_b32 s25, s25, exec_lo
	s_wait_loadcnt 0x1
	v_bfe_i32 v40, v20, 0, 8
	s_wait_loadcnt 0x0
	v_bfe_i32 v41, v21, 0, 8
	v_and_b32_e32 v20, 0xff, v20
	v_and_b32_e32 v21, 0xff, v21
	s_delay_alu instid0(VALU_DEP_3) | instskip(SKIP_2) | instid1(SALU_CYCLE_1)
	v_cmp_le_i16_e32 vcc_lo, v40, v41
	v_cmp_lt_i16_e64 s0, v40, v41
	s_and_b32 s28, vcc_lo, s27
	s_or_b32 s0, s0, s28
	s_delay_alu instid0(SALU_CYCLE_1) | instskip(NEXT) | instid1(SALU_CYCLE_1)
	s_and_b32 s28, s0, exec_lo
	s_or_b32 s26, s26, s28
	s_mov_b32 s28, exec_lo
	v_cmpx_eq_u16_e64 v20, v21
	s_cbranch_execz .LBB261_329
; %bb.331:                              ;   in Loop: Header=BB261_330 Depth=1
	s_add_nc_u64 s[6:7], s[6:7], -1
	v_add_nc_u64_e32 v[6:7], 1, v[6:7]
	s_cmp_eq_u64 s[6:7], 0
	v_add_nc_u64_e32 v[8:9], 1, v[8:9]
	s_cselect_b32 s27, -1, 0
	s_and_not1_b32 s25, s25, exec_lo
	s_and_b32 s27, s27, exec_lo
	s_and_not1_b32 s26, s26, exec_lo
	s_or_b32 s25, s25, s27
                                        ; implicit-def: $sgpr27
	s_branch .LBB261_329
.LBB261_332:
	s_or_b32 exec_lo, exec_lo, s23
	s_xor_b32 s0, s24, -1
	s_branch .LBB261_334
.LBB261_333:
	s_mov_b32 s0, -1
.LBB261_334:
	s_delay_alu instid0(SALU_CYCLE_1)
	s_and_b32 s0, s0, exec_lo
.LBB261_335:
	s_or_b32 exec_lo, exec_lo, s15
	s_delay_alu instid0(SALU_CYCLE_1)
	s_or_not1_b32 s15, s0, exec_lo
.LBB261_336:
	s_or_b32 exec_lo, exec_lo, s22
	v_dual_cndmask_b32 v6, v12, v13, s15 :: v_dual_cndmask_b32 v7, v25, v24, s15
	s_mov_b32 s23, -1
	s_mov_b32 s22, -1
	s_mov_b32 s24, exec_lo
	s_delay_alu instid0(VALU_DEP_1) | instskip(NEXT) | instid1(VALU_DEP_1)
	v_add_nc_u32_e32 v8, 1, v6
	v_add_min_u32_e64 v6, v7, -1, v8
	s_delay_alu instid0(VALU_DEP_1)
	v_lshl_add_u32 v6, v6, 3, v36
	ds_load_b64 v[6:7], v6
	s_wait_dscnt 0x0
	v_dual_cndmask_b32 v40, v6, v17, s15 :: v_dual_cndmask_b32 v20, v8, v12, s15
	v_dual_cndmask_b32 v12, v7, v10, s15 :: v_dual_cndmask_b32 v21, v13, v8, s15
	v_cndmask_b32_e64 v13, v11, v7, s15
	v_cndmask_b32_e64 v41, v23, v6, s15
	s_delay_alu instid0(VALU_DEP_4)
	v_cmpx_lt_u32_e64 v20, v25
	s_cbranch_execz .LBB261_347
; %bb.337:
	s_mov_b32 s0, 0
	s_mov_b32 s22, exec_lo
	v_cmpx_lt_u32_e64 v21, v24
	s_cbranch_execz .LBB261_346
; %bb.338:
	v_cmp_ne_u32_e32 vcc_lo, 1, v35
	s_cbranch_vccnz .LBB261_344
; %bb.339:
	v_mad_nc_u64_u32 v[6:7], v40, s16, s[18:19]
	v_mad_nc_u64_u32 v[8:9], v41, s16, s[18:19]
	s_mov_b32 s25, 0
	s_mov_b64 s[6:7], s[16:17]
                                        ; implicit-def: $sgpr26
                                        ; implicit-def: $sgpr27
                                        ; implicit-def: $sgpr28
                                        ; implicit-def: $sgpr29
	s_delay_alu instid0(VALU_DEP_2) | instskip(NEXT) | instid1(VALU_DEP_2)
	v_mad_u32 v7, v12, s16, v7
	v_mad_u32 v9, v13, s16, v9
	s_delay_alu instid0(VALU_DEP_2) | instskip(NEXT) | instid1(VALU_DEP_2)
	v_mad_u32 v7, v40, s17, v7
	v_mad_u32 v9, v41, s17, v9
	s_branch .LBB261_341
.LBB261_340:                            ;   in Loop: Header=BB261_341 Depth=1
	s_or_b32 exec_lo, exec_lo, s30
	s_delay_alu instid0(SALU_CYCLE_1) | instskip(NEXT) | instid1(SALU_CYCLE_1)
	s_and_b32 s30, exec_lo, s27
	s_or_b32 s25, s30, s25
	s_and_not1_b32 s29, s29, exec_lo
	s_and_b32 s0, s0, exec_lo
	s_and_not1_b32 s26, s26, exec_lo
	s_and_b32 s30, s28, exec_lo
	s_or_b32 s29, s29, s0
	s_or_b32 s26, s26, s30
	s_and_not1_b32 exec_lo, exec_lo, s25
	s_cbranch_execz .LBB261_343
.LBB261_341:                            ; =>This Inner Loop Header: Depth=1
	global_load_u8 v42, v[6:7], off
	global_load_u8 v43, v[8:9], off
	s_and_not1_b32 s28, s28, exec_lo
	s_or_b32 s27, s27, exec_lo
	s_wait_loadcnt 0x1
	v_bfe_i32 v44, v42, 0, 8
	s_wait_loadcnt 0x0
	v_bfe_i32 v45, v43, 0, 8
	v_and_b32_e32 v42, 0xff, v42
	v_and_b32_e32 v43, 0xff, v43
	s_delay_alu instid0(VALU_DEP_3) | instskip(SKIP_2) | instid1(SALU_CYCLE_1)
	v_cmp_le_i16_e32 vcc_lo, v44, v45
	v_cmp_lt_i16_e64 s0, v44, v45
	s_and_b32 s30, vcc_lo, s29
	s_or_b32 s0, s0, s30
	s_delay_alu instid0(SALU_CYCLE_1) | instskip(NEXT) | instid1(SALU_CYCLE_1)
	s_and_b32 s30, s0, exec_lo
	s_or_b32 s28, s28, s30
	s_mov_b32 s30, exec_lo
	v_cmpx_eq_u16_e64 v42, v43
	s_cbranch_execz .LBB261_340
; %bb.342:                              ;   in Loop: Header=BB261_341 Depth=1
	s_add_nc_u64 s[6:7], s[6:7], -1
	v_add_nc_u64_e32 v[6:7], 1, v[6:7]
	s_cmp_eq_u64 s[6:7], 0
	v_add_nc_u64_e32 v[8:9], 1, v[8:9]
	s_cselect_b32 s29, -1, 0
	s_and_not1_b32 s27, s27, exec_lo
	s_and_b32 s29, s29, exec_lo
	s_and_not1_b32 s28, s28, exec_lo
	s_or_b32 s27, s27, s29
                                        ; implicit-def: $sgpr29
	s_branch .LBB261_340
.LBB261_343:
	s_or_b32 exec_lo, exec_lo, s25
	s_xor_b32 s0, s26, -1
	s_branch .LBB261_345
.LBB261_344:
	s_mov_b32 s0, -1
.LBB261_345:
	s_delay_alu instid0(SALU_CYCLE_1)
	s_and_b32 s0, s0, exec_lo
.LBB261_346:
	s_or_b32 exec_lo, exec_lo, s22
	s_delay_alu instid0(SALU_CYCLE_1)
	s_or_not1_b32 s22, s0, exec_lo
.LBB261_347:
	s_or_b32 exec_lo, exec_lo, s24
	v_dual_cndmask_b32 v6, v20, v21, s22 :: v_dual_cndmask_b32 v7, v25, v24, s22
	s_mov_b32 s24, exec_lo
	s_delay_alu instid0(VALU_DEP_1) | instskip(NEXT) | instid1(VALU_DEP_1)
	v_add_nc_u32_e32 v8, 1, v6
	v_add_min_u32_e64 v6, v7, -1, v8
	s_delay_alu instid0(VALU_DEP_1)
	v_lshl_add_u32 v6, v6, 3, v36
	ds_load_b64 v[6:7], v6
	s_wait_dscnt 0x0
	v_cndmask_b32_e64 v42, v7, v12, s22
	v_dual_cndmask_b32 v20, v8, v20, s22 :: v_dual_cndmask_b32 v44, v13, v7, s22
	v_cndmask_b32_e64 v21, v21, v8, s22
	v_dual_cndmask_b32 v43, v6, v40, s22 :: v_dual_cndmask_b32 v45, v41, v6, s22
	s_delay_alu instid0(VALU_DEP_3)
	v_cmpx_lt_u32_e64 v20, v25
	s_cbranch_execz .LBB261_358
; %bb.348:
	s_mov_b32 s0, 0
	s_mov_b32 s23, exec_lo
	v_cmpx_lt_u32_e64 v21, v24
	s_cbranch_execz .LBB261_357
; %bb.349:
	v_cmp_ne_u32_e32 vcc_lo, 1, v35
	s_cbranch_vccnz .LBB261_355
; %bb.350:
	v_mad_nc_u64_u32 v[6:7], v43, s16, s[18:19]
	v_mad_nc_u64_u32 v[8:9], v45, s16, s[18:19]
	s_mov_b32 s25, 0
	s_mov_b64 s[6:7], s[16:17]
                                        ; implicit-def: $sgpr26
                                        ; implicit-def: $sgpr27
                                        ; implicit-def: $sgpr28
                                        ; implicit-def: $sgpr29
	s_delay_alu instid0(VALU_DEP_2) | instskip(NEXT) | instid1(VALU_DEP_2)
	v_mad_u32 v7, v42, s16, v7
	v_mad_u32 v9, v44, s16, v9
	s_delay_alu instid0(VALU_DEP_2) | instskip(NEXT) | instid1(VALU_DEP_2)
	v_mad_u32 v7, v43, s17, v7
	v_mad_u32 v9, v45, s17, v9
	s_branch .LBB261_352
.LBB261_351:                            ;   in Loop: Header=BB261_352 Depth=1
	s_or_b32 exec_lo, exec_lo, s30
	s_delay_alu instid0(SALU_CYCLE_1) | instskip(NEXT) | instid1(SALU_CYCLE_1)
	s_and_b32 s30, exec_lo, s27
	s_or_b32 s25, s30, s25
	s_and_not1_b32 s29, s29, exec_lo
	s_and_b32 s0, s0, exec_lo
	s_and_not1_b32 s26, s26, exec_lo
	s_and_b32 s30, s28, exec_lo
	s_or_b32 s29, s29, s0
	s_or_b32 s26, s26, s30
	s_and_not1_b32 exec_lo, exec_lo, s25
	s_cbranch_execz .LBB261_354
.LBB261_352:                            ; =>This Inner Loop Header: Depth=1
	global_load_u8 v46, v[6:7], off
	global_load_u8 v47, v[8:9], off
	s_and_not1_b32 s28, s28, exec_lo
	s_or_b32 s27, s27, exec_lo
	s_wait_loadcnt 0x1
	v_bfe_i32 v48, v46, 0, 8
	s_wait_loadcnt 0x0
	v_bfe_i32 v49, v47, 0, 8
	v_and_b32_e32 v46, 0xff, v46
	v_and_b32_e32 v47, 0xff, v47
	s_delay_alu instid0(VALU_DEP_3) | instskip(SKIP_2) | instid1(SALU_CYCLE_1)
	v_cmp_le_i16_e32 vcc_lo, v48, v49
	v_cmp_lt_i16_e64 s0, v48, v49
	s_and_b32 s30, vcc_lo, s29
	s_or_b32 s0, s0, s30
	s_delay_alu instid0(SALU_CYCLE_1) | instskip(NEXT) | instid1(SALU_CYCLE_1)
	s_and_b32 s30, s0, exec_lo
	s_or_b32 s28, s28, s30
	s_mov_b32 s30, exec_lo
	v_cmpx_eq_u16_e64 v46, v47
	s_cbranch_execz .LBB261_351
; %bb.353:                              ;   in Loop: Header=BB261_352 Depth=1
	s_add_nc_u64 s[6:7], s[6:7], -1
	v_add_nc_u64_e32 v[6:7], 1, v[6:7]
	s_cmp_eq_u64 s[6:7], 0
	v_add_nc_u64_e32 v[8:9], 1, v[8:9]
	s_cselect_b32 s29, -1, 0
	s_and_not1_b32 s27, s27, exec_lo
	s_and_b32 s29, s29, exec_lo
	s_and_not1_b32 s28, s28, exec_lo
	s_or_b32 s27, s27, s29
                                        ; implicit-def: $sgpr29
	s_branch .LBB261_351
.LBB261_354:
	s_or_b32 exec_lo, exec_lo, s25
	s_xor_b32 s0, s26, -1
	s_branch .LBB261_356
.LBB261_355:
	s_mov_b32 s0, -1
.LBB261_356:
	s_delay_alu instid0(SALU_CYCLE_1)
	s_and_b32 s0, s0, exec_lo
.LBB261_357:
	s_or_b32 exec_lo, exec_lo, s23
	s_delay_alu instid0(SALU_CYCLE_1)
	s_or_not1_b32 s23, s0, exec_lo
.LBB261_358:
	s_or_b32 exec_lo, exec_lo, s24
	v_dual_cndmask_b32 v6, v20, v21, s23 :: v_dual_cndmask_b32 v7, v25, v24, s23
	s_mov_b32 s24, -1
	s_mov_b32 s25, -1
	s_mov_b32 s26, exec_lo
	s_delay_alu instid0(VALU_DEP_1) | instskip(NEXT) | instid1(VALU_DEP_1)
	v_add_nc_u32_e32 v8, 1, v6
	v_add_min_u32_e64 v6, v7, -1, v8
	s_delay_alu instid0(VALU_DEP_1)
	v_lshl_add_u32 v6, v6, 3, v36
	ds_load_b64 v[6:7], v6
	s_wait_dscnt 0x0
	v_dual_cndmask_b32 v46, v7, v42, s23 :: v_dual_cndmask_b32 v47, v6, v43, s23
	v_cndmask_b32_e64 v20, v8, v20, s23
	v_dual_cndmask_b32 v21, v21, v8, s23 :: v_dual_cndmask_b32 v48, v44, v7, s23
	v_cndmask_b32_e64 v49, v45, v6, s23
	s_delay_alu instid0(VALU_DEP_3)
	v_cmpx_lt_u32_e64 v20, v25
	s_cbranch_execz .LBB261_369
; %bb.359:
	s_mov_b32 s0, 0
	s_mov_b32 s25, exec_lo
	v_cmpx_lt_u32_e64 v21, v24
	s_cbranch_execz .LBB261_368
; %bb.360:
	v_cmp_ne_u32_e32 vcc_lo, 1, v35
	s_cbranch_vccnz .LBB261_366
; %bb.361:
	v_mad_nc_u64_u32 v[6:7], v47, s16, s[18:19]
	v_mad_nc_u64_u32 v[8:9], v49, s16, s[18:19]
	s_mov_b32 s27, 0
	s_mov_b64 s[6:7], s[16:17]
                                        ; implicit-def: $sgpr28
                                        ; implicit-def: $sgpr29
                                        ; implicit-def: $sgpr30
                                        ; implicit-def: $sgpr31
	s_delay_alu instid0(VALU_DEP_2) | instskip(NEXT) | instid1(VALU_DEP_2)
	v_mad_u32 v7, v46, s16, v7
	v_mad_u32 v9, v48, s16, v9
	s_delay_alu instid0(VALU_DEP_2) | instskip(NEXT) | instid1(VALU_DEP_2)
	v_mad_u32 v7, v47, s17, v7
	v_mad_u32 v9, v49, s17, v9
	s_branch .LBB261_363
.LBB261_362:                            ;   in Loop: Header=BB261_363 Depth=1
	s_or_b32 exec_lo, exec_lo, s33
	s_delay_alu instid0(SALU_CYCLE_1) | instskip(NEXT) | instid1(SALU_CYCLE_1)
	s_and_b32 s33, exec_lo, s29
	s_or_b32 s27, s33, s27
	s_and_not1_b32 s31, s31, exec_lo
	s_and_b32 s0, s0, exec_lo
	s_and_not1_b32 s28, s28, exec_lo
	s_and_b32 s33, s30, exec_lo
	s_or_b32 s31, s31, s0
	s_or_b32 s28, s28, s33
	s_and_not1_b32 exec_lo, exec_lo, s27
	s_cbranch_execz .LBB261_365
.LBB261_363:                            ; =>This Inner Loop Header: Depth=1
	global_load_u8 v50, v[6:7], off
	global_load_u8 v51, v[8:9], off
	s_and_not1_b32 s30, s30, exec_lo
	s_or_b32 s29, s29, exec_lo
	s_wait_loadcnt 0x1
	v_bfe_i32 v52, v50, 0, 8
	s_wait_loadcnt 0x0
	v_bfe_i32 v53, v51, 0, 8
	v_and_b32_e32 v50, 0xff, v50
	v_and_b32_e32 v51, 0xff, v51
	s_delay_alu instid0(VALU_DEP_3) | instskip(SKIP_2) | instid1(SALU_CYCLE_1)
	v_cmp_le_i16_e32 vcc_lo, v52, v53
	v_cmp_lt_i16_e64 s0, v52, v53
	s_and_b32 s33, vcc_lo, s31
	s_or_b32 s0, s0, s33
	s_delay_alu instid0(SALU_CYCLE_1) | instskip(NEXT) | instid1(SALU_CYCLE_1)
	s_and_b32 s33, s0, exec_lo
	s_or_b32 s30, s30, s33
	s_mov_b32 s33, exec_lo
	v_cmpx_eq_u16_e64 v50, v51
	s_cbranch_execz .LBB261_362
; %bb.364:                              ;   in Loop: Header=BB261_363 Depth=1
	s_add_nc_u64 s[6:7], s[6:7], -1
	v_add_nc_u64_e32 v[6:7], 1, v[6:7]
	s_cmp_eq_u64 s[6:7], 0
	v_add_nc_u64_e32 v[8:9], 1, v[8:9]
	s_cselect_b32 s31, -1, 0
	s_and_not1_b32 s29, s29, exec_lo
	s_and_b32 s31, s31, exec_lo
	s_and_not1_b32 s30, s30, exec_lo
	s_or_b32 s29, s29, s31
                                        ; implicit-def: $sgpr31
	s_branch .LBB261_362
.LBB261_365:
	s_or_b32 exec_lo, exec_lo, s27
	s_xor_b32 s0, s28, -1
	s_branch .LBB261_367
.LBB261_366:
	s_mov_b32 s0, -1
.LBB261_367:
	s_delay_alu instid0(SALU_CYCLE_1)
	s_and_b32 s0, s0, exec_lo
.LBB261_368:
	s_or_b32 exec_lo, exec_lo, s25
	s_delay_alu instid0(SALU_CYCLE_1)
	s_or_not1_b32 s25, s0, exec_lo
.LBB261_369:
	s_or_b32 exec_lo, exec_lo, s26
	v_dual_cndmask_b32 v6, v20, v21, s25 :: v_dual_cndmask_b32 v7, v25, v24, s25
	s_mov_b32 s26, exec_lo
	s_delay_alu instid0(VALU_DEP_1) | instskip(NEXT) | instid1(VALU_DEP_1)
	v_add_nc_u32_e32 v8, 1, v6
	v_add_min_u32_e64 v6, v7, -1, v8
	s_delay_alu instid0(VALU_DEP_1)
	v_lshl_add_u32 v6, v6, 3, v36
	ds_load_b64 v[6:7], v6
	s_wait_dscnt 0x0
	v_dual_cndmask_b32 v51, v7, v46, s25 :: v_dual_cndmask_b32 v52, v6, v47, s25
	v_cndmask_b32_e64 v53, v8, v20, s25
	v_dual_cndmask_b32 v50, v21, v8, s25 :: v_dual_cndmask_b32 v54, v48, v7, s25
	v_cndmask_b32_e64 v55, v49, v6, s25
	s_delay_alu instid0(VALU_DEP_3)
	v_cmpx_lt_u32_e64 v53, v25
	s_cbranch_execz .LBB261_380
; %bb.370:
	s_mov_b32 s0, 0
	s_mov_b32 s24, exec_lo
	v_cmpx_lt_u32_e64 v50, v24
	s_cbranch_execz .LBB261_379
; %bb.371:
	v_cmp_ne_u32_e32 vcc_lo, 1, v35
	s_cbranch_vccnz .LBB261_377
; %bb.372:
	v_mad_nc_u64_u32 v[6:7], v52, s16, s[18:19]
	v_mad_nc_u64_u32 v[8:9], v55, s16, s[18:19]
	s_mov_b32 s27, 0
	s_mov_b64 s[6:7], s[16:17]
                                        ; implicit-def: $sgpr28
                                        ; implicit-def: $sgpr29
                                        ; implicit-def: $sgpr30
                                        ; implicit-def: $sgpr31
	s_delay_alu instid0(VALU_DEP_2) | instskip(NEXT) | instid1(VALU_DEP_2)
	v_mad_u32 v7, v51, s16, v7
	v_mad_u32 v9, v54, s16, v9
	s_delay_alu instid0(VALU_DEP_2) | instskip(NEXT) | instid1(VALU_DEP_2)
	v_mad_u32 v7, v52, s17, v7
	v_mad_u32 v9, v55, s17, v9
	s_branch .LBB261_374
.LBB261_373:                            ;   in Loop: Header=BB261_374 Depth=1
	s_or_b32 exec_lo, exec_lo, s33
	s_delay_alu instid0(SALU_CYCLE_1) | instskip(NEXT) | instid1(SALU_CYCLE_1)
	s_and_b32 s33, exec_lo, s29
	s_or_b32 s27, s33, s27
	s_and_not1_b32 s31, s31, exec_lo
	s_and_b32 s0, s0, exec_lo
	s_and_not1_b32 s28, s28, exec_lo
	s_and_b32 s33, s30, exec_lo
	s_or_b32 s31, s31, s0
	s_or_b32 s28, s28, s33
	s_and_not1_b32 exec_lo, exec_lo, s27
	s_cbranch_execz .LBB261_376
.LBB261_374:                            ; =>This Inner Loop Header: Depth=1
	global_load_u8 v20, v[6:7], off
	global_load_u8 v21, v[8:9], off
	s_and_not1_b32 s30, s30, exec_lo
	s_or_b32 s29, s29, exec_lo
	s_wait_loadcnt 0x1
	v_bfe_i32 v56, v20, 0, 8
	s_wait_loadcnt 0x0
	v_bfe_i32 v57, v21, 0, 8
	v_and_b32_e32 v20, 0xff, v20
	v_and_b32_e32 v21, 0xff, v21
	s_delay_alu instid0(VALU_DEP_3) | instskip(SKIP_2) | instid1(SALU_CYCLE_1)
	v_cmp_le_i16_e32 vcc_lo, v56, v57
	v_cmp_lt_i16_e64 s0, v56, v57
	s_and_b32 s33, vcc_lo, s31
	s_or_b32 s0, s0, s33
	s_delay_alu instid0(SALU_CYCLE_1) | instskip(NEXT) | instid1(SALU_CYCLE_1)
	s_and_b32 s33, s0, exec_lo
	s_or_b32 s30, s30, s33
	s_mov_b32 s33, exec_lo
	v_cmpx_eq_u16_e64 v20, v21
	s_cbranch_execz .LBB261_373
; %bb.375:                              ;   in Loop: Header=BB261_374 Depth=1
	s_add_nc_u64 s[6:7], s[6:7], -1
	v_add_nc_u64_e32 v[6:7], 1, v[6:7]
	s_cmp_eq_u64 s[6:7], 0
	v_add_nc_u64_e32 v[8:9], 1, v[8:9]
	s_cselect_b32 s31, -1, 0
	s_and_not1_b32 s29, s29, exec_lo
	s_and_b32 s31, s31, exec_lo
	s_and_not1_b32 s30, s30, exec_lo
	s_or_b32 s29, s29, s31
                                        ; implicit-def: $sgpr31
	s_branch .LBB261_373
.LBB261_376:
	s_or_b32 exec_lo, exec_lo, s27
	s_xor_b32 s0, s28, -1
	s_branch .LBB261_378
.LBB261_377:
	s_mov_b32 s0, -1
.LBB261_378:
	s_delay_alu instid0(SALU_CYCLE_1)
	s_and_b32 s0, s0, exec_lo
.LBB261_379:
	s_or_b32 exec_lo, exec_lo, s24
	s_delay_alu instid0(SALU_CYCLE_1)
	s_or_not1_b32 s24, s0, exec_lo
.LBB261_380:
	s_or_b32 exec_lo, exec_lo, s26
	v_dual_cndmask_b32 v6, v53, v50, s24 :: v_dual_cndmask_b32 v9, v46, v48, s25
	v_dual_cndmask_b32 v7, v25, v24, s24 :: v_dual_cndmask_b32 v8, v47, v49, s25
	s_delay_alu instid0(VALU_DEP_2) | instskip(SKIP_2) | instid1(VALU_DEP_3)
	v_dual_cndmask_b32 v13, v12, v13, s22 :: v_dual_add_nc_u32 v56, 1, v6
	v_dual_cndmask_b32 v12, v40, v41, s22 :: v_dual_cndmask_b32 v11, v10, v11, s15
	v_dual_cndmask_b32 v10, v17, v23, s15 :: v_dual_cndmask_b32 v17, v14, v16, s14
	v_add_min_u32_e64 v6, v7, -1, v56
	v_dual_cndmask_b32 v7, v42, v44, s23 :: v_dual_cndmask_b32 v16, v15, v22, s14
	v_dual_cndmask_b32 v15, v5, v3, s5 :: v_dual_cndmask_b32 v22, v56, v53, s24
	v_cndmask_b32_e64 v3, v51, v54, s24
	s_delay_alu instid0(VALU_DEP_4)
	v_lshl_add_u32 v6, v6, 3, v36
	ds_load_b64 v[20:21], v6
	v_dual_cndmask_b32 v6, v43, v45, s23 :: v_dual_cndmask_b32 v14, v4, v2, s5
	v_cndmask_b32_e64 v2, v52, v55, s24
	s_mov_b32 s5, exec_lo
	s_wait_dscnt 0x0
	v_dual_cndmask_b32 v5, v54, v21, s24 :: v_dual_cndmask_b32 v4, v55, v20, s24
	v_cmpx_lt_u32_e64 v22, v25
	s_cbranch_execz .LBB261_390
; %bb.381:
	v_dual_cndmask_b32 v22, v50, v56, s24 :: v_dual_cndmask_b32 v21, v21, v51, s24
	v_cndmask_b32_e64 v20, v20, v52, s24
	s_mov_b32 s14, exec_lo
	s_delay_alu instid0(VALU_DEP_2)
	v_cmpx_lt_u32_e64 v22, v24
	s_cbranch_execz .LBB261_389
; %bb.382:
	v_cmp_ne_u32_e32 vcc_lo, 1, v35
	s_cbranch_vccnz .LBB261_388
; %bb.383:
	v_mad_nc_u64_u32 v[22:23], v20, s16, s[18:19]
	v_mad_nc_u64_u32 v[24:25], v4, s16, s[18:19]
	s_mov_b32 s15, 0
	s_mov_b64 s[6:7], s[16:17]
                                        ; implicit-def: $sgpr22
                                        ; implicit-def: $sgpr23
                                        ; implicit-def: $sgpr24
                                        ; implicit-def: $sgpr25
	s_delay_alu instid0(VALU_DEP_2) | instskip(NEXT) | instid1(VALU_DEP_2)
	v_mad_u32 v23, v21, s16, v23
	v_mad_u32 v25, v5, s16, v25
	s_delay_alu instid0(VALU_DEP_2) | instskip(NEXT) | instid1(VALU_DEP_2)
	v_mad_u32 v23, v20, s17, v23
	v_mad_u32 v25, v4, s17, v25
	s_branch .LBB261_385
.LBB261_384:                            ;   in Loop: Header=BB261_385 Depth=1
	s_or_b32 exec_lo, exec_lo, s26
	s_delay_alu instid0(SALU_CYCLE_1) | instskip(NEXT) | instid1(SALU_CYCLE_1)
	s_and_b32 s26, exec_lo, s23
	s_or_b32 s15, s26, s15
	s_and_not1_b32 s25, s25, exec_lo
	s_and_b32 s0, s0, exec_lo
	s_and_not1_b32 s22, s22, exec_lo
	s_and_b32 s26, s24, exec_lo
	s_or_b32 s25, s25, s0
	s_or_b32 s22, s22, s26
	s_and_not1_b32 exec_lo, exec_lo, s15
	s_cbranch_execz .LBB261_387
.LBB261_385:                            ; =>This Inner Loop Header: Depth=1
	global_load_u8 v40, v[22:23], off
	global_load_u8 v41, v[24:25], off
	s_and_not1_b32 s24, s24, exec_lo
	s_or_b32 s23, s23, exec_lo
	s_wait_loadcnt 0x1
	v_bfe_i32 v42, v40, 0, 8
	s_wait_loadcnt 0x0
	v_bfe_i32 v43, v41, 0, 8
	v_and_b32_e32 v40, 0xff, v40
	v_and_b32_e32 v41, 0xff, v41
	s_delay_alu instid0(VALU_DEP_3) | instskip(SKIP_2) | instid1(SALU_CYCLE_1)
	v_cmp_le_i16_e32 vcc_lo, v42, v43
	v_cmp_lt_i16_e64 s0, v42, v43
	s_and_b32 s26, vcc_lo, s25
	s_or_b32 s0, s0, s26
	s_delay_alu instid0(SALU_CYCLE_1) | instskip(NEXT) | instid1(SALU_CYCLE_1)
	s_and_b32 s26, s0, exec_lo
	s_or_b32 s24, s24, s26
	s_mov_b32 s26, exec_lo
	v_cmpx_eq_u16_e64 v40, v41
	s_cbranch_execz .LBB261_384
; %bb.386:                              ;   in Loop: Header=BB261_385 Depth=1
	s_add_nc_u64 s[6:7], s[6:7], -1
	v_add_nc_u64_e32 v[22:23], 1, v[22:23]
	s_cmp_eq_u64 s[6:7], 0
	v_add_nc_u64_e32 v[24:25], 1, v[24:25]
	s_cselect_b32 s25, -1, 0
	s_and_not1_b32 s23, s23, exec_lo
	s_and_b32 s25, s25, exec_lo
	s_and_not1_b32 s24, s24, exec_lo
	s_or_b32 s23, s23, s25
                                        ; implicit-def: $sgpr25
	s_branch .LBB261_384
.LBB261_387:
	s_or_b32 exec_lo, exec_lo, s15
	v_dual_cndmask_b32 v5, v5, v21, s22 :: v_dual_cndmask_b32 v4, v4, v20, s22
.LBB261_388:
	s_delay_alu instid0(VALU_DEP_1)
	v_mov_b64_e32 v[20:21], v[4:5]
.LBB261_389:
	s_or_b32 exec_lo, exec_lo, s14
	s_delay_alu instid0(VALU_DEP_1)
	v_mov_b64_e32 v[4:5], v[20:21]
.LBB261_390:
	s_or_b32 exec_lo, exec_lo, s5
.LBB261_391:
	s_delay_alu instid0(SALU_CYCLE_1)
	s_or_b32 exec_lo, exec_lo, s1
	v_and_b32_e32 v42, 0xc0, v38
	s_mov_b32 s1, exec_lo
	; wave barrier
	ds_store_b128 v39, v[14:17]
	ds_store_b128 v39, v[10:13] offset:16
	v_or_b32_e32 v20, 32, v42
	v_lshl_add_u32 v41, v42, 3, v36
	ds_store_b128 v39, v[6:9] offset:32
	ds_store_b128 v39, v[2:5] offset:48
	; wave barrier
	v_min_u32_e32 v24, v37, v20
	v_and_b32_e32 v20, 56, v38
	s_delay_alu instid0(VALU_DEP_2) | instskip(NEXT) | instid1(VALU_DEP_2)
	v_add_min_u32_e64 v25, v24, 32, v37
	v_min_u32_e32 v43, v37, v20
	s_delay_alu instid0(VALU_DEP_2) | instskip(NEXT) | instid1(VALU_DEP_1)
	v_dual_sub_nc_u32 v21, v24, v42 :: v_dual_sub_nc_u32 v20, v25, v24
	v_min_u32_e32 v44, v43, v21
	s_delay_alu instid0(VALU_DEP_2) | instskip(NEXT) | instid1(VALU_DEP_1)
	v_sub_nc_u32_e64 v40, v43, v20 clamp
	v_cmpx_lt_u32_e64 v40, v44
	s_cbranch_execz .LBB261_401
; %bb.392:
	v_dual_lshlrev_b32 v20, 3, v24 :: v_dual_lshlrev_b32 v21, 3, v43
	s_mov_b32 s5, 0
	s_delay_alu instid0(VALU_DEP_1)
	v_add3_u32 v45, v36, v20, v21
	s_branch .LBB261_395
.LBB261_393:                            ;   in Loop: Header=BB261_395 Depth=1
	s_or_b32 exec_lo, exec_lo, s15
.LBB261_394:                            ;   in Loop: Header=BB261_395 Depth=1
	s_delay_alu instid0(VALU_DEP_1) | instskip(NEXT) | instid1(VALU_DEP_1)
	v_dual_add_nc_u32 v20, 1, v46 :: v_dual_cndmask_b32 v44, v44, v46, s14
	v_cndmask_b32_e64 v40, v20, v40, s14
	s_delay_alu instid0(VALU_DEP_1) | instskip(SKIP_1) | instid1(SALU_CYCLE_1)
	v_cmp_ge_u32_e32 vcc_lo, v40, v44
	s_or_b32 s5, vcc_lo, s5
	s_and_not1_b32 exec_lo, exec_lo, s5
	s_cbranch_execz .LBB261_400
.LBB261_395:                            ; =>This Loop Header: Depth=1
                                        ;     Child Loop BB261_398 Depth 2
	v_add_nc_u32_e32 v20, v44, v40
	v_cmp_ne_u32_e32 vcc_lo, 1, v35
	s_mov_b32 s14, 0
	s_delay_alu instid0(VALU_DEP_2)
	v_lshrrev_b32_e32 v46, 1, v20
	s_cbranch_vccnz .LBB261_394
; %bb.396:                              ;   in Loop: Header=BB261_395 Depth=1
	s_delay_alu instid0(VALU_DEP_1) | instskip(SKIP_3) | instid1(VALU_DEP_2)
	v_not_b32_e32 v20, v46
	v_lshl_add_u32 v21, v46, 3, v41
	s_mov_b32 s15, 0
	s_mov_b64 s[6:7], s[16:17]
                                        ; implicit-def: $sgpr14
                                        ; implicit-def: $sgpr22
                                        ; implicit-def: $sgpr23
                                        ; implicit-def: $sgpr24
	v_lshl_add_u32 v20, v20, 3, v45
	ds_load_b64 v[48:49], v20
	ds_load_b64 v[50:51], v21
	s_wait_dscnt 0x1
	v_mad_nc_u64_u32 v[20:21], v48, s16, s[18:19]
	s_wait_dscnt 0x0
	v_mad_nc_u64_u32 v[22:23], v50, s16, s[18:19]
	s_delay_alu instid0(VALU_DEP_2) | instskip(NEXT) | instid1(VALU_DEP_2)
	v_mad_u32 v21, v49, s16, v21
	v_mad_u32 v23, v51, s16, v23
	s_delay_alu instid0(VALU_DEP_2) | instskip(NEXT) | instid1(VALU_DEP_2)
	v_mad_u32 v21, v48, s17, v21
	v_mad_u32 v23, v50, s17, v23
	s_branch .LBB261_398
.LBB261_397:                            ;   in Loop: Header=BB261_398 Depth=2
	s_or_b32 exec_lo, exec_lo, s25
	s_delay_alu instid0(SALU_CYCLE_1) | instskip(NEXT) | instid1(SALU_CYCLE_1)
	s_and_b32 s25, exec_lo, s22
	s_or_b32 s15, s25, s15
	s_and_not1_b32 s24, s24, exec_lo
	s_and_b32 s0, s0, exec_lo
	s_and_not1_b32 s14, s14, exec_lo
	s_and_b32 s25, s23, exec_lo
	s_or_b32 s24, s24, s0
	s_or_b32 s14, s14, s25
	s_and_not1_b32 exec_lo, exec_lo, s15
	s_cbranch_execz .LBB261_393
.LBB261_398:                            ;   Parent Loop BB261_395 Depth=1
                                        ; =>  This Inner Loop Header: Depth=2
	global_load_u8 v47, v[20:21], off
	global_load_u8 v48, v[22:23], off
	s_and_not1_b32 s23, s23, exec_lo
	s_or_b32 s22, s22, exec_lo
	s_wait_loadcnt 0x1
	v_bfe_i32 v49, v47, 0, 8
	s_wait_loadcnt 0x0
	v_bfe_i32 v50, v48, 0, 8
	v_and_b32_e32 v47, 0xff, v47
	v_and_b32_e32 v48, 0xff, v48
	s_delay_alu instid0(VALU_DEP_3) | instskip(SKIP_2) | instid1(SALU_CYCLE_1)
	v_cmp_le_i16_e32 vcc_lo, v49, v50
	v_cmp_lt_i16_e64 s0, v49, v50
	s_and_b32 s25, vcc_lo, s24
	s_or_b32 s0, s0, s25
	s_delay_alu instid0(SALU_CYCLE_1) | instskip(NEXT) | instid1(SALU_CYCLE_1)
	s_and_b32 s25, s0, exec_lo
	s_or_b32 s23, s23, s25
	s_mov_b32 s25, exec_lo
	v_cmpx_eq_u16_e64 v47, v48
	s_cbranch_execz .LBB261_397
; %bb.399:                              ;   in Loop: Header=BB261_398 Depth=2
	s_add_nc_u64 s[6:7], s[6:7], -1
	v_add_nc_u64_e32 v[20:21], 1, v[20:21]
	s_cmp_eq_u64 s[6:7], 0
	v_add_nc_u64_e32 v[22:23], 1, v[22:23]
	s_cselect_b32 s24, -1, 0
	s_and_not1_b32 s22, s22, exec_lo
	s_and_b32 s24, s24, exec_lo
	s_and_not1_b32 s23, s23, exec_lo
	s_or_b32 s22, s22, s24
                                        ; implicit-def: $sgpr24
	s_branch .LBB261_397
.LBB261_400:
	s_or_b32 exec_lo, exec_lo, s5
.LBB261_401:
	s_delay_alu instid0(SALU_CYCLE_1) | instskip(SKIP_1) | instid1(VALU_DEP_1)
	s_or_b32 exec_lo, exec_lo, s1
	v_add_nc_u32_e32 v21, v24, v43
	v_dual_add_nc_u32 v20, v40, v42 :: v_dual_sub_nc_u32 v21, v21, v40
	s_delay_alu instid0(VALU_DEP_1) | instskip(NEXT) | instid1(VALU_DEP_2)
	v_cmp_le_u32_e32 vcc_lo, v20, v24
	v_cmp_le_u32_e64 s0, v21, v25
	s_or_b32 s0, vcc_lo, s0
	s_delay_alu instid0(SALU_CYCLE_1)
	s_and_saveexec_b32 s1, s0
	s_cbranch_execz .LBB261_492
; %bb.402:
	s_mov_b32 s5, exec_lo
	v_cmp_ge_u32_e32 vcc_lo, v20, v24
                                        ; implicit-def: $vgpr2_vgpr3
	v_cmpx_lt_u32_e64 v20, v24
; %bb.403:
	v_lshl_add_u32 v2, v40, 3, v41
	ds_load_b64 v[2:3], v2
; %bb.404:
	s_or_b32 exec_lo, exec_lo, s5
	v_cmp_ge_u32_e64 s5, v21, v25
	s_mov_b32 s6, exec_lo
                                        ; implicit-def: $vgpr4_vgpr5
	v_cmpx_lt_u32_e64 v21, v25
; %bb.405:
	v_lshl_add_u32 v4, v21, 3, v36
	ds_load_b64 v[4:5], v4
; %bb.406:
	s_or_b32 exec_lo, exec_lo, s6
	s_nor_b32 s0, vcc_lo, s5
	s_delay_alu instid0(SALU_CYCLE_1)
	s_and_saveexec_b32 s14, s0
	s_cbranch_execz .LBB261_415
; %bb.407:
	v_cmp_ne_u32_e32 vcc_lo, 1, v35
	s_cbranch_vccnz .LBB261_413
; %bb.408:
	s_wait_dscnt 0x0
	v_mad_nc_u64_u32 v[6:7], v4, s16, s[18:19]
	v_mad_nc_u64_u32 v[8:9], v2, s16, s[18:19]
	s_mov_b32 s15, 0
	s_mov_b64 s[6:7], s[16:17]
                                        ; implicit-def: $sgpr22
                                        ; implicit-def: $sgpr23
                                        ; implicit-def: $sgpr24
                                        ; implicit-def: $sgpr25
	s_delay_alu instid0(VALU_DEP_2) | instskip(NEXT) | instid1(VALU_DEP_2)
	v_mad_u32 v7, v5, s16, v7
	v_mad_u32 v9, v3, s16, v9
	s_delay_alu instid0(VALU_DEP_2) | instskip(NEXT) | instid1(VALU_DEP_2)
	v_mad_u32 v7, v4, s17, v7
	v_mad_u32 v9, v2, s17, v9
	s_branch .LBB261_410
.LBB261_409:                            ;   in Loop: Header=BB261_410 Depth=1
	s_or_b32 exec_lo, exec_lo, s26
	s_delay_alu instid0(SALU_CYCLE_1) | instskip(NEXT) | instid1(SALU_CYCLE_1)
	s_and_b32 s26, exec_lo, s23
	s_or_b32 s15, s26, s15
	s_and_not1_b32 s25, s25, exec_lo
	s_and_b32 s0, s0, exec_lo
	s_and_not1_b32 s22, s22, exec_lo
	s_and_b32 s26, s24, exec_lo
	s_or_b32 s25, s25, s0
	s_or_b32 s22, s22, s26
	s_and_not1_b32 exec_lo, exec_lo, s15
	s_cbranch_execz .LBB261_412
.LBB261_410:                            ; =>This Inner Loop Header: Depth=1
	global_load_u8 v10, v[6:7], off
	global_load_u8 v11, v[8:9], off
	s_and_not1_b32 s24, s24, exec_lo
	s_or_b32 s23, s23, exec_lo
	s_wait_loadcnt 0x1
	v_bfe_i32 v12, v10, 0, 8
	s_wait_loadcnt 0x0
	v_bfe_i32 v13, v11, 0, 8
	v_and_b32_e32 v10, 0xff, v10
	v_and_b32_e32 v11, 0xff, v11
	s_delay_alu instid0(VALU_DEP_3) | instskip(SKIP_2) | instid1(SALU_CYCLE_1)
	v_cmp_le_i16_e32 vcc_lo, v12, v13
	v_cmp_lt_i16_e64 s0, v12, v13
	s_and_b32 s26, vcc_lo, s25
	s_or_b32 s0, s0, s26
	s_delay_alu instid0(SALU_CYCLE_1) | instskip(NEXT) | instid1(SALU_CYCLE_1)
	s_and_b32 s26, s0, exec_lo
	s_or_b32 s24, s24, s26
	s_mov_b32 s26, exec_lo
	v_cmpx_eq_u16_e64 v10, v11
	s_cbranch_execz .LBB261_409
; %bb.411:                              ;   in Loop: Header=BB261_410 Depth=1
	s_add_nc_u64 s[6:7], s[6:7], -1
	v_add_nc_u64_e32 v[6:7], 1, v[6:7]
	s_cmp_eq_u64 s[6:7], 0
	v_add_nc_u64_e32 v[8:9], 1, v[8:9]
	s_cselect_b32 s25, -1, 0
	s_and_not1_b32 s23, s23, exec_lo
	s_and_b32 s25, s25, exec_lo
	s_and_not1_b32 s24, s24, exec_lo
	s_or_b32 s23, s23, s25
                                        ; implicit-def: $sgpr25
	s_branch .LBB261_409
.LBB261_412:
	s_or_b32 exec_lo, exec_lo, s15
	s_xor_b32 s0, s22, -1
	s_branch .LBB261_414
.LBB261_413:
	s_mov_b32 s0, -1
.LBB261_414:
	s_and_not1_b32 s5, s5, exec_lo
	s_and_b32 s0, s0, exec_lo
	s_delay_alu instid0(SALU_CYCLE_1)
	s_or_b32 s5, s5, s0
.LBB261_415:
	s_or_b32 exec_lo, exec_lo, s14
	v_cndmask_b32_e64 v6, v21, v20, s5
	v_cndmask_b32_e64 v7, v25, v24, s5
	s_mov_b32 s15, -1
	s_mov_b32 s14, -1
	s_mov_b32 s22, exec_lo
	v_add_nc_u32_e32 v8, 1, v6
	s_delay_alu instid0(VALU_DEP_1) | instskip(SKIP_1) | instid1(VALU_DEP_2)
	v_add_min_u32_e64 v6, v7, -1, v8
	v_cndmask_b32_e64 v10, v8, v21, s5
	v_lshl_add_u32 v6, v6, 3, v36
	ds_load_b64 v[6:7], v6
	s_wait_dscnt 0x0
	v_dual_cndmask_b32 v11, v20, v8, s5 :: v_dual_cndmask_b32 v14, v7, v5, s5
	v_dual_cndmask_b32 v15, v6, v4, s5 :: v_dual_cndmask_b32 v16, v3, v7, s5
	v_cndmask_b32_e64 v22, v2, v6, s5
	v_cmpx_lt_u32_e64 v10, v25
	s_cbranch_execz .LBB261_426
; %bb.416:
	s_mov_b32 s0, 0
	s_mov_b32 s14, exec_lo
	v_cmpx_lt_u32_e64 v11, v24
	s_cbranch_execz .LBB261_425
; %bb.417:
	v_cmp_ne_u32_e32 vcc_lo, 1, v35
	s_cbranch_vccnz .LBB261_423
; %bb.418:
	v_mad_nc_u64_u32 v[6:7], v15, s16, s[18:19]
	v_mad_nc_u64_u32 v[8:9], v22, s16, s[18:19]
	s_mov_b32 s23, 0
	s_mov_b64 s[6:7], s[16:17]
                                        ; implicit-def: $sgpr24
                                        ; implicit-def: $sgpr25
                                        ; implicit-def: $sgpr26
                                        ; implicit-def: $sgpr27
	s_delay_alu instid0(VALU_DEP_2) | instskip(NEXT) | instid1(VALU_DEP_2)
	v_mad_u32 v7, v14, s16, v7
	v_mad_u32 v9, v16, s16, v9
	s_delay_alu instid0(VALU_DEP_2) | instskip(NEXT) | instid1(VALU_DEP_2)
	v_mad_u32 v7, v15, s17, v7
	v_mad_u32 v9, v22, s17, v9
	s_branch .LBB261_420
.LBB261_419:                            ;   in Loop: Header=BB261_420 Depth=1
	s_or_b32 exec_lo, exec_lo, s28
	s_delay_alu instid0(SALU_CYCLE_1) | instskip(NEXT) | instid1(SALU_CYCLE_1)
	s_and_b32 s28, exec_lo, s25
	s_or_b32 s23, s28, s23
	s_and_not1_b32 s27, s27, exec_lo
	s_and_b32 s0, s0, exec_lo
	s_and_not1_b32 s24, s24, exec_lo
	s_and_b32 s28, s26, exec_lo
	s_or_b32 s27, s27, s0
	s_or_b32 s24, s24, s28
	s_and_not1_b32 exec_lo, exec_lo, s23
	s_cbranch_execz .LBB261_422
.LBB261_420:                            ; =>This Inner Loop Header: Depth=1
	global_load_u8 v12, v[6:7], off
	global_load_u8 v13, v[8:9], off
	s_and_not1_b32 s26, s26, exec_lo
	s_or_b32 s25, s25, exec_lo
	s_wait_loadcnt 0x1
	v_bfe_i32 v17, v12, 0, 8
	s_wait_loadcnt 0x0
	v_bfe_i32 v20, v13, 0, 8
	v_and_b32_e32 v12, 0xff, v12
	v_and_b32_e32 v13, 0xff, v13
	s_delay_alu instid0(VALU_DEP_3) | instskip(SKIP_2) | instid1(SALU_CYCLE_1)
	v_cmp_le_i16_e32 vcc_lo, v17, v20
	v_cmp_lt_i16_e64 s0, v17, v20
	s_and_b32 s28, vcc_lo, s27
	s_or_b32 s0, s0, s28
	s_delay_alu instid0(SALU_CYCLE_1) | instskip(NEXT) | instid1(SALU_CYCLE_1)
	s_and_b32 s28, s0, exec_lo
	s_or_b32 s26, s26, s28
	s_mov_b32 s28, exec_lo
	v_cmpx_eq_u16_e64 v12, v13
	s_cbranch_execz .LBB261_419
; %bb.421:                              ;   in Loop: Header=BB261_420 Depth=1
	s_add_nc_u64 s[6:7], s[6:7], -1
	v_add_nc_u64_e32 v[6:7], 1, v[6:7]
	s_cmp_eq_u64 s[6:7], 0
	v_add_nc_u64_e32 v[8:9], 1, v[8:9]
	s_cselect_b32 s27, -1, 0
	s_and_not1_b32 s25, s25, exec_lo
	s_and_b32 s27, s27, exec_lo
	s_and_not1_b32 s26, s26, exec_lo
	s_or_b32 s25, s25, s27
                                        ; implicit-def: $sgpr27
	s_branch .LBB261_419
.LBB261_422:
	s_or_b32 exec_lo, exec_lo, s23
	s_xor_b32 s0, s24, -1
	s_branch .LBB261_424
.LBB261_423:
	s_mov_b32 s0, -1
.LBB261_424:
	s_delay_alu instid0(SALU_CYCLE_1)
	s_and_b32 s0, s0, exec_lo
.LBB261_425:
	s_or_b32 exec_lo, exec_lo, s14
	s_delay_alu instid0(SALU_CYCLE_1)
	s_or_not1_b32 s14, s0, exec_lo
.LBB261_426:
	s_or_b32 exec_lo, exec_lo, s22
	v_dual_cndmask_b32 v6, v10, v11, s14 :: v_dual_cndmask_b32 v7, v25, v24, s14
	s_mov_b32 s22, exec_lo
	s_delay_alu instid0(VALU_DEP_1) | instskip(NEXT) | instid1(VALU_DEP_1)
	v_add_nc_u32_e32 v8, 1, v6
	v_add_min_u32_e64 v6, v7, -1, v8
	s_delay_alu instid0(VALU_DEP_1)
	v_lshl_add_u32 v6, v6, 3, v36
	ds_load_b64 v[6:7], v6
	s_wait_dscnt 0x0
	v_dual_cndmask_b32 v17, v6, v15, s14 :: v_dual_cndmask_b32 v12, v8, v10, s14
	v_cndmask_b32_e64 v13, v11, v8, s14
	v_dual_cndmask_b32 v10, v7, v14, s14 :: v_dual_cndmask_b32 v11, v16, v7, s14
	v_cndmask_b32_e64 v23, v22, v6, s14
	s_delay_alu instid0(VALU_DEP_4)
	v_cmpx_lt_u32_e64 v12, v25
	s_cbranch_execz .LBB261_437
; %bb.427:
	s_mov_b32 s0, 0
	s_mov_b32 s15, exec_lo
	v_cmpx_lt_u32_e64 v13, v24
	s_cbranch_execz .LBB261_436
; %bb.428:
	v_cmp_ne_u32_e32 vcc_lo, 1, v35
	s_cbranch_vccnz .LBB261_434
; %bb.429:
	v_mad_nc_u64_u32 v[6:7], v17, s16, s[18:19]
	v_mad_nc_u64_u32 v[8:9], v23, s16, s[18:19]
	s_mov_b32 s23, 0
	s_mov_b64 s[6:7], s[16:17]
                                        ; implicit-def: $sgpr24
                                        ; implicit-def: $sgpr25
                                        ; implicit-def: $sgpr26
                                        ; implicit-def: $sgpr27
	s_delay_alu instid0(VALU_DEP_2) | instskip(NEXT) | instid1(VALU_DEP_2)
	v_mad_u32 v7, v10, s16, v7
	v_mad_u32 v9, v11, s16, v9
	s_delay_alu instid0(VALU_DEP_2) | instskip(NEXT) | instid1(VALU_DEP_2)
	v_mad_u32 v7, v17, s17, v7
	v_mad_u32 v9, v23, s17, v9
	s_branch .LBB261_431
.LBB261_430:                            ;   in Loop: Header=BB261_431 Depth=1
	s_or_b32 exec_lo, exec_lo, s28
	s_delay_alu instid0(SALU_CYCLE_1) | instskip(NEXT) | instid1(SALU_CYCLE_1)
	s_and_b32 s28, exec_lo, s25
	s_or_b32 s23, s28, s23
	s_and_not1_b32 s27, s27, exec_lo
	s_and_b32 s0, s0, exec_lo
	s_and_not1_b32 s24, s24, exec_lo
	s_and_b32 s28, s26, exec_lo
	s_or_b32 s27, s27, s0
	s_or_b32 s24, s24, s28
	s_and_not1_b32 exec_lo, exec_lo, s23
	s_cbranch_execz .LBB261_433
.LBB261_431:                            ; =>This Inner Loop Header: Depth=1
	global_load_u8 v20, v[6:7], off
	global_load_u8 v21, v[8:9], off
	s_and_not1_b32 s26, s26, exec_lo
	s_or_b32 s25, s25, exec_lo
	s_wait_loadcnt 0x1
	v_bfe_i32 v40, v20, 0, 8
	s_wait_loadcnt 0x0
	v_bfe_i32 v41, v21, 0, 8
	v_and_b32_e32 v20, 0xff, v20
	v_and_b32_e32 v21, 0xff, v21
	s_delay_alu instid0(VALU_DEP_3) | instskip(SKIP_2) | instid1(SALU_CYCLE_1)
	v_cmp_le_i16_e32 vcc_lo, v40, v41
	v_cmp_lt_i16_e64 s0, v40, v41
	s_and_b32 s28, vcc_lo, s27
	s_or_b32 s0, s0, s28
	s_delay_alu instid0(SALU_CYCLE_1) | instskip(NEXT) | instid1(SALU_CYCLE_1)
	s_and_b32 s28, s0, exec_lo
	s_or_b32 s26, s26, s28
	s_mov_b32 s28, exec_lo
	v_cmpx_eq_u16_e64 v20, v21
	s_cbranch_execz .LBB261_430
; %bb.432:                              ;   in Loop: Header=BB261_431 Depth=1
	s_add_nc_u64 s[6:7], s[6:7], -1
	v_add_nc_u64_e32 v[6:7], 1, v[6:7]
	s_cmp_eq_u64 s[6:7], 0
	v_add_nc_u64_e32 v[8:9], 1, v[8:9]
	s_cselect_b32 s27, -1, 0
	s_and_not1_b32 s25, s25, exec_lo
	s_and_b32 s27, s27, exec_lo
	s_and_not1_b32 s26, s26, exec_lo
	s_or_b32 s25, s25, s27
                                        ; implicit-def: $sgpr27
	s_branch .LBB261_430
.LBB261_433:
	s_or_b32 exec_lo, exec_lo, s23
	s_xor_b32 s0, s24, -1
	s_branch .LBB261_435
.LBB261_434:
	s_mov_b32 s0, -1
.LBB261_435:
	s_delay_alu instid0(SALU_CYCLE_1)
	s_and_b32 s0, s0, exec_lo
.LBB261_436:
	s_or_b32 exec_lo, exec_lo, s15
	s_delay_alu instid0(SALU_CYCLE_1)
	s_or_not1_b32 s15, s0, exec_lo
.LBB261_437:
	s_or_b32 exec_lo, exec_lo, s22
	v_dual_cndmask_b32 v6, v12, v13, s15 :: v_dual_cndmask_b32 v7, v25, v24, s15
	s_mov_b32 s23, -1
	s_mov_b32 s22, -1
	s_mov_b32 s24, exec_lo
	s_delay_alu instid0(VALU_DEP_1) | instskip(NEXT) | instid1(VALU_DEP_1)
	v_add_nc_u32_e32 v8, 1, v6
	v_add_min_u32_e64 v6, v7, -1, v8
	s_delay_alu instid0(VALU_DEP_1)
	v_lshl_add_u32 v6, v6, 3, v36
	ds_load_b64 v[6:7], v6
	s_wait_dscnt 0x0
	v_dual_cndmask_b32 v40, v6, v17, s15 :: v_dual_cndmask_b32 v20, v8, v12, s15
	v_dual_cndmask_b32 v12, v7, v10, s15 :: v_dual_cndmask_b32 v21, v13, v8, s15
	v_cndmask_b32_e64 v13, v11, v7, s15
	v_cndmask_b32_e64 v41, v23, v6, s15
	s_delay_alu instid0(VALU_DEP_4)
	v_cmpx_lt_u32_e64 v20, v25
	s_cbranch_execz .LBB261_448
; %bb.438:
	s_mov_b32 s0, 0
	s_mov_b32 s22, exec_lo
	v_cmpx_lt_u32_e64 v21, v24
	s_cbranch_execz .LBB261_447
; %bb.439:
	v_cmp_ne_u32_e32 vcc_lo, 1, v35
	s_cbranch_vccnz .LBB261_445
; %bb.440:
	v_mad_nc_u64_u32 v[6:7], v40, s16, s[18:19]
	v_mad_nc_u64_u32 v[8:9], v41, s16, s[18:19]
	s_mov_b32 s25, 0
	s_mov_b64 s[6:7], s[16:17]
                                        ; implicit-def: $sgpr26
                                        ; implicit-def: $sgpr27
                                        ; implicit-def: $sgpr28
                                        ; implicit-def: $sgpr29
	s_delay_alu instid0(VALU_DEP_2) | instskip(NEXT) | instid1(VALU_DEP_2)
	v_mad_u32 v7, v12, s16, v7
	v_mad_u32 v9, v13, s16, v9
	s_delay_alu instid0(VALU_DEP_2) | instskip(NEXT) | instid1(VALU_DEP_2)
	v_mad_u32 v7, v40, s17, v7
	v_mad_u32 v9, v41, s17, v9
	s_branch .LBB261_442
.LBB261_441:                            ;   in Loop: Header=BB261_442 Depth=1
	s_or_b32 exec_lo, exec_lo, s30
	s_delay_alu instid0(SALU_CYCLE_1) | instskip(NEXT) | instid1(SALU_CYCLE_1)
	s_and_b32 s30, exec_lo, s27
	s_or_b32 s25, s30, s25
	s_and_not1_b32 s29, s29, exec_lo
	s_and_b32 s0, s0, exec_lo
	s_and_not1_b32 s26, s26, exec_lo
	s_and_b32 s30, s28, exec_lo
	s_or_b32 s29, s29, s0
	s_or_b32 s26, s26, s30
	s_and_not1_b32 exec_lo, exec_lo, s25
	s_cbranch_execz .LBB261_444
.LBB261_442:                            ; =>This Inner Loop Header: Depth=1
	global_load_u8 v42, v[6:7], off
	global_load_u8 v43, v[8:9], off
	s_and_not1_b32 s28, s28, exec_lo
	s_or_b32 s27, s27, exec_lo
	s_wait_loadcnt 0x1
	v_bfe_i32 v44, v42, 0, 8
	s_wait_loadcnt 0x0
	v_bfe_i32 v45, v43, 0, 8
	v_and_b32_e32 v42, 0xff, v42
	v_and_b32_e32 v43, 0xff, v43
	s_delay_alu instid0(VALU_DEP_3) | instskip(SKIP_2) | instid1(SALU_CYCLE_1)
	v_cmp_le_i16_e32 vcc_lo, v44, v45
	v_cmp_lt_i16_e64 s0, v44, v45
	s_and_b32 s30, vcc_lo, s29
	s_or_b32 s0, s0, s30
	s_delay_alu instid0(SALU_CYCLE_1) | instskip(NEXT) | instid1(SALU_CYCLE_1)
	s_and_b32 s30, s0, exec_lo
	s_or_b32 s28, s28, s30
	s_mov_b32 s30, exec_lo
	v_cmpx_eq_u16_e64 v42, v43
	s_cbranch_execz .LBB261_441
; %bb.443:                              ;   in Loop: Header=BB261_442 Depth=1
	s_add_nc_u64 s[6:7], s[6:7], -1
	v_add_nc_u64_e32 v[6:7], 1, v[6:7]
	s_cmp_eq_u64 s[6:7], 0
	v_add_nc_u64_e32 v[8:9], 1, v[8:9]
	s_cselect_b32 s29, -1, 0
	s_and_not1_b32 s27, s27, exec_lo
	s_and_b32 s29, s29, exec_lo
	s_and_not1_b32 s28, s28, exec_lo
	s_or_b32 s27, s27, s29
                                        ; implicit-def: $sgpr29
	s_branch .LBB261_441
.LBB261_444:
	s_or_b32 exec_lo, exec_lo, s25
	s_xor_b32 s0, s26, -1
	s_branch .LBB261_446
.LBB261_445:
	s_mov_b32 s0, -1
.LBB261_446:
	s_delay_alu instid0(SALU_CYCLE_1)
	s_and_b32 s0, s0, exec_lo
.LBB261_447:
	s_or_b32 exec_lo, exec_lo, s22
	s_delay_alu instid0(SALU_CYCLE_1)
	s_or_not1_b32 s22, s0, exec_lo
.LBB261_448:
	s_or_b32 exec_lo, exec_lo, s24
	v_dual_cndmask_b32 v6, v20, v21, s22 :: v_dual_cndmask_b32 v7, v25, v24, s22
	s_mov_b32 s24, exec_lo
	s_delay_alu instid0(VALU_DEP_1) | instskip(NEXT) | instid1(VALU_DEP_1)
	v_add_nc_u32_e32 v8, 1, v6
	v_add_min_u32_e64 v6, v7, -1, v8
	s_delay_alu instid0(VALU_DEP_1)
	v_lshl_add_u32 v6, v6, 3, v36
	ds_load_b64 v[6:7], v6
	s_wait_dscnt 0x0
	v_cndmask_b32_e64 v42, v7, v12, s22
	v_dual_cndmask_b32 v20, v8, v20, s22 :: v_dual_cndmask_b32 v44, v13, v7, s22
	v_cndmask_b32_e64 v21, v21, v8, s22
	v_dual_cndmask_b32 v43, v6, v40, s22 :: v_dual_cndmask_b32 v45, v41, v6, s22
	s_delay_alu instid0(VALU_DEP_3)
	v_cmpx_lt_u32_e64 v20, v25
	s_cbranch_execz .LBB261_459
; %bb.449:
	s_mov_b32 s0, 0
	s_mov_b32 s23, exec_lo
	v_cmpx_lt_u32_e64 v21, v24
	s_cbranch_execz .LBB261_458
; %bb.450:
	v_cmp_ne_u32_e32 vcc_lo, 1, v35
	s_cbranch_vccnz .LBB261_456
; %bb.451:
	v_mad_nc_u64_u32 v[6:7], v43, s16, s[18:19]
	v_mad_nc_u64_u32 v[8:9], v45, s16, s[18:19]
	s_mov_b32 s25, 0
	s_mov_b64 s[6:7], s[16:17]
                                        ; implicit-def: $sgpr26
                                        ; implicit-def: $sgpr27
                                        ; implicit-def: $sgpr28
                                        ; implicit-def: $sgpr29
	s_delay_alu instid0(VALU_DEP_2) | instskip(NEXT) | instid1(VALU_DEP_2)
	v_mad_u32 v7, v42, s16, v7
	v_mad_u32 v9, v44, s16, v9
	s_delay_alu instid0(VALU_DEP_2) | instskip(NEXT) | instid1(VALU_DEP_2)
	v_mad_u32 v7, v43, s17, v7
	v_mad_u32 v9, v45, s17, v9
	s_branch .LBB261_453
.LBB261_452:                            ;   in Loop: Header=BB261_453 Depth=1
	s_or_b32 exec_lo, exec_lo, s30
	s_delay_alu instid0(SALU_CYCLE_1) | instskip(NEXT) | instid1(SALU_CYCLE_1)
	s_and_b32 s30, exec_lo, s27
	s_or_b32 s25, s30, s25
	s_and_not1_b32 s29, s29, exec_lo
	s_and_b32 s0, s0, exec_lo
	s_and_not1_b32 s26, s26, exec_lo
	s_and_b32 s30, s28, exec_lo
	s_or_b32 s29, s29, s0
	s_or_b32 s26, s26, s30
	s_and_not1_b32 exec_lo, exec_lo, s25
	s_cbranch_execz .LBB261_455
.LBB261_453:                            ; =>This Inner Loop Header: Depth=1
	global_load_u8 v46, v[6:7], off
	global_load_u8 v47, v[8:9], off
	s_and_not1_b32 s28, s28, exec_lo
	s_or_b32 s27, s27, exec_lo
	s_wait_loadcnt 0x1
	v_bfe_i32 v48, v46, 0, 8
	s_wait_loadcnt 0x0
	v_bfe_i32 v49, v47, 0, 8
	v_and_b32_e32 v46, 0xff, v46
	v_and_b32_e32 v47, 0xff, v47
	s_delay_alu instid0(VALU_DEP_3) | instskip(SKIP_2) | instid1(SALU_CYCLE_1)
	v_cmp_le_i16_e32 vcc_lo, v48, v49
	v_cmp_lt_i16_e64 s0, v48, v49
	s_and_b32 s30, vcc_lo, s29
	s_or_b32 s0, s0, s30
	s_delay_alu instid0(SALU_CYCLE_1) | instskip(NEXT) | instid1(SALU_CYCLE_1)
	s_and_b32 s30, s0, exec_lo
	s_or_b32 s28, s28, s30
	s_mov_b32 s30, exec_lo
	v_cmpx_eq_u16_e64 v46, v47
	s_cbranch_execz .LBB261_452
; %bb.454:                              ;   in Loop: Header=BB261_453 Depth=1
	s_add_nc_u64 s[6:7], s[6:7], -1
	v_add_nc_u64_e32 v[6:7], 1, v[6:7]
	s_cmp_eq_u64 s[6:7], 0
	v_add_nc_u64_e32 v[8:9], 1, v[8:9]
	s_cselect_b32 s29, -1, 0
	s_and_not1_b32 s27, s27, exec_lo
	s_and_b32 s29, s29, exec_lo
	s_and_not1_b32 s28, s28, exec_lo
	s_or_b32 s27, s27, s29
                                        ; implicit-def: $sgpr29
	s_branch .LBB261_452
.LBB261_455:
	s_or_b32 exec_lo, exec_lo, s25
	s_xor_b32 s0, s26, -1
	s_branch .LBB261_457
.LBB261_456:
	s_mov_b32 s0, -1
.LBB261_457:
	s_delay_alu instid0(SALU_CYCLE_1)
	s_and_b32 s0, s0, exec_lo
.LBB261_458:
	s_or_b32 exec_lo, exec_lo, s23
	s_delay_alu instid0(SALU_CYCLE_1)
	s_or_not1_b32 s23, s0, exec_lo
.LBB261_459:
	s_or_b32 exec_lo, exec_lo, s24
	v_dual_cndmask_b32 v6, v20, v21, s23 :: v_dual_cndmask_b32 v7, v25, v24, s23
	s_mov_b32 s24, -1
	s_mov_b32 s25, -1
	s_mov_b32 s26, exec_lo
	s_delay_alu instid0(VALU_DEP_1) | instskip(NEXT) | instid1(VALU_DEP_1)
	v_add_nc_u32_e32 v8, 1, v6
	v_add_min_u32_e64 v6, v7, -1, v8
	s_delay_alu instid0(VALU_DEP_1)
	v_lshl_add_u32 v6, v6, 3, v36
	ds_load_b64 v[6:7], v6
	s_wait_dscnt 0x0
	v_dual_cndmask_b32 v46, v7, v42, s23 :: v_dual_cndmask_b32 v47, v6, v43, s23
	v_cndmask_b32_e64 v20, v8, v20, s23
	v_dual_cndmask_b32 v21, v21, v8, s23 :: v_dual_cndmask_b32 v48, v44, v7, s23
	v_cndmask_b32_e64 v49, v45, v6, s23
	s_delay_alu instid0(VALU_DEP_3)
	v_cmpx_lt_u32_e64 v20, v25
	s_cbranch_execz .LBB261_470
; %bb.460:
	s_mov_b32 s0, 0
	s_mov_b32 s25, exec_lo
	v_cmpx_lt_u32_e64 v21, v24
	s_cbranch_execz .LBB261_469
; %bb.461:
	v_cmp_ne_u32_e32 vcc_lo, 1, v35
	s_cbranch_vccnz .LBB261_467
; %bb.462:
	v_mad_nc_u64_u32 v[6:7], v47, s16, s[18:19]
	v_mad_nc_u64_u32 v[8:9], v49, s16, s[18:19]
	s_mov_b32 s27, 0
	s_mov_b64 s[6:7], s[16:17]
                                        ; implicit-def: $sgpr28
                                        ; implicit-def: $sgpr29
                                        ; implicit-def: $sgpr30
                                        ; implicit-def: $sgpr31
	s_delay_alu instid0(VALU_DEP_2) | instskip(NEXT) | instid1(VALU_DEP_2)
	v_mad_u32 v7, v46, s16, v7
	v_mad_u32 v9, v48, s16, v9
	s_delay_alu instid0(VALU_DEP_2) | instskip(NEXT) | instid1(VALU_DEP_2)
	v_mad_u32 v7, v47, s17, v7
	v_mad_u32 v9, v49, s17, v9
	s_branch .LBB261_464
.LBB261_463:                            ;   in Loop: Header=BB261_464 Depth=1
	s_or_b32 exec_lo, exec_lo, s33
	s_delay_alu instid0(SALU_CYCLE_1) | instskip(NEXT) | instid1(SALU_CYCLE_1)
	s_and_b32 s33, exec_lo, s29
	s_or_b32 s27, s33, s27
	s_and_not1_b32 s31, s31, exec_lo
	s_and_b32 s0, s0, exec_lo
	s_and_not1_b32 s28, s28, exec_lo
	s_and_b32 s33, s30, exec_lo
	s_or_b32 s31, s31, s0
	s_or_b32 s28, s28, s33
	s_and_not1_b32 exec_lo, exec_lo, s27
	s_cbranch_execz .LBB261_466
.LBB261_464:                            ; =>This Inner Loop Header: Depth=1
	global_load_u8 v50, v[6:7], off
	global_load_u8 v51, v[8:9], off
	s_and_not1_b32 s30, s30, exec_lo
	s_or_b32 s29, s29, exec_lo
	s_wait_loadcnt 0x1
	v_bfe_i32 v52, v50, 0, 8
	s_wait_loadcnt 0x0
	v_bfe_i32 v53, v51, 0, 8
	v_and_b32_e32 v50, 0xff, v50
	v_and_b32_e32 v51, 0xff, v51
	s_delay_alu instid0(VALU_DEP_3) | instskip(SKIP_2) | instid1(SALU_CYCLE_1)
	v_cmp_le_i16_e32 vcc_lo, v52, v53
	v_cmp_lt_i16_e64 s0, v52, v53
	s_and_b32 s33, vcc_lo, s31
	s_or_b32 s0, s0, s33
	s_delay_alu instid0(SALU_CYCLE_1) | instskip(NEXT) | instid1(SALU_CYCLE_1)
	s_and_b32 s33, s0, exec_lo
	s_or_b32 s30, s30, s33
	s_mov_b32 s33, exec_lo
	v_cmpx_eq_u16_e64 v50, v51
	s_cbranch_execz .LBB261_463
; %bb.465:                              ;   in Loop: Header=BB261_464 Depth=1
	s_add_nc_u64 s[6:7], s[6:7], -1
	v_add_nc_u64_e32 v[6:7], 1, v[6:7]
	s_cmp_eq_u64 s[6:7], 0
	v_add_nc_u64_e32 v[8:9], 1, v[8:9]
	s_cselect_b32 s31, -1, 0
	s_and_not1_b32 s29, s29, exec_lo
	s_and_b32 s31, s31, exec_lo
	s_and_not1_b32 s30, s30, exec_lo
	s_or_b32 s29, s29, s31
                                        ; implicit-def: $sgpr31
	s_branch .LBB261_463
.LBB261_466:
	s_or_b32 exec_lo, exec_lo, s27
	s_xor_b32 s0, s28, -1
	s_branch .LBB261_468
.LBB261_467:
	s_mov_b32 s0, -1
.LBB261_468:
	s_delay_alu instid0(SALU_CYCLE_1)
	s_and_b32 s0, s0, exec_lo
.LBB261_469:
	s_or_b32 exec_lo, exec_lo, s25
	s_delay_alu instid0(SALU_CYCLE_1)
	s_or_not1_b32 s25, s0, exec_lo
.LBB261_470:
	s_or_b32 exec_lo, exec_lo, s26
	v_dual_cndmask_b32 v6, v20, v21, s25 :: v_dual_cndmask_b32 v7, v25, v24, s25
	s_mov_b32 s26, exec_lo
	s_delay_alu instid0(VALU_DEP_1) | instskip(NEXT) | instid1(VALU_DEP_1)
	v_add_nc_u32_e32 v8, 1, v6
	v_add_min_u32_e64 v6, v7, -1, v8
	s_delay_alu instid0(VALU_DEP_1)
	v_lshl_add_u32 v6, v6, 3, v36
	ds_load_b64 v[6:7], v6
	s_wait_dscnt 0x0
	v_dual_cndmask_b32 v51, v7, v46, s25 :: v_dual_cndmask_b32 v52, v6, v47, s25
	v_cndmask_b32_e64 v53, v8, v20, s25
	v_dual_cndmask_b32 v50, v21, v8, s25 :: v_dual_cndmask_b32 v54, v48, v7, s25
	v_cndmask_b32_e64 v55, v49, v6, s25
	s_delay_alu instid0(VALU_DEP_3)
	v_cmpx_lt_u32_e64 v53, v25
	s_cbranch_execz .LBB261_481
; %bb.471:
	s_mov_b32 s0, 0
	s_mov_b32 s24, exec_lo
	v_cmpx_lt_u32_e64 v50, v24
	s_cbranch_execz .LBB261_480
; %bb.472:
	v_cmp_ne_u32_e32 vcc_lo, 1, v35
	s_cbranch_vccnz .LBB261_478
; %bb.473:
	v_mad_nc_u64_u32 v[6:7], v52, s16, s[18:19]
	v_mad_nc_u64_u32 v[8:9], v55, s16, s[18:19]
	s_mov_b32 s27, 0
	s_mov_b64 s[6:7], s[16:17]
                                        ; implicit-def: $sgpr28
                                        ; implicit-def: $sgpr29
                                        ; implicit-def: $sgpr30
                                        ; implicit-def: $sgpr31
	s_delay_alu instid0(VALU_DEP_2) | instskip(NEXT) | instid1(VALU_DEP_2)
	v_mad_u32 v7, v51, s16, v7
	v_mad_u32 v9, v54, s16, v9
	s_delay_alu instid0(VALU_DEP_2) | instskip(NEXT) | instid1(VALU_DEP_2)
	v_mad_u32 v7, v52, s17, v7
	v_mad_u32 v9, v55, s17, v9
	s_branch .LBB261_475
.LBB261_474:                            ;   in Loop: Header=BB261_475 Depth=1
	s_or_b32 exec_lo, exec_lo, s33
	s_delay_alu instid0(SALU_CYCLE_1) | instskip(NEXT) | instid1(SALU_CYCLE_1)
	s_and_b32 s33, exec_lo, s29
	s_or_b32 s27, s33, s27
	s_and_not1_b32 s31, s31, exec_lo
	s_and_b32 s0, s0, exec_lo
	s_and_not1_b32 s28, s28, exec_lo
	s_and_b32 s33, s30, exec_lo
	s_or_b32 s31, s31, s0
	s_or_b32 s28, s28, s33
	s_and_not1_b32 exec_lo, exec_lo, s27
	s_cbranch_execz .LBB261_477
.LBB261_475:                            ; =>This Inner Loop Header: Depth=1
	global_load_u8 v20, v[6:7], off
	global_load_u8 v21, v[8:9], off
	s_and_not1_b32 s30, s30, exec_lo
	s_or_b32 s29, s29, exec_lo
	s_wait_loadcnt 0x1
	v_bfe_i32 v56, v20, 0, 8
	s_wait_loadcnt 0x0
	v_bfe_i32 v57, v21, 0, 8
	v_and_b32_e32 v20, 0xff, v20
	v_and_b32_e32 v21, 0xff, v21
	s_delay_alu instid0(VALU_DEP_3) | instskip(SKIP_2) | instid1(SALU_CYCLE_1)
	v_cmp_le_i16_e32 vcc_lo, v56, v57
	v_cmp_lt_i16_e64 s0, v56, v57
	s_and_b32 s33, vcc_lo, s31
	s_or_b32 s0, s0, s33
	s_delay_alu instid0(SALU_CYCLE_1) | instskip(NEXT) | instid1(SALU_CYCLE_1)
	s_and_b32 s33, s0, exec_lo
	s_or_b32 s30, s30, s33
	s_mov_b32 s33, exec_lo
	v_cmpx_eq_u16_e64 v20, v21
	s_cbranch_execz .LBB261_474
; %bb.476:                              ;   in Loop: Header=BB261_475 Depth=1
	s_add_nc_u64 s[6:7], s[6:7], -1
	v_add_nc_u64_e32 v[6:7], 1, v[6:7]
	s_cmp_eq_u64 s[6:7], 0
	v_add_nc_u64_e32 v[8:9], 1, v[8:9]
	s_cselect_b32 s31, -1, 0
	s_and_not1_b32 s29, s29, exec_lo
	s_and_b32 s31, s31, exec_lo
	s_and_not1_b32 s30, s30, exec_lo
	s_or_b32 s29, s29, s31
                                        ; implicit-def: $sgpr31
	s_branch .LBB261_474
.LBB261_477:
	s_or_b32 exec_lo, exec_lo, s27
	s_xor_b32 s0, s28, -1
	s_branch .LBB261_479
.LBB261_478:
	s_mov_b32 s0, -1
.LBB261_479:
	s_delay_alu instid0(SALU_CYCLE_1)
	s_and_b32 s0, s0, exec_lo
.LBB261_480:
	s_or_b32 exec_lo, exec_lo, s24
	s_delay_alu instid0(SALU_CYCLE_1)
	s_or_not1_b32 s24, s0, exec_lo
.LBB261_481:
	s_or_b32 exec_lo, exec_lo, s26
	v_dual_cndmask_b32 v6, v53, v50, s24 :: v_dual_cndmask_b32 v9, v46, v48, s25
	v_dual_cndmask_b32 v7, v25, v24, s24 :: v_dual_cndmask_b32 v8, v47, v49, s25
	s_delay_alu instid0(VALU_DEP_2) | instskip(SKIP_2) | instid1(VALU_DEP_3)
	v_dual_cndmask_b32 v13, v12, v13, s22 :: v_dual_add_nc_u32 v56, 1, v6
	v_dual_cndmask_b32 v12, v40, v41, s22 :: v_dual_cndmask_b32 v11, v10, v11, s15
	v_dual_cndmask_b32 v10, v17, v23, s15 :: v_dual_cndmask_b32 v17, v14, v16, s14
	v_add_min_u32_e64 v6, v7, -1, v56
	v_dual_cndmask_b32 v7, v42, v44, s23 :: v_dual_cndmask_b32 v16, v15, v22, s14
	v_dual_cndmask_b32 v15, v5, v3, s5 :: v_dual_cndmask_b32 v22, v56, v53, s24
	v_cndmask_b32_e64 v3, v51, v54, s24
	s_delay_alu instid0(VALU_DEP_4)
	v_lshl_add_u32 v6, v6, 3, v36
	ds_load_b64 v[20:21], v6
	v_dual_cndmask_b32 v6, v43, v45, s23 :: v_dual_cndmask_b32 v14, v4, v2, s5
	v_cndmask_b32_e64 v2, v52, v55, s24
	s_mov_b32 s5, exec_lo
	s_wait_dscnt 0x0
	v_dual_cndmask_b32 v5, v54, v21, s24 :: v_dual_cndmask_b32 v4, v55, v20, s24
	v_cmpx_lt_u32_e64 v22, v25
	s_cbranch_execz .LBB261_491
; %bb.482:
	v_dual_cndmask_b32 v22, v50, v56, s24 :: v_dual_cndmask_b32 v21, v21, v51, s24
	v_cndmask_b32_e64 v20, v20, v52, s24
	s_mov_b32 s14, exec_lo
	s_delay_alu instid0(VALU_DEP_2)
	v_cmpx_lt_u32_e64 v22, v24
	s_cbranch_execz .LBB261_490
; %bb.483:
	v_cmp_ne_u32_e32 vcc_lo, 1, v35
	s_cbranch_vccnz .LBB261_489
; %bb.484:
	v_mad_nc_u64_u32 v[22:23], v20, s16, s[18:19]
	v_mad_nc_u64_u32 v[24:25], v4, s16, s[18:19]
	s_mov_b32 s15, 0
	s_mov_b64 s[6:7], s[16:17]
                                        ; implicit-def: $sgpr22
                                        ; implicit-def: $sgpr23
                                        ; implicit-def: $sgpr24
                                        ; implicit-def: $sgpr25
	s_delay_alu instid0(VALU_DEP_2) | instskip(NEXT) | instid1(VALU_DEP_2)
	v_mad_u32 v23, v21, s16, v23
	v_mad_u32 v25, v5, s16, v25
	s_delay_alu instid0(VALU_DEP_2) | instskip(NEXT) | instid1(VALU_DEP_2)
	v_mad_u32 v23, v20, s17, v23
	v_mad_u32 v25, v4, s17, v25
	s_branch .LBB261_486
.LBB261_485:                            ;   in Loop: Header=BB261_486 Depth=1
	s_or_b32 exec_lo, exec_lo, s26
	s_delay_alu instid0(SALU_CYCLE_1) | instskip(NEXT) | instid1(SALU_CYCLE_1)
	s_and_b32 s26, exec_lo, s23
	s_or_b32 s15, s26, s15
	s_and_not1_b32 s25, s25, exec_lo
	s_and_b32 s0, s0, exec_lo
	s_and_not1_b32 s22, s22, exec_lo
	s_and_b32 s26, s24, exec_lo
	s_or_b32 s25, s25, s0
	s_or_b32 s22, s22, s26
	s_and_not1_b32 exec_lo, exec_lo, s15
	s_cbranch_execz .LBB261_488
.LBB261_486:                            ; =>This Inner Loop Header: Depth=1
	global_load_u8 v40, v[22:23], off
	global_load_u8 v41, v[24:25], off
	s_and_not1_b32 s24, s24, exec_lo
	s_or_b32 s23, s23, exec_lo
	s_wait_loadcnt 0x1
	v_bfe_i32 v42, v40, 0, 8
	s_wait_loadcnt 0x0
	v_bfe_i32 v43, v41, 0, 8
	v_and_b32_e32 v40, 0xff, v40
	v_and_b32_e32 v41, 0xff, v41
	s_delay_alu instid0(VALU_DEP_3) | instskip(SKIP_2) | instid1(SALU_CYCLE_1)
	v_cmp_le_i16_e32 vcc_lo, v42, v43
	v_cmp_lt_i16_e64 s0, v42, v43
	s_and_b32 s26, vcc_lo, s25
	s_or_b32 s0, s0, s26
	s_delay_alu instid0(SALU_CYCLE_1) | instskip(NEXT) | instid1(SALU_CYCLE_1)
	s_and_b32 s26, s0, exec_lo
	s_or_b32 s24, s24, s26
	s_mov_b32 s26, exec_lo
	v_cmpx_eq_u16_e64 v40, v41
	s_cbranch_execz .LBB261_485
; %bb.487:                              ;   in Loop: Header=BB261_486 Depth=1
	s_add_nc_u64 s[6:7], s[6:7], -1
	v_add_nc_u64_e32 v[22:23], 1, v[22:23]
	s_cmp_eq_u64 s[6:7], 0
	v_add_nc_u64_e32 v[24:25], 1, v[24:25]
	s_cselect_b32 s25, -1, 0
	s_and_not1_b32 s23, s23, exec_lo
	s_and_b32 s25, s25, exec_lo
	s_and_not1_b32 s24, s24, exec_lo
	s_or_b32 s23, s23, s25
                                        ; implicit-def: $sgpr25
	s_branch .LBB261_485
.LBB261_488:
	s_or_b32 exec_lo, exec_lo, s15
	v_dual_cndmask_b32 v5, v5, v21, s22 :: v_dual_cndmask_b32 v4, v4, v20, s22
.LBB261_489:
	s_delay_alu instid0(VALU_DEP_1)
	v_mov_b64_e32 v[20:21], v[4:5]
.LBB261_490:
	s_or_b32 exec_lo, exec_lo, s14
	s_delay_alu instid0(VALU_DEP_1)
	v_mov_b64_e32 v[4:5], v[20:21]
.LBB261_491:
	s_or_b32 exec_lo, exec_lo, s5
.LBB261_492:
	s_delay_alu instid0(SALU_CYCLE_1)
	s_or_b32 exec_lo, exec_lo, s1
	v_and_b32_e32 v40, 0x80, v38
	s_mov_b32 s1, exec_lo
	; wave barrier
	ds_store_b128 v39, v[14:17]
	ds_store_b128 v39, v[10:13] offset:16
	v_or_b32_e32 v20, 64, v40
	ds_store_b128 v39, v[6:9] offset:32
	ds_store_b128 v39, v[2:5] offset:48
	; wave barrier
	v_min_u32_e32 v24, v37, v20
	v_and_b32_e32 v20, 0x78, v38
	v_lshl_add_u32 v38, v40, 3, v36
	s_delay_alu instid0(VALU_DEP_3) | instskip(NEXT) | instid1(VALU_DEP_3)
	v_add_min_u32_e64 v25, v24, 64, v37
	v_min_u32_e32 v41, v37, v20
	v_sub_nc_u32_e32 v21, v24, v40
	s_delay_alu instid0(VALU_DEP_3) | instskip(NEXT) | instid1(VALU_DEP_2)
	v_sub_nc_u32_e32 v20, v25, v24
	v_min_u32_e32 v42, v41, v21
	s_delay_alu instid0(VALU_DEP_2) | instskip(NEXT) | instid1(VALU_DEP_1)
	v_sub_nc_u32_e64 v37, v41, v20 clamp
	v_cmpx_lt_u32_e64 v37, v42
	s_cbranch_execz .LBB261_502
; %bb.493:
	v_dual_lshlrev_b32 v20, 3, v24 :: v_dual_lshlrev_b32 v21, 3, v41
	s_mov_b32 s5, 0
	s_delay_alu instid0(VALU_DEP_1)
	v_add3_u32 v39, v36, v20, v21
	s_branch .LBB261_496
.LBB261_494:                            ;   in Loop: Header=BB261_496 Depth=1
	s_or_b32 exec_lo, exec_lo, s15
.LBB261_495:                            ;   in Loop: Header=BB261_496 Depth=1
	s_delay_alu instid0(VALU_DEP_1) | instskip(NEXT) | instid1(VALU_DEP_1)
	v_dual_add_nc_u32 v20, 1, v43 :: v_dual_cndmask_b32 v42, v42, v43, s14
	v_cndmask_b32_e64 v37, v20, v37, s14
	s_delay_alu instid0(VALU_DEP_1) | instskip(SKIP_1) | instid1(SALU_CYCLE_1)
	v_cmp_ge_u32_e32 vcc_lo, v37, v42
	s_or_b32 s5, vcc_lo, s5
	s_and_not1_b32 exec_lo, exec_lo, s5
	s_cbranch_execz .LBB261_501
.LBB261_496:                            ; =>This Loop Header: Depth=1
                                        ;     Child Loop BB261_499 Depth 2
	v_add_nc_u32_e32 v20, v42, v37
	v_cmp_ne_u32_e32 vcc_lo, 1, v35
	s_mov_b32 s14, 0
	s_delay_alu instid0(VALU_DEP_2)
	v_lshrrev_b32_e32 v43, 1, v20
	s_cbranch_vccnz .LBB261_495
; %bb.497:                              ;   in Loop: Header=BB261_496 Depth=1
	s_delay_alu instid0(VALU_DEP_1) | instskip(SKIP_3) | instid1(VALU_DEP_2)
	v_not_b32_e32 v20, v43
	v_lshl_add_u32 v21, v43, 3, v38
	s_mov_b32 s15, 0
	s_mov_b64 s[6:7], s[16:17]
                                        ; implicit-def: $sgpr14
                                        ; implicit-def: $sgpr22
                                        ; implicit-def: $sgpr23
                                        ; implicit-def: $sgpr24
	v_lshl_add_u32 v20, v20, 3, v39
	ds_load_b64 v[44:45], v20
	ds_load_b64 v[46:47], v21
	s_wait_dscnt 0x1
	v_mad_nc_u64_u32 v[20:21], v44, s16, s[18:19]
	s_wait_dscnt 0x0
	v_mad_nc_u64_u32 v[22:23], v46, s16, s[18:19]
	s_delay_alu instid0(VALU_DEP_2) | instskip(NEXT) | instid1(VALU_DEP_2)
	v_mad_u32 v21, v45, s16, v21
	v_mad_u32 v23, v47, s16, v23
	s_delay_alu instid0(VALU_DEP_2) | instskip(NEXT) | instid1(VALU_DEP_2)
	v_mad_u32 v21, v44, s17, v21
	v_mad_u32 v23, v46, s17, v23
	s_branch .LBB261_499
.LBB261_498:                            ;   in Loop: Header=BB261_499 Depth=2
	s_or_b32 exec_lo, exec_lo, s25
	s_delay_alu instid0(SALU_CYCLE_1) | instskip(NEXT) | instid1(SALU_CYCLE_1)
	s_and_b32 s25, exec_lo, s22
	s_or_b32 s15, s25, s15
	s_and_not1_b32 s24, s24, exec_lo
	s_and_b32 s0, s0, exec_lo
	s_and_not1_b32 s14, s14, exec_lo
	s_and_b32 s25, s23, exec_lo
	s_or_b32 s24, s24, s0
	s_or_b32 s14, s14, s25
	s_and_not1_b32 exec_lo, exec_lo, s15
	s_cbranch_execz .LBB261_494
.LBB261_499:                            ;   Parent Loop BB261_496 Depth=1
                                        ; =>  This Inner Loop Header: Depth=2
	global_load_u8 v44, v[20:21], off
	global_load_u8 v45, v[22:23], off
	s_and_not1_b32 s23, s23, exec_lo
	s_or_b32 s22, s22, exec_lo
	s_wait_loadcnt 0x1
	v_bfe_i32 v46, v44, 0, 8
	s_wait_loadcnt 0x0
	v_bfe_i32 v47, v45, 0, 8
	v_and_b32_e32 v44, 0xff, v44
	v_and_b32_e32 v45, 0xff, v45
	s_delay_alu instid0(VALU_DEP_3) | instskip(SKIP_2) | instid1(SALU_CYCLE_1)
	v_cmp_le_i16_e32 vcc_lo, v46, v47
	v_cmp_lt_i16_e64 s0, v46, v47
	s_and_b32 s25, vcc_lo, s24
	s_or_b32 s0, s0, s25
	s_delay_alu instid0(SALU_CYCLE_1) | instskip(NEXT) | instid1(SALU_CYCLE_1)
	s_and_b32 s25, s0, exec_lo
	s_or_b32 s23, s23, s25
	s_mov_b32 s25, exec_lo
	v_cmpx_eq_u16_e64 v44, v45
	s_cbranch_execz .LBB261_498
; %bb.500:                              ;   in Loop: Header=BB261_499 Depth=2
	s_add_nc_u64 s[6:7], s[6:7], -1
	v_add_nc_u64_e32 v[20:21], 1, v[20:21]
	s_cmp_eq_u64 s[6:7], 0
	v_add_nc_u64_e32 v[22:23], 1, v[22:23]
	s_cselect_b32 s24, -1, 0
	s_and_not1_b32 s22, s22, exec_lo
	s_and_b32 s24, s24, exec_lo
	s_and_not1_b32 s23, s23, exec_lo
	s_or_b32 s22, s22, s24
                                        ; implicit-def: $sgpr24
	s_branch .LBB261_498
.LBB261_501:
	s_or_b32 exec_lo, exec_lo, s5
.LBB261_502:
	s_delay_alu instid0(SALU_CYCLE_1) | instskip(SKIP_1) | instid1(VALU_DEP_1)
	s_or_b32 exec_lo, exec_lo, s1
	v_dual_add_nc_u32 v21, v24, v41 :: v_dual_add_nc_u32 v20, v37, v40
	v_sub_nc_u32_e32 v21, v21, v37
	s_delay_alu instid0(VALU_DEP_2) | instskip(NEXT) | instid1(VALU_DEP_2)
	v_cmp_le_u32_e32 vcc_lo, v20, v24
	v_cmp_le_u32_e64 s0, v21, v25
	s_or_b32 s0, vcc_lo, s0
	s_delay_alu instid0(SALU_CYCLE_1)
	s_and_saveexec_b32 s1, s0
	s_cbranch_execz .LBB261_593
; %bb.503:
	s_mov_b32 s5, exec_lo
	v_cmp_ge_u32_e32 vcc_lo, v20, v24
                                        ; implicit-def: $vgpr2_vgpr3
	v_cmpx_lt_u32_e64 v20, v24
; %bb.504:
	v_lshl_add_u32 v2, v37, 3, v38
	ds_load_b64 v[2:3], v2
; %bb.505:
	s_or_b32 exec_lo, exec_lo, s5
	v_cmp_ge_u32_e64 s5, v21, v25
	s_mov_b32 s6, exec_lo
                                        ; implicit-def: $vgpr4_vgpr5
	v_cmpx_lt_u32_e64 v21, v25
; %bb.506:
	v_lshl_add_u32 v4, v21, 3, v36
	ds_load_b64 v[4:5], v4
; %bb.507:
	s_or_b32 exec_lo, exec_lo, s6
	s_nor_b32 s0, vcc_lo, s5
	s_delay_alu instid0(SALU_CYCLE_1)
	s_and_saveexec_b32 s14, s0
	s_cbranch_execz .LBB261_516
; %bb.508:
	v_cmp_ne_u32_e32 vcc_lo, 1, v35
	s_cbranch_vccnz .LBB261_514
; %bb.509:
	s_wait_dscnt 0x0
	v_mad_nc_u64_u32 v[6:7], v4, s16, s[18:19]
	v_mad_nc_u64_u32 v[8:9], v2, s16, s[18:19]
	s_mov_b32 s15, 0
	s_mov_b64 s[6:7], s[16:17]
                                        ; implicit-def: $sgpr22
                                        ; implicit-def: $sgpr23
                                        ; implicit-def: $sgpr24
                                        ; implicit-def: $sgpr25
	s_delay_alu instid0(VALU_DEP_2) | instskip(NEXT) | instid1(VALU_DEP_2)
	v_mad_u32 v7, v5, s16, v7
	v_mad_u32 v9, v3, s16, v9
	s_delay_alu instid0(VALU_DEP_2) | instskip(NEXT) | instid1(VALU_DEP_2)
	v_mad_u32 v7, v4, s17, v7
	v_mad_u32 v9, v2, s17, v9
	s_branch .LBB261_511
.LBB261_510:                            ;   in Loop: Header=BB261_511 Depth=1
	s_or_b32 exec_lo, exec_lo, s26
	s_delay_alu instid0(SALU_CYCLE_1) | instskip(NEXT) | instid1(SALU_CYCLE_1)
	s_and_b32 s26, exec_lo, s23
	s_or_b32 s15, s26, s15
	s_and_not1_b32 s25, s25, exec_lo
	s_and_b32 s0, s0, exec_lo
	s_and_not1_b32 s22, s22, exec_lo
	s_and_b32 s26, s24, exec_lo
	s_or_b32 s25, s25, s0
	s_or_b32 s22, s22, s26
	s_and_not1_b32 exec_lo, exec_lo, s15
	s_cbranch_execz .LBB261_513
.LBB261_511:                            ; =>This Inner Loop Header: Depth=1
	global_load_u8 v10, v[6:7], off
	global_load_u8 v11, v[8:9], off
	s_and_not1_b32 s24, s24, exec_lo
	s_or_b32 s23, s23, exec_lo
	s_wait_loadcnt 0x1
	v_bfe_i32 v12, v10, 0, 8
	s_wait_loadcnt 0x0
	v_bfe_i32 v13, v11, 0, 8
	v_and_b32_e32 v10, 0xff, v10
	v_and_b32_e32 v11, 0xff, v11
	s_delay_alu instid0(VALU_DEP_3) | instskip(SKIP_2) | instid1(SALU_CYCLE_1)
	v_cmp_le_i16_e32 vcc_lo, v12, v13
	v_cmp_lt_i16_e64 s0, v12, v13
	s_and_b32 s26, vcc_lo, s25
	s_or_b32 s0, s0, s26
	s_delay_alu instid0(SALU_CYCLE_1) | instskip(NEXT) | instid1(SALU_CYCLE_1)
	s_and_b32 s26, s0, exec_lo
	s_or_b32 s24, s24, s26
	s_mov_b32 s26, exec_lo
	v_cmpx_eq_u16_e64 v10, v11
	s_cbranch_execz .LBB261_510
; %bb.512:                              ;   in Loop: Header=BB261_511 Depth=1
	s_add_nc_u64 s[6:7], s[6:7], -1
	v_add_nc_u64_e32 v[6:7], 1, v[6:7]
	s_cmp_eq_u64 s[6:7], 0
	v_add_nc_u64_e32 v[8:9], 1, v[8:9]
	s_cselect_b32 s25, -1, 0
	s_and_not1_b32 s23, s23, exec_lo
	s_and_b32 s25, s25, exec_lo
	s_and_not1_b32 s24, s24, exec_lo
	s_or_b32 s23, s23, s25
                                        ; implicit-def: $sgpr25
	s_branch .LBB261_510
.LBB261_513:
	s_or_b32 exec_lo, exec_lo, s15
	s_xor_b32 s0, s22, -1
	s_branch .LBB261_515
.LBB261_514:
	s_mov_b32 s0, -1
.LBB261_515:
	s_and_not1_b32 s5, s5, exec_lo
	s_and_b32 s0, s0, exec_lo
	s_delay_alu instid0(SALU_CYCLE_1)
	s_or_b32 s5, s5, s0
.LBB261_516:
	s_or_b32 exec_lo, exec_lo, s14
	v_cndmask_b32_e64 v6, v21, v20, s5
	v_cndmask_b32_e64 v7, v25, v24, s5
	s_mov_b32 s15, -1
	s_mov_b32 s14, -1
	s_mov_b32 s22, exec_lo
	v_add_nc_u32_e32 v8, 1, v6
	s_delay_alu instid0(VALU_DEP_1) | instskip(SKIP_1) | instid1(VALU_DEP_2)
	v_add_min_u32_e64 v6, v7, -1, v8
	v_cndmask_b32_e64 v10, v8, v21, s5
	v_lshl_add_u32 v6, v6, 3, v36
	ds_load_b64 v[6:7], v6
	s_wait_dscnt 0x0
	v_dual_cndmask_b32 v11, v20, v8, s5 :: v_dual_cndmask_b32 v14, v7, v5, s5
	v_dual_cndmask_b32 v15, v6, v4, s5 :: v_dual_cndmask_b32 v16, v3, v7, s5
	v_cndmask_b32_e64 v22, v2, v6, s5
	v_cmpx_lt_u32_e64 v10, v25
	s_cbranch_execz .LBB261_527
; %bb.517:
	s_mov_b32 s0, 0
	s_mov_b32 s14, exec_lo
	v_cmpx_lt_u32_e64 v11, v24
	s_cbranch_execz .LBB261_526
; %bb.518:
	v_cmp_ne_u32_e32 vcc_lo, 1, v35
	s_cbranch_vccnz .LBB261_524
; %bb.519:
	v_mad_nc_u64_u32 v[6:7], v15, s16, s[18:19]
	v_mad_nc_u64_u32 v[8:9], v22, s16, s[18:19]
	s_mov_b32 s23, 0
	s_mov_b64 s[6:7], s[16:17]
                                        ; implicit-def: $sgpr24
                                        ; implicit-def: $sgpr25
                                        ; implicit-def: $sgpr26
                                        ; implicit-def: $sgpr27
	s_delay_alu instid0(VALU_DEP_2) | instskip(NEXT) | instid1(VALU_DEP_2)
	v_mad_u32 v7, v14, s16, v7
	v_mad_u32 v9, v16, s16, v9
	s_delay_alu instid0(VALU_DEP_2) | instskip(NEXT) | instid1(VALU_DEP_2)
	v_mad_u32 v7, v15, s17, v7
	v_mad_u32 v9, v22, s17, v9
	s_branch .LBB261_521
.LBB261_520:                            ;   in Loop: Header=BB261_521 Depth=1
	s_or_b32 exec_lo, exec_lo, s28
	s_delay_alu instid0(SALU_CYCLE_1) | instskip(NEXT) | instid1(SALU_CYCLE_1)
	s_and_b32 s28, exec_lo, s25
	s_or_b32 s23, s28, s23
	s_and_not1_b32 s27, s27, exec_lo
	s_and_b32 s0, s0, exec_lo
	s_and_not1_b32 s24, s24, exec_lo
	s_and_b32 s28, s26, exec_lo
	s_or_b32 s27, s27, s0
	s_or_b32 s24, s24, s28
	s_and_not1_b32 exec_lo, exec_lo, s23
	s_cbranch_execz .LBB261_523
.LBB261_521:                            ; =>This Inner Loop Header: Depth=1
	global_load_u8 v12, v[6:7], off
	global_load_u8 v13, v[8:9], off
	s_and_not1_b32 s26, s26, exec_lo
	s_or_b32 s25, s25, exec_lo
	s_wait_loadcnt 0x1
	v_bfe_i32 v17, v12, 0, 8
	s_wait_loadcnt 0x0
	v_bfe_i32 v20, v13, 0, 8
	v_and_b32_e32 v12, 0xff, v12
	v_and_b32_e32 v13, 0xff, v13
	s_delay_alu instid0(VALU_DEP_3) | instskip(SKIP_2) | instid1(SALU_CYCLE_1)
	v_cmp_le_i16_e32 vcc_lo, v17, v20
	v_cmp_lt_i16_e64 s0, v17, v20
	s_and_b32 s28, vcc_lo, s27
	s_or_b32 s0, s0, s28
	s_delay_alu instid0(SALU_CYCLE_1) | instskip(NEXT) | instid1(SALU_CYCLE_1)
	s_and_b32 s28, s0, exec_lo
	s_or_b32 s26, s26, s28
	s_mov_b32 s28, exec_lo
	v_cmpx_eq_u16_e64 v12, v13
	s_cbranch_execz .LBB261_520
; %bb.522:                              ;   in Loop: Header=BB261_521 Depth=1
	s_add_nc_u64 s[6:7], s[6:7], -1
	v_add_nc_u64_e32 v[6:7], 1, v[6:7]
	s_cmp_eq_u64 s[6:7], 0
	v_add_nc_u64_e32 v[8:9], 1, v[8:9]
	s_cselect_b32 s27, -1, 0
	s_and_not1_b32 s25, s25, exec_lo
	s_and_b32 s27, s27, exec_lo
	s_and_not1_b32 s26, s26, exec_lo
	s_or_b32 s25, s25, s27
                                        ; implicit-def: $sgpr27
	s_branch .LBB261_520
.LBB261_523:
	s_or_b32 exec_lo, exec_lo, s23
	s_xor_b32 s0, s24, -1
	s_branch .LBB261_525
.LBB261_524:
	s_mov_b32 s0, -1
.LBB261_525:
	s_delay_alu instid0(SALU_CYCLE_1)
	s_and_b32 s0, s0, exec_lo
.LBB261_526:
	s_or_b32 exec_lo, exec_lo, s14
	s_delay_alu instid0(SALU_CYCLE_1)
	s_or_not1_b32 s14, s0, exec_lo
.LBB261_527:
	s_or_b32 exec_lo, exec_lo, s22
	v_dual_cndmask_b32 v6, v10, v11, s14 :: v_dual_cndmask_b32 v7, v25, v24, s14
	s_mov_b32 s22, exec_lo
	s_delay_alu instid0(VALU_DEP_1) | instskip(NEXT) | instid1(VALU_DEP_1)
	v_add_nc_u32_e32 v8, 1, v6
	v_add_min_u32_e64 v6, v7, -1, v8
	s_delay_alu instid0(VALU_DEP_1)
	v_lshl_add_u32 v6, v6, 3, v36
	ds_load_b64 v[6:7], v6
	s_wait_dscnt 0x0
	v_dual_cndmask_b32 v17, v6, v15, s14 :: v_dual_cndmask_b32 v12, v8, v10, s14
	v_cndmask_b32_e64 v13, v11, v8, s14
	v_dual_cndmask_b32 v10, v7, v14, s14 :: v_dual_cndmask_b32 v11, v16, v7, s14
	v_cndmask_b32_e64 v23, v22, v6, s14
	s_delay_alu instid0(VALU_DEP_4)
	v_cmpx_lt_u32_e64 v12, v25
	s_cbranch_execz .LBB261_538
; %bb.528:
	s_mov_b32 s0, 0
	s_mov_b32 s15, exec_lo
	v_cmpx_lt_u32_e64 v13, v24
	s_cbranch_execz .LBB261_537
; %bb.529:
	v_cmp_ne_u32_e32 vcc_lo, 1, v35
	s_cbranch_vccnz .LBB261_535
; %bb.530:
	v_mad_nc_u64_u32 v[6:7], v17, s16, s[18:19]
	v_mad_nc_u64_u32 v[8:9], v23, s16, s[18:19]
	s_mov_b32 s23, 0
	s_mov_b64 s[6:7], s[16:17]
                                        ; implicit-def: $sgpr24
                                        ; implicit-def: $sgpr25
                                        ; implicit-def: $sgpr26
                                        ; implicit-def: $sgpr27
	s_delay_alu instid0(VALU_DEP_2) | instskip(NEXT) | instid1(VALU_DEP_2)
	v_mad_u32 v7, v10, s16, v7
	v_mad_u32 v9, v11, s16, v9
	s_delay_alu instid0(VALU_DEP_2) | instskip(NEXT) | instid1(VALU_DEP_2)
	v_mad_u32 v7, v17, s17, v7
	v_mad_u32 v9, v23, s17, v9
	s_branch .LBB261_532
.LBB261_531:                            ;   in Loop: Header=BB261_532 Depth=1
	s_or_b32 exec_lo, exec_lo, s28
	s_delay_alu instid0(SALU_CYCLE_1) | instskip(NEXT) | instid1(SALU_CYCLE_1)
	s_and_b32 s28, exec_lo, s25
	s_or_b32 s23, s28, s23
	s_and_not1_b32 s27, s27, exec_lo
	s_and_b32 s0, s0, exec_lo
	s_and_not1_b32 s24, s24, exec_lo
	s_and_b32 s28, s26, exec_lo
	s_or_b32 s27, s27, s0
	s_or_b32 s24, s24, s28
	s_and_not1_b32 exec_lo, exec_lo, s23
	s_cbranch_execz .LBB261_534
.LBB261_532:                            ; =>This Inner Loop Header: Depth=1
	global_load_u8 v20, v[6:7], off
	global_load_u8 v21, v[8:9], off
	s_and_not1_b32 s26, s26, exec_lo
	s_or_b32 s25, s25, exec_lo
	s_wait_loadcnt 0x1
	v_bfe_i32 v37, v20, 0, 8
	s_wait_loadcnt 0x0
	v_bfe_i32 v38, v21, 0, 8
	v_and_b32_e32 v20, 0xff, v20
	v_and_b32_e32 v21, 0xff, v21
	s_delay_alu instid0(VALU_DEP_3) | instskip(SKIP_2) | instid1(SALU_CYCLE_1)
	v_cmp_le_i16_e32 vcc_lo, v37, v38
	v_cmp_lt_i16_e64 s0, v37, v38
	s_and_b32 s28, vcc_lo, s27
	s_or_b32 s0, s0, s28
	s_delay_alu instid0(SALU_CYCLE_1) | instskip(NEXT) | instid1(SALU_CYCLE_1)
	s_and_b32 s28, s0, exec_lo
	s_or_b32 s26, s26, s28
	s_mov_b32 s28, exec_lo
	v_cmpx_eq_u16_e64 v20, v21
	s_cbranch_execz .LBB261_531
; %bb.533:                              ;   in Loop: Header=BB261_532 Depth=1
	s_add_nc_u64 s[6:7], s[6:7], -1
	v_add_nc_u64_e32 v[6:7], 1, v[6:7]
	s_cmp_eq_u64 s[6:7], 0
	v_add_nc_u64_e32 v[8:9], 1, v[8:9]
	s_cselect_b32 s27, -1, 0
	s_and_not1_b32 s25, s25, exec_lo
	s_and_b32 s27, s27, exec_lo
	s_and_not1_b32 s26, s26, exec_lo
	s_or_b32 s25, s25, s27
                                        ; implicit-def: $sgpr27
	s_branch .LBB261_531
.LBB261_534:
	s_or_b32 exec_lo, exec_lo, s23
	s_xor_b32 s0, s24, -1
	s_branch .LBB261_536
.LBB261_535:
	s_mov_b32 s0, -1
.LBB261_536:
	s_delay_alu instid0(SALU_CYCLE_1)
	s_and_b32 s0, s0, exec_lo
.LBB261_537:
	s_or_b32 exec_lo, exec_lo, s15
	s_delay_alu instid0(SALU_CYCLE_1)
	s_or_not1_b32 s15, s0, exec_lo
.LBB261_538:
	s_or_b32 exec_lo, exec_lo, s22
	v_dual_cndmask_b32 v6, v12, v13, s15 :: v_dual_cndmask_b32 v7, v25, v24, s15
	s_mov_b32 s23, -1
	s_mov_b32 s22, -1
	s_mov_b32 s24, exec_lo
	s_delay_alu instid0(VALU_DEP_1) | instskip(NEXT) | instid1(VALU_DEP_1)
	v_add_nc_u32_e32 v8, 1, v6
	v_add_min_u32_e64 v6, v7, -1, v8
	s_delay_alu instid0(VALU_DEP_1)
	v_lshl_add_u32 v6, v6, 3, v36
	ds_load_b64 v[6:7], v6
	s_wait_dscnt 0x0
	v_dual_cndmask_b32 v37, v6, v17, s15 :: v_dual_cndmask_b32 v20, v8, v12, s15
	v_dual_cndmask_b32 v12, v7, v10, s15 :: v_dual_cndmask_b32 v21, v13, v8, s15
	v_cndmask_b32_e64 v13, v11, v7, s15
	v_cndmask_b32_e64 v38, v23, v6, s15
	s_delay_alu instid0(VALU_DEP_4)
	v_cmpx_lt_u32_e64 v20, v25
	s_cbranch_execz .LBB261_549
; %bb.539:
	s_mov_b32 s0, 0
	s_mov_b32 s22, exec_lo
	v_cmpx_lt_u32_e64 v21, v24
	s_cbranch_execz .LBB261_548
; %bb.540:
	v_cmp_ne_u32_e32 vcc_lo, 1, v35
	s_cbranch_vccnz .LBB261_546
; %bb.541:
	v_mad_nc_u64_u32 v[6:7], v37, s16, s[18:19]
	v_mad_nc_u64_u32 v[8:9], v38, s16, s[18:19]
	s_mov_b32 s25, 0
	s_mov_b64 s[6:7], s[16:17]
                                        ; implicit-def: $sgpr26
                                        ; implicit-def: $sgpr27
                                        ; implicit-def: $sgpr28
                                        ; implicit-def: $sgpr29
	s_delay_alu instid0(VALU_DEP_2) | instskip(NEXT) | instid1(VALU_DEP_2)
	v_mad_u32 v7, v12, s16, v7
	v_mad_u32 v9, v13, s16, v9
	s_delay_alu instid0(VALU_DEP_2) | instskip(NEXT) | instid1(VALU_DEP_2)
	v_mad_u32 v7, v37, s17, v7
	v_mad_u32 v9, v38, s17, v9
	s_branch .LBB261_543
.LBB261_542:                            ;   in Loop: Header=BB261_543 Depth=1
	s_or_b32 exec_lo, exec_lo, s30
	s_delay_alu instid0(SALU_CYCLE_1) | instskip(NEXT) | instid1(SALU_CYCLE_1)
	s_and_b32 s30, exec_lo, s27
	s_or_b32 s25, s30, s25
	s_and_not1_b32 s29, s29, exec_lo
	s_and_b32 s0, s0, exec_lo
	s_and_not1_b32 s26, s26, exec_lo
	s_and_b32 s30, s28, exec_lo
	s_or_b32 s29, s29, s0
	s_or_b32 s26, s26, s30
	s_and_not1_b32 exec_lo, exec_lo, s25
	s_cbranch_execz .LBB261_545
.LBB261_543:                            ; =>This Inner Loop Header: Depth=1
	global_load_u8 v39, v[6:7], off
	global_load_u8 v40, v[8:9], off
	s_and_not1_b32 s28, s28, exec_lo
	s_or_b32 s27, s27, exec_lo
	s_wait_loadcnt 0x1
	v_bfe_i32 v41, v39, 0, 8
	s_wait_loadcnt 0x0
	v_bfe_i32 v42, v40, 0, 8
	v_and_b32_e32 v39, 0xff, v39
	v_and_b32_e32 v40, 0xff, v40
	s_delay_alu instid0(VALU_DEP_3) | instskip(SKIP_2) | instid1(SALU_CYCLE_1)
	v_cmp_le_i16_e32 vcc_lo, v41, v42
	v_cmp_lt_i16_e64 s0, v41, v42
	s_and_b32 s30, vcc_lo, s29
	s_or_b32 s0, s0, s30
	s_delay_alu instid0(SALU_CYCLE_1) | instskip(NEXT) | instid1(SALU_CYCLE_1)
	s_and_b32 s30, s0, exec_lo
	s_or_b32 s28, s28, s30
	s_mov_b32 s30, exec_lo
	v_cmpx_eq_u16_e64 v39, v40
	s_cbranch_execz .LBB261_542
; %bb.544:                              ;   in Loop: Header=BB261_543 Depth=1
	s_add_nc_u64 s[6:7], s[6:7], -1
	v_add_nc_u64_e32 v[6:7], 1, v[6:7]
	s_cmp_eq_u64 s[6:7], 0
	v_add_nc_u64_e32 v[8:9], 1, v[8:9]
	s_cselect_b32 s29, -1, 0
	s_and_not1_b32 s27, s27, exec_lo
	s_and_b32 s29, s29, exec_lo
	s_and_not1_b32 s28, s28, exec_lo
	s_or_b32 s27, s27, s29
                                        ; implicit-def: $sgpr29
	s_branch .LBB261_542
.LBB261_545:
	s_or_b32 exec_lo, exec_lo, s25
	s_xor_b32 s0, s26, -1
	s_branch .LBB261_547
.LBB261_546:
	s_mov_b32 s0, -1
.LBB261_547:
	s_delay_alu instid0(SALU_CYCLE_1)
	s_and_b32 s0, s0, exec_lo
.LBB261_548:
	s_or_b32 exec_lo, exec_lo, s22
	s_delay_alu instid0(SALU_CYCLE_1)
	s_or_not1_b32 s22, s0, exec_lo
.LBB261_549:
	s_or_b32 exec_lo, exec_lo, s24
	v_dual_cndmask_b32 v6, v20, v21, s22 :: v_dual_cndmask_b32 v7, v25, v24, s22
	s_mov_b32 s24, exec_lo
	s_delay_alu instid0(VALU_DEP_1) | instskip(NEXT) | instid1(VALU_DEP_1)
	v_add_nc_u32_e32 v8, 1, v6
	v_add_min_u32_e64 v6, v7, -1, v8
	s_delay_alu instid0(VALU_DEP_1)
	v_lshl_add_u32 v6, v6, 3, v36
	ds_load_b64 v[6:7], v6
	s_wait_dscnt 0x0
	v_cndmask_b32_e64 v39, v7, v12, s22
	v_dual_cndmask_b32 v20, v8, v20, s22 :: v_dual_cndmask_b32 v40, v6, v37, s22
	v_dual_cndmask_b32 v21, v21, v8, s22 :: v_dual_cndmask_b32 v42, v38, v6, s22
	v_cndmask_b32_e64 v41, v13, v7, s22
	s_delay_alu instid0(VALU_DEP_3)
	v_cmpx_lt_u32_e64 v20, v25
	s_cbranch_execz .LBB261_560
; %bb.550:
	s_mov_b32 s0, 0
	s_mov_b32 s23, exec_lo
	v_cmpx_lt_u32_e64 v21, v24
	s_cbranch_execz .LBB261_559
; %bb.551:
	v_cmp_ne_u32_e32 vcc_lo, 1, v35
	s_cbranch_vccnz .LBB261_557
; %bb.552:
	v_mad_nc_u64_u32 v[6:7], v40, s16, s[18:19]
	v_mad_nc_u64_u32 v[8:9], v42, s16, s[18:19]
	s_mov_b32 s25, 0
	s_mov_b64 s[6:7], s[16:17]
                                        ; implicit-def: $sgpr26
                                        ; implicit-def: $sgpr27
                                        ; implicit-def: $sgpr28
                                        ; implicit-def: $sgpr29
	s_delay_alu instid0(VALU_DEP_2) | instskip(NEXT) | instid1(VALU_DEP_2)
	v_mad_u32 v7, v39, s16, v7
	v_mad_u32 v9, v41, s16, v9
	s_delay_alu instid0(VALU_DEP_2) | instskip(NEXT) | instid1(VALU_DEP_2)
	v_mad_u32 v7, v40, s17, v7
	v_mad_u32 v9, v42, s17, v9
	s_branch .LBB261_554
.LBB261_553:                            ;   in Loop: Header=BB261_554 Depth=1
	s_or_b32 exec_lo, exec_lo, s30
	s_delay_alu instid0(SALU_CYCLE_1) | instskip(NEXT) | instid1(SALU_CYCLE_1)
	s_and_b32 s30, exec_lo, s27
	s_or_b32 s25, s30, s25
	s_and_not1_b32 s29, s29, exec_lo
	s_and_b32 s0, s0, exec_lo
	s_and_not1_b32 s26, s26, exec_lo
	s_and_b32 s30, s28, exec_lo
	s_or_b32 s29, s29, s0
	s_or_b32 s26, s26, s30
	s_and_not1_b32 exec_lo, exec_lo, s25
	s_cbranch_execz .LBB261_556
.LBB261_554:                            ; =>This Inner Loop Header: Depth=1
	global_load_u8 v43, v[6:7], off
	global_load_u8 v44, v[8:9], off
	s_and_not1_b32 s28, s28, exec_lo
	s_or_b32 s27, s27, exec_lo
	s_wait_loadcnt 0x1
	v_bfe_i32 v45, v43, 0, 8
	s_wait_loadcnt 0x0
	v_bfe_i32 v46, v44, 0, 8
	v_and_b32_e32 v43, 0xff, v43
	v_and_b32_e32 v44, 0xff, v44
	s_delay_alu instid0(VALU_DEP_3) | instskip(SKIP_2) | instid1(SALU_CYCLE_1)
	v_cmp_le_i16_e32 vcc_lo, v45, v46
	v_cmp_lt_i16_e64 s0, v45, v46
	s_and_b32 s30, vcc_lo, s29
	s_or_b32 s0, s0, s30
	s_delay_alu instid0(SALU_CYCLE_1) | instskip(NEXT) | instid1(SALU_CYCLE_1)
	s_and_b32 s30, s0, exec_lo
	s_or_b32 s28, s28, s30
	s_mov_b32 s30, exec_lo
	v_cmpx_eq_u16_e64 v43, v44
	s_cbranch_execz .LBB261_553
; %bb.555:                              ;   in Loop: Header=BB261_554 Depth=1
	s_add_nc_u64 s[6:7], s[6:7], -1
	v_add_nc_u64_e32 v[6:7], 1, v[6:7]
	s_cmp_eq_u64 s[6:7], 0
	v_add_nc_u64_e32 v[8:9], 1, v[8:9]
	s_cselect_b32 s29, -1, 0
	s_and_not1_b32 s27, s27, exec_lo
	s_and_b32 s29, s29, exec_lo
	s_and_not1_b32 s28, s28, exec_lo
	s_or_b32 s27, s27, s29
                                        ; implicit-def: $sgpr29
	s_branch .LBB261_553
.LBB261_556:
	s_or_b32 exec_lo, exec_lo, s25
	s_xor_b32 s0, s26, -1
	s_branch .LBB261_558
.LBB261_557:
	s_mov_b32 s0, -1
.LBB261_558:
	s_delay_alu instid0(SALU_CYCLE_1)
	s_and_b32 s0, s0, exec_lo
.LBB261_559:
	s_or_b32 exec_lo, exec_lo, s23
	s_delay_alu instid0(SALU_CYCLE_1)
	s_or_not1_b32 s23, s0, exec_lo
.LBB261_560:
	s_or_b32 exec_lo, exec_lo, s24
	v_dual_cndmask_b32 v6, v20, v21, s23 :: v_dual_cndmask_b32 v7, v25, v24, s23
	s_mov_b32 s24, -1
	s_mov_b32 s25, -1
	s_mov_b32 s26, exec_lo
	s_delay_alu instid0(VALU_DEP_1) | instskip(NEXT) | instid1(VALU_DEP_1)
	v_add_nc_u32_e32 v8, 1, v6
	v_add_min_u32_e64 v6, v7, -1, v8
	s_delay_alu instid0(VALU_DEP_1)
	v_lshl_add_u32 v6, v6, 3, v36
	ds_load_b64 v[6:7], v6
	s_wait_dscnt 0x0
	v_dual_cndmask_b32 v43, v7, v39, s23 :: v_dual_cndmask_b32 v20, v8, v20, s23
	v_cndmask_b32_e64 v45, v41, v7, s23
	v_dual_cndmask_b32 v21, v21, v8, s23 :: v_dual_cndmask_b32 v46, v42, v6, s23
	v_cndmask_b32_e64 v44, v6, v40, s23
	s_delay_alu instid0(VALU_DEP_4)
	v_cmpx_lt_u32_e64 v20, v25
	s_cbranch_execz .LBB261_571
; %bb.561:
	s_mov_b32 s0, 0
	s_mov_b32 s25, exec_lo
	v_cmpx_lt_u32_e64 v21, v24
	s_cbranch_execz .LBB261_570
; %bb.562:
	v_cmp_ne_u32_e32 vcc_lo, 1, v35
	s_cbranch_vccnz .LBB261_568
; %bb.563:
	v_mad_nc_u64_u32 v[6:7], v44, s16, s[18:19]
	v_mad_nc_u64_u32 v[8:9], v46, s16, s[18:19]
	s_mov_b32 s27, 0
	s_mov_b64 s[6:7], s[16:17]
                                        ; implicit-def: $sgpr28
                                        ; implicit-def: $sgpr29
                                        ; implicit-def: $sgpr30
                                        ; implicit-def: $sgpr31
	s_delay_alu instid0(VALU_DEP_2) | instskip(NEXT) | instid1(VALU_DEP_2)
	v_mad_u32 v7, v43, s16, v7
	v_mad_u32 v9, v45, s16, v9
	s_delay_alu instid0(VALU_DEP_2) | instskip(NEXT) | instid1(VALU_DEP_2)
	v_mad_u32 v7, v44, s17, v7
	v_mad_u32 v9, v46, s17, v9
	s_branch .LBB261_565
.LBB261_564:                            ;   in Loop: Header=BB261_565 Depth=1
	s_or_b32 exec_lo, exec_lo, s33
	s_delay_alu instid0(SALU_CYCLE_1) | instskip(NEXT) | instid1(SALU_CYCLE_1)
	s_and_b32 s33, exec_lo, s29
	s_or_b32 s27, s33, s27
	s_and_not1_b32 s31, s31, exec_lo
	s_and_b32 s0, s0, exec_lo
	s_and_not1_b32 s28, s28, exec_lo
	s_and_b32 s33, s30, exec_lo
	s_or_b32 s31, s31, s0
	s_or_b32 s28, s28, s33
	s_and_not1_b32 exec_lo, exec_lo, s27
	s_cbranch_execz .LBB261_567
.LBB261_565:                            ; =>This Inner Loop Header: Depth=1
	global_load_u8 v47, v[6:7], off
	global_load_u8 v48, v[8:9], off
	s_and_not1_b32 s30, s30, exec_lo
	s_or_b32 s29, s29, exec_lo
	s_wait_loadcnt 0x1
	v_bfe_i32 v49, v47, 0, 8
	s_wait_loadcnt 0x0
	v_bfe_i32 v50, v48, 0, 8
	v_and_b32_e32 v47, 0xff, v47
	v_and_b32_e32 v48, 0xff, v48
	s_delay_alu instid0(VALU_DEP_3) | instskip(SKIP_2) | instid1(SALU_CYCLE_1)
	v_cmp_le_i16_e32 vcc_lo, v49, v50
	v_cmp_lt_i16_e64 s0, v49, v50
	s_and_b32 s33, vcc_lo, s31
	s_or_b32 s0, s0, s33
	s_delay_alu instid0(SALU_CYCLE_1) | instskip(NEXT) | instid1(SALU_CYCLE_1)
	s_and_b32 s33, s0, exec_lo
	s_or_b32 s30, s30, s33
	s_mov_b32 s33, exec_lo
	v_cmpx_eq_u16_e64 v47, v48
	s_cbranch_execz .LBB261_564
; %bb.566:                              ;   in Loop: Header=BB261_565 Depth=1
	s_add_nc_u64 s[6:7], s[6:7], -1
	v_add_nc_u64_e32 v[6:7], 1, v[6:7]
	s_cmp_eq_u64 s[6:7], 0
	v_add_nc_u64_e32 v[8:9], 1, v[8:9]
	s_cselect_b32 s31, -1, 0
	s_and_not1_b32 s29, s29, exec_lo
	s_and_b32 s31, s31, exec_lo
	s_and_not1_b32 s30, s30, exec_lo
	s_or_b32 s29, s29, s31
                                        ; implicit-def: $sgpr31
	s_branch .LBB261_564
.LBB261_567:
	s_or_b32 exec_lo, exec_lo, s27
	s_xor_b32 s0, s28, -1
	s_branch .LBB261_569
.LBB261_568:
	s_mov_b32 s0, -1
.LBB261_569:
	s_delay_alu instid0(SALU_CYCLE_1)
	s_and_b32 s0, s0, exec_lo
.LBB261_570:
	s_or_b32 exec_lo, exec_lo, s25
	s_delay_alu instid0(SALU_CYCLE_1)
	s_or_not1_b32 s25, s0, exec_lo
.LBB261_571:
	s_or_b32 exec_lo, exec_lo, s26
	v_dual_cndmask_b32 v6, v20, v21, s25 :: v_dual_cndmask_b32 v7, v25, v24, s25
	s_mov_b32 s26, exec_lo
	s_delay_alu instid0(VALU_DEP_1) | instskip(NEXT) | instid1(VALU_DEP_1)
	v_add_nc_u32_e32 v8, 1, v6
	v_add_min_u32_e64 v6, v7, -1, v8
	s_delay_alu instid0(VALU_DEP_1)
	v_lshl_add_u32 v6, v6, 3, v36
	ds_load_b64 v[6:7], v6
	s_wait_dscnt 0x0
	v_dual_cndmask_b32 v48, v7, v43, s25 :: v_dual_cndmask_b32 v50, v8, v20, s25
	v_cndmask_b32_e64 v51, v45, v7, s25
	v_dual_cndmask_b32 v47, v21, v8, s25 :: v_dual_cndmask_b32 v52, v46, v6, s25
	v_cndmask_b32_e64 v49, v6, v44, s25
	s_delay_alu instid0(VALU_DEP_4)
	v_cmpx_lt_u32_e64 v50, v25
	s_cbranch_execz .LBB261_582
; %bb.572:
	s_mov_b32 s0, 0
	s_mov_b32 s24, exec_lo
	v_cmpx_lt_u32_e64 v47, v24
	s_cbranch_execz .LBB261_581
; %bb.573:
	v_cmp_ne_u32_e32 vcc_lo, 1, v35
	s_cbranch_vccnz .LBB261_579
; %bb.574:
	v_mad_nc_u64_u32 v[6:7], v49, s16, s[18:19]
	v_mad_nc_u64_u32 v[8:9], v52, s16, s[18:19]
	s_mov_b32 s27, 0
	s_mov_b64 s[6:7], s[16:17]
                                        ; implicit-def: $sgpr28
                                        ; implicit-def: $sgpr29
                                        ; implicit-def: $sgpr30
                                        ; implicit-def: $sgpr31
	s_delay_alu instid0(VALU_DEP_2) | instskip(NEXT) | instid1(VALU_DEP_2)
	v_mad_u32 v7, v48, s16, v7
	v_mad_u32 v9, v51, s16, v9
	s_delay_alu instid0(VALU_DEP_2) | instskip(NEXT) | instid1(VALU_DEP_2)
	v_mad_u32 v7, v49, s17, v7
	v_mad_u32 v9, v52, s17, v9
	s_branch .LBB261_576
.LBB261_575:                            ;   in Loop: Header=BB261_576 Depth=1
	s_or_b32 exec_lo, exec_lo, s33
	s_delay_alu instid0(SALU_CYCLE_1) | instskip(NEXT) | instid1(SALU_CYCLE_1)
	s_and_b32 s33, exec_lo, s29
	s_or_b32 s27, s33, s27
	s_and_not1_b32 s31, s31, exec_lo
	s_and_b32 s0, s0, exec_lo
	s_and_not1_b32 s28, s28, exec_lo
	s_and_b32 s33, s30, exec_lo
	s_or_b32 s31, s31, s0
	s_or_b32 s28, s28, s33
	s_and_not1_b32 exec_lo, exec_lo, s27
	s_cbranch_execz .LBB261_578
.LBB261_576:                            ; =>This Inner Loop Header: Depth=1
	global_load_u8 v20, v[6:7], off
	global_load_u8 v21, v[8:9], off
	s_and_not1_b32 s30, s30, exec_lo
	s_or_b32 s29, s29, exec_lo
	s_wait_loadcnt 0x1
	v_bfe_i32 v53, v20, 0, 8
	s_wait_loadcnt 0x0
	v_bfe_i32 v54, v21, 0, 8
	v_and_b32_e32 v20, 0xff, v20
	v_and_b32_e32 v21, 0xff, v21
	s_delay_alu instid0(VALU_DEP_3) | instskip(SKIP_2) | instid1(SALU_CYCLE_1)
	v_cmp_le_i16_e32 vcc_lo, v53, v54
	v_cmp_lt_i16_e64 s0, v53, v54
	s_and_b32 s33, vcc_lo, s31
	s_or_b32 s0, s0, s33
	s_delay_alu instid0(SALU_CYCLE_1) | instskip(NEXT) | instid1(SALU_CYCLE_1)
	s_and_b32 s33, s0, exec_lo
	s_or_b32 s30, s30, s33
	s_mov_b32 s33, exec_lo
	v_cmpx_eq_u16_e64 v20, v21
	s_cbranch_execz .LBB261_575
; %bb.577:                              ;   in Loop: Header=BB261_576 Depth=1
	s_add_nc_u64 s[6:7], s[6:7], -1
	v_add_nc_u64_e32 v[6:7], 1, v[6:7]
	s_cmp_eq_u64 s[6:7], 0
	v_add_nc_u64_e32 v[8:9], 1, v[8:9]
	s_cselect_b32 s31, -1, 0
	s_and_not1_b32 s29, s29, exec_lo
	s_and_b32 s31, s31, exec_lo
	s_and_not1_b32 s30, s30, exec_lo
	s_or_b32 s29, s29, s31
                                        ; implicit-def: $sgpr31
	s_branch .LBB261_575
.LBB261_578:
	s_or_b32 exec_lo, exec_lo, s27
	s_xor_b32 s0, s28, -1
	s_branch .LBB261_580
.LBB261_579:
	s_mov_b32 s0, -1
.LBB261_580:
	s_delay_alu instid0(SALU_CYCLE_1)
	s_and_b32 s0, s0, exec_lo
.LBB261_581:
	s_or_b32 exec_lo, exec_lo, s24
	s_delay_alu instid0(SALU_CYCLE_1)
	s_or_not1_b32 s24, s0, exec_lo
.LBB261_582:
	s_or_b32 exec_lo, exec_lo, s26
	v_dual_cndmask_b32 v6, v50, v47, s24 :: v_dual_cndmask_b32 v7, v25, v24, s24
	v_cndmask_b32_e64 v8, v44, v46, s25
	v_dual_cndmask_b32 v13, v12, v13, s22 :: v_dual_cndmask_b32 v12, v37, v38, s22
	s_delay_alu instid0(VALU_DEP_3) | instskip(SKIP_2) | instid1(VALU_DEP_3)
	v_dual_add_nc_u32 v53, 1, v6 :: v_dual_cndmask_b32 v9, v43, v45, s25
	v_cndmask_b32_e64 v11, v10, v11, s15
	v_dual_cndmask_b32 v10, v17, v23, s15 :: v_dual_cndmask_b32 v17, v14, v16, s14
	v_add_min_u32_e64 v6, v7, -1, v53
	v_cndmask_b32_e64 v7, v39, v41, s23
	v_dual_cndmask_b32 v16, v15, v22, s14 :: v_dual_cndmask_b32 v15, v5, v3, s5
	v_dual_cndmask_b32 v14, v4, v2, s5 :: v_dual_cndmask_b32 v2, v49, v52, s24
	s_delay_alu instid0(VALU_DEP_4)
	v_lshl_add_u32 v6, v6, 3, v36
	v_dual_cndmask_b32 v22, v53, v50, s24 :: v_dual_cndmask_b32 v3, v48, v51, s24
	s_mov_b32 s5, exec_lo
	ds_load_b64 v[20:21], v6
	s_wait_dscnt 0x0
	v_dual_cndmask_b32 v6, v40, v42, s23 :: v_dual_cndmask_b32 v5, v51, v21, s24
	v_cndmask_b32_e64 v4, v52, v20, s24
	v_cmpx_lt_u32_e64 v22, v25
	s_cbranch_execz .LBB261_592
; %bb.583:
	v_dual_cndmask_b32 v22, v47, v53, s24 :: v_dual_cndmask_b32 v21, v21, v48, s24
	v_cndmask_b32_e64 v20, v20, v49, s24
	s_mov_b32 s14, exec_lo
	s_delay_alu instid0(VALU_DEP_2)
	v_cmpx_lt_u32_e64 v22, v24
	s_cbranch_execz .LBB261_591
; %bb.584:
	v_cmp_ne_u32_e32 vcc_lo, 1, v35
	s_cbranch_vccnz .LBB261_590
; %bb.585:
	v_mad_nc_u64_u32 v[22:23], v20, s16, s[18:19]
	v_mad_nc_u64_u32 v[24:25], v4, s16, s[18:19]
	s_mov_b32 s15, 0
	s_mov_b64 s[6:7], s[16:17]
                                        ; implicit-def: $sgpr22
                                        ; implicit-def: $sgpr23
                                        ; implicit-def: $sgpr24
                                        ; implicit-def: $sgpr25
	s_delay_alu instid0(VALU_DEP_2) | instskip(NEXT) | instid1(VALU_DEP_2)
	v_mad_u32 v23, v21, s16, v23
	v_mad_u32 v25, v5, s16, v25
	s_delay_alu instid0(VALU_DEP_2) | instskip(NEXT) | instid1(VALU_DEP_2)
	v_mad_u32 v23, v20, s17, v23
	v_mad_u32 v25, v4, s17, v25
	s_branch .LBB261_587
.LBB261_586:                            ;   in Loop: Header=BB261_587 Depth=1
	s_or_b32 exec_lo, exec_lo, s26
	s_delay_alu instid0(SALU_CYCLE_1) | instskip(NEXT) | instid1(SALU_CYCLE_1)
	s_and_b32 s26, exec_lo, s23
	s_or_b32 s15, s26, s15
	s_and_not1_b32 s25, s25, exec_lo
	s_and_b32 s0, s0, exec_lo
	s_and_not1_b32 s22, s22, exec_lo
	s_and_b32 s26, s24, exec_lo
	s_or_b32 s25, s25, s0
	s_or_b32 s22, s22, s26
	s_and_not1_b32 exec_lo, exec_lo, s15
	s_cbranch_execz .LBB261_589
.LBB261_587:                            ; =>This Inner Loop Header: Depth=1
	global_load_u8 v36, v[22:23], off
	global_load_u8 v37, v[24:25], off
	s_and_not1_b32 s24, s24, exec_lo
	s_or_b32 s23, s23, exec_lo
	s_wait_loadcnt 0x1
	v_bfe_i32 v38, v36, 0, 8
	s_wait_loadcnt 0x0
	v_bfe_i32 v39, v37, 0, 8
	v_and_b32_e32 v36, 0xff, v36
	v_and_b32_e32 v37, 0xff, v37
	s_delay_alu instid0(VALU_DEP_3) | instskip(SKIP_2) | instid1(SALU_CYCLE_1)
	v_cmp_le_i16_e32 vcc_lo, v38, v39
	v_cmp_lt_i16_e64 s0, v38, v39
	s_and_b32 s26, vcc_lo, s25
	s_or_b32 s0, s0, s26
	s_delay_alu instid0(SALU_CYCLE_1) | instskip(NEXT) | instid1(SALU_CYCLE_1)
	s_and_b32 s26, s0, exec_lo
	s_or_b32 s24, s24, s26
	s_mov_b32 s26, exec_lo
	v_cmpx_eq_u16_e64 v36, v37
	s_cbranch_execz .LBB261_586
; %bb.588:                              ;   in Loop: Header=BB261_587 Depth=1
	s_add_nc_u64 s[6:7], s[6:7], -1
	v_add_nc_u64_e32 v[22:23], 1, v[22:23]
	s_cmp_eq_u64 s[6:7], 0
	v_add_nc_u64_e32 v[24:25], 1, v[24:25]
	s_cselect_b32 s25, -1, 0
	s_and_not1_b32 s23, s23, exec_lo
	s_and_b32 s25, s25, exec_lo
	s_and_not1_b32 s24, s24, exec_lo
	s_or_b32 s23, s23, s25
                                        ; implicit-def: $sgpr25
	s_branch .LBB261_586
.LBB261_589:
	s_or_b32 exec_lo, exec_lo, s15
	v_dual_cndmask_b32 v5, v5, v21, s22 :: v_dual_cndmask_b32 v4, v4, v20, s22
.LBB261_590:
	s_delay_alu instid0(VALU_DEP_1)
	v_mov_b64_e32 v[20:21], v[4:5]
.LBB261_591:
	s_or_b32 exec_lo, exec_lo, s14
	s_delay_alu instid0(VALU_DEP_1)
	v_mov_b64_e32 v[4:5], v[20:21]
.LBB261_592:
	s_or_b32 exec_lo, exec_lo, s5
.LBB261_593:
	s_delay_alu instid0(SALU_CYCLE_1)
	s_or_b32 exec_lo, exec_lo, s1
	v_lshlrev_b32_e32 v24, 3, v1
	s_movk_i32 s1, 0x80
	; wave barrier
	s_wait_dscnt 0x0
	s_barrier_signal -1
	s_barrier_wait -1
.LBB261_594:                            ; =>This Loop Header: Depth=1
                                        ;     Child Loop BB261_598 Depth 2
                                        ;       Child Loop BB261_601 Depth 3
                                        ;     Child Loop BB261_613 Depth 2
                                        ;     Child Loop BB261_623 Depth 2
	;; [unrolled: 1-line block ×8, first 2 shown]
	s_lshl_b32 s5, s1, 1
	s_mov_b32 s14, exec_lo
	s_sub_co_i32 s0, 0, s5
	ds_store_b128 v24, v[14:17]
	ds_store_b128 v24, v[10:13] offset:16
	ds_store_b128 v24, v[6:9] offset:32
	ds_store_b128 v24, v[2:5] offset:48
	v_and_b32_e32 v39, s0, v1
	s_add_co_i32 s0, s5, -1
	s_wait_dscnt 0x0
	v_and_b32_e32 v20, s0, v1
	s_barrier_signal -1
	v_add_min_u32_e64 v25, v39, s1, 0x800
	v_lshlrev_b32_e32 v38, 3, v39
	s_barrier_wait -1
	v_min_u32_e32 v40, 0x800, v20
	s_delay_alu instid0(VALU_DEP_3) | instskip(NEXT) | instid1(VALU_DEP_1)
	v_add_min_u32_e64 v36, v25, s1, 0x800
	v_dual_sub_nc_u32 v20, v25, v39 :: v_dual_sub_nc_u32 v21, v36, v25
	s_delay_alu instid0(VALU_DEP_1) | instskip(NEXT) | instid1(VALU_DEP_2)
	v_min_u32_e32 v41, v40, v20
	v_sub_nc_u32_e64 v37, v40, v21 clamp
	s_delay_alu instid0(VALU_DEP_1)
	v_cmpx_lt_u32_e64 v37, v41
	s_cbranch_execz .LBB261_604
; %bb.595:                              ;   in Loop: Header=BB261_594 Depth=1
	v_lshlrev_b32_e32 v20, 3, v40
	s_mov_b32 s15, 0
	s_delay_alu instid0(VALU_DEP_1)
	v_lshl_add_u32 v42, v25, 3, v20
	s_branch .LBB261_598
.LBB261_596:                            ;   in Loop: Header=BB261_598 Depth=2
	s_or_b32 exec_lo, exec_lo, s23
.LBB261_597:                            ;   in Loop: Header=BB261_598 Depth=2
	s_delay_alu instid0(VALU_DEP_1) | instskip(NEXT) | instid1(VALU_DEP_1)
	v_dual_add_nc_u32 v20, 1, v43 :: v_dual_cndmask_b32 v41, v41, v43, s22
	v_cndmask_b32_e64 v37, v20, v37, s22
	s_delay_alu instid0(VALU_DEP_1) | instskip(SKIP_1) | instid1(SALU_CYCLE_1)
	v_cmp_ge_u32_e32 vcc_lo, v37, v41
	s_or_b32 s15, vcc_lo, s15
	s_and_not1_b32 exec_lo, exec_lo, s15
	s_cbranch_execz .LBB261_603
.LBB261_598:                            ;   Parent Loop BB261_594 Depth=1
                                        ; =>  This Loop Header: Depth=2
                                        ;       Child Loop BB261_601 Depth 3
	v_add_nc_u32_e32 v20, v41, v37
	v_cmp_ne_u32_e32 vcc_lo, 1, v35
	s_mov_b32 s22, 0
	s_delay_alu instid0(VALU_DEP_2)
	v_lshrrev_b32_e32 v43, 1, v20
	s_cbranch_vccnz .LBB261_597
; %bb.599:                              ;   in Loop: Header=BB261_598 Depth=2
	s_delay_alu instid0(VALU_DEP_1) | instskip(SKIP_3) | instid1(VALU_DEP_2)
	v_not_b32_e32 v20, v43
	v_lshl_add_u32 v21, v43, 3, v38
	s_mov_b32 s23, 0
	s_mov_b64 s[6:7], s[16:17]
                                        ; implicit-def: $sgpr22
                                        ; implicit-def: $sgpr24
                                        ; implicit-def: $sgpr25
                                        ; implicit-def: $sgpr26
	v_lshl_add_u32 v20, v20, 3, v42
	ds_load_b64 v[44:45], v20
	ds_load_b64 v[46:47], v21
	s_wait_dscnt 0x1
	v_mad_nc_u64_u32 v[20:21], v44, s16, s[18:19]
	s_wait_dscnt 0x0
	v_mad_nc_u64_u32 v[22:23], v46, s16, s[18:19]
	s_delay_alu instid0(VALU_DEP_2) | instskip(NEXT) | instid1(VALU_DEP_2)
	v_mad_u32 v21, v45, s16, v21
	v_mad_u32 v23, v47, s16, v23
	s_delay_alu instid0(VALU_DEP_2) | instskip(NEXT) | instid1(VALU_DEP_2)
	v_mad_u32 v21, v44, s17, v21
	v_mad_u32 v23, v46, s17, v23
	s_branch .LBB261_601
.LBB261_600:                            ;   in Loop: Header=BB261_601 Depth=3
	s_or_b32 exec_lo, exec_lo, s27
	s_delay_alu instid0(SALU_CYCLE_1) | instskip(NEXT) | instid1(SALU_CYCLE_1)
	s_and_b32 s27, exec_lo, s24
	s_or_b32 s23, s27, s23
	s_and_not1_b32 s26, s26, exec_lo
	s_and_b32 s0, s0, exec_lo
	s_and_not1_b32 s22, s22, exec_lo
	s_and_b32 s27, s25, exec_lo
	s_or_b32 s26, s26, s0
	s_or_b32 s22, s22, s27
	s_and_not1_b32 exec_lo, exec_lo, s23
	s_cbranch_execz .LBB261_596
.LBB261_601:                            ;   Parent Loop BB261_594 Depth=1
                                        ;     Parent Loop BB261_598 Depth=2
                                        ; =>    This Inner Loop Header: Depth=3
	global_load_u8 v44, v[20:21], off
	global_load_u8 v45, v[22:23], off
	s_and_not1_b32 s25, s25, exec_lo
	s_or_b32 s24, s24, exec_lo
	s_wait_loadcnt 0x1
	v_bfe_i32 v46, v44, 0, 8
	s_wait_loadcnt 0x0
	v_bfe_i32 v47, v45, 0, 8
	v_and_b32_e32 v44, 0xff, v44
	v_and_b32_e32 v45, 0xff, v45
	s_delay_alu instid0(VALU_DEP_3) | instskip(SKIP_2) | instid1(SALU_CYCLE_1)
	v_cmp_le_i16_e32 vcc_lo, v46, v47
	v_cmp_lt_i16_e64 s0, v46, v47
	s_and_b32 s27, vcc_lo, s26
	s_or_b32 s0, s0, s27
	s_delay_alu instid0(SALU_CYCLE_1) | instskip(NEXT) | instid1(SALU_CYCLE_1)
	s_and_b32 s27, s0, exec_lo
	s_or_b32 s25, s25, s27
	s_mov_b32 s27, exec_lo
	v_cmpx_eq_u16_e64 v44, v45
	s_cbranch_execz .LBB261_600
; %bb.602:                              ;   in Loop: Header=BB261_601 Depth=3
	s_add_nc_u64 s[6:7], s[6:7], -1
	v_add_nc_u64_e32 v[20:21], 1, v[20:21]
	s_cmp_eq_u64 s[6:7], 0
	v_add_nc_u64_e32 v[22:23], 1, v[22:23]
	s_cselect_b32 s26, -1, 0
	s_and_not1_b32 s24, s24, exec_lo
	s_and_b32 s26, s26, exec_lo
	s_and_not1_b32 s25, s25, exec_lo
	s_or_b32 s24, s24, s26
                                        ; implicit-def: $sgpr26
	s_branch .LBB261_600
.LBB261_603:                            ;   in Loop: Header=BB261_594 Depth=1
	s_or_b32 exec_lo, exec_lo, s15
.LBB261_604:                            ;   in Loop: Header=BB261_594 Depth=1
	s_delay_alu instid0(SALU_CYCLE_1) | instskip(SKIP_1) | instid1(VALU_DEP_1)
	s_or_b32 exec_lo, exec_lo, s14
	v_dual_sub_nc_u32 v21, v40, v37 :: v_dual_add_nc_u32 v20, v37, v39
	v_add_nc_u32_e32 v21, v21, v25
	s_delay_alu instid0(VALU_DEP_2) | instskip(NEXT) | instid1(VALU_DEP_2)
	v_cmp_le_u32_e32 vcc_lo, v20, v25
	v_cmp_le_u32_e64 s0, v21, v36
	s_or_b32 s0, vcc_lo, s0
	s_delay_alu instid0(SALU_CYCLE_1)
	s_and_saveexec_b32 s14, s0
	s_cbranch_execz .LBB261_695
; %bb.605:                              ;   in Loop: Header=BB261_594 Depth=1
	s_mov_b32 s6, exec_lo
	v_cmp_ge_u32_e32 vcc_lo, v20, v25
                                        ; implicit-def: $vgpr2_vgpr3
	v_cmpx_lt_u32_e64 v20, v25
; %bb.606:                              ;   in Loop: Header=BB261_594 Depth=1
	v_lshl_add_u32 v2, v37, 3, v38
	ds_load_b64 v[2:3], v2
; %bb.607:                              ;   in Loop: Header=BB261_594 Depth=1
	s_or_b32 exec_lo, exec_lo, s6
	v_cmp_ge_u32_e64 s15, v21, v36
	s_mov_b32 s6, exec_lo
                                        ; implicit-def: $vgpr14_vgpr15
	v_cmpx_lt_u32_e64 v21, v36
; %bb.608:                              ;   in Loop: Header=BB261_594 Depth=1
	v_lshlrev_b32_e32 v4, 3, v21
	ds_load_b64 v[14:15], v4
; %bb.609:                              ;   in Loop: Header=BB261_594 Depth=1
	s_or_b32 exec_lo, exec_lo, s6
	s_nor_b32 s0, vcc_lo, s15
	s_delay_alu instid0(SALU_CYCLE_1)
	s_and_saveexec_b32 s22, s0
	s_cbranch_execz .LBB261_618
; %bb.610:                              ;   in Loop: Header=BB261_594 Depth=1
	v_cmp_ne_u32_e32 vcc_lo, 1, v35
	s_cbranch_vccnz .LBB261_616
; %bb.611:                              ;   in Loop: Header=BB261_594 Depth=1
	s_wait_dscnt 0x0
	v_mad_nc_u64_u32 v[4:5], v14, s16, s[18:19]
	v_mad_nc_u64_u32 v[6:7], v2, s16, s[18:19]
	s_mov_b32 s23, 0
	s_mov_b64 s[6:7], s[16:17]
                                        ; implicit-def: $sgpr24
                                        ; implicit-def: $sgpr25
                                        ; implicit-def: $sgpr26
                                        ; implicit-def: $sgpr27
	s_delay_alu instid0(VALU_DEP_2) | instskip(NEXT) | instid1(VALU_DEP_2)
	v_mad_u32 v5, v15, s16, v5
	v_mad_u32 v7, v3, s16, v7
	s_delay_alu instid0(VALU_DEP_2) | instskip(NEXT) | instid1(VALU_DEP_2)
	v_mad_u32 v5, v14, s17, v5
	v_mad_u32 v7, v2, s17, v7
	s_branch .LBB261_613
.LBB261_612:                            ;   in Loop: Header=BB261_613 Depth=2
	s_or_b32 exec_lo, exec_lo, s28
	s_delay_alu instid0(SALU_CYCLE_1) | instskip(NEXT) | instid1(SALU_CYCLE_1)
	s_and_b32 s28, exec_lo, s25
	s_or_b32 s23, s28, s23
	s_and_not1_b32 s27, s27, exec_lo
	s_and_b32 s0, s0, exec_lo
	s_and_not1_b32 s24, s24, exec_lo
	s_and_b32 s28, s26, exec_lo
	s_or_b32 s27, s27, s0
	s_or_b32 s24, s24, s28
	s_and_not1_b32 exec_lo, exec_lo, s23
	s_cbranch_execz .LBB261_615
.LBB261_613:                            ;   Parent Loop BB261_594 Depth=1
                                        ; =>  This Inner Loop Header: Depth=2
	global_load_u8 v8, v[4:5], off
	global_load_u8 v9, v[6:7], off
	s_and_not1_b32 s26, s26, exec_lo
	s_or_b32 s25, s25, exec_lo
	s_wait_loadcnt 0x1
	v_bfe_i32 v10, v8, 0, 8
	s_wait_loadcnt 0x0
	v_bfe_i32 v11, v9, 0, 8
	v_and_b32_e32 v8, 0xff, v8
	v_and_b32_e32 v9, 0xff, v9
	s_delay_alu instid0(VALU_DEP_3) | instskip(SKIP_2) | instid1(SALU_CYCLE_1)
	v_cmp_le_i16_e32 vcc_lo, v10, v11
	v_cmp_lt_i16_e64 s0, v10, v11
	s_and_b32 s28, vcc_lo, s27
	s_or_b32 s0, s0, s28
	s_delay_alu instid0(SALU_CYCLE_1) | instskip(NEXT) | instid1(SALU_CYCLE_1)
	s_and_b32 s28, s0, exec_lo
	s_or_b32 s26, s26, s28
	s_mov_b32 s28, exec_lo
	v_cmpx_eq_u16_e64 v8, v9
	s_cbranch_execz .LBB261_612
; %bb.614:                              ;   in Loop: Header=BB261_613 Depth=2
	s_add_nc_u64 s[6:7], s[6:7], -1
	v_add_nc_u64_e32 v[4:5], 1, v[4:5]
	s_cmp_eq_u64 s[6:7], 0
	v_add_nc_u64_e32 v[6:7], 1, v[6:7]
	s_cselect_b32 s27, -1, 0
	s_and_not1_b32 s25, s25, exec_lo
	s_and_b32 s27, s27, exec_lo
	s_and_not1_b32 s26, s26, exec_lo
	s_or_b32 s25, s25, s27
                                        ; implicit-def: $sgpr27
	s_branch .LBB261_612
.LBB261_615:                            ;   in Loop: Header=BB261_594 Depth=1
	s_or_b32 exec_lo, exec_lo, s23
	s_xor_b32 s0, s24, -1
	s_branch .LBB261_617
.LBB261_616:                            ;   in Loop: Header=BB261_594 Depth=1
	s_mov_b32 s0, -1
.LBB261_617:                            ;   in Loop: Header=BB261_594 Depth=1
	s_and_not1_b32 s6, s15, exec_lo
	s_and_b32 s0, s0, exec_lo
	s_delay_alu instid0(SALU_CYCLE_1)
	s_or_b32 s15, s6, s0
.LBB261_618:                            ;   in Loop: Header=BB261_594 Depth=1
	s_or_b32 exec_lo, exec_lo, s22
	v_dual_cndmask_b32 v4, v21, v20, s15 :: v_dual_cndmask_b32 v5, v36, v25, s15
	s_mov_b32 s23, -1
	s_mov_b32 s22, -1
	s_mov_b32 s24, exec_lo
	s_delay_alu instid0(VALU_DEP_1) | instskip(NEXT) | instid1(VALU_DEP_1)
	v_add_nc_u32_e32 v6, 1, v4
	v_add_min_u32_e64 v4, v5, -1, v6
	s_delay_alu instid0(VALU_DEP_1)
	v_dual_lshlrev_b32 v4, 3, v4 :: v_dual_cndmask_b32 v8, v6, v21, s15
	v_cndmask_b32_e64 v9, v20, v6, s15
	ds_load_b64 v[4:5], v4
	s_wait_dscnt 0x0
	v_dual_cndmask_b32 v16, v5, v15, s15 :: v_dual_cndmask_b32 v20, v4, v14, s15
	v_dual_cndmask_b32 v17, v3, v5, s15 :: v_dual_cndmask_b32 v21, v2, v4, s15
	v_cmpx_lt_u32_e64 v8, v36
	s_cbranch_execz .LBB261_629
; %bb.619:                              ;   in Loop: Header=BB261_594 Depth=1
	s_mov_b32 s0, 0
	s_mov_b32 s22, exec_lo
	v_cmpx_lt_u32_e64 v9, v25
	s_cbranch_execz .LBB261_628
; %bb.620:                              ;   in Loop: Header=BB261_594 Depth=1
	v_cmp_ne_u32_e32 vcc_lo, 1, v35
	s_cbranch_vccnz .LBB261_626
; %bb.621:                              ;   in Loop: Header=BB261_594 Depth=1
	v_mad_nc_u64_u32 v[4:5], v20, s16, s[18:19]
	v_mad_nc_u64_u32 v[6:7], v21, s16, s[18:19]
	s_mov_b32 s25, 0
	s_mov_b64 s[6:7], s[16:17]
                                        ; implicit-def: $sgpr26
                                        ; implicit-def: $sgpr27
                                        ; implicit-def: $sgpr28
                                        ; implicit-def: $sgpr29
	s_delay_alu instid0(VALU_DEP_2) | instskip(NEXT) | instid1(VALU_DEP_2)
	v_mad_u32 v5, v16, s16, v5
	v_mad_u32 v7, v17, s16, v7
	s_delay_alu instid0(VALU_DEP_2) | instskip(NEXT) | instid1(VALU_DEP_2)
	v_mad_u32 v5, v20, s17, v5
	v_mad_u32 v7, v21, s17, v7
	s_branch .LBB261_623
.LBB261_622:                            ;   in Loop: Header=BB261_623 Depth=2
	s_or_b32 exec_lo, exec_lo, s30
	s_delay_alu instid0(SALU_CYCLE_1) | instskip(NEXT) | instid1(SALU_CYCLE_1)
	s_and_b32 s30, exec_lo, s27
	s_or_b32 s25, s30, s25
	s_and_not1_b32 s29, s29, exec_lo
	s_and_b32 s0, s0, exec_lo
	s_and_not1_b32 s26, s26, exec_lo
	s_and_b32 s30, s28, exec_lo
	s_or_b32 s29, s29, s0
	s_or_b32 s26, s26, s30
	s_and_not1_b32 exec_lo, exec_lo, s25
	s_cbranch_execz .LBB261_625
.LBB261_623:                            ;   Parent Loop BB261_594 Depth=1
                                        ; =>  This Inner Loop Header: Depth=2
	global_load_u8 v10, v[4:5], off
	global_load_u8 v11, v[6:7], off
	s_and_not1_b32 s28, s28, exec_lo
	s_or_b32 s27, s27, exec_lo
	s_wait_loadcnt 0x1
	v_bfe_i32 v12, v10, 0, 8
	s_wait_loadcnt 0x0
	v_bfe_i32 v13, v11, 0, 8
	v_and_b32_e32 v10, 0xff, v10
	v_and_b32_e32 v11, 0xff, v11
	s_delay_alu instid0(VALU_DEP_3) | instskip(SKIP_2) | instid1(SALU_CYCLE_1)
	v_cmp_le_i16_e32 vcc_lo, v12, v13
	v_cmp_lt_i16_e64 s0, v12, v13
	s_and_b32 s30, vcc_lo, s29
	s_or_b32 s0, s0, s30
	s_delay_alu instid0(SALU_CYCLE_1) | instskip(NEXT) | instid1(SALU_CYCLE_1)
	s_and_b32 s30, s0, exec_lo
	s_or_b32 s28, s28, s30
	s_mov_b32 s30, exec_lo
	v_cmpx_eq_u16_e64 v10, v11
	s_cbranch_execz .LBB261_622
; %bb.624:                              ;   in Loop: Header=BB261_623 Depth=2
	s_add_nc_u64 s[6:7], s[6:7], -1
	v_add_nc_u64_e32 v[4:5], 1, v[4:5]
	s_cmp_eq_u64 s[6:7], 0
	v_add_nc_u64_e32 v[6:7], 1, v[6:7]
	s_cselect_b32 s29, -1, 0
	s_and_not1_b32 s27, s27, exec_lo
	s_and_b32 s29, s29, exec_lo
	s_and_not1_b32 s28, s28, exec_lo
	s_or_b32 s27, s27, s29
                                        ; implicit-def: $sgpr29
	s_branch .LBB261_622
.LBB261_625:                            ;   in Loop: Header=BB261_594 Depth=1
	s_or_b32 exec_lo, exec_lo, s25
	s_xor_b32 s0, s26, -1
	s_branch .LBB261_627
.LBB261_626:                            ;   in Loop: Header=BB261_594 Depth=1
	s_mov_b32 s0, -1
.LBB261_627:                            ;   in Loop: Header=BB261_594 Depth=1
	s_delay_alu instid0(SALU_CYCLE_1)
	s_and_b32 s0, s0, exec_lo
.LBB261_628:                            ;   in Loop: Header=BB261_594 Depth=1
	s_or_b32 exec_lo, exec_lo, s22
	s_delay_alu instid0(SALU_CYCLE_1)
	s_or_not1_b32 s22, s0, exec_lo
.LBB261_629:                            ;   in Loop: Header=BB261_594 Depth=1
	s_or_b32 exec_lo, exec_lo, s24
	v_cndmask_b32_e64 v4, v8, v9, s22
	v_cndmask_b32_e64 v5, v36, v25, s22
	s_mov_b32 s24, exec_lo
	s_delay_alu instid0(VALU_DEP_2) | instskip(NEXT) | instid1(VALU_DEP_1)
	v_add_nc_u32_e32 v6, 1, v4
	v_add_min_u32_e64 v4, v5, -1, v6
	v_dual_cndmask_b32 v8, v6, v8, s22 :: v_dual_cndmask_b32 v9, v9, v6, s22
	s_delay_alu instid0(VALU_DEP_2)
	v_lshlrev_b32_e32 v4, 3, v4
	ds_load_b64 v[4:5], v4
	s_wait_dscnt 0x0
	v_cndmask_b32_e64 v22, v5, v16, s22
	v_dual_cndmask_b32 v23, v4, v20, s22 :: v_dual_cndmask_b32 v37, v17, v5, s22
	v_cndmask_b32_e64 v38, v21, v4, s22
	v_cmpx_lt_u32_e64 v8, v36
	s_cbranch_execz .LBB261_640
; %bb.630:                              ;   in Loop: Header=BB261_594 Depth=1
	s_mov_b32 s0, 0
	s_mov_b32 s23, exec_lo
	v_cmpx_lt_u32_e64 v9, v25
	s_cbranch_execz .LBB261_639
; %bb.631:                              ;   in Loop: Header=BB261_594 Depth=1
	v_cmp_ne_u32_e32 vcc_lo, 1, v35
	s_cbranch_vccnz .LBB261_637
; %bb.632:                              ;   in Loop: Header=BB261_594 Depth=1
	v_mad_nc_u64_u32 v[4:5], v23, s16, s[18:19]
	v_mad_nc_u64_u32 v[6:7], v38, s16, s[18:19]
	s_mov_b32 s25, 0
	s_mov_b64 s[6:7], s[16:17]
                                        ; implicit-def: $sgpr26
                                        ; implicit-def: $sgpr27
                                        ; implicit-def: $sgpr28
                                        ; implicit-def: $sgpr29
	s_delay_alu instid0(VALU_DEP_2) | instskip(NEXT) | instid1(VALU_DEP_2)
	v_mad_u32 v5, v22, s16, v5
	v_mad_u32 v7, v37, s16, v7
	s_delay_alu instid0(VALU_DEP_2) | instskip(NEXT) | instid1(VALU_DEP_2)
	v_mad_u32 v5, v23, s17, v5
	v_mad_u32 v7, v38, s17, v7
	s_branch .LBB261_634
.LBB261_633:                            ;   in Loop: Header=BB261_634 Depth=2
	s_or_b32 exec_lo, exec_lo, s30
	s_delay_alu instid0(SALU_CYCLE_1) | instskip(NEXT) | instid1(SALU_CYCLE_1)
	s_and_b32 s30, exec_lo, s27
	s_or_b32 s25, s30, s25
	s_and_not1_b32 s29, s29, exec_lo
	s_and_b32 s0, s0, exec_lo
	s_and_not1_b32 s26, s26, exec_lo
	s_and_b32 s30, s28, exec_lo
	s_or_b32 s29, s29, s0
	s_or_b32 s26, s26, s30
	s_and_not1_b32 exec_lo, exec_lo, s25
	s_cbranch_execz .LBB261_636
.LBB261_634:                            ;   Parent Loop BB261_594 Depth=1
                                        ; =>  This Inner Loop Header: Depth=2
	global_load_u8 v10, v[4:5], off
	global_load_u8 v11, v[6:7], off
	s_and_not1_b32 s28, s28, exec_lo
	s_or_b32 s27, s27, exec_lo
	s_wait_loadcnt 0x1
	v_bfe_i32 v12, v10, 0, 8
	s_wait_loadcnt 0x0
	v_bfe_i32 v13, v11, 0, 8
	v_and_b32_e32 v10, 0xff, v10
	v_and_b32_e32 v11, 0xff, v11
	s_delay_alu instid0(VALU_DEP_3) | instskip(SKIP_2) | instid1(SALU_CYCLE_1)
	v_cmp_le_i16_e32 vcc_lo, v12, v13
	v_cmp_lt_i16_e64 s0, v12, v13
	s_and_b32 s30, vcc_lo, s29
	s_or_b32 s0, s0, s30
	s_delay_alu instid0(SALU_CYCLE_1) | instskip(NEXT) | instid1(SALU_CYCLE_1)
	s_and_b32 s30, s0, exec_lo
	s_or_b32 s28, s28, s30
	s_mov_b32 s30, exec_lo
	v_cmpx_eq_u16_e64 v10, v11
	s_cbranch_execz .LBB261_633
; %bb.635:                              ;   in Loop: Header=BB261_634 Depth=2
	s_add_nc_u64 s[6:7], s[6:7], -1
	v_add_nc_u64_e32 v[4:5], 1, v[4:5]
	s_cmp_eq_u64 s[6:7], 0
	v_add_nc_u64_e32 v[6:7], 1, v[6:7]
	s_cselect_b32 s29, -1, 0
	s_and_not1_b32 s27, s27, exec_lo
	s_and_b32 s29, s29, exec_lo
	s_and_not1_b32 s28, s28, exec_lo
	s_or_b32 s27, s27, s29
                                        ; implicit-def: $sgpr29
	s_branch .LBB261_633
.LBB261_636:                            ;   in Loop: Header=BB261_594 Depth=1
	s_or_b32 exec_lo, exec_lo, s25
	s_xor_b32 s0, s26, -1
	s_branch .LBB261_638
.LBB261_637:                            ;   in Loop: Header=BB261_594 Depth=1
	s_mov_b32 s0, -1
.LBB261_638:                            ;   in Loop: Header=BB261_594 Depth=1
	s_delay_alu instid0(SALU_CYCLE_1)
	s_and_b32 s0, s0, exec_lo
.LBB261_639:                            ;   in Loop: Header=BB261_594 Depth=1
	s_or_b32 exec_lo, exec_lo, s23
	s_delay_alu instid0(SALU_CYCLE_1)
	s_or_not1_b32 s23, s0, exec_lo
.LBB261_640:                            ;   in Loop: Header=BB261_594 Depth=1
	s_or_b32 exec_lo, exec_lo, s24
	v_cndmask_b32_e64 v4, v8, v9, s23
	v_cndmask_b32_e64 v5, v36, v25, s23
	s_mov_b32 s25, -1
	s_mov_b32 s24, -1
	s_mov_b32 s26, exec_lo
	v_add_nc_u32_e32 v6, 1, v4
	s_delay_alu instid0(VALU_DEP_1) | instskip(SKIP_1) | instid1(VALU_DEP_2)
	v_add_min_u32_e64 v4, v5, -1, v6
	v_dual_cndmask_b32 v8, v6, v8, s23 :: v_dual_cndmask_b32 v9, v9, v6, s23
	v_lshlrev_b32_e32 v4, 3, v4
	ds_load_b64 v[4:5], v4
	s_wait_dscnt 0x0
	v_dual_cndmask_b32 v12, v5, v22, s23 :: v_dual_cndmask_b32 v39, v4, v23, s23
	v_dual_cndmask_b32 v13, v37, v5, s23 :: v_dual_cndmask_b32 v40, v38, v4, s23
	v_cmpx_lt_u32_e64 v8, v36
	s_cbranch_execz .LBB261_651
; %bb.641:                              ;   in Loop: Header=BB261_594 Depth=1
	s_mov_b32 s0, 0
	s_mov_b32 s24, exec_lo
	v_cmpx_lt_u32_e64 v9, v25
	s_cbranch_execz .LBB261_650
; %bb.642:                              ;   in Loop: Header=BB261_594 Depth=1
	v_cmp_ne_u32_e32 vcc_lo, 1, v35
	s_cbranch_vccnz .LBB261_648
; %bb.643:                              ;   in Loop: Header=BB261_594 Depth=1
	v_mad_nc_u64_u32 v[4:5], v39, s16, s[18:19]
	v_mad_nc_u64_u32 v[6:7], v40, s16, s[18:19]
	s_mov_b32 s27, 0
	s_mov_b64 s[6:7], s[16:17]
                                        ; implicit-def: $sgpr28
                                        ; implicit-def: $sgpr29
                                        ; implicit-def: $sgpr30
                                        ; implicit-def: $sgpr31
	s_delay_alu instid0(VALU_DEP_2) | instskip(NEXT) | instid1(VALU_DEP_2)
	v_mad_u32 v5, v12, s16, v5
	v_mad_u32 v7, v13, s16, v7
	s_delay_alu instid0(VALU_DEP_2) | instskip(NEXT) | instid1(VALU_DEP_2)
	v_mad_u32 v5, v39, s17, v5
	v_mad_u32 v7, v40, s17, v7
	s_branch .LBB261_645
.LBB261_644:                            ;   in Loop: Header=BB261_645 Depth=2
	s_or_b32 exec_lo, exec_lo, s33
	s_delay_alu instid0(SALU_CYCLE_1) | instskip(NEXT) | instid1(SALU_CYCLE_1)
	s_and_b32 s33, exec_lo, s29
	s_or_b32 s27, s33, s27
	s_and_not1_b32 s31, s31, exec_lo
	s_and_b32 s0, s0, exec_lo
	s_and_not1_b32 s28, s28, exec_lo
	s_and_b32 s33, s30, exec_lo
	s_or_b32 s31, s31, s0
	s_or_b32 s28, s28, s33
	s_and_not1_b32 exec_lo, exec_lo, s27
	s_cbranch_execz .LBB261_647
.LBB261_645:                            ;   Parent Loop BB261_594 Depth=1
                                        ; =>  This Inner Loop Header: Depth=2
	global_load_u8 v10, v[4:5], off
	global_load_u8 v11, v[6:7], off
	s_and_not1_b32 s30, s30, exec_lo
	s_or_b32 s29, s29, exec_lo
	s_wait_loadcnt 0x1
	v_bfe_i32 v41, v10, 0, 8
	s_wait_loadcnt 0x0
	v_bfe_i32 v42, v11, 0, 8
	v_and_b32_e32 v10, 0xff, v10
	v_and_b32_e32 v11, 0xff, v11
	s_delay_alu instid0(VALU_DEP_3) | instskip(SKIP_2) | instid1(SALU_CYCLE_1)
	v_cmp_le_i16_e32 vcc_lo, v41, v42
	v_cmp_lt_i16_e64 s0, v41, v42
	s_and_b32 s33, vcc_lo, s31
	s_or_b32 s0, s0, s33
	s_delay_alu instid0(SALU_CYCLE_1) | instskip(NEXT) | instid1(SALU_CYCLE_1)
	s_and_b32 s33, s0, exec_lo
	s_or_b32 s30, s30, s33
	s_mov_b32 s33, exec_lo
	v_cmpx_eq_u16_e64 v10, v11
	s_cbranch_execz .LBB261_644
; %bb.646:                              ;   in Loop: Header=BB261_645 Depth=2
	s_add_nc_u64 s[6:7], s[6:7], -1
	v_add_nc_u64_e32 v[4:5], 1, v[4:5]
	s_cmp_eq_u64 s[6:7], 0
	v_add_nc_u64_e32 v[6:7], 1, v[6:7]
	s_cselect_b32 s31, -1, 0
	s_and_not1_b32 s29, s29, exec_lo
	s_and_b32 s31, s31, exec_lo
	s_and_not1_b32 s30, s30, exec_lo
	s_or_b32 s29, s29, s31
                                        ; implicit-def: $sgpr31
	s_branch .LBB261_644
.LBB261_647:                            ;   in Loop: Header=BB261_594 Depth=1
	s_or_b32 exec_lo, exec_lo, s27
	s_xor_b32 s0, s28, -1
	s_branch .LBB261_649
.LBB261_648:                            ;   in Loop: Header=BB261_594 Depth=1
	s_mov_b32 s0, -1
.LBB261_649:                            ;   in Loop: Header=BB261_594 Depth=1
	s_delay_alu instid0(SALU_CYCLE_1)
	s_and_b32 s0, s0, exec_lo
.LBB261_650:                            ;   in Loop: Header=BB261_594 Depth=1
	s_or_b32 exec_lo, exec_lo, s24
	s_delay_alu instid0(SALU_CYCLE_1)
	s_or_not1_b32 s24, s0, exec_lo
.LBB261_651:                            ;   in Loop: Header=BB261_594 Depth=1
	s_or_b32 exec_lo, exec_lo, s26
	v_cndmask_b32_e64 v4, v8, v9, s24
	v_cndmask_b32_e64 v5, v36, v25, s24
	s_mov_b32 s26, exec_lo
	s_delay_alu instid0(VALU_DEP_2) | instskip(NEXT) | instid1(VALU_DEP_1)
	v_add_nc_u32_e32 v6, 1, v4
	v_add_min_u32_e64 v4, v5, -1, v6
	v_dual_cndmask_b32 v8, v6, v8, s24 :: v_dual_cndmask_b32 v9, v9, v6, s24
	s_delay_alu instid0(VALU_DEP_2)
	v_lshlrev_b32_e32 v4, 3, v4
	ds_load_b64 v[4:5], v4
	s_wait_dscnt 0x0
	v_dual_cndmask_b32 v41, v5, v12, s24 :: v_dual_cndmask_b32 v42, v4, v39, s24
	v_dual_cndmask_b32 v43, v13, v5, s24 :: v_dual_cndmask_b32 v44, v40, v4, s24
	v_cmpx_lt_u32_e64 v8, v36
	s_cbranch_execz .LBB261_662
; %bb.652:                              ;   in Loop: Header=BB261_594 Depth=1
	s_mov_b32 s0, 0
	s_mov_b32 s25, exec_lo
	v_cmpx_lt_u32_e64 v9, v25
	s_cbranch_execz .LBB261_661
; %bb.653:                              ;   in Loop: Header=BB261_594 Depth=1
	v_cmp_ne_u32_e32 vcc_lo, 1, v35
	s_cbranch_vccnz .LBB261_659
; %bb.654:                              ;   in Loop: Header=BB261_594 Depth=1
	v_mad_nc_u64_u32 v[4:5], v42, s16, s[18:19]
	v_mad_nc_u64_u32 v[6:7], v44, s16, s[18:19]
	s_mov_b32 s27, 0
	s_mov_b64 s[6:7], s[16:17]
                                        ; implicit-def: $sgpr28
                                        ; implicit-def: $sgpr29
                                        ; implicit-def: $sgpr30
                                        ; implicit-def: $sgpr31
	s_delay_alu instid0(VALU_DEP_2) | instskip(NEXT) | instid1(VALU_DEP_2)
	v_mad_u32 v5, v41, s16, v5
	v_mad_u32 v7, v43, s16, v7
	s_delay_alu instid0(VALU_DEP_2) | instskip(NEXT) | instid1(VALU_DEP_2)
	v_mad_u32 v5, v42, s17, v5
	v_mad_u32 v7, v44, s17, v7
	s_branch .LBB261_656
.LBB261_655:                            ;   in Loop: Header=BB261_656 Depth=2
	s_or_b32 exec_lo, exec_lo, s33
	s_delay_alu instid0(SALU_CYCLE_1) | instskip(NEXT) | instid1(SALU_CYCLE_1)
	s_and_b32 s33, exec_lo, s29
	s_or_b32 s27, s33, s27
	s_and_not1_b32 s31, s31, exec_lo
	s_and_b32 s0, s0, exec_lo
	s_and_not1_b32 s28, s28, exec_lo
	s_and_b32 s33, s30, exec_lo
	s_or_b32 s31, s31, s0
	s_or_b32 s28, s28, s33
	s_and_not1_b32 exec_lo, exec_lo, s27
	s_cbranch_execz .LBB261_658
.LBB261_656:                            ;   Parent Loop BB261_594 Depth=1
                                        ; =>  This Inner Loop Header: Depth=2
	global_load_u8 v10, v[4:5], off
	global_load_u8 v11, v[6:7], off
	s_and_not1_b32 s30, s30, exec_lo
	s_or_b32 s29, s29, exec_lo
	s_wait_loadcnt 0x1
	v_bfe_i32 v45, v10, 0, 8
	s_wait_loadcnt 0x0
	v_bfe_i32 v46, v11, 0, 8
	v_and_b32_e32 v10, 0xff, v10
	v_and_b32_e32 v11, 0xff, v11
	s_delay_alu instid0(VALU_DEP_3) | instskip(SKIP_2) | instid1(SALU_CYCLE_1)
	v_cmp_le_i16_e32 vcc_lo, v45, v46
	v_cmp_lt_i16_e64 s0, v45, v46
	s_and_b32 s33, vcc_lo, s31
	s_or_b32 s0, s0, s33
	s_delay_alu instid0(SALU_CYCLE_1) | instskip(NEXT) | instid1(SALU_CYCLE_1)
	s_and_b32 s33, s0, exec_lo
	s_or_b32 s30, s30, s33
	s_mov_b32 s33, exec_lo
	v_cmpx_eq_u16_e64 v10, v11
	s_cbranch_execz .LBB261_655
; %bb.657:                              ;   in Loop: Header=BB261_656 Depth=2
	s_add_nc_u64 s[6:7], s[6:7], -1
	v_add_nc_u64_e32 v[4:5], 1, v[4:5]
	s_cmp_eq_u64 s[6:7], 0
	v_add_nc_u64_e32 v[6:7], 1, v[6:7]
	s_cselect_b32 s31, -1, 0
	s_and_not1_b32 s29, s29, exec_lo
	s_and_b32 s31, s31, exec_lo
	s_and_not1_b32 s30, s30, exec_lo
	s_or_b32 s29, s29, s31
                                        ; implicit-def: $sgpr31
	s_branch .LBB261_655
.LBB261_658:                            ;   in Loop: Header=BB261_594 Depth=1
	s_or_b32 exec_lo, exec_lo, s27
	s_xor_b32 s0, s28, -1
	s_branch .LBB261_660
.LBB261_659:                            ;   in Loop: Header=BB261_594 Depth=1
	s_mov_b32 s0, -1
.LBB261_660:                            ;   in Loop: Header=BB261_594 Depth=1
	s_delay_alu instid0(SALU_CYCLE_1)
	s_and_b32 s0, s0, exec_lo
.LBB261_661:                            ;   in Loop: Header=BB261_594 Depth=1
	s_or_b32 exec_lo, exec_lo, s25
	s_delay_alu instid0(SALU_CYCLE_1)
	s_or_not1_b32 s25, s0, exec_lo
.LBB261_662:                            ;   in Loop: Header=BB261_594 Depth=1
	s_or_b32 exec_lo, exec_lo, s26
	v_cndmask_b32_e64 v4, v8, v9, s25
	v_cndmask_b32_e64 v5, v36, v25, s25
	s_mov_b32 s26, -1
	s_mov_b32 s27, -1
	s_mov_b32 s28, exec_lo
	v_add_nc_u32_e32 v6, 1, v4
	s_delay_alu instid0(VALU_DEP_1) | instskip(SKIP_1) | instid1(VALU_DEP_2)
	v_add_min_u32_e64 v4, v5, -1, v6
	v_dual_cndmask_b32 v8, v6, v8, s25 :: v_dual_cndmask_b32 v9, v9, v6, s25
	v_lshlrev_b32_e32 v4, 3, v4
	ds_load_b64 v[4:5], v4
	s_wait_dscnt 0x0
	v_dual_cndmask_b32 v45, v5, v41, s25 :: v_dual_cndmask_b32 v46, v4, v42, s25
	v_dual_cndmask_b32 v47, v43, v5, s25 :: v_dual_cndmask_b32 v48, v44, v4, s25
	v_cmpx_lt_u32_e64 v8, v36
	s_cbranch_execz .LBB261_673
; %bb.663:                              ;   in Loop: Header=BB261_594 Depth=1
	s_mov_b32 s0, 0
	s_mov_b32 s27, exec_lo
	v_cmpx_lt_u32_e64 v9, v25
	s_cbranch_execz .LBB261_672
; %bb.664:                              ;   in Loop: Header=BB261_594 Depth=1
	v_cmp_ne_u32_e32 vcc_lo, 1, v35
	s_cbranch_vccnz .LBB261_670
; %bb.665:                              ;   in Loop: Header=BB261_594 Depth=1
	v_mad_nc_u64_u32 v[4:5], v46, s16, s[18:19]
	v_mad_nc_u64_u32 v[6:7], v48, s16, s[18:19]
	s_mov_b32 s29, 0
	s_mov_b64 s[6:7], s[16:17]
                                        ; implicit-def: $sgpr30
                                        ; implicit-def: $sgpr31
                                        ; implicit-def: $sgpr33
                                        ; implicit-def: $sgpr34
	s_delay_alu instid0(VALU_DEP_2) | instskip(NEXT) | instid1(VALU_DEP_2)
	v_mad_u32 v5, v45, s16, v5
	v_mad_u32 v7, v47, s16, v7
	s_delay_alu instid0(VALU_DEP_2) | instskip(NEXT) | instid1(VALU_DEP_2)
	v_mad_u32 v5, v46, s17, v5
	v_mad_u32 v7, v48, s17, v7
	s_branch .LBB261_667
.LBB261_666:                            ;   in Loop: Header=BB261_667 Depth=2
	s_or_b32 exec_lo, exec_lo, s35
	s_delay_alu instid0(SALU_CYCLE_1) | instskip(NEXT) | instid1(SALU_CYCLE_1)
	s_and_b32 s35, exec_lo, s31
	s_or_b32 s29, s35, s29
	s_and_not1_b32 s34, s34, exec_lo
	s_and_b32 s0, s0, exec_lo
	s_and_not1_b32 s30, s30, exec_lo
	s_and_b32 s35, s33, exec_lo
	s_or_b32 s34, s34, s0
	s_or_b32 s30, s30, s35
	s_and_not1_b32 exec_lo, exec_lo, s29
	s_cbranch_execz .LBB261_669
.LBB261_667:                            ;   Parent Loop BB261_594 Depth=1
                                        ; =>  This Inner Loop Header: Depth=2
	global_load_u8 v10, v[4:5], off
	global_load_u8 v11, v[6:7], off
	s_and_not1_b32 s33, s33, exec_lo
	s_or_b32 s31, s31, exec_lo
	s_wait_loadcnt 0x1
	v_bfe_i32 v49, v10, 0, 8
	s_wait_loadcnt 0x0
	v_bfe_i32 v50, v11, 0, 8
	v_and_b32_e32 v10, 0xff, v10
	v_and_b32_e32 v11, 0xff, v11
	s_delay_alu instid0(VALU_DEP_3) | instskip(SKIP_2) | instid1(SALU_CYCLE_1)
	v_cmp_le_i16_e32 vcc_lo, v49, v50
	v_cmp_lt_i16_e64 s0, v49, v50
	s_and_b32 s35, vcc_lo, s34
	s_or_b32 s0, s0, s35
	s_delay_alu instid0(SALU_CYCLE_1) | instskip(NEXT) | instid1(SALU_CYCLE_1)
	s_and_b32 s35, s0, exec_lo
	s_or_b32 s33, s33, s35
	s_mov_b32 s35, exec_lo
	v_cmpx_eq_u16_e64 v10, v11
	s_cbranch_execz .LBB261_666
; %bb.668:                              ;   in Loop: Header=BB261_667 Depth=2
	s_add_nc_u64 s[6:7], s[6:7], -1
	v_add_nc_u64_e32 v[4:5], 1, v[4:5]
	s_cmp_eq_u64 s[6:7], 0
	v_add_nc_u64_e32 v[6:7], 1, v[6:7]
	s_cselect_b32 s34, -1, 0
	s_and_not1_b32 s31, s31, exec_lo
	s_and_b32 s34, s34, exec_lo
	s_and_not1_b32 s33, s33, exec_lo
	s_or_b32 s31, s31, s34
                                        ; implicit-def: $sgpr34
	s_branch .LBB261_666
.LBB261_669:                            ;   in Loop: Header=BB261_594 Depth=1
	s_or_b32 exec_lo, exec_lo, s29
	s_xor_b32 s0, s30, -1
	s_branch .LBB261_671
.LBB261_670:                            ;   in Loop: Header=BB261_594 Depth=1
	s_mov_b32 s0, -1
.LBB261_671:                            ;   in Loop: Header=BB261_594 Depth=1
	s_delay_alu instid0(SALU_CYCLE_1)
	s_and_b32 s0, s0, exec_lo
.LBB261_672:                            ;   in Loop: Header=BB261_594 Depth=1
	s_or_b32 exec_lo, exec_lo, s27
	s_delay_alu instid0(SALU_CYCLE_1)
	s_or_not1_b32 s27, s0, exec_lo
.LBB261_673:                            ;   in Loop: Header=BB261_594 Depth=1
	s_or_b32 exec_lo, exec_lo, s28
	v_cndmask_b32_e64 v4, v8, v9, s27
	v_cndmask_b32_e64 v5, v36, v25, s27
	s_mov_b32 s28, exec_lo
	s_delay_alu instid0(VALU_DEP_2) | instskip(NEXT) | instid1(VALU_DEP_1)
	v_add_nc_u32_e32 v6, 1, v4
	v_add_min_u32_e64 v4, v5, -1, v6
	v_dual_cndmask_b32 v10, v6, v8, s27 :: v_dual_cndmask_b32 v8, v9, v6, s27
	s_delay_alu instid0(VALU_DEP_2)
	v_lshlrev_b32_e32 v4, 3, v4
	ds_load_b64 v[4:5], v4
	s_wait_dscnt 0x0
	v_dual_cndmask_b32 v49, v5, v45, s27 :: v_dual_cndmask_b32 v50, v4, v46, s27
	v_dual_cndmask_b32 v51, v47, v5, s27 :: v_dual_cndmask_b32 v52, v48, v4, s27
	v_cmpx_lt_u32_e64 v10, v36
	s_cbranch_execz .LBB261_684
; %bb.674:                              ;   in Loop: Header=BB261_594 Depth=1
	s_mov_b32 s0, 0
	s_mov_b32 s26, exec_lo
	v_cmpx_lt_u32_e64 v8, v25
	s_cbranch_execz .LBB261_683
; %bb.675:                              ;   in Loop: Header=BB261_594 Depth=1
	v_cmp_ne_u32_e32 vcc_lo, 1, v35
	s_cbranch_vccnz .LBB261_681
; %bb.676:                              ;   in Loop: Header=BB261_594 Depth=1
	v_mad_nc_u64_u32 v[4:5], v50, s16, s[18:19]
	v_mad_nc_u64_u32 v[6:7], v52, s16, s[18:19]
	s_mov_b32 s29, 0
	s_mov_b64 s[6:7], s[16:17]
                                        ; implicit-def: $sgpr30
                                        ; implicit-def: $sgpr31
                                        ; implicit-def: $sgpr33
                                        ; implicit-def: $sgpr34
	s_delay_alu instid0(VALU_DEP_2) | instskip(NEXT) | instid1(VALU_DEP_2)
	v_mad_u32 v5, v49, s16, v5
	v_mad_u32 v7, v51, s16, v7
	s_delay_alu instid0(VALU_DEP_2) | instskip(NEXT) | instid1(VALU_DEP_2)
	v_mad_u32 v5, v50, s17, v5
	v_mad_u32 v7, v52, s17, v7
	s_branch .LBB261_678
.LBB261_677:                            ;   in Loop: Header=BB261_678 Depth=2
	s_or_b32 exec_lo, exec_lo, s35
	s_delay_alu instid0(SALU_CYCLE_1) | instskip(NEXT) | instid1(SALU_CYCLE_1)
	s_and_b32 s35, exec_lo, s31
	s_or_b32 s29, s35, s29
	s_and_not1_b32 s34, s34, exec_lo
	s_and_b32 s0, s0, exec_lo
	s_and_not1_b32 s30, s30, exec_lo
	s_and_b32 s35, s33, exec_lo
	s_or_b32 s34, s34, s0
	s_or_b32 s30, s30, s35
	s_and_not1_b32 exec_lo, exec_lo, s29
	s_cbranch_execz .LBB261_680
.LBB261_678:                            ;   Parent Loop BB261_594 Depth=1
                                        ; =>  This Inner Loop Header: Depth=2
	global_load_u8 v9, v[4:5], off
	global_load_u8 v11, v[6:7], off
	s_and_not1_b32 s33, s33, exec_lo
	s_or_b32 s31, s31, exec_lo
	s_wait_loadcnt 0x1
	v_bfe_i32 v53, v9, 0, 8
	s_wait_loadcnt 0x0
	v_bfe_i32 v54, v11, 0, 8
	v_and_b32_e32 v9, 0xff, v9
	v_and_b32_e32 v11, 0xff, v11
	s_delay_alu instid0(VALU_DEP_3) | instskip(SKIP_2) | instid1(SALU_CYCLE_1)
	v_cmp_le_i16_e32 vcc_lo, v53, v54
	v_cmp_lt_i16_e64 s0, v53, v54
	s_and_b32 s35, vcc_lo, s34
	s_or_b32 s0, s0, s35
	s_delay_alu instid0(SALU_CYCLE_1) | instskip(NEXT) | instid1(SALU_CYCLE_1)
	s_and_b32 s35, s0, exec_lo
	s_or_b32 s33, s33, s35
	s_mov_b32 s35, exec_lo
	v_cmpx_eq_u16_e64 v9, v11
	s_cbranch_execz .LBB261_677
; %bb.679:                              ;   in Loop: Header=BB261_678 Depth=2
	s_add_nc_u64 s[6:7], s[6:7], -1
	v_add_nc_u64_e32 v[4:5], 1, v[4:5]
	s_cmp_eq_u64 s[6:7], 0
	v_add_nc_u64_e32 v[6:7], 1, v[6:7]
	s_cselect_b32 s34, -1, 0
	s_and_not1_b32 s31, s31, exec_lo
	s_and_b32 s34, s34, exec_lo
	s_and_not1_b32 s33, s33, exec_lo
	s_or_b32 s31, s31, s34
                                        ; implicit-def: $sgpr34
	s_branch .LBB261_677
.LBB261_680:                            ;   in Loop: Header=BB261_594 Depth=1
	s_or_b32 exec_lo, exec_lo, s29
	s_xor_b32 s0, s30, -1
	s_branch .LBB261_682
.LBB261_681:                            ;   in Loop: Header=BB261_594 Depth=1
	s_mov_b32 s0, -1
.LBB261_682:                            ;   in Loop: Header=BB261_594 Depth=1
	s_delay_alu instid0(SALU_CYCLE_1)
	s_and_b32 s0, s0, exec_lo
.LBB261_683:                            ;   in Loop: Header=BB261_594 Depth=1
	s_or_b32 exec_lo, exec_lo, s26
	s_delay_alu instid0(SALU_CYCLE_1)
	s_or_not1_b32 s26, s0, exec_lo
.LBB261_684:                            ;   in Loop: Header=BB261_594 Depth=1
	s_or_b32 exec_lo, exec_lo, s28
	v_dual_cndmask_b32 v4, v10, v8, s26 :: v_dual_cndmask_b32 v5, v36, v25, s26
	s_mov_b32 s28, exec_lo
	s_delay_alu instid0(VALU_DEP_1) | instskip(NEXT) | instid1(VALU_DEP_1)
	v_add_nc_u32_e32 v9, 1, v4
	v_add_min_u32_e64 v4, v5, -1, v9
	s_delay_alu instid0(VALU_DEP_1) | instskip(SKIP_4) | instid1(VALU_DEP_2)
	v_lshlrev_b32_e32 v4, 3, v4
	ds_load_b64 v[6:7], v4
	s_wait_dscnt 0x0
	v_dual_cndmask_b32 v10, v9, v10, s26 :: v_dual_cndmask_b32 v5, v51, v7, s26
	v_cndmask_b32_e64 v4, v52, v6, s26
	v_cmpx_lt_u32_e64 v10, v36
	s_cbranch_execz .LBB261_694
; %bb.685:                              ;   in Loop: Header=BB261_594 Depth=1
	v_dual_cndmask_b32 v8, v8, v9, s26 :: v_dual_cndmask_b32 v6, v6, v50, s26
	v_cndmask_b32_e64 v7, v7, v49, s26
	s_mov_b32 s29, exec_lo
	s_delay_alu instid0(VALU_DEP_2)
	v_cmpx_lt_u32_e64 v8, v25
	s_cbranch_execz .LBB261_693
; %bb.686:                              ;   in Loop: Header=BB261_594 Depth=1
	v_cmp_ne_u32_e32 vcc_lo, 1, v35
	s_cbranch_vccnz .LBB261_692
; %bb.687:                              ;   in Loop: Header=BB261_594 Depth=1
	v_mad_nc_u64_u32 v[8:9], v6, s16, s[18:19]
	v_mad_nc_u64_u32 v[10:11], v4, s16, s[18:19]
	s_mov_b32 s30, 0
	s_mov_b64 s[6:7], s[16:17]
                                        ; implicit-def: $sgpr31
                                        ; implicit-def: $sgpr33
                                        ; implicit-def: $sgpr34
                                        ; implicit-def: $sgpr35
	s_delay_alu instid0(VALU_DEP_2) | instskip(NEXT) | instid1(VALU_DEP_2)
	v_mad_u32 v9, v7, s16, v9
	v_mad_u32 v11, v5, s16, v11
	s_delay_alu instid0(VALU_DEP_2) | instskip(NEXT) | instid1(VALU_DEP_2)
	v_mad_u32 v9, v6, s17, v9
	v_mad_u32 v11, v4, s17, v11
	s_branch .LBB261_689
.LBB261_688:                            ;   in Loop: Header=BB261_689 Depth=2
	s_or_b32 exec_lo, exec_lo, s36
	s_delay_alu instid0(SALU_CYCLE_1) | instskip(NEXT) | instid1(SALU_CYCLE_1)
	s_and_b32 s36, exec_lo, s33
	s_or_b32 s30, s36, s30
	s_and_not1_b32 s35, s35, exec_lo
	s_and_b32 s0, s0, exec_lo
	s_and_not1_b32 s31, s31, exec_lo
	s_and_b32 s36, s34, exec_lo
	s_or_b32 s35, s35, s0
	s_or_b32 s31, s31, s36
	s_and_not1_b32 exec_lo, exec_lo, s30
	s_cbranch_execz .LBB261_691
.LBB261_689:                            ;   Parent Loop BB261_594 Depth=1
                                        ; =>  This Inner Loop Header: Depth=2
	global_load_u8 v25, v[8:9], off
	global_load_u8 v36, v[10:11], off
	s_and_not1_b32 s34, s34, exec_lo
	s_or_b32 s33, s33, exec_lo
	s_wait_loadcnt 0x1
	v_bfe_i32 v53, v25, 0, 8
	s_wait_loadcnt 0x0
	v_bfe_i32 v54, v36, 0, 8
	v_and_b32_e32 v25, 0xff, v25
	v_and_b32_e32 v36, 0xff, v36
	s_delay_alu instid0(VALU_DEP_3) | instskip(SKIP_2) | instid1(SALU_CYCLE_1)
	v_cmp_le_i16_e32 vcc_lo, v53, v54
	v_cmp_lt_i16_e64 s0, v53, v54
	s_and_b32 s36, vcc_lo, s35
	s_or_b32 s0, s0, s36
	s_delay_alu instid0(SALU_CYCLE_1) | instskip(NEXT) | instid1(SALU_CYCLE_1)
	s_and_b32 s36, s0, exec_lo
	s_or_b32 s34, s34, s36
	s_mov_b32 s36, exec_lo
	v_cmpx_eq_u16_e64 v25, v36
	s_cbranch_execz .LBB261_688
; %bb.690:                              ;   in Loop: Header=BB261_689 Depth=2
	s_add_nc_u64 s[6:7], s[6:7], -1
	v_add_nc_u64_e32 v[8:9], 1, v[8:9]
	s_cmp_eq_u64 s[6:7], 0
	v_add_nc_u64_e32 v[10:11], 1, v[10:11]
	s_cselect_b32 s35, -1, 0
	s_and_not1_b32 s33, s33, exec_lo
	s_and_b32 s35, s35, exec_lo
	s_and_not1_b32 s34, s34, exec_lo
	s_or_b32 s33, s33, s35
                                        ; implicit-def: $sgpr35
	s_branch .LBB261_688
.LBB261_691:                            ;   in Loop: Header=BB261_594 Depth=1
	s_or_b32 exec_lo, exec_lo, s30
	v_dual_cndmask_b32 v5, v5, v7, s31 :: v_dual_cndmask_b32 v4, v4, v6, s31
.LBB261_692:                            ;   in Loop: Header=BB261_594 Depth=1
	s_delay_alu instid0(VALU_DEP_1)
	v_mov_b64_e32 v[6:7], v[4:5]
.LBB261_693:                            ;   in Loop: Header=BB261_594 Depth=1
	s_or_b32 exec_lo, exec_lo, s29
	s_delay_alu instid0(VALU_DEP_1)
	v_mov_b64_e32 v[4:5], v[6:7]
.LBB261_694:                            ;   in Loop: Header=BB261_594 Depth=1
	s_or_b32 exec_lo, exec_lo, s28
	v_dual_cndmask_b32 v9, v45, v47, s27 :: v_dual_cndmask_b32 v8, v46, v48, s27
	v_dual_cndmask_b32 v7, v41, v43, s25 :: v_dual_cndmask_b32 v6, v42, v44, s25
	v_dual_cndmask_b32 v13, v12, v13, s24 :: v_dual_cndmask_b32 v12, v39, v40, s24
	v_dual_cndmask_b32 v11, v22, v37, s23 :: v_dual_cndmask_b32 v10, v23, v38, s23
	v_dual_cndmask_b32 v17, v16, v17, s22 :: v_dual_cndmask_b32 v15, v15, v3, s15
	v_dual_cndmask_b32 v16, v20, v21, s22 :: v_dual_cndmask_b32 v14, v14, v2, s15
	v_dual_cndmask_b32 v3, v49, v51, s26 :: v_dual_cndmask_b32 v2, v50, v52, s26
.LBB261_695:                            ;   in Loop: Header=BB261_594 Depth=1
	s_or_b32 exec_lo, exec_lo, s14
	s_cmp_lt_u32 s1, 0x400
	s_barrier_signal -1
	s_barrier_wait -1
	s_cbranch_scc0 .LBB261_697
; %bb.696:                              ;   in Loop: Header=BB261_594 Depth=1
	s_mov_b32 s1, s5
	s_branch .LBB261_594
.LBB261_697:
	s_barrier_signal -1
	s_barrier_wait -1
	ds_store_2addr_b64 v34, v[14:15], v[16:17] offset1:1
	ds_store_2addr_b64 v34, v[10:11], v[12:13] offset0:2 offset1:3
	ds_store_2addr_b64 v34, v[6:7], v[8:9] offset0:4 offset1:5
	ds_store_2addr_b64 v34, v[2:3], v[4:5] offset0:6 offset1:7
	s_wait_dscnt 0x0
	s_barrier_signal -1
	s_barrier_wait -1
	ds_load_b64 v[4:5], v26
	ds_load_b64 v[6:7], v27 offset:2048
	ds_load_b64 v[8:9], v28 offset:4096
	;; [unrolled: 1-line block ×7, first 2 shown]
	s_mov_b32 s24, -1
	s_wait_dscnt 0x7
	global_store_b64 v18, v[4:5], s[20:21] scale_offset
	s_wait_dscnt 0x6
	global_store_b64 v18, v[6:7], s[20:21] offset:2048 scale_offset
	s_wait_dscnt 0x5
	global_store_b64 v18, v[8:9], s[20:21] offset:4096 scale_offset
	;; [unrolled: 2-line block ×6, first 2 shown]
	s_branch .LBB261_1484
.LBB261_698:
	s_lshl_b64 s[0:1], s[2:3], 11
                                        ; implicit-def: $vgpr2_vgpr3
	s_delay_alu instid0(SALU_CYCLE_1) | instskip(NEXT) | instid1(SALU_CYCLE_1)
	s_sub_co_i32 s25, s4, s0
	v_cmp_gt_u32_e64 s0, s25, v18
	s_wait_xcnt 0x0
	s_and_saveexec_b32 s1, s0
	s_cbranch_execz .LBB261_700
; %bb.699:
	s_wait_dscnt 0x0
	global_load_b64 v[2:3], v18, s[12:13] scale_offset
.LBB261_700:
	s_wait_xcnt 0x0
	s_or_b32 exec_lo, exec_lo, s1
	v_add_nc_u32_e32 v1, 0x100, v18
                                        ; implicit-def: $vgpr4_vgpr5
	s_delay_alu instid0(VALU_DEP_1)
	v_cmp_gt_u32_e64 s1, s25, v1
	s_and_saveexec_b32 s2, s1
	s_cbranch_execz .LBB261_702
; %bb.701:
	global_load_b64 v[4:5], v18, s[12:13] offset:2048 scale_offset
.LBB261_702:
	s_wait_xcnt 0x0
	s_or_b32 exec_lo, exec_lo, s2
	v_add_nc_u32_e32 v19, 0x200, v18
                                        ; implicit-def: $vgpr6_vgpr7
	s_delay_alu instid0(VALU_DEP_1)
	v_cmp_gt_u32_e64 s2, s25, v19
	s_and_saveexec_b32 s3, s2
	s_cbranch_execz .LBB261_704
; %bb.703:
	global_load_b64 v[6:7], v18, s[12:13] offset:4096 scale_offset
.LBB261_704:
	s_wait_xcnt 0x0
	s_or_b32 exec_lo, exec_lo, s3
	v_add_nc_u32_e32 v20, 0x300, v18
                                        ; implicit-def: $vgpr10_vgpr11
	s_delay_alu instid0(VALU_DEP_1)
	v_cmp_gt_u32_e64 s3, s25, v20
	s_and_saveexec_b32 s4, s3
	s_cbranch_execz .LBB261_706
; %bb.705:
	global_load_b64 v[10:11], v18, s[12:13] offset:6144 scale_offset
.LBB261_706:
	s_wait_xcnt 0x0
	s_or_b32 exec_lo, exec_lo, s4
	v_or_b32_e32 v22, 0x400, v18
                                        ; implicit-def: $vgpr8_vgpr9
	s_delay_alu instid0(VALU_DEP_1)
	v_cmp_gt_u32_e64 s4, s25, v22
	s_and_saveexec_b32 s5, s4
	s_cbranch_execz .LBB261_708
; %bb.707:
	global_load_b64 v[8:9], v18, s[12:13] offset:8192 scale_offset
.LBB261_708:
	s_wait_xcnt 0x0
	s_or_b32 exec_lo, exec_lo, s5
	v_add_nc_u32_e32 v23, 0x500, v18
                                        ; implicit-def: $vgpr12_vgpr13
	s_delay_alu instid0(VALU_DEP_1)
	v_cmp_gt_u32_e64 s5, s25, v23
	s_and_saveexec_b32 s6, s5
	s_cbranch_execz .LBB261_710
; %bb.709:
	global_load_b64 v[12:13], v18, s[12:13] offset:10240 scale_offset
.LBB261_710:
	s_wait_xcnt 0x0
	s_or_b32 exec_lo, exec_lo, s6
	v_add_nc_u32_e32 v24, 0x600, v18
                                        ; implicit-def: $vgpr14_vgpr15
	s_delay_alu instid0(VALU_DEP_1)
	v_cmp_gt_u32_e64 s6, s25, v24
	s_and_saveexec_b32 s7, s6
	s_cbranch_execz .LBB261_712
; %bb.711:
	global_load_b64 v[14:15], v18, s[12:13] offset:12288 scale_offset
.LBB261_712:
	s_wait_xcnt 0x0
	s_or_b32 exec_lo, exec_lo, s7
	v_add_nc_u32_e32 v25, 0x700, v18
                                        ; implicit-def: $vgpr16_vgpr17
	s_delay_alu instid0(VALU_DEP_1)
	v_cmp_gt_u32_e64 s24, s25, v25
	s_and_saveexec_b32 s7, s24
	s_cbranch_execz .LBB261_714
; %bb.713:
	global_load_b64 v[16:17], v18, s[12:13] offset:14336 scale_offset
.LBB261_714:
	s_wait_xcnt 0x0
	s_or_b32 exec_lo, exec_lo, s7
	v_dual_lshrrev_b32 v21, 2, v18 :: v_dual_lshrrev_b32 v1, 2, v1
	v_dual_lshrrev_b32 v19, 2, v19 :: v_dual_lshrrev_b32 v26, 2, v20
	v_lshlrev_b32_e32 v20, 3, v18
	s_delay_alu instid0(VALU_DEP_3) | instskip(NEXT) | instid1(VALU_DEP_4)
	v_and_b32_e32 v21, 0xf8, v21
	v_and_b32_e32 v1, 0x1f8, v1
	s_delay_alu instid0(VALU_DEP_4)
	v_and_b32_e32 v27, 0x1f8, v19
	v_and_b32_e32 v28, 0x1f8, v26
	s_cmp_lt_u32 s9, s8
	v_add_nc_u32_e32 v19, v21, v20
	v_dual_add_nc_u32 v21, v1, v20 :: v_dual_lshrrev_b32 v1, 2, v22
	v_dual_lshrrev_b32 v22, 2, v23 :: v_dual_add_nc_u32 v26, v27, v20
	v_add_nc_u32_e32 v27, v28, v20
	v_dual_lshrrev_b32 v23, 2, v24 :: v_dual_lshrrev_b32 v24, 2, v25
	s_wait_loadcnt_dscnt 0x0
	ds_store_b64 v19, v[2:3]
	ds_store_b64 v21, v[4:5] offset:2048
	ds_store_b64 v26, v[6:7] offset:4096
	;; [unrolled: 1-line block ×3, first 2 shown]
	v_and_b32_e32 v1, 0x1f8, v1
	v_lshlrev_b32_e32 v5, 1, v18
	v_and_b32_e32 v2, 0x3f8, v22
	v_and_b32_e32 v3, 0x3f8, v23
	;; [unrolled: 1-line block ×3, first 2 shown]
	v_add_nc_u32_e32 v28, v1, v20
	v_and_b32_e32 v1, 0x7f8, v5
	s_delay_alu instid0(VALU_DEP_4) | instskip(NEXT) | instid1(VALU_DEP_4)
	v_dual_add_nc_u32 v29, v2, v20 :: v_dual_add_nc_u32 v30, v3, v20
	v_add_nc_u32_e32 v31, v4, v20
	ds_store_b64 v28, v[8:9] offset:8192
	ds_store_b64 v29, v[12:13] offset:10240
	;; [unrolled: 1-line block ×4, first 2 shown]
	v_lshl_add_u32 v32, v18, 6, v1
	s_wait_storecnt_dscnt 0x0
	s_barrier_signal -1
	s_barrier_wait -1
	ds_load_2addr_b64 v[14:17], v32 offset1:1
	ds_load_2addr_b64 v[10:13], v32 offset0:2 offset1:3
	ds_load_2addr_b64 v[6:9], v32 offset0:4 offset1:5
	;; [unrolled: 1-line block ×3, first 2 shown]
	s_wait_dscnt 0x0
	s_barrier_signal -1
	s_barrier_wait -1
	s_load_u16 s7, s[10:11], 0xe
	s_cselect_b32 s8, 12, 18
	s_mov_b32 s9, 0
	v_bfe_u32 v1, v0, 10, 10
	s_add_nc_u64 s[8:9], s[10:11], s[8:9]
	v_bfe_u32 v0, v0, 20, 10
	s_load_u16 s8, s[8:9], 0x0
	v_cmp_gt_i64_e64 s26, s[16:17], 0
	s_wait_kmcnt 0x0
	s_delay_alu instid0(VALU_DEP_2) | instskip(NEXT) | instid1(VALU_DEP_1)
	v_mad_u32_u24 v0, v0, s7, v1
	v_mul_lo_u32 v0, v0, s8
	s_delay_alu instid0(VALU_DEP_1) | instskip(NEXT) | instid1(VALU_DEP_1)
	v_add_lshl_u32 v24, v0, v18, 3
	v_sub_nc_u32_e64 v25, s25, v24 clamp
	s_delay_alu instid0(VALU_DEP_1)
	v_cmp_lt_u32_e64 s7, 1, v25
	s_and_saveexec_b32 s12, s7
	s_cbranch_execz .LBB261_723
; %bb.715:
	s_and_not1_b32 vcc_lo, exec_lo, s26
	s_cbranch_vccnz .LBB261_723
; %bb.716:
	v_mad_nc_u64_u32 v[0:1], v16, s16, s[18:19]
	v_mad_nc_u64_u32 v[22:23], v14, s16, s[18:19]
	s_mov_b32 s14, 0
	s_mov_b64 s[10:11], s[16:17]
                                        ; implicit-def: $sgpr13
                                        ; implicit-def: $sgpr15
                                        ; implicit-def: $sgpr23
                                        ; implicit-def: $sgpr22
                                        ; implicit-def: $sgpr27
	s_delay_alu instid0(VALU_DEP_2) | instskip(NEXT) | instid1(VALU_DEP_2)
	v_mad_u32 v1, v17, s16, v1
	v_mad_u32 v23, v15, s16, v23
	s_delay_alu instid0(VALU_DEP_2) | instskip(NEXT) | instid1(VALU_DEP_2)
	v_mad_u32 v1, v16, s17, v1
	v_mad_u32 v23, v14, s17, v23
	s_branch .LBB261_718
.LBB261_717:                            ;   in Loop: Header=BB261_718 Depth=1
	s_or_b32 exec_lo, exec_lo, s28
	s_and_b32 s8, s8, s27
	s_delay_alu instid0(SALU_CYCLE_1) | instskip(SKIP_1) | instid1(SALU_CYCLE_1)
	s_or_b32 s8, vcc_lo, s8
	s_and_b32 s9, exec_lo, s23
	s_or_b32 s14, s9, s14
	s_and_not1_b32 s9, s27, exec_lo
	s_and_b32 s8, s8, exec_lo
	s_and_not1_b32 s15, s15, exec_lo
	s_and_b32 s28, s22, exec_lo
	s_or_b32 s27, s9, s8
	s_and_not1_b32 s9, s13, exec_lo
	s_or_b32 s15, s15, s28
	s_or_b32 s13, s9, s8
	s_and_not1_b32 exec_lo, exec_lo, s14
	s_cbranch_execz .LBB261_720
.LBB261_718:                            ; =>This Inner Loop Header: Depth=1
	global_load_u8 v33, v[0:1], off
	global_load_u8 v34, v[22:23], off
	s_or_b32 s22, s22, exec_lo
	s_or_b32 s23, s23, exec_lo
	s_mov_b32 s28, exec_lo
	s_wait_loadcnt 0x1
	v_bfe_i32 v35, v33, 0, 8
	s_wait_loadcnt 0x0
	v_bfe_i32 v36, v34, 0, 8
	v_and_b32_e32 v33, 0xff, v33
	v_and_b32_e32 v34, 0xff, v34
	s_delay_alu instid0(VALU_DEP_3) | instskip(SKIP_1) | instid1(VALU_DEP_3)
	v_cmp_le_i16_e64 s8, v35, v36
	v_cmp_lt_i16_e32 vcc_lo, v35, v36
	v_cmpx_eq_u16_e64 v33, v34
	s_cbranch_execz .LBB261_717
; %bb.719:                              ;   in Loop: Header=BB261_718 Depth=1
	s_add_nc_u64 s[10:11], s[10:11], -1
	v_add_nc_u64_e32 v[0:1], 1, v[0:1]
	s_cmp_eq_u64 s[10:11], 0
	v_add_nc_u64_e32 v[22:23], 1, v[22:23]
	s_cselect_b32 s9, -1, 0
	s_and_not1_b32 s23, s23, exec_lo
	s_and_b32 s9, s9, exec_lo
	s_and_not1_b32 s22, s22, exec_lo
	s_or_b32 s23, s23, s9
	s_branch .LBB261_717
.LBB261_720:
	s_or_b32 exec_lo, exec_lo, s14
	s_and_saveexec_b32 s8, s15
	s_delay_alu instid0(SALU_CYCLE_1)
	s_xor_b32 s8, exec_lo, s8
; %bb.721:
	v_dual_cndmask_b32 v1, v17, v15, s13 :: v_dual_cndmask_b32 v0, v16, v14, s13
	v_dual_cndmask_b32 v15, v15, v17, s13 :: v_dual_cndmask_b32 v14, v14, v16, s13
	s_delay_alu instid0(VALU_DEP_2)
	v_mov_b64_e32 v[16:17], v[0:1]
; %bb.722:
	s_or_b32 exec_lo, exec_lo, s8
.LBB261_723:
	s_delay_alu instid0(SALU_CYCLE_1)
	s_or_b32 exec_lo, exec_lo, s12
	v_cmp_lt_u32_e64 s8, 3, v25
	s_and_saveexec_b32 s11, s8
	s_cbranch_execz .LBB261_732
; %bb.724:
	s_and_not1_b32 vcc_lo, exec_lo, s26
	s_cbranch_vccnz .LBB261_732
; %bb.725:
	v_mad_nc_u64_u32 v[0:1], v12, s16, s[18:19]
	v_mad_nc_u64_u32 v[22:23], v10, s16, s[18:19]
	s_mov_b32 s15, 0
	s_mov_b64 s[12:13], s[16:17]
                                        ; implicit-def: $sgpr14
                                        ; implicit-def: $sgpr22
                                        ; implicit-def: $sgpr27
                                        ; implicit-def: $sgpr23
                                        ; implicit-def: $sgpr28
	s_delay_alu instid0(VALU_DEP_2) | instskip(NEXT) | instid1(VALU_DEP_2)
	v_mad_u32 v1, v13, s16, v1
	v_mad_u32 v23, v11, s16, v23
	s_delay_alu instid0(VALU_DEP_2) | instskip(NEXT) | instid1(VALU_DEP_2)
	v_mad_u32 v1, v12, s17, v1
	v_mad_u32 v23, v10, s17, v23
	s_branch .LBB261_727
.LBB261_726:                            ;   in Loop: Header=BB261_727 Depth=1
	s_or_b32 exec_lo, exec_lo, s29
	s_and_b32 s9, s9, s28
	s_delay_alu instid0(SALU_CYCLE_1) | instskip(SKIP_1) | instid1(SALU_CYCLE_1)
	s_or_b32 s9, vcc_lo, s9
	s_and_b32 s10, exec_lo, s27
	s_or_b32 s15, s10, s15
	s_and_not1_b32 s10, s28, exec_lo
	s_and_b32 s9, s9, exec_lo
	s_and_not1_b32 s22, s22, exec_lo
	s_and_b32 s29, s23, exec_lo
	s_or_b32 s28, s10, s9
	s_and_not1_b32 s10, s14, exec_lo
	s_or_b32 s22, s22, s29
	s_or_b32 s14, s10, s9
	s_and_not1_b32 exec_lo, exec_lo, s15
	s_cbranch_execz .LBB261_729
.LBB261_727:                            ; =>This Inner Loop Header: Depth=1
	global_load_u8 v33, v[0:1], off
	global_load_u8 v34, v[22:23], off
	s_or_b32 s23, s23, exec_lo
	s_or_b32 s27, s27, exec_lo
	s_mov_b32 s29, exec_lo
	s_wait_loadcnt 0x1
	v_bfe_i32 v35, v33, 0, 8
	s_wait_loadcnt 0x0
	v_bfe_i32 v36, v34, 0, 8
	v_and_b32_e32 v33, 0xff, v33
	v_and_b32_e32 v34, 0xff, v34
	s_delay_alu instid0(VALU_DEP_3) | instskip(SKIP_1) | instid1(VALU_DEP_3)
	v_cmp_le_i16_e64 s9, v35, v36
	v_cmp_lt_i16_e32 vcc_lo, v35, v36
	v_cmpx_eq_u16_e64 v33, v34
	s_cbranch_execz .LBB261_726
; %bb.728:                              ;   in Loop: Header=BB261_727 Depth=1
	s_add_nc_u64 s[12:13], s[12:13], -1
	v_add_nc_u64_e32 v[0:1], 1, v[0:1]
	s_cmp_eq_u64 s[12:13], 0
	v_add_nc_u64_e32 v[22:23], 1, v[22:23]
	s_cselect_b32 s10, -1, 0
	s_and_not1_b32 s27, s27, exec_lo
	s_and_b32 s10, s10, exec_lo
	s_and_not1_b32 s23, s23, exec_lo
	s_or_b32 s27, s27, s10
	s_branch .LBB261_726
.LBB261_729:
	s_or_b32 exec_lo, exec_lo, s15
	s_and_saveexec_b32 s9, s22
	s_delay_alu instid0(SALU_CYCLE_1)
	s_xor_b32 s9, exec_lo, s9
; %bb.730:
	v_dual_cndmask_b32 v1, v11, v13, s14 :: v_dual_cndmask_b32 v0, v10, v12, s14
	v_dual_cndmask_b32 v13, v13, v11, s14 :: v_dual_cndmask_b32 v12, v12, v10, s14
	s_delay_alu instid0(VALU_DEP_2)
	v_mov_b64_e32 v[10:11], v[0:1]
; %bb.731:
	s_or_b32 exec_lo, exec_lo, s9
.LBB261_732:
	s_delay_alu instid0(SALU_CYCLE_1)
	s_or_b32 exec_lo, exec_lo, s11
	v_cmp_lt_u32_e64 s9, 5, v25
	s_and_saveexec_b32 s14, s9
	s_cbranch_execz .LBB261_741
; %bb.733:
	s_and_not1_b32 vcc_lo, exec_lo, s26
	s_cbranch_vccnz .LBB261_741
; %bb.734:
	v_mad_nc_u64_u32 v[0:1], v8, s16, s[18:19]
	v_mad_nc_u64_u32 v[22:23], v6, s16, s[18:19]
	s_mov_b32 s22, 0
	s_mov_b64 s[12:13], s[16:17]
                                        ; implicit-def: $sgpr15
                                        ; implicit-def: $sgpr23
                                        ; implicit-def: $sgpr28
                                        ; implicit-def: $sgpr27
                                        ; implicit-def: $sgpr29
	s_delay_alu instid0(VALU_DEP_2) | instskip(NEXT) | instid1(VALU_DEP_2)
	v_mad_u32 v1, v9, s16, v1
	v_mad_u32 v23, v7, s16, v23
	s_delay_alu instid0(VALU_DEP_2) | instskip(NEXT) | instid1(VALU_DEP_2)
	v_mad_u32 v1, v8, s17, v1
	v_mad_u32 v23, v6, s17, v23
	s_branch .LBB261_736
.LBB261_735:                            ;   in Loop: Header=BB261_736 Depth=1
	s_or_b32 exec_lo, exec_lo, s30
	s_and_b32 s10, s10, s29
	s_delay_alu instid0(SALU_CYCLE_1) | instskip(SKIP_1) | instid1(SALU_CYCLE_1)
	s_or_b32 s10, vcc_lo, s10
	s_and_b32 s11, exec_lo, s28
	s_or_b32 s22, s11, s22
	s_and_not1_b32 s11, s29, exec_lo
	s_and_b32 s10, s10, exec_lo
	s_and_not1_b32 s23, s23, exec_lo
	s_and_b32 s30, s27, exec_lo
	s_or_b32 s29, s11, s10
	s_and_not1_b32 s11, s15, exec_lo
	s_or_b32 s23, s23, s30
	s_or_b32 s15, s11, s10
	s_and_not1_b32 exec_lo, exec_lo, s22
	s_cbranch_execz .LBB261_738
.LBB261_736:                            ; =>This Inner Loop Header: Depth=1
	global_load_u8 v33, v[0:1], off
	global_load_u8 v34, v[22:23], off
	s_or_b32 s27, s27, exec_lo
	s_or_b32 s28, s28, exec_lo
	s_mov_b32 s30, exec_lo
	s_wait_loadcnt 0x1
	v_bfe_i32 v35, v33, 0, 8
	s_wait_loadcnt 0x0
	v_bfe_i32 v36, v34, 0, 8
	v_and_b32_e32 v33, 0xff, v33
	v_and_b32_e32 v34, 0xff, v34
	s_delay_alu instid0(VALU_DEP_3) | instskip(SKIP_1) | instid1(VALU_DEP_3)
	v_cmp_le_i16_e64 s10, v35, v36
	v_cmp_lt_i16_e32 vcc_lo, v35, v36
	v_cmpx_eq_u16_e64 v33, v34
	s_cbranch_execz .LBB261_735
; %bb.737:                              ;   in Loop: Header=BB261_736 Depth=1
	s_add_nc_u64 s[12:13], s[12:13], -1
	v_add_nc_u64_e32 v[0:1], 1, v[0:1]
	s_cmp_eq_u64 s[12:13], 0
	v_add_nc_u64_e32 v[22:23], 1, v[22:23]
	s_cselect_b32 s11, -1, 0
	s_and_not1_b32 s28, s28, exec_lo
	s_and_b32 s11, s11, exec_lo
	s_and_not1_b32 s27, s27, exec_lo
	s_or_b32 s28, s28, s11
	s_branch .LBB261_735
.LBB261_738:
	s_or_b32 exec_lo, exec_lo, s22
	s_and_saveexec_b32 s10, s23
	s_delay_alu instid0(SALU_CYCLE_1)
	s_xor_b32 s10, exec_lo, s10
; %bb.739:
	v_dual_cndmask_b32 v1, v7, v9, s15 :: v_dual_cndmask_b32 v0, v6, v8, s15
	v_dual_cndmask_b32 v9, v9, v7, s15 :: v_dual_cndmask_b32 v8, v8, v6, s15
	s_delay_alu instid0(VALU_DEP_2)
	v_mov_b64_e32 v[6:7], v[0:1]
; %bb.740:
	s_or_b32 exec_lo, exec_lo, s10
.LBB261_741:
	s_delay_alu instid0(SALU_CYCLE_1)
	s_or_b32 exec_lo, exec_lo, s14
	v_cmp_lt_u32_e64 s10, 7, v25
	s_and_saveexec_b32 s13, s10
	s_cbranch_execz .LBB261_750
; %bb.742:
	s_and_not1_b32 vcc_lo, exec_lo, s26
	s_cbranch_vccnz .LBB261_750
; %bb.743:
	v_mad_nc_u64_u32 v[0:1], v4, s16, s[18:19]
	v_mad_nc_u64_u32 v[22:23], v2, s16, s[18:19]
	s_mov_b32 s23, 0
	s_mov_b64 s[14:15], s[16:17]
                                        ; implicit-def: $sgpr22
                                        ; implicit-def: $sgpr27
                                        ; implicit-def: $sgpr29
                                        ; implicit-def: $sgpr28
                                        ; implicit-def: $sgpr30
	s_delay_alu instid0(VALU_DEP_2) | instskip(NEXT) | instid1(VALU_DEP_2)
	v_mad_u32 v1, v5, s16, v1
	v_mad_u32 v23, v3, s16, v23
	s_delay_alu instid0(VALU_DEP_2) | instskip(NEXT) | instid1(VALU_DEP_2)
	v_mad_u32 v1, v4, s17, v1
	v_mad_u32 v23, v2, s17, v23
	s_branch .LBB261_745
.LBB261_744:                            ;   in Loop: Header=BB261_745 Depth=1
	s_or_b32 exec_lo, exec_lo, s31
	s_and_b32 s11, s11, s30
	s_delay_alu instid0(SALU_CYCLE_1) | instskip(SKIP_1) | instid1(SALU_CYCLE_1)
	s_or_b32 s11, vcc_lo, s11
	s_and_b32 s12, exec_lo, s29
	s_or_b32 s23, s12, s23
	s_and_not1_b32 s12, s30, exec_lo
	s_and_b32 s11, s11, exec_lo
	s_and_not1_b32 s27, s27, exec_lo
	s_and_b32 s31, s28, exec_lo
	s_or_b32 s30, s12, s11
	s_and_not1_b32 s12, s22, exec_lo
	s_or_b32 s27, s27, s31
	s_or_b32 s22, s12, s11
	s_and_not1_b32 exec_lo, exec_lo, s23
	s_cbranch_execz .LBB261_747
.LBB261_745:                            ; =>This Inner Loop Header: Depth=1
	global_load_u8 v33, v[0:1], off
	global_load_u8 v34, v[22:23], off
	s_or_b32 s28, s28, exec_lo
	s_or_b32 s29, s29, exec_lo
	s_mov_b32 s31, exec_lo
	s_wait_loadcnt 0x1
	v_bfe_i32 v35, v33, 0, 8
	s_wait_loadcnt 0x0
	v_bfe_i32 v36, v34, 0, 8
	v_and_b32_e32 v33, 0xff, v33
	v_and_b32_e32 v34, 0xff, v34
	s_delay_alu instid0(VALU_DEP_3) | instskip(SKIP_1) | instid1(VALU_DEP_3)
	v_cmp_le_i16_e64 s11, v35, v36
	v_cmp_lt_i16_e32 vcc_lo, v35, v36
	v_cmpx_eq_u16_e64 v33, v34
	s_cbranch_execz .LBB261_744
; %bb.746:                              ;   in Loop: Header=BB261_745 Depth=1
	s_add_nc_u64 s[14:15], s[14:15], -1
	v_add_nc_u64_e32 v[0:1], 1, v[0:1]
	s_cmp_eq_u64 s[14:15], 0
	v_add_nc_u64_e32 v[22:23], 1, v[22:23]
	s_cselect_b32 s12, -1, 0
	s_and_not1_b32 s29, s29, exec_lo
	s_and_b32 s12, s12, exec_lo
	s_and_not1_b32 s28, s28, exec_lo
	s_or_b32 s29, s29, s12
	s_branch .LBB261_744
.LBB261_747:
	s_or_b32 exec_lo, exec_lo, s23
	s_and_saveexec_b32 s11, s27
	s_delay_alu instid0(SALU_CYCLE_1)
	s_xor_b32 s11, exec_lo, s11
; %bb.748:
	v_dual_cndmask_b32 v1, v3, v5, s22 :: v_dual_cndmask_b32 v0, v2, v4, s22
	v_dual_cndmask_b32 v5, v5, v3, s22 :: v_dual_cndmask_b32 v4, v4, v2, s22
	s_delay_alu instid0(VALU_DEP_2)
	v_mov_b64_e32 v[2:3], v[0:1]
; %bb.749:
	s_or_b32 exec_lo, exec_lo, s11
.LBB261_750:
	s_delay_alu instid0(SALU_CYCLE_1) | instskip(SKIP_2) | instid1(SALU_CYCLE_1)
	s_or_b32 exec_lo, exec_lo, s13
	v_cmp_lt_u32_e64 s11, 2, v25
	s_and_saveexec_b32 s12, s11
	s_xor_b32 s22, exec_lo, s12
	s_cbranch_execz .LBB261_759
; %bb.751:
	s_and_not1_b32 vcc_lo, exec_lo, s26
	s_cbranch_vccnz .LBB261_759
; %bb.752:
	v_mad_nc_u64_u32 v[0:1], v10, s16, s[18:19]
	v_mad_nc_u64_u32 v[22:23], v16, s16, s[18:19]
	s_mov_b32 s27, 0
	s_mov_b64 s[14:15], s[16:17]
                                        ; implicit-def: $sgpr23
                                        ; implicit-def: $sgpr28
                                        ; implicit-def: $sgpr30
                                        ; implicit-def: $sgpr29
                                        ; implicit-def: $sgpr31
	s_delay_alu instid0(VALU_DEP_2) | instskip(NEXT) | instid1(VALU_DEP_2)
	v_mad_u32 v1, v11, s16, v1
	v_mad_u32 v23, v17, s16, v23
	s_delay_alu instid0(VALU_DEP_2) | instskip(NEXT) | instid1(VALU_DEP_2)
	v_mad_u32 v1, v10, s17, v1
	v_mad_u32 v23, v16, s17, v23
	s_branch .LBB261_754
.LBB261_753:                            ;   in Loop: Header=BB261_754 Depth=1
	s_or_b32 exec_lo, exec_lo, s33
	s_and_b32 s12, s12, s31
	s_delay_alu instid0(SALU_CYCLE_1) | instskip(SKIP_1) | instid1(SALU_CYCLE_1)
	s_or_b32 s12, vcc_lo, s12
	s_and_b32 s13, exec_lo, s30
	s_or_b32 s27, s13, s27
	s_and_not1_b32 s13, s31, exec_lo
	s_and_b32 s12, s12, exec_lo
	s_and_not1_b32 s28, s28, exec_lo
	s_and_b32 s33, s29, exec_lo
	s_or_b32 s31, s13, s12
	s_and_not1_b32 s13, s23, exec_lo
	s_or_b32 s28, s28, s33
	s_or_b32 s23, s13, s12
	s_and_not1_b32 exec_lo, exec_lo, s27
	s_cbranch_execz .LBB261_756
.LBB261_754:                            ; =>This Inner Loop Header: Depth=1
	global_load_u8 v33, v[0:1], off
	global_load_u8 v34, v[22:23], off
	s_or_b32 s29, s29, exec_lo
	s_or_b32 s30, s30, exec_lo
	s_mov_b32 s33, exec_lo
	s_wait_loadcnt 0x1
	v_bfe_i32 v35, v33, 0, 8
	s_wait_loadcnt 0x0
	v_bfe_i32 v36, v34, 0, 8
	v_and_b32_e32 v33, 0xff, v33
	v_and_b32_e32 v34, 0xff, v34
	s_delay_alu instid0(VALU_DEP_3) | instskip(SKIP_1) | instid1(VALU_DEP_3)
	v_cmp_le_i16_e64 s12, v35, v36
	v_cmp_lt_i16_e32 vcc_lo, v35, v36
	v_cmpx_eq_u16_e64 v33, v34
	s_cbranch_execz .LBB261_753
; %bb.755:                              ;   in Loop: Header=BB261_754 Depth=1
	s_add_nc_u64 s[14:15], s[14:15], -1
	v_add_nc_u64_e32 v[0:1], 1, v[0:1]
	s_cmp_eq_u64 s[14:15], 0
	v_add_nc_u64_e32 v[22:23], 1, v[22:23]
	s_cselect_b32 s13, -1, 0
	s_and_not1_b32 s30, s30, exec_lo
	s_and_b32 s13, s13, exec_lo
	s_and_not1_b32 s29, s29, exec_lo
	s_or_b32 s30, s30, s13
	s_branch .LBB261_753
.LBB261_756:
	s_or_b32 exec_lo, exec_lo, s27
	s_and_saveexec_b32 s12, s28
	s_delay_alu instid0(SALU_CYCLE_1)
	s_xor_b32 s12, exec_lo, s12
; %bb.757:
	v_dual_cndmask_b32 v1, v17, v11, s23 :: v_dual_cndmask_b32 v0, v16, v10, s23
	v_dual_cndmask_b32 v11, v11, v17, s23 :: v_dual_cndmask_b32 v10, v10, v16, s23
	s_delay_alu instid0(VALU_DEP_2)
	v_mov_b64_e32 v[16:17], v[0:1]
; %bb.758:
	s_or_b32 exec_lo, exec_lo, s12
.LBB261_759:
	s_delay_alu instid0(SALU_CYCLE_1)
	s_or_b32 exec_lo, exec_lo, s22
	v_cmp_lt_u32_e64 s12, 4, v25
	s_and_saveexec_b32 s15, s12
	s_cbranch_execz .LBB261_768
; %bb.760:
	s_and_not1_b32 vcc_lo, exec_lo, s26
	s_cbranch_vccnz .LBB261_768
; %bb.761:
	v_mad_nc_u64_u32 v[0:1], v6, s16, s[18:19]
	v_mad_nc_u64_u32 v[22:23], v12, s16, s[18:19]
	s_mov_b32 s28, 0
	s_mov_b64 s[22:23], s[16:17]
                                        ; implicit-def: $sgpr27
                                        ; implicit-def: $sgpr29
                                        ; implicit-def: $sgpr31
                                        ; implicit-def: $sgpr30
                                        ; implicit-def: $sgpr33
	s_delay_alu instid0(VALU_DEP_2) | instskip(NEXT) | instid1(VALU_DEP_2)
	v_mad_u32 v1, v7, s16, v1
	v_mad_u32 v23, v13, s16, v23
	s_delay_alu instid0(VALU_DEP_2) | instskip(NEXT) | instid1(VALU_DEP_2)
	v_mad_u32 v1, v6, s17, v1
	v_mad_u32 v23, v12, s17, v23
	s_branch .LBB261_763
.LBB261_762:                            ;   in Loop: Header=BB261_763 Depth=1
	s_or_b32 exec_lo, exec_lo, s34
	s_and_b32 s13, s13, s33
	s_delay_alu instid0(SALU_CYCLE_1) | instskip(SKIP_1) | instid1(SALU_CYCLE_1)
	s_or_b32 s13, vcc_lo, s13
	s_and_b32 s14, exec_lo, s31
	s_or_b32 s28, s14, s28
	s_and_not1_b32 s14, s33, exec_lo
	s_and_b32 s13, s13, exec_lo
	s_and_not1_b32 s29, s29, exec_lo
	s_and_b32 s34, s30, exec_lo
	s_or_b32 s33, s14, s13
	s_and_not1_b32 s14, s27, exec_lo
	s_or_b32 s29, s29, s34
	s_or_b32 s27, s14, s13
	s_and_not1_b32 exec_lo, exec_lo, s28
	s_cbranch_execz .LBB261_765
.LBB261_763:                            ; =>This Inner Loop Header: Depth=1
	global_load_u8 v33, v[0:1], off
	global_load_u8 v34, v[22:23], off
	s_or_b32 s30, s30, exec_lo
	s_or_b32 s31, s31, exec_lo
	s_mov_b32 s34, exec_lo
	s_wait_loadcnt 0x1
	v_bfe_i32 v35, v33, 0, 8
	s_wait_loadcnt 0x0
	v_bfe_i32 v36, v34, 0, 8
	v_and_b32_e32 v33, 0xff, v33
	v_and_b32_e32 v34, 0xff, v34
	s_delay_alu instid0(VALU_DEP_3) | instskip(SKIP_1) | instid1(VALU_DEP_3)
	v_cmp_le_i16_e64 s13, v35, v36
	v_cmp_lt_i16_e32 vcc_lo, v35, v36
	v_cmpx_eq_u16_e64 v33, v34
	s_cbranch_execz .LBB261_762
; %bb.764:                              ;   in Loop: Header=BB261_763 Depth=1
	s_add_nc_u64 s[22:23], s[22:23], -1
	v_add_nc_u64_e32 v[0:1], 1, v[0:1]
	s_cmp_eq_u64 s[22:23], 0
	v_add_nc_u64_e32 v[22:23], 1, v[22:23]
	s_cselect_b32 s14, -1, 0
	s_and_not1_b32 s31, s31, exec_lo
	s_and_b32 s14, s14, exec_lo
	s_and_not1_b32 s30, s30, exec_lo
	s_or_b32 s31, s31, s14
	s_branch .LBB261_762
.LBB261_765:
	s_or_b32 exec_lo, exec_lo, s28
	s_and_saveexec_b32 s13, s29
	s_delay_alu instid0(SALU_CYCLE_1)
	s_xor_b32 s13, exec_lo, s13
; %bb.766:
	v_dual_cndmask_b32 v1, v13, v7, s27 :: v_dual_cndmask_b32 v0, v12, v6, s27
	v_dual_cndmask_b32 v7, v7, v13, s27 :: v_dual_cndmask_b32 v6, v6, v12, s27
	s_delay_alu instid0(VALU_DEP_2)
	v_mov_b64_e32 v[12:13], v[0:1]
; %bb.767:
	s_or_b32 exec_lo, exec_lo, s13
.LBB261_768:
	s_delay_alu instid0(SALU_CYCLE_1)
	s_or_b32 exec_lo, exec_lo, s15
	v_cmp_lt_u32_e64 s13, 6, v25
	s_and_saveexec_b32 s27, s13
	s_cbranch_execz .LBB261_777
; %bb.769:
	s_and_not1_b32 vcc_lo, exec_lo, s26
	s_cbranch_vccnz .LBB261_777
; %bb.770:
	v_mad_nc_u64_u32 v[0:1], v2, s16, s[18:19]
	v_mad_nc_u64_u32 v[22:23], v8, s16, s[18:19]
	s_mov_b32 s29, 0
	s_mov_b64 s[22:23], s[16:17]
                                        ; implicit-def: $sgpr28
                                        ; implicit-def: $sgpr30
                                        ; implicit-def: $sgpr33
                                        ; implicit-def: $sgpr31
                                        ; implicit-def: $sgpr34
	s_delay_alu instid0(VALU_DEP_2) | instskip(NEXT) | instid1(VALU_DEP_2)
	v_mad_u32 v1, v3, s16, v1
	v_mad_u32 v23, v9, s16, v23
	s_delay_alu instid0(VALU_DEP_2) | instskip(NEXT) | instid1(VALU_DEP_2)
	v_mad_u32 v1, v2, s17, v1
	v_mad_u32 v23, v8, s17, v23
	s_branch .LBB261_772
.LBB261_771:                            ;   in Loop: Header=BB261_772 Depth=1
	s_or_b32 exec_lo, exec_lo, s35
	s_and_b32 s14, s14, s34
	s_delay_alu instid0(SALU_CYCLE_1) | instskip(SKIP_1) | instid1(SALU_CYCLE_1)
	s_or_b32 s14, vcc_lo, s14
	s_and_b32 s15, exec_lo, s33
	s_or_b32 s29, s15, s29
	s_and_not1_b32 s15, s34, exec_lo
	s_and_b32 s14, s14, exec_lo
	s_and_not1_b32 s30, s30, exec_lo
	s_and_b32 s35, s31, exec_lo
	s_or_b32 s34, s15, s14
	s_and_not1_b32 s15, s28, exec_lo
	s_or_b32 s30, s30, s35
	s_or_b32 s28, s15, s14
	s_and_not1_b32 exec_lo, exec_lo, s29
	s_cbranch_execz .LBB261_774
.LBB261_772:                            ; =>This Inner Loop Header: Depth=1
	global_load_u8 v25, v[0:1], off
	global_load_u8 v33, v[22:23], off
	s_or_b32 s31, s31, exec_lo
	s_or_b32 s33, s33, exec_lo
	s_mov_b32 s35, exec_lo
	s_wait_loadcnt 0x1
	v_bfe_i32 v34, v25, 0, 8
	s_wait_loadcnt 0x0
	v_bfe_i32 v35, v33, 0, 8
	v_and_b32_e32 v25, 0xff, v25
	v_and_b32_e32 v33, 0xff, v33
	s_delay_alu instid0(VALU_DEP_3) | instskip(SKIP_1) | instid1(VALU_DEP_3)
	v_cmp_le_i16_e64 s14, v34, v35
	v_cmp_lt_i16_e32 vcc_lo, v34, v35
	v_cmpx_eq_u16_e64 v25, v33
	s_cbranch_execz .LBB261_771
; %bb.773:                              ;   in Loop: Header=BB261_772 Depth=1
	s_add_nc_u64 s[22:23], s[22:23], -1
	v_add_nc_u64_e32 v[0:1], 1, v[0:1]
	s_cmp_eq_u64 s[22:23], 0
	v_add_nc_u64_e32 v[22:23], 1, v[22:23]
	s_cselect_b32 s15, -1, 0
	s_and_not1_b32 s33, s33, exec_lo
	s_and_b32 s15, s15, exec_lo
	s_and_not1_b32 s31, s31, exec_lo
	s_or_b32 s33, s33, s15
	s_branch .LBB261_771
.LBB261_774:
	s_or_b32 exec_lo, exec_lo, s29
	s_and_saveexec_b32 s14, s30
	s_delay_alu instid0(SALU_CYCLE_1)
	s_xor_b32 s14, exec_lo, s14
; %bb.775:
	v_dual_cndmask_b32 v1, v9, v3, s28 :: v_dual_cndmask_b32 v0, v8, v2, s28
	v_dual_cndmask_b32 v3, v3, v9, s28 :: v_dual_cndmask_b32 v2, v2, v8, s28
	s_delay_alu instid0(VALU_DEP_2)
	v_mov_b64_e32 v[8:9], v[0:1]
; %bb.776:
	s_or_b32 exec_lo, exec_lo, s14
.LBB261_777:
	s_delay_alu instid0(SALU_CYCLE_1)
	s_or_b32 exec_lo, exec_lo, s27
	s_and_saveexec_b32 s27, s7
	s_cbranch_execz .LBB261_786
; %bb.778:
	s_and_not1_b32 vcc_lo, exec_lo, s26
	s_cbranch_vccnz .LBB261_786
; %bb.779:
	v_mad_nc_u64_u32 v[0:1], v16, s16, s[18:19]
	v_mad_nc_u64_u32 v[22:23], v14, s16, s[18:19]
	s_mov_b32 s29, 0
	s_mov_b64 s[22:23], s[16:17]
                                        ; implicit-def: $sgpr28
                                        ; implicit-def: $sgpr30
                                        ; implicit-def: $sgpr33
                                        ; implicit-def: $sgpr31
                                        ; implicit-def: $sgpr34
	s_delay_alu instid0(VALU_DEP_2) | instskip(NEXT) | instid1(VALU_DEP_2)
	v_mad_u32 v1, v17, s16, v1
	v_mad_u32 v23, v15, s16, v23
	s_delay_alu instid0(VALU_DEP_2) | instskip(NEXT) | instid1(VALU_DEP_2)
	v_mad_u32 v1, v16, s17, v1
	v_mad_u32 v23, v14, s17, v23
	s_branch .LBB261_781
.LBB261_780:                            ;   in Loop: Header=BB261_781 Depth=1
	s_or_b32 exec_lo, exec_lo, s35
	s_and_b32 s14, s14, s34
	s_delay_alu instid0(SALU_CYCLE_1) | instskip(SKIP_1) | instid1(SALU_CYCLE_1)
	s_or_b32 s14, vcc_lo, s14
	s_and_b32 s15, exec_lo, s33
	s_or_b32 s29, s15, s29
	s_and_not1_b32 s15, s34, exec_lo
	s_and_b32 s14, s14, exec_lo
	s_and_not1_b32 s30, s30, exec_lo
	s_and_b32 s35, s31, exec_lo
	s_or_b32 s34, s15, s14
	s_and_not1_b32 s15, s28, exec_lo
	s_or_b32 s30, s30, s35
	s_or_b32 s28, s15, s14
	s_and_not1_b32 exec_lo, exec_lo, s29
	s_cbranch_execz .LBB261_783
.LBB261_781:                            ; =>This Inner Loop Header: Depth=1
	global_load_u8 v25, v[0:1], off
	global_load_u8 v33, v[22:23], off
	s_or_b32 s31, s31, exec_lo
	s_or_b32 s33, s33, exec_lo
	s_mov_b32 s35, exec_lo
	s_wait_loadcnt 0x1
	v_bfe_i32 v34, v25, 0, 8
	s_wait_loadcnt 0x0
	v_bfe_i32 v35, v33, 0, 8
	v_and_b32_e32 v25, 0xff, v25
	v_and_b32_e32 v33, 0xff, v33
	s_delay_alu instid0(VALU_DEP_3) | instskip(SKIP_1) | instid1(VALU_DEP_3)
	v_cmp_le_i16_e64 s14, v34, v35
	v_cmp_lt_i16_e32 vcc_lo, v34, v35
	v_cmpx_eq_u16_e64 v25, v33
	s_cbranch_execz .LBB261_780
; %bb.782:                              ;   in Loop: Header=BB261_781 Depth=1
	s_add_nc_u64 s[22:23], s[22:23], -1
	v_add_nc_u64_e32 v[0:1], 1, v[0:1]
	s_cmp_eq_u64 s[22:23], 0
	v_add_nc_u64_e32 v[22:23], 1, v[22:23]
	s_cselect_b32 s15, -1, 0
	s_and_not1_b32 s33, s33, exec_lo
	s_and_b32 s15, s15, exec_lo
	s_and_not1_b32 s31, s31, exec_lo
	s_or_b32 s33, s33, s15
	s_branch .LBB261_780
.LBB261_783:
	s_or_b32 exec_lo, exec_lo, s29
	s_and_saveexec_b32 s14, s30
	s_delay_alu instid0(SALU_CYCLE_1)
	s_xor_b32 s14, exec_lo, s14
; %bb.784:
	v_dual_cndmask_b32 v1, v17, v15, s28 :: v_dual_cndmask_b32 v0, v16, v14, s28
	v_dual_cndmask_b32 v15, v15, v17, s28 :: v_dual_cndmask_b32 v14, v14, v16, s28
	s_delay_alu instid0(VALU_DEP_2)
	v_mov_b64_e32 v[16:17], v[0:1]
; %bb.785:
	s_or_b32 exec_lo, exec_lo, s14
.LBB261_786:
	s_delay_alu instid0(SALU_CYCLE_1)
	s_or_b32 exec_lo, exec_lo, s27
	s_and_saveexec_b32 s27, s8
	s_cbranch_execz .LBB261_795
; %bb.787:
	s_and_not1_b32 vcc_lo, exec_lo, s26
	s_cbranch_vccnz .LBB261_795
; %bb.788:
	v_mad_nc_u64_u32 v[0:1], v12, s16, s[18:19]
	v_mad_nc_u64_u32 v[22:23], v10, s16, s[18:19]
	s_mov_b32 s29, 0
	s_mov_b64 s[22:23], s[16:17]
                                        ; implicit-def: $sgpr28
                                        ; implicit-def: $sgpr30
                                        ; implicit-def: $sgpr33
                                        ; implicit-def: $sgpr31
                                        ; implicit-def: $sgpr34
	s_delay_alu instid0(VALU_DEP_2) | instskip(NEXT) | instid1(VALU_DEP_2)
	v_mad_u32 v1, v13, s16, v1
	v_mad_u32 v23, v11, s16, v23
	s_delay_alu instid0(VALU_DEP_2) | instskip(NEXT) | instid1(VALU_DEP_2)
	v_mad_u32 v1, v12, s17, v1
	v_mad_u32 v23, v10, s17, v23
	s_branch .LBB261_790
.LBB261_789:                            ;   in Loop: Header=BB261_790 Depth=1
	s_or_b32 exec_lo, exec_lo, s35
	s_and_b32 s14, s14, s34
	s_delay_alu instid0(SALU_CYCLE_1) | instskip(SKIP_1) | instid1(SALU_CYCLE_1)
	s_or_b32 s14, vcc_lo, s14
	s_and_b32 s15, exec_lo, s33
	s_or_b32 s29, s15, s29
	s_and_not1_b32 s15, s34, exec_lo
	s_and_b32 s14, s14, exec_lo
	s_and_not1_b32 s30, s30, exec_lo
	s_and_b32 s35, s31, exec_lo
	s_or_b32 s34, s15, s14
	s_and_not1_b32 s15, s28, exec_lo
	s_or_b32 s30, s30, s35
	s_or_b32 s28, s15, s14
	s_and_not1_b32 exec_lo, exec_lo, s29
	s_cbranch_execz .LBB261_792
.LBB261_790:                            ; =>This Inner Loop Header: Depth=1
	global_load_u8 v25, v[0:1], off
	global_load_u8 v33, v[22:23], off
	s_or_b32 s31, s31, exec_lo
	s_or_b32 s33, s33, exec_lo
	s_mov_b32 s35, exec_lo
	s_wait_loadcnt 0x1
	v_bfe_i32 v34, v25, 0, 8
	s_wait_loadcnt 0x0
	v_bfe_i32 v35, v33, 0, 8
	v_and_b32_e32 v25, 0xff, v25
	v_and_b32_e32 v33, 0xff, v33
	s_delay_alu instid0(VALU_DEP_3) | instskip(SKIP_1) | instid1(VALU_DEP_3)
	v_cmp_le_i16_e64 s14, v34, v35
	v_cmp_lt_i16_e32 vcc_lo, v34, v35
	v_cmpx_eq_u16_e64 v25, v33
	s_cbranch_execz .LBB261_789
; %bb.791:                              ;   in Loop: Header=BB261_790 Depth=1
	s_add_nc_u64 s[22:23], s[22:23], -1
	v_add_nc_u64_e32 v[0:1], 1, v[0:1]
	s_cmp_eq_u64 s[22:23], 0
	v_add_nc_u64_e32 v[22:23], 1, v[22:23]
	s_cselect_b32 s15, -1, 0
	s_and_not1_b32 s33, s33, exec_lo
	s_and_b32 s15, s15, exec_lo
	s_and_not1_b32 s31, s31, exec_lo
	s_or_b32 s33, s33, s15
	s_branch .LBB261_789
.LBB261_792:
	s_or_b32 exec_lo, exec_lo, s29
	s_and_saveexec_b32 s14, s30
	s_delay_alu instid0(SALU_CYCLE_1)
	s_xor_b32 s14, exec_lo, s14
; %bb.793:
	v_dual_cndmask_b32 v1, v11, v13, s28 :: v_dual_cndmask_b32 v0, v10, v12, s28
	v_dual_cndmask_b32 v13, v13, v11, s28 :: v_dual_cndmask_b32 v12, v12, v10, s28
	s_delay_alu instid0(VALU_DEP_2)
	v_mov_b64_e32 v[10:11], v[0:1]
; %bb.794:
	s_or_b32 exec_lo, exec_lo, s14
.LBB261_795:
	s_delay_alu instid0(SALU_CYCLE_1)
	s_or_b32 exec_lo, exec_lo, s27
	s_and_saveexec_b32 s27, s9
	s_cbranch_execz .LBB261_804
; %bb.796:
	s_and_not1_b32 vcc_lo, exec_lo, s26
	s_cbranch_vccnz .LBB261_804
; %bb.797:
	v_mad_nc_u64_u32 v[0:1], v8, s16, s[18:19]
	v_mad_nc_u64_u32 v[22:23], v6, s16, s[18:19]
	s_mov_b32 s29, 0
	s_mov_b64 s[22:23], s[16:17]
                                        ; implicit-def: $sgpr28
                                        ; implicit-def: $sgpr30
                                        ; implicit-def: $sgpr33
                                        ; implicit-def: $sgpr31
                                        ; implicit-def: $sgpr34
	s_delay_alu instid0(VALU_DEP_2) | instskip(NEXT) | instid1(VALU_DEP_2)
	v_mad_u32 v1, v9, s16, v1
	v_mad_u32 v23, v7, s16, v23
	s_delay_alu instid0(VALU_DEP_2) | instskip(NEXT) | instid1(VALU_DEP_2)
	v_mad_u32 v1, v8, s17, v1
	v_mad_u32 v23, v6, s17, v23
	s_branch .LBB261_799
.LBB261_798:                            ;   in Loop: Header=BB261_799 Depth=1
	s_or_b32 exec_lo, exec_lo, s35
	s_and_b32 s14, s14, s34
	s_delay_alu instid0(SALU_CYCLE_1) | instskip(SKIP_1) | instid1(SALU_CYCLE_1)
	s_or_b32 s14, vcc_lo, s14
	s_and_b32 s15, exec_lo, s33
	s_or_b32 s29, s15, s29
	s_and_not1_b32 s15, s34, exec_lo
	s_and_b32 s14, s14, exec_lo
	s_and_not1_b32 s30, s30, exec_lo
	s_and_b32 s35, s31, exec_lo
	s_or_b32 s34, s15, s14
	s_and_not1_b32 s15, s28, exec_lo
	s_or_b32 s30, s30, s35
	s_or_b32 s28, s15, s14
	s_and_not1_b32 exec_lo, exec_lo, s29
	s_cbranch_execz .LBB261_801
.LBB261_799:                            ; =>This Inner Loop Header: Depth=1
	global_load_u8 v25, v[0:1], off
	global_load_u8 v33, v[22:23], off
	s_or_b32 s31, s31, exec_lo
	s_or_b32 s33, s33, exec_lo
	s_mov_b32 s35, exec_lo
	s_wait_loadcnt 0x1
	v_bfe_i32 v34, v25, 0, 8
	s_wait_loadcnt 0x0
	v_bfe_i32 v35, v33, 0, 8
	v_and_b32_e32 v25, 0xff, v25
	v_and_b32_e32 v33, 0xff, v33
	s_delay_alu instid0(VALU_DEP_3) | instskip(SKIP_1) | instid1(VALU_DEP_3)
	v_cmp_le_i16_e64 s14, v34, v35
	v_cmp_lt_i16_e32 vcc_lo, v34, v35
	v_cmpx_eq_u16_e64 v25, v33
	s_cbranch_execz .LBB261_798
; %bb.800:                              ;   in Loop: Header=BB261_799 Depth=1
	s_add_nc_u64 s[22:23], s[22:23], -1
	v_add_nc_u64_e32 v[0:1], 1, v[0:1]
	s_cmp_eq_u64 s[22:23], 0
	v_add_nc_u64_e32 v[22:23], 1, v[22:23]
	s_cselect_b32 s15, -1, 0
	s_and_not1_b32 s33, s33, exec_lo
	s_and_b32 s15, s15, exec_lo
	s_and_not1_b32 s31, s31, exec_lo
	s_or_b32 s33, s33, s15
	s_branch .LBB261_798
.LBB261_801:
	s_or_b32 exec_lo, exec_lo, s29
	s_and_saveexec_b32 s14, s30
	s_delay_alu instid0(SALU_CYCLE_1)
	s_xor_b32 s14, exec_lo, s14
; %bb.802:
	v_dual_cndmask_b32 v1, v7, v9, s28 :: v_dual_cndmask_b32 v0, v6, v8, s28
	v_dual_cndmask_b32 v9, v9, v7, s28 :: v_dual_cndmask_b32 v8, v8, v6, s28
	s_delay_alu instid0(VALU_DEP_2)
	v_mov_b64_e32 v[6:7], v[0:1]
; %bb.803:
	s_or_b32 exec_lo, exec_lo, s14
.LBB261_804:
	s_delay_alu instid0(SALU_CYCLE_1)
	s_or_b32 exec_lo, exec_lo, s27
	s_and_saveexec_b32 s27, s10
	s_cbranch_execz .LBB261_813
; %bb.805:
	s_and_not1_b32 vcc_lo, exec_lo, s26
	s_cbranch_vccnz .LBB261_813
; %bb.806:
	v_mad_nc_u64_u32 v[0:1], v4, s16, s[18:19]
	v_mad_nc_u64_u32 v[22:23], v2, s16, s[18:19]
	s_mov_b32 s29, 0
	s_mov_b64 s[22:23], s[16:17]
                                        ; implicit-def: $sgpr28
                                        ; implicit-def: $sgpr30
                                        ; implicit-def: $sgpr33
                                        ; implicit-def: $sgpr31
                                        ; implicit-def: $sgpr34
	s_delay_alu instid0(VALU_DEP_2) | instskip(NEXT) | instid1(VALU_DEP_2)
	v_mad_u32 v1, v5, s16, v1
	v_mad_u32 v23, v3, s16, v23
	s_delay_alu instid0(VALU_DEP_2) | instskip(NEXT) | instid1(VALU_DEP_2)
	v_mad_u32 v1, v4, s17, v1
	v_mad_u32 v23, v2, s17, v23
	s_branch .LBB261_808
.LBB261_807:                            ;   in Loop: Header=BB261_808 Depth=1
	s_or_b32 exec_lo, exec_lo, s35
	s_and_b32 s14, s14, s34
	s_delay_alu instid0(SALU_CYCLE_1) | instskip(SKIP_1) | instid1(SALU_CYCLE_1)
	s_or_b32 s14, vcc_lo, s14
	s_and_b32 s15, exec_lo, s33
	s_or_b32 s29, s15, s29
	s_and_not1_b32 s15, s34, exec_lo
	s_and_b32 s14, s14, exec_lo
	s_and_not1_b32 s30, s30, exec_lo
	s_and_b32 s35, s31, exec_lo
	s_or_b32 s34, s15, s14
	s_and_not1_b32 s15, s28, exec_lo
	s_or_b32 s30, s30, s35
	s_or_b32 s28, s15, s14
	s_and_not1_b32 exec_lo, exec_lo, s29
	s_cbranch_execz .LBB261_810
.LBB261_808:                            ; =>This Inner Loop Header: Depth=1
	global_load_u8 v25, v[0:1], off
	global_load_u8 v33, v[22:23], off
	s_or_b32 s31, s31, exec_lo
	s_or_b32 s33, s33, exec_lo
	s_mov_b32 s35, exec_lo
	s_wait_loadcnt 0x1
	v_bfe_i32 v34, v25, 0, 8
	s_wait_loadcnt 0x0
	v_bfe_i32 v35, v33, 0, 8
	v_and_b32_e32 v25, 0xff, v25
	v_and_b32_e32 v33, 0xff, v33
	s_delay_alu instid0(VALU_DEP_3) | instskip(SKIP_1) | instid1(VALU_DEP_3)
	v_cmp_le_i16_e64 s14, v34, v35
	v_cmp_lt_i16_e32 vcc_lo, v34, v35
	v_cmpx_eq_u16_e64 v25, v33
	s_cbranch_execz .LBB261_807
; %bb.809:                              ;   in Loop: Header=BB261_808 Depth=1
	s_add_nc_u64 s[22:23], s[22:23], -1
	v_add_nc_u64_e32 v[0:1], 1, v[0:1]
	s_cmp_eq_u64 s[22:23], 0
	v_add_nc_u64_e32 v[22:23], 1, v[22:23]
	s_cselect_b32 s15, -1, 0
	s_and_not1_b32 s33, s33, exec_lo
	s_and_b32 s15, s15, exec_lo
	s_and_not1_b32 s31, s31, exec_lo
	s_or_b32 s33, s33, s15
	s_branch .LBB261_807
.LBB261_810:
	s_or_b32 exec_lo, exec_lo, s29
	s_and_saveexec_b32 s14, s30
	s_delay_alu instid0(SALU_CYCLE_1)
	s_xor_b32 s14, exec_lo, s14
; %bb.811:
	v_dual_cndmask_b32 v1, v3, v5, s28 :: v_dual_cndmask_b32 v0, v2, v4, s28
	v_dual_cndmask_b32 v5, v5, v3, s28 :: v_dual_cndmask_b32 v4, v4, v2, s28
	s_delay_alu instid0(VALU_DEP_2)
	v_mov_b64_e32 v[2:3], v[0:1]
; %bb.812:
	s_or_b32 exec_lo, exec_lo, s14
.LBB261_813:
	s_delay_alu instid0(SALU_CYCLE_1)
	s_or_b32 exec_lo, exec_lo, s27
	s_and_saveexec_b32 s27, s11
	s_cbranch_execz .LBB261_822
; %bb.814:
	s_and_not1_b32 vcc_lo, exec_lo, s26
	s_cbranch_vccnz .LBB261_822
; %bb.815:
	v_mad_nc_u64_u32 v[0:1], v10, s16, s[18:19]
	v_mad_nc_u64_u32 v[22:23], v16, s16, s[18:19]
	s_mov_b32 s29, 0
	s_mov_b64 s[22:23], s[16:17]
                                        ; implicit-def: $sgpr28
                                        ; implicit-def: $sgpr30
                                        ; implicit-def: $sgpr33
                                        ; implicit-def: $sgpr31
                                        ; implicit-def: $sgpr34
	s_delay_alu instid0(VALU_DEP_2) | instskip(NEXT) | instid1(VALU_DEP_2)
	v_mad_u32 v1, v11, s16, v1
	v_mad_u32 v23, v17, s16, v23
	s_delay_alu instid0(VALU_DEP_2) | instskip(NEXT) | instid1(VALU_DEP_2)
	v_mad_u32 v1, v10, s17, v1
	v_mad_u32 v23, v16, s17, v23
	s_branch .LBB261_817
.LBB261_816:                            ;   in Loop: Header=BB261_817 Depth=1
	s_or_b32 exec_lo, exec_lo, s35
	s_and_b32 s14, s14, s34
	s_delay_alu instid0(SALU_CYCLE_1) | instskip(SKIP_1) | instid1(SALU_CYCLE_1)
	s_or_b32 s14, vcc_lo, s14
	s_and_b32 s15, exec_lo, s33
	s_or_b32 s29, s15, s29
	s_and_not1_b32 s15, s34, exec_lo
	s_and_b32 s14, s14, exec_lo
	s_and_not1_b32 s30, s30, exec_lo
	s_and_b32 s35, s31, exec_lo
	s_or_b32 s34, s15, s14
	s_and_not1_b32 s15, s28, exec_lo
	s_or_b32 s30, s30, s35
	s_or_b32 s28, s15, s14
	s_and_not1_b32 exec_lo, exec_lo, s29
	s_cbranch_execz .LBB261_819
.LBB261_817:                            ; =>This Inner Loop Header: Depth=1
	global_load_u8 v25, v[0:1], off
	global_load_u8 v33, v[22:23], off
	s_or_b32 s31, s31, exec_lo
	s_or_b32 s33, s33, exec_lo
	s_mov_b32 s35, exec_lo
	s_wait_loadcnt 0x1
	v_bfe_i32 v34, v25, 0, 8
	s_wait_loadcnt 0x0
	v_bfe_i32 v35, v33, 0, 8
	v_and_b32_e32 v25, 0xff, v25
	v_and_b32_e32 v33, 0xff, v33
	s_delay_alu instid0(VALU_DEP_3) | instskip(SKIP_1) | instid1(VALU_DEP_3)
	v_cmp_le_i16_e64 s14, v34, v35
	v_cmp_lt_i16_e32 vcc_lo, v34, v35
	v_cmpx_eq_u16_e64 v25, v33
	s_cbranch_execz .LBB261_816
; %bb.818:                              ;   in Loop: Header=BB261_817 Depth=1
	s_add_nc_u64 s[22:23], s[22:23], -1
	v_add_nc_u64_e32 v[0:1], 1, v[0:1]
	s_cmp_eq_u64 s[22:23], 0
	v_add_nc_u64_e32 v[22:23], 1, v[22:23]
	s_cselect_b32 s15, -1, 0
	s_and_not1_b32 s33, s33, exec_lo
	s_and_b32 s15, s15, exec_lo
	s_and_not1_b32 s31, s31, exec_lo
	s_or_b32 s33, s33, s15
	s_branch .LBB261_816
.LBB261_819:
	s_or_b32 exec_lo, exec_lo, s29
	s_and_saveexec_b32 s14, s30
	s_delay_alu instid0(SALU_CYCLE_1)
	s_xor_b32 s14, exec_lo, s14
; %bb.820:
	v_dual_cndmask_b32 v1, v17, v11, s28 :: v_dual_cndmask_b32 v0, v16, v10, s28
	v_dual_cndmask_b32 v11, v11, v17, s28 :: v_dual_cndmask_b32 v10, v10, v16, s28
	s_delay_alu instid0(VALU_DEP_2)
	v_mov_b64_e32 v[16:17], v[0:1]
; %bb.821:
	s_or_b32 exec_lo, exec_lo, s14
.LBB261_822:
	s_delay_alu instid0(SALU_CYCLE_1)
	s_or_b32 exec_lo, exec_lo, s27
	s_and_saveexec_b32 s27, s12
	s_cbranch_execz .LBB261_831
; %bb.823:
	s_and_not1_b32 vcc_lo, exec_lo, s26
	s_cbranch_vccnz .LBB261_831
; %bb.824:
	v_mad_nc_u64_u32 v[0:1], v6, s16, s[18:19]
	v_mad_nc_u64_u32 v[22:23], v12, s16, s[18:19]
	s_mov_b32 s29, 0
	s_mov_b64 s[22:23], s[16:17]
                                        ; implicit-def: $sgpr28
                                        ; implicit-def: $sgpr30
                                        ; implicit-def: $sgpr33
                                        ; implicit-def: $sgpr31
                                        ; implicit-def: $sgpr34
	s_delay_alu instid0(VALU_DEP_2) | instskip(NEXT) | instid1(VALU_DEP_2)
	v_mad_u32 v1, v7, s16, v1
	v_mad_u32 v23, v13, s16, v23
	s_delay_alu instid0(VALU_DEP_2) | instskip(NEXT) | instid1(VALU_DEP_2)
	v_mad_u32 v1, v6, s17, v1
	v_mad_u32 v23, v12, s17, v23
	s_branch .LBB261_826
.LBB261_825:                            ;   in Loop: Header=BB261_826 Depth=1
	s_or_b32 exec_lo, exec_lo, s35
	s_and_b32 s14, s14, s34
	s_delay_alu instid0(SALU_CYCLE_1) | instskip(SKIP_1) | instid1(SALU_CYCLE_1)
	s_or_b32 s14, vcc_lo, s14
	s_and_b32 s15, exec_lo, s33
	s_or_b32 s29, s15, s29
	s_and_not1_b32 s15, s34, exec_lo
	s_and_b32 s14, s14, exec_lo
	s_and_not1_b32 s30, s30, exec_lo
	s_and_b32 s35, s31, exec_lo
	s_or_b32 s34, s15, s14
	s_and_not1_b32 s15, s28, exec_lo
	s_or_b32 s30, s30, s35
	s_or_b32 s28, s15, s14
	s_and_not1_b32 exec_lo, exec_lo, s29
	s_cbranch_execz .LBB261_828
.LBB261_826:                            ; =>This Inner Loop Header: Depth=1
	global_load_u8 v25, v[0:1], off
	global_load_u8 v33, v[22:23], off
	s_or_b32 s31, s31, exec_lo
	s_or_b32 s33, s33, exec_lo
	s_mov_b32 s35, exec_lo
	s_wait_loadcnt 0x1
	v_bfe_i32 v34, v25, 0, 8
	s_wait_loadcnt 0x0
	v_bfe_i32 v35, v33, 0, 8
	v_and_b32_e32 v25, 0xff, v25
	v_and_b32_e32 v33, 0xff, v33
	s_delay_alu instid0(VALU_DEP_3) | instskip(SKIP_1) | instid1(VALU_DEP_3)
	v_cmp_le_i16_e64 s14, v34, v35
	v_cmp_lt_i16_e32 vcc_lo, v34, v35
	v_cmpx_eq_u16_e64 v25, v33
	s_cbranch_execz .LBB261_825
; %bb.827:                              ;   in Loop: Header=BB261_826 Depth=1
	s_add_nc_u64 s[22:23], s[22:23], -1
	v_add_nc_u64_e32 v[0:1], 1, v[0:1]
	s_cmp_eq_u64 s[22:23], 0
	v_add_nc_u64_e32 v[22:23], 1, v[22:23]
	s_cselect_b32 s15, -1, 0
	s_and_not1_b32 s33, s33, exec_lo
	s_and_b32 s15, s15, exec_lo
	s_and_not1_b32 s31, s31, exec_lo
	s_or_b32 s33, s33, s15
	s_branch .LBB261_825
.LBB261_828:
	s_or_b32 exec_lo, exec_lo, s29
	s_and_saveexec_b32 s14, s30
	s_delay_alu instid0(SALU_CYCLE_1)
	s_xor_b32 s14, exec_lo, s14
; %bb.829:
	v_dual_cndmask_b32 v1, v13, v7, s28 :: v_dual_cndmask_b32 v0, v12, v6, s28
	v_dual_cndmask_b32 v7, v7, v13, s28 :: v_dual_cndmask_b32 v6, v6, v12, s28
	s_delay_alu instid0(VALU_DEP_2)
	v_mov_b64_e32 v[12:13], v[0:1]
; %bb.830:
	s_or_b32 exec_lo, exec_lo, s14
.LBB261_831:
	s_delay_alu instid0(SALU_CYCLE_1)
	s_or_b32 exec_lo, exec_lo, s27
	s_and_saveexec_b32 s27, s13
	s_cbranch_execz .LBB261_840
; %bb.832:
	s_and_not1_b32 vcc_lo, exec_lo, s26
	s_cbranch_vccnz .LBB261_840
; %bb.833:
	v_mad_nc_u64_u32 v[0:1], v2, s16, s[18:19]
	v_mad_nc_u64_u32 v[22:23], v8, s16, s[18:19]
	s_mov_b32 s29, 0
	s_mov_b64 s[22:23], s[16:17]
                                        ; implicit-def: $sgpr28
                                        ; implicit-def: $sgpr30
                                        ; implicit-def: $sgpr33
                                        ; implicit-def: $sgpr31
                                        ; implicit-def: $sgpr34
	s_delay_alu instid0(VALU_DEP_2) | instskip(NEXT) | instid1(VALU_DEP_2)
	v_mad_u32 v1, v3, s16, v1
	v_mad_u32 v23, v9, s16, v23
	s_delay_alu instid0(VALU_DEP_2) | instskip(NEXT) | instid1(VALU_DEP_2)
	v_mad_u32 v1, v2, s17, v1
	v_mad_u32 v23, v8, s17, v23
	s_branch .LBB261_835
.LBB261_834:                            ;   in Loop: Header=BB261_835 Depth=1
	s_or_b32 exec_lo, exec_lo, s35
	s_and_b32 s14, s14, s34
	s_delay_alu instid0(SALU_CYCLE_1) | instskip(SKIP_1) | instid1(SALU_CYCLE_1)
	s_or_b32 s14, vcc_lo, s14
	s_and_b32 s15, exec_lo, s33
	s_or_b32 s29, s15, s29
	s_and_not1_b32 s15, s34, exec_lo
	s_and_b32 s14, s14, exec_lo
	s_and_not1_b32 s30, s30, exec_lo
	s_and_b32 s35, s31, exec_lo
	s_or_b32 s34, s15, s14
	s_and_not1_b32 s15, s28, exec_lo
	s_or_b32 s30, s30, s35
	s_or_b32 s28, s15, s14
	s_and_not1_b32 exec_lo, exec_lo, s29
	s_cbranch_execz .LBB261_837
.LBB261_835:                            ; =>This Inner Loop Header: Depth=1
	global_load_u8 v25, v[0:1], off
	global_load_u8 v33, v[22:23], off
	s_or_b32 s31, s31, exec_lo
	s_or_b32 s33, s33, exec_lo
	s_mov_b32 s35, exec_lo
	s_wait_loadcnt 0x1
	v_bfe_i32 v34, v25, 0, 8
	s_wait_loadcnt 0x0
	v_bfe_i32 v35, v33, 0, 8
	v_and_b32_e32 v25, 0xff, v25
	v_and_b32_e32 v33, 0xff, v33
	s_delay_alu instid0(VALU_DEP_3) | instskip(SKIP_1) | instid1(VALU_DEP_3)
	v_cmp_le_i16_e64 s14, v34, v35
	v_cmp_lt_i16_e32 vcc_lo, v34, v35
	v_cmpx_eq_u16_e64 v25, v33
	s_cbranch_execz .LBB261_834
; %bb.836:                              ;   in Loop: Header=BB261_835 Depth=1
	s_add_nc_u64 s[22:23], s[22:23], -1
	v_add_nc_u64_e32 v[0:1], 1, v[0:1]
	s_cmp_eq_u64 s[22:23], 0
	v_add_nc_u64_e32 v[22:23], 1, v[22:23]
	s_cselect_b32 s15, -1, 0
	s_and_not1_b32 s33, s33, exec_lo
	s_and_b32 s15, s15, exec_lo
	s_and_not1_b32 s31, s31, exec_lo
	s_or_b32 s33, s33, s15
	s_branch .LBB261_834
.LBB261_837:
	s_or_b32 exec_lo, exec_lo, s29
	s_and_saveexec_b32 s14, s30
	s_delay_alu instid0(SALU_CYCLE_1)
	s_xor_b32 s14, exec_lo, s14
; %bb.838:
	v_dual_cndmask_b32 v1, v9, v3, s28 :: v_dual_cndmask_b32 v0, v8, v2, s28
	v_dual_cndmask_b32 v3, v3, v9, s28 :: v_dual_cndmask_b32 v2, v2, v8, s28
	s_delay_alu instid0(VALU_DEP_2)
	v_mov_b64_e32 v[8:9], v[0:1]
; %bb.839:
	s_or_b32 exec_lo, exec_lo, s14
.LBB261_840:
	s_delay_alu instid0(SALU_CYCLE_1)
	s_or_b32 exec_lo, exec_lo, s27
	s_and_saveexec_b32 s27, s7
	s_cbranch_execz .LBB261_849
; %bb.841:
	s_and_not1_b32 vcc_lo, exec_lo, s26
	s_cbranch_vccnz .LBB261_849
; %bb.842:
	v_mad_nc_u64_u32 v[0:1], v16, s16, s[18:19]
	v_mad_nc_u64_u32 v[22:23], v14, s16, s[18:19]
	s_mov_b32 s29, 0
	s_mov_b64 s[22:23], s[16:17]
                                        ; implicit-def: $sgpr28
                                        ; implicit-def: $sgpr30
                                        ; implicit-def: $sgpr33
                                        ; implicit-def: $sgpr31
                                        ; implicit-def: $sgpr34
	s_delay_alu instid0(VALU_DEP_2) | instskip(NEXT) | instid1(VALU_DEP_2)
	v_mad_u32 v1, v17, s16, v1
	v_mad_u32 v23, v15, s16, v23
	s_delay_alu instid0(VALU_DEP_2) | instskip(NEXT) | instid1(VALU_DEP_2)
	v_mad_u32 v1, v16, s17, v1
	v_mad_u32 v23, v14, s17, v23
	s_branch .LBB261_844
.LBB261_843:                            ;   in Loop: Header=BB261_844 Depth=1
	s_or_b32 exec_lo, exec_lo, s35
	s_and_b32 s14, s14, s34
	s_delay_alu instid0(SALU_CYCLE_1) | instskip(SKIP_1) | instid1(SALU_CYCLE_1)
	s_or_b32 s14, vcc_lo, s14
	s_and_b32 s15, exec_lo, s33
	s_or_b32 s29, s15, s29
	s_and_not1_b32 s15, s34, exec_lo
	s_and_b32 s14, s14, exec_lo
	s_and_not1_b32 s30, s30, exec_lo
	s_and_b32 s35, s31, exec_lo
	s_or_b32 s34, s15, s14
	s_and_not1_b32 s15, s28, exec_lo
	s_or_b32 s30, s30, s35
	s_or_b32 s28, s15, s14
	s_and_not1_b32 exec_lo, exec_lo, s29
	s_cbranch_execz .LBB261_846
.LBB261_844:                            ; =>This Inner Loop Header: Depth=1
	global_load_u8 v25, v[0:1], off
	global_load_u8 v33, v[22:23], off
	s_or_b32 s31, s31, exec_lo
	s_or_b32 s33, s33, exec_lo
	s_mov_b32 s35, exec_lo
	s_wait_loadcnt 0x1
	v_bfe_i32 v34, v25, 0, 8
	s_wait_loadcnt 0x0
	v_bfe_i32 v35, v33, 0, 8
	v_and_b32_e32 v25, 0xff, v25
	v_and_b32_e32 v33, 0xff, v33
	s_delay_alu instid0(VALU_DEP_3) | instskip(SKIP_1) | instid1(VALU_DEP_3)
	v_cmp_le_i16_e64 s14, v34, v35
	v_cmp_lt_i16_e32 vcc_lo, v34, v35
	v_cmpx_eq_u16_e64 v25, v33
	s_cbranch_execz .LBB261_843
; %bb.845:                              ;   in Loop: Header=BB261_844 Depth=1
	s_add_nc_u64 s[22:23], s[22:23], -1
	v_add_nc_u64_e32 v[0:1], 1, v[0:1]
	s_cmp_eq_u64 s[22:23], 0
	v_add_nc_u64_e32 v[22:23], 1, v[22:23]
	s_cselect_b32 s15, -1, 0
	s_and_not1_b32 s33, s33, exec_lo
	s_and_b32 s15, s15, exec_lo
	s_and_not1_b32 s31, s31, exec_lo
	s_or_b32 s33, s33, s15
	s_branch .LBB261_843
.LBB261_846:
	s_or_b32 exec_lo, exec_lo, s29
	s_and_saveexec_b32 s14, s30
	s_delay_alu instid0(SALU_CYCLE_1)
	s_xor_b32 s14, exec_lo, s14
; %bb.847:
	v_dual_cndmask_b32 v1, v17, v15, s28 :: v_dual_cndmask_b32 v0, v16, v14, s28
	v_dual_cndmask_b32 v15, v15, v17, s28 :: v_dual_cndmask_b32 v14, v14, v16, s28
	s_delay_alu instid0(VALU_DEP_2)
	v_mov_b64_e32 v[16:17], v[0:1]
; %bb.848:
	s_or_b32 exec_lo, exec_lo, s14
.LBB261_849:
	s_delay_alu instid0(SALU_CYCLE_1)
	s_or_b32 exec_lo, exec_lo, s27
	s_and_saveexec_b32 s27, s8
	s_cbranch_execz .LBB261_858
; %bb.850:
	s_and_not1_b32 vcc_lo, exec_lo, s26
	s_cbranch_vccnz .LBB261_858
; %bb.851:
	v_mad_nc_u64_u32 v[0:1], v12, s16, s[18:19]
	v_mad_nc_u64_u32 v[22:23], v10, s16, s[18:19]
	s_mov_b32 s29, 0
	s_mov_b64 s[22:23], s[16:17]
                                        ; implicit-def: $sgpr28
                                        ; implicit-def: $sgpr30
                                        ; implicit-def: $sgpr33
                                        ; implicit-def: $sgpr31
                                        ; implicit-def: $sgpr34
	s_delay_alu instid0(VALU_DEP_2) | instskip(NEXT) | instid1(VALU_DEP_2)
	v_mad_u32 v1, v13, s16, v1
	v_mad_u32 v23, v11, s16, v23
	s_delay_alu instid0(VALU_DEP_2) | instskip(NEXT) | instid1(VALU_DEP_2)
	v_mad_u32 v1, v12, s17, v1
	v_mad_u32 v23, v10, s17, v23
	s_branch .LBB261_853
.LBB261_852:                            ;   in Loop: Header=BB261_853 Depth=1
	s_or_b32 exec_lo, exec_lo, s35
	s_and_b32 s14, s14, s34
	s_delay_alu instid0(SALU_CYCLE_1) | instskip(SKIP_1) | instid1(SALU_CYCLE_1)
	s_or_b32 s14, vcc_lo, s14
	s_and_b32 s15, exec_lo, s33
	s_or_b32 s29, s15, s29
	s_and_not1_b32 s15, s34, exec_lo
	s_and_b32 s14, s14, exec_lo
	s_and_not1_b32 s30, s30, exec_lo
	s_and_b32 s35, s31, exec_lo
	s_or_b32 s34, s15, s14
	s_and_not1_b32 s15, s28, exec_lo
	s_or_b32 s30, s30, s35
	s_or_b32 s28, s15, s14
	s_and_not1_b32 exec_lo, exec_lo, s29
	s_cbranch_execz .LBB261_855
.LBB261_853:                            ; =>This Inner Loop Header: Depth=1
	global_load_u8 v25, v[0:1], off
	global_load_u8 v33, v[22:23], off
	s_or_b32 s31, s31, exec_lo
	s_or_b32 s33, s33, exec_lo
	s_mov_b32 s35, exec_lo
	s_wait_loadcnt 0x1
	v_bfe_i32 v34, v25, 0, 8
	s_wait_loadcnt 0x0
	v_bfe_i32 v35, v33, 0, 8
	v_and_b32_e32 v25, 0xff, v25
	v_and_b32_e32 v33, 0xff, v33
	s_delay_alu instid0(VALU_DEP_3) | instskip(SKIP_1) | instid1(VALU_DEP_3)
	v_cmp_le_i16_e64 s14, v34, v35
	v_cmp_lt_i16_e32 vcc_lo, v34, v35
	v_cmpx_eq_u16_e64 v25, v33
	s_cbranch_execz .LBB261_852
; %bb.854:                              ;   in Loop: Header=BB261_853 Depth=1
	s_add_nc_u64 s[22:23], s[22:23], -1
	v_add_nc_u64_e32 v[0:1], 1, v[0:1]
	s_cmp_eq_u64 s[22:23], 0
	v_add_nc_u64_e32 v[22:23], 1, v[22:23]
	s_cselect_b32 s15, -1, 0
	s_and_not1_b32 s33, s33, exec_lo
	s_and_b32 s15, s15, exec_lo
	s_and_not1_b32 s31, s31, exec_lo
	s_or_b32 s33, s33, s15
	s_branch .LBB261_852
.LBB261_855:
	s_or_b32 exec_lo, exec_lo, s29
	s_and_saveexec_b32 s14, s30
	s_delay_alu instid0(SALU_CYCLE_1)
	s_xor_b32 s14, exec_lo, s14
; %bb.856:
	v_dual_cndmask_b32 v1, v11, v13, s28 :: v_dual_cndmask_b32 v0, v10, v12, s28
	v_dual_cndmask_b32 v13, v13, v11, s28 :: v_dual_cndmask_b32 v12, v12, v10, s28
	s_delay_alu instid0(VALU_DEP_2)
	v_mov_b64_e32 v[10:11], v[0:1]
; %bb.857:
	s_or_b32 exec_lo, exec_lo, s14
.LBB261_858:
	s_delay_alu instid0(SALU_CYCLE_1)
	s_or_b32 exec_lo, exec_lo, s27
	s_and_saveexec_b32 s27, s9
	s_cbranch_execz .LBB261_867
; %bb.859:
	s_and_not1_b32 vcc_lo, exec_lo, s26
	s_cbranch_vccnz .LBB261_867
; %bb.860:
	v_mad_nc_u64_u32 v[0:1], v8, s16, s[18:19]
	v_mad_nc_u64_u32 v[22:23], v6, s16, s[18:19]
	s_mov_b32 s29, 0
	s_mov_b64 s[22:23], s[16:17]
                                        ; implicit-def: $sgpr28
                                        ; implicit-def: $sgpr30
                                        ; implicit-def: $sgpr33
                                        ; implicit-def: $sgpr31
                                        ; implicit-def: $sgpr34
	s_delay_alu instid0(VALU_DEP_2) | instskip(NEXT) | instid1(VALU_DEP_2)
	v_mad_u32 v1, v9, s16, v1
	v_mad_u32 v23, v7, s16, v23
	s_delay_alu instid0(VALU_DEP_2) | instskip(NEXT) | instid1(VALU_DEP_2)
	v_mad_u32 v1, v8, s17, v1
	v_mad_u32 v23, v6, s17, v23
	s_branch .LBB261_862
.LBB261_861:                            ;   in Loop: Header=BB261_862 Depth=1
	s_or_b32 exec_lo, exec_lo, s35
	s_and_b32 s14, s14, s34
	s_delay_alu instid0(SALU_CYCLE_1) | instskip(SKIP_1) | instid1(SALU_CYCLE_1)
	s_or_b32 s14, vcc_lo, s14
	s_and_b32 s15, exec_lo, s33
	s_or_b32 s29, s15, s29
	s_and_not1_b32 s15, s34, exec_lo
	s_and_b32 s14, s14, exec_lo
	s_and_not1_b32 s30, s30, exec_lo
	s_and_b32 s35, s31, exec_lo
	s_or_b32 s34, s15, s14
	s_and_not1_b32 s15, s28, exec_lo
	s_or_b32 s30, s30, s35
	s_or_b32 s28, s15, s14
	s_and_not1_b32 exec_lo, exec_lo, s29
	s_cbranch_execz .LBB261_864
.LBB261_862:                            ; =>This Inner Loop Header: Depth=1
	global_load_u8 v25, v[0:1], off
	global_load_u8 v33, v[22:23], off
	s_or_b32 s31, s31, exec_lo
	s_or_b32 s33, s33, exec_lo
	s_mov_b32 s35, exec_lo
	s_wait_loadcnt 0x1
	v_bfe_i32 v34, v25, 0, 8
	s_wait_loadcnt 0x0
	v_bfe_i32 v35, v33, 0, 8
	v_and_b32_e32 v25, 0xff, v25
	v_and_b32_e32 v33, 0xff, v33
	s_delay_alu instid0(VALU_DEP_3) | instskip(SKIP_1) | instid1(VALU_DEP_3)
	v_cmp_le_i16_e64 s14, v34, v35
	v_cmp_lt_i16_e32 vcc_lo, v34, v35
	v_cmpx_eq_u16_e64 v25, v33
	s_cbranch_execz .LBB261_861
; %bb.863:                              ;   in Loop: Header=BB261_862 Depth=1
	s_add_nc_u64 s[22:23], s[22:23], -1
	v_add_nc_u64_e32 v[0:1], 1, v[0:1]
	s_cmp_eq_u64 s[22:23], 0
	v_add_nc_u64_e32 v[22:23], 1, v[22:23]
	s_cselect_b32 s15, -1, 0
	s_and_not1_b32 s33, s33, exec_lo
	s_and_b32 s15, s15, exec_lo
	s_and_not1_b32 s31, s31, exec_lo
	s_or_b32 s33, s33, s15
	s_branch .LBB261_861
.LBB261_864:
	s_or_b32 exec_lo, exec_lo, s29
	s_and_saveexec_b32 s14, s30
	s_delay_alu instid0(SALU_CYCLE_1)
	s_xor_b32 s14, exec_lo, s14
; %bb.865:
	v_dual_cndmask_b32 v1, v7, v9, s28 :: v_dual_cndmask_b32 v0, v6, v8, s28
	v_dual_cndmask_b32 v9, v9, v7, s28 :: v_dual_cndmask_b32 v8, v8, v6, s28
	s_delay_alu instid0(VALU_DEP_2)
	v_mov_b64_e32 v[6:7], v[0:1]
; %bb.866:
	s_or_b32 exec_lo, exec_lo, s14
.LBB261_867:
	s_delay_alu instid0(SALU_CYCLE_1)
	s_or_b32 exec_lo, exec_lo, s27
	s_and_saveexec_b32 s27, s10
	s_cbranch_execz .LBB261_876
; %bb.868:
	s_and_not1_b32 vcc_lo, exec_lo, s26
	s_cbranch_vccnz .LBB261_876
; %bb.869:
	v_mad_nc_u64_u32 v[0:1], v4, s16, s[18:19]
	v_mad_nc_u64_u32 v[22:23], v2, s16, s[18:19]
	s_mov_b32 s29, 0
	s_mov_b64 s[22:23], s[16:17]
                                        ; implicit-def: $sgpr28
                                        ; implicit-def: $sgpr30
                                        ; implicit-def: $sgpr33
                                        ; implicit-def: $sgpr31
                                        ; implicit-def: $sgpr34
	s_delay_alu instid0(VALU_DEP_2) | instskip(NEXT) | instid1(VALU_DEP_2)
	v_mad_u32 v1, v5, s16, v1
	v_mad_u32 v23, v3, s16, v23
	s_delay_alu instid0(VALU_DEP_2) | instskip(NEXT) | instid1(VALU_DEP_2)
	v_mad_u32 v1, v4, s17, v1
	v_mad_u32 v23, v2, s17, v23
	s_branch .LBB261_871
.LBB261_870:                            ;   in Loop: Header=BB261_871 Depth=1
	s_or_b32 exec_lo, exec_lo, s35
	s_and_b32 s14, s14, s34
	s_delay_alu instid0(SALU_CYCLE_1) | instskip(SKIP_1) | instid1(SALU_CYCLE_1)
	s_or_b32 s14, vcc_lo, s14
	s_and_b32 s15, exec_lo, s33
	s_or_b32 s29, s15, s29
	s_and_not1_b32 s15, s34, exec_lo
	s_and_b32 s14, s14, exec_lo
	s_and_not1_b32 s30, s30, exec_lo
	s_and_b32 s35, s31, exec_lo
	s_or_b32 s34, s15, s14
	s_and_not1_b32 s15, s28, exec_lo
	s_or_b32 s30, s30, s35
	s_or_b32 s28, s15, s14
	s_and_not1_b32 exec_lo, exec_lo, s29
	s_cbranch_execz .LBB261_873
.LBB261_871:                            ; =>This Inner Loop Header: Depth=1
	global_load_u8 v25, v[0:1], off
	global_load_u8 v33, v[22:23], off
	s_or_b32 s31, s31, exec_lo
	s_or_b32 s33, s33, exec_lo
	s_mov_b32 s35, exec_lo
	s_wait_loadcnt 0x1
	v_bfe_i32 v34, v25, 0, 8
	s_wait_loadcnt 0x0
	v_bfe_i32 v35, v33, 0, 8
	v_and_b32_e32 v25, 0xff, v25
	v_and_b32_e32 v33, 0xff, v33
	s_delay_alu instid0(VALU_DEP_3) | instskip(SKIP_1) | instid1(VALU_DEP_3)
	v_cmp_le_i16_e64 s14, v34, v35
	v_cmp_lt_i16_e32 vcc_lo, v34, v35
	v_cmpx_eq_u16_e64 v25, v33
	s_cbranch_execz .LBB261_870
; %bb.872:                              ;   in Loop: Header=BB261_871 Depth=1
	s_add_nc_u64 s[22:23], s[22:23], -1
	v_add_nc_u64_e32 v[0:1], 1, v[0:1]
	s_cmp_eq_u64 s[22:23], 0
	v_add_nc_u64_e32 v[22:23], 1, v[22:23]
	s_cselect_b32 s15, -1, 0
	s_and_not1_b32 s33, s33, exec_lo
	s_and_b32 s15, s15, exec_lo
	s_and_not1_b32 s31, s31, exec_lo
	s_or_b32 s33, s33, s15
	s_branch .LBB261_870
.LBB261_873:
	s_or_b32 exec_lo, exec_lo, s29
	s_and_saveexec_b32 s14, s30
	s_delay_alu instid0(SALU_CYCLE_1)
	s_xor_b32 s14, exec_lo, s14
; %bb.874:
	v_dual_cndmask_b32 v1, v3, v5, s28 :: v_dual_cndmask_b32 v0, v2, v4, s28
	v_dual_cndmask_b32 v5, v5, v3, s28 :: v_dual_cndmask_b32 v4, v4, v2, s28
	s_delay_alu instid0(VALU_DEP_2)
	v_mov_b64_e32 v[2:3], v[0:1]
; %bb.875:
	s_or_b32 exec_lo, exec_lo, s14
.LBB261_876:
	s_delay_alu instid0(SALU_CYCLE_1)
	s_or_b32 exec_lo, exec_lo, s27
	s_and_saveexec_b32 s27, s11
	s_cbranch_execz .LBB261_885
; %bb.877:
	s_and_not1_b32 vcc_lo, exec_lo, s26
	s_cbranch_vccnz .LBB261_885
; %bb.878:
	v_mad_nc_u64_u32 v[0:1], v10, s16, s[18:19]
	v_mad_nc_u64_u32 v[22:23], v16, s16, s[18:19]
	s_mov_b32 s29, 0
	s_mov_b64 s[22:23], s[16:17]
                                        ; implicit-def: $sgpr28
                                        ; implicit-def: $sgpr30
                                        ; implicit-def: $sgpr33
                                        ; implicit-def: $sgpr31
                                        ; implicit-def: $sgpr34
	s_delay_alu instid0(VALU_DEP_2) | instskip(NEXT) | instid1(VALU_DEP_2)
	v_mad_u32 v1, v11, s16, v1
	v_mad_u32 v23, v17, s16, v23
	s_delay_alu instid0(VALU_DEP_2) | instskip(NEXT) | instid1(VALU_DEP_2)
	v_mad_u32 v1, v10, s17, v1
	v_mad_u32 v23, v16, s17, v23
	s_branch .LBB261_880
.LBB261_879:                            ;   in Loop: Header=BB261_880 Depth=1
	s_or_b32 exec_lo, exec_lo, s35
	s_and_b32 s14, s14, s34
	s_delay_alu instid0(SALU_CYCLE_1) | instskip(SKIP_1) | instid1(SALU_CYCLE_1)
	s_or_b32 s14, vcc_lo, s14
	s_and_b32 s15, exec_lo, s33
	s_or_b32 s29, s15, s29
	s_and_not1_b32 s15, s34, exec_lo
	s_and_b32 s14, s14, exec_lo
	s_and_not1_b32 s30, s30, exec_lo
	s_and_b32 s35, s31, exec_lo
	s_or_b32 s34, s15, s14
	s_and_not1_b32 s15, s28, exec_lo
	s_or_b32 s30, s30, s35
	s_or_b32 s28, s15, s14
	s_and_not1_b32 exec_lo, exec_lo, s29
	s_cbranch_execz .LBB261_882
.LBB261_880:                            ; =>This Inner Loop Header: Depth=1
	global_load_u8 v25, v[0:1], off
	global_load_u8 v33, v[22:23], off
	s_or_b32 s31, s31, exec_lo
	s_or_b32 s33, s33, exec_lo
	s_mov_b32 s35, exec_lo
	s_wait_loadcnt 0x1
	v_bfe_i32 v34, v25, 0, 8
	s_wait_loadcnt 0x0
	v_bfe_i32 v35, v33, 0, 8
	v_and_b32_e32 v25, 0xff, v25
	v_and_b32_e32 v33, 0xff, v33
	s_delay_alu instid0(VALU_DEP_3) | instskip(SKIP_1) | instid1(VALU_DEP_3)
	v_cmp_le_i16_e64 s14, v34, v35
	v_cmp_lt_i16_e32 vcc_lo, v34, v35
	v_cmpx_eq_u16_e64 v25, v33
	s_cbranch_execz .LBB261_879
; %bb.881:                              ;   in Loop: Header=BB261_880 Depth=1
	s_add_nc_u64 s[22:23], s[22:23], -1
	v_add_nc_u64_e32 v[0:1], 1, v[0:1]
	s_cmp_eq_u64 s[22:23], 0
	v_add_nc_u64_e32 v[22:23], 1, v[22:23]
	s_cselect_b32 s15, -1, 0
	s_and_not1_b32 s33, s33, exec_lo
	s_and_b32 s15, s15, exec_lo
	s_and_not1_b32 s31, s31, exec_lo
	s_or_b32 s33, s33, s15
	s_branch .LBB261_879
.LBB261_882:
	s_or_b32 exec_lo, exec_lo, s29
	s_and_saveexec_b32 s14, s30
	s_delay_alu instid0(SALU_CYCLE_1)
	s_xor_b32 s14, exec_lo, s14
; %bb.883:
	v_dual_cndmask_b32 v1, v17, v11, s28 :: v_dual_cndmask_b32 v0, v16, v10, s28
	v_dual_cndmask_b32 v11, v11, v17, s28 :: v_dual_cndmask_b32 v10, v10, v16, s28
	s_delay_alu instid0(VALU_DEP_2)
	v_mov_b64_e32 v[16:17], v[0:1]
; %bb.884:
	s_or_b32 exec_lo, exec_lo, s14
.LBB261_885:
	s_delay_alu instid0(SALU_CYCLE_1)
	s_or_b32 exec_lo, exec_lo, s27
	s_and_saveexec_b32 s27, s12
	s_cbranch_execz .LBB261_894
; %bb.886:
	s_and_not1_b32 vcc_lo, exec_lo, s26
	s_cbranch_vccnz .LBB261_894
; %bb.887:
	v_mad_nc_u64_u32 v[0:1], v6, s16, s[18:19]
	v_mad_nc_u64_u32 v[22:23], v12, s16, s[18:19]
	s_mov_b32 s29, 0
	s_mov_b64 s[22:23], s[16:17]
                                        ; implicit-def: $sgpr28
                                        ; implicit-def: $sgpr30
                                        ; implicit-def: $sgpr33
                                        ; implicit-def: $sgpr31
                                        ; implicit-def: $sgpr34
	s_delay_alu instid0(VALU_DEP_2) | instskip(NEXT) | instid1(VALU_DEP_2)
	v_mad_u32 v1, v7, s16, v1
	v_mad_u32 v23, v13, s16, v23
	s_delay_alu instid0(VALU_DEP_2) | instskip(NEXT) | instid1(VALU_DEP_2)
	v_mad_u32 v1, v6, s17, v1
	v_mad_u32 v23, v12, s17, v23
	s_branch .LBB261_889
.LBB261_888:                            ;   in Loop: Header=BB261_889 Depth=1
	s_or_b32 exec_lo, exec_lo, s35
	s_and_b32 s14, s14, s34
	s_delay_alu instid0(SALU_CYCLE_1) | instskip(SKIP_1) | instid1(SALU_CYCLE_1)
	s_or_b32 s14, vcc_lo, s14
	s_and_b32 s15, exec_lo, s33
	s_or_b32 s29, s15, s29
	s_and_not1_b32 s15, s34, exec_lo
	s_and_b32 s14, s14, exec_lo
	s_and_not1_b32 s30, s30, exec_lo
	s_and_b32 s35, s31, exec_lo
	s_or_b32 s34, s15, s14
	s_and_not1_b32 s15, s28, exec_lo
	s_or_b32 s30, s30, s35
	s_or_b32 s28, s15, s14
	s_and_not1_b32 exec_lo, exec_lo, s29
	s_cbranch_execz .LBB261_891
.LBB261_889:                            ; =>This Inner Loop Header: Depth=1
	global_load_u8 v25, v[0:1], off
	global_load_u8 v33, v[22:23], off
	s_or_b32 s31, s31, exec_lo
	s_or_b32 s33, s33, exec_lo
	s_mov_b32 s35, exec_lo
	s_wait_loadcnt 0x1
	v_bfe_i32 v34, v25, 0, 8
	s_wait_loadcnt 0x0
	v_bfe_i32 v35, v33, 0, 8
	v_and_b32_e32 v25, 0xff, v25
	v_and_b32_e32 v33, 0xff, v33
	s_delay_alu instid0(VALU_DEP_3) | instskip(SKIP_1) | instid1(VALU_DEP_3)
	v_cmp_le_i16_e64 s14, v34, v35
	v_cmp_lt_i16_e32 vcc_lo, v34, v35
	v_cmpx_eq_u16_e64 v25, v33
	s_cbranch_execz .LBB261_888
; %bb.890:                              ;   in Loop: Header=BB261_889 Depth=1
	s_add_nc_u64 s[22:23], s[22:23], -1
	v_add_nc_u64_e32 v[0:1], 1, v[0:1]
	s_cmp_eq_u64 s[22:23], 0
	v_add_nc_u64_e32 v[22:23], 1, v[22:23]
	s_cselect_b32 s15, -1, 0
	s_and_not1_b32 s33, s33, exec_lo
	s_and_b32 s15, s15, exec_lo
	s_and_not1_b32 s31, s31, exec_lo
	s_or_b32 s33, s33, s15
	s_branch .LBB261_888
.LBB261_891:
	s_or_b32 exec_lo, exec_lo, s29
	s_and_saveexec_b32 s14, s30
	s_delay_alu instid0(SALU_CYCLE_1)
	s_xor_b32 s14, exec_lo, s14
; %bb.892:
	v_dual_cndmask_b32 v1, v13, v7, s28 :: v_dual_cndmask_b32 v0, v12, v6, s28
	v_dual_cndmask_b32 v7, v7, v13, s28 :: v_dual_cndmask_b32 v6, v6, v12, s28
	s_delay_alu instid0(VALU_DEP_2)
	v_mov_b64_e32 v[12:13], v[0:1]
; %bb.893:
	s_or_b32 exec_lo, exec_lo, s14
.LBB261_894:
	s_delay_alu instid0(SALU_CYCLE_1)
	s_or_b32 exec_lo, exec_lo, s27
	s_and_saveexec_b32 s27, s13
	s_cbranch_execz .LBB261_903
; %bb.895:
	s_and_not1_b32 vcc_lo, exec_lo, s26
	s_cbranch_vccnz .LBB261_903
; %bb.896:
	v_mad_nc_u64_u32 v[0:1], v2, s16, s[18:19]
	v_mad_nc_u64_u32 v[22:23], v8, s16, s[18:19]
	s_mov_b32 s29, 0
	s_mov_b64 s[22:23], s[16:17]
                                        ; implicit-def: $sgpr28
                                        ; implicit-def: $sgpr30
                                        ; implicit-def: $sgpr33
                                        ; implicit-def: $sgpr31
                                        ; implicit-def: $sgpr34
	s_delay_alu instid0(VALU_DEP_2) | instskip(NEXT) | instid1(VALU_DEP_2)
	v_mad_u32 v1, v3, s16, v1
	v_mad_u32 v23, v9, s16, v23
	s_delay_alu instid0(VALU_DEP_2) | instskip(NEXT) | instid1(VALU_DEP_2)
	v_mad_u32 v1, v2, s17, v1
	v_mad_u32 v23, v8, s17, v23
	s_branch .LBB261_898
.LBB261_897:                            ;   in Loop: Header=BB261_898 Depth=1
	s_or_b32 exec_lo, exec_lo, s35
	s_and_b32 s14, s14, s34
	s_delay_alu instid0(SALU_CYCLE_1) | instskip(SKIP_1) | instid1(SALU_CYCLE_1)
	s_or_b32 s14, vcc_lo, s14
	s_and_b32 s15, exec_lo, s33
	s_or_b32 s29, s15, s29
	s_and_not1_b32 s15, s34, exec_lo
	s_and_b32 s14, s14, exec_lo
	s_and_not1_b32 s30, s30, exec_lo
	s_and_b32 s35, s31, exec_lo
	s_or_b32 s34, s15, s14
	s_and_not1_b32 s15, s28, exec_lo
	s_or_b32 s30, s30, s35
	s_or_b32 s28, s15, s14
	s_and_not1_b32 exec_lo, exec_lo, s29
	s_cbranch_execz .LBB261_900
.LBB261_898:                            ; =>This Inner Loop Header: Depth=1
	global_load_u8 v25, v[0:1], off
	global_load_u8 v33, v[22:23], off
	s_or_b32 s31, s31, exec_lo
	s_or_b32 s33, s33, exec_lo
	s_mov_b32 s35, exec_lo
	s_wait_loadcnt 0x1
	v_bfe_i32 v34, v25, 0, 8
	s_wait_loadcnt 0x0
	v_bfe_i32 v35, v33, 0, 8
	v_and_b32_e32 v25, 0xff, v25
	v_and_b32_e32 v33, 0xff, v33
	s_delay_alu instid0(VALU_DEP_3) | instskip(SKIP_1) | instid1(VALU_DEP_3)
	v_cmp_le_i16_e64 s14, v34, v35
	v_cmp_lt_i16_e32 vcc_lo, v34, v35
	v_cmpx_eq_u16_e64 v25, v33
	s_cbranch_execz .LBB261_897
; %bb.899:                              ;   in Loop: Header=BB261_898 Depth=1
	s_add_nc_u64 s[22:23], s[22:23], -1
	v_add_nc_u64_e32 v[0:1], 1, v[0:1]
	s_cmp_eq_u64 s[22:23], 0
	v_add_nc_u64_e32 v[22:23], 1, v[22:23]
	s_cselect_b32 s15, -1, 0
	s_and_not1_b32 s33, s33, exec_lo
	s_and_b32 s15, s15, exec_lo
	s_and_not1_b32 s31, s31, exec_lo
	s_or_b32 s33, s33, s15
	s_branch .LBB261_897
.LBB261_900:
	s_or_b32 exec_lo, exec_lo, s29
	s_and_saveexec_b32 s14, s30
	s_delay_alu instid0(SALU_CYCLE_1)
	s_xor_b32 s14, exec_lo, s14
; %bb.901:
	v_dual_cndmask_b32 v1, v9, v3, s28 :: v_dual_cndmask_b32 v0, v8, v2, s28
	v_dual_cndmask_b32 v3, v3, v9, s28 :: v_dual_cndmask_b32 v2, v2, v8, s28
	s_delay_alu instid0(VALU_DEP_2)
	v_mov_b64_e32 v[8:9], v[0:1]
; %bb.902:
	s_or_b32 exec_lo, exec_lo, s14
.LBB261_903:
	s_delay_alu instid0(SALU_CYCLE_1)
	s_or_b32 exec_lo, exec_lo, s27
	s_and_saveexec_b32 s15, s7
	s_cbranch_execz .LBB261_912
; %bb.904:
	s_and_not1_b32 vcc_lo, exec_lo, s26
	s_cbranch_vccnz .LBB261_912
; %bb.905:
	v_mad_nc_u64_u32 v[0:1], v16, s16, s[18:19]
	v_mad_nc_u64_u32 v[22:23], v14, s16, s[18:19]
	s_mov_b32 s28, 0
	s_mov_b64 s[22:23], s[16:17]
                                        ; implicit-def: $sgpr27
                                        ; implicit-def: $sgpr29
                                        ; implicit-def: $sgpr31
                                        ; implicit-def: $sgpr30
                                        ; implicit-def: $sgpr33
	s_delay_alu instid0(VALU_DEP_2) | instskip(NEXT) | instid1(VALU_DEP_2)
	v_mad_u32 v1, v17, s16, v1
	v_mad_u32 v23, v15, s16, v23
	s_delay_alu instid0(VALU_DEP_2) | instskip(NEXT) | instid1(VALU_DEP_2)
	v_mad_u32 v1, v16, s17, v1
	v_mad_u32 v23, v14, s17, v23
	s_branch .LBB261_907
.LBB261_906:                            ;   in Loop: Header=BB261_907 Depth=1
	s_or_b32 exec_lo, exec_lo, s34
	s_and_b32 s7, s7, s33
	s_delay_alu instid0(SALU_CYCLE_1) | instskip(SKIP_1) | instid1(SALU_CYCLE_1)
	s_or_b32 s7, vcc_lo, s7
	s_and_b32 s14, exec_lo, s31
	s_or_b32 s28, s14, s28
	s_and_not1_b32 s14, s33, exec_lo
	s_and_b32 s7, s7, exec_lo
	s_and_not1_b32 s29, s29, exec_lo
	s_and_b32 s34, s30, exec_lo
	s_or_b32 s33, s14, s7
	s_and_not1_b32 s14, s27, exec_lo
	s_or_b32 s29, s29, s34
	s_or_b32 s27, s14, s7
	s_and_not1_b32 exec_lo, exec_lo, s28
	s_cbranch_execz .LBB261_909
.LBB261_907:                            ; =>This Inner Loop Header: Depth=1
	global_load_u8 v25, v[0:1], off
	global_load_u8 v33, v[22:23], off
	s_or_b32 s30, s30, exec_lo
	s_or_b32 s31, s31, exec_lo
	s_mov_b32 s34, exec_lo
	s_wait_loadcnt 0x1
	v_bfe_i32 v34, v25, 0, 8
	s_wait_loadcnt 0x0
	v_bfe_i32 v35, v33, 0, 8
	v_and_b32_e32 v25, 0xff, v25
	v_and_b32_e32 v33, 0xff, v33
	s_delay_alu instid0(VALU_DEP_3) | instskip(SKIP_1) | instid1(VALU_DEP_3)
	v_cmp_le_i16_e64 s7, v34, v35
	v_cmp_lt_i16_e32 vcc_lo, v34, v35
	v_cmpx_eq_u16_e64 v25, v33
	s_cbranch_execz .LBB261_906
; %bb.908:                              ;   in Loop: Header=BB261_907 Depth=1
	s_add_nc_u64 s[22:23], s[22:23], -1
	v_add_nc_u64_e32 v[0:1], 1, v[0:1]
	s_cmp_eq_u64 s[22:23], 0
	v_add_nc_u64_e32 v[22:23], 1, v[22:23]
	s_cselect_b32 s14, -1, 0
	s_and_not1_b32 s31, s31, exec_lo
	s_and_b32 s14, s14, exec_lo
	s_and_not1_b32 s30, s30, exec_lo
	s_or_b32 s31, s31, s14
	s_branch .LBB261_906
.LBB261_909:
	s_or_b32 exec_lo, exec_lo, s28
	s_and_saveexec_b32 s7, s29
	s_delay_alu instid0(SALU_CYCLE_1)
	s_xor_b32 s7, exec_lo, s7
; %bb.910:
	v_dual_cndmask_b32 v1, v17, v15, s27 :: v_dual_cndmask_b32 v0, v16, v14, s27
	v_dual_cndmask_b32 v15, v15, v17, s27 :: v_dual_cndmask_b32 v14, v14, v16, s27
	s_delay_alu instid0(VALU_DEP_2)
	v_mov_b64_e32 v[16:17], v[0:1]
; %bb.911:
	s_or_b32 exec_lo, exec_lo, s7
.LBB261_912:
	s_delay_alu instid0(SALU_CYCLE_1)
	s_or_b32 exec_lo, exec_lo, s15
	s_and_saveexec_b32 s22, s8
	s_cbranch_execz .LBB261_921
; %bb.913:
	s_and_not1_b32 vcc_lo, exec_lo, s26
	s_cbranch_vccnz .LBB261_921
; %bb.914:
	v_mad_nc_u64_u32 v[0:1], v12, s16, s[18:19]
	v_mad_nc_u64_u32 v[22:23], v10, s16, s[18:19]
	s_mov_b32 s27, 0
	s_mov_b64 s[14:15], s[16:17]
                                        ; implicit-def: $sgpr23
                                        ; implicit-def: $sgpr28
                                        ; implicit-def: $sgpr30
                                        ; implicit-def: $sgpr29
                                        ; implicit-def: $sgpr31
	s_delay_alu instid0(VALU_DEP_2) | instskip(NEXT) | instid1(VALU_DEP_2)
	v_mad_u32 v1, v13, s16, v1
	v_mad_u32 v23, v11, s16, v23
	s_delay_alu instid0(VALU_DEP_2) | instskip(NEXT) | instid1(VALU_DEP_2)
	v_mad_u32 v1, v12, s17, v1
	v_mad_u32 v23, v10, s17, v23
	s_branch .LBB261_916
.LBB261_915:                            ;   in Loop: Header=BB261_916 Depth=1
	s_or_b32 exec_lo, exec_lo, s33
	s_and_b32 s7, s7, s31
	s_delay_alu instid0(SALU_CYCLE_1) | instskip(SKIP_1) | instid1(SALU_CYCLE_1)
	s_or_b32 s7, vcc_lo, s7
	s_and_b32 s8, exec_lo, s30
	s_or_b32 s27, s8, s27
	s_and_not1_b32 s8, s31, exec_lo
	s_and_b32 s7, s7, exec_lo
	s_and_not1_b32 s28, s28, exec_lo
	s_and_b32 s33, s29, exec_lo
	s_or_b32 s31, s8, s7
	s_and_not1_b32 s8, s23, exec_lo
	s_or_b32 s28, s28, s33
	s_or_b32 s23, s8, s7
	s_and_not1_b32 exec_lo, exec_lo, s27
	s_cbranch_execz .LBB261_918
.LBB261_916:                            ; =>This Inner Loop Header: Depth=1
	global_load_u8 v25, v[0:1], off
	global_load_u8 v33, v[22:23], off
	s_or_b32 s29, s29, exec_lo
	s_or_b32 s30, s30, exec_lo
	s_mov_b32 s33, exec_lo
	s_wait_loadcnt 0x1
	v_bfe_i32 v34, v25, 0, 8
	s_wait_loadcnt 0x0
	v_bfe_i32 v35, v33, 0, 8
	v_and_b32_e32 v25, 0xff, v25
	v_and_b32_e32 v33, 0xff, v33
	s_delay_alu instid0(VALU_DEP_3) | instskip(SKIP_1) | instid1(VALU_DEP_3)
	v_cmp_le_i16_e64 s7, v34, v35
	v_cmp_lt_i16_e32 vcc_lo, v34, v35
	v_cmpx_eq_u16_e64 v25, v33
	s_cbranch_execz .LBB261_915
; %bb.917:                              ;   in Loop: Header=BB261_916 Depth=1
	s_add_nc_u64 s[14:15], s[14:15], -1
	v_add_nc_u64_e32 v[0:1], 1, v[0:1]
	s_cmp_eq_u64 s[14:15], 0
	v_add_nc_u64_e32 v[22:23], 1, v[22:23]
	s_cselect_b32 s8, -1, 0
	s_and_not1_b32 s30, s30, exec_lo
	s_and_b32 s8, s8, exec_lo
	s_and_not1_b32 s29, s29, exec_lo
	s_or_b32 s30, s30, s8
	s_branch .LBB261_915
.LBB261_918:
	s_or_b32 exec_lo, exec_lo, s27
	s_and_saveexec_b32 s7, s28
	s_delay_alu instid0(SALU_CYCLE_1)
	s_xor_b32 s7, exec_lo, s7
; %bb.919:
	v_dual_cndmask_b32 v1, v11, v13, s23 :: v_dual_cndmask_b32 v0, v10, v12, s23
	v_dual_cndmask_b32 v13, v13, v11, s23 :: v_dual_cndmask_b32 v12, v12, v10, s23
	s_delay_alu instid0(VALU_DEP_2)
	v_mov_b64_e32 v[10:11], v[0:1]
; %bb.920:
	s_or_b32 exec_lo, exec_lo, s7
.LBB261_921:
	s_delay_alu instid0(SALU_CYCLE_1)
	s_or_b32 exec_lo, exec_lo, s22
	s_and_saveexec_b32 s22, s9
	s_cbranch_execz .LBB261_930
; %bb.922:
	s_and_not1_b32 vcc_lo, exec_lo, s26
	s_cbranch_vccnz .LBB261_930
; %bb.923:
	v_mad_nc_u64_u32 v[0:1], v8, s16, s[18:19]
	v_mad_nc_u64_u32 v[22:23], v6, s16, s[18:19]
	s_mov_b32 s23, 0
	s_mov_b64 s[14:15], s[16:17]
                                        ; implicit-def: $sgpr9
                                        ; implicit-def: $sgpr27
                                        ; implicit-def: $sgpr29
                                        ; implicit-def: $sgpr28
                                        ; implicit-def: $sgpr30
	s_delay_alu instid0(VALU_DEP_2) | instskip(NEXT) | instid1(VALU_DEP_2)
	v_mad_u32 v1, v9, s16, v1
	v_mad_u32 v23, v7, s16, v23
	s_delay_alu instid0(VALU_DEP_2) | instskip(NEXT) | instid1(VALU_DEP_2)
	v_mad_u32 v1, v8, s17, v1
	v_mad_u32 v23, v6, s17, v23
	s_branch .LBB261_925
.LBB261_924:                            ;   in Loop: Header=BB261_925 Depth=1
	s_or_b32 exec_lo, exec_lo, s31
	s_and_b32 s7, s7, s30
	s_delay_alu instid0(SALU_CYCLE_1) | instskip(SKIP_1) | instid1(SALU_CYCLE_1)
	s_or_b32 s7, vcc_lo, s7
	s_and_b32 s8, exec_lo, s29
	s_or_b32 s23, s8, s23
	s_and_not1_b32 s8, s30, exec_lo
	s_and_b32 s7, s7, exec_lo
	s_and_not1_b32 s27, s27, exec_lo
	s_and_b32 s31, s28, exec_lo
	s_or_b32 s30, s8, s7
	s_and_not1_b32 s8, s9, exec_lo
	s_or_b32 s27, s27, s31
	s_or_b32 s9, s8, s7
	s_and_not1_b32 exec_lo, exec_lo, s23
	s_cbranch_execz .LBB261_927
.LBB261_925:                            ; =>This Inner Loop Header: Depth=1
	global_load_u8 v25, v[0:1], off
	global_load_u8 v33, v[22:23], off
	s_or_b32 s28, s28, exec_lo
	s_or_b32 s29, s29, exec_lo
	s_mov_b32 s31, exec_lo
	s_wait_loadcnt 0x1
	v_bfe_i32 v34, v25, 0, 8
	s_wait_loadcnt 0x0
	v_bfe_i32 v35, v33, 0, 8
	v_and_b32_e32 v25, 0xff, v25
	v_and_b32_e32 v33, 0xff, v33
	s_delay_alu instid0(VALU_DEP_3) | instskip(SKIP_1) | instid1(VALU_DEP_3)
	v_cmp_le_i16_e64 s7, v34, v35
	v_cmp_lt_i16_e32 vcc_lo, v34, v35
	v_cmpx_eq_u16_e64 v25, v33
	s_cbranch_execz .LBB261_924
; %bb.926:                              ;   in Loop: Header=BB261_925 Depth=1
	s_add_nc_u64 s[14:15], s[14:15], -1
	v_add_nc_u64_e32 v[0:1], 1, v[0:1]
	s_cmp_eq_u64 s[14:15], 0
	v_add_nc_u64_e32 v[22:23], 1, v[22:23]
	s_cselect_b32 s8, -1, 0
	s_and_not1_b32 s29, s29, exec_lo
	s_and_b32 s8, s8, exec_lo
	s_and_not1_b32 s28, s28, exec_lo
	s_or_b32 s29, s29, s8
	s_branch .LBB261_924
.LBB261_927:
	s_or_b32 exec_lo, exec_lo, s23
	s_and_saveexec_b32 s7, s27
	s_delay_alu instid0(SALU_CYCLE_1)
	s_xor_b32 s7, exec_lo, s7
; %bb.928:
	v_dual_cndmask_b32 v1, v7, v9, s9 :: v_dual_cndmask_b32 v0, v6, v8, s9
	v_dual_cndmask_b32 v9, v9, v7, s9 :: v_dual_cndmask_b32 v8, v8, v6, s9
	s_delay_alu instid0(VALU_DEP_2)
	v_mov_b64_e32 v[6:7], v[0:1]
; %bb.929:
	s_or_b32 exec_lo, exec_lo, s7
.LBB261_930:
	s_delay_alu instid0(SALU_CYCLE_1)
	s_or_b32 exec_lo, exec_lo, s22
	s_and_saveexec_b32 s9, s10
	s_cbranch_execz .LBB261_939
; %bb.931:
	s_and_not1_b32 vcc_lo, exec_lo, s26
	s_cbranch_vccnz .LBB261_939
; %bb.932:
	v_mad_nc_u64_u32 v[0:1], v4, s16, s[18:19]
	v_mad_nc_u64_u32 v[22:23], v2, s16, s[18:19]
	s_mov_b32 s22, 0
	s_mov_b64 s[14:15], s[16:17]
                                        ; implicit-def: $sgpr10
                                        ; implicit-def: $sgpr23
                                        ; implicit-def: $sgpr28
                                        ; implicit-def: $sgpr27
                                        ; implicit-def: $sgpr29
	s_delay_alu instid0(VALU_DEP_2) | instskip(NEXT) | instid1(VALU_DEP_2)
	v_mad_u32 v1, v5, s16, v1
	v_mad_u32 v23, v3, s16, v23
	s_delay_alu instid0(VALU_DEP_2) | instskip(NEXT) | instid1(VALU_DEP_2)
	v_mad_u32 v1, v4, s17, v1
	v_mad_u32 v23, v2, s17, v23
	s_branch .LBB261_934
.LBB261_933:                            ;   in Loop: Header=BB261_934 Depth=1
	s_or_b32 exec_lo, exec_lo, s30
	s_and_b32 s7, s7, s29
	s_delay_alu instid0(SALU_CYCLE_1) | instskip(SKIP_1) | instid1(SALU_CYCLE_1)
	s_or_b32 s7, vcc_lo, s7
	s_and_b32 s8, exec_lo, s28
	s_or_b32 s22, s8, s22
	s_and_not1_b32 s8, s29, exec_lo
	s_and_b32 s7, s7, exec_lo
	s_and_not1_b32 s23, s23, exec_lo
	s_and_b32 s30, s27, exec_lo
	s_or_b32 s29, s8, s7
	s_and_not1_b32 s8, s10, exec_lo
	s_or_b32 s23, s23, s30
	s_or_b32 s10, s8, s7
	s_and_not1_b32 exec_lo, exec_lo, s22
	s_cbranch_execz .LBB261_936
.LBB261_934:                            ; =>This Inner Loop Header: Depth=1
	global_load_u8 v25, v[0:1], off
	global_load_u8 v33, v[22:23], off
	s_or_b32 s27, s27, exec_lo
	s_or_b32 s28, s28, exec_lo
	s_mov_b32 s30, exec_lo
	s_wait_loadcnt 0x1
	v_bfe_i32 v34, v25, 0, 8
	s_wait_loadcnt 0x0
	v_bfe_i32 v35, v33, 0, 8
	v_and_b32_e32 v25, 0xff, v25
	v_and_b32_e32 v33, 0xff, v33
	s_delay_alu instid0(VALU_DEP_3) | instskip(SKIP_1) | instid1(VALU_DEP_3)
	v_cmp_le_i16_e64 s7, v34, v35
	v_cmp_lt_i16_e32 vcc_lo, v34, v35
	v_cmpx_eq_u16_e64 v25, v33
	s_cbranch_execz .LBB261_933
; %bb.935:                              ;   in Loop: Header=BB261_934 Depth=1
	s_add_nc_u64 s[14:15], s[14:15], -1
	v_add_nc_u64_e32 v[0:1], 1, v[0:1]
	s_cmp_eq_u64 s[14:15], 0
	v_add_nc_u64_e32 v[22:23], 1, v[22:23]
	s_cselect_b32 s8, -1, 0
	s_and_not1_b32 s28, s28, exec_lo
	s_and_b32 s8, s8, exec_lo
	s_and_not1_b32 s27, s27, exec_lo
	s_or_b32 s28, s28, s8
	s_branch .LBB261_933
.LBB261_936:
	s_or_b32 exec_lo, exec_lo, s22
	s_and_saveexec_b32 s7, s23
	s_delay_alu instid0(SALU_CYCLE_1)
	s_xor_b32 s7, exec_lo, s7
; %bb.937:
	v_dual_cndmask_b32 v1, v3, v5, s10 :: v_dual_cndmask_b32 v0, v2, v4, s10
	v_dual_cndmask_b32 v5, v5, v3, s10 :: v_dual_cndmask_b32 v4, v4, v2, s10
	s_delay_alu instid0(VALU_DEP_2)
	v_mov_b64_e32 v[2:3], v[0:1]
; %bb.938:
	s_or_b32 exec_lo, exec_lo, s7
.LBB261_939:
	s_delay_alu instid0(SALU_CYCLE_1)
	s_or_b32 exec_lo, exec_lo, s9
	s_and_saveexec_b32 s9, s11
	s_cbranch_execz .LBB261_948
; %bb.940:
	s_and_not1_b32 vcc_lo, exec_lo, s26
	s_cbranch_vccnz .LBB261_948
; %bb.941:
	v_mad_nc_u64_u32 v[0:1], v10, s16, s[18:19]
	v_mad_nc_u64_u32 v[22:23], v16, s16, s[18:19]
	s_mov_b32 s15, 0
	s_mov_b64 s[10:11], s[16:17]
                                        ; implicit-def: $sgpr14
                                        ; implicit-def: $sgpr22
                                        ; implicit-def: $sgpr27
                                        ; implicit-def: $sgpr23
                                        ; implicit-def: $sgpr28
	s_delay_alu instid0(VALU_DEP_2) | instskip(NEXT) | instid1(VALU_DEP_2)
	v_mad_u32 v1, v11, s16, v1
	v_mad_u32 v23, v17, s16, v23
	s_delay_alu instid0(VALU_DEP_2) | instskip(NEXT) | instid1(VALU_DEP_2)
	v_mad_u32 v1, v10, s17, v1
	v_mad_u32 v23, v16, s17, v23
	s_branch .LBB261_943
.LBB261_942:                            ;   in Loop: Header=BB261_943 Depth=1
	s_or_b32 exec_lo, exec_lo, s29
	s_and_b32 s7, s7, s28
	s_delay_alu instid0(SALU_CYCLE_1) | instskip(SKIP_1) | instid1(SALU_CYCLE_1)
	s_or_b32 s7, vcc_lo, s7
	s_and_b32 s8, exec_lo, s27
	s_or_b32 s15, s8, s15
	s_and_not1_b32 s8, s28, exec_lo
	s_and_b32 s7, s7, exec_lo
	s_and_not1_b32 s22, s22, exec_lo
	s_and_b32 s29, s23, exec_lo
	s_or_b32 s28, s8, s7
	s_and_not1_b32 s8, s14, exec_lo
	s_or_b32 s22, s22, s29
	s_or_b32 s14, s8, s7
	s_and_not1_b32 exec_lo, exec_lo, s15
	s_cbranch_execz .LBB261_945
.LBB261_943:                            ; =>This Inner Loop Header: Depth=1
	global_load_u8 v25, v[0:1], off
	global_load_u8 v33, v[22:23], off
	s_or_b32 s23, s23, exec_lo
	s_or_b32 s27, s27, exec_lo
	s_mov_b32 s29, exec_lo
	s_wait_loadcnt 0x1
	v_bfe_i32 v34, v25, 0, 8
	s_wait_loadcnt 0x0
	v_bfe_i32 v35, v33, 0, 8
	v_and_b32_e32 v25, 0xff, v25
	v_and_b32_e32 v33, 0xff, v33
	s_delay_alu instid0(VALU_DEP_3) | instskip(SKIP_1) | instid1(VALU_DEP_3)
	v_cmp_le_i16_e64 s7, v34, v35
	v_cmp_lt_i16_e32 vcc_lo, v34, v35
	v_cmpx_eq_u16_e64 v25, v33
	s_cbranch_execz .LBB261_942
; %bb.944:                              ;   in Loop: Header=BB261_943 Depth=1
	s_add_nc_u64 s[10:11], s[10:11], -1
	v_add_nc_u64_e32 v[0:1], 1, v[0:1]
	s_cmp_eq_u64 s[10:11], 0
	v_add_nc_u64_e32 v[22:23], 1, v[22:23]
	s_cselect_b32 s8, -1, 0
	s_and_not1_b32 s27, s27, exec_lo
	s_and_b32 s8, s8, exec_lo
	s_and_not1_b32 s23, s23, exec_lo
	s_or_b32 s27, s27, s8
	s_branch .LBB261_942
.LBB261_945:
	s_or_b32 exec_lo, exec_lo, s15
	s_and_saveexec_b32 s7, s22
	s_delay_alu instid0(SALU_CYCLE_1)
	s_xor_b32 s7, exec_lo, s7
; %bb.946:
	v_dual_cndmask_b32 v1, v17, v11, s14 :: v_dual_cndmask_b32 v0, v16, v10, s14
	v_dual_cndmask_b32 v11, v11, v17, s14 :: v_dual_cndmask_b32 v10, v10, v16, s14
	s_delay_alu instid0(VALU_DEP_2)
	v_mov_b64_e32 v[16:17], v[0:1]
; %bb.947:
	s_or_b32 exec_lo, exec_lo, s7
.LBB261_948:
	s_delay_alu instid0(SALU_CYCLE_1)
	s_or_b32 exec_lo, exec_lo, s9
	s_and_saveexec_b32 s9, s12
	s_cbranch_execz .LBB261_957
; %bb.949:
	s_and_not1_b32 vcc_lo, exec_lo, s26
	s_cbranch_vccnz .LBB261_957
; %bb.950:
	v_mad_nc_u64_u32 v[0:1], v6, s16, s[18:19]
	v_mad_nc_u64_u32 v[22:23], v12, s16, s[18:19]
	s_mov_b32 s14, 0
	s_mov_b64 s[10:11], s[16:17]
                                        ; implicit-def: $sgpr12
                                        ; implicit-def: $sgpr15
                                        ; implicit-def: $sgpr23
                                        ; implicit-def: $sgpr22
                                        ; implicit-def: $sgpr27
	s_delay_alu instid0(VALU_DEP_2) | instskip(NEXT) | instid1(VALU_DEP_2)
	v_mad_u32 v1, v7, s16, v1
	v_mad_u32 v23, v13, s16, v23
	s_delay_alu instid0(VALU_DEP_2) | instskip(NEXT) | instid1(VALU_DEP_2)
	v_mad_u32 v1, v6, s17, v1
	v_mad_u32 v23, v12, s17, v23
	s_branch .LBB261_952
.LBB261_951:                            ;   in Loop: Header=BB261_952 Depth=1
	s_or_b32 exec_lo, exec_lo, s28
	s_and_b32 s7, s7, s27
	s_delay_alu instid0(SALU_CYCLE_1) | instskip(SKIP_1) | instid1(SALU_CYCLE_1)
	s_or_b32 s7, vcc_lo, s7
	s_and_b32 s8, exec_lo, s23
	s_or_b32 s14, s8, s14
	s_and_not1_b32 s8, s27, exec_lo
	s_and_b32 s7, s7, exec_lo
	s_and_not1_b32 s15, s15, exec_lo
	s_and_b32 s28, s22, exec_lo
	s_or_b32 s27, s8, s7
	s_and_not1_b32 s8, s12, exec_lo
	s_or_b32 s15, s15, s28
	s_or_b32 s12, s8, s7
	s_and_not1_b32 exec_lo, exec_lo, s14
	s_cbranch_execz .LBB261_954
.LBB261_952:                            ; =>This Inner Loop Header: Depth=1
	global_load_u8 v25, v[0:1], off
	global_load_u8 v33, v[22:23], off
	s_or_b32 s22, s22, exec_lo
	s_or_b32 s23, s23, exec_lo
	s_mov_b32 s28, exec_lo
	s_wait_loadcnt 0x1
	v_bfe_i32 v34, v25, 0, 8
	s_wait_loadcnt 0x0
	v_bfe_i32 v35, v33, 0, 8
	v_and_b32_e32 v25, 0xff, v25
	v_and_b32_e32 v33, 0xff, v33
	s_delay_alu instid0(VALU_DEP_3) | instskip(SKIP_1) | instid1(VALU_DEP_3)
	v_cmp_le_i16_e64 s7, v34, v35
	v_cmp_lt_i16_e32 vcc_lo, v34, v35
	v_cmpx_eq_u16_e64 v25, v33
	s_cbranch_execz .LBB261_951
; %bb.953:                              ;   in Loop: Header=BB261_952 Depth=1
	s_add_nc_u64 s[10:11], s[10:11], -1
	v_add_nc_u64_e32 v[0:1], 1, v[0:1]
	s_cmp_eq_u64 s[10:11], 0
	v_add_nc_u64_e32 v[22:23], 1, v[22:23]
	s_cselect_b32 s8, -1, 0
	s_and_not1_b32 s23, s23, exec_lo
	s_and_b32 s8, s8, exec_lo
	s_and_not1_b32 s22, s22, exec_lo
	s_or_b32 s23, s23, s8
	s_branch .LBB261_951
.LBB261_954:
	s_or_b32 exec_lo, exec_lo, s14
	s_and_saveexec_b32 s7, s15
	s_delay_alu instid0(SALU_CYCLE_1)
	s_xor_b32 s7, exec_lo, s7
; %bb.955:
	v_dual_cndmask_b32 v1, v13, v7, s12 :: v_dual_cndmask_b32 v0, v12, v6, s12
	v_dual_cndmask_b32 v7, v7, v13, s12 :: v_dual_cndmask_b32 v6, v6, v12, s12
	s_delay_alu instid0(VALU_DEP_2)
	v_mov_b64_e32 v[12:13], v[0:1]
; %bb.956:
	s_or_b32 exec_lo, exec_lo, s7
.LBB261_957:
	s_delay_alu instid0(SALU_CYCLE_1)
	s_or_b32 exec_lo, exec_lo, s9
	s_and_saveexec_b32 s9, s13
	s_cbranch_execz .LBB261_966
; %bb.958:
	s_and_not1_b32 vcc_lo, exec_lo, s26
	s_cbranch_vccnz .LBB261_966
; %bb.959:
	v_mad_nc_u64_u32 v[0:1], v2, s16, s[18:19]
	v_mad_nc_u64_u32 v[22:23], v8, s16, s[18:19]
	s_mov_b32 s13, 0
	s_mov_b64 s[10:11], s[16:17]
                                        ; implicit-def: $sgpr12
                                        ; implicit-def: $sgpr14
                                        ; implicit-def: $sgpr22
                                        ; implicit-def: $sgpr15
                                        ; implicit-def: $sgpr23
	s_delay_alu instid0(VALU_DEP_2) | instskip(NEXT) | instid1(VALU_DEP_2)
	v_mad_u32 v1, v3, s16, v1
	v_mad_u32 v23, v9, s16, v23
	s_delay_alu instid0(VALU_DEP_2) | instskip(NEXT) | instid1(VALU_DEP_2)
	v_mad_u32 v1, v2, s17, v1
	v_mad_u32 v23, v8, s17, v23
	s_branch .LBB261_961
.LBB261_960:                            ;   in Loop: Header=BB261_961 Depth=1
	s_or_b32 exec_lo, exec_lo, s27
	s_and_b32 s7, s7, s23
	s_delay_alu instid0(SALU_CYCLE_1) | instskip(SKIP_1) | instid1(SALU_CYCLE_1)
	s_or_b32 s7, vcc_lo, s7
	s_and_b32 s8, exec_lo, s22
	s_or_b32 s13, s8, s13
	s_and_not1_b32 s8, s23, exec_lo
	s_and_b32 s7, s7, exec_lo
	s_and_not1_b32 s14, s14, exec_lo
	s_and_b32 s27, s15, exec_lo
	s_or_b32 s23, s8, s7
	s_and_not1_b32 s8, s12, exec_lo
	s_or_b32 s14, s14, s27
	s_or_b32 s12, s8, s7
	s_and_not1_b32 exec_lo, exec_lo, s13
	s_cbranch_execz .LBB261_963
.LBB261_961:                            ; =>This Inner Loop Header: Depth=1
	global_load_u8 v25, v[0:1], off
	global_load_u8 v33, v[22:23], off
	s_or_b32 s15, s15, exec_lo
	s_or_b32 s22, s22, exec_lo
	s_mov_b32 s27, exec_lo
	s_wait_loadcnt 0x1
	v_bfe_i32 v34, v25, 0, 8
	s_wait_loadcnt 0x0
	v_bfe_i32 v35, v33, 0, 8
	v_and_b32_e32 v25, 0xff, v25
	v_and_b32_e32 v33, 0xff, v33
	s_delay_alu instid0(VALU_DEP_3) | instskip(SKIP_1) | instid1(VALU_DEP_3)
	v_cmp_le_i16_e64 s7, v34, v35
	v_cmp_lt_i16_e32 vcc_lo, v34, v35
	v_cmpx_eq_u16_e64 v25, v33
	s_cbranch_execz .LBB261_960
; %bb.962:                              ;   in Loop: Header=BB261_961 Depth=1
	s_add_nc_u64 s[10:11], s[10:11], -1
	v_add_nc_u64_e32 v[0:1], 1, v[0:1]
	s_cmp_eq_u64 s[10:11], 0
	v_add_nc_u64_e32 v[22:23], 1, v[22:23]
	s_cselect_b32 s8, -1, 0
	s_and_not1_b32 s22, s22, exec_lo
	s_and_b32 s8, s8, exec_lo
	s_and_not1_b32 s15, s15, exec_lo
	s_or_b32 s22, s22, s8
	s_branch .LBB261_960
.LBB261_963:
	s_or_b32 exec_lo, exec_lo, s13
	s_and_saveexec_b32 s7, s14
	s_delay_alu instid0(SALU_CYCLE_1)
	s_xor_b32 s7, exec_lo, s7
; %bb.964:
	v_dual_cndmask_b32 v1, v9, v3, s12 :: v_dual_cndmask_b32 v0, v8, v2, s12
	v_dual_cndmask_b32 v3, v3, v9, s12 :: v_dual_cndmask_b32 v2, v2, v8, s12
	s_delay_alu instid0(VALU_DEP_2)
	v_mov_b64_e32 v[8:9], v[0:1]
; %bb.965:
	s_or_b32 exec_lo, exec_lo, s7
.LBB261_966:
	s_delay_alu instid0(SALU_CYCLE_1) | instskip(SKIP_4) | instid1(VALU_DEP_1)
	s_or_b32 exec_lo, exec_lo, s9
	v_mbcnt_lo_u32_b32 v0, -1, 0
	v_and_b32_e32 v1, 0xffffff00, v24
	s_mov_b32 s10, 0
	s_mov_b32 s11, exec_lo
	v_dual_lshlrev_b32 v35, 3, v0 :: v_dual_lshlrev_b32 v33, 3, v1
	v_sub_nc_u32_e64 v34, s25, v1 clamp
	s_delay_alu instid0(VALU_DEP_2) | instskip(SKIP_1) | instid1(VALU_DEP_4)
	v_or_b32_e32 v22, 8, v35
	v_and_b32_e32 v39, 0xf0, v35
	v_lshl_or_b32 v36, v0, 6, v33
	ds_store_b128 v36, v[14:17]
	ds_store_b128 v36, v[10:13] offset:16
	v_min_u32_e32 v24, v34, v22
	v_and_b32_e32 v22, 8, v35
	v_lshl_or_b32 v38, v39, 3, v33
	ds_store_b128 v36, v[6:9] offset:32
	ds_store_b128 v36, v[2:5] offset:48
	v_add_min_u32_e64 v25, v24, 8, v34
	v_min_u32_e32 v40, v34, v22
	v_sub_nc_u32_e32 v22, v24, v39
	; wave barrier
	s_delay_alu instid0(VALU_DEP_3) | instskip(NEXT) | instid1(VALU_DEP_2)
	v_sub_nc_u32_e32 v1, v25, v24
	v_min_u32_e32 v41, v40, v22
	s_delay_alu instid0(VALU_DEP_2) | instskip(NEXT) | instid1(VALU_DEP_1)
	v_sub_nc_u32_e64 v37, v40, v1 clamp
	v_cmpx_lt_u32_e64 v37, v41
	s_cbranch_execz .LBB261_977
; %bb.967:
	v_lshlrev_b32_e32 v0, 3, v24
	v_lshlrev_b32_e32 v1, 3, v40
	s_delay_alu instid0(VALU_DEP_1)
	v_add3_u32 v42, v33, v0, v1
	s_branch .LBB261_970
.LBB261_968:                            ;   in Loop: Header=BB261_970 Depth=1
	s_or_b32 exec_lo, exec_lo, s13
.LBB261_969:                            ;   in Loop: Header=BB261_970 Depth=1
	s_delay_alu instid0(VALU_DEP_1) | instskip(NEXT) | instid1(VALU_DEP_1)
	v_dual_add_nc_u32 v0, 1, v43 :: v_dual_cndmask_b32 v41, v41, v43, s12
	v_cndmask_b32_e64 v37, v0, v37, s12
	s_delay_alu instid0(VALU_DEP_1) | instskip(SKIP_1) | instid1(SALU_CYCLE_1)
	v_cmp_ge_u32_e32 vcc_lo, v37, v41
	s_or_b32 s10, vcc_lo, s10
	s_and_not1_b32 exec_lo, exec_lo, s10
	s_cbranch_execz .LBB261_976
.LBB261_970:                            ; =>This Loop Header: Depth=1
                                        ;     Child Loop BB261_973 Depth 2
	v_add_nc_u32_e32 v0, v41, v37
	s_and_not1_b32 vcc_lo, exec_lo, s26
	s_delay_alu instid0(VALU_DEP_1)
	v_lshrrev_b32_e32 v43, 1, v0
	s_cbranch_vccnz .LBB261_975
; %bb.971:                              ;   in Loop: Header=BB261_970 Depth=1
	s_delay_alu instid0(VALU_DEP_1) | instskip(SKIP_3) | instid1(VALU_DEP_2)
	v_not_b32_e32 v0, v43
	v_lshl_add_u32 v1, v43, 3, v38
	s_mov_b32 s13, 0
	s_mov_b64 s[8:9], s[16:17]
                                        ; implicit-def: $sgpr12
                                        ; implicit-def: $sgpr14
                                        ; implicit-def: $sgpr15
                                        ; implicit-def: $sgpr22
	v_lshl_add_u32 v0, v0, 3, v42
	ds_load_b64 v[44:45], v0
	ds_load_b64 v[46:47], v1
	s_wait_dscnt 0x1
	v_mad_nc_u64_u32 v[0:1], v44, s16, s[18:19]
	s_wait_dscnt 0x0
	v_mad_nc_u64_u32 v[22:23], v46, s16, s[18:19]
	s_delay_alu instid0(VALU_DEP_2) | instskip(NEXT) | instid1(VALU_DEP_2)
	v_mad_u32 v1, v45, s16, v1
	v_mad_u32 v23, v47, s16, v23
	s_delay_alu instid0(VALU_DEP_2) | instskip(NEXT) | instid1(VALU_DEP_2)
	v_mad_u32 v1, v44, s17, v1
	v_mad_u32 v23, v46, s17, v23
	s_branch .LBB261_973
.LBB261_972:                            ;   in Loop: Header=BB261_973 Depth=2
	s_or_b32 exec_lo, exec_lo, s23
	s_delay_alu instid0(SALU_CYCLE_1) | instskip(NEXT) | instid1(SALU_CYCLE_1)
	s_and_b32 s23, exec_lo, s14
	s_or_b32 s13, s23, s13
	s_and_not1_b32 s22, s22, exec_lo
	s_and_b32 s7, s7, exec_lo
	s_and_not1_b32 s12, s12, exec_lo
	s_and_b32 s23, s15, exec_lo
	s_or_b32 s22, s22, s7
	s_or_b32 s12, s12, s23
	s_and_not1_b32 exec_lo, exec_lo, s13
	s_cbranch_execz .LBB261_968
.LBB261_973:                            ;   Parent Loop BB261_970 Depth=1
                                        ; =>  This Inner Loop Header: Depth=2
	global_load_u8 v44, v[0:1], off
	global_load_u8 v45, v[22:23], off
	s_and_not1_b32 s15, s15, exec_lo
	s_or_b32 s14, s14, exec_lo
	s_wait_loadcnt 0x1
	v_bfe_i32 v46, v44, 0, 8
	s_wait_loadcnt 0x0
	v_bfe_i32 v47, v45, 0, 8
	v_and_b32_e32 v44, 0xff, v44
	v_and_b32_e32 v45, 0xff, v45
	s_delay_alu instid0(VALU_DEP_3) | instskip(SKIP_2) | instid1(SALU_CYCLE_1)
	v_cmp_le_i16_e32 vcc_lo, v46, v47
	v_cmp_lt_i16_e64 s7, v46, v47
	s_and_b32 s23, vcc_lo, s22
	s_or_b32 s7, s7, s23
	s_delay_alu instid0(SALU_CYCLE_1) | instskip(NEXT) | instid1(SALU_CYCLE_1)
	s_and_b32 s23, s7, exec_lo
	s_or_b32 s15, s15, s23
	s_mov_b32 s23, exec_lo
	v_cmpx_eq_u16_e64 v44, v45
	s_cbranch_execz .LBB261_972
; %bb.974:                              ;   in Loop: Header=BB261_973 Depth=2
	s_add_nc_u64 s[8:9], s[8:9], -1
	v_add_nc_u64_e32 v[0:1], 1, v[0:1]
	s_cmp_eq_u64 s[8:9], 0
	v_add_nc_u64_e32 v[22:23], 1, v[22:23]
	s_cselect_b32 s22, -1, 0
	s_and_not1_b32 s14, s14, exec_lo
	s_and_b32 s22, s22, exec_lo
	s_and_not1_b32 s15, s15, exec_lo
	s_or_b32 s14, s14, s22
                                        ; implicit-def: $sgpr22
	s_branch .LBB261_972
.LBB261_975:                            ;   in Loop: Header=BB261_970 Depth=1
	s_mov_b32 s12, 0
	s_branch .LBB261_969
.LBB261_976:
	s_or_b32 exec_lo, exec_lo, s10
.LBB261_977:
	s_delay_alu instid0(SALU_CYCLE_1) | instskip(SKIP_1) | instid1(VALU_DEP_1)
	s_or_b32 exec_lo, exec_lo, s11
	v_dual_add_nc_u32 v0, v24, v40 :: v_dual_add_nc_u32 v22, v37, v39
	v_sub_nc_u32_e32 v23, v0, v37
	s_delay_alu instid0(VALU_DEP_2) | instskip(NEXT) | instid1(VALU_DEP_2)
	v_cmp_le_u32_e32 vcc_lo, v22, v24
	v_cmp_le_u32_e64 s7, v23, v25
	s_or_b32 s7, vcc_lo, s7
	s_delay_alu instid0(SALU_CYCLE_1)
	s_and_saveexec_b32 s10, s7
	s_cbranch_execz .LBB261_1068
; %bb.978:
	s_mov_b32 s8, exec_lo
	v_cmp_ge_u32_e32 vcc_lo, v22, v24
                                        ; implicit-def: $vgpr0_vgpr1
	v_cmpx_lt_u32_e64 v22, v24
; %bb.979:
	v_lshl_add_u32 v0, v37, 3, v38
	ds_load_b64 v[0:1], v0
; %bb.980:
	s_or_b32 exec_lo, exec_lo, s8
	v_cmp_ge_u32_e64 s11, v23, v25
	s_mov_b32 s8, exec_lo
                                        ; implicit-def: $vgpr2_vgpr3
	v_cmpx_lt_u32_e64 v23, v25
; %bb.981:
	v_lshl_add_u32 v2, v23, 3, v33
	ds_load_b64 v[2:3], v2
; %bb.982:
	s_or_b32 exec_lo, exec_lo, s8
	s_nor_b32 s7, vcc_lo, s11
	s_delay_alu instid0(SALU_CYCLE_1)
	s_and_saveexec_b32 s12, s7
	s_cbranch_execz .LBB261_991
; %bb.983:
	s_and_not1_b32 vcc_lo, exec_lo, s26
	s_cbranch_vccnz .LBB261_989
; %bb.984:
	s_wait_dscnt 0x0
	v_mad_nc_u64_u32 v[4:5], v2, s16, s[18:19]
	v_mad_nc_u64_u32 v[6:7], v0, s16, s[18:19]
	s_mov_b32 s13, 0
	s_mov_b64 s[8:9], s[16:17]
                                        ; implicit-def: $sgpr14
                                        ; implicit-def: $sgpr15
                                        ; implicit-def: $sgpr22
                                        ; implicit-def: $sgpr23
	s_delay_alu instid0(VALU_DEP_2) | instskip(NEXT) | instid1(VALU_DEP_2)
	v_mad_u32 v5, v3, s16, v5
	v_mad_u32 v7, v1, s16, v7
	s_delay_alu instid0(VALU_DEP_2) | instskip(NEXT) | instid1(VALU_DEP_2)
	v_mad_u32 v5, v2, s17, v5
	v_mad_u32 v7, v0, s17, v7
	s_branch .LBB261_986
.LBB261_985:                            ;   in Loop: Header=BB261_986 Depth=1
	s_or_b32 exec_lo, exec_lo, s27
	s_delay_alu instid0(SALU_CYCLE_1) | instskip(NEXT) | instid1(SALU_CYCLE_1)
	s_and_b32 s27, exec_lo, s15
	s_or_b32 s13, s27, s13
	s_and_not1_b32 s23, s23, exec_lo
	s_and_b32 s7, s7, exec_lo
	s_and_not1_b32 s14, s14, exec_lo
	s_and_b32 s27, s22, exec_lo
	s_or_b32 s23, s23, s7
	s_or_b32 s14, s14, s27
	s_and_not1_b32 exec_lo, exec_lo, s13
	s_cbranch_execz .LBB261_988
.LBB261_986:                            ; =>This Inner Loop Header: Depth=1
	global_load_u8 v8, v[4:5], off
	global_load_u8 v9, v[6:7], off
	s_and_not1_b32 s22, s22, exec_lo
	s_or_b32 s15, s15, exec_lo
	s_wait_loadcnt 0x1
	v_bfe_i32 v10, v8, 0, 8
	s_wait_loadcnt 0x0
	v_bfe_i32 v11, v9, 0, 8
	v_and_b32_e32 v8, 0xff, v8
	v_and_b32_e32 v9, 0xff, v9
	s_delay_alu instid0(VALU_DEP_3) | instskip(SKIP_2) | instid1(SALU_CYCLE_1)
	v_cmp_le_i16_e32 vcc_lo, v10, v11
	v_cmp_lt_i16_e64 s7, v10, v11
	s_and_b32 s27, vcc_lo, s23
	s_or_b32 s7, s7, s27
	s_delay_alu instid0(SALU_CYCLE_1) | instskip(NEXT) | instid1(SALU_CYCLE_1)
	s_and_b32 s27, s7, exec_lo
	s_or_b32 s22, s22, s27
	s_mov_b32 s27, exec_lo
	v_cmpx_eq_u16_e64 v8, v9
	s_cbranch_execz .LBB261_985
; %bb.987:                              ;   in Loop: Header=BB261_986 Depth=1
	s_add_nc_u64 s[8:9], s[8:9], -1
	v_add_nc_u64_e32 v[4:5], 1, v[4:5]
	s_cmp_eq_u64 s[8:9], 0
	v_add_nc_u64_e32 v[6:7], 1, v[6:7]
	s_cselect_b32 s23, -1, 0
	s_and_not1_b32 s15, s15, exec_lo
	s_and_b32 s23, s23, exec_lo
	s_and_not1_b32 s22, s22, exec_lo
	s_or_b32 s15, s15, s23
                                        ; implicit-def: $sgpr23
	s_branch .LBB261_985
.LBB261_988:
	s_or_b32 exec_lo, exec_lo, s13
	s_xor_b32 s7, s14, -1
	s_branch .LBB261_990
.LBB261_989:
	s_mov_b32 s7, -1
.LBB261_990:
	s_and_not1_b32 s8, s11, exec_lo
	s_and_b32 s7, s7, exec_lo
	s_delay_alu instid0(SALU_CYCLE_1)
	s_or_b32 s11, s8, s7
.LBB261_991:
	s_or_b32 exec_lo, exec_lo, s12
	v_dual_cndmask_b32 v4, v23, v22, s11 :: v_dual_cndmask_b32 v5, v25, v24, s11
	s_mov_b32 s13, -1
	s_mov_b32 s12, -1
	s_mov_b32 s14, exec_lo
	s_delay_alu instid0(VALU_DEP_1) | instskip(NEXT) | instid1(VALU_DEP_1)
	v_add_nc_u32_e32 v6, 1, v4
	v_add_min_u32_e64 v4, v5, -1, v6
	s_delay_alu instid0(VALU_DEP_1)
	v_lshl_add_u32 v4, v4, 3, v33
	ds_load_b64 v[4:5], v4
	s_wait_dscnt 0x0
	v_cndmask_b32_e64 v14, v5, v3, s11
	v_dual_cndmask_b32 v8, v6, v23, s11 :: v_dual_cndmask_b32 v15, v4, v2, s11
	v_dual_cndmask_b32 v9, v22, v6, s11 :: v_dual_cndmask_b32 v16, v1, v5, s11
	v_cndmask_b32_e64 v37, v0, v4, s11
	s_delay_alu instid0(VALU_DEP_3)
	v_cmpx_lt_u32_e64 v8, v25
	s_cbranch_execz .LBB261_1002
; %bb.992:
	s_mov_b32 s7, 0
	s_mov_b32 s12, exec_lo
	v_cmpx_lt_u32_e64 v9, v24
	s_cbranch_execz .LBB261_1001
; %bb.993:
	s_and_not1_b32 vcc_lo, exec_lo, s26
	s_cbranch_vccnz .LBB261_999
; %bb.994:
	v_mad_nc_u64_u32 v[4:5], v15, s16, s[18:19]
	v_mad_nc_u64_u32 v[6:7], v37, s16, s[18:19]
	s_mov_b32 s15, 0
	s_mov_b64 s[8:9], s[16:17]
                                        ; implicit-def: $sgpr22
                                        ; implicit-def: $sgpr23
                                        ; implicit-def: $sgpr27
                                        ; implicit-def: $sgpr28
	s_delay_alu instid0(VALU_DEP_2) | instskip(NEXT) | instid1(VALU_DEP_2)
	v_mad_u32 v5, v14, s16, v5
	v_mad_u32 v7, v16, s16, v7
	s_delay_alu instid0(VALU_DEP_2) | instskip(NEXT) | instid1(VALU_DEP_2)
	v_mad_u32 v5, v15, s17, v5
	v_mad_u32 v7, v37, s17, v7
	s_branch .LBB261_996
.LBB261_995:                            ;   in Loop: Header=BB261_996 Depth=1
	s_or_b32 exec_lo, exec_lo, s29
	s_delay_alu instid0(SALU_CYCLE_1) | instskip(NEXT) | instid1(SALU_CYCLE_1)
	s_and_b32 s29, exec_lo, s23
	s_or_b32 s15, s29, s15
	s_and_not1_b32 s28, s28, exec_lo
	s_and_b32 s7, s7, exec_lo
	s_and_not1_b32 s22, s22, exec_lo
	s_and_b32 s29, s27, exec_lo
	s_or_b32 s28, s28, s7
	s_or_b32 s22, s22, s29
	s_and_not1_b32 exec_lo, exec_lo, s15
	s_cbranch_execz .LBB261_998
.LBB261_996:                            ; =>This Inner Loop Header: Depth=1
	global_load_u8 v10, v[4:5], off
	global_load_u8 v11, v[6:7], off
	s_and_not1_b32 s27, s27, exec_lo
	s_or_b32 s23, s23, exec_lo
	s_wait_loadcnt 0x1
	v_bfe_i32 v12, v10, 0, 8
	s_wait_loadcnt 0x0
	v_bfe_i32 v13, v11, 0, 8
	v_and_b32_e32 v10, 0xff, v10
	v_and_b32_e32 v11, 0xff, v11
	s_delay_alu instid0(VALU_DEP_3) | instskip(SKIP_2) | instid1(SALU_CYCLE_1)
	v_cmp_le_i16_e32 vcc_lo, v12, v13
	v_cmp_lt_i16_e64 s7, v12, v13
	s_and_b32 s29, vcc_lo, s28
	s_or_b32 s7, s7, s29
	s_delay_alu instid0(SALU_CYCLE_1) | instskip(NEXT) | instid1(SALU_CYCLE_1)
	s_and_b32 s29, s7, exec_lo
	s_or_b32 s27, s27, s29
	s_mov_b32 s29, exec_lo
	v_cmpx_eq_u16_e64 v10, v11
	s_cbranch_execz .LBB261_995
; %bb.997:                              ;   in Loop: Header=BB261_996 Depth=1
	s_add_nc_u64 s[8:9], s[8:9], -1
	v_add_nc_u64_e32 v[4:5], 1, v[4:5]
	s_cmp_eq_u64 s[8:9], 0
	v_add_nc_u64_e32 v[6:7], 1, v[6:7]
	s_cselect_b32 s28, -1, 0
	s_and_not1_b32 s23, s23, exec_lo
	s_and_b32 s28, s28, exec_lo
	s_and_not1_b32 s27, s27, exec_lo
	s_or_b32 s23, s23, s28
                                        ; implicit-def: $sgpr28
	s_branch .LBB261_995
.LBB261_998:
	s_or_b32 exec_lo, exec_lo, s15
	s_xor_b32 s7, s22, -1
	s_branch .LBB261_1000
.LBB261_999:
	s_mov_b32 s7, -1
.LBB261_1000:
	s_delay_alu instid0(SALU_CYCLE_1)
	s_and_b32 s7, s7, exec_lo
.LBB261_1001:
	s_or_b32 exec_lo, exec_lo, s12
	s_delay_alu instid0(SALU_CYCLE_1)
	s_or_not1_b32 s12, s7, exec_lo
.LBB261_1002:
	s_or_b32 exec_lo, exec_lo, s14
	v_dual_cndmask_b32 v4, v8, v9, s12 :: v_dual_cndmask_b32 v5, v25, v24, s12
	s_mov_b32 s14, exec_lo
	s_delay_alu instid0(VALU_DEP_1) | instskip(NEXT) | instid1(VALU_DEP_1)
	v_add_nc_u32_e32 v6, 1, v4
	v_add_min_u32_e64 v4, v5, -1, v6
	s_delay_alu instid0(VALU_DEP_1)
	v_lshl_add_u32 v4, v4, 3, v33
	ds_load_b64 v[4:5], v4
	s_wait_dscnt 0x0
	v_dual_cndmask_b32 v10, v5, v14, s12 :: v_dual_cndmask_b32 v8, v6, v8, s12
	v_dual_cndmask_b32 v9, v9, v6, s12 :: v_dual_cndmask_b32 v17, v4, v15, s12
	;; [unrolled: 1-line block ×3, first 2 shown]
	s_delay_alu instid0(VALU_DEP_3)
	v_cmpx_lt_u32_e64 v8, v25
	s_cbranch_execz .LBB261_1013
; %bb.1003:
	s_mov_b32 s7, 0
	s_mov_b32 s13, exec_lo
	v_cmpx_lt_u32_e64 v9, v24
	s_cbranch_execz .LBB261_1012
; %bb.1004:
	s_and_not1_b32 vcc_lo, exec_lo, s26
	s_cbranch_vccnz .LBB261_1010
; %bb.1005:
	v_mad_nc_u64_u32 v[4:5], v17, s16, s[18:19]
	v_mad_nc_u64_u32 v[6:7], v38, s16, s[18:19]
	s_mov_b32 s15, 0
	s_mov_b64 s[8:9], s[16:17]
                                        ; implicit-def: $sgpr22
                                        ; implicit-def: $sgpr23
                                        ; implicit-def: $sgpr27
                                        ; implicit-def: $sgpr28
	s_delay_alu instid0(VALU_DEP_2) | instskip(NEXT) | instid1(VALU_DEP_2)
	v_mad_u32 v5, v10, s16, v5
	v_mad_u32 v7, v11, s16, v7
	s_delay_alu instid0(VALU_DEP_2) | instskip(NEXT) | instid1(VALU_DEP_2)
	v_mad_u32 v5, v17, s17, v5
	v_mad_u32 v7, v38, s17, v7
	s_branch .LBB261_1007
.LBB261_1006:                           ;   in Loop: Header=BB261_1007 Depth=1
	s_or_b32 exec_lo, exec_lo, s29
	s_delay_alu instid0(SALU_CYCLE_1) | instskip(NEXT) | instid1(SALU_CYCLE_1)
	s_and_b32 s29, exec_lo, s23
	s_or_b32 s15, s29, s15
	s_and_not1_b32 s28, s28, exec_lo
	s_and_b32 s7, s7, exec_lo
	s_and_not1_b32 s22, s22, exec_lo
	s_and_b32 s29, s27, exec_lo
	s_or_b32 s28, s28, s7
	s_or_b32 s22, s22, s29
	s_and_not1_b32 exec_lo, exec_lo, s15
	s_cbranch_execz .LBB261_1009
.LBB261_1007:                           ; =>This Inner Loop Header: Depth=1
	global_load_u8 v12, v[4:5], off
	global_load_u8 v13, v[6:7], off
	s_and_not1_b32 s27, s27, exec_lo
	s_or_b32 s23, s23, exec_lo
	s_wait_loadcnt 0x1
	v_bfe_i32 v22, v12, 0, 8
	s_wait_loadcnt 0x0
	v_bfe_i32 v23, v13, 0, 8
	v_and_b32_e32 v12, 0xff, v12
	v_and_b32_e32 v13, 0xff, v13
	s_delay_alu instid0(VALU_DEP_3) | instskip(SKIP_2) | instid1(SALU_CYCLE_1)
	v_cmp_le_i16_e32 vcc_lo, v22, v23
	v_cmp_lt_i16_e64 s7, v22, v23
	s_and_b32 s29, vcc_lo, s28
	s_or_b32 s7, s7, s29
	s_delay_alu instid0(SALU_CYCLE_1) | instskip(NEXT) | instid1(SALU_CYCLE_1)
	s_and_b32 s29, s7, exec_lo
	s_or_b32 s27, s27, s29
	s_mov_b32 s29, exec_lo
	v_cmpx_eq_u16_e64 v12, v13
	s_cbranch_execz .LBB261_1006
; %bb.1008:                             ;   in Loop: Header=BB261_1007 Depth=1
	s_add_nc_u64 s[8:9], s[8:9], -1
	v_add_nc_u64_e32 v[4:5], 1, v[4:5]
	s_cmp_eq_u64 s[8:9], 0
	v_add_nc_u64_e32 v[6:7], 1, v[6:7]
	s_cselect_b32 s28, -1, 0
	s_and_not1_b32 s23, s23, exec_lo
	s_and_b32 s28, s28, exec_lo
	s_and_not1_b32 s27, s27, exec_lo
	s_or_b32 s23, s23, s28
                                        ; implicit-def: $sgpr28
	s_branch .LBB261_1006
.LBB261_1009:
	s_or_b32 exec_lo, exec_lo, s15
	s_xor_b32 s7, s22, -1
	s_branch .LBB261_1011
.LBB261_1010:
	s_mov_b32 s7, -1
.LBB261_1011:
	s_delay_alu instid0(SALU_CYCLE_1)
	s_and_b32 s7, s7, exec_lo
.LBB261_1012:
	s_or_b32 exec_lo, exec_lo, s13
	s_delay_alu instid0(SALU_CYCLE_1)
	s_or_not1_b32 s13, s7, exec_lo
.LBB261_1013:
	s_or_b32 exec_lo, exec_lo, s14
	v_dual_cndmask_b32 v4, v8, v9, s13 :: v_dual_cndmask_b32 v5, v25, v24, s13
	s_mov_b32 s15, -1
	s_mov_b32 s14, -1
	s_mov_b32 s22, exec_lo
	s_delay_alu instid0(VALU_DEP_1) | instskip(NEXT) | instid1(VALU_DEP_1)
	v_add_nc_u32_e32 v6, 1, v4
	v_add_min_u32_e64 v4, v5, -1, v6
	s_delay_alu instid0(VALU_DEP_1)
	v_lshl_add_u32 v4, v4, 3, v33
	ds_load_b64 v[4:5], v4
	s_wait_dscnt 0x0
	v_dual_cndmask_b32 v12, v5, v10, s13 :: v_dual_cndmask_b32 v8, v6, v8, s13
	v_dual_cndmask_b32 v9, v9, v6, s13 :: v_dual_cndmask_b32 v39, v4, v17, s13
	;; [unrolled: 1-line block ×3, first 2 shown]
	s_delay_alu instid0(VALU_DEP_3)
	v_cmpx_lt_u32_e64 v8, v25
	s_cbranch_execz .LBB261_1024
; %bb.1014:
	s_mov_b32 s7, 0
	s_mov_b32 s14, exec_lo
	v_cmpx_lt_u32_e64 v9, v24
	s_cbranch_execz .LBB261_1023
; %bb.1015:
	s_and_not1_b32 vcc_lo, exec_lo, s26
	s_cbranch_vccnz .LBB261_1021
; %bb.1016:
	v_mad_nc_u64_u32 v[4:5], v39, s16, s[18:19]
	v_mad_nc_u64_u32 v[6:7], v40, s16, s[18:19]
	s_mov_b32 s23, 0
	s_mov_b64 s[8:9], s[16:17]
                                        ; implicit-def: $sgpr27
                                        ; implicit-def: $sgpr28
                                        ; implicit-def: $sgpr29
                                        ; implicit-def: $sgpr30
	s_delay_alu instid0(VALU_DEP_2) | instskip(NEXT) | instid1(VALU_DEP_2)
	v_mad_u32 v5, v12, s16, v5
	v_mad_u32 v7, v13, s16, v7
	s_delay_alu instid0(VALU_DEP_2) | instskip(NEXT) | instid1(VALU_DEP_2)
	v_mad_u32 v5, v39, s17, v5
	v_mad_u32 v7, v40, s17, v7
	s_branch .LBB261_1018
.LBB261_1017:                           ;   in Loop: Header=BB261_1018 Depth=1
	s_or_b32 exec_lo, exec_lo, s31
	s_delay_alu instid0(SALU_CYCLE_1) | instskip(NEXT) | instid1(SALU_CYCLE_1)
	s_and_b32 s31, exec_lo, s28
	s_or_b32 s23, s31, s23
	s_and_not1_b32 s30, s30, exec_lo
	s_and_b32 s7, s7, exec_lo
	s_and_not1_b32 s27, s27, exec_lo
	s_and_b32 s31, s29, exec_lo
	s_or_b32 s30, s30, s7
	s_or_b32 s27, s27, s31
	s_and_not1_b32 exec_lo, exec_lo, s23
	s_cbranch_execz .LBB261_1020
.LBB261_1018:                           ; =>This Inner Loop Header: Depth=1
	global_load_u8 v22, v[4:5], off
	global_load_u8 v23, v[6:7], off
	s_and_not1_b32 s29, s29, exec_lo
	s_or_b32 s28, s28, exec_lo
	s_wait_loadcnt 0x1
	v_bfe_i32 v41, v22, 0, 8
	s_wait_loadcnt 0x0
	v_bfe_i32 v42, v23, 0, 8
	v_and_b32_e32 v22, 0xff, v22
	v_and_b32_e32 v23, 0xff, v23
	s_delay_alu instid0(VALU_DEP_3) | instskip(SKIP_2) | instid1(SALU_CYCLE_1)
	v_cmp_le_i16_e32 vcc_lo, v41, v42
	v_cmp_lt_i16_e64 s7, v41, v42
	s_and_b32 s31, vcc_lo, s30
	s_or_b32 s7, s7, s31
	s_delay_alu instid0(SALU_CYCLE_1) | instskip(NEXT) | instid1(SALU_CYCLE_1)
	s_and_b32 s31, s7, exec_lo
	s_or_b32 s29, s29, s31
	s_mov_b32 s31, exec_lo
	v_cmpx_eq_u16_e64 v22, v23
	s_cbranch_execz .LBB261_1017
; %bb.1019:                             ;   in Loop: Header=BB261_1018 Depth=1
	s_add_nc_u64 s[8:9], s[8:9], -1
	v_add_nc_u64_e32 v[4:5], 1, v[4:5]
	s_cmp_eq_u64 s[8:9], 0
	v_add_nc_u64_e32 v[6:7], 1, v[6:7]
	s_cselect_b32 s30, -1, 0
	s_and_not1_b32 s28, s28, exec_lo
	s_and_b32 s30, s30, exec_lo
	s_and_not1_b32 s29, s29, exec_lo
	s_or_b32 s28, s28, s30
                                        ; implicit-def: $sgpr30
	s_branch .LBB261_1017
.LBB261_1020:
	s_or_b32 exec_lo, exec_lo, s23
	s_xor_b32 s7, s27, -1
	s_branch .LBB261_1022
.LBB261_1021:
	s_mov_b32 s7, -1
.LBB261_1022:
	s_delay_alu instid0(SALU_CYCLE_1)
	s_and_b32 s7, s7, exec_lo
.LBB261_1023:
	s_or_b32 exec_lo, exec_lo, s14
	s_delay_alu instid0(SALU_CYCLE_1)
	s_or_not1_b32 s14, s7, exec_lo
.LBB261_1024:
	s_or_b32 exec_lo, exec_lo, s22
	v_dual_cndmask_b32 v4, v8, v9, s14 :: v_dual_cndmask_b32 v5, v25, v24, s14
	s_mov_b32 s22, exec_lo
	s_delay_alu instid0(VALU_DEP_1) | instskip(NEXT) | instid1(VALU_DEP_1)
	v_add_nc_u32_e32 v6, 1, v4
	v_add_min_u32_e64 v4, v5, -1, v6
	s_delay_alu instid0(VALU_DEP_1)
	v_lshl_add_u32 v4, v4, 3, v33
	ds_load_b64 v[4:5], v4
	s_wait_dscnt 0x0
	v_dual_cndmask_b32 v41, v5, v12, s14 :: v_dual_cndmask_b32 v42, v4, v39, s14
	v_dual_cndmask_b32 v8, v6, v8, s14 :: v_dual_cndmask_b32 v9, v9, v6, s14
	;; [unrolled: 1-line block ×3, first 2 shown]
	s_delay_alu instid0(VALU_DEP_2)
	v_cmpx_lt_u32_e64 v8, v25
	s_cbranch_execz .LBB261_1035
; %bb.1025:
	s_mov_b32 s7, 0
	s_mov_b32 s15, exec_lo
	v_cmpx_lt_u32_e64 v9, v24
	s_cbranch_execz .LBB261_1034
; %bb.1026:
	s_and_not1_b32 vcc_lo, exec_lo, s26
	s_cbranch_vccnz .LBB261_1032
; %bb.1027:
	v_mad_nc_u64_u32 v[4:5], v42, s16, s[18:19]
	v_mad_nc_u64_u32 v[6:7], v44, s16, s[18:19]
	s_mov_b32 s23, 0
	s_mov_b64 s[8:9], s[16:17]
                                        ; implicit-def: $sgpr27
                                        ; implicit-def: $sgpr28
                                        ; implicit-def: $sgpr29
                                        ; implicit-def: $sgpr30
	s_delay_alu instid0(VALU_DEP_2) | instskip(NEXT) | instid1(VALU_DEP_2)
	v_mad_u32 v5, v41, s16, v5
	v_mad_u32 v7, v43, s16, v7
	s_delay_alu instid0(VALU_DEP_2) | instskip(NEXT) | instid1(VALU_DEP_2)
	v_mad_u32 v5, v42, s17, v5
	v_mad_u32 v7, v44, s17, v7
	s_branch .LBB261_1029
.LBB261_1028:                           ;   in Loop: Header=BB261_1029 Depth=1
	s_or_b32 exec_lo, exec_lo, s31
	s_delay_alu instid0(SALU_CYCLE_1) | instskip(NEXT) | instid1(SALU_CYCLE_1)
	s_and_b32 s31, exec_lo, s28
	s_or_b32 s23, s31, s23
	s_and_not1_b32 s30, s30, exec_lo
	s_and_b32 s7, s7, exec_lo
	s_and_not1_b32 s27, s27, exec_lo
	s_and_b32 s31, s29, exec_lo
	s_or_b32 s30, s30, s7
	s_or_b32 s27, s27, s31
	s_and_not1_b32 exec_lo, exec_lo, s23
	s_cbranch_execz .LBB261_1031
.LBB261_1029:                           ; =>This Inner Loop Header: Depth=1
	global_load_u8 v22, v[4:5], off
	global_load_u8 v23, v[6:7], off
	s_and_not1_b32 s29, s29, exec_lo
	s_or_b32 s28, s28, exec_lo
	s_wait_loadcnt 0x1
	v_bfe_i32 v45, v22, 0, 8
	s_wait_loadcnt 0x0
	v_bfe_i32 v46, v23, 0, 8
	v_and_b32_e32 v22, 0xff, v22
	v_and_b32_e32 v23, 0xff, v23
	s_delay_alu instid0(VALU_DEP_3) | instskip(SKIP_2) | instid1(SALU_CYCLE_1)
	v_cmp_le_i16_e32 vcc_lo, v45, v46
	v_cmp_lt_i16_e64 s7, v45, v46
	s_and_b32 s31, vcc_lo, s30
	s_or_b32 s7, s7, s31
	s_delay_alu instid0(SALU_CYCLE_1) | instskip(NEXT) | instid1(SALU_CYCLE_1)
	s_and_b32 s31, s7, exec_lo
	s_or_b32 s29, s29, s31
	s_mov_b32 s31, exec_lo
	v_cmpx_eq_u16_e64 v22, v23
	s_cbranch_execz .LBB261_1028
; %bb.1030:                             ;   in Loop: Header=BB261_1029 Depth=1
	s_add_nc_u64 s[8:9], s[8:9], -1
	v_add_nc_u64_e32 v[4:5], 1, v[4:5]
	s_cmp_eq_u64 s[8:9], 0
	v_add_nc_u64_e32 v[6:7], 1, v[6:7]
	s_cselect_b32 s30, -1, 0
	s_and_not1_b32 s28, s28, exec_lo
	s_and_b32 s30, s30, exec_lo
	s_and_not1_b32 s29, s29, exec_lo
	s_or_b32 s28, s28, s30
                                        ; implicit-def: $sgpr30
	s_branch .LBB261_1028
.LBB261_1031:
	s_or_b32 exec_lo, exec_lo, s23
	s_xor_b32 s7, s27, -1
	s_branch .LBB261_1033
.LBB261_1032:
	s_mov_b32 s7, -1
.LBB261_1033:
	s_delay_alu instid0(SALU_CYCLE_1)
	s_and_b32 s7, s7, exec_lo
.LBB261_1034:
	s_or_b32 exec_lo, exec_lo, s15
	s_delay_alu instid0(SALU_CYCLE_1)
	s_or_not1_b32 s15, s7, exec_lo
.LBB261_1035:
	s_or_b32 exec_lo, exec_lo, s22
	v_dual_cndmask_b32 v4, v8, v9, s15 :: v_dual_cndmask_b32 v5, v25, v24, s15
	s_mov_b32 s22, -1
	s_mov_b32 s23, -1
	s_mov_b32 s27, exec_lo
	s_delay_alu instid0(VALU_DEP_1) | instskip(NEXT) | instid1(VALU_DEP_1)
	v_add_nc_u32_e32 v6, 1, v4
	v_add_min_u32_e64 v4, v5, -1, v6
	v_cndmask_b32_e64 v22, v6, v8, s15
	s_delay_alu instid0(VALU_DEP_2)
	v_lshl_add_u32 v4, v4, 3, v33
	ds_load_b64 v[4:5], v4
	s_wait_dscnt 0x0
	v_cndmask_b32_e64 v8, v5, v41, s15
	v_cndmask_b32_e64 v23, v9, v6, s15
	v_dual_cndmask_b32 v45, v4, v42, s15 :: v_dual_cndmask_b32 v9, v43, v5, s15
	v_cndmask_b32_e64 v46, v44, v4, s15
	v_cmpx_lt_u32_e64 v22, v25
	s_cbranch_execz .LBB261_1046
; %bb.1036:
	s_mov_b32 s7, 0
	s_mov_b32 s23, exec_lo
	v_cmpx_lt_u32_e64 v23, v24
	s_cbranch_execz .LBB261_1045
; %bb.1037:
	s_and_not1_b32 vcc_lo, exec_lo, s26
	s_cbranch_vccnz .LBB261_1043
; %bb.1038:
	v_mad_nc_u64_u32 v[4:5], v45, s16, s[18:19]
	v_mad_nc_u64_u32 v[6:7], v46, s16, s[18:19]
	s_mov_b32 s28, 0
	s_mov_b64 s[8:9], s[16:17]
                                        ; implicit-def: $sgpr29
                                        ; implicit-def: $sgpr30
                                        ; implicit-def: $sgpr31
                                        ; implicit-def: $sgpr33
	s_delay_alu instid0(VALU_DEP_2) | instskip(NEXT) | instid1(VALU_DEP_2)
	v_mad_u32 v5, v8, s16, v5
	v_mad_u32 v7, v9, s16, v7
	s_delay_alu instid0(VALU_DEP_2) | instskip(NEXT) | instid1(VALU_DEP_2)
	v_mad_u32 v5, v45, s17, v5
	v_mad_u32 v7, v46, s17, v7
	s_branch .LBB261_1040
.LBB261_1039:                           ;   in Loop: Header=BB261_1040 Depth=1
	s_or_b32 exec_lo, exec_lo, s34
	s_delay_alu instid0(SALU_CYCLE_1) | instskip(NEXT) | instid1(SALU_CYCLE_1)
	s_and_b32 s34, exec_lo, s30
	s_or_b32 s28, s34, s28
	s_and_not1_b32 s33, s33, exec_lo
	s_and_b32 s7, s7, exec_lo
	s_and_not1_b32 s29, s29, exec_lo
	s_and_b32 s34, s31, exec_lo
	s_or_b32 s33, s33, s7
	s_or_b32 s29, s29, s34
	s_and_not1_b32 exec_lo, exec_lo, s28
	s_cbranch_execz .LBB261_1042
.LBB261_1040:                           ; =>This Inner Loop Header: Depth=1
	global_load_u8 v47, v[4:5], off
	global_load_u8 v48, v[6:7], off
	s_and_not1_b32 s31, s31, exec_lo
	s_or_b32 s30, s30, exec_lo
	s_wait_loadcnt 0x1
	v_bfe_i32 v49, v47, 0, 8
	s_wait_loadcnt 0x0
	v_bfe_i32 v50, v48, 0, 8
	v_and_b32_e32 v47, 0xff, v47
	v_and_b32_e32 v48, 0xff, v48
	s_delay_alu instid0(VALU_DEP_3) | instskip(SKIP_2) | instid1(SALU_CYCLE_1)
	v_cmp_le_i16_e32 vcc_lo, v49, v50
	v_cmp_lt_i16_e64 s7, v49, v50
	s_and_b32 s34, vcc_lo, s33
	s_or_b32 s7, s7, s34
	s_delay_alu instid0(SALU_CYCLE_1) | instskip(NEXT) | instid1(SALU_CYCLE_1)
	s_and_b32 s34, s7, exec_lo
	s_or_b32 s31, s31, s34
	s_mov_b32 s34, exec_lo
	v_cmpx_eq_u16_e64 v47, v48
	s_cbranch_execz .LBB261_1039
; %bb.1041:                             ;   in Loop: Header=BB261_1040 Depth=1
	s_add_nc_u64 s[8:9], s[8:9], -1
	v_add_nc_u64_e32 v[4:5], 1, v[4:5]
	s_cmp_eq_u64 s[8:9], 0
	v_add_nc_u64_e32 v[6:7], 1, v[6:7]
	s_cselect_b32 s33, -1, 0
	s_and_not1_b32 s30, s30, exec_lo
	s_and_b32 s33, s33, exec_lo
	s_and_not1_b32 s31, s31, exec_lo
	s_or_b32 s30, s30, s33
                                        ; implicit-def: $sgpr33
	s_branch .LBB261_1039
.LBB261_1042:
	s_or_b32 exec_lo, exec_lo, s28
	s_xor_b32 s7, s29, -1
	s_branch .LBB261_1044
.LBB261_1043:
	s_mov_b32 s7, -1
.LBB261_1044:
	s_delay_alu instid0(SALU_CYCLE_1)
	s_and_b32 s7, s7, exec_lo
.LBB261_1045:
	s_or_b32 exec_lo, exec_lo, s23
	s_delay_alu instid0(SALU_CYCLE_1)
	s_or_not1_b32 s23, s7, exec_lo
.LBB261_1046:
	s_or_b32 exec_lo, exec_lo, s27
	v_dual_cndmask_b32 v4, v22, v23, s23 :: v_dual_cndmask_b32 v5, v25, v24, s23
	s_mov_b32 s27, exec_lo
	s_delay_alu instid0(VALU_DEP_1) | instskip(NEXT) | instid1(VALU_DEP_1)
	v_add_nc_u32_e32 v6, 1, v4
	v_add_min_u32_e64 v4, v5, -1, v6
	s_delay_alu instid0(VALU_DEP_1)
	v_lshl_add_u32 v4, v4, 3, v33
	ds_load_b64 v[4:5], v4
	s_wait_dscnt 0x0
	v_dual_cndmask_b32 v48, v5, v8, s23 :: v_dual_cndmask_b32 v49, v4, v45, s23
	v_cndmask_b32_e64 v50, v6, v22, s23
	v_dual_cndmask_b32 v47, v23, v6, s23 :: v_dual_cndmask_b32 v51, v9, v5, s23
	v_cndmask_b32_e64 v52, v46, v4, s23
	s_delay_alu instid0(VALU_DEP_3)
	v_cmpx_lt_u32_e64 v50, v25
	s_cbranch_execz .LBB261_1057
; %bb.1047:
	s_mov_b32 s7, 0
	s_mov_b32 s22, exec_lo
	v_cmpx_lt_u32_e64 v47, v24
	s_cbranch_execz .LBB261_1056
; %bb.1048:
	s_and_not1_b32 vcc_lo, exec_lo, s26
	s_cbranch_vccnz .LBB261_1054
; %bb.1049:
	v_mad_nc_u64_u32 v[4:5], v49, s16, s[18:19]
	v_mad_nc_u64_u32 v[6:7], v52, s16, s[18:19]
	s_mov_b32 s28, 0
	s_mov_b64 s[8:9], s[16:17]
                                        ; implicit-def: $sgpr29
                                        ; implicit-def: $sgpr30
                                        ; implicit-def: $sgpr31
                                        ; implicit-def: $sgpr33
	s_delay_alu instid0(VALU_DEP_2) | instskip(NEXT) | instid1(VALU_DEP_2)
	v_mad_u32 v5, v48, s16, v5
	v_mad_u32 v7, v51, s16, v7
	s_delay_alu instid0(VALU_DEP_2) | instskip(NEXT) | instid1(VALU_DEP_2)
	v_mad_u32 v5, v49, s17, v5
	v_mad_u32 v7, v52, s17, v7
	s_branch .LBB261_1051
.LBB261_1050:                           ;   in Loop: Header=BB261_1051 Depth=1
	s_or_b32 exec_lo, exec_lo, s34
	s_delay_alu instid0(SALU_CYCLE_1) | instskip(NEXT) | instid1(SALU_CYCLE_1)
	s_and_b32 s34, exec_lo, s30
	s_or_b32 s28, s34, s28
	s_and_not1_b32 s33, s33, exec_lo
	s_and_b32 s7, s7, exec_lo
	s_and_not1_b32 s29, s29, exec_lo
	s_and_b32 s34, s31, exec_lo
	s_or_b32 s33, s33, s7
	s_or_b32 s29, s29, s34
	s_and_not1_b32 exec_lo, exec_lo, s28
	s_cbranch_execz .LBB261_1053
.LBB261_1051:                           ; =>This Inner Loop Header: Depth=1
	global_load_u8 v22, v[4:5], off
	global_load_u8 v23, v[6:7], off
	s_and_not1_b32 s31, s31, exec_lo
	s_or_b32 s30, s30, exec_lo
	s_wait_loadcnt 0x1
	v_bfe_i32 v53, v22, 0, 8
	s_wait_loadcnt 0x0
	v_bfe_i32 v54, v23, 0, 8
	v_and_b32_e32 v22, 0xff, v22
	v_and_b32_e32 v23, 0xff, v23
	s_delay_alu instid0(VALU_DEP_3) | instskip(SKIP_2) | instid1(SALU_CYCLE_1)
	v_cmp_le_i16_e32 vcc_lo, v53, v54
	v_cmp_lt_i16_e64 s7, v53, v54
	s_and_b32 s34, vcc_lo, s33
	s_or_b32 s7, s7, s34
	s_delay_alu instid0(SALU_CYCLE_1) | instskip(NEXT) | instid1(SALU_CYCLE_1)
	s_and_b32 s34, s7, exec_lo
	s_or_b32 s31, s31, s34
	s_mov_b32 s34, exec_lo
	v_cmpx_eq_u16_e64 v22, v23
	s_cbranch_execz .LBB261_1050
; %bb.1052:                             ;   in Loop: Header=BB261_1051 Depth=1
	s_add_nc_u64 s[8:9], s[8:9], -1
	v_add_nc_u64_e32 v[4:5], 1, v[4:5]
	s_cmp_eq_u64 s[8:9], 0
	v_add_nc_u64_e32 v[6:7], 1, v[6:7]
	s_cselect_b32 s33, -1, 0
	s_and_not1_b32 s30, s30, exec_lo
	s_and_b32 s33, s33, exec_lo
	s_and_not1_b32 s31, s31, exec_lo
	s_or_b32 s30, s30, s33
                                        ; implicit-def: $sgpr33
	s_branch .LBB261_1050
.LBB261_1053:
	s_or_b32 exec_lo, exec_lo, s28
	s_xor_b32 s7, s29, -1
	s_branch .LBB261_1055
.LBB261_1054:
	s_mov_b32 s7, -1
.LBB261_1055:
	s_delay_alu instid0(SALU_CYCLE_1)
	s_and_b32 s7, s7, exec_lo
.LBB261_1056:
	s_or_b32 exec_lo, exec_lo, s22
	s_delay_alu instid0(SALU_CYCLE_1)
	s_or_not1_b32 s22, s7, exec_lo
.LBB261_1057:
	s_or_b32 exec_lo, exec_lo, s27
	v_dual_cndmask_b32 v4, v50, v47, s22 :: v_dual_cndmask_b32 v5, v25, v24, s22
	v_dual_cndmask_b32 v7, v41, v43, s15 :: v_dual_cndmask_b32 v13, v12, v13, s14
	;; [unrolled: 1-line block ×3, first 2 shown]
	s_delay_alu instid0(VALU_DEP_3) | instskip(SKIP_2) | instid1(VALU_DEP_3)
	v_dual_add_nc_u32 v53, 1, v4 :: v_dual_cndmask_b32 v9, v8, v9, s23
	v_dual_cndmask_b32 v8, v45, v46, s23 :: v_dual_cndmask_b32 v6, v42, v44, s15
	v_dual_cndmask_b32 v10, v17, v38, s13 :: v_dual_cndmask_b32 v17, v14, v16, s12
	v_add_min_u32_e64 v4, v5, -1, v53
	v_dual_cndmask_b32 v16, v15, v37, s12 :: v_dual_cndmask_b32 v14, v2, v0, s11
	v_dual_cndmask_b32 v15, v3, v1, s11 :: v_dual_cndmask_b32 v0, v53, v50, s22
	s_delay_alu instid0(VALU_DEP_3)
	v_lshl_add_u32 v4, v4, 3, v33
	v_dual_cndmask_b32 v3, v48, v51, s22 :: v_dual_cndmask_b32 v2, v49, v52, s22
	s_mov_b32 s11, exec_lo
	ds_load_b64 v[22:23], v4
	s_wait_dscnt 0x0
	v_dual_cndmask_b32 v5, v51, v23, s22 :: v_dual_cndmask_b32 v4, v52, v22, s22
	v_cmpx_lt_u32_e64 v0, v25
	s_cbranch_execz .LBB261_1067
; %bb.1058:
	v_cndmask_b32_e64 v25, v47, v53, s22
	v_dual_cndmask_b32 v1, v23, v48, s22 :: v_dual_cndmask_b32 v0, v22, v49, s22
	s_mov_b32 s12, exec_lo
	s_delay_alu instid0(VALU_DEP_2)
	v_cmpx_lt_u32_e64 v25, v24
	s_cbranch_execz .LBB261_1066
; %bb.1059:
	s_and_not1_b32 vcc_lo, exec_lo, s26
	s_cbranch_vccnz .LBB261_1065
; %bb.1060:
	v_mad_nc_u64_u32 v[22:23], v0, s16, s[18:19]
	v_mad_nc_u64_u32 v[24:25], v4, s16, s[18:19]
	s_mov_b32 s13, 0
	s_mov_b64 s[8:9], s[16:17]
                                        ; implicit-def: $sgpr14
                                        ; implicit-def: $sgpr15
                                        ; implicit-def: $sgpr22
                                        ; implicit-def: $sgpr23
	s_delay_alu instid0(VALU_DEP_2) | instskip(NEXT) | instid1(VALU_DEP_2)
	v_mad_u32 v23, v1, s16, v23
	v_mad_u32 v25, v5, s16, v25
	s_delay_alu instid0(VALU_DEP_2) | instskip(NEXT) | instid1(VALU_DEP_2)
	v_mad_u32 v23, v0, s17, v23
	v_mad_u32 v25, v4, s17, v25
	s_branch .LBB261_1062
.LBB261_1061:                           ;   in Loop: Header=BB261_1062 Depth=1
	s_or_b32 exec_lo, exec_lo, s27
	s_delay_alu instid0(SALU_CYCLE_1) | instskip(NEXT) | instid1(SALU_CYCLE_1)
	s_and_b32 s27, exec_lo, s15
	s_or_b32 s13, s27, s13
	s_and_not1_b32 s23, s23, exec_lo
	s_and_b32 s7, s7, exec_lo
	s_and_not1_b32 s14, s14, exec_lo
	s_and_b32 s27, s22, exec_lo
	s_or_b32 s23, s23, s7
	s_or_b32 s14, s14, s27
	s_and_not1_b32 exec_lo, exec_lo, s13
	s_cbranch_execz .LBB261_1064
.LBB261_1062:                           ; =>This Inner Loop Header: Depth=1
	global_load_u8 v37, v[22:23], off
	global_load_u8 v38, v[24:25], off
	s_and_not1_b32 s22, s22, exec_lo
	s_or_b32 s15, s15, exec_lo
	s_wait_loadcnt 0x1
	v_bfe_i32 v39, v37, 0, 8
	s_wait_loadcnt 0x0
	v_bfe_i32 v40, v38, 0, 8
	v_and_b32_e32 v37, 0xff, v37
	v_and_b32_e32 v38, 0xff, v38
	s_delay_alu instid0(VALU_DEP_3) | instskip(SKIP_2) | instid1(SALU_CYCLE_1)
	v_cmp_le_i16_e32 vcc_lo, v39, v40
	v_cmp_lt_i16_e64 s7, v39, v40
	s_and_b32 s27, vcc_lo, s23
	s_or_b32 s7, s7, s27
	s_delay_alu instid0(SALU_CYCLE_1) | instskip(NEXT) | instid1(SALU_CYCLE_1)
	s_and_b32 s27, s7, exec_lo
	s_or_b32 s22, s22, s27
	s_mov_b32 s27, exec_lo
	v_cmpx_eq_u16_e64 v37, v38
	s_cbranch_execz .LBB261_1061
; %bb.1063:                             ;   in Loop: Header=BB261_1062 Depth=1
	s_add_nc_u64 s[8:9], s[8:9], -1
	v_add_nc_u64_e32 v[22:23], 1, v[22:23]
	s_cmp_eq_u64 s[8:9], 0
	v_add_nc_u64_e32 v[24:25], 1, v[24:25]
	s_cselect_b32 s23, -1, 0
	s_and_not1_b32 s15, s15, exec_lo
	s_and_b32 s23, s23, exec_lo
	s_and_not1_b32 s22, s22, exec_lo
	s_or_b32 s15, s15, s23
                                        ; implicit-def: $sgpr23
	s_branch .LBB261_1061
.LBB261_1064:
	s_or_b32 exec_lo, exec_lo, s13
	v_dual_cndmask_b32 v5, v5, v1, s14 :: v_dual_cndmask_b32 v4, v4, v0, s14
.LBB261_1065:
	s_delay_alu instid0(VALU_DEP_1)
	v_mov_b64_e32 v[0:1], v[4:5]
.LBB261_1066:
	s_or_b32 exec_lo, exec_lo, s12
	s_delay_alu instid0(VALU_DEP_1)
	v_mov_b64_e32 v[4:5], v[0:1]
.LBB261_1067:
	s_or_b32 exec_lo, exec_lo, s11
.LBB261_1068:
	s_delay_alu instid0(SALU_CYCLE_1)
	s_or_b32 exec_lo, exec_lo, s10
	v_and_b32_e32 v39, 0xe0, v35
	s_mov_b32 s10, exec_lo
	; wave barrier
	ds_store_b128 v36, v[14:17]
	ds_store_b128 v36, v[10:13] offset:16
	v_or_b32_e32 v0, 16, v39
	v_lshl_add_u32 v38, v39, 3, v33
	ds_store_b128 v36, v[6:9] offset:32
	ds_store_b128 v36, v[2:5] offset:48
	; wave barrier
	v_min_u32_e32 v24, v34, v0
	v_and_b32_e32 v0, 24, v35
	s_delay_alu instid0(VALU_DEP_2) | instskip(NEXT) | instid1(VALU_DEP_2)
	v_add_min_u32_e64 v25, v24, 16, v34
	v_min_u32_e32 v40, v34, v0
	s_delay_alu instid0(VALU_DEP_2) | instskip(NEXT) | instid1(VALU_DEP_1)
	v_dual_sub_nc_u32 v1, v24, v39 :: v_dual_sub_nc_u32 v0, v25, v24
	v_min_u32_e32 v41, v40, v1
	s_delay_alu instid0(VALU_DEP_2) | instskip(NEXT) | instid1(VALU_DEP_1)
	v_sub_nc_u32_e64 v37, v40, v0 clamp
	v_cmpx_lt_u32_e64 v37, v41
	s_cbranch_execz .LBB261_1078
; %bb.1069:
	v_lshlrev_b32_e32 v0, 3, v24
	v_lshlrev_b32_e32 v1, 3, v40
	s_mov_b32 s11, 0
	s_delay_alu instid0(VALU_DEP_1)
	v_add3_u32 v42, v33, v0, v1
	s_branch .LBB261_1072
.LBB261_1070:                           ;   in Loop: Header=BB261_1072 Depth=1
	s_or_b32 exec_lo, exec_lo, s13
.LBB261_1071:                           ;   in Loop: Header=BB261_1072 Depth=1
	s_delay_alu instid0(VALU_DEP_1) | instskip(NEXT) | instid1(VALU_DEP_1)
	v_dual_add_nc_u32 v0, 1, v43 :: v_dual_cndmask_b32 v41, v41, v43, s12
	v_cndmask_b32_e64 v37, v0, v37, s12
	s_delay_alu instid0(VALU_DEP_1) | instskip(SKIP_1) | instid1(SALU_CYCLE_1)
	v_cmp_ge_u32_e32 vcc_lo, v37, v41
	s_or_b32 s11, vcc_lo, s11
	s_and_not1_b32 exec_lo, exec_lo, s11
	s_cbranch_execz .LBB261_1077
.LBB261_1072:                           ; =>This Loop Header: Depth=1
                                        ;     Child Loop BB261_1075 Depth 2
	v_add_nc_u32_e32 v0, v41, v37
	s_and_not1_b32 vcc_lo, exec_lo, s26
	s_mov_b32 s12, 0
	s_delay_alu instid0(VALU_DEP_1)
	v_lshrrev_b32_e32 v43, 1, v0
	s_cbranch_vccnz .LBB261_1071
; %bb.1073:                             ;   in Loop: Header=BB261_1072 Depth=1
	s_delay_alu instid0(VALU_DEP_1) | instskip(SKIP_3) | instid1(VALU_DEP_2)
	v_not_b32_e32 v0, v43
	v_lshl_add_u32 v1, v43, 3, v38
	s_mov_b32 s13, 0
	s_mov_b64 s[8:9], s[16:17]
                                        ; implicit-def: $sgpr12
                                        ; implicit-def: $sgpr14
                                        ; implicit-def: $sgpr15
                                        ; implicit-def: $sgpr22
	v_lshl_add_u32 v0, v0, 3, v42
	ds_load_b64 v[44:45], v0
	ds_load_b64 v[46:47], v1
	s_wait_dscnt 0x1
	v_mad_nc_u64_u32 v[0:1], v44, s16, s[18:19]
	s_wait_dscnt 0x0
	v_mad_nc_u64_u32 v[22:23], v46, s16, s[18:19]
	s_delay_alu instid0(VALU_DEP_2) | instskip(NEXT) | instid1(VALU_DEP_2)
	v_mad_u32 v1, v45, s16, v1
	v_mad_u32 v23, v47, s16, v23
	s_delay_alu instid0(VALU_DEP_2) | instskip(NEXT) | instid1(VALU_DEP_2)
	v_mad_u32 v1, v44, s17, v1
	v_mad_u32 v23, v46, s17, v23
	s_branch .LBB261_1075
.LBB261_1074:                           ;   in Loop: Header=BB261_1075 Depth=2
	s_or_b32 exec_lo, exec_lo, s23
	s_delay_alu instid0(SALU_CYCLE_1) | instskip(NEXT) | instid1(SALU_CYCLE_1)
	s_and_b32 s23, exec_lo, s14
	s_or_b32 s13, s23, s13
	s_and_not1_b32 s22, s22, exec_lo
	s_and_b32 s7, s7, exec_lo
	s_and_not1_b32 s12, s12, exec_lo
	s_and_b32 s23, s15, exec_lo
	s_or_b32 s22, s22, s7
	s_or_b32 s12, s12, s23
	s_and_not1_b32 exec_lo, exec_lo, s13
	s_cbranch_execz .LBB261_1070
.LBB261_1075:                           ;   Parent Loop BB261_1072 Depth=1
                                        ; =>  This Inner Loop Header: Depth=2
	global_load_u8 v44, v[0:1], off
	global_load_u8 v45, v[22:23], off
	s_and_not1_b32 s15, s15, exec_lo
	s_or_b32 s14, s14, exec_lo
	s_wait_loadcnt 0x1
	v_bfe_i32 v46, v44, 0, 8
	s_wait_loadcnt 0x0
	v_bfe_i32 v47, v45, 0, 8
	v_and_b32_e32 v44, 0xff, v44
	v_and_b32_e32 v45, 0xff, v45
	s_delay_alu instid0(VALU_DEP_3) | instskip(SKIP_2) | instid1(SALU_CYCLE_1)
	v_cmp_le_i16_e32 vcc_lo, v46, v47
	v_cmp_lt_i16_e64 s7, v46, v47
	s_and_b32 s23, vcc_lo, s22
	s_or_b32 s7, s7, s23
	s_delay_alu instid0(SALU_CYCLE_1) | instskip(NEXT) | instid1(SALU_CYCLE_1)
	s_and_b32 s23, s7, exec_lo
	s_or_b32 s15, s15, s23
	s_mov_b32 s23, exec_lo
	v_cmpx_eq_u16_e64 v44, v45
	s_cbranch_execz .LBB261_1074
; %bb.1076:                             ;   in Loop: Header=BB261_1075 Depth=2
	s_add_nc_u64 s[8:9], s[8:9], -1
	v_add_nc_u64_e32 v[0:1], 1, v[0:1]
	s_cmp_eq_u64 s[8:9], 0
	v_add_nc_u64_e32 v[22:23], 1, v[22:23]
	s_cselect_b32 s22, -1, 0
	s_and_not1_b32 s14, s14, exec_lo
	s_and_b32 s22, s22, exec_lo
	s_and_not1_b32 s15, s15, exec_lo
	s_or_b32 s14, s14, s22
                                        ; implicit-def: $sgpr22
	s_branch .LBB261_1074
.LBB261_1077:
	s_or_b32 exec_lo, exec_lo, s11
.LBB261_1078:
	s_delay_alu instid0(SALU_CYCLE_1) | instskip(SKIP_1) | instid1(VALU_DEP_1)
	s_or_b32 exec_lo, exec_lo, s10
	v_dual_add_nc_u32 v0, v24, v40 :: v_dual_add_nc_u32 v22, v37, v39
	v_sub_nc_u32_e32 v23, v0, v37
	s_delay_alu instid0(VALU_DEP_2) | instskip(NEXT) | instid1(VALU_DEP_2)
	v_cmp_le_u32_e32 vcc_lo, v22, v24
	v_cmp_le_u32_e64 s7, v23, v25
	s_or_b32 s7, vcc_lo, s7
	s_delay_alu instid0(SALU_CYCLE_1)
	s_and_saveexec_b32 s10, s7
	s_cbranch_execz .LBB261_1169
; %bb.1079:
	s_mov_b32 s8, exec_lo
	v_cmp_ge_u32_e32 vcc_lo, v22, v24
                                        ; implicit-def: $vgpr0_vgpr1
	v_cmpx_lt_u32_e64 v22, v24
; %bb.1080:
	v_lshl_add_u32 v0, v37, 3, v38
	ds_load_b64 v[0:1], v0
; %bb.1081:
	s_or_b32 exec_lo, exec_lo, s8
	v_cmp_ge_u32_e64 s11, v23, v25
	s_mov_b32 s8, exec_lo
                                        ; implicit-def: $vgpr2_vgpr3
	v_cmpx_lt_u32_e64 v23, v25
; %bb.1082:
	v_lshl_add_u32 v2, v23, 3, v33
	ds_load_b64 v[2:3], v2
; %bb.1083:
	s_or_b32 exec_lo, exec_lo, s8
	s_nor_b32 s7, vcc_lo, s11
	s_delay_alu instid0(SALU_CYCLE_1)
	s_and_saveexec_b32 s12, s7
	s_cbranch_execz .LBB261_1092
; %bb.1084:
	s_and_not1_b32 vcc_lo, exec_lo, s26
	s_cbranch_vccnz .LBB261_1090
; %bb.1085:
	s_wait_dscnt 0x0
	v_mad_nc_u64_u32 v[4:5], v2, s16, s[18:19]
	v_mad_nc_u64_u32 v[6:7], v0, s16, s[18:19]
	s_mov_b32 s13, 0
	s_mov_b64 s[8:9], s[16:17]
                                        ; implicit-def: $sgpr14
                                        ; implicit-def: $sgpr15
                                        ; implicit-def: $sgpr22
                                        ; implicit-def: $sgpr23
	s_delay_alu instid0(VALU_DEP_2) | instskip(NEXT) | instid1(VALU_DEP_2)
	v_mad_u32 v5, v3, s16, v5
	v_mad_u32 v7, v1, s16, v7
	s_delay_alu instid0(VALU_DEP_2) | instskip(NEXT) | instid1(VALU_DEP_2)
	v_mad_u32 v5, v2, s17, v5
	v_mad_u32 v7, v0, s17, v7
	s_branch .LBB261_1087
.LBB261_1086:                           ;   in Loop: Header=BB261_1087 Depth=1
	s_or_b32 exec_lo, exec_lo, s27
	s_delay_alu instid0(SALU_CYCLE_1) | instskip(NEXT) | instid1(SALU_CYCLE_1)
	s_and_b32 s27, exec_lo, s15
	s_or_b32 s13, s27, s13
	s_and_not1_b32 s23, s23, exec_lo
	s_and_b32 s7, s7, exec_lo
	s_and_not1_b32 s14, s14, exec_lo
	s_and_b32 s27, s22, exec_lo
	s_or_b32 s23, s23, s7
	s_or_b32 s14, s14, s27
	s_and_not1_b32 exec_lo, exec_lo, s13
	s_cbranch_execz .LBB261_1089
.LBB261_1087:                           ; =>This Inner Loop Header: Depth=1
	global_load_u8 v8, v[4:5], off
	global_load_u8 v9, v[6:7], off
	s_and_not1_b32 s22, s22, exec_lo
	s_or_b32 s15, s15, exec_lo
	s_wait_loadcnt 0x1
	v_bfe_i32 v10, v8, 0, 8
	s_wait_loadcnt 0x0
	v_bfe_i32 v11, v9, 0, 8
	v_and_b32_e32 v8, 0xff, v8
	v_and_b32_e32 v9, 0xff, v9
	s_delay_alu instid0(VALU_DEP_3) | instskip(SKIP_2) | instid1(SALU_CYCLE_1)
	v_cmp_le_i16_e32 vcc_lo, v10, v11
	v_cmp_lt_i16_e64 s7, v10, v11
	s_and_b32 s27, vcc_lo, s23
	s_or_b32 s7, s7, s27
	s_delay_alu instid0(SALU_CYCLE_1) | instskip(NEXT) | instid1(SALU_CYCLE_1)
	s_and_b32 s27, s7, exec_lo
	s_or_b32 s22, s22, s27
	s_mov_b32 s27, exec_lo
	v_cmpx_eq_u16_e64 v8, v9
	s_cbranch_execz .LBB261_1086
; %bb.1088:                             ;   in Loop: Header=BB261_1087 Depth=1
	s_add_nc_u64 s[8:9], s[8:9], -1
	v_add_nc_u64_e32 v[4:5], 1, v[4:5]
	s_cmp_eq_u64 s[8:9], 0
	v_add_nc_u64_e32 v[6:7], 1, v[6:7]
	s_cselect_b32 s23, -1, 0
	s_and_not1_b32 s15, s15, exec_lo
	s_and_b32 s23, s23, exec_lo
	s_and_not1_b32 s22, s22, exec_lo
	s_or_b32 s15, s15, s23
                                        ; implicit-def: $sgpr23
	s_branch .LBB261_1086
.LBB261_1089:
	s_or_b32 exec_lo, exec_lo, s13
	s_xor_b32 s7, s14, -1
	s_branch .LBB261_1091
.LBB261_1090:
	s_mov_b32 s7, -1
.LBB261_1091:
	s_and_not1_b32 s8, s11, exec_lo
	s_and_b32 s7, s7, exec_lo
	s_delay_alu instid0(SALU_CYCLE_1)
	s_or_b32 s11, s8, s7
.LBB261_1092:
	s_or_b32 exec_lo, exec_lo, s12
	v_dual_cndmask_b32 v4, v23, v22, s11 :: v_dual_cndmask_b32 v5, v25, v24, s11
	s_mov_b32 s13, -1
	s_mov_b32 s12, -1
	s_mov_b32 s14, exec_lo
	s_delay_alu instid0(VALU_DEP_1) | instskip(NEXT) | instid1(VALU_DEP_1)
	v_add_nc_u32_e32 v6, 1, v4
	v_add_min_u32_e64 v4, v5, -1, v6
	s_delay_alu instid0(VALU_DEP_1)
	v_lshl_add_u32 v4, v4, 3, v33
	ds_load_b64 v[4:5], v4
	s_wait_dscnt 0x0
	v_cndmask_b32_e64 v14, v5, v3, s11
	v_dual_cndmask_b32 v8, v6, v23, s11 :: v_dual_cndmask_b32 v15, v4, v2, s11
	v_dual_cndmask_b32 v9, v22, v6, s11 :: v_dual_cndmask_b32 v16, v1, v5, s11
	v_cndmask_b32_e64 v37, v0, v4, s11
	s_delay_alu instid0(VALU_DEP_3)
	v_cmpx_lt_u32_e64 v8, v25
	s_cbranch_execz .LBB261_1103
; %bb.1093:
	s_mov_b32 s7, 0
	s_mov_b32 s12, exec_lo
	v_cmpx_lt_u32_e64 v9, v24
	s_cbranch_execz .LBB261_1102
; %bb.1094:
	s_and_not1_b32 vcc_lo, exec_lo, s26
	s_cbranch_vccnz .LBB261_1100
; %bb.1095:
	v_mad_nc_u64_u32 v[4:5], v15, s16, s[18:19]
	v_mad_nc_u64_u32 v[6:7], v37, s16, s[18:19]
	s_mov_b32 s15, 0
	s_mov_b64 s[8:9], s[16:17]
                                        ; implicit-def: $sgpr22
                                        ; implicit-def: $sgpr23
                                        ; implicit-def: $sgpr27
                                        ; implicit-def: $sgpr28
	s_delay_alu instid0(VALU_DEP_2) | instskip(NEXT) | instid1(VALU_DEP_2)
	v_mad_u32 v5, v14, s16, v5
	v_mad_u32 v7, v16, s16, v7
	s_delay_alu instid0(VALU_DEP_2) | instskip(NEXT) | instid1(VALU_DEP_2)
	v_mad_u32 v5, v15, s17, v5
	v_mad_u32 v7, v37, s17, v7
	s_branch .LBB261_1097
.LBB261_1096:                           ;   in Loop: Header=BB261_1097 Depth=1
	s_or_b32 exec_lo, exec_lo, s29
	s_delay_alu instid0(SALU_CYCLE_1) | instskip(NEXT) | instid1(SALU_CYCLE_1)
	s_and_b32 s29, exec_lo, s23
	s_or_b32 s15, s29, s15
	s_and_not1_b32 s28, s28, exec_lo
	s_and_b32 s7, s7, exec_lo
	s_and_not1_b32 s22, s22, exec_lo
	s_and_b32 s29, s27, exec_lo
	s_or_b32 s28, s28, s7
	s_or_b32 s22, s22, s29
	s_and_not1_b32 exec_lo, exec_lo, s15
	s_cbranch_execz .LBB261_1099
.LBB261_1097:                           ; =>This Inner Loop Header: Depth=1
	global_load_u8 v10, v[4:5], off
	global_load_u8 v11, v[6:7], off
	s_and_not1_b32 s27, s27, exec_lo
	s_or_b32 s23, s23, exec_lo
	s_wait_loadcnt 0x1
	v_bfe_i32 v12, v10, 0, 8
	s_wait_loadcnt 0x0
	v_bfe_i32 v13, v11, 0, 8
	v_and_b32_e32 v10, 0xff, v10
	v_and_b32_e32 v11, 0xff, v11
	s_delay_alu instid0(VALU_DEP_3) | instskip(SKIP_2) | instid1(SALU_CYCLE_1)
	v_cmp_le_i16_e32 vcc_lo, v12, v13
	v_cmp_lt_i16_e64 s7, v12, v13
	s_and_b32 s29, vcc_lo, s28
	s_or_b32 s7, s7, s29
	s_delay_alu instid0(SALU_CYCLE_1) | instskip(NEXT) | instid1(SALU_CYCLE_1)
	s_and_b32 s29, s7, exec_lo
	s_or_b32 s27, s27, s29
	s_mov_b32 s29, exec_lo
	v_cmpx_eq_u16_e64 v10, v11
	s_cbranch_execz .LBB261_1096
; %bb.1098:                             ;   in Loop: Header=BB261_1097 Depth=1
	s_add_nc_u64 s[8:9], s[8:9], -1
	v_add_nc_u64_e32 v[4:5], 1, v[4:5]
	s_cmp_eq_u64 s[8:9], 0
	v_add_nc_u64_e32 v[6:7], 1, v[6:7]
	s_cselect_b32 s28, -1, 0
	s_and_not1_b32 s23, s23, exec_lo
	s_and_b32 s28, s28, exec_lo
	s_and_not1_b32 s27, s27, exec_lo
	s_or_b32 s23, s23, s28
                                        ; implicit-def: $sgpr28
	s_branch .LBB261_1096
.LBB261_1099:
	s_or_b32 exec_lo, exec_lo, s15
	s_xor_b32 s7, s22, -1
	s_branch .LBB261_1101
.LBB261_1100:
	s_mov_b32 s7, -1
.LBB261_1101:
	s_delay_alu instid0(SALU_CYCLE_1)
	s_and_b32 s7, s7, exec_lo
.LBB261_1102:
	s_or_b32 exec_lo, exec_lo, s12
	s_delay_alu instid0(SALU_CYCLE_1)
	s_or_not1_b32 s12, s7, exec_lo
.LBB261_1103:
	s_or_b32 exec_lo, exec_lo, s14
	v_dual_cndmask_b32 v4, v8, v9, s12 :: v_dual_cndmask_b32 v5, v25, v24, s12
	s_mov_b32 s14, exec_lo
	s_delay_alu instid0(VALU_DEP_1) | instskip(NEXT) | instid1(VALU_DEP_1)
	v_add_nc_u32_e32 v6, 1, v4
	v_add_min_u32_e64 v4, v5, -1, v6
	s_delay_alu instid0(VALU_DEP_1)
	v_lshl_add_u32 v4, v4, 3, v33
	ds_load_b64 v[4:5], v4
	s_wait_dscnt 0x0
	v_dual_cndmask_b32 v10, v5, v14, s12 :: v_dual_cndmask_b32 v8, v6, v8, s12
	v_dual_cndmask_b32 v9, v9, v6, s12 :: v_dual_cndmask_b32 v17, v4, v15, s12
	;; [unrolled: 1-line block ×3, first 2 shown]
	s_delay_alu instid0(VALU_DEP_3)
	v_cmpx_lt_u32_e64 v8, v25
	s_cbranch_execz .LBB261_1114
; %bb.1104:
	s_mov_b32 s7, 0
	s_mov_b32 s13, exec_lo
	v_cmpx_lt_u32_e64 v9, v24
	s_cbranch_execz .LBB261_1113
; %bb.1105:
	s_and_not1_b32 vcc_lo, exec_lo, s26
	s_cbranch_vccnz .LBB261_1111
; %bb.1106:
	v_mad_nc_u64_u32 v[4:5], v17, s16, s[18:19]
	v_mad_nc_u64_u32 v[6:7], v38, s16, s[18:19]
	s_mov_b32 s15, 0
	s_mov_b64 s[8:9], s[16:17]
                                        ; implicit-def: $sgpr22
                                        ; implicit-def: $sgpr23
                                        ; implicit-def: $sgpr27
                                        ; implicit-def: $sgpr28
	s_delay_alu instid0(VALU_DEP_2) | instskip(NEXT) | instid1(VALU_DEP_2)
	v_mad_u32 v5, v10, s16, v5
	v_mad_u32 v7, v11, s16, v7
	s_delay_alu instid0(VALU_DEP_2) | instskip(NEXT) | instid1(VALU_DEP_2)
	v_mad_u32 v5, v17, s17, v5
	v_mad_u32 v7, v38, s17, v7
	s_branch .LBB261_1108
.LBB261_1107:                           ;   in Loop: Header=BB261_1108 Depth=1
	s_or_b32 exec_lo, exec_lo, s29
	s_delay_alu instid0(SALU_CYCLE_1) | instskip(NEXT) | instid1(SALU_CYCLE_1)
	s_and_b32 s29, exec_lo, s23
	s_or_b32 s15, s29, s15
	s_and_not1_b32 s28, s28, exec_lo
	s_and_b32 s7, s7, exec_lo
	s_and_not1_b32 s22, s22, exec_lo
	s_and_b32 s29, s27, exec_lo
	s_or_b32 s28, s28, s7
	s_or_b32 s22, s22, s29
	s_and_not1_b32 exec_lo, exec_lo, s15
	s_cbranch_execz .LBB261_1110
.LBB261_1108:                           ; =>This Inner Loop Header: Depth=1
	global_load_u8 v12, v[4:5], off
	global_load_u8 v13, v[6:7], off
	s_and_not1_b32 s27, s27, exec_lo
	s_or_b32 s23, s23, exec_lo
	s_wait_loadcnt 0x1
	v_bfe_i32 v22, v12, 0, 8
	s_wait_loadcnt 0x0
	v_bfe_i32 v23, v13, 0, 8
	v_and_b32_e32 v12, 0xff, v12
	v_and_b32_e32 v13, 0xff, v13
	s_delay_alu instid0(VALU_DEP_3) | instskip(SKIP_2) | instid1(SALU_CYCLE_1)
	v_cmp_le_i16_e32 vcc_lo, v22, v23
	v_cmp_lt_i16_e64 s7, v22, v23
	s_and_b32 s29, vcc_lo, s28
	s_or_b32 s7, s7, s29
	s_delay_alu instid0(SALU_CYCLE_1) | instskip(NEXT) | instid1(SALU_CYCLE_1)
	s_and_b32 s29, s7, exec_lo
	s_or_b32 s27, s27, s29
	s_mov_b32 s29, exec_lo
	v_cmpx_eq_u16_e64 v12, v13
	s_cbranch_execz .LBB261_1107
; %bb.1109:                             ;   in Loop: Header=BB261_1108 Depth=1
	s_add_nc_u64 s[8:9], s[8:9], -1
	v_add_nc_u64_e32 v[4:5], 1, v[4:5]
	s_cmp_eq_u64 s[8:9], 0
	v_add_nc_u64_e32 v[6:7], 1, v[6:7]
	s_cselect_b32 s28, -1, 0
	s_and_not1_b32 s23, s23, exec_lo
	s_and_b32 s28, s28, exec_lo
	s_and_not1_b32 s27, s27, exec_lo
	s_or_b32 s23, s23, s28
                                        ; implicit-def: $sgpr28
	s_branch .LBB261_1107
.LBB261_1110:
	s_or_b32 exec_lo, exec_lo, s15
	s_xor_b32 s7, s22, -1
	s_branch .LBB261_1112
.LBB261_1111:
	s_mov_b32 s7, -1
.LBB261_1112:
	s_delay_alu instid0(SALU_CYCLE_1)
	s_and_b32 s7, s7, exec_lo
.LBB261_1113:
	s_or_b32 exec_lo, exec_lo, s13
	s_delay_alu instid0(SALU_CYCLE_1)
	s_or_not1_b32 s13, s7, exec_lo
.LBB261_1114:
	s_or_b32 exec_lo, exec_lo, s14
	v_dual_cndmask_b32 v4, v8, v9, s13 :: v_dual_cndmask_b32 v5, v25, v24, s13
	s_mov_b32 s15, -1
	s_mov_b32 s14, -1
	s_mov_b32 s22, exec_lo
	s_delay_alu instid0(VALU_DEP_1) | instskip(NEXT) | instid1(VALU_DEP_1)
	v_add_nc_u32_e32 v6, 1, v4
	v_add_min_u32_e64 v4, v5, -1, v6
	s_delay_alu instid0(VALU_DEP_1)
	v_lshl_add_u32 v4, v4, 3, v33
	ds_load_b64 v[4:5], v4
	s_wait_dscnt 0x0
	v_dual_cndmask_b32 v12, v5, v10, s13 :: v_dual_cndmask_b32 v8, v6, v8, s13
	v_dual_cndmask_b32 v9, v9, v6, s13 :: v_dual_cndmask_b32 v39, v4, v17, s13
	;; [unrolled: 1-line block ×3, first 2 shown]
	s_delay_alu instid0(VALU_DEP_3)
	v_cmpx_lt_u32_e64 v8, v25
	s_cbranch_execz .LBB261_1125
; %bb.1115:
	s_mov_b32 s7, 0
	s_mov_b32 s14, exec_lo
	v_cmpx_lt_u32_e64 v9, v24
	s_cbranch_execz .LBB261_1124
; %bb.1116:
	s_and_not1_b32 vcc_lo, exec_lo, s26
	s_cbranch_vccnz .LBB261_1122
; %bb.1117:
	v_mad_nc_u64_u32 v[4:5], v39, s16, s[18:19]
	v_mad_nc_u64_u32 v[6:7], v40, s16, s[18:19]
	s_mov_b32 s23, 0
	s_mov_b64 s[8:9], s[16:17]
                                        ; implicit-def: $sgpr27
                                        ; implicit-def: $sgpr28
                                        ; implicit-def: $sgpr29
                                        ; implicit-def: $sgpr30
	s_delay_alu instid0(VALU_DEP_2) | instskip(NEXT) | instid1(VALU_DEP_2)
	v_mad_u32 v5, v12, s16, v5
	v_mad_u32 v7, v13, s16, v7
	s_delay_alu instid0(VALU_DEP_2) | instskip(NEXT) | instid1(VALU_DEP_2)
	v_mad_u32 v5, v39, s17, v5
	v_mad_u32 v7, v40, s17, v7
	s_branch .LBB261_1119
.LBB261_1118:                           ;   in Loop: Header=BB261_1119 Depth=1
	s_or_b32 exec_lo, exec_lo, s31
	s_delay_alu instid0(SALU_CYCLE_1) | instskip(NEXT) | instid1(SALU_CYCLE_1)
	s_and_b32 s31, exec_lo, s28
	s_or_b32 s23, s31, s23
	s_and_not1_b32 s30, s30, exec_lo
	s_and_b32 s7, s7, exec_lo
	s_and_not1_b32 s27, s27, exec_lo
	s_and_b32 s31, s29, exec_lo
	s_or_b32 s30, s30, s7
	s_or_b32 s27, s27, s31
	s_and_not1_b32 exec_lo, exec_lo, s23
	s_cbranch_execz .LBB261_1121
.LBB261_1119:                           ; =>This Inner Loop Header: Depth=1
	global_load_u8 v22, v[4:5], off
	global_load_u8 v23, v[6:7], off
	s_and_not1_b32 s29, s29, exec_lo
	s_or_b32 s28, s28, exec_lo
	s_wait_loadcnt 0x1
	v_bfe_i32 v41, v22, 0, 8
	s_wait_loadcnt 0x0
	v_bfe_i32 v42, v23, 0, 8
	v_and_b32_e32 v22, 0xff, v22
	v_and_b32_e32 v23, 0xff, v23
	s_delay_alu instid0(VALU_DEP_3) | instskip(SKIP_2) | instid1(SALU_CYCLE_1)
	v_cmp_le_i16_e32 vcc_lo, v41, v42
	v_cmp_lt_i16_e64 s7, v41, v42
	s_and_b32 s31, vcc_lo, s30
	s_or_b32 s7, s7, s31
	s_delay_alu instid0(SALU_CYCLE_1) | instskip(NEXT) | instid1(SALU_CYCLE_1)
	s_and_b32 s31, s7, exec_lo
	s_or_b32 s29, s29, s31
	s_mov_b32 s31, exec_lo
	v_cmpx_eq_u16_e64 v22, v23
	s_cbranch_execz .LBB261_1118
; %bb.1120:                             ;   in Loop: Header=BB261_1119 Depth=1
	s_add_nc_u64 s[8:9], s[8:9], -1
	v_add_nc_u64_e32 v[4:5], 1, v[4:5]
	s_cmp_eq_u64 s[8:9], 0
	v_add_nc_u64_e32 v[6:7], 1, v[6:7]
	s_cselect_b32 s30, -1, 0
	s_and_not1_b32 s28, s28, exec_lo
	s_and_b32 s30, s30, exec_lo
	s_and_not1_b32 s29, s29, exec_lo
	s_or_b32 s28, s28, s30
                                        ; implicit-def: $sgpr30
	s_branch .LBB261_1118
.LBB261_1121:
	s_or_b32 exec_lo, exec_lo, s23
	s_xor_b32 s7, s27, -1
	s_branch .LBB261_1123
.LBB261_1122:
	s_mov_b32 s7, -1
.LBB261_1123:
	s_delay_alu instid0(SALU_CYCLE_1)
	s_and_b32 s7, s7, exec_lo
.LBB261_1124:
	s_or_b32 exec_lo, exec_lo, s14
	s_delay_alu instid0(SALU_CYCLE_1)
	s_or_not1_b32 s14, s7, exec_lo
.LBB261_1125:
	s_or_b32 exec_lo, exec_lo, s22
	v_dual_cndmask_b32 v4, v8, v9, s14 :: v_dual_cndmask_b32 v5, v25, v24, s14
	s_mov_b32 s22, exec_lo
	s_delay_alu instid0(VALU_DEP_1) | instskip(NEXT) | instid1(VALU_DEP_1)
	v_add_nc_u32_e32 v6, 1, v4
	v_add_min_u32_e64 v4, v5, -1, v6
	s_delay_alu instid0(VALU_DEP_1)
	v_lshl_add_u32 v4, v4, 3, v33
	ds_load_b64 v[4:5], v4
	s_wait_dscnt 0x0
	v_dual_cndmask_b32 v41, v5, v12, s14 :: v_dual_cndmask_b32 v42, v4, v39, s14
	v_dual_cndmask_b32 v8, v6, v8, s14 :: v_dual_cndmask_b32 v9, v9, v6, s14
	;; [unrolled: 1-line block ×3, first 2 shown]
	s_delay_alu instid0(VALU_DEP_2)
	v_cmpx_lt_u32_e64 v8, v25
	s_cbranch_execz .LBB261_1136
; %bb.1126:
	s_mov_b32 s7, 0
	s_mov_b32 s15, exec_lo
	v_cmpx_lt_u32_e64 v9, v24
	s_cbranch_execz .LBB261_1135
; %bb.1127:
	s_and_not1_b32 vcc_lo, exec_lo, s26
	s_cbranch_vccnz .LBB261_1133
; %bb.1128:
	v_mad_nc_u64_u32 v[4:5], v42, s16, s[18:19]
	v_mad_nc_u64_u32 v[6:7], v44, s16, s[18:19]
	s_mov_b32 s23, 0
	s_mov_b64 s[8:9], s[16:17]
                                        ; implicit-def: $sgpr27
                                        ; implicit-def: $sgpr28
                                        ; implicit-def: $sgpr29
                                        ; implicit-def: $sgpr30
	s_delay_alu instid0(VALU_DEP_2) | instskip(NEXT) | instid1(VALU_DEP_2)
	v_mad_u32 v5, v41, s16, v5
	v_mad_u32 v7, v43, s16, v7
	s_delay_alu instid0(VALU_DEP_2) | instskip(NEXT) | instid1(VALU_DEP_2)
	v_mad_u32 v5, v42, s17, v5
	v_mad_u32 v7, v44, s17, v7
	s_branch .LBB261_1130
.LBB261_1129:                           ;   in Loop: Header=BB261_1130 Depth=1
	s_or_b32 exec_lo, exec_lo, s31
	s_delay_alu instid0(SALU_CYCLE_1) | instskip(NEXT) | instid1(SALU_CYCLE_1)
	s_and_b32 s31, exec_lo, s28
	s_or_b32 s23, s31, s23
	s_and_not1_b32 s30, s30, exec_lo
	s_and_b32 s7, s7, exec_lo
	s_and_not1_b32 s27, s27, exec_lo
	s_and_b32 s31, s29, exec_lo
	s_or_b32 s30, s30, s7
	s_or_b32 s27, s27, s31
	s_and_not1_b32 exec_lo, exec_lo, s23
	s_cbranch_execz .LBB261_1132
.LBB261_1130:                           ; =>This Inner Loop Header: Depth=1
	global_load_u8 v22, v[4:5], off
	global_load_u8 v23, v[6:7], off
	s_and_not1_b32 s29, s29, exec_lo
	s_or_b32 s28, s28, exec_lo
	s_wait_loadcnt 0x1
	v_bfe_i32 v45, v22, 0, 8
	s_wait_loadcnt 0x0
	v_bfe_i32 v46, v23, 0, 8
	v_and_b32_e32 v22, 0xff, v22
	v_and_b32_e32 v23, 0xff, v23
	s_delay_alu instid0(VALU_DEP_3) | instskip(SKIP_2) | instid1(SALU_CYCLE_1)
	v_cmp_le_i16_e32 vcc_lo, v45, v46
	v_cmp_lt_i16_e64 s7, v45, v46
	s_and_b32 s31, vcc_lo, s30
	s_or_b32 s7, s7, s31
	s_delay_alu instid0(SALU_CYCLE_1) | instskip(NEXT) | instid1(SALU_CYCLE_1)
	s_and_b32 s31, s7, exec_lo
	s_or_b32 s29, s29, s31
	s_mov_b32 s31, exec_lo
	v_cmpx_eq_u16_e64 v22, v23
	s_cbranch_execz .LBB261_1129
; %bb.1131:                             ;   in Loop: Header=BB261_1130 Depth=1
	s_add_nc_u64 s[8:9], s[8:9], -1
	v_add_nc_u64_e32 v[4:5], 1, v[4:5]
	s_cmp_eq_u64 s[8:9], 0
	v_add_nc_u64_e32 v[6:7], 1, v[6:7]
	s_cselect_b32 s30, -1, 0
	s_and_not1_b32 s28, s28, exec_lo
	s_and_b32 s30, s30, exec_lo
	s_and_not1_b32 s29, s29, exec_lo
	s_or_b32 s28, s28, s30
                                        ; implicit-def: $sgpr30
	s_branch .LBB261_1129
.LBB261_1132:
	s_or_b32 exec_lo, exec_lo, s23
	s_xor_b32 s7, s27, -1
	s_branch .LBB261_1134
.LBB261_1133:
	s_mov_b32 s7, -1
.LBB261_1134:
	s_delay_alu instid0(SALU_CYCLE_1)
	s_and_b32 s7, s7, exec_lo
.LBB261_1135:
	s_or_b32 exec_lo, exec_lo, s15
	s_delay_alu instid0(SALU_CYCLE_1)
	s_or_not1_b32 s15, s7, exec_lo
.LBB261_1136:
	s_or_b32 exec_lo, exec_lo, s22
	v_dual_cndmask_b32 v4, v8, v9, s15 :: v_dual_cndmask_b32 v5, v25, v24, s15
	s_mov_b32 s22, -1
	s_mov_b32 s23, -1
	s_mov_b32 s27, exec_lo
	s_delay_alu instid0(VALU_DEP_1) | instskip(NEXT) | instid1(VALU_DEP_1)
	v_add_nc_u32_e32 v6, 1, v4
	v_add_min_u32_e64 v4, v5, -1, v6
	v_cndmask_b32_e64 v22, v6, v8, s15
	s_delay_alu instid0(VALU_DEP_2)
	v_lshl_add_u32 v4, v4, 3, v33
	ds_load_b64 v[4:5], v4
	s_wait_dscnt 0x0
	v_cndmask_b32_e64 v8, v5, v41, s15
	v_cndmask_b32_e64 v23, v9, v6, s15
	v_dual_cndmask_b32 v45, v4, v42, s15 :: v_dual_cndmask_b32 v9, v43, v5, s15
	v_cndmask_b32_e64 v46, v44, v4, s15
	v_cmpx_lt_u32_e64 v22, v25
	s_cbranch_execz .LBB261_1147
; %bb.1137:
	s_mov_b32 s7, 0
	s_mov_b32 s23, exec_lo
	v_cmpx_lt_u32_e64 v23, v24
	s_cbranch_execz .LBB261_1146
; %bb.1138:
	s_and_not1_b32 vcc_lo, exec_lo, s26
	s_cbranch_vccnz .LBB261_1144
; %bb.1139:
	v_mad_nc_u64_u32 v[4:5], v45, s16, s[18:19]
	v_mad_nc_u64_u32 v[6:7], v46, s16, s[18:19]
	s_mov_b32 s28, 0
	s_mov_b64 s[8:9], s[16:17]
                                        ; implicit-def: $sgpr29
                                        ; implicit-def: $sgpr30
                                        ; implicit-def: $sgpr31
                                        ; implicit-def: $sgpr33
	s_delay_alu instid0(VALU_DEP_2) | instskip(NEXT) | instid1(VALU_DEP_2)
	v_mad_u32 v5, v8, s16, v5
	v_mad_u32 v7, v9, s16, v7
	s_delay_alu instid0(VALU_DEP_2) | instskip(NEXT) | instid1(VALU_DEP_2)
	v_mad_u32 v5, v45, s17, v5
	v_mad_u32 v7, v46, s17, v7
	s_branch .LBB261_1141
.LBB261_1140:                           ;   in Loop: Header=BB261_1141 Depth=1
	s_or_b32 exec_lo, exec_lo, s34
	s_delay_alu instid0(SALU_CYCLE_1) | instskip(NEXT) | instid1(SALU_CYCLE_1)
	s_and_b32 s34, exec_lo, s30
	s_or_b32 s28, s34, s28
	s_and_not1_b32 s33, s33, exec_lo
	s_and_b32 s7, s7, exec_lo
	s_and_not1_b32 s29, s29, exec_lo
	s_and_b32 s34, s31, exec_lo
	s_or_b32 s33, s33, s7
	s_or_b32 s29, s29, s34
	s_and_not1_b32 exec_lo, exec_lo, s28
	s_cbranch_execz .LBB261_1143
.LBB261_1141:                           ; =>This Inner Loop Header: Depth=1
	global_load_u8 v47, v[4:5], off
	global_load_u8 v48, v[6:7], off
	s_and_not1_b32 s31, s31, exec_lo
	s_or_b32 s30, s30, exec_lo
	s_wait_loadcnt 0x1
	v_bfe_i32 v49, v47, 0, 8
	s_wait_loadcnt 0x0
	v_bfe_i32 v50, v48, 0, 8
	v_and_b32_e32 v47, 0xff, v47
	v_and_b32_e32 v48, 0xff, v48
	s_delay_alu instid0(VALU_DEP_3) | instskip(SKIP_2) | instid1(SALU_CYCLE_1)
	v_cmp_le_i16_e32 vcc_lo, v49, v50
	v_cmp_lt_i16_e64 s7, v49, v50
	s_and_b32 s34, vcc_lo, s33
	s_or_b32 s7, s7, s34
	s_delay_alu instid0(SALU_CYCLE_1) | instskip(NEXT) | instid1(SALU_CYCLE_1)
	s_and_b32 s34, s7, exec_lo
	s_or_b32 s31, s31, s34
	s_mov_b32 s34, exec_lo
	v_cmpx_eq_u16_e64 v47, v48
	s_cbranch_execz .LBB261_1140
; %bb.1142:                             ;   in Loop: Header=BB261_1141 Depth=1
	s_add_nc_u64 s[8:9], s[8:9], -1
	v_add_nc_u64_e32 v[4:5], 1, v[4:5]
	s_cmp_eq_u64 s[8:9], 0
	v_add_nc_u64_e32 v[6:7], 1, v[6:7]
	s_cselect_b32 s33, -1, 0
	s_and_not1_b32 s30, s30, exec_lo
	s_and_b32 s33, s33, exec_lo
	s_and_not1_b32 s31, s31, exec_lo
	s_or_b32 s30, s30, s33
                                        ; implicit-def: $sgpr33
	s_branch .LBB261_1140
.LBB261_1143:
	s_or_b32 exec_lo, exec_lo, s28
	s_xor_b32 s7, s29, -1
	s_branch .LBB261_1145
.LBB261_1144:
	s_mov_b32 s7, -1
.LBB261_1145:
	s_delay_alu instid0(SALU_CYCLE_1)
	s_and_b32 s7, s7, exec_lo
.LBB261_1146:
	s_or_b32 exec_lo, exec_lo, s23
	s_delay_alu instid0(SALU_CYCLE_1)
	s_or_not1_b32 s23, s7, exec_lo
.LBB261_1147:
	s_or_b32 exec_lo, exec_lo, s27
	v_dual_cndmask_b32 v4, v22, v23, s23 :: v_dual_cndmask_b32 v5, v25, v24, s23
	s_mov_b32 s27, exec_lo
	s_delay_alu instid0(VALU_DEP_1) | instskip(NEXT) | instid1(VALU_DEP_1)
	v_add_nc_u32_e32 v6, 1, v4
	v_add_min_u32_e64 v4, v5, -1, v6
	s_delay_alu instid0(VALU_DEP_1)
	v_lshl_add_u32 v4, v4, 3, v33
	ds_load_b64 v[4:5], v4
	s_wait_dscnt 0x0
	v_dual_cndmask_b32 v48, v5, v8, s23 :: v_dual_cndmask_b32 v49, v4, v45, s23
	v_cndmask_b32_e64 v50, v6, v22, s23
	v_dual_cndmask_b32 v47, v23, v6, s23 :: v_dual_cndmask_b32 v51, v9, v5, s23
	v_cndmask_b32_e64 v52, v46, v4, s23
	s_delay_alu instid0(VALU_DEP_3)
	v_cmpx_lt_u32_e64 v50, v25
	s_cbranch_execz .LBB261_1158
; %bb.1148:
	s_mov_b32 s7, 0
	s_mov_b32 s22, exec_lo
	v_cmpx_lt_u32_e64 v47, v24
	s_cbranch_execz .LBB261_1157
; %bb.1149:
	s_and_not1_b32 vcc_lo, exec_lo, s26
	s_cbranch_vccnz .LBB261_1155
; %bb.1150:
	v_mad_nc_u64_u32 v[4:5], v49, s16, s[18:19]
	v_mad_nc_u64_u32 v[6:7], v52, s16, s[18:19]
	s_mov_b32 s28, 0
	s_mov_b64 s[8:9], s[16:17]
                                        ; implicit-def: $sgpr29
                                        ; implicit-def: $sgpr30
                                        ; implicit-def: $sgpr31
                                        ; implicit-def: $sgpr33
	s_delay_alu instid0(VALU_DEP_2) | instskip(NEXT) | instid1(VALU_DEP_2)
	v_mad_u32 v5, v48, s16, v5
	v_mad_u32 v7, v51, s16, v7
	s_delay_alu instid0(VALU_DEP_2) | instskip(NEXT) | instid1(VALU_DEP_2)
	v_mad_u32 v5, v49, s17, v5
	v_mad_u32 v7, v52, s17, v7
	s_branch .LBB261_1152
.LBB261_1151:                           ;   in Loop: Header=BB261_1152 Depth=1
	s_or_b32 exec_lo, exec_lo, s34
	s_delay_alu instid0(SALU_CYCLE_1) | instskip(NEXT) | instid1(SALU_CYCLE_1)
	s_and_b32 s34, exec_lo, s30
	s_or_b32 s28, s34, s28
	s_and_not1_b32 s33, s33, exec_lo
	s_and_b32 s7, s7, exec_lo
	s_and_not1_b32 s29, s29, exec_lo
	s_and_b32 s34, s31, exec_lo
	s_or_b32 s33, s33, s7
	s_or_b32 s29, s29, s34
	s_and_not1_b32 exec_lo, exec_lo, s28
	s_cbranch_execz .LBB261_1154
.LBB261_1152:                           ; =>This Inner Loop Header: Depth=1
	global_load_u8 v22, v[4:5], off
	global_load_u8 v23, v[6:7], off
	s_and_not1_b32 s31, s31, exec_lo
	s_or_b32 s30, s30, exec_lo
	s_wait_loadcnt 0x1
	v_bfe_i32 v53, v22, 0, 8
	s_wait_loadcnt 0x0
	v_bfe_i32 v54, v23, 0, 8
	v_and_b32_e32 v22, 0xff, v22
	v_and_b32_e32 v23, 0xff, v23
	s_delay_alu instid0(VALU_DEP_3) | instskip(SKIP_2) | instid1(SALU_CYCLE_1)
	v_cmp_le_i16_e32 vcc_lo, v53, v54
	v_cmp_lt_i16_e64 s7, v53, v54
	s_and_b32 s34, vcc_lo, s33
	s_or_b32 s7, s7, s34
	s_delay_alu instid0(SALU_CYCLE_1) | instskip(NEXT) | instid1(SALU_CYCLE_1)
	s_and_b32 s34, s7, exec_lo
	s_or_b32 s31, s31, s34
	s_mov_b32 s34, exec_lo
	v_cmpx_eq_u16_e64 v22, v23
	s_cbranch_execz .LBB261_1151
; %bb.1153:                             ;   in Loop: Header=BB261_1152 Depth=1
	s_add_nc_u64 s[8:9], s[8:9], -1
	v_add_nc_u64_e32 v[4:5], 1, v[4:5]
	s_cmp_eq_u64 s[8:9], 0
	v_add_nc_u64_e32 v[6:7], 1, v[6:7]
	s_cselect_b32 s33, -1, 0
	s_and_not1_b32 s30, s30, exec_lo
	s_and_b32 s33, s33, exec_lo
	s_and_not1_b32 s31, s31, exec_lo
	s_or_b32 s30, s30, s33
                                        ; implicit-def: $sgpr33
	s_branch .LBB261_1151
.LBB261_1154:
	s_or_b32 exec_lo, exec_lo, s28
	s_xor_b32 s7, s29, -1
	s_branch .LBB261_1156
.LBB261_1155:
	s_mov_b32 s7, -1
.LBB261_1156:
	s_delay_alu instid0(SALU_CYCLE_1)
	s_and_b32 s7, s7, exec_lo
.LBB261_1157:
	s_or_b32 exec_lo, exec_lo, s22
	s_delay_alu instid0(SALU_CYCLE_1)
	s_or_not1_b32 s22, s7, exec_lo
.LBB261_1158:
	s_or_b32 exec_lo, exec_lo, s27
	v_dual_cndmask_b32 v4, v50, v47, s22 :: v_dual_cndmask_b32 v5, v25, v24, s22
	v_dual_cndmask_b32 v7, v41, v43, s15 :: v_dual_cndmask_b32 v13, v12, v13, s14
	;; [unrolled: 1-line block ×3, first 2 shown]
	s_delay_alu instid0(VALU_DEP_3) | instskip(SKIP_2) | instid1(VALU_DEP_3)
	v_dual_add_nc_u32 v53, 1, v4 :: v_dual_cndmask_b32 v9, v8, v9, s23
	v_dual_cndmask_b32 v8, v45, v46, s23 :: v_dual_cndmask_b32 v6, v42, v44, s15
	v_dual_cndmask_b32 v10, v17, v38, s13 :: v_dual_cndmask_b32 v17, v14, v16, s12
	v_add_min_u32_e64 v4, v5, -1, v53
	v_dual_cndmask_b32 v16, v15, v37, s12 :: v_dual_cndmask_b32 v14, v2, v0, s11
	v_dual_cndmask_b32 v15, v3, v1, s11 :: v_dual_cndmask_b32 v0, v53, v50, s22
	s_delay_alu instid0(VALU_DEP_3)
	v_lshl_add_u32 v4, v4, 3, v33
	v_dual_cndmask_b32 v3, v48, v51, s22 :: v_dual_cndmask_b32 v2, v49, v52, s22
	s_mov_b32 s11, exec_lo
	ds_load_b64 v[22:23], v4
	s_wait_dscnt 0x0
	v_dual_cndmask_b32 v5, v51, v23, s22 :: v_dual_cndmask_b32 v4, v52, v22, s22
	v_cmpx_lt_u32_e64 v0, v25
	s_cbranch_execz .LBB261_1168
; %bb.1159:
	v_cndmask_b32_e64 v25, v47, v53, s22
	v_dual_cndmask_b32 v1, v23, v48, s22 :: v_dual_cndmask_b32 v0, v22, v49, s22
	s_mov_b32 s12, exec_lo
	s_delay_alu instid0(VALU_DEP_2)
	v_cmpx_lt_u32_e64 v25, v24
	s_cbranch_execz .LBB261_1167
; %bb.1160:
	s_and_not1_b32 vcc_lo, exec_lo, s26
	s_cbranch_vccnz .LBB261_1166
; %bb.1161:
	v_mad_nc_u64_u32 v[22:23], v0, s16, s[18:19]
	v_mad_nc_u64_u32 v[24:25], v4, s16, s[18:19]
	s_mov_b32 s13, 0
	s_mov_b64 s[8:9], s[16:17]
                                        ; implicit-def: $sgpr14
                                        ; implicit-def: $sgpr15
                                        ; implicit-def: $sgpr22
                                        ; implicit-def: $sgpr23
	s_delay_alu instid0(VALU_DEP_2) | instskip(NEXT) | instid1(VALU_DEP_2)
	v_mad_u32 v23, v1, s16, v23
	v_mad_u32 v25, v5, s16, v25
	s_delay_alu instid0(VALU_DEP_2) | instskip(NEXT) | instid1(VALU_DEP_2)
	v_mad_u32 v23, v0, s17, v23
	v_mad_u32 v25, v4, s17, v25
	s_branch .LBB261_1163
.LBB261_1162:                           ;   in Loop: Header=BB261_1163 Depth=1
	s_or_b32 exec_lo, exec_lo, s27
	s_delay_alu instid0(SALU_CYCLE_1) | instskip(NEXT) | instid1(SALU_CYCLE_1)
	s_and_b32 s27, exec_lo, s15
	s_or_b32 s13, s27, s13
	s_and_not1_b32 s23, s23, exec_lo
	s_and_b32 s7, s7, exec_lo
	s_and_not1_b32 s14, s14, exec_lo
	s_and_b32 s27, s22, exec_lo
	s_or_b32 s23, s23, s7
	s_or_b32 s14, s14, s27
	s_and_not1_b32 exec_lo, exec_lo, s13
	s_cbranch_execz .LBB261_1165
.LBB261_1163:                           ; =>This Inner Loop Header: Depth=1
	global_load_u8 v37, v[22:23], off
	global_load_u8 v38, v[24:25], off
	s_and_not1_b32 s22, s22, exec_lo
	s_or_b32 s15, s15, exec_lo
	s_wait_loadcnt 0x1
	v_bfe_i32 v39, v37, 0, 8
	s_wait_loadcnt 0x0
	v_bfe_i32 v40, v38, 0, 8
	v_and_b32_e32 v37, 0xff, v37
	v_and_b32_e32 v38, 0xff, v38
	s_delay_alu instid0(VALU_DEP_3) | instskip(SKIP_2) | instid1(SALU_CYCLE_1)
	v_cmp_le_i16_e32 vcc_lo, v39, v40
	v_cmp_lt_i16_e64 s7, v39, v40
	s_and_b32 s27, vcc_lo, s23
	s_or_b32 s7, s7, s27
	s_delay_alu instid0(SALU_CYCLE_1) | instskip(NEXT) | instid1(SALU_CYCLE_1)
	s_and_b32 s27, s7, exec_lo
	s_or_b32 s22, s22, s27
	s_mov_b32 s27, exec_lo
	v_cmpx_eq_u16_e64 v37, v38
	s_cbranch_execz .LBB261_1162
; %bb.1164:                             ;   in Loop: Header=BB261_1163 Depth=1
	s_add_nc_u64 s[8:9], s[8:9], -1
	v_add_nc_u64_e32 v[22:23], 1, v[22:23]
	s_cmp_eq_u64 s[8:9], 0
	v_add_nc_u64_e32 v[24:25], 1, v[24:25]
	s_cselect_b32 s23, -1, 0
	s_and_not1_b32 s15, s15, exec_lo
	s_and_b32 s23, s23, exec_lo
	s_and_not1_b32 s22, s22, exec_lo
	s_or_b32 s15, s15, s23
                                        ; implicit-def: $sgpr23
	s_branch .LBB261_1162
.LBB261_1165:
	s_or_b32 exec_lo, exec_lo, s13
	v_dual_cndmask_b32 v5, v5, v1, s14 :: v_dual_cndmask_b32 v4, v4, v0, s14
.LBB261_1166:
	s_delay_alu instid0(VALU_DEP_1)
	v_mov_b64_e32 v[0:1], v[4:5]
.LBB261_1167:
	s_or_b32 exec_lo, exec_lo, s12
	s_delay_alu instid0(VALU_DEP_1)
	v_mov_b64_e32 v[4:5], v[0:1]
.LBB261_1168:
	s_or_b32 exec_lo, exec_lo, s11
.LBB261_1169:
	s_delay_alu instid0(SALU_CYCLE_1)
	s_or_b32 exec_lo, exec_lo, s10
	v_and_b32_e32 v39, 0xc0, v35
	s_mov_b32 s10, exec_lo
	; wave barrier
	ds_store_b128 v36, v[14:17]
	ds_store_b128 v36, v[10:13] offset:16
	v_or_b32_e32 v0, 32, v39
	v_lshl_add_u32 v38, v39, 3, v33
	ds_store_b128 v36, v[6:9] offset:32
	ds_store_b128 v36, v[2:5] offset:48
	; wave barrier
	v_min_u32_e32 v24, v34, v0
	v_and_b32_e32 v0, 56, v35
	s_delay_alu instid0(VALU_DEP_2) | instskip(NEXT) | instid1(VALU_DEP_2)
	v_add_min_u32_e64 v25, v24, 32, v34
	v_min_u32_e32 v40, v34, v0
	s_delay_alu instid0(VALU_DEP_2) | instskip(NEXT) | instid1(VALU_DEP_1)
	v_dual_sub_nc_u32 v1, v24, v39 :: v_dual_sub_nc_u32 v0, v25, v24
	v_min_u32_e32 v41, v40, v1
	s_delay_alu instid0(VALU_DEP_2) | instskip(NEXT) | instid1(VALU_DEP_1)
	v_sub_nc_u32_e64 v37, v40, v0 clamp
	v_cmpx_lt_u32_e64 v37, v41
	s_cbranch_execz .LBB261_1179
; %bb.1170:
	v_lshlrev_b32_e32 v0, 3, v24
	v_lshlrev_b32_e32 v1, 3, v40
	s_mov_b32 s11, 0
	s_delay_alu instid0(VALU_DEP_1)
	v_add3_u32 v42, v33, v0, v1
	s_branch .LBB261_1173
.LBB261_1171:                           ;   in Loop: Header=BB261_1173 Depth=1
	s_or_b32 exec_lo, exec_lo, s13
.LBB261_1172:                           ;   in Loop: Header=BB261_1173 Depth=1
	s_delay_alu instid0(VALU_DEP_1) | instskip(NEXT) | instid1(VALU_DEP_1)
	v_dual_add_nc_u32 v0, 1, v43 :: v_dual_cndmask_b32 v41, v41, v43, s12
	v_cndmask_b32_e64 v37, v0, v37, s12
	s_delay_alu instid0(VALU_DEP_1) | instskip(SKIP_1) | instid1(SALU_CYCLE_1)
	v_cmp_ge_u32_e32 vcc_lo, v37, v41
	s_or_b32 s11, vcc_lo, s11
	s_and_not1_b32 exec_lo, exec_lo, s11
	s_cbranch_execz .LBB261_1178
.LBB261_1173:                           ; =>This Loop Header: Depth=1
                                        ;     Child Loop BB261_1176 Depth 2
	v_add_nc_u32_e32 v0, v41, v37
	s_and_not1_b32 vcc_lo, exec_lo, s26
	s_mov_b32 s12, 0
	s_delay_alu instid0(VALU_DEP_1)
	v_lshrrev_b32_e32 v43, 1, v0
	s_cbranch_vccnz .LBB261_1172
; %bb.1174:                             ;   in Loop: Header=BB261_1173 Depth=1
	s_delay_alu instid0(VALU_DEP_1) | instskip(SKIP_3) | instid1(VALU_DEP_2)
	v_not_b32_e32 v0, v43
	v_lshl_add_u32 v1, v43, 3, v38
	s_mov_b32 s13, 0
	s_mov_b64 s[8:9], s[16:17]
                                        ; implicit-def: $sgpr12
                                        ; implicit-def: $sgpr14
                                        ; implicit-def: $sgpr15
                                        ; implicit-def: $sgpr22
	v_lshl_add_u32 v0, v0, 3, v42
	ds_load_b64 v[44:45], v0
	ds_load_b64 v[46:47], v1
	s_wait_dscnt 0x1
	v_mad_nc_u64_u32 v[0:1], v44, s16, s[18:19]
	s_wait_dscnt 0x0
	v_mad_nc_u64_u32 v[22:23], v46, s16, s[18:19]
	s_delay_alu instid0(VALU_DEP_2) | instskip(NEXT) | instid1(VALU_DEP_2)
	v_mad_u32 v1, v45, s16, v1
	v_mad_u32 v23, v47, s16, v23
	s_delay_alu instid0(VALU_DEP_2) | instskip(NEXT) | instid1(VALU_DEP_2)
	v_mad_u32 v1, v44, s17, v1
	v_mad_u32 v23, v46, s17, v23
	s_branch .LBB261_1176
.LBB261_1175:                           ;   in Loop: Header=BB261_1176 Depth=2
	s_or_b32 exec_lo, exec_lo, s23
	s_delay_alu instid0(SALU_CYCLE_1) | instskip(NEXT) | instid1(SALU_CYCLE_1)
	s_and_b32 s23, exec_lo, s14
	s_or_b32 s13, s23, s13
	s_and_not1_b32 s22, s22, exec_lo
	s_and_b32 s7, s7, exec_lo
	s_and_not1_b32 s12, s12, exec_lo
	s_and_b32 s23, s15, exec_lo
	s_or_b32 s22, s22, s7
	s_or_b32 s12, s12, s23
	s_and_not1_b32 exec_lo, exec_lo, s13
	s_cbranch_execz .LBB261_1171
.LBB261_1176:                           ;   Parent Loop BB261_1173 Depth=1
                                        ; =>  This Inner Loop Header: Depth=2
	global_load_u8 v44, v[0:1], off
	global_load_u8 v45, v[22:23], off
	s_and_not1_b32 s15, s15, exec_lo
	s_or_b32 s14, s14, exec_lo
	s_wait_loadcnt 0x1
	v_bfe_i32 v46, v44, 0, 8
	s_wait_loadcnt 0x0
	v_bfe_i32 v47, v45, 0, 8
	v_and_b32_e32 v44, 0xff, v44
	v_and_b32_e32 v45, 0xff, v45
	s_delay_alu instid0(VALU_DEP_3) | instskip(SKIP_2) | instid1(SALU_CYCLE_1)
	v_cmp_le_i16_e32 vcc_lo, v46, v47
	v_cmp_lt_i16_e64 s7, v46, v47
	s_and_b32 s23, vcc_lo, s22
	s_or_b32 s7, s7, s23
	s_delay_alu instid0(SALU_CYCLE_1) | instskip(NEXT) | instid1(SALU_CYCLE_1)
	s_and_b32 s23, s7, exec_lo
	s_or_b32 s15, s15, s23
	s_mov_b32 s23, exec_lo
	v_cmpx_eq_u16_e64 v44, v45
	s_cbranch_execz .LBB261_1175
; %bb.1177:                             ;   in Loop: Header=BB261_1176 Depth=2
	s_add_nc_u64 s[8:9], s[8:9], -1
	v_add_nc_u64_e32 v[0:1], 1, v[0:1]
	s_cmp_eq_u64 s[8:9], 0
	v_add_nc_u64_e32 v[22:23], 1, v[22:23]
	s_cselect_b32 s22, -1, 0
	s_and_not1_b32 s14, s14, exec_lo
	s_and_b32 s22, s22, exec_lo
	s_and_not1_b32 s15, s15, exec_lo
	s_or_b32 s14, s14, s22
                                        ; implicit-def: $sgpr22
	s_branch .LBB261_1175
.LBB261_1178:
	s_or_b32 exec_lo, exec_lo, s11
.LBB261_1179:
	s_delay_alu instid0(SALU_CYCLE_1) | instskip(SKIP_1) | instid1(VALU_DEP_1)
	s_or_b32 exec_lo, exec_lo, s10
	v_dual_add_nc_u32 v0, v24, v40 :: v_dual_add_nc_u32 v22, v37, v39
	v_sub_nc_u32_e32 v23, v0, v37
	s_delay_alu instid0(VALU_DEP_2) | instskip(NEXT) | instid1(VALU_DEP_2)
	v_cmp_le_u32_e32 vcc_lo, v22, v24
	v_cmp_le_u32_e64 s7, v23, v25
	s_or_b32 s7, vcc_lo, s7
	s_delay_alu instid0(SALU_CYCLE_1)
	s_and_saveexec_b32 s10, s7
	s_cbranch_execz .LBB261_1270
; %bb.1180:
	s_mov_b32 s8, exec_lo
	v_cmp_ge_u32_e32 vcc_lo, v22, v24
                                        ; implicit-def: $vgpr0_vgpr1
	v_cmpx_lt_u32_e64 v22, v24
; %bb.1181:
	v_lshl_add_u32 v0, v37, 3, v38
	ds_load_b64 v[0:1], v0
; %bb.1182:
	s_or_b32 exec_lo, exec_lo, s8
	v_cmp_ge_u32_e64 s11, v23, v25
	s_mov_b32 s8, exec_lo
                                        ; implicit-def: $vgpr2_vgpr3
	v_cmpx_lt_u32_e64 v23, v25
; %bb.1183:
	v_lshl_add_u32 v2, v23, 3, v33
	ds_load_b64 v[2:3], v2
; %bb.1184:
	s_or_b32 exec_lo, exec_lo, s8
	s_nor_b32 s7, vcc_lo, s11
	s_delay_alu instid0(SALU_CYCLE_1)
	s_and_saveexec_b32 s12, s7
	s_cbranch_execz .LBB261_1193
; %bb.1185:
	s_and_not1_b32 vcc_lo, exec_lo, s26
	s_cbranch_vccnz .LBB261_1191
; %bb.1186:
	s_wait_dscnt 0x0
	v_mad_nc_u64_u32 v[4:5], v2, s16, s[18:19]
	v_mad_nc_u64_u32 v[6:7], v0, s16, s[18:19]
	s_mov_b32 s13, 0
	s_mov_b64 s[8:9], s[16:17]
                                        ; implicit-def: $sgpr14
                                        ; implicit-def: $sgpr15
                                        ; implicit-def: $sgpr22
                                        ; implicit-def: $sgpr23
	s_delay_alu instid0(VALU_DEP_2) | instskip(NEXT) | instid1(VALU_DEP_2)
	v_mad_u32 v5, v3, s16, v5
	v_mad_u32 v7, v1, s16, v7
	s_delay_alu instid0(VALU_DEP_2) | instskip(NEXT) | instid1(VALU_DEP_2)
	v_mad_u32 v5, v2, s17, v5
	v_mad_u32 v7, v0, s17, v7
	s_branch .LBB261_1188
.LBB261_1187:                           ;   in Loop: Header=BB261_1188 Depth=1
	s_or_b32 exec_lo, exec_lo, s27
	s_delay_alu instid0(SALU_CYCLE_1) | instskip(NEXT) | instid1(SALU_CYCLE_1)
	s_and_b32 s27, exec_lo, s15
	s_or_b32 s13, s27, s13
	s_and_not1_b32 s23, s23, exec_lo
	s_and_b32 s7, s7, exec_lo
	s_and_not1_b32 s14, s14, exec_lo
	s_and_b32 s27, s22, exec_lo
	s_or_b32 s23, s23, s7
	s_or_b32 s14, s14, s27
	s_and_not1_b32 exec_lo, exec_lo, s13
	s_cbranch_execz .LBB261_1190
.LBB261_1188:                           ; =>This Inner Loop Header: Depth=1
	global_load_u8 v8, v[4:5], off
	global_load_u8 v9, v[6:7], off
	s_and_not1_b32 s22, s22, exec_lo
	s_or_b32 s15, s15, exec_lo
	s_wait_loadcnt 0x1
	v_bfe_i32 v10, v8, 0, 8
	s_wait_loadcnt 0x0
	v_bfe_i32 v11, v9, 0, 8
	v_and_b32_e32 v8, 0xff, v8
	v_and_b32_e32 v9, 0xff, v9
	s_delay_alu instid0(VALU_DEP_3) | instskip(SKIP_2) | instid1(SALU_CYCLE_1)
	v_cmp_le_i16_e32 vcc_lo, v10, v11
	v_cmp_lt_i16_e64 s7, v10, v11
	s_and_b32 s27, vcc_lo, s23
	s_or_b32 s7, s7, s27
	s_delay_alu instid0(SALU_CYCLE_1) | instskip(NEXT) | instid1(SALU_CYCLE_1)
	s_and_b32 s27, s7, exec_lo
	s_or_b32 s22, s22, s27
	s_mov_b32 s27, exec_lo
	v_cmpx_eq_u16_e64 v8, v9
	s_cbranch_execz .LBB261_1187
; %bb.1189:                             ;   in Loop: Header=BB261_1188 Depth=1
	s_add_nc_u64 s[8:9], s[8:9], -1
	v_add_nc_u64_e32 v[4:5], 1, v[4:5]
	s_cmp_eq_u64 s[8:9], 0
	v_add_nc_u64_e32 v[6:7], 1, v[6:7]
	s_cselect_b32 s23, -1, 0
	s_and_not1_b32 s15, s15, exec_lo
	s_and_b32 s23, s23, exec_lo
	s_and_not1_b32 s22, s22, exec_lo
	s_or_b32 s15, s15, s23
                                        ; implicit-def: $sgpr23
	s_branch .LBB261_1187
.LBB261_1190:
	s_or_b32 exec_lo, exec_lo, s13
	s_xor_b32 s7, s14, -1
	s_branch .LBB261_1192
.LBB261_1191:
	s_mov_b32 s7, -1
.LBB261_1192:
	s_and_not1_b32 s8, s11, exec_lo
	s_and_b32 s7, s7, exec_lo
	s_delay_alu instid0(SALU_CYCLE_1)
	s_or_b32 s11, s8, s7
.LBB261_1193:
	s_or_b32 exec_lo, exec_lo, s12
	v_dual_cndmask_b32 v4, v23, v22, s11 :: v_dual_cndmask_b32 v5, v25, v24, s11
	s_mov_b32 s13, -1
	s_mov_b32 s12, -1
	s_mov_b32 s14, exec_lo
	s_delay_alu instid0(VALU_DEP_1) | instskip(NEXT) | instid1(VALU_DEP_1)
	v_add_nc_u32_e32 v6, 1, v4
	v_add_min_u32_e64 v4, v5, -1, v6
	s_delay_alu instid0(VALU_DEP_1)
	v_lshl_add_u32 v4, v4, 3, v33
	ds_load_b64 v[4:5], v4
	s_wait_dscnt 0x0
	v_cndmask_b32_e64 v14, v5, v3, s11
	v_dual_cndmask_b32 v8, v6, v23, s11 :: v_dual_cndmask_b32 v15, v4, v2, s11
	v_dual_cndmask_b32 v9, v22, v6, s11 :: v_dual_cndmask_b32 v16, v1, v5, s11
	v_cndmask_b32_e64 v37, v0, v4, s11
	s_delay_alu instid0(VALU_DEP_3)
	v_cmpx_lt_u32_e64 v8, v25
	s_cbranch_execz .LBB261_1204
; %bb.1194:
	s_mov_b32 s7, 0
	s_mov_b32 s12, exec_lo
	v_cmpx_lt_u32_e64 v9, v24
	s_cbranch_execz .LBB261_1203
; %bb.1195:
	s_and_not1_b32 vcc_lo, exec_lo, s26
	s_cbranch_vccnz .LBB261_1201
; %bb.1196:
	v_mad_nc_u64_u32 v[4:5], v15, s16, s[18:19]
	v_mad_nc_u64_u32 v[6:7], v37, s16, s[18:19]
	s_mov_b32 s15, 0
	s_mov_b64 s[8:9], s[16:17]
                                        ; implicit-def: $sgpr22
                                        ; implicit-def: $sgpr23
                                        ; implicit-def: $sgpr27
                                        ; implicit-def: $sgpr28
	s_delay_alu instid0(VALU_DEP_2) | instskip(NEXT) | instid1(VALU_DEP_2)
	v_mad_u32 v5, v14, s16, v5
	v_mad_u32 v7, v16, s16, v7
	s_delay_alu instid0(VALU_DEP_2) | instskip(NEXT) | instid1(VALU_DEP_2)
	v_mad_u32 v5, v15, s17, v5
	v_mad_u32 v7, v37, s17, v7
	s_branch .LBB261_1198
.LBB261_1197:                           ;   in Loop: Header=BB261_1198 Depth=1
	s_or_b32 exec_lo, exec_lo, s29
	s_delay_alu instid0(SALU_CYCLE_1) | instskip(NEXT) | instid1(SALU_CYCLE_1)
	s_and_b32 s29, exec_lo, s23
	s_or_b32 s15, s29, s15
	s_and_not1_b32 s28, s28, exec_lo
	s_and_b32 s7, s7, exec_lo
	s_and_not1_b32 s22, s22, exec_lo
	s_and_b32 s29, s27, exec_lo
	s_or_b32 s28, s28, s7
	s_or_b32 s22, s22, s29
	s_and_not1_b32 exec_lo, exec_lo, s15
	s_cbranch_execz .LBB261_1200
.LBB261_1198:                           ; =>This Inner Loop Header: Depth=1
	global_load_u8 v10, v[4:5], off
	global_load_u8 v11, v[6:7], off
	s_and_not1_b32 s27, s27, exec_lo
	s_or_b32 s23, s23, exec_lo
	s_wait_loadcnt 0x1
	v_bfe_i32 v12, v10, 0, 8
	s_wait_loadcnt 0x0
	v_bfe_i32 v13, v11, 0, 8
	v_and_b32_e32 v10, 0xff, v10
	v_and_b32_e32 v11, 0xff, v11
	s_delay_alu instid0(VALU_DEP_3) | instskip(SKIP_2) | instid1(SALU_CYCLE_1)
	v_cmp_le_i16_e32 vcc_lo, v12, v13
	v_cmp_lt_i16_e64 s7, v12, v13
	s_and_b32 s29, vcc_lo, s28
	s_or_b32 s7, s7, s29
	s_delay_alu instid0(SALU_CYCLE_1) | instskip(NEXT) | instid1(SALU_CYCLE_1)
	s_and_b32 s29, s7, exec_lo
	s_or_b32 s27, s27, s29
	s_mov_b32 s29, exec_lo
	v_cmpx_eq_u16_e64 v10, v11
	s_cbranch_execz .LBB261_1197
; %bb.1199:                             ;   in Loop: Header=BB261_1198 Depth=1
	s_add_nc_u64 s[8:9], s[8:9], -1
	v_add_nc_u64_e32 v[4:5], 1, v[4:5]
	s_cmp_eq_u64 s[8:9], 0
	v_add_nc_u64_e32 v[6:7], 1, v[6:7]
	s_cselect_b32 s28, -1, 0
	s_and_not1_b32 s23, s23, exec_lo
	s_and_b32 s28, s28, exec_lo
	s_and_not1_b32 s27, s27, exec_lo
	s_or_b32 s23, s23, s28
                                        ; implicit-def: $sgpr28
	s_branch .LBB261_1197
.LBB261_1200:
	s_or_b32 exec_lo, exec_lo, s15
	s_xor_b32 s7, s22, -1
	s_branch .LBB261_1202
.LBB261_1201:
	s_mov_b32 s7, -1
.LBB261_1202:
	s_delay_alu instid0(SALU_CYCLE_1)
	s_and_b32 s7, s7, exec_lo
.LBB261_1203:
	s_or_b32 exec_lo, exec_lo, s12
	s_delay_alu instid0(SALU_CYCLE_1)
	s_or_not1_b32 s12, s7, exec_lo
.LBB261_1204:
	s_or_b32 exec_lo, exec_lo, s14
	v_dual_cndmask_b32 v4, v8, v9, s12 :: v_dual_cndmask_b32 v5, v25, v24, s12
	s_mov_b32 s14, exec_lo
	s_delay_alu instid0(VALU_DEP_1) | instskip(NEXT) | instid1(VALU_DEP_1)
	v_add_nc_u32_e32 v6, 1, v4
	v_add_min_u32_e64 v4, v5, -1, v6
	s_delay_alu instid0(VALU_DEP_1)
	v_lshl_add_u32 v4, v4, 3, v33
	ds_load_b64 v[4:5], v4
	s_wait_dscnt 0x0
	v_dual_cndmask_b32 v10, v5, v14, s12 :: v_dual_cndmask_b32 v8, v6, v8, s12
	v_dual_cndmask_b32 v9, v9, v6, s12 :: v_dual_cndmask_b32 v17, v4, v15, s12
	;; [unrolled: 1-line block ×3, first 2 shown]
	s_delay_alu instid0(VALU_DEP_3)
	v_cmpx_lt_u32_e64 v8, v25
	s_cbranch_execz .LBB261_1215
; %bb.1205:
	s_mov_b32 s7, 0
	s_mov_b32 s13, exec_lo
	v_cmpx_lt_u32_e64 v9, v24
	s_cbranch_execz .LBB261_1214
; %bb.1206:
	s_and_not1_b32 vcc_lo, exec_lo, s26
	s_cbranch_vccnz .LBB261_1212
; %bb.1207:
	v_mad_nc_u64_u32 v[4:5], v17, s16, s[18:19]
	v_mad_nc_u64_u32 v[6:7], v38, s16, s[18:19]
	s_mov_b32 s15, 0
	s_mov_b64 s[8:9], s[16:17]
                                        ; implicit-def: $sgpr22
                                        ; implicit-def: $sgpr23
                                        ; implicit-def: $sgpr27
                                        ; implicit-def: $sgpr28
	s_delay_alu instid0(VALU_DEP_2) | instskip(NEXT) | instid1(VALU_DEP_2)
	v_mad_u32 v5, v10, s16, v5
	v_mad_u32 v7, v11, s16, v7
	s_delay_alu instid0(VALU_DEP_2) | instskip(NEXT) | instid1(VALU_DEP_2)
	v_mad_u32 v5, v17, s17, v5
	v_mad_u32 v7, v38, s17, v7
	s_branch .LBB261_1209
.LBB261_1208:                           ;   in Loop: Header=BB261_1209 Depth=1
	s_or_b32 exec_lo, exec_lo, s29
	s_delay_alu instid0(SALU_CYCLE_1) | instskip(NEXT) | instid1(SALU_CYCLE_1)
	s_and_b32 s29, exec_lo, s23
	s_or_b32 s15, s29, s15
	s_and_not1_b32 s28, s28, exec_lo
	s_and_b32 s7, s7, exec_lo
	s_and_not1_b32 s22, s22, exec_lo
	s_and_b32 s29, s27, exec_lo
	s_or_b32 s28, s28, s7
	s_or_b32 s22, s22, s29
	s_and_not1_b32 exec_lo, exec_lo, s15
	s_cbranch_execz .LBB261_1211
.LBB261_1209:                           ; =>This Inner Loop Header: Depth=1
	global_load_u8 v12, v[4:5], off
	global_load_u8 v13, v[6:7], off
	s_and_not1_b32 s27, s27, exec_lo
	s_or_b32 s23, s23, exec_lo
	s_wait_loadcnt 0x1
	v_bfe_i32 v22, v12, 0, 8
	s_wait_loadcnt 0x0
	v_bfe_i32 v23, v13, 0, 8
	v_and_b32_e32 v12, 0xff, v12
	v_and_b32_e32 v13, 0xff, v13
	s_delay_alu instid0(VALU_DEP_3) | instskip(SKIP_2) | instid1(SALU_CYCLE_1)
	v_cmp_le_i16_e32 vcc_lo, v22, v23
	v_cmp_lt_i16_e64 s7, v22, v23
	s_and_b32 s29, vcc_lo, s28
	s_or_b32 s7, s7, s29
	s_delay_alu instid0(SALU_CYCLE_1) | instskip(NEXT) | instid1(SALU_CYCLE_1)
	s_and_b32 s29, s7, exec_lo
	s_or_b32 s27, s27, s29
	s_mov_b32 s29, exec_lo
	v_cmpx_eq_u16_e64 v12, v13
	s_cbranch_execz .LBB261_1208
; %bb.1210:                             ;   in Loop: Header=BB261_1209 Depth=1
	s_add_nc_u64 s[8:9], s[8:9], -1
	v_add_nc_u64_e32 v[4:5], 1, v[4:5]
	s_cmp_eq_u64 s[8:9], 0
	v_add_nc_u64_e32 v[6:7], 1, v[6:7]
	s_cselect_b32 s28, -1, 0
	s_and_not1_b32 s23, s23, exec_lo
	s_and_b32 s28, s28, exec_lo
	s_and_not1_b32 s27, s27, exec_lo
	s_or_b32 s23, s23, s28
                                        ; implicit-def: $sgpr28
	s_branch .LBB261_1208
.LBB261_1211:
	s_or_b32 exec_lo, exec_lo, s15
	s_xor_b32 s7, s22, -1
	s_branch .LBB261_1213
.LBB261_1212:
	s_mov_b32 s7, -1
.LBB261_1213:
	s_delay_alu instid0(SALU_CYCLE_1)
	s_and_b32 s7, s7, exec_lo
.LBB261_1214:
	s_or_b32 exec_lo, exec_lo, s13
	s_delay_alu instid0(SALU_CYCLE_1)
	s_or_not1_b32 s13, s7, exec_lo
.LBB261_1215:
	s_or_b32 exec_lo, exec_lo, s14
	v_dual_cndmask_b32 v4, v8, v9, s13 :: v_dual_cndmask_b32 v5, v25, v24, s13
	s_mov_b32 s15, -1
	s_mov_b32 s14, -1
	s_mov_b32 s22, exec_lo
	s_delay_alu instid0(VALU_DEP_1) | instskip(NEXT) | instid1(VALU_DEP_1)
	v_add_nc_u32_e32 v6, 1, v4
	v_add_min_u32_e64 v4, v5, -1, v6
	s_delay_alu instid0(VALU_DEP_1)
	v_lshl_add_u32 v4, v4, 3, v33
	ds_load_b64 v[4:5], v4
	s_wait_dscnt 0x0
	v_dual_cndmask_b32 v12, v5, v10, s13 :: v_dual_cndmask_b32 v8, v6, v8, s13
	v_dual_cndmask_b32 v9, v9, v6, s13 :: v_dual_cndmask_b32 v39, v4, v17, s13
	;; [unrolled: 1-line block ×3, first 2 shown]
	s_delay_alu instid0(VALU_DEP_3)
	v_cmpx_lt_u32_e64 v8, v25
	s_cbranch_execz .LBB261_1226
; %bb.1216:
	s_mov_b32 s7, 0
	s_mov_b32 s14, exec_lo
	v_cmpx_lt_u32_e64 v9, v24
	s_cbranch_execz .LBB261_1225
; %bb.1217:
	s_and_not1_b32 vcc_lo, exec_lo, s26
	s_cbranch_vccnz .LBB261_1223
; %bb.1218:
	v_mad_nc_u64_u32 v[4:5], v39, s16, s[18:19]
	v_mad_nc_u64_u32 v[6:7], v40, s16, s[18:19]
	s_mov_b32 s23, 0
	s_mov_b64 s[8:9], s[16:17]
                                        ; implicit-def: $sgpr27
                                        ; implicit-def: $sgpr28
                                        ; implicit-def: $sgpr29
                                        ; implicit-def: $sgpr30
	s_delay_alu instid0(VALU_DEP_2) | instskip(NEXT) | instid1(VALU_DEP_2)
	v_mad_u32 v5, v12, s16, v5
	v_mad_u32 v7, v13, s16, v7
	s_delay_alu instid0(VALU_DEP_2) | instskip(NEXT) | instid1(VALU_DEP_2)
	v_mad_u32 v5, v39, s17, v5
	v_mad_u32 v7, v40, s17, v7
	s_branch .LBB261_1220
.LBB261_1219:                           ;   in Loop: Header=BB261_1220 Depth=1
	s_or_b32 exec_lo, exec_lo, s31
	s_delay_alu instid0(SALU_CYCLE_1) | instskip(NEXT) | instid1(SALU_CYCLE_1)
	s_and_b32 s31, exec_lo, s28
	s_or_b32 s23, s31, s23
	s_and_not1_b32 s30, s30, exec_lo
	s_and_b32 s7, s7, exec_lo
	s_and_not1_b32 s27, s27, exec_lo
	s_and_b32 s31, s29, exec_lo
	s_or_b32 s30, s30, s7
	s_or_b32 s27, s27, s31
	s_and_not1_b32 exec_lo, exec_lo, s23
	s_cbranch_execz .LBB261_1222
.LBB261_1220:                           ; =>This Inner Loop Header: Depth=1
	global_load_u8 v22, v[4:5], off
	global_load_u8 v23, v[6:7], off
	s_and_not1_b32 s29, s29, exec_lo
	s_or_b32 s28, s28, exec_lo
	s_wait_loadcnt 0x1
	v_bfe_i32 v41, v22, 0, 8
	s_wait_loadcnt 0x0
	v_bfe_i32 v42, v23, 0, 8
	v_and_b32_e32 v22, 0xff, v22
	v_and_b32_e32 v23, 0xff, v23
	s_delay_alu instid0(VALU_DEP_3) | instskip(SKIP_2) | instid1(SALU_CYCLE_1)
	v_cmp_le_i16_e32 vcc_lo, v41, v42
	v_cmp_lt_i16_e64 s7, v41, v42
	s_and_b32 s31, vcc_lo, s30
	s_or_b32 s7, s7, s31
	s_delay_alu instid0(SALU_CYCLE_1) | instskip(NEXT) | instid1(SALU_CYCLE_1)
	s_and_b32 s31, s7, exec_lo
	s_or_b32 s29, s29, s31
	s_mov_b32 s31, exec_lo
	v_cmpx_eq_u16_e64 v22, v23
	s_cbranch_execz .LBB261_1219
; %bb.1221:                             ;   in Loop: Header=BB261_1220 Depth=1
	s_add_nc_u64 s[8:9], s[8:9], -1
	v_add_nc_u64_e32 v[4:5], 1, v[4:5]
	s_cmp_eq_u64 s[8:9], 0
	v_add_nc_u64_e32 v[6:7], 1, v[6:7]
	s_cselect_b32 s30, -1, 0
	s_and_not1_b32 s28, s28, exec_lo
	s_and_b32 s30, s30, exec_lo
	s_and_not1_b32 s29, s29, exec_lo
	s_or_b32 s28, s28, s30
                                        ; implicit-def: $sgpr30
	s_branch .LBB261_1219
.LBB261_1222:
	s_or_b32 exec_lo, exec_lo, s23
	s_xor_b32 s7, s27, -1
	s_branch .LBB261_1224
.LBB261_1223:
	s_mov_b32 s7, -1
.LBB261_1224:
	s_delay_alu instid0(SALU_CYCLE_1)
	s_and_b32 s7, s7, exec_lo
.LBB261_1225:
	s_or_b32 exec_lo, exec_lo, s14
	s_delay_alu instid0(SALU_CYCLE_1)
	s_or_not1_b32 s14, s7, exec_lo
.LBB261_1226:
	s_or_b32 exec_lo, exec_lo, s22
	v_dual_cndmask_b32 v4, v8, v9, s14 :: v_dual_cndmask_b32 v5, v25, v24, s14
	s_mov_b32 s22, exec_lo
	s_delay_alu instid0(VALU_DEP_1) | instskip(NEXT) | instid1(VALU_DEP_1)
	v_add_nc_u32_e32 v6, 1, v4
	v_add_min_u32_e64 v4, v5, -1, v6
	s_delay_alu instid0(VALU_DEP_1)
	v_lshl_add_u32 v4, v4, 3, v33
	ds_load_b64 v[4:5], v4
	s_wait_dscnt 0x0
	v_dual_cndmask_b32 v41, v5, v12, s14 :: v_dual_cndmask_b32 v42, v4, v39, s14
	v_dual_cndmask_b32 v8, v6, v8, s14 :: v_dual_cndmask_b32 v9, v9, v6, s14
	;; [unrolled: 1-line block ×3, first 2 shown]
	s_delay_alu instid0(VALU_DEP_2)
	v_cmpx_lt_u32_e64 v8, v25
	s_cbranch_execz .LBB261_1237
; %bb.1227:
	s_mov_b32 s7, 0
	s_mov_b32 s15, exec_lo
	v_cmpx_lt_u32_e64 v9, v24
	s_cbranch_execz .LBB261_1236
; %bb.1228:
	s_and_not1_b32 vcc_lo, exec_lo, s26
	s_cbranch_vccnz .LBB261_1234
; %bb.1229:
	v_mad_nc_u64_u32 v[4:5], v42, s16, s[18:19]
	v_mad_nc_u64_u32 v[6:7], v44, s16, s[18:19]
	s_mov_b32 s23, 0
	s_mov_b64 s[8:9], s[16:17]
                                        ; implicit-def: $sgpr27
                                        ; implicit-def: $sgpr28
                                        ; implicit-def: $sgpr29
                                        ; implicit-def: $sgpr30
	s_delay_alu instid0(VALU_DEP_2) | instskip(NEXT) | instid1(VALU_DEP_2)
	v_mad_u32 v5, v41, s16, v5
	v_mad_u32 v7, v43, s16, v7
	s_delay_alu instid0(VALU_DEP_2) | instskip(NEXT) | instid1(VALU_DEP_2)
	v_mad_u32 v5, v42, s17, v5
	v_mad_u32 v7, v44, s17, v7
	s_branch .LBB261_1231
.LBB261_1230:                           ;   in Loop: Header=BB261_1231 Depth=1
	s_or_b32 exec_lo, exec_lo, s31
	s_delay_alu instid0(SALU_CYCLE_1) | instskip(NEXT) | instid1(SALU_CYCLE_1)
	s_and_b32 s31, exec_lo, s28
	s_or_b32 s23, s31, s23
	s_and_not1_b32 s30, s30, exec_lo
	s_and_b32 s7, s7, exec_lo
	s_and_not1_b32 s27, s27, exec_lo
	s_and_b32 s31, s29, exec_lo
	s_or_b32 s30, s30, s7
	s_or_b32 s27, s27, s31
	s_and_not1_b32 exec_lo, exec_lo, s23
	s_cbranch_execz .LBB261_1233
.LBB261_1231:                           ; =>This Inner Loop Header: Depth=1
	global_load_u8 v22, v[4:5], off
	global_load_u8 v23, v[6:7], off
	s_and_not1_b32 s29, s29, exec_lo
	s_or_b32 s28, s28, exec_lo
	s_wait_loadcnt 0x1
	v_bfe_i32 v45, v22, 0, 8
	s_wait_loadcnt 0x0
	v_bfe_i32 v46, v23, 0, 8
	v_and_b32_e32 v22, 0xff, v22
	v_and_b32_e32 v23, 0xff, v23
	s_delay_alu instid0(VALU_DEP_3) | instskip(SKIP_2) | instid1(SALU_CYCLE_1)
	v_cmp_le_i16_e32 vcc_lo, v45, v46
	v_cmp_lt_i16_e64 s7, v45, v46
	s_and_b32 s31, vcc_lo, s30
	s_or_b32 s7, s7, s31
	s_delay_alu instid0(SALU_CYCLE_1) | instskip(NEXT) | instid1(SALU_CYCLE_1)
	s_and_b32 s31, s7, exec_lo
	s_or_b32 s29, s29, s31
	s_mov_b32 s31, exec_lo
	v_cmpx_eq_u16_e64 v22, v23
	s_cbranch_execz .LBB261_1230
; %bb.1232:                             ;   in Loop: Header=BB261_1231 Depth=1
	s_add_nc_u64 s[8:9], s[8:9], -1
	v_add_nc_u64_e32 v[4:5], 1, v[4:5]
	s_cmp_eq_u64 s[8:9], 0
	v_add_nc_u64_e32 v[6:7], 1, v[6:7]
	s_cselect_b32 s30, -1, 0
	s_and_not1_b32 s28, s28, exec_lo
	s_and_b32 s30, s30, exec_lo
	s_and_not1_b32 s29, s29, exec_lo
	s_or_b32 s28, s28, s30
                                        ; implicit-def: $sgpr30
	s_branch .LBB261_1230
.LBB261_1233:
	s_or_b32 exec_lo, exec_lo, s23
	s_xor_b32 s7, s27, -1
	s_branch .LBB261_1235
.LBB261_1234:
	s_mov_b32 s7, -1
.LBB261_1235:
	s_delay_alu instid0(SALU_CYCLE_1)
	s_and_b32 s7, s7, exec_lo
.LBB261_1236:
	s_or_b32 exec_lo, exec_lo, s15
	s_delay_alu instid0(SALU_CYCLE_1)
	s_or_not1_b32 s15, s7, exec_lo
.LBB261_1237:
	s_or_b32 exec_lo, exec_lo, s22
	v_dual_cndmask_b32 v4, v8, v9, s15 :: v_dual_cndmask_b32 v5, v25, v24, s15
	s_mov_b32 s22, -1
	s_mov_b32 s23, -1
	s_mov_b32 s27, exec_lo
	s_delay_alu instid0(VALU_DEP_1) | instskip(NEXT) | instid1(VALU_DEP_1)
	v_add_nc_u32_e32 v6, 1, v4
	v_add_min_u32_e64 v4, v5, -1, v6
	v_cndmask_b32_e64 v22, v6, v8, s15
	s_delay_alu instid0(VALU_DEP_2)
	v_lshl_add_u32 v4, v4, 3, v33
	ds_load_b64 v[4:5], v4
	s_wait_dscnt 0x0
	v_cndmask_b32_e64 v8, v5, v41, s15
	v_cndmask_b32_e64 v23, v9, v6, s15
	v_dual_cndmask_b32 v45, v4, v42, s15 :: v_dual_cndmask_b32 v9, v43, v5, s15
	v_cndmask_b32_e64 v46, v44, v4, s15
	v_cmpx_lt_u32_e64 v22, v25
	s_cbranch_execz .LBB261_1248
; %bb.1238:
	s_mov_b32 s7, 0
	s_mov_b32 s23, exec_lo
	v_cmpx_lt_u32_e64 v23, v24
	s_cbranch_execz .LBB261_1247
; %bb.1239:
	s_and_not1_b32 vcc_lo, exec_lo, s26
	s_cbranch_vccnz .LBB261_1245
; %bb.1240:
	v_mad_nc_u64_u32 v[4:5], v45, s16, s[18:19]
	v_mad_nc_u64_u32 v[6:7], v46, s16, s[18:19]
	s_mov_b32 s28, 0
	s_mov_b64 s[8:9], s[16:17]
                                        ; implicit-def: $sgpr29
                                        ; implicit-def: $sgpr30
                                        ; implicit-def: $sgpr31
                                        ; implicit-def: $sgpr33
	s_delay_alu instid0(VALU_DEP_2) | instskip(NEXT) | instid1(VALU_DEP_2)
	v_mad_u32 v5, v8, s16, v5
	v_mad_u32 v7, v9, s16, v7
	s_delay_alu instid0(VALU_DEP_2) | instskip(NEXT) | instid1(VALU_DEP_2)
	v_mad_u32 v5, v45, s17, v5
	v_mad_u32 v7, v46, s17, v7
	s_branch .LBB261_1242
.LBB261_1241:                           ;   in Loop: Header=BB261_1242 Depth=1
	s_or_b32 exec_lo, exec_lo, s34
	s_delay_alu instid0(SALU_CYCLE_1) | instskip(NEXT) | instid1(SALU_CYCLE_1)
	s_and_b32 s34, exec_lo, s30
	s_or_b32 s28, s34, s28
	s_and_not1_b32 s33, s33, exec_lo
	s_and_b32 s7, s7, exec_lo
	s_and_not1_b32 s29, s29, exec_lo
	s_and_b32 s34, s31, exec_lo
	s_or_b32 s33, s33, s7
	s_or_b32 s29, s29, s34
	s_and_not1_b32 exec_lo, exec_lo, s28
	s_cbranch_execz .LBB261_1244
.LBB261_1242:                           ; =>This Inner Loop Header: Depth=1
	global_load_u8 v47, v[4:5], off
	global_load_u8 v48, v[6:7], off
	s_and_not1_b32 s31, s31, exec_lo
	s_or_b32 s30, s30, exec_lo
	s_wait_loadcnt 0x1
	v_bfe_i32 v49, v47, 0, 8
	s_wait_loadcnt 0x0
	v_bfe_i32 v50, v48, 0, 8
	v_and_b32_e32 v47, 0xff, v47
	v_and_b32_e32 v48, 0xff, v48
	s_delay_alu instid0(VALU_DEP_3) | instskip(SKIP_2) | instid1(SALU_CYCLE_1)
	v_cmp_le_i16_e32 vcc_lo, v49, v50
	v_cmp_lt_i16_e64 s7, v49, v50
	s_and_b32 s34, vcc_lo, s33
	s_or_b32 s7, s7, s34
	s_delay_alu instid0(SALU_CYCLE_1) | instskip(NEXT) | instid1(SALU_CYCLE_1)
	s_and_b32 s34, s7, exec_lo
	s_or_b32 s31, s31, s34
	s_mov_b32 s34, exec_lo
	v_cmpx_eq_u16_e64 v47, v48
	s_cbranch_execz .LBB261_1241
; %bb.1243:                             ;   in Loop: Header=BB261_1242 Depth=1
	s_add_nc_u64 s[8:9], s[8:9], -1
	v_add_nc_u64_e32 v[4:5], 1, v[4:5]
	s_cmp_eq_u64 s[8:9], 0
	v_add_nc_u64_e32 v[6:7], 1, v[6:7]
	s_cselect_b32 s33, -1, 0
	s_and_not1_b32 s30, s30, exec_lo
	s_and_b32 s33, s33, exec_lo
	s_and_not1_b32 s31, s31, exec_lo
	s_or_b32 s30, s30, s33
                                        ; implicit-def: $sgpr33
	s_branch .LBB261_1241
.LBB261_1244:
	s_or_b32 exec_lo, exec_lo, s28
	s_xor_b32 s7, s29, -1
	s_branch .LBB261_1246
.LBB261_1245:
	s_mov_b32 s7, -1
.LBB261_1246:
	s_delay_alu instid0(SALU_CYCLE_1)
	s_and_b32 s7, s7, exec_lo
.LBB261_1247:
	s_or_b32 exec_lo, exec_lo, s23
	s_delay_alu instid0(SALU_CYCLE_1)
	s_or_not1_b32 s23, s7, exec_lo
.LBB261_1248:
	s_or_b32 exec_lo, exec_lo, s27
	v_dual_cndmask_b32 v4, v22, v23, s23 :: v_dual_cndmask_b32 v5, v25, v24, s23
	s_mov_b32 s27, exec_lo
	s_delay_alu instid0(VALU_DEP_1) | instskip(NEXT) | instid1(VALU_DEP_1)
	v_add_nc_u32_e32 v6, 1, v4
	v_add_min_u32_e64 v4, v5, -1, v6
	s_delay_alu instid0(VALU_DEP_1)
	v_lshl_add_u32 v4, v4, 3, v33
	ds_load_b64 v[4:5], v4
	s_wait_dscnt 0x0
	v_dual_cndmask_b32 v48, v5, v8, s23 :: v_dual_cndmask_b32 v49, v4, v45, s23
	v_cndmask_b32_e64 v50, v6, v22, s23
	v_dual_cndmask_b32 v47, v23, v6, s23 :: v_dual_cndmask_b32 v51, v9, v5, s23
	v_cndmask_b32_e64 v52, v46, v4, s23
	s_delay_alu instid0(VALU_DEP_3)
	v_cmpx_lt_u32_e64 v50, v25
	s_cbranch_execz .LBB261_1259
; %bb.1249:
	s_mov_b32 s7, 0
	s_mov_b32 s22, exec_lo
	v_cmpx_lt_u32_e64 v47, v24
	s_cbranch_execz .LBB261_1258
; %bb.1250:
	s_and_not1_b32 vcc_lo, exec_lo, s26
	s_cbranch_vccnz .LBB261_1256
; %bb.1251:
	v_mad_nc_u64_u32 v[4:5], v49, s16, s[18:19]
	v_mad_nc_u64_u32 v[6:7], v52, s16, s[18:19]
	s_mov_b32 s28, 0
	s_mov_b64 s[8:9], s[16:17]
                                        ; implicit-def: $sgpr29
                                        ; implicit-def: $sgpr30
                                        ; implicit-def: $sgpr31
                                        ; implicit-def: $sgpr33
	s_delay_alu instid0(VALU_DEP_2) | instskip(NEXT) | instid1(VALU_DEP_2)
	v_mad_u32 v5, v48, s16, v5
	v_mad_u32 v7, v51, s16, v7
	s_delay_alu instid0(VALU_DEP_2) | instskip(NEXT) | instid1(VALU_DEP_2)
	v_mad_u32 v5, v49, s17, v5
	v_mad_u32 v7, v52, s17, v7
	s_branch .LBB261_1253
.LBB261_1252:                           ;   in Loop: Header=BB261_1253 Depth=1
	s_or_b32 exec_lo, exec_lo, s34
	s_delay_alu instid0(SALU_CYCLE_1) | instskip(NEXT) | instid1(SALU_CYCLE_1)
	s_and_b32 s34, exec_lo, s30
	s_or_b32 s28, s34, s28
	s_and_not1_b32 s33, s33, exec_lo
	s_and_b32 s7, s7, exec_lo
	s_and_not1_b32 s29, s29, exec_lo
	s_and_b32 s34, s31, exec_lo
	s_or_b32 s33, s33, s7
	s_or_b32 s29, s29, s34
	s_and_not1_b32 exec_lo, exec_lo, s28
	s_cbranch_execz .LBB261_1255
.LBB261_1253:                           ; =>This Inner Loop Header: Depth=1
	global_load_u8 v22, v[4:5], off
	global_load_u8 v23, v[6:7], off
	s_and_not1_b32 s31, s31, exec_lo
	s_or_b32 s30, s30, exec_lo
	s_wait_loadcnt 0x1
	v_bfe_i32 v53, v22, 0, 8
	s_wait_loadcnt 0x0
	v_bfe_i32 v54, v23, 0, 8
	v_and_b32_e32 v22, 0xff, v22
	v_and_b32_e32 v23, 0xff, v23
	s_delay_alu instid0(VALU_DEP_3) | instskip(SKIP_2) | instid1(SALU_CYCLE_1)
	v_cmp_le_i16_e32 vcc_lo, v53, v54
	v_cmp_lt_i16_e64 s7, v53, v54
	s_and_b32 s34, vcc_lo, s33
	s_or_b32 s7, s7, s34
	s_delay_alu instid0(SALU_CYCLE_1) | instskip(NEXT) | instid1(SALU_CYCLE_1)
	s_and_b32 s34, s7, exec_lo
	s_or_b32 s31, s31, s34
	s_mov_b32 s34, exec_lo
	v_cmpx_eq_u16_e64 v22, v23
	s_cbranch_execz .LBB261_1252
; %bb.1254:                             ;   in Loop: Header=BB261_1253 Depth=1
	s_add_nc_u64 s[8:9], s[8:9], -1
	v_add_nc_u64_e32 v[4:5], 1, v[4:5]
	s_cmp_eq_u64 s[8:9], 0
	v_add_nc_u64_e32 v[6:7], 1, v[6:7]
	s_cselect_b32 s33, -1, 0
	s_and_not1_b32 s30, s30, exec_lo
	s_and_b32 s33, s33, exec_lo
	s_and_not1_b32 s31, s31, exec_lo
	s_or_b32 s30, s30, s33
                                        ; implicit-def: $sgpr33
	s_branch .LBB261_1252
.LBB261_1255:
	s_or_b32 exec_lo, exec_lo, s28
	s_xor_b32 s7, s29, -1
	s_branch .LBB261_1257
.LBB261_1256:
	s_mov_b32 s7, -1
.LBB261_1257:
	s_delay_alu instid0(SALU_CYCLE_1)
	s_and_b32 s7, s7, exec_lo
.LBB261_1258:
	s_or_b32 exec_lo, exec_lo, s22
	s_delay_alu instid0(SALU_CYCLE_1)
	s_or_not1_b32 s22, s7, exec_lo
.LBB261_1259:
	s_or_b32 exec_lo, exec_lo, s27
	v_dual_cndmask_b32 v4, v50, v47, s22 :: v_dual_cndmask_b32 v5, v25, v24, s22
	v_dual_cndmask_b32 v7, v41, v43, s15 :: v_dual_cndmask_b32 v13, v12, v13, s14
	;; [unrolled: 1-line block ×3, first 2 shown]
	s_delay_alu instid0(VALU_DEP_3) | instskip(SKIP_2) | instid1(VALU_DEP_3)
	v_dual_add_nc_u32 v53, 1, v4 :: v_dual_cndmask_b32 v9, v8, v9, s23
	v_dual_cndmask_b32 v8, v45, v46, s23 :: v_dual_cndmask_b32 v6, v42, v44, s15
	v_dual_cndmask_b32 v10, v17, v38, s13 :: v_dual_cndmask_b32 v17, v14, v16, s12
	v_add_min_u32_e64 v4, v5, -1, v53
	v_dual_cndmask_b32 v16, v15, v37, s12 :: v_dual_cndmask_b32 v14, v2, v0, s11
	v_dual_cndmask_b32 v15, v3, v1, s11 :: v_dual_cndmask_b32 v0, v53, v50, s22
	s_delay_alu instid0(VALU_DEP_3)
	v_lshl_add_u32 v4, v4, 3, v33
	v_dual_cndmask_b32 v3, v48, v51, s22 :: v_dual_cndmask_b32 v2, v49, v52, s22
	s_mov_b32 s11, exec_lo
	ds_load_b64 v[22:23], v4
	s_wait_dscnt 0x0
	v_dual_cndmask_b32 v5, v51, v23, s22 :: v_dual_cndmask_b32 v4, v52, v22, s22
	v_cmpx_lt_u32_e64 v0, v25
	s_cbranch_execz .LBB261_1269
; %bb.1260:
	v_cndmask_b32_e64 v25, v47, v53, s22
	v_dual_cndmask_b32 v1, v23, v48, s22 :: v_dual_cndmask_b32 v0, v22, v49, s22
	s_mov_b32 s12, exec_lo
	s_delay_alu instid0(VALU_DEP_2)
	v_cmpx_lt_u32_e64 v25, v24
	s_cbranch_execz .LBB261_1268
; %bb.1261:
	s_and_not1_b32 vcc_lo, exec_lo, s26
	s_cbranch_vccnz .LBB261_1267
; %bb.1262:
	v_mad_nc_u64_u32 v[22:23], v0, s16, s[18:19]
	v_mad_nc_u64_u32 v[24:25], v4, s16, s[18:19]
	s_mov_b32 s13, 0
	s_mov_b64 s[8:9], s[16:17]
                                        ; implicit-def: $sgpr14
                                        ; implicit-def: $sgpr15
                                        ; implicit-def: $sgpr22
                                        ; implicit-def: $sgpr23
	s_delay_alu instid0(VALU_DEP_2) | instskip(NEXT) | instid1(VALU_DEP_2)
	v_mad_u32 v23, v1, s16, v23
	v_mad_u32 v25, v5, s16, v25
	s_delay_alu instid0(VALU_DEP_2) | instskip(NEXT) | instid1(VALU_DEP_2)
	v_mad_u32 v23, v0, s17, v23
	v_mad_u32 v25, v4, s17, v25
	s_branch .LBB261_1264
.LBB261_1263:                           ;   in Loop: Header=BB261_1264 Depth=1
	s_or_b32 exec_lo, exec_lo, s27
	s_delay_alu instid0(SALU_CYCLE_1) | instskip(NEXT) | instid1(SALU_CYCLE_1)
	s_and_b32 s27, exec_lo, s15
	s_or_b32 s13, s27, s13
	s_and_not1_b32 s23, s23, exec_lo
	s_and_b32 s7, s7, exec_lo
	s_and_not1_b32 s14, s14, exec_lo
	s_and_b32 s27, s22, exec_lo
	s_or_b32 s23, s23, s7
	s_or_b32 s14, s14, s27
	s_and_not1_b32 exec_lo, exec_lo, s13
	s_cbranch_execz .LBB261_1266
.LBB261_1264:                           ; =>This Inner Loop Header: Depth=1
	global_load_u8 v37, v[22:23], off
	global_load_u8 v38, v[24:25], off
	s_and_not1_b32 s22, s22, exec_lo
	s_or_b32 s15, s15, exec_lo
	s_wait_loadcnt 0x1
	v_bfe_i32 v39, v37, 0, 8
	s_wait_loadcnt 0x0
	v_bfe_i32 v40, v38, 0, 8
	v_and_b32_e32 v37, 0xff, v37
	v_and_b32_e32 v38, 0xff, v38
	s_delay_alu instid0(VALU_DEP_3) | instskip(SKIP_2) | instid1(SALU_CYCLE_1)
	v_cmp_le_i16_e32 vcc_lo, v39, v40
	v_cmp_lt_i16_e64 s7, v39, v40
	s_and_b32 s27, vcc_lo, s23
	s_or_b32 s7, s7, s27
	s_delay_alu instid0(SALU_CYCLE_1) | instskip(NEXT) | instid1(SALU_CYCLE_1)
	s_and_b32 s27, s7, exec_lo
	s_or_b32 s22, s22, s27
	s_mov_b32 s27, exec_lo
	v_cmpx_eq_u16_e64 v37, v38
	s_cbranch_execz .LBB261_1263
; %bb.1265:                             ;   in Loop: Header=BB261_1264 Depth=1
	s_add_nc_u64 s[8:9], s[8:9], -1
	v_add_nc_u64_e32 v[22:23], 1, v[22:23]
	s_cmp_eq_u64 s[8:9], 0
	v_add_nc_u64_e32 v[24:25], 1, v[24:25]
	s_cselect_b32 s23, -1, 0
	s_and_not1_b32 s15, s15, exec_lo
	s_and_b32 s23, s23, exec_lo
	s_and_not1_b32 s22, s22, exec_lo
	s_or_b32 s15, s15, s23
                                        ; implicit-def: $sgpr23
	s_branch .LBB261_1263
.LBB261_1266:
	s_or_b32 exec_lo, exec_lo, s13
	v_dual_cndmask_b32 v5, v5, v1, s14 :: v_dual_cndmask_b32 v4, v4, v0, s14
.LBB261_1267:
	s_delay_alu instid0(VALU_DEP_1)
	v_mov_b64_e32 v[0:1], v[4:5]
.LBB261_1268:
	s_or_b32 exec_lo, exec_lo, s12
	s_delay_alu instid0(VALU_DEP_1)
	v_mov_b64_e32 v[4:5], v[0:1]
.LBB261_1269:
	s_or_b32 exec_lo, exec_lo, s11
.LBB261_1270:
	s_delay_alu instid0(SALU_CYCLE_1)
	s_or_b32 exec_lo, exec_lo, s10
	v_and_b32_e32 v37, 0x80, v35
	s_mov_b32 s10, exec_lo
	; wave barrier
	ds_store_b128 v36, v[14:17]
	ds_store_b128 v36, v[10:13] offset:16
	v_or_b32_e32 v0, 64, v37
	ds_store_b128 v36, v[6:9] offset:32
	ds_store_b128 v36, v[2:5] offset:48
	; wave barrier
	v_min_u32_e32 v24, v34, v0
	v_and_b32_e32 v0, 0x78, v35
	v_lshl_add_u32 v35, v37, 3, v33
	s_delay_alu instid0(VALU_DEP_3) | instskip(NEXT) | instid1(VALU_DEP_3)
	v_add_min_u32_e64 v25, v24, 64, v34
	v_min_u32_e32 v38, v34, v0
	s_delay_alu instid0(VALU_DEP_2) | instskip(NEXT) | instid1(VALU_DEP_1)
	v_dual_sub_nc_u32 v1, v24, v37 :: v_dual_sub_nc_u32 v0, v25, v24
	v_min_u32_e32 v39, v38, v1
	s_delay_alu instid0(VALU_DEP_2) | instskip(NEXT) | instid1(VALU_DEP_1)
	v_sub_nc_u32_e64 v34, v38, v0 clamp
	v_cmpx_lt_u32_e64 v34, v39
	s_cbranch_execz .LBB261_1280
; %bb.1271:
	v_dual_lshlrev_b32 v0, 3, v24 :: v_dual_lshlrev_b32 v1, 3, v38
	s_mov_b32 s11, 0
	s_delay_alu instid0(VALU_DEP_1)
	v_add3_u32 v36, v33, v0, v1
	s_branch .LBB261_1274
.LBB261_1272:                           ;   in Loop: Header=BB261_1274 Depth=1
	s_or_b32 exec_lo, exec_lo, s13
.LBB261_1273:                           ;   in Loop: Header=BB261_1274 Depth=1
	s_delay_alu instid0(VALU_DEP_1) | instskip(NEXT) | instid1(VALU_DEP_1)
	v_dual_add_nc_u32 v0, 1, v40 :: v_dual_cndmask_b32 v39, v39, v40, s12
	v_cndmask_b32_e64 v34, v0, v34, s12
	s_delay_alu instid0(VALU_DEP_1) | instskip(SKIP_1) | instid1(SALU_CYCLE_1)
	v_cmp_ge_u32_e32 vcc_lo, v34, v39
	s_or_b32 s11, vcc_lo, s11
	s_and_not1_b32 exec_lo, exec_lo, s11
	s_cbranch_execz .LBB261_1279
.LBB261_1274:                           ; =>This Loop Header: Depth=1
                                        ;     Child Loop BB261_1277 Depth 2
	v_add_nc_u32_e32 v0, v39, v34
	s_and_not1_b32 vcc_lo, exec_lo, s26
	s_mov_b32 s12, 0
	s_delay_alu instid0(VALU_DEP_1)
	v_lshrrev_b32_e32 v40, 1, v0
	s_cbranch_vccnz .LBB261_1273
; %bb.1275:                             ;   in Loop: Header=BB261_1274 Depth=1
	s_delay_alu instid0(VALU_DEP_1) | instskip(SKIP_3) | instid1(VALU_DEP_2)
	v_not_b32_e32 v0, v40
	v_lshl_add_u32 v1, v40, 3, v35
	s_mov_b32 s13, 0
	s_mov_b64 s[8:9], s[16:17]
                                        ; implicit-def: $sgpr12
                                        ; implicit-def: $sgpr14
                                        ; implicit-def: $sgpr15
                                        ; implicit-def: $sgpr22
	v_lshl_add_u32 v0, v0, 3, v36
	ds_load_b64 v[42:43], v0
	ds_load_b64 v[44:45], v1
	s_wait_dscnt 0x1
	v_mad_nc_u64_u32 v[0:1], v42, s16, s[18:19]
	s_wait_dscnt 0x0
	v_mad_nc_u64_u32 v[22:23], v44, s16, s[18:19]
	s_delay_alu instid0(VALU_DEP_2) | instskip(NEXT) | instid1(VALU_DEP_2)
	v_mad_u32 v1, v43, s16, v1
	v_mad_u32 v23, v45, s16, v23
	s_delay_alu instid0(VALU_DEP_2) | instskip(NEXT) | instid1(VALU_DEP_2)
	v_mad_u32 v1, v42, s17, v1
	v_mad_u32 v23, v44, s17, v23
	s_branch .LBB261_1277
.LBB261_1276:                           ;   in Loop: Header=BB261_1277 Depth=2
	s_or_b32 exec_lo, exec_lo, s23
	s_delay_alu instid0(SALU_CYCLE_1) | instskip(NEXT) | instid1(SALU_CYCLE_1)
	s_and_b32 s23, exec_lo, s14
	s_or_b32 s13, s23, s13
	s_and_not1_b32 s22, s22, exec_lo
	s_and_b32 s7, s7, exec_lo
	s_and_not1_b32 s12, s12, exec_lo
	s_and_b32 s23, s15, exec_lo
	s_or_b32 s22, s22, s7
	s_or_b32 s12, s12, s23
	s_and_not1_b32 exec_lo, exec_lo, s13
	s_cbranch_execz .LBB261_1272
.LBB261_1277:                           ;   Parent Loop BB261_1274 Depth=1
                                        ; =>  This Inner Loop Header: Depth=2
	global_load_u8 v41, v[0:1], off
	global_load_u8 v42, v[22:23], off
	s_and_not1_b32 s15, s15, exec_lo
	s_or_b32 s14, s14, exec_lo
	s_wait_loadcnt 0x1
	v_bfe_i32 v43, v41, 0, 8
	s_wait_loadcnt 0x0
	v_bfe_i32 v44, v42, 0, 8
	v_and_b32_e32 v41, 0xff, v41
	v_and_b32_e32 v42, 0xff, v42
	s_delay_alu instid0(VALU_DEP_3) | instskip(SKIP_2) | instid1(SALU_CYCLE_1)
	v_cmp_le_i16_e32 vcc_lo, v43, v44
	v_cmp_lt_i16_e64 s7, v43, v44
	s_and_b32 s23, vcc_lo, s22
	s_or_b32 s7, s7, s23
	s_delay_alu instid0(SALU_CYCLE_1) | instskip(NEXT) | instid1(SALU_CYCLE_1)
	s_and_b32 s23, s7, exec_lo
	s_or_b32 s15, s15, s23
	s_mov_b32 s23, exec_lo
	v_cmpx_eq_u16_e64 v41, v42
	s_cbranch_execz .LBB261_1276
; %bb.1278:                             ;   in Loop: Header=BB261_1277 Depth=2
	s_add_nc_u64 s[8:9], s[8:9], -1
	v_add_nc_u64_e32 v[0:1], 1, v[0:1]
	s_cmp_eq_u64 s[8:9], 0
	v_add_nc_u64_e32 v[22:23], 1, v[22:23]
	s_cselect_b32 s22, -1, 0
	s_and_not1_b32 s14, s14, exec_lo
	s_and_b32 s22, s22, exec_lo
	s_and_not1_b32 s15, s15, exec_lo
	s_or_b32 s14, s14, s22
                                        ; implicit-def: $sgpr22
	s_branch .LBB261_1276
.LBB261_1279:
	s_or_b32 exec_lo, exec_lo, s11
.LBB261_1280:
	s_delay_alu instid0(SALU_CYCLE_1) | instskip(SKIP_1) | instid1(VALU_DEP_1)
	s_or_b32 exec_lo, exec_lo, s10
	v_dual_add_nc_u32 v0, v24, v38 :: v_dual_add_nc_u32 v22, v34, v37
	v_sub_nc_u32_e32 v23, v0, v34
	s_delay_alu instid0(VALU_DEP_2) | instskip(NEXT) | instid1(VALU_DEP_2)
	v_cmp_le_u32_e32 vcc_lo, v22, v24
	v_cmp_le_u32_e64 s7, v23, v25
	s_or_b32 s7, vcc_lo, s7
	s_delay_alu instid0(SALU_CYCLE_1)
	s_and_saveexec_b32 s10, s7
	s_cbranch_execz .LBB261_1371
; %bb.1281:
	s_mov_b32 s8, exec_lo
	v_cmp_ge_u32_e32 vcc_lo, v22, v24
                                        ; implicit-def: $vgpr0_vgpr1
	v_cmpx_lt_u32_e64 v22, v24
; %bb.1282:
	v_lshl_add_u32 v0, v34, 3, v35
	ds_load_b64 v[0:1], v0
; %bb.1283:
	s_or_b32 exec_lo, exec_lo, s8
	v_cmp_ge_u32_e64 s11, v23, v25
	s_mov_b32 s8, exec_lo
                                        ; implicit-def: $vgpr2_vgpr3
	v_cmpx_lt_u32_e64 v23, v25
; %bb.1284:
	v_lshl_add_u32 v2, v23, 3, v33
	ds_load_b64 v[2:3], v2
; %bb.1285:
	s_or_b32 exec_lo, exec_lo, s8
	s_nor_b32 s7, vcc_lo, s11
	s_delay_alu instid0(SALU_CYCLE_1)
	s_and_saveexec_b32 s12, s7
	s_cbranch_execz .LBB261_1294
; %bb.1286:
	s_and_not1_b32 vcc_lo, exec_lo, s26
	s_cbranch_vccnz .LBB261_1292
; %bb.1287:
	s_wait_dscnt 0x0
	v_mad_nc_u64_u32 v[4:5], v2, s16, s[18:19]
	v_mad_nc_u64_u32 v[6:7], v0, s16, s[18:19]
	s_mov_b32 s13, 0
	s_mov_b64 s[8:9], s[16:17]
                                        ; implicit-def: $sgpr14
                                        ; implicit-def: $sgpr15
                                        ; implicit-def: $sgpr22
                                        ; implicit-def: $sgpr23
	s_delay_alu instid0(VALU_DEP_2) | instskip(NEXT) | instid1(VALU_DEP_2)
	v_mad_u32 v5, v3, s16, v5
	v_mad_u32 v7, v1, s16, v7
	s_delay_alu instid0(VALU_DEP_2) | instskip(NEXT) | instid1(VALU_DEP_2)
	v_mad_u32 v5, v2, s17, v5
	v_mad_u32 v7, v0, s17, v7
	s_branch .LBB261_1289
.LBB261_1288:                           ;   in Loop: Header=BB261_1289 Depth=1
	s_or_b32 exec_lo, exec_lo, s27
	s_delay_alu instid0(SALU_CYCLE_1) | instskip(NEXT) | instid1(SALU_CYCLE_1)
	s_and_b32 s27, exec_lo, s15
	s_or_b32 s13, s27, s13
	s_and_not1_b32 s23, s23, exec_lo
	s_and_b32 s7, s7, exec_lo
	s_and_not1_b32 s14, s14, exec_lo
	s_and_b32 s27, s22, exec_lo
	s_or_b32 s23, s23, s7
	s_or_b32 s14, s14, s27
	s_and_not1_b32 exec_lo, exec_lo, s13
	s_cbranch_execz .LBB261_1291
.LBB261_1289:                           ; =>This Inner Loop Header: Depth=1
	global_load_u8 v8, v[4:5], off
	global_load_u8 v9, v[6:7], off
	s_and_not1_b32 s22, s22, exec_lo
	s_or_b32 s15, s15, exec_lo
	s_wait_loadcnt 0x1
	v_bfe_i32 v10, v8, 0, 8
	s_wait_loadcnt 0x0
	v_bfe_i32 v11, v9, 0, 8
	v_and_b32_e32 v8, 0xff, v8
	v_and_b32_e32 v9, 0xff, v9
	s_delay_alu instid0(VALU_DEP_3) | instskip(SKIP_2) | instid1(SALU_CYCLE_1)
	v_cmp_le_i16_e32 vcc_lo, v10, v11
	v_cmp_lt_i16_e64 s7, v10, v11
	s_and_b32 s27, vcc_lo, s23
	s_or_b32 s7, s7, s27
	s_delay_alu instid0(SALU_CYCLE_1) | instskip(NEXT) | instid1(SALU_CYCLE_1)
	s_and_b32 s27, s7, exec_lo
	s_or_b32 s22, s22, s27
	s_mov_b32 s27, exec_lo
	v_cmpx_eq_u16_e64 v8, v9
	s_cbranch_execz .LBB261_1288
; %bb.1290:                             ;   in Loop: Header=BB261_1289 Depth=1
	s_add_nc_u64 s[8:9], s[8:9], -1
	v_add_nc_u64_e32 v[4:5], 1, v[4:5]
	s_cmp_eq_u64 s[8:9], 0
	v_add_nc_u64_e32 v[6:7], 1, v[6:7]
	s_cselect_b32 s23, -1, 0
	s_and_not1_b32 s15, s15, exec_lo
	s_and_b32 s23, s23, exec_lo
	s_and_not1_b32 s22, s22, exec_lo
	s_or_b32 s15, s15, s23
                                        ; implicit-def: $sgpr23
	s_branch .LBB261_1288
.LBB261_1291:
	s_or_b32 exec_lo, exec_lo, s13
	s_xor_b32 s7, s14, -1
	s_branch .LBB261_1293
.LBB261_1292:
	s_mov_b32 s7, -1
.LBB261_1293:
	s_and_not1_b32 s8, s11, exec_lo
	s_and_b32 s7, s7, exec_lo
	s_delay_alu instid0(SALU_CYCLE_1)
	s_or_b32 s11, s8, s7
.LBB261_1294:
	s_or_b32 exec_lo, exec_lo, s12
	v_dual_cndmask_b32 v4, v23, v22, s11 :: v_dual_cndmask_b32 v5, v25, v24, s11
	s_mov_b32 s13, -1
	s_mov_b32 s12, -1
	s_mov_b32 s14, exec_lo
	s_delay_alu instid0(VALU_DEP_1) | instskip(NEXT) | instid1(VALU_DEP_1)
	v_add_nc_u32_e32 v6, 1, v4
	v_add_min_u32_e64 v4, v5, -1, v6
	s_delay_alu instid0(VALU_DEP_1)
	v_lshl_add_u32 v4, v4, 3, v33
	ds_load_b64 v[4:5], v4
	s_wait_dscnt 0x0
	v_cndmask_b32_e64 v14, v5, v3, s11
	v_dual_cndmask_b32 v8, v6, v23, s11 :: v_dual_cndmask_b32 v15, v4, v2, s11
	v_dual_cndmask_b32 v9, v22, v6, s11 :: v_dual_cndmask_b32 v16, v1, v5, s11
	v_cndmask_b32_e64 v34, v0, v4, s11
	s_delay_alu instid0(VALU_DEP_3)
	v_cmpx_lt_u32_e64 v8, v25
	s_cbranch_execz .LBB261_1305
; %bb.1295:
	s_mov_b32 s7, 0
	s_mov_b32 s12, exec_lo
	v_cmpx_lt_u32_e64 v9, v24
	s_cbranch_execz .LBB261_1304
; %bb.1296:
	s_and_not1_b32 vcc_lo, exec_lo, s26
	s_cbranch_vccnz .LBB261_1302
; %bb.1297:
	v_mad_nc_u64_u32 v[4:5], v15, s16, s[18:19]
	v_mad_nc_u64_u32 v[6:7], v34, s16, s[18:19]
	s_mov_b32 s15, 0
	s_mov_b64 s[8:9], s[16:17]
                                        ; implicit-def: $sgpr22
                                        ; implicit-def: $sgpr23
                                        ; implicit-def: $sgpr27
                                        ; implicit-def: $sgpr28
	s_delay_alu instid0(VALU_DEP_2) | instskip(NEXT) | instid1(VALU_DEP_2)
	v_mad_u32 v5, v14, s16, v5
	v_mad_u32 v7, v16, s16, v7
	s_delay_alu instid0(VALU_DEP_2) | instskip(NEXT) | instid1(VALU_DEP_2)
	v_mad_u32 v5, v15, s17, v5
	v_mad_u32 v7, v34, s17, v7
	s_branch .LBB261_1299
.LBB261_1298:                           ;   in Loop: Header=BB261_1299 Depth=1
	s_or_b32 exec_lo, exec_lo, s29
	s_delay_alu instid0(SALU_CYCLE_1) | instskip(NEXT) | instid1(SALU_CYCLE_1)
	s_and_b32 s29, exec_lo, s23
	s_or_b32 s15, s29, s15
	s_and_not1_b32 s28, s28, exec_lo
	s_and_b32 s7, s7, exec_lo
	s_and_not1_b32 s22, s22, exec_lo
	s_and_b32 s29, s27, exec_lo
	s_or_b32 s28, s28, s7
	s_or_b32 s22, s22, s29
	s_and_not1_b32 exec_lo, exec_lo, s15
	s_cbranch_execz .LBB261_1301
.LBB261_1299:                           ; =>This Inner Loop Header: Depth=1
	global_load_u8 v10, v[4:5], off
	global_load_u8 v11, v[6:7], off
	s_and_not1_b32 s27, s27, exec_lo
	s_or_b32 s23, s23, exec_lo
	s_wait_loadcnt 0x1
	v_bfe_i32 v12, v10, 0, 8
	s_wait_loadcnt 0x0
	v_bfe_i32 v13, v11, 0, 8
	v_and_b32_e32 v10, 0xff, v10
	v_and_b32_e32 v11, 0xff, v11
	s_delay_alu instid0(VALU_DEP_3) | instskip(SKIP_2) | instid1(SALU_CYCLE_1)
	v_cmp_le_i16_e32 vcc_lo, v12, v13
	v_cmp_lt_i16_e64 s7, v12, v13
	s_and_b32 s29, vcc_lo, s28
	s_or_b32 s7, s7, s29
	s_delay_alu instid0(SALU_CYCLE_1) | instskip(NEXT) | instid1(SALU_CYCLE_1)
	s_and_b32 s29, s7, exec_lo
	s_or_b32 s27, s27, s29
	s_mov_b32 s29, exec_lo
	v_cmpx_eq_u16_e64 v10, v11
	s_cbranch_execz .LBB261_1298
; %bb.1300:                             ;   in Loop: Header=BB261_1299 Depth=1
	s_add_nc_u64 s[8:9], s[8:9], -1
	v_add_nc_u64_e32 v[4:5], 1, v[4:5]
	s_cmp_eq_u64 s[8:9], 0
	v_add_nc_u64_e32 v[6:7], 1, v[6:7]
	s_cselect_b32 s28, -1, 0
	s_and_not1_b32 s23, s23, exec_lo
	s_and_b32 s28, s28, exec_lo
	s_and_not1_b32 s27, s27, exec_lo
	s_or_b32 s23, s23, s28
                                        ; implicit-def: $sgpr28
	s_branch .LBB261_1298
.LBB261_1301:
	s_or_b32 exec_lo, exec_lo, s15
	s_xor_b32 s7, s22, -1
	s_branch .LBB261_1303
.LBB261_1302:
	s_mov_b32 s7, -1
.LBB261_1303:
	s_delay_alu instid0(SALU_CYCLE_1)
	s_and_b32 s7, s7, exec_lo
.LBB261_1304:
	s_or_b32 exec_lo, exec_lo, s12
	s_delay_alu instid0(SALU_CYCLE_1)
	s_or_not1_b32 s12, s7, exec_lo
.LBB261_1305:
	s_or_b32 exec_lo, exec_lo, s14
	v_dual_cndmask_b32 v4, v8, v9, s12 :: v_dual_cndmask_b32 v5, v25, v24, s12
	s_mov_b32 s14, exec_lo
	s_delay_alu instid0(VALU_DEP_1) | instskip(NEXT) | instid1(VALU_DEP_1)
	v_add_nc_u32_e32 v6, 1, v4
	v_add_min_u32_e64 v4, v5, -1, v6
	s_delay_alu instid0(VALU_DEP_1)
	v_lshl_add_u32 v4, v4, 3, v33
	ds_load_b64 v[4:5], v4
	s_wait_dscnt 0x0
	v_dual_cndmask_b32 v10, v5, v14, s12 :: v_dual_cndmask_b32 v8, v6, v8, s12
	v_dual_cndmask_b32 v9, v9, v6, s12 :: v_dual_cndmask_b32 v17, v4, v15, s12
	;; [unrolled: 1-line block ×3, first 2 shown]
	s_delay_alu instid0(VALU_DEP_3)
	v_cmpx_lt_u32_e64 v8, v25
	s_cbranch_execz .LBB261_1316
; %bb.1306:
	s_mov_b32 s7, 0
	s_mov_b32 s13, exec_lo
	v_cmpx_lt_u32_e64 v9, v24
	s_cbranch_execz .LBB261_1315
; %bb.1307:
	s_and_not1_b32 vcc_lo, exec_lo, s26
	s_cbranch_vccnz .LBB261_1313
; %bb.1308:
	v_mad_nc_u64_u32 v[4:5], v17, s16, s[18:19]
	v_mad_nc_u64_u32 v[6:7], v35, s16, s[18:19]
	s_mov_b32 s15, 0
	s_mov_b64 s[8:9], s[16:17]
                                        ; implicit-def: $sgpr22
                                        ; implicit-def: $sgpr23
                                        ; implicit-def: $sgpr27
                                        ; implicit-def: $sgpr28
	s_delay_alu instid0(VALU_DEP_2) | instskip(NEXT) | instid1(VALU_DEP_2)
	v_mad_u32 v5, v10, s16, v5
	v_mad_u32 v7, v11, s16, v7
	s_delay_alu instid0(VALU_DEP_2) | instskip(NEXT) | instid1(VALU_DEP_2)
	v_mad_u32 v5, v17, s17, v5
	v_mad_u32 v7, v35, s17, v7
	s_branch .LBB261_1310
.LBB261_1309:                           ;   in Loop: Header=BB261_1310 Depth=1
	s_or_b32 exec_lo, exec_lo, s29
	s_delay_alu instid0(SALU_CYCLE_1) | instskip(NEXT) | instid1(SALU_CYCLE_1)
	s_and_b32 s29, exec_lo, s23
	s_or_b32 s15, s29, s15
	s_and_not1_b32 s28, s28, exec_lo
	s_and_b32 s7, s7, exec_lo
	s_and_not1_b32 s22, s22, exec_lo
	s_and_b32 s29, s27, exec_lo
	s_or_b32 s28, s28, s7
	s_or_b32 s22, s22, s29
	s_and_not1_b32 exec_lo, exec_lo, s15
	s_cbranch_execz .LBB261_1312
.LBB261_1310:                           ; =>This Inner Loop Header: Depth=1
	global_load_u8 v12, v[4:5], off
	global_load_u8 v13, v[6:7], off
	s_and_not1_b32 s27, s27, exec_lo
	s_or_b32 s23, s23, exec_lo
	s_wait_loadcnt 0x1
	v_bfe_i32 v22, v12, 0, 8
	s_wait_loadcnt 0x0
	v_bfe_i32 v23, v13, 0, 8
	v_and_b32_e32 v12, 0xff, v12
	v_and_b32_e32 v13, 0xff, v13
	s_delay_alu instid0(VALU_DEP_3) | instskip(SKIP_2) | instid1(SALU_CYCLE_1)
	v_cmp_le_i16_e32 vcc_lo, v22, v23
	v_cmp_lt_i16_e64 s7, v22, v23
	s_and_b32 s29, vcc_lo, s28
	s_or_b32 s7, s7, s29
	s_delay_alu instid0(SALU_CYCLE_1) | instskip(NEXT) | instid1(SALU_CYCLE_1)
	s_and_b32 s29, s7, exec_lo
	s_or_b32 s27, s27, s29
	s_mov_b32 s29, exec_lo
	v_cmpx_eq_u16_e64 v12, v13
	s_cbranch_execz .LBB261_1309
; %bb.1311:                             ;   in Loop: Header=BB261_1310 Depth=1
	s_add_nc_u64 s[8:9], s[8:9], -1
	v_add_nc_u64_e32 v[4:5], 1, v[4:5]
	s_cmp_eq_u64 s[8:9], 0
	v_add_nc_u64_e32 v[6:7], 1, v[6:7]
	s_cselect_b32 s28, -1, 0
	s_and_not1_b32 s23, s23, exec_lo
	s_and_b32 s28, s28, exec_lo
	s_and_not1_b32 s27, s27, exec_lo
	s_or_b32 s23, s23, s28
                                        ; implicit-def: $sgpr28
	s_branch .LBB261_1309
.LBB261_1312:
	s_or_b32 exec_lo, exec_lo, s15
	s_xor_b32 s7, s22, -1
	s_branch .LBB261_1314
.LBB261_1313:
	s_mov_b32 s7, -1
.LBB261_1314:
	s_delay_alu instid0(SALU_CYCLE_1)
	s_and_b32 s7, s7, exec_lo
.LBB261_1315:
	s_or_b32 exec_lo, exec_lo, s13
	s_delay_alu instid0(SALU_CYCLE_1)
	s_or_not1_b32 s13, s7, exec_lo
.LBB261_1316:
	s_or_b32 exec_lo, exec_lo, s14
	v_dual_cndmask_b32 v4, v8, v9, s13 :: v_dual_cndmask_b32 v5, v25, v24, s13
	s_mov_b32 s15, -1
	s_mov_b32 s14, -1
	s_mov_b32 s22, exec_lo
	s_delay_alu instid0(VALU_DEP_1) | instskip(NEXT) | instid1(VALU_DEP_1)
	v_add_nc_u32_e32 v6, 1, v4
	v_add_min_u32_e64 v4, v5, -1, v6
	s_delay_alu instid0(VALU_DEP_1)
	v_lshl_add_u32 v4, v4, 3, v33
	ds_load_b64 v[4:5], v4
	s_wait_dscnt 0x0
	v_dual_cndmask_b32 v12, v5, v10, s13 :: v_dual_cndmask_b32 v8, v6, v8, s13
	v_dual_cndmask_b32 v9, v9, v6, s13 :: v_dual_cndmask_b32 v36, v4, v17, s13
	v_cndmask_b32_e64 v37, v35, v4, s13
	v_cndmask_b32_e64 v13, v11, v5, s13
	s_delay_alu instid0(VALU_DEP_4)
	v_cmpx_lt_u32_e64 v8, v25
	s_cbranch_execz .LBB261_1327
; %bb.1317:
	s_mov_b32 s7, 0
	s_mov_b32 s14, exec_lo
	v_cmpx_lt_u32_e64 v9, v24
	s_cbranch_execz .LBB261_1326
; %bb.1318:
	s_and_not1_b32 vcc_lo, exec_lo, s26
	s_cbranch_vccnz .LBB261_1324
; %bb.1319:
	v_mad_nc_u64_u32 v[4:5], v36, s16, s[18:19]
	v_mad_nc_u64_u32 v[6:7], v37, s16, s[18:19]
	s_mov_b32 s23, 0
	s_mov_b64 s[8:9], s[16:17]
                                        ; implicit-def: $sgpr27
                                        ; implicit-def: $sgpr28
                                        ; implicit-def: $sgpr29
                                        ; implicit-def: $sgpr30
	s_delay_alu instid0(VALU_DEP_2) | instskip(NEXT) | instid1(VALU_DEP_2)
	v_mad_u32 v5, v12, s16, v5
	v_mad_u32 v7, v13, s16, v7
	s_delay_alu instid0(VALU_DEP_2) | instskip(NEXT) | instid1(VALU_DEP_2)
	v_mad_u32 v5, v36, s17, v5
	v_mad_u32 v7, v37, s17, v7
	s_branch .LBB261_1321
.LBB261_1320:                           ;   in Loop: Header=BB261_1321 Depth=1
	s_or_b32 exec_lo, exec_lo, s31
	s_delay_alu instid0(SALU_CYCLE_1) | instskip(NEXT) | instid1(SALU_CYCLE_1)
	s_and_b32 s31, exec_lo, s28
	s_or_b32 s23, s31, s23
	s_and_not1_b32 s30, s30, exec_lo
	s_and_b32 s7, s7, exec_lo
	s_and_not1_b32 s27, s27, exec_lo
	s_and_b32 s31, s29, exec_lo
	s_or_b32 s30, s30, s7
	s_or_b32 s27, s27, s31
	s_and_not1_b32 exec_lo, exec_lo, s23
	s_cbranch_execz .LBB261_1323
.LBB261_1321:                           ; =>This Inner Loop Header: Depth=1
	global_load_u8 v22, v[4:5], off
	global_load_u8 v23, v[6:7], off
	s_and_not1_b32 s29, s29, exec_lo
	s_or_b32 s28, s28, exec_lo
	s_wait_loadcnt 0x1
	v_bfe_i32 v38, v22, 0, 8
	s_wait_loadcnt 0x0
	v_bfe_i32 v39, v23, 0, 8
	v_and_b32_e32 v22, 0xff, v22
	v_and_b32_e32 v23, 0xff, v23
	s_delay_alu instid0(VALU_DEP_3) | instskip(SKIP_2) | instid1(SALU_CYCLE_1)
	v_cmp_le_i16_e32 vcc_lo, v38, v39
	v_cmp_lt_i16_e64 s7, v38, v39
	s_and_b32 s31, vcc_lo, s30
	s_or_b32 s7, s7, s31
	s_delay_alu instid0(SALU_CYCLE_1) | instskip(NEXT) | instid1(SALU_CYCLE_1)
	s_and_b32 s31, s7, exec_lo
	s_or_b32 s29, s29, s31
	s_mov_b32 s31, exec_lo
	v_cmpx_eq_u16_e64 v22, v23
	s_cbranch_execz .LBB261_1320
; %bb.1322:                             ;   in Loop: Header=BB261_1321 Depth=1
	s_add_nc_u64 s[8:9], s[8:9], -1
	v_add_nc_u64_e32 v[4:5], 1, v[4:5]
	s_cmp_eq_u64 s[8:9], 0
	v_add_nc_u64_e32 v[6:7], 1, v[6:7]
	s_cselect_b32 s30, -1, 0
	s_and_not1_b32 s28, s28, exec_lo
	s_and_b32 s30, s30, exec_lo
	s_and_not1_b32 s29, s29, exec_lo
	s_or_b32 s28, s28, s30
                                        ; implicit-def: $sgpr30
	s_branch .LBB261_1320
.LBB261_1323:
	s_or_b32 exec_lo, exec_lo, s23
	s_xor_b32 s7, s27, -1
	s_branch .LBB261_1325
.LBB261_1324:
	s_mov_b32 s7, -1
.LBB261_1325:
	s_delay_alu instid0(SALU_CYCLE_1)
	s_and_b32 s7, s7, exec_lo
.LBB261_1326:
	s_or_b32 exec_lo, exec_lo, s14
	s_delay_alu instid0(SALU_CYCLE_1)
	s_or_not1_b32 s14, s7, exec_lo
.LBB261_1327:
	s_or_b32 exec_lo, exec_lo, s22
	v_dual_cndmask_b32 v4, v8, v9, s14 :: v_dual_cndmask_b32 v5, v25, v24, s14
	s_mov_b32 s22, exec_lo
	s_delay_alu instid0(VALU_DEP_1) | instskip(NEXT) | instid1(VALU_DEP_1)
	v_add_nc_u32_e32 v6, 1, v4
	v_add_min_u32_e64 v4, v5, -1, v6
	s_delay_alu instid0(VALU_DEP_1)
	v_lshl_add_u32 v4, v4, 3, v33
	ds_load_b64 v[4:5], v4
	s_wait_dscnt 0x0
	v_cndmask_b32_e64 v38, v5, v12, s14
	v_dual_cndmask_b32 v39, v4, v36, s14 :: v_dual_cndmask_b32 v40, v13, v5, s14
	v_dual_cndmask_b32 v8, v6, v8, s14 :: v_dual_cndmask_b32 v9, v9, v6, s14
	v_cndmask_b32_e64 v41, v37, v4, s14
	s_delay_alu instid0(VALU_DEP_2)
	v_cmpx_lt_u32_e64 v8, v25
	s_cbranch_execz .LBB261_1338
; %bb.1328:
	s_mov_b32 s7, 0
	s_mov_b32 s15, exec_lo
	v_cmpx_lt_u32_e64 v9, v24
	s_cbranch_execz .LBB261_1337
; %bb.1329:
	s_and_not1_b32 vcc_lo, exec_lo, s26
	s_cbranch_vccnz .LBB261_1335
; %bb.1330:
	v_mad_nc_u64_u32 v[4:5], v39, s16, s[18:19]
	v_mad_nc_u64_u32 v[6:7], v41, s16, s[18:19]
	s_mov_b32 s23, 0
	s_mov_b64 s[8:9], s[16:17]
                                        ; implicit-def: $sgpr27
                                        ; implicit-def: $sgpr28
                                        ; implicit-def: $sgpr29
                                        ; implicit-def: $sgpr30
	s_delay_alu instid0(VALU_DEP_2) | instskip(NEXT) | instid1(VALU_DEP_2)
	v_mad_u32 v5, v38, s16, v5
	v_mad_u32 v7, v40, s16, v7
	s_delay_alu instid0(VALU_DEP_2) | instskip(NEXT) | instid1(VALU_DEP_2)
	v_mad_u32 v5, v39, s17, v5
	v_mad_u32 v7, v41, s17, v7
	s_branch .LBB261_1332
.LBB261_1331:                           ;   in Loop: Header=BB261_1332 Depth=1
	s_or_b32 exec_lo, exec_lo, s31
	s_delay_alu instid0(SALU_CYCLE_1) | instskip(NEXT) | instid1(SALU_CYCLE_1)
	s_and_b32 s31, exec_lo, s28
	s_or_b32 s23, s31, s23
	s_and_not1_b32 s30, s30, exec_lo
	s_and_b32 s7, s7, exec_lo
	s_and_not1_b32 s27, s27, exec_lo
	s_and_b32 s31, s29, exec_lo
	s_or_b32 s30, s30, s7
	s_or_b32 s27, s27, s31
	s_and_not1_b32 exec_lo, exec_lo, s23
	s_cbranch_execz .LBB261_1334
.LBB261_1332:                           ; =>This Inner Loop Header: Depth=1
	global_load_u8 v22, v[4:5], off
	global_load_u8 v23, v[6:7], off
	s_and_not1_b32 s29, s29, exec_lo
	s_or_b32 s28, s28, exec_lo
	s_wait_loadcnt 0x1
	v_bfe_i32 v42, v22, 0, 8
	s_wait_loadcnt 0x0
	v_bfe_i32 v43, v23, 0, 8
	v_and_b32_e32 v22, 0xff, v22
	v_and_b32_e32 v23, 0xff, v23
	s_delay_alu instid0(VALU_DEP_3) | instskip(SKIP_2) | instid1(SALU_CYCLE_1)
	v_cmp_le_i16_e32 vcc_lo, v42, v43
	v_cmp_lt_i16_e64 s7, v42, v43
	s_and_b32 s31, vcc_lo, s30
	s_or_b32 s7, s7, s31
	s_delay_alu instid0(SALU_CYCLE_1) | instskip(NEXT) | instid1(SALU_CYCLE_1)
	s_and_b32 s31, s7, exec_lo
	s_or_b32 s29, s29, s31
	s_mov_b32 s31, exec_lo
	v_cmpx_eq_u16_e64 v22, v23
	s_cbranch_execz .LBB261_1331
; %bb.1333:                             ;   in Loop: Header=BB261_1332 Depth=1
	s_add_nc_u64 s[8:9], s[8:9], -1
	v_add_nc_u64_e32 v[4:5], 1, v[4:5]
	s_cmp_eq_u64 s[8:9], 0
	v_add_nc_u64_e32 v[6:7], 1, v[6:7]
	s_cselect_b32 s30, -1, 0
	s_and_not1_b32 s28, s28, exec_lo
	s_and_b32 s30, s30, exec_lo
	s_and_not1_b32 s29, s29, exec_lo
	s_or_b32 s28, s28, s30
                                        ; implicit-def: $sgpr30
	s_branch .LBB261_1331
.LBB261_1334:
	s_or_b32 exec_lo, exec_lo, s23
	s_xor_b32 s7, s27, -1
	s_branch .LBB261_1336
.LBB261_1335:
	s_mov_b32 s7, -1
.LBB261_1336:
	s_delay_alu instid0(SALU_CYCLE_1)
	s_and_b32 s7, s7, exec_lo
.LBB261_1337:
	s_or_b32 exec_lo, exec_lo, s15
	s_delay_alu instid0(SALU_CYCLE_1)
	s_or_not1_b32 s15, s7, exec_lo
.LBB261_1338:
	s_or_b32 exec_lo, exec_lo, s22
	v_dual_cndmask_b32 v4, v8, v9, s15 :: v_dual_cndmask_b32 v5, v25, v24, s15
	s_mov_b32 s22, -1
	s_mov_b32 s23, -1
	s_mov_b32 s27, exec_lo
	s_delay_alu instid0(VALU_DEP_1) | instskip(NEXT) | instid1(VALU_DEP_1)
	v_add_nc_u32_e32 v6, 1, v4
	v_add_min_u32_e64 v4, v5, -1, v6
	v_cndmask_b32_e64 v22, v6, v8, s15
	s_delay_alu instid0(VALU_DEP_2)
	v_lshl_add_u32 v4, v4, 3, v33
	ds_load_b64 v[4:5], v4
	s_wait_dscnt 0x0
	v_cndmask_b32_e64 v8, v5, v38, s15
	v_dual_cndmask_b32 v23, v9, v6, s15 :: v_dual_cndmask_b32 v42, v4, v39, s15
	v_dual_cndmask_b32 v43, v41, v4, s15 :: v_dual_cndmask_b32 v9, v40, v5, s15
	v_cmpx_lt_u32_e64 v22, v25
	s_cbranch_execz .LBB261_1349
; %bb.1339:
	s_mov_b32 s7, 0
	s_mov_b32 s23, exec_lo
	v_cmpx_lt_u32_e64 v23, v24
	s_cbranch_execz .LBB261_1348
; %bb.1340:
	s_and_not1_b32 vcc_lo, exec_lo, s26
	s_cbranch_vccnz .LBB261_1346
; %bb.1341:
	v_mad_nc_u64_u32 v[4:5], v42, s16, s[18:19]
	v_mad_nc_u64_u32 v[6:7], v43, s16, s[18:19]
	s_mov_b32 s28, 0
	s_mov_b64 s[8:9], s[16:17]
                                        ; implicit-def: $sgpr29
                                        ; implicit-def: $sgpr30
                                        ; implicit-def: $sgpr31
                                        ; implicit-def: $sgpr33
	s_delay_alu instid0(VALU_DEP_2) | instskip(NEXT) | instid1(VALU_DEP_2)
	v_mad_u32 v5, v8, s16, v5
	v_mad_u32 v7, v9, s16, v7
	s_delay_alu instid0(VALU_DEP_2) | instskip(NEXT) | instid1(VALU_DEP_2)
	v_mad_u32 v5, v42, s17, v5
	v_mad_u32 v7, v43, s17, v7
	s_branch .LBB261_1343
.LBB261_1342:                           ;   in Loop: Header=BB261_1343 Depth=1
	s_or_b32 exec_lo, exec_lo, s34
	s_delay_alu instid0(SALU_CYCLE_1) | instskip(NEXT) | instid1(SALU_CYCLE_1)
	s_and_b32 s34, exec_lo, s30
	s_or_b32 s28, s34, s28
	s_and_not1_b32 s33, s33, exec_lo
	s_and_b32 s7, s7, exec_lo
	s_and_not1_b32 s29, s29, exec_lo
	s_and_b32 s34, s31, exec_lo
	s_or_b32 s33, s33, s7
	s_or_b32 s29, s29, s34
	s_and_not1_b32 exec_lo, exec_lo, s28
	s_cbranch_execz .LBB261_1345
.LBB261_1343:                           ; =>This Inner Loop Header: Depth=1
	global_load_u8 v44, v[4:5], off
	global_load_u8 v45, v[6:7], off
	s_and_not1_b32 s31, s31, exec_lo
	s_or_b32 s30, s30, exec_lo
	s_wait_loadcnt 0x1
	v_bfe_i32 v46, v44, 0, 8
	s_wait_loadcnt 0x0
	v_bfe_i32 v47, v45, 0, 8
	v_and_b32_e32 v44, 0xff, v44
	v_and_b32_e32 v45, 0xff, v45
	s_delay_alu instid0(VALU_DEP_3) | instskip(SKIP_2) | instid1(SALU_CYCLE_1)
	v_cmp_le_i16_e32 vcc_lo, v46, v47
	v_cmp_lt_i16_e64 s7, v46, v47
	s_and_b32 s34, vcc_lo, s33
	s_or_b32 s7, s7, s34
	s_delay_alu instid0(SALU_CYCLE_1) | instskip(NEXT) | instid1(SALU_CYCLE_1)
	s_and_b32 s34, s7, exec_lo
	s_or_b32 s31, s31, s34
	s_mov_b32 s34, exec_lo
	v_cmpx_eq_u16_e64 v44, v45
	s_cbranch_execz .LBB261_1342
; %bb.1344:                             ;   in Loop: Header=BB261_1343 Depth=1
	s_add_nc_u64 s[8:9], s[8:9], -1
	v_add_nc_u64_e32 v[4:5], 1, v[4:5]
	s_cmp_eq_u64 s[8:9], 0
	v_add_nc_u64_e32 v[6:7], 1, v[6:7]
	s_cselect_b32 s33, -1, 0
	s_and_not1_b32 s30, s30, exec_lo
	s_and_b32 s33, s33, exec_lo
	s_and_not1_b32 s31, s31, exec_lo
	s_or_b32 s30, s30, s33
                                        ; implicit-def: $sgpr33
	s_branch .LBB261_1342
.LBB261_1345:
	s_or_b32 exec_lo, exec_lo, s28
	s_xor_b32 s7, s29, -1
	s_branch .LBB261_1347
.LBB261_1346:
	s_mov_b32 s7, -1
.LBB261_1347:
	s_delay_alu instid0(SALU_CYCLE_1)
	s_and_b32 s7, s7, exec_lo
.LBB261_1348:
	s_or_b32 exec_lo, exec_lo, s23
	s_delay_alu instid0(SALU_CYCLE_1)
	s_or_not1_b32 s23, s7, exec_lo
.LBB261_1349:
	s_or_b32 exec_lo, exec_lo, s27
	v_dual_cndmask_b32 v4, v22, v23, s23 :: v_dual_cndmask_b32 v5, v25, v24, s23
	s_mov_b32 s27, exec_lo
	s_delay_alu instid0(VALU_DEP_1) | instskip(NEXT) | instid1(VALU_DEP_1)
	v_add_nc_u32_e32 v6, 1, v4
	v_add_min_u32_e64 v4, v5, -1, v6
	s_delay_alu instid0(VALU_DEP_1)
	v_lshl_add_u32 v4, v4, 3, v33
	ds_load_b64 v[4:5], v4
	s_wait_dscnt 0x0
	v_dual_cndmask_b32 v45, v5, v8, s23 :: v_dual_cndmask_b32 v46, v4, v42, s23
	v_cndmask_b32_e64 v47, v6, v22, s23
	v_dual_cndmask_b32 v44, v23, v6, s23 :: v_dual_cndmask_b32 v48, v9, v5, s23
	v_cndmask_b32_e64 v49, v43, v4, s23
	s_delay_alu instid0(VALU_DEP_3)
	v_cmpx_lt_u32_e64 v47, v25
	s_cbranch_execz .LBB261_1360
; %bb.1350:
	s_mov_b32 s7, 0
	s_mov_b32 s22, exec_lo
	v_cmpx_lt_u32_e64 v44, v24
	s_cbranch_execz .LBB261_1359
; %bb.1351:
	s_and_not1_b32 vcc_lo, exec_lo, s26
	s_cbranch_vccnz .LBB261_1357
; %bb.1352:
	v_mad_nc_u64_u32 v[4:5], v46, s16, s[18:19]
	v_mad_nc_u64_u32 v[6:7], v49, s16, s[18:19]
	s_mov_b32 s28, 0
	s_mov_b64 s[8:9], s[16:17]
                                        ; implicit-def: $sgpr29
                                        ; implicit-def: $sgpr30
                                        ; implicit-def: $sgpr31
                                        ; implicit-def: $sgpr33
	s_delay_alu instid0(VALU_DEP_2) | instskip(NEXT) | instid1(VALU_DEP_2)
	v_mad_u32 v5, v45, s16, v5
	v_mad_u32 v7, v48, s16, v7
	s_delay_alu instid0(VALU_DEP_2) | instskip(NEXT) | instid1(VALU_DEP_2)
	v_mad_u32 v5, v46, s17, v5
	v_mad_u32 v7, v49, s17, v7
	s_branch .LBB261_1354
.LBB261_1353:                           ;   in Loop: Header=BB261_1354 Depth=1
	s_or_b32 exec_lo, exec_lo, s34
	s_delay_alu instid0(SALU_CYCLE_1) | instskip(NEXT) | instid1(SALU_CYCLE_1)
	s_and_b32 s34, exec_lo, s30
	s_or_b32 s28, s34, s28
	s_and_not1_b32 s33, s33, exec_lo
	s_and_b32 s7, s7, exec_lo
	s_and_not1_b32 s29, s29, exec_lo
	s_and_b32 s34, s31, exec_lo
	s_or_b32 s33, s33, s7
	s_or_b32 s29, s29, s34
	s_and_not1_b32 exec_lo, exec_lo, s28
	s_cbranch_execz .LBB261_1356
.LBB261_1354:                           ; =>This Inner Loop Header: Depth=1
	global_load_u8 v22, v[4:5], off
	global_load_u8 v23, v[6:7], off
	s_and_not1_b32 s31, s31, exec_lo
	s_or_b32 s30, s30, exec_lo
	s_wait_loadcnt 0x1
	v_bfe_i32 v50, v22, 0, 8
	s_wait_loadcnt 0x0
	v_bfe_i32 v51, v23, 0, 8
	v_and_b32_e32 v22, 0xff, v22
	v_and_b32_e32 v23, 0xff, v23
	s_delay_alu instid0(VALU_DEP_3) | instskip(SKIP_2) | instid1(SALU_CYCLE_1)
	v_cmp_le_i16_e32 vcc_lo, v50, v51
	v_cmp_lt_i16_e64 s7, v50, v51
	s_and_b32 s34, vcc_lo, s33
	s_or_b32 s7, s7, s34
	s_delay_alu instid0(SALU_CYCLE_1) | instskip(NEXT) | instid1(SALU_CYCLE_1)
	s_and_b32 s34, s7, exec_lo
	s_or_b32 s31, s31, s34
	s_mov_b32 s34, exec_lo
	v_cmpx_eq_u16_e64 v22, v23
	s_cbranch_execz .LBB261_1353
; %bb.1355:                             ;   in Loop: Header=BB261_1354 Depth=1
	s_add_nc_u64 s[8:9], s[8:9], -1
	v_add_nc_u64_e32 v[4:5], 1, v[4:5]
	s_cmp_eq_u64 s[8:9], 0
	v_add_nc_u64_e32 v[6:7], 1, v[6:7]
	s_cselect_b32 s33, -1, 0
	s_and_not1_b32 s30, s30, exec_lo
	s_and_b32 s33, s33, exec_lo
	s_and_not1_b32 s31, s31, exec_lo
	s_or_b32 s30, s30, s33
                                        ; implicit-def: $sgpr33
	s_branch .LBB261_1353
.LBB261_1356:
	s_or_b32 exec_lo, exec_lo, s28
	s_xor_b32 s7, s29, -1
	s_branch .LBB261_1358
.LBB261_1357:
	s_mov_b32 s7, -1
.LBB261_1358:
	s_delay_alu instid0(SALU_CYCLE_1)
	s_and_b32 s7, s7, exec_lo
.LBB261_1359:
	s_or_b32 exec_lo, exec_lo, s22
	s_delay_alu instid0(SALU_CYCLE_1)
	s_or_not1_b32 s22, s7, exec_lo
.LBB261_1360:
	s_or_b32 exec_lo, exec_lo, s27
	v_dual_cndmask_b32 v4, v47, v44, s22 :: v_dual_cndmask_b32 v9, v8, v9, s23
	v_dual_cndmask_b32 v5, v25, v24, s22 :: v_dual_cndmask_b32 v8, v42, v43, s23
	;; [unrolled: 1-line block ×3, first 2 shown]
	s_delay_alu instid0(VALU_DEP_3) | instskip(SKIP_2) | instid1(VALU_DEP_3)
	v_dual_add_nc_u32 v50, 1, v4 :: v_dual_cndmask_b32 v6, v39, v41, s15
	v_dual_cndmask_b32 v12, v36, v37, s14 :: v_dual_cndmask_b32 v11, v10, v11, s13
	v_dual_cndmask_b32 v10, v17, v35, s13 :: v_dual_cndmask_b32 v17, v14, v16, s12
	v_add_min_u32_e64 v4, v5, -1, v50
	v_dual_cndmask_b32 v16, v15, v34, s12 :: v_dual_cndmask_b32 v14, v2, v0, s11
	v_dual_cndmask_b32 v15, v3, v1, s11 :: v_dual_cndmask_b32 v0, v50, v47, s22
	s_delay_alu instid0(VALU_DEP_3)
	v_lshl_add_u32 v4, v4, 3, v33
	v_dual_cndmask_b32 v3, v45, v48, s22 :: v_dual_cndmask_b32 v2, v46, v49, s22
	s_mov_b32 s11, exec_lo
	ds_load_b64 v[22:23], v4
	s_wait_dscnt 0x0
	v_dual_cndmask_b32 v5, v48, v23, s22 :: v_dual_cndmask_b32 v4, v49, v22, s22
	v_cmpx_lt_u32_e64 v0, v25
	s_cbranch_execz .LBB261_1370
; %bb.1361:
	v_dual_cndmask_b32 v25, v44, v50, s22 :: v_dual_cndmask_b32 v1, v23, v45, s22
	v_cndmask_b32_e64 v0, v22, v46, s22
	s_mov_b32 s12, exec_lo
	s_delay_alu instid0(VALU_DEP_2)
	v_cmpx_lt_u32_e64 v25, v24
	s_cbranch_execz .LBB261_1369
; %bb.1362:
	s_and_not1_b32 vcc_lo, exec_lo, s26
	s_cbranch_vccnz .LBB261_1368
; %bb.1363:
	v_mad_nc_u64_u32 v[22:23], v0, s16, s[18:19]
	v_mad_nc_u64_u32 v[24:25], v4, s16, s[18:19]
	s_mov_b32 s13, 0
	s_mov_b64 s[8:9], s[16:17]
                                        ; implicit-def: $sgpr14
                                        ; implicit-def: $sgpr15
                                        ; implicit-def: $sgpr22
                                        ; implicit-def: $sgpr23
	s_delay_alu instid0(VALU_DEP_2) | instskip(NEXT) | instid1(VALU_DEP_2)
	v_mad_u32 v23, v1, s16, v23
	v_mad_u32 v25, v5, s16, v25
	s_delay_alu instid0(VALU_DEP_2) | instskip(NEXT) | instid1(VALU_DEP_2)
	v_mad_u32 v23, v0, s17, v23
	v_mad_u32 v25, v4, s17, v25
	s_branch .LBB261_1365
.LBB261_1364:                           ;   in Loop: Header=BB261_1365 Depth=1
	s_or_b32 exec_lo, exec_lo, s27
	s_delay_alu instid0(SALU_CYCLE_1) | instskip(NEXT) | instid1(SALU_CYCLE_1)
	s_and_b32 s27, exec_lo, s15
	s_or_b32 s13, s27, s13
	s_and_not1_b32 s23, s23, exec_lo
	s_and_b32 s7, s7, exec_lo
	s_and_not1_b32 s14, s14, exec_lo
	s_and_b32 s27, s22, exec_lo
	s_or_b32 s23, s23, s7
	s_or_b32 s14, s14, s27
	s_and_not1_b32 exec_lo, exec_lo, s13
	s_cbranch_execz .LBB261_1367
.LBB261_1365:                           ; =>This Inner Loop Header: Depth=1
	global_load_u8 v33, v[22:23], off
	global_load_u8 v34, v[24:25], off
	s_and_not1_b32 s22, s22, exec_lo
	s_or_b32 s15, s15, exec_lo
	s_wait_loadcnt 0x1
	v_bfe_i32 v35, v33, 0, 8
	s_wait_loadcnt 0x0
	v_bfe_i32 v36, v34, 0, 8
	v_and_b32_e32 v33, 0xff, v33
	v_and_b32_e32 v34, 0xff, v34
	s_delay_alu instid0(VALU_DEP_3) | instskip(SKIP_2) | instid1(SALU_CYCLE_1)
	v_cmp_le_i16_e32 vcc_lo, v35, v36
	v_cmp_lt_i16_e64 s7, v35, v36
	s_and_b32 s27, vcc_lo, s23
	s_or_b32 s7, s7, s27
	s_delay_alu instid0(SALU_CYCLE_1) | instskip(NEXT) | instid1(SALU_CYCLE_1)
	s_and_b32 s27, s7, exec_lo
	s_or_b32 s22, s22, s27
	s_mov_b32 s27, exec_lo
	v_cmpx_eq_u16_e64 v33, v34
	s_cbranch_execz .LBB261_1364
; %bb.1366:                             ;   in Loop: Header=BB261_1365 Depth=1
	s_add_nc_u64 s[8:9], s[8:9], -1
	v_add_nc_u64_e32 v[22:23], 1, v[22:23]
	s_cmp_eq_u64 s[8:9], 0
	v_add_nc_u64_e32 v[24:25], 1, v[24:25]
	s_cselect_b32 s23, -1, 0
	s_and_not1_b32 s15, s15, exec_lo
	s_and_b32 s23, s23, exec_lo
	s_and_not1_b32 s22, s22, exec_lo
	s_or_b32 s15, s15, s23
                                        ; implicit-def: $sgpr23
	s_branch .LBB261_1364
.LBB261_1367:
	s_or_b32 exec_lo, exec_lo, s13
	v_dual_cndmask_b32 v5, v5, v1, s14 :: v_dual_cndmask_b32 v4, v4, v0, s14
.LBB261_1368:
	s_delay_alu instid0(VALU_DEP_1)
	v_mov_b64_e32 v[0:1], v[4:5]
.LBB261_1369:
	s_or_b32 exec_lo, exec_lo, s12
	s_delay_alu instid0(VALU_DEP_1)
	v_mov_b64_e32 v[4:5], v[0:1]
.LBB261_1370:
	s_or_b32 exec_lo, exec_lo, s11
.LBB261_1371:
	s_delay_alu instid0(SALU_CYCLE_1)
	s_or_b32 exec_lo, exec_lo, s10
	s_cmp_lt_u32 s25, 0x81
	; wave barrier
	s_wait_dscnt 0x0
	s_barrier_signal -1
	s_barrier_wait -1
	s_cbranch_scc1 .LBB261_1475
; %bb.1372:
	v_lshlrev_b32_e32 v24, 3, v20
	s_movk_i32 s10, 0x80
	s_branch .LBB261_1378
.LBB261_1373:                           ;   in Loop: Header=BB261_1378 Depth=1
	s_or_b32 exec_lo, exec_lo, s30
	v_dual_cndmask_b32 v5, v5, v7, s31 :: v_dual_cndmask_b32 v4, v4, v6, s31
.LBB261_1374:                           ;   in Loop: Header=BB261_1378 Depth=1
	s_delay_alu instid0(VALU_DEP_1)
	v_mov_b64_e32 v[6:7], v[4:5]
.LBB261_1375:                           ;   in Loop: Header=BB261_1378 Depth=1
	s_or_b32 exec_lo, exec_lo, s29
	s_delay_alu instid0(VALU_DEP_1)
	v_mov_b64_e32 v[4:5], v[6:7]
.LBB261_1376:                           ;   in Loop: Header=BB261_1378 Depth=1
	s_or_b32 exec_lo, exec_lo, s28
	v_dual_cndmask_b32 v9, v42, v44, s27 :: v_dual_cndmask_b32 v8, v43, v45, s27
	v_dual_cndmask_b32 v7, v38, v40, s22 :: v_dual_cndmask_b32 v6, v39, v41, s22
	;; [unrolled: 1-line block ×7, first 2 shown]
.LBB261_1377:                           ;   in Loop: Header=BB261_1378 Depth=1
	s_or_b32 exec_lo, exec_lo, s11
	s_cmp_lt_u32 s10, s25
	s_barrier_signal -1
	s_barrier_wait -1
	s_cbranch_scc0 .LBB261_1475
.LBB261_1378:                           ; =>This Loop Header: Depth=1
                                        ;     Child Loop BB261_1382 Depth 2
                                        ;       Child Loop BB261_1385 Depth 3
                                        ;     Child Loop BB261_1397 Depth 2
                                        ;     Child Loop BB261_1407 Depth 2
                                        ;     Child Loop BB261_1418 Depth 2
                                        ;     Child Loop BB261_1429 Depth 2
                                        ;     Child Loop BB261_1440 Depth 2
                                        ;     Child Loop BB261_1451 Depth 2
                                        ;     Child Loop BB261_1462 Depth 2
                                        ;     Child Loop BB261_1473 Depth 2
	s_mov_b32 s7, s10
	s_lshl_b32 s10, s10, 1
	s_mov_b32 s11, exec_lo
	s_sub_co_i32 s8, 0, s10
	ds_store_b128 v24, v[14:17]
	ds_store_b128 v24, v[10:13] offset:16
	ds_store_b128 v24, v[6:9] offset:32
	;; [unrolled: 1-line block ×3, first 2 shown]
	v_and_b32_e32 v36, s8, v20
	s_add_co_i32 s8, s10, -1
	s_wait_dscnt 0x0
	v_and_b32_e32 v0, s8, v20
	s_barrier_signal -1
	v_add_min_u32_e64 v25, v36, s7, s25
	s_barrier_wait -1
	s_delay_alu instid0(VALU_DEP_2) | instskip(NEXT) | instid1(VALU_DEP_2)
	v_min_u32_e32 v37, s25, v0
	v_add_min_u32_e64 v33, v25, s7, s25
	s_delay_alu instid0(VALU_DEP_1) | instskip(SKIP_1) | instid1(VALU_DEP_2)
	v_sub_nc_u32_e32 v1, v33, v25
	v_dual_sub_nc_u32 v0, v25, v36 :: v_dual_lshlrev_b32 v35, 3, v36
	v_sub_nc_u32_e64 v34, v37, v1 clamp
	s_delay_alu instid0(VALU_DEP_2) | instskip(NEXT) | instid1(VALU_DEP_1)
	v_min_u32_e32 v38, v37, v0
	v_cmpx_lt_u32_e64 v34, v38
	s_cbranch_execz .LBB261_1388
; %bb.1379:                             ;   in Loop: Header=BB261_1378 Depth=1
	v_lshlrev_b32_e32 v0, 3, v37
	s_mov_b32 s12, 0
	s_delay_alu instid0(VALU_DEP_1)
	v_lshl_add_u32 v39, v25, 3, v0
	s_branch .LBB261_1382
.LBB261_1380:                           ;   in Loop: Header=BB261_1382 Depth=2
	s_or_b32 exec_lo, exec_lo, s14
.LBB261_1381:                           ;   in Loop: Header=BB261_1382 Depth=2
	s_delay_alu instid0(VALU_DEP_1) | instskip(NEXT) | instid1(VALU_DEP_1)
	v_dual_add_nc_u32 v0, 1, v40 :: v_dual_cndmask_b32 v38, v38, v40, s13
	v_cndmask_b32_e64 v34, v0, v34, s13
	s_delay_alu instid0(VALU_DEP_1) | instskip(SKIP_1) | instid1(SALU_CYCLE_1)
	v_cmp_ge_u32_e32 vcc_lo, v34, v38
	s_or_b32 s12, vcc_lo, s12
	s_and_not1_b32 exec_lo, exec_lo, s12
	s_cbranch_execz .LBB261_1387
.LBB261_1382:                           ;   Parent Loop BB261_1378 Depth=1
                                        ; =>  This Loop Header: Depth=2
                                        ;       Child Loop BB261_1385 Depth 3
	v_add_nc_u32_e32 v0, v38, v34
	s_and_not1_b32 vcc_lo, exec_lo, s26
	s_mov_b32 s13, 0
	s_delay_alu instid0(VALU_DEP_1)
	v_lshrrev_b32_e32 v40, 1, v0
	s_cbranch_vccnz .LBB261_1381
; %bb.1383:                             ;   in Loop: Header=BB261_1382 Depth=2
	s_delay_alu instid0(VALU_DEP_1) | instskip(SKIP_3) | instid1(VALU_DEP_2)
	v_not_b32_e32 v0, v40
	v_lshl_add_u32 v1, v40, 3, v35
	s_mov_b32 s14, 0
	s_mov_b64 s[8:9], s[16:17]
                                        ; implicit-def: $sgpr13
                                        ; implicit-def: $sgpr15
                                        ; implicit-def: $sgpr22
                                        ; implicit-def: $sgpr23
	v_lshl_add_u32 v0, v0, 3, v39
	ds_load_b64 v[42:43], v0
	ds_load_b64 v[44:45], v1
	s_wait_dscnt 0x1
	v_mad_nc_u64_u32 v[0:1], v42, s16, s[18:19]
	s_wait_dscnt 0x0
	v_mad_nc_u64_u32 v[22:23], v44, s16, s[18:19]
	s_delay_alu instid0(VALU_DEP_2) | instskip(NEXT) | instid1(VALU_DEP_2)
	v_mad_u32 v1, v43, s16, v1
	v_mad_u32 v23, v45, s16, v23
	s_delay_alu instid0(VALU_DEP_2) | instskip(NEXT) | instid1(VALU_DEP_2)
	v_mad_u32 v1, v42, s17, v1
	v_mad_u32 v23, v44, s17, v23
	s_branch .LBB261_1385
.LBB261_1384:                           ;   in Loop: Header=BB261_1385 Depth=3
	s_or_b32 exec_lo, exec_lo, s27
	s_delay_alu instid0(SALU_CYCLE_1) | instskip(NEXT) | instid1(SALU_CYCLE_1)
	s_and_b32 s27, exec_lo, s15
	s_or_b32 s14, s27, s14
	s_and_not1_b32 s23, s23, exec_lo
	s_and_b32 s7, s7, exec_lo
	s_and_not1_b32 s13, s13, exec_lo
	s_and_b32 s27, s22, exec_lo
	s_or_b32 s23, s23, s7
	s_or_b32 s13, s13, s27
	s_and_not1_b32 exec_lo, exec_lo, s14
	s_cbranch_execz .LBB261_1380
.LBB261_1385:                           ;   Parent Loop BB261_1378 Depth=1
                                        ;     Parent Loop BB261_1382 Depth=2
                                        ; =>    This Inner Loop Header: Depth=3
	global_load_u8 v41, v[0:1], off
	global_load_u8 v42, v[22:23], off
	s_and_not1_b32 s22, s22, exec_lo
	s_or_b32 s15, s15, exec_lo
	s_wait_loadcnt 0x1
	v_bfe_i32 v43, v41, 0, 8
	s_wait_loadcnt 0x0
	v_bfe_i32 v44, v42, 0, 8
	v_and_b32_e32 v41, 0xff, v41
	v_and_b32_e32 v42, 0xff, v42
	s_delay_alu instid0(VALU_DEP_3) | instskip(SKIP_2) | instid1(SALU_CYCLE_1)
	v_cmp_le_i16_e32 vcc_lo, v43, v44
	v_cmp_lt_i16_e64 s7, v43, v44
	s_and_b32 s27, vcc_lo, s23
	s_or_b32 s7, s7, s27
	s_delay_alu instid0(SALU_CYCLE_1) | instskip(NEXT) | instid1(SALU_CYCLE_1)
	s_and_b32 s27, s7, exec_lo
	s_or_b32 s22, s22, s27
	s_mov_b32 s27, exec_lo
	v_cmpx_eq_u16_e64 v41, v42
	s_cbranch_execz .LBB261_1384
; %bb.1386:                             ;   in Loop: Header=BB261_1385 Depth=3
	s_add_nc_u64 s[8:9], s[8:9], -1
	v_add_nc_u64_e32 v[0:1], 1, v[0:1]
	s_cmp_eq_u64 s[8:9], 0
	v_add_nc_u64_e32 v[22:23], 1, v[22:23]
	s_cselect_b32 s23, -1, 0
	s_and_not1_b32 s15, s15, exec_lo
	s_and_b32 s23, s23, exec_lo
	s_and_not1_b32 s22, s22, exec_lo
	s_or_b32 s15, s15, s23
                                        ; implicit-def: $sgpr23
	s_branch .LBB261_1384
.LBB261_1387:                           ;   in Loop: Header=BB261_1378 Depth=1
	s_or_b32 exec_lo, exec_lo, s12
.LBB261_1388:                           ;   in Loop: Header=BB261_1378 Depth=1
	s_delay_alu instid0(SALU_CYCLE_1) | instskip(SKIP_1) | instid1(VALU_DEP_1)
	s_or_b32 exec_lo, exec_lo, s11
	v_dual_sub_nc_u32 v0, v37, v34 :: v_dual_add_nc_u32 v22, v34, v36
	v_add_nc_u32_e32 v23, v0, v25
	s_delay_alu instid0(VALU_DEP_2) | instskip(NEXT) | instid1(VALU_DEP_2)
	v_cmp_le_u32_e32 vcc_lo, v22, v25
	v_cmp_le_u32_e64 s7, v23, v33
	s_or_b32 s7, vcc_lo, s7
	s_delay_alu instid0(SALU_CYCLE_1)
	s_and_saveexec_b32 s11, s7
	s_cbranch_execz .LBB261_1377
; %bb.1389:                             ;   in Loop: Header=BB261_1378 Depth=1
	s_mov_b32 s8, exec_lo
	v_cmp_ge_u32_e32 vcc_lo, v22, v25
                                        ; implicit-def: $vgpr0_vgpr1
	v_cmpx_lt_u32_e64 v22, v25
; %bb.1390:                             ;   in Loop: Header=BB261_1378 Depth=1
	v_lshl_add_u32 v0, v34, 3, v35
	ds_load_b64 v[0:1], v0
; %bb.1391:                             ;   in Loop: Header=BB261_1378 Depth=1
	s_or_b32 exec_lo, exec_lo, s8
	v_cmp_ge_u32_e64 s12, v23, v33
	s_mov_b32 s8, exec_lo
                                        ; implicit-def: $vgpr2_vgpr3
	v_cmpx_lt_u32_e64 v23, v33
; %bb.1392:                             ;   in Loop: Header=BB261_1378 Depth=1
	v_lshlrev_b32_e32 v2, 3, v23
	ds_load_b64 v[2:3], v2
; %bb.1393:                             ;   in Loop: Header=BB261_1378 Depth=1
	s_or_b32 exec_lo, exec_lo, s8
	s_nor_b32 s7, vcc_lo, s12
	s_delay_alu instid0(SALU_CYCLE_1)
	s_and_saveexec_b32 s13, s7
	s_cbranch_execz .LBB261_1402
; %bb.1394:                             ;   in Loop: Header=BB261_1378 Depth=1
	s_and_not1_b32 vcc_lo, exec_lo, s26
	s_cbranch_vccnz .LBB261_1400
; %bb.1395:                             ;   in Loop: Header=BB261_1378 Depth=1
	s_wait_dscnt 0x0
	v_mad_nc_u64_u32 v[4:5], v2, s16, s[18:19]
	v_mad_nc_u64_u32 v[6:7], v0, s16, s[18:19]
	s_mov_b32 s14, 0
	s_mov_b64 s[8:9], s[16:17]
                                        ; implicit-def: $sgpr15
                                        ; implicit-def: $sgpr22
                                        ; implicit-def: $sgpr23
                                        ; implicit-def: $sgpr27
	s_delay_alu instid0(VALU_DEP_2) | instskip(NEXT) | instid1(VALU_DEP_2)
	v_mad_u32 v5, v3, s16, v5
	v_mad_u32 v7, v1, s16, v7
	s_delay_alu instid0(VALU_DEP_2) | instskip(NEXT) | instid1(VALU_DEP_2)
	v_mad_u32 v5, v2, s17, v5
	v_mad_u32 v7, v0, s17, v7
	s_branch .LBB261_1397
.LBB261_1396:                           ;   in Loop: Header=BB261_1397 Depth=2
	s_or_b32 exec_lo, exec_lo, s28
	s_delay_alu instid0(SALU_CYCLE_1) | instskip(NEXT) | instid1(SALU_CYCLE_1)
	s_and_b32 s28, exec_lo, s22
	s_or_b32 s14, s28, s14
	s_and_not1_b32 s27, s27, exec_lo
	s_and_b32 s7, s7, exec_lo
	s_and_not1_b32 s15, s15, exec_lo
	s_and_b32 s28, s23, exec_lo
	s_or_b32 s27, s27, s7
	s_or_b32 s15, s15, s28
	s_and_not1_b32 exec_lo, exec_lo, s14
	s_cbranch_execz .LBB261_1399
.LBB261_1397:                           ;   Parent Loop BB261_1378 Depth=1
                                        ; =>  This Inner Loop Header: Depth=2
	global_load_u8 v8, v[4:5], off
	global_load_u8 v9, v[6:7], off
	s_and_not1_b32 s23, s23, exec_lo
	s_or_b32 s22, s22, exec_lo
	s_wait_loadcnt 0x1
	v_bfe_i32 v10, v8, 0, 8
	s_wait_loadcnt 0x0
	v_bfe_i32 v11, v9, 0, 8
	v_and_b32_e32 v8, 0xff, v8
	v_and_b32_e32 v9, 0xff, v9
	s_delay_alu instid0(VALU_DEP_3) | instskip(SKIP_2) | instid1(SALU_CYCLE_1)
	v_cmp_le_i16_e32 vcc_lo, v10, v11
	v_cmp_lt_i16_e64 s7, v10, v11
	s_and_b32 s28, vcc_lo, s27
	s_or_b32 s7, s7, s28
	s_delay_alu instid0(SALU_CYCLE_1) | instskip(NEXT) | instid1(SALU_CYCLE_1)
	s_and_b32 s28, s7, exec_lo
	s_or_b32 s23, s23, s28
	s_mov_b32 s28, exec_lo
	v_cmpx_eq_u16_e64 v8, v9
	s_cbranch_execz .LBB261_1396
; %bb.1398:                             ;   in Loop: Header=BB261_1397 Depth=2
	s_add_nc_u64 s[8:9], s[8:9], -1
	v_add_nc_u64_e32 v[4:5], 1, v[4:5]
	s_cmp_eq_u64 s[8:9], 0
	v_add_nc_u64_e32 v[6:7], 1, v[6:7]
	s_cselect_b32 s27, -1, 0
	s_and_not1_b32 s22, s22, exec_lo
	s_and_b32 s27, s27, exec_lo
	s_and_not1_b32 s23, s23, exec_lo
	s_or_b32 s22, s22, s27
                                        ; implicit-def: $sgpr27
	s_branch .LBB261_1396
.LBB261_1399:                           ;   in Loop: Header=BB261_1378 Depth=1
	s_or_b32 exec_lo, exec_lo, s14
	s_xor_b32 s7, s15, -1
	s_branch .LBB261_1401
.LBB261_1400:                           ;   in Loop: Header=BB261_1378 Depth=1
	s_mov_b32 s7, -1
.LBB261_1401:                           ;   in Loop: Header=BB261_1378 Depth=1
	s_and_not1_b32 s8, s12, exec_lo
	s_and_b32 s7, s7, exec_lo
	s_delay_alu instid0(SALU_CYCLE_1)
	s_or_b32 s12, s8, s7
.LBB261_1402:                           ;   in Loop: Header=BB261_1378 Depth=1
	s_or_b32 exec_lo, exec_lo, s13
	v_dual_cndmask_b32 v4, v23, v22, s12 :: v_dual_cndmask_b32 v5, v33, v25, s12
	s_mov_b32 s14, -1
	s_mov_b32 s13, -1
	s_mov_b32 s15, exec_lo
	s_delay_alu instid0(VALU_DEP_1) | instskip(NEXT) | instid1(VALU_DEP_1)
	v_add_nc_u32_e32 v6, 1, v4
	v_add_min_u32_e64 v4, v5, -1, v6
	s_delay_alu instid0(VALU_DEP_1)
	v_lshlrev_b32_e32 v4, 3, v4
	ds_load_b64 v[4:5], v4
	v_cndmask_b32_e64 v8, v6, v23, s12
	s_wait_dscnt 0x0
	v_dual_cndmask_b32 v9, v22, v6, s12 :: v_dual_cndmask_b32 v14, v5, v3, s12
	v_dual_cndmask_b32 v15, v4, v2, s12 :: v_dual_cndmask_b32 v16, v1, v5, s12
	v_cndmask_b32_e64 v22, v0, v4, s12
	v_cmpx_lt_u32_e64 v8, v33
	s_cbranch_execz .LBB261_1413
; %bb.1403:                             ;   in Loop: Header=BB261_1378 Depth=1
	s_mov_b32 s7, 0
	s_mov_b32 s13, exec_lo
	v_cmpx_lt_u32_e64 v9, v25
	s_cbranch_execz .LBB261_1412
; %bb.1404:                             ;   in Loop: Header=BB261_1378 Depth=1
	s_and_not1_b32 vcc_lo, exec_lo, s26
	s_cbranch_vccnz .LBB261_1410
; %bb.1405:                             ;   in Loop: Header=BB261_1378 Depth=1
	v_mad_nc_u64_u32 v[4:5], v15, s16, s[18:19]
	v_mad_nc_u64_u32 v[6:7], v22, s16, s[18:19]
	s_mov_b32 s22, 0
	s_mov_b64 s[8:9], s[16:17]
                                        ; implicit-def: $sgpr23
                                        ; implicit-def: $sgpr27
                                        ; implicit-def: $sgpr28
                                        ; implicit-def: $sgpr29
	s_delay_alu instid0(VALU_DEP_2) | instskip(NEXT) | instid1(VALU_DEP_2)
	v_mad_u32 v5, v14, s16, v5
	v_mad_u32 v7, v16, s16, v7
	s_delay_alu instid0(VALU_DEP_2) | instskip(NEXT) | instid1(VALU_DEP_2)
	v_mad_u32 v5, v15, s17, v5
	v_mad_u32 v7, v22, s17, v7
	s_branch .LBB261_1407
.LBB261_1406:                           ;   in Loop: Header=BB261_1407 Depth=2
	s_or_b32 exec_lo, exec_lo, s30
	s_delay_alu instid0(SALU_CYCLE_1) | instskip(NEXT) | instid1(SALU_CYCLE_1)
	s_and_b32 s30, exec_lo, s27
	s_or_b32 s22, s30, s22
	s_and_not1_b32 s29, s29, exec_lo
	s_and_b32 s7, s7, exec_lo
	s_and_not1_b32 s23, s23, exec_lo
	s_and_b32 s30, s28, exec_lo
	s_or_b32 s29, s29, s7
	s_or_b32 s23, s23, s30
	s_and_not1_b32 exec_lo, exec_lo, s22
	s_cbranch_execz .LBB261_1409
.LBB261_1407:                           ;   Parent Loop BB261_1378 Depth=1
                                        ; =>  This Inner Loop Header: Depth=2
	global_load_u8 v10, v[4:5], off
	global_load_u8 v11, v[6:7], off
	s_and_not1_b32 s28, s28, exec_lo
	s_or_b32 s27, s27, exec_lo
	s_wait_loadcnt 0x1
	v_bfe_i32 v12, v10, 0, 8
	s_wait_loadcnt 0x0
	v_bfe_i32 v13, v11, 0, 8
	v_and_b32_e32 v10, 0xff, v10
	v_and_b32_e32 v11, 0xff, v11
	s_delay_alu instid0(VALU_DEP_3) | instskip(SKIP_2) | instid1(SALU_CYCLE_1)
	v_cmp_le_i16_e32 vcc_lo, v12, v13
	v_cmp_lt_i16_e64 s7, v12, v13
	s_and_b32 s30, vcc_lo, s29
	s_or_b32 s7, s7, s30
	s_delay_alu instid0(SALU_CYCLE_1) | instskip(NEXT) | instid1(SALU_CYCLE_1)
	s_and_b32 s30, s7, exec_lo
	s_or_b32 s28, s28, s30
	s_mov_b32 s30, exec_lo
	v_cmpx_eq_u16_e64 v10, v11
	s_cbranch_execz .LBB261_1406
; %bb.1408:                             ;   in Loop: Header=BB261_1407 Depth=2
	s_add_nc_u64 s[8:9], s[8:9], -1
	v_add_nc_u64_e32 v[4:5], 1, v[4:5]
	s_cmp_eq_u64 s[8:9], 0
	v_add_nc_u64_e32 v[6:7], 1, v[6:7]
	s_cselect_b32 s29, -1, 0
	s_and_not1_b32 s27, s27, exec_lo
	s_and_b32 s29, s29, exec_lo
	s_and_not1_b32 s28, s28, exec_lo
	s_or_b32 s27, s27, s29
                                        ; implicit-def: $sgpr29
	s_branch .LBB261_1406
.LBB261_1409:                           ;   in Loop: Header=BB261_1378 Depth=1
	s_or_b32 exec_lo, exec_lo, s22
	s_xor_b32 s7, s23, -1
	s_branch .LBB261_1411
.LBB261_1410:                           ;   in Loop: Header=BB261_1378 Depth=1
	s_mov_b32 s7, -1
.LBB261_1411:                           ;   in Loop: Header=BB261_1378 Depth=1
	s_delay_alu instid0(SALU_CYCLE_1)
	s_and_b32 s7, s7, exec_lo
.LBB261_1412:                           ;   in Loop: Header=BB261_1378 Depth=1
	s_or_b32 exec_lo, exec_lo, s13
	s_delay_alu instid0(SALU_CYCLE_1)
	s_or_not1_b32 s13, s7, exec_lo
.LBB261_1413:                           ;   in Loop: Header=BB261_1378 Depth=1
	s_or_b32 exec_lo, exec_lo, s15
	v_cndmask_b32_e64 v4, v8, v9, s13
	v_cndmask_b32_e64 v5, v33, v25, s13
	s_mov_b32 s15, exec_lo
	s_delay_alu instid0(VALU_DEP_2) | instskip(NEXT) | instid1(VALU_DEP_1)
	v_add_nc_u32_e32 v6, 1, v4
	v_add_min_u32_e64 v4, v5, -1, v6
	v_dual_cndmask_b32 v8, v6, v8, s13 :: v_dual_cndmask_b32 v9, v9, v6, s13
	s_delay_alu instid0(VALU_DEP_2)
	v_lshlrev_b32_e32 v4, 3, v4
	ds_load_b64 v[4:5], v4
	s_wait_dscnt 0x0
	v_dual_cndmask_b32 v17, v5, v14, s13 :: v_dual_cndmask_b32 v23, v4, v15, s13
	v_dual_cndmask_b32 v34, v16, v5, s13 :: v_dual_cndmask_b32 v35, v22, v4, s13
	v_cmpx_lt_u32_e64 v8, v33
	s_cbranch_execz .LBB261_1424
; %bb.1414:                             ;   in Loop: Header=BB261_1378 Depth=1
	s_mov_b32 s7, 0
	s_mov_b32 s14, exec_lo
	v_cmpx_lt_u32_e64 v9, v25
	s_cbranch_execz .LBB261_1423
; %bb.1415:                             ;   in Loop: Header=BB261_1378 Depth=1
	s_and_not1_b32 vcc_lo, exec_lo, s26
	s_cbranch_vccnz .LBB261_1421
; %bb.1416:                             ;   in Loop: Header=BB261_1378 Depth=1
	v_mad_nc_u64_u32 v[4:5], v23, s16, s[18:19]
	v_mad_nc_u64_u32 v[6:7], v35, s16, s[18:19]
	s_mov_b32 s22, 0
	s_mov_b64 s[8:9], s[16:17]
                                        ; implicit-def: $sgpr23
                                        ; implicit-def: $sgpr27
                                        ; implicit-def: $sgpr28
                                        ; implicit-def: $sgpr29
	s_delay_alu instid0(VALU_DEP_2) | instskip(NEXT) | instid1(VALU_DEP_2)
	v_mad_u32 v5, v17, s16, v5
	v_mad_u32 v7, v34, s16, v7
	s_delay_alu instid0(VALU_DEP_2) | instskip(NEXT) | instid1(VALU_DEP_2)
	v_mad_u32 v5, v23, s17, v5
	v_mad_u32 v7, v35, s17, v7
	s_branch .LBB261_1418
.LBB261_1417:                           ;   in Loop: Header=BB261_1418 Depth=2
	s_or_b32 exec_lo, exec_lo, s30
	s_delay_alu instid0(SALU_CYCLE_1) | instskip(NEXT) | instid1(SALU_CYCLE_1)
	s_and_b32 s30, exec_lo, s27
	s_or_b32 s22, s30, s22
	s_and_not1_b32 s29, s29, exec_lo
	s_and_b32 s7, s7, exec_lo
	s_and_not1_b32 s23, s23, exec_lo
	s_and_b32 s30, s28, exec_lo
	s_or_b32 s29, s29, s7
	s_or_b32 s23, s23, s30
	s_and_not1_b32 exec_lo, exec_lo, s22
	s_cbranch_execz .LBB261_1420
.LBB261_1418:                           ;   Parent Loop BB261_1378 Depth=1
                                        ; =>  This Inner Loop Header: Depth=2
	global_load_u8 v10, v[4:5], off
	global_load_u8 v11, v[6:7], off
	s_and_not1_b32 s28, s28, exec_lo
	s_or_b32 s27, s27, exec_lo
	s_wait_loadcnt 0x1
	v_bfe_i32 v12, v10, 0, 8
	s_wait_loadcnt 0x0
	v_bfe_i32 v13, v11, 0, 8
	v_and_b32_e32 v10, 0xff, v10
	v_and_b32_e32 v11, 0xff, v11
	s_delay_alu instid0(VALU_DEP_3) | instskip(SKIP_2) | instid1(SALU_CYCLE_1)
	v_cmp_le_i16_e32 vcc_lo, v12, v13
	v_cmp_lt_i16_e64 s7, v12, v13
	s_and_b32 s30, vcc_lo, s29
	s_or_b32 s7, s7, s30
	s_delay_alu instid0(SALU_CYCLE_1) | instskip(NEXT) | instid1(SALU_CYCLE_1)
	s_and_b32 s30, s7, exec_lo
	s_or_b32 s28, s28, s30
	s_mov_b32 s30, exec_lo
	v_cmpx_eq_u16_e64 v10, v11
	s_cbranch_execz .LBB261_1417
; %bb.1419:                             ;   in Loop: Header=BB261_1418 Depth=2
	s_add_nc_u64 s[8:9], s[8:9], -1
	v_add_nc_u64_e32 v[4:5], 1, v[4:5]
	s_cmp_eq_u64 s[8:9], 0
	v_add_nc_u64_e32 v[6:7], 1, v[6:7]
	s_cselect_b32 s29, -1, 0
	s_and_not1_b32 s27, s27, exec_lo
	s_and_b32 s29, s29, exec_lo
	s_and_not1_b32 s28, s28, exec_lo
	s_or_b32 s27, s27, s29
                                        ; implicit-def: $sgpr29
	s_branch .LBB261_1417
.LBB261_1420:                           ;   in Loop: Header=BB261_1378 Depth=1
	s_or_b32 exec_lo, exec_lo, s22
	s_xor_b32 s7, s23, -1
	s_branch .LBB261_1422
.LBB261_1421:                           ;   in Loop: Header=BB261_1378 Depth=1
	s_mov_b32 s7, -1
.LBB261_1422:                           ;   in Loop: Header=BB261_1378 Depth=1
	s_delay_alu instid0(SALU_CYCLE_1)
	s_and_b32 s7, s7, exec_lo
.LBB261_1423:                           ;   in Loop: Header=BB261_1378 Depth=1
	s_or_b32 exec_lo, exec_lo, s14
	s_delay_alu instid0(SALU_CYCLE_1)
	s_or_not1_b32 s14, s7, exec_lo
.LBB261_1424:                           ;   in Loop: Header=BB261_1378 Depth=1
	s_or_b32 exec_lo, exec_lo, s15
	v_cndmask_b32_e64 v4, v8, v9, s14
	v_cndmask_b32_e64 v5, v33, v25, s14
	s_mov_b32 s22, -1
	s_mov_b32 s15, -1
	s_mov_b32 s23, exec_lo
	v_add_nc_u32_e32 v6, 1, v4
	s_delay_alu instid0(VALU_DEP_1) | instskip(SKIP_1) | instid1(VALU_DEP_2)
	v_add_min_u32_e64 v4, v5, -1, v6
	v_dual_cndmask_b32 v8, v6, v8, s14 :: v_dual_cndmask_b32 v9, v9, v6, s14
	v_lshlrev_b32_e32 v4, 3, v4
	ds_load_b64 v[4:5], v4
	s_wait_dscnt 0x0
	v_dual_cndmask_b32 v12, v5, v17, s14 :: v_dual_cndmask_b32 v36, v4, v23, s14
	v_dual_cndmask_b32 v13, v34, v5, s14 :: v_dual_cndmask_b32 v37, v35, v4, s14
	v_cmpx_lt_u32_e64 v8, v33
	s_cbranch_execz .LBB261_1435
; %bb.1425:                             ;   in Loop: Header=BB261_1378 Depth=1
	s_mov_b32 s7, 0
	s_mov_b32 s15, exec_lo
	v_cmpx_lt_u32_e64 v9, v25
	s_cbranch_execz .LBB261_1434
; %bb.1426:                             ;   in Loop: Header=BB261_1378 Depth=1
	s_and_not1_b32 vcc_lo, exec_lo, s26
	s_cbranch_vccnz .LBB261_1432
; %bb.1427:                             ;   in Loop: Header=BB261_1378 Depth=1
	v_mad_nc_u64_u32 v[4:5], v36, s16, s[18:19]
	v_mad_nc_u64_u32 v[6:7], v37, s16, s[18:19]
	s_mov_b32 s27, 0
	s_mov_b64 s[8:9], s[16:17]
                                        ; implicit-def: $sgpr28
                                        ; implicit-def: $sgpr29
                                        ; implicit-def: $sgpr30
                                        ; implicit-def: $sgpr31
	s_delay_alu instid0(VALU_DEP_2) | instskip(NEXT) | instid1(VALU_DEP_2)
	v_mad_u32 v5, v12, s16, v5
	v_mad_u32 v7, v13, s16, v7
	s_delay_alu instid0(VALU_DEP_2) | instskip(NEXT) | instid1(VALU_DEP_2)
	v_mad_u32 v5, v36, s17, v5
	v_mad_u32 v7, v37, s17, v7
	s_branch .LBB261_1429
.LBB261_1428:                           ;   in Loop: Header=BB261_1429 Depth=2
	s_or_b32 exec_lo, exec_lo, s33
	s_delay_alu instid0(SALU_CYCLE_1) | instskip(NEXT) | instid1(SALU_CYCLE_1)
	s_and_b32 s33, exec_lo, s29
	s_or_b32 s27, s33, s27
	s_and_not1_b32 s31, s31, exec_lo
	s_and_b32 s7, s7, exec_lo
	s_and_not1_b32 s28, s28, exec_lo
	s_and_b32 s33, s30, exec_lo
	s_or_b32 s31, s31, s7
	s_or_b32 s28, s28, s33
	s_and_not1_b32 exec_lo, exec_lo, s27
	s_cbranch_execz .LBB261_1431
.LBB261_1429:                           ;   Parent Loop BB261_1378 Depth=1
                                        ; =>  This Inner Loop Header: Depth=2
	global_load_u8 v10, v[4:5], off
	global_load_u8 v11, v[6:7], off
	s_and_not1_b32 s30, s30, exec_lo
	s_or_b32 s29, s29, exec_lo
	s_wait_loadcnt 0x1
	v_bfe_i32 v38, v10, 0, 8
	s_wait_loadcnt 0x0
	v_bfe_i32 v39, v11, 0, 8
	v_and_b32_e32 v10, 0xff, v10
	v_and_b32_e32 v11, 0xff, v11
	s_delay_alu instid0(VALU_DEP_3) | instskip(SKIP_2) | instid1(SALU_CYCLE_1)
	v_cmp_le_i16_e32 vcc_lo, v38, v39
	v_cmp_lt_i16_e64 s7, v38, v39
	s_and_b32 s33, vcc_lo, s31
	s_or_b32 s7, s7, s33
	s_delay_alu instid0(SALU_CYCLE_1) | instskip(NEXT) | instid1(SALU_CYCLE_1)
	s_and_b32 s33, s7, exec_lo
	s_or_b32 s30, s30, s33
	s_mov_b32 s33, exec_lo
	v_cmpx_eq_u16_e64 v10, v11
	s_cbranch_execz .LBB261_1428
; %bb.1430:                             ;   in Loop: Header=BB261_1429 Depth=2
	s_add_nc_u64 s[8:9], s[8:9], -1
	v_add_nc_u64_e32 v[4:5], 1, v[4:5]
	s_cmp_eq_u64 s[8:9], 0
	v_add_nc_u64_e32 v[6:7], 1, v[6:7]
	s_cselect_b32 s31, -1, 0
	s_and_not1_b32 s29, s29, exec_lo
	s_and_b32 s31, s31, exec_lo
	s_and_not1_b32 s30, s30, exec_lo
	s_or_b32 s29, s29, s31
                                        ; implicit-def: $sgpr31
	s_branch .LBB261_1428
.LBB261_1431:                           ;   in Loop: Header=BB261_1378 Depth=1
	s_or_b32 exec_lo, exec_lo, s27
	s_xor_b32 s7, s28, -1
	s_branch .LBB261_1433
.LBB261_1432:                           ;   in Loop: Header=BB261_1378 Depth=1
	s_mov_b32 s7, -1
.LBB261_1433:                           ;   in Loop: Header=BB261_1378 Depth=1
	s_delay_alu instid0(SALU_CYCLE_1)
	s_and_b32 s7, s7, exec_lo
.LBB261_1434:                           ;   in Loop: Header=BB261_1378 Depth=1
	s_or_b32 exec_lo, exec_lo, s15
	s_delay_alu instid0(SALU_CYCLE_1)
	s_or_not1_b32 s15, s7, exec_lo
.LBB261_1435:                           ;   in Loop: Header=BB261_1378 Depth=1
	s_or_b32 exec_lo, exec_lo, s23
	v_cndmask_b32_e64 v4, v8, v9, s15
	v_cndmask_b32_e64 v5, v33, v25, s15
	s_mov_b32 s23, exec_lo
	s_delay_alu instid0(VALU_DEP_2) | instskip(NEXT) | instid1(VALU_DEP_1)
	v_add_nc_u32_e32 v6, 1, v4
	v_add_min_u32_e64 v4, v5, -1, v6
	v_dual_cndmask_b32 v8, v6, v8, s15 :: v_dual_cndmask_b32 v9, v9, v6, s15
	s_delay_alu instid0(VALU_DEP_2)
	v_lshlrev_b32_e32 v4, 3, v4
	ds_load_b64 v[4:5], v4
	s_wait_dscnt 0x0
	v_cndmask_b32_e64 v38, v5, v12, s15
	v_dual_cndmask_b32 v39, v4, v36, s15 :: v_dual_cndmask_b32 v40, v13, v5, s15
	v_cndmask_b32_e64 v41, v37, v4, s15
	v_cmpx_lt_u32_e64 v8, v33
	s_cbranch_execz .LBB261_1446
; %bb.1436:                             ;   in Loop: Header=BB261_1378 Depth=1
	s_mov_b32 s7, 0
	s_mov_b32 s22, exec_lo
	v_cmpx_lt_u32_e64 v9, v25
	s_cbranch_execz .LBB261_1445
; %bb.1437:                             ;   in Loop: Header=BB261_1378 Depth=1
	s_and_not1_b32 vcc_lo, exec_lo, s26
	s_cbranch_vccnz .LBB261_1443
; %bb.1438:                             ;   in Loop: Header=BB261_1378 Depth=1
	v_mad_nc_u64_u32 v[4:5], v39, s16, s[18:19]
	v_mad_nc_u64_u32 v[6:7], v41, s16, s[18:19]
	s_mov_b32 s27, 0
	s_mov_b64 s[8:9], s[16:17]
                                        ; implicit-def: $sgpr28
                                        ; implicit-def: $sgpr29
                                        ; implicit-def: $sgpr30
                                        ; implicit-def: $sgpr31
	s_delay_alu instid0(VALU_DEP_2) | instskip(NEXT) | instid1(VALU_DEP_2)
	v_mad_u32 v5, v38, s16, v5
	v_mad_u32 v7, v40, s16, v7
	s_delay_alu instid0(VALU_DEP_2) | instskip(NEXT) | instid1(VALU_DEP_2)
	v_mad_u32 v5, v39, s17, v5
	v_mad_u32 v7, v41, s17, v7
	s_branch .LBB261_1440
.LBB261_1439:                           ;   in Loop: Header=BB261_1440 Depth=2
	s_or_b32 exec_lo, exec_lo, s33
	s_delay_alu instid0(SALU_CYCLE_1) | instskip(NEXT) | instid1(SALU_CYCLE_1)
	s_and_b32 s33, exec_lo, s29
	s_or_b32 s27, s33, s27
	s_and_not1_b32 s31, s31, exec_lo
	s_and_b32 s7, s7, exec_lo
	s_and_not1_b32 s28, s28, exec_lo
	s_and_b32 s33, s30, exec_lo
	s_or_b32 s31, s31, s7
	s_or_b32 s28, s28, s33
	s_and_not1_b32 exec_lo, exec_lo, s27
	s_cbranch_execz .LBB261_1442
.LBB261_1440:                           ;   Parent Loop BB261_1378 Depth=1
                                        ; =>  This Inner Loop Header: Depth=2
	global_load_u8 v10, v[4:5], off
	global_load_u8 v11, v[6:7], off
	s_and_not1_b32 s30, s30, exec_lo
	s_or_b32 s29, s29, exec_lo
	s_wait_loadcnt 0x1
	v_bfe_i32 v42, v10, 0, 8
	s_wait_loadcnt 0x0
	v_bfe_i32 v43, v11, 0, 8
	v_and_b32_e32 v10, 0xff, v10
	v_and_b32_e32 v11, 0xff, v11
	s_delay_alu instid0(VALU_DEP_3) | instskip(SKIP_2) | instid1(SALU_CYCLE_1)
	v_cmp_le_i16_e32 vcc_lo, v42, v43
	v_cmp_lt_i16_e64 s7, v42, v43
	s_and_b32 s33, vcc_lo, s31
	s_or_b32 s7, s7, s33
	s_delay_alu instid0(SALU_CYCLE_1) | instskip(NEXT) | instid1(SALU_CYCLE_1)
	s_and_b32 s33, s7, exec_lo
	s_or_b32 s30, s30, s33
	s_mov_b32 s33, exec_lo
	v_cmpx_eq_u16_e64 v10, v11
	s_cbranch_execz .LBB261_1439
; %bb.1441:                             ;   in Loop: Header=BB261_1440 Depth=2
	s_add_nc_u64 s[8:9], s[8:9], -1
	v_add_nc_u64_e32 v[4:5], 1, v[4:5]
	s_cmp_eq_u64 s[8:9], 0
	v_add_nc_u64_e32 v[6:7], 1, v[6:7]
	s_cselect_b32 s31, -1, 0
	s_and_not1_b32 s29, s29, exec_lo
	s_and_b32 s31, s31, exec_lo
	s_and_not1_b32 s30, s30, exec_lo
	s_or_b32 s29, s29, s31
                                        ; implicit-def: $sgpr31
	s_branch .LBB261_1439
.LBB261_1442:                           ;   in Loop: Header=BB261_1378 Depth=1
	s_or_b32 exec_lo, exec_lo, s27
	s_xor_b32 s7, s28, -1
	s_branch .LBB261_1444
.LBB261_1443:                           ;   in Loop: Header=BB261_1378 Depth=1
	s_mov_b32 s7, -1
.LBB261_1444:                           ;   in Loop: Header=BB261_1378 Depth=1
	s_delay_alu instid0(SALU_CYCLE_1)
	s_and_b32 s7, s7, exec_lo
.LBB261_1445:                           ;   in Loop: Header=BB261_1378 Depth=1
	s_or_b32 exec_lo, exec_lo, s22
	s_delay_alu instid0(SALU_CYCLE_1)
	s_or_not1_b32 s22, s7, exec_lo
.LBB261_1446:                           ;   in Loop: Header=BB261_1378 Depth=1
	s_or_b32 exec_lo, exec_lo, s23
	v_cndmask_b32_e64 v4, v8, v9, s22
	v_cndmask_b32_e64 v5, v33, v25, s22
	s_mov_b32 s23, -1
	s_mov_b32 s27, -1
	s_mov_b32 s28, exec_lo
	v_add_nc_u32_e32 v6, 1, v4
	s_delay_alu instid0(VALU_DEP_1) | instskip(SKIP_1) | instid1(VALU_DEP_2)
	v_add_min_u32_e64 v4, v5, -1, v6
	v_dual_cndmask_b32 v8, v6, v8, s22 :: v_dual_cndmask_b32 v9, v9, v6, s22
	v_lshlrev_b32_e32 v4, 3, v4
	ds_load_b64 v[4:5], v4
	s_wait_dscnt 0x0
	v_dual_cndmask_b32 v42, v5, v38, s22 :: v_dual_cndmask_b32 v43, v4, v39, s22
	v_dual_cndmask_b32 v44, v40, v5, s22 :: v_dual_cndmask_b32 v45, v41, v4, s22
	v_cmpx_lt_u32_e64 v8, v33
	s_cbranch_execz .LBB261_1457
; %bb.1447:                             ;   in Loop: Header=BB261_1378 Depth=1
	s_mov_b32 s7, 0
	s_mov_b32 s27, exec_lo
	v_cmpx_lt_u32_e64 v9, v25
	s_cbranch_execz .LBB261_1456
; %bb.1448:                             ;   in Loop: Header=BB261_1378 Depth=1
	s_and_not1_b32 vcc_lo, exec_lo, s26
	s_cbranch_vccnz .LBB261_1454
; %bb.1449:                             ;   in Loop: Header=BB261_1378 Depth=1
	v_mad_nc_u64_u32 v[4:5], v43, s16, s[18:19]
	v_mad_nc_u64_u32 v[6:7], v45, s16, s[18:19]
	s_mov_b32 s29, 0
	s_mov_b64 s[8:9], s[16:17]
                                        ; implicit-def: $sgpr30
                                        ; implicit-def: $sgpr31
                                        ; implicit-def: $sgpr33
                                        ; implicit-def: $sgpr34
	s_delay_alu instid0(VALU_DEP_2) | instskip(NEXT) | instid1(VALU_DEP_2)
	v_mad_u32 v5, v42, s16, v5
	v_mad_u32 v7, v44, s16, v7
	s_delay_alu instid0(VALU_DEP_2) | instskip(NEXT) | instid1(VALU_DEP_2)
	v_mad_u32 v5, v43, s17, v5
	v_mad_u32 v7, v45, s17, v7
	s_branch .LBB261_1451
.LBB261_1450:                           ;   in Loop: Header=BB261_1451 Depth=2
	s_or_b32 exec_lo, exec_lo, s35
	s_delay_alu instid0(SALU_CYCLE_1) | instskip(NEXT) | instid1(SALU_CYCLE_1)
	s_and_b32 s35, exec_lo, s31
	s_or_b32 s29, s35, s29
	s_and_not1_b32 s34, s34, exec_lo
	s_and_b32 s7, s7, exec_lo
	s_and_not1_b32 s30, s30, exec_lo
	s_and_b32 s35, s33, exec_lo
	s_or_b32 s34, s34, s7
	s_or_b32 s30, s30, s35
	s_and_not1_b32 exec_lo, exec_lo, s29
	s_cbranch_execz .LBB261_1453
.LBB261_1451:                           ;   Parent Loop BB261_1378 Depth=1
                                        ; =>  This Inner Loop Header: Depth=2
	global_load_u8 v10, v[4:5], off
	global_load_u8 v11, v[6:7], off
	s_and_not1_b32 s33, s33, exec_lo
	s_or_b32 s31, s31, exec_lo
	s_wait_loadcnt 0x1
	v_bfe_i32 v46, v10, 0, 8
	s_wait_loadcnt 0x0
	v_bfe_i32 v47, v11, 0, 8
	v_and_b32_e32 v10, 0xff, v10
	v_and_b32_e32 v11, 0xff, v11
	s_delay_alu instid0(VALU_DEP_3) | instskip(SKIP_2) | instid1(SALU_CYCLE_1)
	v_cmp_le_i16_e32 vcc_lo, v46, v47
	v_cmp_lt_i16_e64 s7, v46, v47
	s_and_b32 s35, vcc_lo, s34
	s_or_b32 s7, s7, s35
	s_delay_alu instid0(SALU_CYCLE_1) | instskip(NEXT) | instid1(SALU_CYCLE_1)
	s_and_b32 s35, s7, exec_lo
	s_or_b32 s33, s33, s35
	s_mov_b32 s35, exec_lo
	v_cmpx_eq_u16_e64 v10, v11
	s_cbranch_execz .LBB261_1450
; %bb.1452:                             ;   in Loop: Header=BB261_1451 Depth=2
	s_add_nc_u64 s[8:9], s[8:9], -1
	v_add_nc_u64_e32 v[4:5], 1, v[4:5]
	s_cmp_eq_u64 s[8:9], 0
	v_add_nc_u64_e32 v[6:7], 1, v[6:7]
	s_cselect_b32 s34, -1, 0
	s_and_not1_b32 s31, s31, exec_lo
	s_and_b32 s34, s34, exec_lo
	s_and_not1_b32 s33, s33, exec_lo
	s_or_b32 s31, s31, s34
                                        ; implicit-def: $sgpr34
	s_branch .LBB261_1450
.LBB261_1453:                           ;   in Loop: Header=BB261_1378 Depth=1
	s_or_b32 exec_lo, exec_lo, s29
	s_xor_b32 s7, s30, -1
	s_branch .LBB261_1455
.LBB261_1454:                           ;   in Loop: Header=BB261_1378 Depth=1
	s_mov_b32 s7, -1
.LBB261_1455:                           ;   in Loop: Header=BB261_1378 Depth=1
	s_delay_alu instid0(SALU_CYCLE_1)
	s_and_b32 s7, s7, exec_lo
.LBB261_1456:                           ;   in Loop: Header=BB261_1378 Depth=1
	s_or_b32 exec_lo, exec_lo, s27
	s_delay_alu instid0(SALU_CYCLE_1)
	s_or_not1_b32 s27, s7, exec_lo
.LBB261_1457:                           ;   in Loop: Header=BB261_1378 Depth=1
	s_or_b32 exec_lo, exec_lo, s28
	v_cndmask_b32_e64 v4, v8, v9, s27
	v_cndmask_b32_e64 v5, v33, v25, s27
	s_mov_b32 s28, exec_lo
	s_delay_alu instid0(VALU_DEP_2) | instskip(NEXT) | instid1(VALU_DEP_1)
	v_add_nc_u32_e32 v6, 1, v4
	v_add_min_u32_e64 v4, v5, -1, v6
	v_dual_cndmask_b32 v10, v6, v8, s27 :: v_dual_cndmask_b32 v8, v9, v6, s27
	s_delay_alu instid0(VALU_DEP_2)
	v_lshlrev_b32_e32 v4, 3, v4
	ds_load_b64 v[4:5], v4
	s_wait_dscnt 0x0
	v_dual_cndmask_b32 v46, v5, v42, s27 :: v_dual_cndmask_b32 v47, v4, v43, s27
	v_dual_cndmask_b32 v48, v44, v5, s27 :: v_dual_cndmask_b32 v49, v45, v4, s27
	v_cmpx_lt_u32_e64 v10, v33
	s_cbranch_execz .LBB261_1468
; %bb.1458:                             ;   in Loop: Header=BB261_1378 Depth=1
	s_mov_b32 s7, 0
	s_mov_b32 s23, exec_lo
	v_cmpx_lt_u32_e64 v8, v25
	s_cbranch_execz .LBB261_1467
; %bb.1459:                             ;   in Loop: Header=BB261_1378 Depth=1
	s_and_not1_b32 vcc_lo, exec_lo, s26
	s_cbranch_vccnz .LBB261_1465
; %bb.1460:                             ;   in Loop: Header=BB261_1378 Depth=1
	v_mad_nc_u64_u32 v[4:5], v47, s16, s[18:19]
	v_mad_nc_u64_u32 v[6:7], v49, s16, s[18:19]
	s_mov_b32 s29, 0
	s_mov_b64 s[8:9], s[16:17]
                                        ; implicit-def: $sgpr30
                                        ; implicit-def: $sgpr31
                                        ; implicit-def: $sgpr33
                                        ; implicit-def: $sgpr34
	s_delay_alu instid0(VALU_DEP_2) | instskip(NEXT) | instid1(VALU_DEP_2)
	v_mad_u32 v5, v46, s16, v5
	v_mad_u32 v7, v48, s16, v7
	s_delay_alu instid0(VALU_DEP_2) | instskip(NEXT) | instid1(VALU_DEP_2)
	v_mad_u32 v5, v47, s17, v5
	v_mad_u32 v7, v49, s17, v7
	s_branch .LBB261_1462
.LBB261_1461:                           ;   in Loop: Header=BB261_1462 Depth=2
	s_or_b32 exec_lo, exec_lo, s35
	s_delay_alu instid0(SALU_CYCLE_1) | instskip(NEXT) | instid1(SALU_CYCLE_1)
	s_and_b32 s35, exec_lo, s31
	s_or_b32 s29, s35, s29
	s_and_not1_b32 s34, s34, exec_lo
	s_and_b32 s7, s7, exec_lo
	s_and_not1_b32 s30, s30, exec_lo
	s_and_b32 s35, s33, exec_lo
	s_or_b32 s34, s34, s7
	s_or_b32 s30, s30, s35
	s_and_not1_b32 exec_lo, exec_lo, s29
	s_cbranch_execz .LBB261_1464
.LBB261_1462:                           ;   Parent Loop BB261_1378 Depth=1
                                        ; =>  This Inner Loop Header: Depth=2
	global_load_u8 v9, v[4:5], off
	global_load_u8 v11, v[6:7], off
	s_and_not1_b32 s33, s33, exec_lo
	s_or_b32 s31, s31, exec_lo
	s_wait_loadcnt 0x1
	v_bfe_i32 v50, v9, 0, 8
	s_wait_loadcnt 0x0
	v_bfe_i32 v51, v11, 0, 8
	v_and_b32_e32 v9, 0xff, v9
	v_and_b32_e32 v11, 0xff, v11
	s_delay_alu instid0(VALU_DEP_3) | instskip(SKIP_2) | instid1(SALU_CYCLE_1)
	v_cmp_le_i16_e32 vcc_lo, v50, v51
	v_cmp_lt_i16_e64 s7, v50, v51
	s_and_b32 s35, vcc_lo, s34
	s_or_b32 s7, s7, s35
	s_delay_alu instid0(SALU_CYCLE_1) | instskip(NEXT) | instid1(SALU_CYCLE_1)
	s_and_b32 s35, s7, exec_lo
	s_or_b32 s33, s33, s35
	s_mov_b32 s35, exec_lo
	v_cmpx_eq_u16_e64 v9, v11
	s_cbranch_execz .LBB261_1461
; %bb.1463:                             ;   in Loop: Header=BB261_1462 Depth=2
	s_add_nc_u64 s[8:9], s[8:9], -1
	v_add_nc_u64_e32 v[4:5], 1, v[4:5]
	s_cmp_eq_u64 s[8:9], 0
	v_add_nc_u64_e32 v[6:7], 1, v[6:7]
	s_cselect_b32 s34, -1, 0
	s_and_not1_b32 s31, s31, exec_lo
	s_and_b32 s34, s34, exec_lo
	s_and_not1_b32 s33, s33, exec_lo
	s_or_b32 s31, s31, s34
                                        ; implicit-def: $sgpr34
	s_branch .LBB261_1461
.LBB261_1464:                           ;   in Loop: Header=BB261_1378 Depth=1
	s_or_b32 exec_lo, exec_lo, s29
	s_xor_b32 s7, s30, -1
	s_branch .LBB261_1466
.LBB261_1465:                           ;   in Loop: Header=BB261_1378 Depth=1
	s_mov_b32 s7, -1
.LBB261_1466:                           ;   in Loop: Header=BB261_1378 Depth=1
	s_delay_alu instid0(SALU_CYCLE_1)
	s_and_b32 s7, s7, exec_lo
.LBB261_1467:                           ;   in Loop: Header=BB261_1378 Depth=1
	s_or_b32 exec_lo, exec_lo, s23
	s_delay_alu instid0(SALU_CYCLE_1)
	s_or_not1_b32 s23, s7, exec_lo
.LBB261_1468:                           ;   in Loop: Header=BB261_1378 Depth=1
	s_or_b32 exec_lo, exec_lo, s28
	v_dual_cndmask_b32 v4, v10, v8, s23 :: v_dual_cndmask_b32 v5, v33, v25, s23
	s_mov_b32 s28, exec_lo
	s_delay_alu instid0(VALU_DEP_1) | instskip(NEXT) | instid1(VALU_DEP_1)
	v_add_nc_u32_e32 v9, 1, v4
	v_add_min_u32_e64 v4, v5, -1, v9
	s_delay_alu instid0(VALU_DEP_1) | instskip(SKIP_4) | instid1(VALU_DEP_2)
	v_lshlrev_b32_e32 v4, 3, v4
	ds_load_b64 v[6:7], v4
	s_wait_dscnt 0x0
	v_dual_cndmask_b32 v10, v9, v10, s23 :: v_dual_cndmask_b32 v5, v48, v7, s23
	v_cndmask_b32_e64 v4, v49, v6, s23
	v_cmpx_lt_u32_e64 v10, v33
	s_cbranch_execz .LBB261_1376
; %bb.1469:                             ;   in Loop: Header=BB261_1378 Depth=1
	v_dual_cndmask_b32 v8, v8, v9, s23 :: v_dual_cndmask_b32 v7, v7, v46, s23
	v_cndmask_b32_e64 v6, v6, v47, s23
	s_mov_b32 s29, exec_lo
	s_delay_alu instid0(VALU_DEP_2)
	v_cmpx_lt_u32_e64 v8, v25
	s_cbranch_execz .LBB261_1375
; %bb.1470:                             ;   in Loop: Header=BB261_1378 Depth=1
	s_and_not1_b32 vcc_lo, exec_lo, s26
	s_cbranch_vccnz .LBB261_1374
; %bb.1471:                             ;   in Loop: Header=BB261_1378 Depth=1
	v_mad_nc_u64_u32 v[8:9], v6, s16, s[18:19]
	v_mad_nc_u64_u32 v[10:11], v4, s16, s[18:19]
	s_mov_b32 s30, 0
	s_mov_b64 s[8:9], s[16:17]
                                        ; implicit-def: $sgpr31
                                        ; implicit-def: $sgpr33
                                        ; implicit-def: $sgpr34
                                        ; implicit-def: $sgpr35
	s_delay_alu instid0(VALU_DEP_2) | instskip(NEXT) | instid1(VALU_DEP_2)
	v_mad_u32 v9, v7, s16, v9
	v_mad_u32 v11, v5, s16, v11
	s_delay_alu instid0(VALU_DEP_2) | instskip(NEXT) | instid1(VALU_DEP_2)
	v_mad_u32 v9, v6, s17, v9
	v_mad_u32 v11, v4, s17, v11
	s_branch .LBB261_1473
.LBB261_1472:                           ;   in Loop: Header=BB261_1473 Depth=2
	s_or_b32 exec_lo, exec_lo, s36
	s_delay_alu instid0(SALU_CYCLE_1) | instskip(NEXT) | instid1(SALU_CYCLE_1)
	s_and_b32 s36, exec_lo, s33
	s_or_b32 s30, s36, s30
	s_and_not1_b32 s35, s35, exec_lo
	s_and_b32 s7, s7, exec_lo
	s_and_not1_b32 s31, s31, exec_lo
	s_and_b32 s36, s34, exec_lo
	s_or_b32 s35, s35, s7
	s_or_b32 s31, s31, s36
	s_and_not1_b32 exec_lo, exec_lo, s30
	s_cbranch_execz .LBB261_1373
.LBB261_1473:                           ;   Parent Loop BB261_1378 Depth=1
                                        ; =>  This Inner Loop Header: Depth=2
	global_load_u8 v25, v[8:9], off
	global_load_u8 v33, v[10:11], off
	s_and_not1_b32 s34, s34, exec_lo
	s_or_b32 s33, s33, exec_lo
	s_wait_loadcnt 0x1
	v_bfe_i32 v50, v25, 0, 8
	s_wait_loadcnt 0x0
	v_bfe_i32 v51, v33, 0, 8
	v_and_b32_e32 v25, 0xff, v25
	v_and_b32_e32 v33, 0xff, v33
	s_delay_alu instid0(VALU_DEP_3) | instskip(SKIP_2) | instid1(SALU_CYCLE_1)
	v_cmp_le_i16_e32 vcc_lo, v50, v51
	v_cmp_lt_i16_e64 s7, v50, v51
	s_and_b32 s36, vcc_lo, s35
	s_or_b32 s7, s7, s36
	s_delay_alu instid0(SALU_CYCLE_1) | instskip(NEXT) | instid1(SALU_CYCLE_1)
	s_and_b32 s36, s7, exec_lo
	s_or_b32 s34, s34, s36
	s_mov_b32 s36, exec_lo
	v_cmpx_eq_u16_e64 v25, v33
	s_cbranch_execz .LBB261_1472
; %bb.1474:                             ;   in Loop: Header=BB261_1473 Depth=2
	s_add_nc_u64 s[8:9], s[8:9], -1
	v_add_nc_u64_e32 v[8:9], 1, v[8:9]
	s_cmp_eq_u64 s[8:9], 0
	v_add_nc_u64_e32 v[10:11], 1, v[10:11]
	s_cselect_b32 s35, -1, 0
	s_and_not1_b32 s33, s33, exec_lo
	s_and_b32 s35, s35, exec_lo
	s_and_not1_b32 s34, s34, exec_lo
	s_or_b32 s33, s33, s35
                                        ; implicit-def: $sgpr35
	s_branch .LBB261_1472
.LBB261_1475:
	s_barrier_signal -1
	s_barrier_wait -1
	ds_store_2addr_b64 v32, v[14:15], v[16:17] offset1:1
	ds_store_2addr_b64 v32, v[10:11], v[12:13] offset0:2 offset1:3
	ds_store_2addr_b64 v32, v[6:7], v[8:9] offset0:4 offset1:5
	;; [unrolled: 1-line block ×3, first 2 shown]
	s_wait_dscnt 0x0
	s_barrier_signal -1
	s_barrier_wait -1
	ds_load_b64 v[14:15], v21 offset:2048
	ds_load_b64 v[12:13], v26 offset:4096
	;; [unrolled: 1-line block ×7, first 2 shown]
	v_mov_b32_e32 v21, 0
	s_delay_alu instid0(VALU_DEP_1)
	v_add_nc_u64_e32 v[4:5], s[20:21], v[20:21]
	s_and_saveexec_b32 s7, s0
	s_cbranch_execnz .LBB261_1487
; %bb.1476:
	s_or_b32 exec_lo, exec_lo, s7
	s_and_saveexec_b32 s0, s1
	s_cbranch_execnz .LBB261_1488
.LBB261_1477:
	s_or_b32 exec_lo, exec_lo, s0
	s_and_saveexec_b32 s0, s2
	s_cbranch_execnz .LBB261_1489
.LBB261_1478:
	s_or_b32 exec_lo, exec_lo, s0
	s_and_saveexec_b32 s0, s3
	s_cbranch_execnz .LBB261_1490
.LBB261_1479:
	s_or_b32 exec_lo, exec_lo, s0
	s_and_saveexec_b32 s0, s4
	s_cbranch_execnz .LBB261_1491
.LBB261_1480:
	s_or_b32 exec_lo, exec_lo, s0
	s_and_saveexec_b32 s0, s5
	s_cbranch_execnz .LBB261_1492
.LBB261_1481:
	s_or_b32 exec_lo, exec_lo, s0
	s_and_saveexec_b32 s0, s6
	s_cbranch_execz .LBB261_1483
.LBB261_1482:
	s_wait_dscnt 0x1
	global_store_b64 v[4:5], v[0:1], off offset:12288
.LBB261_1483:
	s_wait_xcnt 0x0
	s_or_b32 exec_lo, exec_lo, s0
	v_mov_b32_e32 v19, v21
.LBB261_1484:
	s_wait_xcnt 0x0
	s_and_saveexec_b32 s0, s24
	s_cbranch_execz .LBB261_1486
; %bb.1485:
	s_wait_dscnt 0x1
	v_lshl_add_u64 v[0:1], v[18:19], 3, s[20:21]
	s_wait_dscnt 0x0
	global_store_b64 v[0:1], v[2:3], off offset:14336
.LBB261_1486:
	s_endpgm
.LBB261_1487:
	ds_load_b64 v[16:17], v19
	s_wait_dscnt 0x0
	global_store_b64 v[4:5], v[16:17], off
	s_wait_xcnt 0x0
	s_or_b32 exec_lo, exec_lo, s7
	s_and_saveexec_b32 s0, s1
	s_cbranch_execz .LBB261_1477
.LBB261_1488:
	s_wait_dscnt 0x6
	global_store_b64 v[4:5], v[14:15], off offset:2048
	s_wait_xcnt 0x0
	s_or_b32 exec_lo, exec_lo, s0
	s_and_saveexec_b32 s0, s2
	s_cbranch_execz .LBB261_1478
.LBB261_1489:
	s_wait_dscnt 0x5
	global_store_b64 v[4:5], v[12:13], off offset:4096
	s_wait_xcnt 0x0
	s_or_b32 exec_lo, exec_lo, s0
	s_and_saveexec_b32 s0, s3
	s_cbranch_execz .LBB261_1479
.LBB261_1490:
	s_wait_dscnt 0x4
	global_store_b64 v[4:5], v[10:11], off offset:6144
	s_wait_xcnt 0x0
	s_or_b32 exec_lo, exec_lo, s0
	s_and_saveexec_b32 s0, s4
	s_cbranch_execz .LBB261_1480
.LBB261_1491:
	s_wait_dscnt 0x3
	global_store_b64 v[4:5], v[8:9], off offset:8192
	s_wait_xcnt 0x0
	s_or_b32 exec_lo, exec_lo, s0
	s_and_saveexec_b32 s0, s5
	s_cbranch_execz .LBB261_1481
.LBB261_1492:
	s_wait_dscnt 0x2
	global_store_b64 v[4:5], v[6:7], off offset:10240
	s_wait_xcnt 0x0
	s_or_b32 exec_lo, exec_lo, s0
	s_and_saveexec_b32 s0, s6
	s_cbranch_execnz .LBB261_1482
	s_branch .LBB261_1483
	.section	.rodata,"a",@progbits
	.p2align	6, 0x0
	.amdhsa_kernel _ZN7rocprim17ROCPRIM_400000_NS6detail17trampoline_kernelINS0_14default_configENS1_37merge_sort_block_sort_config_selectorIlNS0_10empty_typeEEEZNS1_21merge_sort_block_sortIS3_PlS8_PS5_S9_ZN2at6native12_GLOBAL__N_124unique_dim_cuda_templateIaEESt5tupleIJNSA_6TensorESF_SF_EERKSF_lbbbEUlllE_EE10hipError_tT0_T1_T2_T3_mRjT4_P12ihipStream_tbNS1_7vsmem_tEEUlT_E_NS1_11comp_targetILNS1_3genE0ELNS1_11target_archE4294967295ELNS1_3gpuE0ELNS1_3repE0EEENS1_30default_config_static_selectorELNS0_4arch9wavefront6targetE0EEEvSM_
		.amdhsa_group_segment_fixed_size 16896
		.amdhsa_private_segment_fixed_size 0
		.amdhsa_kernarg_size 328
		.amdhsa_user_sgpr_count 2
		.amdhsa_user_sgpr_dispatch_ptr 0
		.amdhsa_user_sgpr_queue_ptr 0
		.amdhsa_user_sgpr_kernarg_segment_ptr 1
		.amdhsa_user_sgpr_dispatch_id 0
		.amdhsa_user_sgpr_kernarg_preload_length 0
		.amdhsa_user_sgpr_kernarg_preload_offset 0
		.amdhsa_user_sgpr_private_segment_size 0
		.amdhsa_wavefront_size32 1
		.amdhsa_uses_dynamic_stack 0
		.amdhsa_enable_private_segment 0
		.amdhsa_system_sgpr_workgroup_id_x 1
		.amdhsa_system_sgpr_workgroup_id_y 1
		.amdhsa_system_sgpr_workgroup_id_z 1
		.amdhsa_system_sgpr_workgroup_info 0
		.amdhsa_system_vgpr_workitem_id 2
		.amdhsa_next_free_vgpr 58
		.amdhsa_next_free_sgpr 37
		.amdhsa_named_barrier_count 0
		.amdhsa_reserve_vcc 1
		.amdhsa_float_round_mode_32 0
		.amdhsa_float_round_mode_16_64 0
		.amdhsa_float_denorm_mode_32 3
		.amdhsa_float_denorm_mode_16_64 3
		.amdhsa_fp16_overflow 0
		.amdhsa_memory_ordered 1
		.amdhsa_forward_progress 1
		.amdhsa_inst_pref_size 255
		.amdhsa_round_robin_scheduling 0
		.amdhsa_exception_fp_ieee_invalid_op 0
		.amdhsa_exception_fp_denorm_src 0
		.amdhsa_exception_fp_ieee_div_zero 0
		.amdhsa_exception_fp_ieee_overflow 0
		.amdhsa_exception_fp_ieee_underflow 0
		.amdhsa_exception_fp_ieee_inexact 0
		.amdhsa_exception_int_div_zero 0
	.end_amdhsa_kernel
	.section	.text._ZN7rocprim17ROCPRIM_400000_NS6detail17trampoline_kernelINS0_14default_configENS1_37merge_sort_block_sort_config_selectorIlNS0_10empty_typeEEEZNS1_21merge_sort_block_sortIS3_PlS8_PS5_S9_ZN2at6native12_GLOBAL__N_124unique_dim_cuda_templateIaEESt5tupleIJNSA_6TensorESF_SF_EERKSF_lbbbEUlllE_EE10hipError_tT0_T1_T2_T3_mRjT4_P12ihipStream_tbNS1_7vsmem_tEEUlT_E_NS1_11comp_targetILNS1_3genE0ELNS1_11target_archE4294967295ELNS1_3gpuE0ELNS1_3repE0EEENS1_30default_config_static_selectorELNS0_4arch9wavefront6targetE0EEEvSM_,"axG",@progbits,_ZN7rocprim17ROCPRIM_400000_NS6detail17trampoline_kernelINS0_14default_configENS1_37merge_sort_block_sort_config_selectorIlNS0_10empty_typeEEEZNS1_21merge_sort_block_sortIS3_PlS8_PS5_S9_ZN2at6native12_GLOBAL__N_124unique_dim_cuda_templateIaEESt5tupleIJNSA_6TensorESF_SF_EERKSF_lbbbEUlllE_EE10hipError_tT0_T1_T2_T3_mRjT4_P12ihipStream_tbNS1_7vsmem_tEEUlT_E_NS1_11comp_targetILNS1_3genE0ELNS1_11target_archE4294967295ELNS1_3gpuE0ELNS1_3repE0EEENS1_30default_config_static_selectorELNS0_4arch9wavefront6targetE0EEEvSM_,comdat
.Lfunc_end261:
	.size	_ZN7rocprim17ROCPRIM_400000_NS6detail17trampoline_kernelINS0_14default_configENS1_37merge_sort_block_sort_config_selectorIlNS0_10empty_typeEEEZNS1_21merge_sort_block_sortIS3_PlS8_PS5_S9_ZN2at6native12_GLOBAL__N_124unique_dim_cuda_templateIaEESt5tupleIJNSA_6TensorESF_SF_EERKSF_lbbbEUlllE_EE10hipError_tT0_T1_T2_T3_mRjT4_P12ihipStream_tbNS1_7vsmem_tEEUlT_E_NS1_11comp_targetILNS1_3genE0ELNS1_11target_archE4294967295ELNS1_3gpuE0ELNS1_3repE0EEENS1_30default_config_static_selectorELNS0_4arch9wavefront6targetE0EEEvSM_, .Lfunc_end261-_ZN7rocprim17ROCPRIM_400000_NS6detail17trampoline_kernelINS0_14default_configENS1_37merge_sort_block_sort_config_selectorIlNS0_10empty_typeEEEZNS1_21merge_sort_block_sortIS3_PlS8_PS5_S9_ZN2at6native12_GLOBAL__N_124unique_dim_cuda_templateIaEESt5tupleIJNSA_6TensorESF_SF_EERKSF_lbbbEUlllE_EE10hipError_tT0_T1_T2_T3_mRjT4_P12ihipStream_tbNS1_7vsmem_tEEUlT_E_NS1_11comp_targetILNS1_3genE0ELNS1_11target_archE4294967295ELNS1_3gpuE0ELNS1_3repE0EEENS1_30default_config_static_selectorELNS0_4arch9wavefront6targetE0EEEvSM_
                                        ; -- End function
	.set _ZN7rocprim17ROCPRIM_400000_NS6detail17trampoline_kernelINS0_14default_configENS1_37merge_sort_block_sort_config_selectorIlNS0_10empty_typeEEEZNS1_21merge_sort_block_sortIS3_PlS8_PS5_S9_ZN2at6native12_GLOBAL__N_124unique_dim_cuda_templateIaEESt5tupleIJNSA_6TensorESF_SF_EERKSF_lbbbEUlllE_EE10hipError_tT0_T1_T2_T3_mRjT4_P12ihipStream_tbNS1_7vsmem_tEEUlT_E_NS1_11comp_targetILNS1_3genE0ELNS1_11target_archE4294967295ELNS1_3gpuE0ELNS1_3repE0EEENS1_30default_config_static_selectorELNS0_4arch9wavefront6targetE0EEEvSM_.num_vgpr, 58
	.set _ZN7rocprim17ROCPRIM_400000_NS6detail17trampoline_kernelINS0_14default_configENS1_37merge_sort_block_sort_config_selectorIlNS0_10empty_typeEEEZNS1_21merge_sort_block_sortIS3_PlS8_PS5_S9_ZN2at6native12_GLOBAL__N_124unique_dim_cuda_templateIaEESt5tupleIJNSA_6TensorESF_SF_EERKSF_lbbbEUlllE_EE10hipError_tT0_T1_T2_T3_mRjT4_P12ihipStream_tbNS1_7vsmem_tEEUlT_E_NS1_11comp_targetILNS1_3genE0ELNS1_11target_archE4294967295ELNS1_3gpuE0ELNS1_3repE0EEENS1_30default_config_static_selectorELNS0_4arch9wavefront6targetE0EEEvSM_.num_agpr, 0
	.set _ZN7rocprim17ROCPRIM_400000_NS6detail17trampoline_kernelINS0_14default_configENS1_37merge_sort_block_sort_config_selectorIlNS0_10empty_typeEEEZNS1_21merge_sort_block_sortIS3_PlS8_PS5_S9_ZN2at6native12_GLOBAL__N_124unique_dim_cuda_templateIaEESt5tupleIJNSA_6TensorESF_SF_EERKSF_lbbbEUlllE_EE10hipError_tT0_T1_T2_T3_mRjT4_P12ihipStream_tbNS1_7vsmem_tEEUlT_E_NS1_11comp_targetILNS1_3genE0ELNS1_11target_archE4294967295ELNS1_3gpuE0ELNS1_3repE0EEENS1_30default_config_static_selectorELNS0_4arch9wavefront6targetE0EEEvSM_.numbered_sgpr, 37
	.set _ZN7rocprim17ROCPRIM_400000_NS6detail17trampoline_kernelINS0_14default_configENS1_37merge_sort_block_sort_config_selectorIlNS0_10empty_typeEEEZNS1_21merge_sort_block_sortIS3_PlS8_PS5_S9_ZN2at6native12_GLOBAL__N_124unique_dim_cuda_templateIaEESt5tupleIJNSA_6TensorESF_SF_EERKSF_lbbbEUlllE_EE10hipError_tT0_T1_T2_T3_mRjT4_P12ihipStream_tbNS1_7vsmem_tEEUlT_E_NS1_11comp_targetILNS1_3genE0ELNS1_11target_archE4294967295ELNS1_3gpuE0ELNS1_3repE0EEENS1_30default_config_static_selectorELNS0_4arch9wavefront6targetE0EEEvSM_.num_named_barrier, 0
	.set _ZN7rocprim17ROCPRIM_400000_NS6detail17trampoline_kernelINS0_14default_configENS1_37merge_sort_block_sort_config_selectorIlNS0_10empty_typeEEEZNS1_21merge_sort_block_sortIS3_PlS8_PS5_S9_ZN2at6native12_GLOBAL__N_124unique_dim_cuda_templateIaEESt5tupleIJNSA_6TensorESF_SF_EERKSF_lbbbEUlllE_EE10hipError_tT0_T1_T2_T3_mRjT4_P12ihipStream_tbNS1_7vsmem_tEEUlT_E_NS1_11comp_targetILNS1_3genE0ELNS1_11target_archE4294967295ELNS1_3gpuE0ELNS1_3repE0EEENS1_30default_config_static_selectorELNS0_4arch9wavefront6targetE0EEEvSM_.private_seg_size, 0
	.set _ZN7rocprim17ROCPRIM_400000_NS6detail17trampoline_kernelINS0_14default_configENS1_37merge_sort_block_sort_config_selectorIlNS0_10empty_typeEEEZNS1_21merge_sort_block_sortIS3_PlS8_PS5_S9_ZN2at6native12_GLOBAL__N_124unique_dim_cuda_templateIaEESt5tupleIJNSA_6TensorESF_SF_EERKSF_lbbbEUlllE_EE10hipError_tT0_T1_T2_T3_mRjT4_P12ihipStream_tbNS1_7vsmem_tEEUlT_E_NS1_11comp_targetILNS1_3genE0ELNS1_11target_archE4294967295ELNS1_3gpuE0ELNS1_3repE0EEENS1_30default_config_static_selectorELNS0_4arch9wavefront6targetE0EEEvSM_.uses_vcc, 1
	.set _ZN7rocprim17ROCPRIM_400000_NS6detail17trampoline_kernelINS0_14default_configENS1_37merge_sort_block_sort_config_selectorIlNS0_10empty_typeEEEZNS1_21merge_sort_block_sortIS3_PlS8_PS5_S9_ZN2at6native12_GLOBAL__N_124unique_dim_cuda_templateIaEESt5tupleIJNSA_6TensorESF_SF_EERKSF_lbbbEUlllE_EE10hipError_tT0_T1_T2_T3_mRjT4_P12ihipStream_tbNS1_7vsmem_tEEUlT_E_NS1_11comp_targetILNS1_3genE0ELNS1_11target_archE4294967295ELNS1_3gpuE0ELNS1_3repE0EEENS1_30default_config_static_selectorELNS0_4arch9wavefront6targetE0EEEvSM_.uses_flat_scratch, 0
	.set _ZN7rocprim17ROCPRIM_400000_NS6detail17trampoline_kernelINS0_14default_configENS1_37merge_sort_block_sort_config_selectorIlNS0_10empty_typeEEEZNS1_21merge_sort_block_sortIS3_PlS8_PS5_S9_ZN2at6native12_GLOBAL__N_124unique_dim_cuda_templateIaEESt5tupleIJNSA_6TensorESF_SF_EERKSF_lbbbEUlllE_EE10hipError_tT0_T1_T2_T3_mRjT4_P12ihipStream_tbNS1_7vsmem_tEEUlT_E_NS1_11comp_targetILNS1_3genE0ELNS1_11target_archE4294967295ELNS1_3gpuE0ELNS1_3repE0EEENS1_30default_config_static_selectorELNS0_4arch9wavefront6targetE0EEEvSM_.has_dyn_sized_stack, 0
	.set _ZN7rocprim17ROCPRIM_400000_NS6detail17trampoline_kernelINS0_14default_configENS1_37merge_sort_block_sort_config_selectorIlNS0_10empty_typeEEEZNS1_21merge_sort_block_sortIS3_PlS8_PS5_S9_ZN2at6native12_GLOBAL__N_124unique_dim_cuda_templateIaEESt5tupleIJNSA_6TensorESF_SF_EERKSF_lbbbEUlllE_EE10hipError_tT0_T1_T2_T3_mRjT4_P12ihipStream_tbNS1_7vsmem_tEEUlT_E_NS1_11comp_targetILNS1_3genE0ELNS1_11target_archE4294967295ELNS1_3gpuE0ELNS1_3repE0EEENS1_30default_config_static_selectorELNS0_4arch9wavefront6targetE0EEEvSM_.has_recursion, 0
	.set _ZN7rocprim17ROCPRIM_400000_NS6detail17trampoline_kernelINS0_14default_configENS1_37merge_sort_block_sort_config_selectorIlNS0_10empty_typeEEEZNS1_21merge_sort_block_sortIS3_PlS8_PS5_S9_ZN2at6native12_GLOBAL__N_124unique_dim_cuda_templateIaEESt5tupleIJNSA_6TensorESF_SF_EERKSF_lbbbEUlllE_EE10hipError_tT0_T1_T2_T3_mRjT4_P12ihipStream_tbNS1_7vsmem_tEEUlT_E_NS1_11comp_targetILNS1_3genE0ELNS1_11target_archE4294967295ELNS1_3gpuE0ELNS1_3repE0EEENS1_30default_config_static_selectorELNS0_4arch9wavefront6targetE0EEEvSM_.has_indirect_call, 0
	.section	.AMDGPU.csdata,"",@progbits
; Kernel info:
; codeLenInByte = 65316
; TotalNumSgprs: 39
; NumVgprs: 58
; ScratchSize: 0
; MemoryBound: 0
; FloatMode: 240
; IeeeMode: 1
; LDSByteSize: 16896 bytes/workgroup (compile time only)
; SGPRBlocks: 0
; VGPRBlocks: 3
; NumSGPRsForWavesPerEU: 39
; NumVGPRsForWavesPerEU: 58
; NamedBarCnt: 0
; Occupancy: 16
; WaveLimiterHint : 1
; COMPUTE_PGM_RSRC2:SCRATCH_EN: 0
; COMPUTE_PGM_RSRC2:USER_SGPR: 2
; COMPUTE_PGM_RSRC2:TRAP_HANDLER: 0
; COMPUTE_PGM_RSRC2:TGID_X_EN: 1
; COMPUTE_PGM_RSRC2:TGID_Y_EN: 1
; COMPUTE_PGM_RSRC2:TGID_Z_EN: 1
; COMPUTE_PGM_RSRC2:TIDIG_COMP_CNT: 2
	.section	.text._ZN7rocprim17ROCPRIM_400000_NS6detail17trampoline_kernelINS0_14default_configENS1_37merge_sort_block_sort_config_selectorIlNS0_10empty_typeEEEZNS1_21merge_sort_block_sortIS3_PlS8_PS5_S9_ZN2at6native12_GLOBAL__N_124unique_dim_cuda_templateIaEESt5tupleIJNSA_6TensorESF_SF_EERKSF_lbbbEUlllE_EE10hipError_tT0_T1_T2_T3_mRjT4_P12ihipStream_tbNS1_7vsmem_tEEUlT_E_NS1_11comp_targetILNS1_3genE5ELNS1_11target_archE942ELNS1_3gpuE9ELNS1_3repE0EEENS1_30default_config_static_selectorELNS0_4arch9wavefront6targetE0EEEvSM_,"axG",@progbits,_ZN7rocprim17ROCPRIM_400000_NS6detail17trampoline_kernelINS0_14default_configENS1_37merge_sort_block_sort_config_selectorIlNS0_10empty_typeEEEZNS1_21merge_sort_block_sortIS3_PlS8_PS5_S9_ZN2at6native12_GLOBAL__N_124unique_dim_cuda_templateIaEESt5tupleIJNSA_6TensorESF_SF_EERKSF_lbbbEUlllE_EE10hipError_tT0_T1_T2_T3_mRjT4_P12ihipStream_tbNS1_7vsmem_tEEUlT_E_NS1_11comp_targetILNS1_3genE5ELNS1_11target_archE942ELNS1_3gpuE9ELNS1_3repE0EEENS1_30default_config_static_selectorELNS0_4arch9wavefront6targetE0EEEvSM_,comdat
	.globl	_ZN7rocprim17ROCPRIM_400000_NS6detail17trampoline_kernelINS0_14default_configENS1_37merge_sort_block_sort_config_selectorIlNS0_10empty_typeEEEZNS1_21merge_sort_block_sortIS3_PlS8_PS5_S9_ZN2at6native12_GLOBAL__N_124unique_dim_cuda_templateIaEESt5tupleIJNSA_6TensorESF_SF_EERKSF_lbbbEUlllE_EE10hipError_tT0_T1_T2_T3_mRjT4_P12ihipStream_tbNS1_7vsmem_tEEUlT_E_NS1_11comp_targetILNS1_3genE5ELNS1_11target_archE942ELNS1_3gpuE9ELNS1_3repE0EEENS1_30default_config_static_selectorELNS0_4arch9wavefront6targetE0EEEvSM_ ; -- Begin function _ZN7rocprim17ROCPRIM_400000_NS6detail17trampoline_kernelINS0_14default_configENS1_37merge_sort_block_sort_config_selectorIlNS0_10empty_typeEEEZNS1_21merge_sort_block_sortIS3_PlS8_PS5_S9_ZN2at6native12_GLOBAL__N_124unique_dim_cuda_templateIaEESt5tupleIJNSA_6TensorESF_SF_EERKSF_lbbbEUlllE_EE10hipError_tT0_T1_T2_T3_mRjT4_P12ihipStream_tbNS1_7vsmem_tEEUlT_E_NS1_11comp_targetILNS1_3genE5ELNS1_11target_archE942ELNS1_3gpuE9ELNS1_3repE0EEENS1_30default_config_static_selectorELNS0_4arch9wavefront6targetE0EEEvSM_
	.p2align	8
	.type	_ZN7rocprim17ROCPRIM_400000_NS6detail17trampoline_kernelINS0_14default_configENS1_37merge_sort_block_sort_config_selectorIlNS0_10empty_typeEEEZNS1_21merge_sort_block_sortIS3_PlS8_PS5_S9_ZN2at6native12_GLOBAL__N_124unique_dim_cuda_templateIaEESt5tupleIJNSA_6TensorESF_SF_EERKSF_lbbbEUlllE_EE10hipError_tT0_T1_T2_T3_mRjT4_P12ihipStream_tbNS1_7vsmem_tEEUlT_E_NS1_11comp_targetILNS1_3genE5ELNS1_11target_archE942ELNS1_3gpuE9ELNS1_3repE0EEENS1_30default_config_static_selectorELNS0_4arch9wavefront6targetE0EEEvSM_,@function
_ZN7rocprim17ROCPRIM_400000_NS6detail17trampoline_kernelINS0_14default_configENS1_37merge_sort_block_sort_config_selectorIlNS0_10empty_typeEEEZNS1_21merge_sort_block_sortIS3_PlS8_PS5_S9_ZN2at6native12_GLOBAL__N_124unique_dim_cuda_templateIaEESt5tupleIJNSA_6TensorESF_SF_EERKSF_lbbbEUlllE_EE10hipError_tT0_T1_T2_T3_mRjT4_P12ihipStream_tbNS1_7vsmem_tEEUlT_E_NS1_11comp_targetILNS1_3genE5ELNS1_11target_archE942ELNS1_3gpuE9ELNS1_3repE0EEENS1_30default_config_static_selectorELNS0_4arch9wavefront6targetE0EEEvSM_: ; @_ZN7rocprim17ROCPRIM_400000_NS6detail17trampoline_kernelINS0_14default_configENS1_37merge_sort_block_sort_config_selectorIlNS0_10empty_typeEEEZNS1_21merge_sort_block_sortIS3_PlS8_PS5_S9_ZN2at6native12_GLOBAL__N_124unique_dim_cuda_templateIaEESt5tupleIJNSA_6TensorESF_SF_EERKSF_lbbbEUlllE_EE10hipError_tT0_T1_T2_T3_mRjT4_P12ihipStream_tbNS1_7vsmem_tEEUlT_E_NS1_11comp_targetILNS1_3genE5ELNS1_11target_archE942ELNS1_3gpuE9ELNS1_3repE0EEENS1_30default_config_static_selectorELNS0_4arch9wavefront6targetE0EEEvSM_
; %bb.0:
	.section	.rodata,"a",@progbits
	.p2align	6, 0x0
	.amdhsa_kernel _ZN7rocprim17ROCPRIM_400000_NS6detail17trampoline_kernelINS0_14default_configENS1_37merge_sort_block_sort_config_selectorIlNS0_10empty_typeEEEZNS1_21merge_sort_block_sortIS3_PlS8_PS5_S9_ZN2at6native12_GLOBAL__N_124unique_dim_cuda_templateIaEESt5tupleIJNSA_6TensorESF_SF_EERKSF_lbbbEUlllE_EE10hipError_tT0_T1_T2_T3_mRjT4_P12ihipStream_tbNS1_7vsmem_tEEUlT_E_NS1_11comp_targetILNS1_3genE5ELNS1_11target_archE942ELNS1_3gpuE9ELNS1_3repE0EEENS1_30default_config_static_selectorELNS0_4arch9wavefront6targetE0EEEvSM_
		.amdhsa_group_segment_fixed_size 0
		.amdhsa_private_segment_fixed_size 0
		.amdhsa_kernarg_size 72
		.amdhsa_user_sgpr_count 2
		.amdhsa_user_sgpr_dispatch_ptr 0
		.amdhsa_user_sgpr_queue_ptr 0
		.amdhsa_user_sgpr_kernarg_segment_ptr 1
		.amdhsa_user_sgpr_dispatch_id 0
		.amdhsa_user_sgpr_kernarg_preload_length 0
		.amdhsa_user_sgpr_kernarg_preload_offset 0
		.amdhsa_user_sgpr_private_segment_size 0
		.amdhsa_wavefront_size32 1
		.amdhsa_uses_dynamic_stack 0
		.amdhsa_enable_private_segment 0
		.amdhsa_system_sgpr_workgroup_id_x 1
		.amdhsa_system_sgpr_workgroup_id_y 0
		.amdhsa_system_sgpr_workgroup_id_z 0
		.amdhsa_system_sgpr_workgroup_info 0
		.amdhsa_system_vgpr_workitem_id 0
		.amdhsa_next_free_vgpr 1
		.amdhsa_next_free_sgpr 1
		.amdhsa_named_barrier_count 0
		.amdhsa_reserve_vcc 0
		.amdhsa_float_round_mode_32 0
		.amdhsa_float_round_mode_16_64 0
		.amdhsa_float_denorm_mode_32 3
		.amdhsa_float_denorm_mode_16_64 3
		.amdhsa_fp16_overflow 0
		.amdhsa_memory_ordered 1
		.amdhsa_forward_progress 1
		.amdhsa_inst_pref_size 0
		.amdhsa_round_robin_scheduling 0
		.amdhsa_exception_fp_ieee_invalid_op 0
		.amdhsa_exception_fp_denorm_src 0
		.amdhsa_exception_fp_ieee_div_zero 0
		.amdhsa_exception_fp_ieee_overflow 0
		.amdhsa_exception_fp_ieee_underflow 0
		.amdhsa_exception_fp_ieee_inexact 0
		.amdhsa_exception_int_div_zero 0
	.end_amdhsa_kernel
	.section	.text._ZN7rocprim17ROCPRIM_400000_NS6detail17trampoline_kernelINS0_14default_configENS1_37merge_sort_block_sort_config_selectorIlNS0_10empty_typeEEEZNS1_21merge_sort_block_sortIS3_PlS8_PS5_S9_ZN2at6native12_GLOBAL__N_124unique_dim_cuda_templateIaEESt5tupleIJNSA_6TensorESF_SF_EERKSF_lbbbEUlllE_EE10hipError_tT0_T1_T2_T3_mRjT4_P12ihipStream_tbNS1_7vsmem_tEEUlT_E_NS1_11comp_targetILNS1_3genE5ELNS1_11target_archE942ELNS1_3gpuE9ELNS1_3repE0EEENS1_30default_config_static_selectorELNS0_4arch9wavefront6targetE0EEEvSM_,"axG",@progbits,_ZN7rocprim17ROCPRIM_400000_NS6detail17trampoline_kernelINS0_14default_configENS1_37merge_sort_block_sort_config_selectorIlNS0_10empty_typeEEEZNS1_21merge_sort_block_sortIS3_PlS8_PS5_S9_ZN2at6native12_GLOBAL__N_124unique_dim_cuda_templateIaEESt5tupleIJNSA_6TensorESF_SF_EERKSF_lbbbEUlllE_EE10hipError_tT0_T1_T2_T3_mRjT4_P12ihipStream_tbNS1_7vsmem_tEEUlT_E_NS1_11comp_targetILNS1_3genE5ELNS1_11target_archE942ELNS1_3gpuE9ELNS1_3repE0EEENS1_30default_config_static_selectorELNS0_4arch9wavefront6targetE0EEEvSM_,comdat
.Lfunc_end262:
	.size	_ZN7rocprim17ROCPRIM_400000_NS6detail17trampoline_kernelINS0_14default_configENS1_37merge_sort_block_sort_config_selectorIlNS0_10empty_typeEEEZNS1_21merge_sort_block_sortIS3_PlS8_PS5_S9_ZN2at6native12_GLOBAL__N_124unique_dim_cuda_templateIaEESt5tupleIJNSA_6TensorESF_SF_EERKSF_lbbbEUlllE_EE10hipError_tT0_T1_T2_T3_mRjT4_P12ihipStream_tbNS1_7vsmem_tEEUlT_E_NS1_11comp_targetILNS1_3genE5ELNS1_11target_archE942ELNS1_3gpuE9ELNS1_3repE0EEENS1_30default_config_static_selectorELNS0_4arch9wavefront6targetE0EEEvSM_, .Lfunc_end262-_ZN7rocprim17ROCPRIM_400000_NS6detail17trampoline_kernelINS0_14default_configENS1_37merge_sort_block_sort_config_selectorIlNS0_10empty_typeEEEZNS1_21merge_sort_block_sortIS3_PlS8_PS5_S9_ZN2at6native12_GLOBAL__N_124unique_dim_cuda_templateIaEESt5tupleIJNSA_6TensorESF_SF_EERKSF_lbbbEUlllE_EE10hipError_tT0_T1_T2_T3_mRjT4_P12ihipStream_tbNS1_7vsmem_tEEUlT_E_NS1_11comp_targetILNS1_3genE5ELNS1_11target_archE942ELNS1_3gpuE9ELNS1_3repE0EEENS1_30default_config_static_selectorELNS0_4arch9wavefront6targetE0EEEvSM_
                                        ; -- End function
	.set _ZN7rocprim17ROCPRIM_400000_NS6detail17trampoline_kernelINS0_14default_configENS1_37merge_sort_block_sort_config_selectorIlNS0_10empty_typeEEEZNS1_21merge_sort_block_sortIS3_PlS8_PS5_S9_ZN2at6native12_GLOBAL__N_124unique_dim_cuda_templateIaEESt5tupleIJNSA_6TensorESF_SF_EERKSF_lbbbEUlllE_EE10hipError_tT0_T1_T2_T3_mRjT4_P12ihipStream_tbNS1_7vsmem_tEEUlT_E_NS1_11comp_targetILNS1_3genE5ELNS1_11target_archE942ELNS1_3gpuE9ELNS1_3repE0EEENS1_30default_config_static_selectorELNS0_4arch9wavefront6targetE0EEEvSM_.num_vgpr, 0
	.set _ZN7rocprim17ROCPRIM_400000_NS6detail17trampoline_kernelINS0_14default_configENS1_37merge_sort_block_sort_config_selectorIlNS0_10empty_typeEEEZNS1_21merge_sort_block_sortIS3_PlS8_PS5_S9_ZN2at6native12_GLOBAL__N_124unique_dim_cuda_templateIaEESt5tupleIJNSA_6TensorESF_SF_EERKSF_lbbbEUlllE_EE10hipError_tT0_T1_T2_T3_mRjT4_P12ihipStream_tbNS1_7vsmem_tEEUlT_E_NS1_11comp_targetILNS1_3genE5ELNS1_11target_archE942ELNS1_3gpuE9ELNS1_3repE0EEENS1_30default_config_static_selectorELNS0_4arch9wavefront6targetE0EEEvSM_.num_agpr, 0
	.set _ZN7rocprim17ROCPRIM_400000_NS6detail17trampoline_kernelINS0_14default_configENS1_37merge_sort_block_sort_config_selectorIlNS0_10empty_typeEEEZNS1_21merge_sort_block_sortIS3_PlS8_PS5_S9_ZN2at6native12_GLOBAL__N_124unique_dim_cuda_templateIaEESt5tupleIJNSA_6TensorESF_SF_EERKSF_lbbbEUlllE_EE10hipError_tT0_T1_T2_T3_mRjT4_P12ihipStream_tbNS1_7vsmem_tEEUlT_E_NS1_11comp_targetILNS1_3genE5ELNS1_11target_archE942ELNS1_3gpuE9ELNS1_3repE0EEENS1_30default_config_static_selectorELNS0_4arch9wavefront6targetE0EEEvSM_.numbered_sgpr, 0
	.set _ZN7rocprim17ROCPRIM_400000_NS6detail17trampoline_kernelINS0_14default_configENS1_37merge_sort_block_sort_config_selectorIlNS0_10empty_typeEEEZNS1_21merge_sort_block_sortIS3_PlS8_PS5_S9_ZN2at6native12_GLOBAL__N_124unique_dim_cuda_templateIaEESt5tupleIJNSA_6TensorESF_SF_EERKSF_lbbbEUlllE_EE10hipError_tT0_T1_T2_T3_mRjT4_P12ihipStream_tbNS1_7vsmem_tEEUlT_E_NS1_11comp_targetILNS1_3genE5ELNS1_11target_archE942ELNS1_3gpuE9ELNS1_3repE0EEENS1_30default_config_static_selectorELNS0_4arch9wavefront6targetE0EEEvSM_.num_named_barrier, 0
	.set _ZN7rocprim17ROCPRIM_400000_NS6detail17trampoline_kernelINS0_14default_configENS1_37merge_sort_block_sort_config_selectorIlNS0_10empty_typeEEEZNS1_21merge_sort_block_sortIS3_PlS8_PS5_S9_ZN2at6native12_GLOBAL__N_124unique_dim_cuda_templateIaEESt5tupleIJNSA_6TensorESF_SF_EERKSF_lbbbEUlllE_EE10hipError_tT0_T1_T2_T3_mRjT4_P12ihipStream_tbNS1_7vsmem_tEEUlT_E_NS1_11comp_targetILNS1_3genE5ELNS1_11target_archE942ELNS1_3gpuE9ELNS1_3repE0EEENS1_30default_config_static_selectorELNS0_4arch9wavefront6targetE0EEEvSM_.private_seg_size, 0
	.set _ZN7rocprim17ROCPRIM_400000_NS6detail17trampoline_kernelINS0_14default_configENS1_37merge_sort_block_sort_config_selectorIlNS0_10empty_typeEEEZNS1_21merge_sort_block_sortIS3_PlS8_PS5_S9_ZN2at6native12_GLOBAL__N_124unique_dim_cuda_templateIaEESt5tupleIJNSA_6TensorESF_SF_EERKSF_lbbbEUlllE_EE10hipError_tT0_T1_T2_T3_mRjT4_P12ihipStream_tbNS1_7vsmem_tEEUlT_E_NS1_11comp_targetILNS1_3genE5ELNS1_11target_archE942ELNS1_3gpuE9ELNS1_3repE0EEENS1_30default_config_static_selectorELNS0_4arch9wavefront6targetE0EEEvSM_.uses_vcc, 0
	.set _ZN7rocprim17ROCPRIM_400000_NS6detail17trampoline_kernelINS0_14default_configENS1_37merge_sort_block_sort_config_selectorIlNS0_10empty_typeEEEZNS1_21merge_sort_block_sortIS3_PlS8_PS5_S9_ZN2at6native12_GLOBAL__N_124unique_dim_cuda_templateIaEESt5tupleIJNSA_6TensorESF_SF_EERKSF_lbbbEUlllE_EE10hipError_tT0_T1_T2_T3_mRjT4_P12ihipStream_tbNS1_7vsmem_tEEUlT_E_NS1_11comp_targetILNS1_3genE5ELNS1_11target_archE942ELNS1_3gpuE9ELNS1_3repE0EEENS1_30default_config_static_selectorELNS0_4arch9wavefront6targetE0EEEvSM_.uses_flat_scratch, 0
	.set _ZN7rocprim17ROCPRIM_400000_NS6detail17trampoline_kernelINS0_14default_configENS1_37merge_sort_block_sort_config_selectorIlNS0_10empty_typeEEEZNS1_21merge_sort_block_sortIS3_PlS8_PS5_S9_ZN2at6native12_GLOBAL__N_124unique_dim_cuda_templateIaEESt5tupleIJNSA_6TensorESF_SF_EERKSF_lbbbEUlllE_EE10hipError_tT0_T1_T2_T3_mRjT4_P12ihipStream_tbNS1_7vsmem_tEEUlT_E_NS1_11comp_targetILNS1_3genE5ELNS1_11target_archE942ELNS1_3gpuE9ELNS1_3repE0EEENS1_30default_config_static_selectorELNS0_4arch9wavefront6targetE0EEEvSM_.has_dyn_sized_stack, 0
	.set _ZN7rocprim17ROCPRIM_400000_NS6detail17trampoline_kernelINS0_14default_configENS1_37merge_sort_block_sort_config_selectorIlNS0_10empty_typeEEEZNS1_21merge_sort_block_sortIS3_PlS8_PS5_S9_ZN2at6native12_GLOBAL__N_124unique_dim_cuda_templateIaEESt5tupleIJNSA_6TensorESF_SF_EERKSF_lbbbEUlllE_EE10hipError_tT0_T1_T2_T3_mRjT4_P12ihipStream_tbNS1_7vsmem_tEEUlT_E_NS1_11comp_targetILNS1_3genE5ELNS1_11target_archE942ELNS1_3gpuE9ELNS1_3repE0EEENS1_30default_config_static_selectorELNS0_4arch9wavefront6targetE0EEEvSM_.has_recursion, 0
	.set _ZN7rocprim17ROCPRIM_400000_NS6detail17trampoline_kernelINS0_14default_configENS1_37merge_sort_block_sort_config_selectorIlNS0_10empty_typeEEEZNS1_21merge_sort_block_sortIS3_PlS8_PS5_S9_ZN2at6native12_GLOBAL__N_124unique_dim_cuda_templateIaEESt5tupleIJNSA_6TensorESF_SF_EERKSF_lbbbEUlllE_EE10hipError_tT0_T1_T2_T3_mRjT4_P12ihipStream_tbNS1_7vsmem_tEEUlT_E_NS1_11comp_targetILNS1_3genE5ELNS1_11target_archE942ELNS1_3gpuE9ELNS1_3repE0EEENS1_30default_config_static_selectorELNS0_4arch9wavefront6targetE0EEEvSM_.has_indirect_call, 0
	.section	.AMDGPU.csdata,"",@progbits
; Kernel info:
; codeLenInByte = 0
; TotalNumSgprs: 0
; NumVgprs: 0
; ScratchSize: 0
; MemoryBound: 0
; FloatMode: 240
; IeeeMode: 1
; LDSByteSize: 0 bytes/workgroup (compile time only)
; SGPRBlocks: 0
; VGPRBlocks: 0
; NumSGPRsForWavesPerEU: 1
; NumVGPRsForWavesPerEU: 1
; NamedBarCnt: 0
; Occupancy: 16
; WaveLimiterHint : 0
; COMPUTE_PGM_RSRC2:SCRATCH_EN: 0
; COMPUTE_PGM_RSRC2:USER_SGPR: 2
; COMPUTE_PGM_RSRC2:TRAP_HANDLER: 0
; COMPUTE_PGM_RSRC2:TGID_X_EN: 1
; COMPUTE_PGM_RSRC2:TGID_Y_EN: 0
; COMPUTE_PGM_RSRC2:TGID_Z_EN: 0
; COMPUTE_PGM_RSRC2:TIDIG_COMP_CNT: 0
	.section	.text._ZN7rocprim17ROCPRIM_400000_NS6detail17trampoline_kernelINS0_14default_configENS1_37merge_sort_block_sort_config_selectorIlNS0_10empty_typeEEEZNS1_21merge_sort_block_sortIS3_PlS8_PS5_S9_ZN2at6native12_GLOBAL__N_124unique_dim_cuda_templateIaEESt5tupleIJNSA_6TensorESF_SF_EERKSF_lbbbEUlllE_EE10hipError_tT0_T1_T2_T3_mRjT4_P12ihipStream_tbNS1_7vsmem_tEEUlT_E_NS1_11comp_targetILNS1_3genE4ELNS1_11target_archE910ELNS1_3gpuE8ELNS1_3repE0EEENS1_30default_config_static_selectorELNS0_4arch9wavefront6targetE0EEEvSM_,"axG",@progbits,_ZN7rocprim17ROCPRIM_400000_NS6detail17trampoline_kernelINS0_14default_configENS1_37merge_sort_block_sort_config_selectorIlNS0_10empty_typeEEEZNS1_21merge_sort_block_sortIS3_PlS8_PS5_S9_ZN2at6native12_GLOBAL__N_124unique_dim_cuda_templateIaEESt5tupleIJNSA_6TensorESF_SF_EERKSF_lbbbEUlllE_EE10hipError_tT0_T1_T2_T3_mRjT4_P12ihipStream_tbNS1_7vsmem_tEEUlT_E_NS1_11comp_targetILNS1_3genE4ELNS1_11target_archE910ELNS1_3gpuE8ELNS1_3repE0EEENS1_30default_config_static_selectorELNS0_4arch9wavefront6targetE0EEEvSM_,comdat
	.globl	_ZN7rocprim17ROCPRIM_400000_NS6detail17trampoline_kernelINS0_14default_configENS1_37merge_sort_block_sort_config_selectorIlNS0_10empty_typeEEEZNS1_21merge_sort_block_sortIS3_PlS8_PS5_S9_ZN2at6native12_GLOBAL__N_124unique_dim_cuda_templateIaEESt5tupleIJNSA_6TensorESF_SF_EERKSF_lbbbEUlllE_EE10hipError_tT0_T1_T2_T3_mRjT4_P12ihipStream_tbNS1_7vsmem_tEEUlT_E_NS1_11comp_targetILNS1_3genE4ELNS1_11target_archE910ELNS1_3gpuE8ELNS1_3repE0EEENS1_30default_config_static_selectorELNS0_4arch9wavefront6targetE0EEEvSM_ ; -- Begin function _ZN7rocprim17ROCPRIM_400000_NS6detail17trampoline_kernelINS0_14default_configENS1_37merge_sort_block_sort_config_selectorIlNS0_10empty_typeEEEZNS1_21merge_sort_block_sortIS3_PlS8_PS5_S9_ZN2at6native12_GLOBAL__N_124unique_dim_cuda_templateIaEESt5tupleIJNSA_6TensorESF_SF_EERKSF_lbbbEUlllE_EE10hipError_tT0_T1_T2_T3_mRjT4_P12ihipStream_tbNS1_7vsmem_tEEUlT_E_NS1_11comp_targetILNS1_3genE4ELNS1_11target_archE910ELNS1_3gpuE8ELNS1_3repE0EEENS1_30default_config_static_selectorELNS0_4arch9wavefront6targetE0EEEvSM_
	.p2align	8
	.type	_ZN7rocprim17ROCPRIM_400000_NS6detail17trampoline_kernelINS0_14default_configENS1_37merge_sort_block_sort_config_selectorIlNS0_10empty_typeEEEZNS1_21merge_sort_block_sortIS3_PlS8_PS5_S9_ZN2at6native12_GLOBAL__N_124unique_dim_cuda_templateIaEESt5tupleIJNSA_6TensorESF_SF_EERKSF_lbbbEUlllE_EE10hipError_tT0_T1_T2_T3_mRjT4_P12ihipStream_tbNS1_7vsmem_tEEUlT_E_NS1_11comp_targetILNS1_3genE4ELNS1_11target_archE910ELNS1_3gpuE8ELNS1_3repE0EEENS1_30default_config_static_selectorELNS0_4arch9wavefront6targetE0EEEvSM_,@function
_ZN7rocprim17ROCPRIM_400000_NS6detail17trampoline_kernelINS0_14default_configENS1_37merge_sort_block_sort_config_selectorIlNS0_10empty_typeEEEZNS1_21merge_sort_block_sortIS3_PlS8_PS5_S9_ZN2at6native12_GLOBAL__N_124unique_dim_cuda_templateIaEESt5tupleIJNSA_6TensorESF_SF_EERKSF_lbbbEUlllE_EE10hipError_tT0_T1_T2_T3_mRjT4_P12ihipStream_tbNS1_7vsmem_tEEUlT_E_NS1_11comp_targetILNS1_3genE4ELNS1_11target_archE910ELNS1_3gpuE8ELNS1_3repE0EEENS1_30default_config_static_selectorELNS0_4arch9wavefront6targetE0EEEvSM_: ; @_ZN7rocprim17ROCPRIM_400000_NS6detail17trampoline_kernelINS0_14default_configENS1_37merge_sort_block_sort_config_selectorIlNS0_10empty_typeEEEZNS1_21merge_sort_block_sortIS3_PlS8_PS5_S9_ZN2at6native12_GLOBAL__N_124unique_dim_cuda_templateIaEESt5tupleIJNSA_6TensorESF_SF_EERKSF_lbbbEUlllE_EE10hipError_tT0_T1_T2_T3_mRjT4_P12ihipStream_tbNS1_7vsmem_tEEUlT_E_NS1_11comp_targetILNS1_3genE4ELNS1_11target_archE910ELNS1_3gpuE8ELNS1_3repE0EEENS1_30default_config_static_selectorELNS0_4arch9wavefront6targetE0EEEvSM_
; %bb.0:
	.section	.rodata,"a",@progbits
	.p2align	6, 0x0
	.amdhsa_kernel _ZN7rocprim17ROCPRIM_400000_NS6detail17trampoline_kernelINS0_14default_configENS1_37merge_sort_block_sort_config_selectorIlNS0_10empty_typeEEEZNS1_21merge_sort_block_sortIS3_PlS8_PS5_S9_ZN2at6native12_GLOBAL__N_124unique_dim_cuda_templateIaEESt5tupleIJNSA_6TensorESF_SF_EERKSF_lbbbEUlllE_EE10hipError_tT0_T1_T2_T3_mRjT4_P12ihipStream_tbNS1_7vsmem_tEEUlT_E_NS1_11comp_targetILNS1_3genE4ELNS1_11target_archE910ELNS1_3gpuE8ELNS1_3repE0EEENS1_30default_config_static_selectorELNS0_4arch9wavefront6targetE0EEEvSM_
		.amdhsa_group_segment_fixed_size 0
		.amdhsa_private_segment_fixed_size 0
		.amdhsa_kernarg_size 72
		.amdhsa_user_sgpr_count 2
		.amdhsa_user_sgpr_dispatch_ptr 0
		.amdhsa_user_sgpr_queue_ptr 0
		.amdhsa_user_sgpr_kernarg_segment_ptr 1
		.amdhsa_user_sgpr_dispatch_id 0
		.amdhsa_user_sgpr_kernarg_preload_length 0
		.amdhsa_user_sgpr_kernarg_preload_offset 0
		.amdhsa_user_sgpr_private_segment_size 0
		.amdhsa_wavefront_size32 1
		.amdhsa_uses_dynamic_stack 0
		.amdhsa_enable_private_segment 0
		.amdhsa_system_sgpr_workgroup_id_x 1
		.amdhsa_system_sgpr_workgroup_id_y 0
		.amdhsa_system_sgpr_workgroup_id_z 0
		.amdhsa_system_sgpr_workgroup_info 0
		.amdhsa_system_vgpr_workitem_id 0
		.amdhsa_next_free_vgpr 1
		.amdhsa_next_free_sgpr 1
		.amdhsa_named_barrier_count 0
		.amdhsa_reserve_vcc 0
		.amdhsa_float_round_mode_32 0
		.amdhsa_float_round_mode_16_64 0
		.amdhsa_float_denorm_mode_32 3
		.amdhsa_float_denorm_mode_16_64 3
		.amdhsa_fp16_overflow 0
		.amdhsa_memory_ordered 1
		.amdhsa_forward_progress 1
		.amdhsa_inst_pref_size 0
		.amdhsa_round_robin_scheduling 0
		.amdhsa_exception_fp_ieee_invalid_op 0
		.amdhsa_exception_fp_denorm_src 0
		.amdhsa_exception_fp_ieee_div_zero 0
		.amdhsa_exception_fp_ieee_overflow 0
		.amdhsa_exception_fp_ieee_underflow 0
		.amdhsa_exception_fp_ieee_inexact 0
		.amdhsa_exception_int_div_zero 0
	.end_amdhsa_kernel
	.section	.text._ZN7rocprim17ROCPRIM_400000_NS6detail17trampoline_kernelINS0_14default_configENS1_37merge_sort_block_sort_config_selectorIlNS0_10empty_typeEEEZNS1_21merge_sort_block_sortIS3_PlS8_PS5_S9_ZN2at6native12_GLOBAL__N_124unique_dim_cuda_templateIaEESt5tupleIJNSA_6TensorESF_SF_EERKSF_lbbbEUlllE_EE10hipError_tT0_T1_T2_T3_mRjT4_P12ihipStream_tbNS1_7vsmem_tEEUlT_E_NS1_11comp_targetILNS1_3genE4ELNS1_11target_archE910ELNS1_3gpuE8ELNS1_3repE0EEENS1_30default_config_static_selectorELNS0_4arch9wavefront6targetE0EEEvSM_,"axG",@progbits,_ZN7rocprim17ROCPRIM_400000_NS6detail17trampoline_kernelINS0_14default_configENS1_37merge_sort_block_sort_config_selectorIlNS0_10empty_typeEEEZNS1_21merge_sort_block_sortIS3_PlS8_PS5_S9_ZN2at6native12_GLOBAL__N_124unique_dim_cuda_templateIaEESt5tupleIJNSA_6TensorESF_SF_EERKSF_lbbbEUlllE_EE10hipError_tT0_T1_T2_T3_mRjT4_P12ihipStream_tbNS1_7vsmem_tEEUlT_E_NS1_11comp_targetILNS1_3genE4ELNS1_11target_archE910ELNS1_3gpuE8ELNS1_3repE0EEENS1_30default_config_static_selectorELNS0_4arch9wavefront6targetE0EEEvSM_,comdat
.Lfunc_end263:
	.size	_ZN7rocprim17ROCPRIM_400000_NS6detail17trampoline_kernelINS0_14default_configENS1_37merge_sort_block_sort_config_selectorIlNS0_10empty_typeEEEZNS1_21merge_sort_block_sortIS3_PlS8_PS5_S9_ZN2at6native12_GLOBAL__N_124unique_dim_cuda_templateIaEESt5tupleIJNSA_6TensorESF_SF_EERKSF_lbbbEUlllE_EE10hipError_tT0_T1_T2_T3_mRjT4_P12ihipStream_tbNS1_7vsmem_tEEUlT_E_NS1_11comp_targetILNS1_3genE4ELNS1_11target_archE910ELNS1_3gpuE8ELNS1_3repE0EEENS1_30default_config_static_selectorELNS0_4arch9wavefront6targetE0EEEvSM_, .Lfunc_end263-_ZN7rocprim17ROCPRIM_400000_NS6detail17trampoline_kernelINS0_14default_configENS1_37merge_sort_block_sort_config_selectorIlNS0_10empty_typeEEEZNS1_21merge_sort_block_sortIS3_PlS8_PS5_S9_ZN2at6native12_GLOBAL__N_124unique_dim_cuda_templateIaEESt5tupleIJNSA_6TensorESF_SF_EERKSF_lbbbEUlllE_EE10hipError_tT0_T1_T2_T3_mRjT4_P12ihipStream_tbNS1_7vsmem_tEEUlT_E_NS1_11comp_targetILNS1_3genE4ELNS1_11target_archE910ELNS1_3gpuE8ELNS1_3repE0EEENS1_30default_config_static_selectorELNS0_4arch9wavefront6targetE0EEEvSM_
                                        ; -- End function
	.set _ZN7rocprim17ROCPRIM_400000_NS6detail17trampoline_kernelINS0_14default_configENS1_37merge_sort_block_sort_config_selectorIlNS0_10empty_typeEEEZNS1_21merge_sort_block_sortIS3_PlS8_PS5_S9_ZN2at6native12_GLOBAL__N_124unique_dim_cuda_templateIaEESt5tupleIJNSA_6TensorESF_SF_EERKSF_lbbbEUlllE_EE10hipError_tT0_T1_T2_T3_mRjT4_P12ihipStream_tbNS1_7vsmem_tEEUlT_E_NS1_11comp_targetILNS1_3genE4ELNS1_11target_archE910ELNS1_3gpuE8ELNS1_3repE0EEENS1_30default_config_static_selectorELNS0_4arch9wavefront6targetE0EEEvSM_.num_vgpr, 0
	.set _ZN7rocprim17ROCPRIM_400000_NS6detail17trampoline_kernelINS0_14default_configENS1_37merge_sort_block_sort_config_selectorIlNS0_10empty_typeEEEZNS1_21merge_sort_block_sortIS3_PlS8_PS5_S9_ZN2at6native12_GLOBAL__N_124unique_dim_cuda_templateIaEESt5tupleIJNSA_6TensorESF_SF_EERKSF_lbbbEUlllE_EE10hipError_tT0_T1_T2_T3_mRjT4_P12ihipStream_tbNS1_7vsmem_tEEUlT_E_NS1_11comp_targetILNS1_3genE4ELNS1_11target_archE910ELNS1_3gpuE8ELNS1_3repE0EEENS1_30default_config_static_selectorELNS0_4arch9wavefront6targetE0EEEvSM_.num_agpr, 0
	.set _ZN7rocprim17ROCPRIM_400000_NS6detail17trampoline_kernelINS0_14default_configENS1_37merge_sort_block_sort_config_selectorIlNS0_10empty_typeEEEZNS1_21merge_sort_block_sortIS3_PlS8_PS5_S9_ZN2at6native12_GLOBAL__N_124unique_dim_cuda_templateIaEESt5tupleIJNSA_6TensorESF_SF_EERKSF_lbbbEUlllE_EE10hipError_tT0_T1_T2_T3_mRjT4_P12ihipStream_tbNS1_7vsmem_tEEUlT_E_NS1_11comp_targetILNS1_3genE4ELNS1_11target_archE910ELNS1_3gpuE8ELNS1_3repE0EEENS1_30default_config_static_selectorELNS0_4arch9wavefront6targetE0EEEvSM_.numbered_sgpr, 0
	.set _ZN7rocprim17ROCPRIM_400000_NS6detail17trampoline_kernelINS0_14default_configENS1_37merge_sort_block_sort_config_selectorIlNS0_10empty_typeEEEZNS1_21merge_sort_block_sortIS3_PlS8_PS5_S9_ZN2at6native12_GLOBAL__N_124unique_dim_cuda_templateIaEESt5tupleIJNSA_6TensorESF_SF_EERKSF_lbbbEUlllE_EE10hipError_tT0_T1_T2_T3_mRjT4_P12ihipStream_tbNS1_7vsmem_tEEUlT_E_NS1_11comp_targetILNS1_3genE4ELNS1_11target_archE910ELNS1_3gpuE8ELNS1_3repE0EEENS1_30default_config_static_selectorELNS0_4arch9wavefront6targetE0EEEvSM_.num_named_barrier, 0
	.set _ZN7rocprim17ROCPRIM_400000_NS6detail17trampoline_kernelINS0_14default_configENS1_37merge_sort_block_sort_config_selectorIlNS0_10empty_typeEEEZNS1_21merge_sort_block_sortIS3_PlS8_PS5_S9_ZN2at6native12_GLOBAL__N_124unique_dim_cuda_templateIaEESt5tupleIJNSA_6TensorESF_SF_EERKSF_lbbbEUlllE_EE10hipError_tT0_T1_T2_T3_mRjT4_P12ihipStream_tbNS1_7vsmem_tEEUlT_E_NS1_11comp_targetILNS1_3genE4ELNS1_11target_archE910ELNS1_3gpuE8ELNS1_3repE0EEENS1_30default_config_static_selectorELNS0_4arch9wavefront6targetE0EEEvSM_.private_seg_size, 0
	.set _ZN7rocprim17ROCPRIM_400000_NS6detail17trampoline_kernelINS0_14default_configENS1_37merge_sort_block_sort_config_selectorIlNS0_10empty_typeEEEZNS1_21merge_sort_block_sortIS3_PlS8_PS5_S9_ZN2at6native12_GLOBAL__N_124unique_dim_cuda_templateIaEESt5tupleIJNSA_6TensorESF_SF_EERKSF_lbbbEUlllE_EE10hipError_tT0_T1_T2_T3_mRjT4_P12ihipStream_tbNS1_7vsmem_tEEUlT_E_NS1_11comp_targetILNS1_3genE4ELNS1_11target_archE910ELNS1_3gpuE8ELNS1_3repE0EEENS1_30default_config_static_selectorELNS0_4arch9wavefront6targetE0EEEvSM_.uses_vcc, 0
	.set _ZN7rocprim17ROCPRIM_400000_NS6detail17trampoline_kernelINS0_14default_configENS1_37merge_sort_block_sort_config_selectorIlNS0_10empty_typeEEEZNS1_21merge_sort_block_sortIS3_PlS8_PS5_S9_ZN2at6native12_GLOBAL__N_124unique_dim_cuda_templateIaEESt5tupleIJNSA_6TensorESF_SF_EERKSF_lbbbEUlllE_EE10hipError_tT0_T1_T2_T3_mRjT4_P12ihipStream_tbNS1_7vsmem_tEEUlT_E_NS1_11comp_targetILNS1_3genE4ELNS1_11target_archE910ELNS1_3gpuE8ELNS1_3repE0EEENS1_30default_config_static_selectorELNS0_4arch9wavefront6targetE0EEEvSM_.uses_flat_scratch, 0
	.set _ZN7rocprim17ROCPRIM_400000_NS6detail17trampoline_kernelINS0_14default_configENS1_37merge_sort_block_sort_config_selectorIlNS0_10empty_typeEEEZNS1_21merge_sort_block_sortIS3_PlS8_PS5_S9_ZN2at6native12_GLOBAL__N_124unique_dim_cuda_templateIaEESt5tupleIJNSA_6TensorESF_SF_EERKSF_lbbbEUlllE_EE10hipError_tT0_T1_T2_T3_mRjT4_P12ihipStream_tbNS1_7vsmem_tEEUlT_E_NS1_11comp_targetILNS1_3genE4ELNS1_11target_archE910ELNS1_3gpuE8ELNS1_3repE0EEENS1_30default_config_static_selectorELNS0_4arch9wavefront6targetE0EEEvSM_.has_dyn_sized_stack, 0
	.set _ZN7rocprim17ROCPRIM_400000_NS6detail17trampoline_kernelINS0_14default_configENS1_37merge_sort_block_sort_config_selectorIlNS0_10empty_typeEEEZNS1_21merge_sort_block_sortIS3_PlS8_PS5_S9_ZN2at6native12_GLOBAL__N_124unique_dim_cuda_templateIaEESt5tupleIJNSA_6TensorESF_SF_EERKSF_lbbbEUlllE_EE10hipError_tT0_T1_T2_T3_mRjT4_P12ihipStream_tbNS1_7vsmem_tEEUlT_E_NS1_11comp_targetILNS1_3genE4ELNS1_11target_archE910ELNS1_3gpuE8ELNS1_3repE0EEENS1_30default_config_static_selectorELNS0_4arch9wavefront6targetE0EEEvSM_.has_recursion, 0
	.set _ZN7rocprim17ROCPRIM_400000_NS6detail17trampoline_kernelINS0_14default_configENS1_37merge_sort_block_sort_config_selectorIlNS0_10empty_typeEEEZNS1_21merge_sort_block_sortIS3_PlS8_PS5_S9_ZN2at6native12_GLOBAL__N_124unique_dim_cuda_templateIaEESt5tupleIJNSA_6TensorESF_SF_EERKSF_lbbbEUlllE_EE10hipError_tT0_T1_T2_T3_mRjT4_P12ihipStream_tbNS1_7vsmem_tEEUlT_E_NS1_11comp_targetILNS1_3genE4ELNS1_11target_archE910ELNS1_3gpuE8ELNS1_3repE0EEENS1_30default_config_static_selectorELNS0_4arch9wavefront6targetE0EEEvSM_.has_indirect_call, 0
	.section	.AMDGPU.csdata,"",@progbits
; Kernel info:
; codeLenInByte = 0
; TotalNumSgprs: 0
; NumVgprs: 0
; ScratchSize: 0
; MemoryBound: 0
; FloatMode: 240
; IeeeMode: 1
; LDSByteSize: 0 bytes/workgroup (compile time only)
; SGPRBlocks: 0
; VGPRBlocks: 0
; NumSGPRsForWavesPerEU: 1
; NumVGPRsForWavesPerEU: 1
; NamedBarCnt: 0
; Occupancy: 16
; WaveLimiterHint : 0
; COMPUTE_PGM_RSRC2:SCRATCH_EN: 0
; COMPUTE_PGM_RSRC2:USER_SGPR: 2
; COMPUTE_PGM_RSRC2:TRAP_HANDLER: 0
; COMPUTE_PGM_RSRC2:TGID_X_EN: 1
; COMPUTE_PGM_RSRC2:TGID_Y_EN: 0
; COMPUTE_PGM_RSRC2:TGID_Z_EN: 0
; COMPUTE_PGM_RSRC2:TIDIG_COMP_CNT: 0
	.section	.text._ZN7rocprim17ROCPRIM_400000_NS6detail17trampoline_kernelINS0_14default_configENS1_37merge_sort_block_sort_config_selectorIlNS0_10empty_typeEEEZNS1_21merge_sort_block_sortIS3_PlS8_PS5_S9_ZN2at6native12_GLOBAL__N_124unique_dim_cuda_templateIaEESt5tupleIJNSA_6TensorESF_SF_EERKSF_lbbbEUlllE_EE10hipError_tT0_T1_T2_T3_mRjT4_P12ihipStream_tbNS1_7vsmem_tEEUlT_E_NS1_11comp_targetILNS1_3genE3ELNS1_11target_archE908ELNS1_3gpuE7ELNS1_3repE0EEENS1_30default_config_static_selectorELNS0_4arch9wavefront6targetE0EEEvSM_,"axG",@progbits,_ZN7rocprim17ROCPRIM_400000_NS6detail17trampoline_kernelINS0_14default_configENS1_37merge_sort_block_sort_config_selectorIlNS0_10empty_typeEEEZNS1_21merge_sort_block_sortIS3_PlS8_PS5_S9_ZN2at6native12_GLOBAL__N_124unique_dim_cuda_templateIaEESt5tupleIJNSA_6TensorESF_SF_EERKSF_lbbbEUlllE_EE10hipError_tT0_T1_T2_T3_mRjT4_P12ihipStream_tbNS1_7vsmem_tEEUlT_E_NS1_11comp_targetILNS1_3genE3ELNS1_11target_archE908ELNS1_3gpuE7ELNS1_3repE0EEENS1_30default_config_static_selectorELNS0_4arch9wavefront6targetE0EEEvSM_,comdat
	.globl	_ZN7rocprim17ROCPRIM_400000_NS6detail17trampoline_kernelINS0_14default_configENS1_37merge_sort_block_sort_config_selectorIlNS0_10empty_typeEEEZNS1_21merge_sort_block_sortIS3_PlS8_PS5_S9_ZN2at6native12_GLOBAL__N_124unique_dim_cuda_templateIaEESt5tupleIJNSA_6TensorESF_SF_EERKSF_lbbbEUlllE_EE10hipError_tT0_T1_T2_T3_mRjT4_P12ihipStream_tbNS1_7vsmem_tEEUlT_E_NS1_11comp_targetILNS1_3genE3ELNS1_11target_archE908ELNS1_3gpuE7ELNS1_3repE0EEENS1_30default_config_static_selectorELNS0_4arch9wavefront6targetE0EEEvSM_ ; -- Begin function _ZN7rocprim17ROCPRIM_400000_NS6detail17trampoline_kernelINS0_14default_configENS1_37merge_sort_block_sort_config_selectorIlNS0_10empty_typeEEEZNS1_21merge_sort_block_sortIS3_PlS8_PS5_S9_ZN2at6native12_GLOBAL__N_124unique_dim_cuda_templateIaEESt5tupleIJNSA_6TensorESF_SF_EERKSF_lbbbEUlllE_EE10hipError_tT0_T1_T2_T3_mRjT4_P12ihipStream_tbNS1_7vsmem_tEEUlT_E_NS1_11comp_targetILNS1_3genE3ELNS1_11target_archE908ELNS1_3gpuE7ELNS1_3repE0EEENS1_30default_config_static_selectorELNS0_4arch9wavefront6targetE0EEEvSM_
	.p2align	8
	.type	_ZN7rocprim17ROCPRIM_400000_NS6detail17trampoline_kernelINS0_14default_configENS1_37merge_sort_block_sort_config_selectorIlNS0_10empty_typeEEEZNS1_21merge_sort_block_sortIS3_PlS8_PS5_S9_ZN2at6native12_GLOBAL__N_124unique_dim_cuda_templateIaEESt5tupleIJNSA_6TensorESF_SF_EERKSF_lbbbEUlllE_EE10hipError_tT0_T1_T2_T3_mRjT4_P12ihipStream_tbNS1_7vsmem_tEEUlT_E_NS1_11comp_targetILNS1_3genE3ELNS1_11target_archE908ELNS1_3gpuE7ELNS1_3repE0EEENS1_30default_config_static_selectorELNS0_4arch9wavefront6targetE0EEEvSM_,@function
_ZN7rocprim17ROCPRIM_400000_NS6detail17trampoline_kernelINS0_14default_configENS1_37merge_sort_block_sort_config_selectorIlNS0_10empty_typeEEEZNS1_21merge_sort_block_sortIS3_PlS8_PS5_S9_ZN2at6native12_GLOBAL__N_124unique_dim_cuda_templateIaEESt5tupleIJNSA_6TensorESF_SF_EERKSF_lbbbEUlllE_EE10hipError_tT0_T1_T2_T3_mRjT4_P12ihipStream_tbNS1_7vsmem_tEEUlT_E_NS1_11comp_targetILNS1_3genE3ELNS1_11target_archE908ELNS1_3gpuE7ELNS1_3repE0EEENS1_30default_config_static_selectorELNS0_4arch9wavefront6targetE0EEEvSM_: ; @_ZN7rocprim17ROCPRIM_400000_NS6detail17trampoline_kernelINS0_14default_configENS1_37merge_sort_block_sort_config_selectorIlNS0_10empty_typeEEEZNS1_21merge_sort_block_sortIS3_PlS8_PS5_S9_ZN2at6native12_GLOBAL__N_124unique_dim_cuda_templateIaEESt5tupleIJNSA_6TensorESF_SF_EERKSF_lbbbEUlllE_EE10hipError_tT0_T1_T2_T3_mRjT4_P12ihipStream_tbNS1_7vsmem_tEEUlT_E_NS1_11comp_targetILNS1_3genE3ELNS1_11target_archE908ELNS1_3gpuE7ELNS1_3repE0EEENS1_30default_config_static_selectorELNS0_4arch9wavefront6targetE0EEEvSM_
; %bb.0:
	.section	.rodata,"a",@progbits
	.p2align	6, 0x0
	.amdhsa_kernel _ZN7rocprim17ROCPRIM_400000_NS6detail17trampoline_kernelINS0_14default_configENS1_37merge_sort_block_sort_config_selectorIlNS0_10empty_typeEEEZNS1_21merge_sort_block_sortIS3_PlS8_PS5_S9_ZN2at6native12_GLOBAL__N_124unique_dim_cuda_templateIaEESt5tupleIJNSA_6TensorESF_SF_EERKSF_lbbbEUlllE_EE10hipError_tT0_T1_T2_T3_mRjT4_P12ihipStream_tbNS1_7vsmem_tEEUlT_E_NS1_11comp_targetILNS1_3genE3ELNS1_11target_archE908ELNS1_3gpuE7ELNS1_3repE0EEENS1_30default_config_static_selectorELNS0_4arch9wavefront6targetE0EEEvSM_
		.amdhsa_group_segment_fixed_size 0
		.amdhsa_private_segment_fixed_size 0
		.amdhsa_kernarg_size 72
		.amdhsa_user_sgpr_count 2
		.amdhsa_user_sgpr_dispatch_ptr 0
		.amdhsa_user_sgpr_queue_ptr 0
		.amdhsa_user_sgpr_kernarg_segment_ptr 1
		.amdhsa_user_sgpr_dispatch_id 0
		.amdhsa_user_sgpr_kernarg_preload_length 0
		.amdhsa_user_sgpr_kernarg_preload_offset 0
		.amdhsa_user_sgpr_private_segment_size 0
		.amdhsa_wavefront_size32 1
		.amdhsa_uses_dynamic_stack 0
		.amdhsa_enable_private_segment 0
		.amdhsa_system_sgpr_workgroup_id_x 1
		.amdhsa_system_sgpr_workgroup_id_y 0
		.amdhsa_system_sgpr_workgroup_id_z 0
		.amdhsa_system_sgpr_workgroup_info 0
		.amdhsa_system_vgpr_workitem_id 0
		.amdhsa_next_free_vgpr 1
		.amdhsa_next_free_sgpr 1
		.amdhsa_named_barrier_count 0
		.amdhsa_reserve_vcc 0
		.amdhsa_float_round_mode_32 0
		.amdhsa_float_round_mode_16_64 0
		.amdhsa_float_denorm_mode_32 3
		.amdhsa_float_denorm_mode_16_64 3
		.amdhsa_fp16_overflow 0
		.amdhsa_memory_ordered 1
		.amdhsa_forward_progress 1
		.amdhsa_inst_pref_size 0
		.amdhsa_round_robin_scheduling 0
		.amdhsa_exception_fp_ieee_invalid_op 0
		.amdhsa_exception_fp_denorm_src 0
		.amdhsa_exception_fp_ieee_div_zero 0
		.amdhsa_exception_fp_ieee_overflow 0
		.amdhsa_exception_fp_ieee_underflow 0
		.amdhsa_exception_fp_ieee_inexact 0
		.amdhsa_exception_int_div_zero 0
	.end_amdhsa_kernel
	.section	.text._ZN7rocprim17ROCPRIM_400000_NS6detail17trampoline_kernelINS0_14default_configENS1_37merge_sort_block_sort_config_selectorIlNS0_10empty_typeEEEZNS1_21merge_sort_block_sortIS3_PlS8_PS5_S9_ZN2at6native12_GLOBAL__N_124unique_dim_cuda_templateIaEESt5tupleIJNSA_6TensorESF_SF_EERKSF_lbbbEUlllE_EE10hipError_tT0_T1_T2_T3_mRjT4_P12ihipStream_tbNS1_7vsmem_tEEUlT_E_NS1_11comp_targetILNS1_3genE3ELNS1_11target_archE908ELNS1_3gpuE7ELNS1_3repE0EEENS1_30default_config_static_selectorELNS0_4arch9wavefront6targetE0EEEvSM_,"axG",@progbits,_ZN7rocprim17ROCPRIM_400000_NS6detail17trampoline_kernelINS0_14default_configENS1_37merge_sort_block_sort_config_selectorIlNS0_10empty_typeEEEZNS1_21merge_sort_block_sortIS3_PlS8_PS5_S9_ZN2at6native12_GLOBAL__N_124unique_dim_cuda_templateIaEESt5tupleIJNSA_6TensorESF_SF_EERKSF_lbbbEUlllE_EE10hipError_tT0_T1_T2_T3_mRjT4_P12ihipStream_tbNS1_7vsmem_tEEUlT_E_NS1_11comp_targetILNS1_3genE3ELNS1_11target_archE908ELNS1_3gpuE7ELNS1_3repE0EEENS1_30default_config_static_selectorELNS0_4arch9wavefront6targetE0EEEvSM_,comdat
.Lfunc_end264:
	.size	_ZN7rocprim17ROCPRIM_400000_NS6detail17trampoline_kernelINS0_14default_configENS1_37merge_sort_block_sort_config_selectorIlNS0_10empty_typeEEEZNS1_21merge_sort_block_sortIS3_PlS8_PS5_S9_ZN2at6native12_GLOBAL__N_124unique_dim_cuda_templateIaEESt5tupleIJNSA_6TensorESF_SF_EERKSF_lbbbEUlllE_EE10hipError_tT0_T1_T2_T3_mRjT4_P12ihipStream_tbNS1_7vsmem_tEEUlT_E_NS1_11comp_targetILNS1_3genE3ELNS1_11target_archE908ELNS1_3gpuE7ELNS1_3repE0EEENS1_30default_config_static_selectorELNS0_4arch9wavefront6targetE0EEEvSM_, .Lfunc_end264-_ZN7rocprim17ROCPRIM_400000_NS6detail17trampoline_kernelINS0_14default_configENS1_37merge_sort_block_sort_config_selectorIlNS0_10empty_typeEEEZNS1_21merge_sort_block_sortIS3_PlS8_PS5_S9_ZN2at6native12_GLOBAL__N_124unique_dim_cuda_templateIaEESt5tupleIJNSA_6TensorESF_SF_EERKSF_lbbbEUlllE_EE10hipError_tT0_T1_T2_T3_mRjT4_P12ihipStream_tbNS1_7vsmem_tEEUlT_E_NS1_11comp_targetILNS1_3genE3ELNS1_11target_archE908ELNS1_3gpuE7ELNS1_3repE0EEENS1_30default_config_static_selectorELNS0_4arch9wavefront6targetE0EEEvSM_
                                        ; -- End function
	.set _ZN7rocprim17ROCPRIM_400000_NS6detail17trampoline_kernelINS0_14default_configENS1_37merge_sort_block_sort_config_selectorIlNS0_10empty_typeEEEZNS1_21merge_sort_block_sortIS3_PlS8_PS5_S9_ZN2at6native12_GLOBAL__N_124unique_dim_cuda_templateIaEESt5tupleIJNSA_6TensorESF_SF_EERKSF_lbbbEUlllE_EE10hipError_tT0_T1_T2_T3_mRjT4_P12ihipStream_tbNS1_7vsmem_tEEUlT_E_NS1_11comp_targetILNS1_3genE3ELNS1_11target_archE908ELNS1_3gpuE7ELNS1_3repE0EEENS1_30default_config_static_selectorELNS0_4arch9wavefront6targetE0EEEvSM_.num_vgpr, 0
	.set _ZN7rocprim17ROCPRIM_400000_NS6detail17trampoline_kernelINS0_14default_configENS1_37merge_sort_block_sort_config_selectorIlNS0_10empty_typeEEEZNS1_21merge_sort_block_sortIS3_PlS8_PS5_S9_ZN2at6native12_GLOBAL__N_124unique_dim_cuda_templateIaEESt5tupleIJNSA_6TensorESF_SF_EERKSF_lbbbEUlllE_EE10hipError_tT0_T1_T2_T3_mRjT4_P12ihipStream_tbNS1_7vsmem_tEEUlT_E_NS1_11comp_targetILNS1_3genE3ELNS1_11target_archE908ELNS1_3gpuE7ELNS1_3repE0EEENS1_30default_config_static_selectorELNS0_4arch9wavefront6targetE0EEEvSM_.num_agpr, 0
	.set _ZN7rocprim17ROCPRIM_400000_NS6detail17trampoline_kernelINS0_14default_configENS1_37merge_sort_block_sort_config_selectorIlNS0_10empty_typeEEEZNS1_21merge_sort_block_sortIS3_PlS8_PS5_S9_ZN2at6native12_GLOBAL__N_124unique_dim_cuda_templateIaEESt5tupleIJNSA_6TensorESF_SF_EERKSF_lbbbEUlllE_EE10hipError_tT0_T1_T2_T3_mRjT4_P12ihipStream_tbNS1_7vsmem_tEEUlT_E_NS1_11comp_targetILNS1_3genE3ELNS1_11target_archE908ELNS1_3gpuE7ELNS1_3repE0EEENS1_30default_config_static_selectorELNS0_4arch9wavefront6targetE0EEEvSM_.numbered_sgpr, 0
	.set _ZN7rocprim17ROCPRIM_400000_NS6detail17trampoline_kernelINS0_14default_configENS1_37merge_sort_block_sort_config_selectorIlNS0_10empty_typeEEEZNS1_21merge_sort_block_sortIS3_PlS8_PS5_S9_ZN2at6native12_GLOBAL__N_124unique_dim_cuda_templateIaEESt5tupleIJNSA_6TensorESF_SF_EERKSF_lbbbEUlllE_EE10hipError_tT0_T1_T2_T3_mRjT4_P12ihipStream_tbNS1_7vsmem_tEEUlT_E_NS1_11comp_targetILNS1_3genE3ELNS1_11target_archE908ELNS1_3gpuE7ELNS1_3repE0EEENS1_30default_config_static_selectorELNS0_4arch9wavefront6targetE0EEEvSM_.num_named_barrier, 0
	.set _ZN7rocprim17ROCPRIM_400000_NS6detail17trampoline_kernelINS0_14default_configENS1_37merge_sort_block_sort_config_selectorIlNS0_10empty_typeEEEZNS1_21merge_sort_block_sortIS3_PlS8_PS5_S9_ZN2at6native12_GLOBAL__N_124unique_dim_cuda_templateIaEESt5tupleIJNSA_6TensorESF_SF_EERKSF_lbbbEUlllE_EE10hipError_tT0_T1_T2_T3_mRjT4_P12ihipStream_tbNS1_7vsmem_tEEUlT_E_NS1_11comp_targetILNS1_3genE3ELNS1_11target_archE908ELNS1_3gpuE7ELNS1_3repE0EEENS1_30default_config_static_selectorELNS0_4arch9wavefront6targetE0EEEvSM_.private_seg_size, 0
	.set _ZN7rocprim17ROCPRIM_400000_NS6detail17trampoline_kernelINS0_14default_configENS1_37merge_sort_block_sort_config_selectorIlNS0_10empty_typeEEEZNS1_21merge_sort_block_sortIS3_PlS8_PS5_S9_ZN2at6native12_GLOBAL__N_124unique_dim_cuda_templateIaEESt5tupleIJNSA_6TensorESF_SF_EERKSF_lbbbEUlllE_EE10hipError_tT0_T1_T2_T3_mRjT4_P12ihipStream_tbNS1_7vsmem_tEEUlT_E_NS1_11comp_targetILNS1_3genE3ELNS1_11target_archE908ELNS1_3gpuE7ELNS1_3repE0EEENS1_30default_config_static_selectorELNS0_4arch9wavefront6targetE0EEEvSM_.uses_vcc, 0
	.set _ZN7rocprim17ROCPRIM_400000_NS6detail17trampoline_kernelINS0_14default_configENS1_37merge_sort_block_sort_config_selectorIlNS0_10empty_typeEEEZNS1_21merge_sort_block_sortIS3_PlS8_PS5_S9_ZN2at6native12_GLOBAL__N_124unique_dim_cuda_templateIaEESt5tupleIJNSA_6TensorESF_SF_EERKSF_lbbbEUlllE_EE10hipError_tT0_T1_T2_T3_mRjT4_P12ihipStream_tbNS1_7vsmem_tEEUlT_E_NS1_11comp_targetILNS1_3genE3ELNS1_11target_archE908ELNS1_3gpuE7ELNS1_3repE0EEENS1_30default_config_static_selectorELNS0_4arch9wavefront6targetE0EEEvSM_.uses_flat_scratch, 0
	.set _ZN7rocprim17ROCPRIM_400000_NS6detail17trampoline_kernelINS0_14default_configENS1_37merge_sort_block_sort_config_selectorIlNS0_10empty_typeEEEZNS1_21merge_sort_block_sortIS3_PlS8_PS5_S9_ZN2at6native12_GLOBAL__N_124unique_dim_cuda_templateIaEESt5tupleIJNSA_6TensorESF_SF_EERKSF_lbbbEUlllE_EE10hipError_tT0_T1_T2_T3_mRjT4_P12ihipStream_tbNS1_7vsmem_tEEUlT_E_NS1_11comp_targetILNS1_3genE3ELNS1_11target_archE908ELNS1_3gpuE7ELNS1_3repE0EEENS1_30default_config_static_selectorELNS0_4arch9wavefront6targetE0EEEvSM_.has_dyn_sized_stack, 0
	.set _ZN7rocprim17ROCPRIM_400000_NS6detail17trampoline_kernelINS0_14default_configENS1_37merge_sort_block_sort_config_selectorIlNS0_10empty_typeEEEZNS1_21merge_sort_block_sortIS3_PlS8_PS5_S9_ZN2at6native12_GLOBAL__N_124unique_dim_cuda_templateIaEESt5tupleIJNSA_6TensorESF_SF_EERKSF_lbbbEUlllE_EE10hipError_tT0_T1_T2_T3_mRjT4_P12ihipStream_tbNS1_7vsmem_tEEUlT_E_NS1_11comp_targetILNS1_3genE3ELNS1_11target_archE908ELNS1_3gpuE7ELNS1_3repE0EEENS1_30default_config_static_selectorELNS0_4arch9wavefront6targetE0EEEvSM_.has_recursion, 0
	.set _ZN7rocprim17ROCPRIM_400000_NS6detail17trampoline_kernelINS0_14default_configENS1_37merge_sort_block_sort_config_selectorIlNS0_10empty_typeEEEZNS1_21merge_sort_block_sortIS3_PlS8_PS5_S9_ZN2at6native12_GLOBAL__N_124unique_dim_cuda_templateIaEESt5tupleIJNSA_6TensorESF_SF_EERKSF_lbbbEUlllE_EE10hipError_tT0_T1_T2_T3_mRjT4_P12ihipStream_tbNS1_7vsmem_tEEUlT_E_NS1_11comp_targetILNS1_3genE3ELNS1_11target_archE908ELNS1_3gpuE7ELNS1_3repE0EEENS1_30default_config_static_selectorELNS0_4arch9wavefront6targetE0EEEvSM_.has_indirect_call, 0
	.section	.AMDGPU.csdata,"",@progbits
; Kernel info:
; codeLenInByte = 0
; TotalNumSgprs: 0
; NumVgprs: 0
; ScratchSize: 0
; MemoryBound: 0
; FloatMode: 240
; IeeeMode: 1
; LDSByteSize: 0 bytes/workgroup (compile time only)
; SGPRBlocks: 0
; VGPRBlocks: 0
; NumSGPRsForWavesPerEU: 1
; NumVGPRsForWavesPerEU: 1
; NamedBarCnt: 0
; Occupancy: 16
; WaveLimiterHint : 0
; COMPUTE_PGM_RSRC2:SCRATCH_EN: 0
; COMPUTE_PGM_RSRC2:USER_SGPR: 2
; COMPUTE_PGM_RSRC2:TRAP_HANDLER: 0
; COMPUTE_PGM_RSRC2:TGID_X_EN: 1
; COMPUTE_PGM_RSRC2:TGID_Y_EN: 0
; COMPUTE_PGM_RSRC2:TGID_Z_EN: 0
; COMPUTE_PGM_RSRC2:TIDIG_COMP_CNT: 0
	.section	.text._ZN7rocprim17ROCPRIM_400000_NS6detail17trampoline_kernelINS0_14default_configENS1_37merge_sort_block_sort_config_selectorIlNS0_10empty_typeEEEZNS1_21merge_sort_block_sortIS3_PlS8_PS5_S9_ZN2at6native12_GLOBAL__N_124unique_dim_cuda_templateIaEESt5tupleIJNSA_6TensorESF_SF_EERKSF_lbbbEUlllE_EE10hipError_tT0_T1_T2_T3_mRjT4_P12ihipStream_tbNS1_7vsmem_tEEUlT_E_NS1_11comp_targetILNS1_3genE2ELNS1_11target_archE906ELNS1_3gpuE6ELNS1_3repE0EEENS1_30default_config_static_selectorELNS0_4arch9wavefront6targetE0EEEvSM_,"axG",@progbits,_ZN7rocprim17ROCPRIM_400000_NS6detail17trampoline_kernelINS0_14default_configENS1_37merge_sort_block_sort_config_selectorIlNS0_10empty_typeEEEZNS1_21merge_sort_block_sortIS3_PlS8_PS5_S9_ZN2at6native12_GLOBAL__N_124unique_dim_cuda_templateIaEESt5tupleIJNSA_6TensorESF_SF_EERKSF_lbbbEUlllE_EE10hipError_tT0_T1_T2_T3_mRjT4_P12ihipStream_tbNS1_7vsmem_tEEUlT_E_NS1_11comp_targetILNS1_3genE2ELNS1_11target_archE906ELNS1_3gpuE6ELNS1_3repE0EEENS1_30default_config_static_selectorELNS0_4arch9wavefront6targetE0EEEvSM_,comdat
	.globl	_ZN7rocprim17ROCPRIM_400000_NS6detail17trampoline_kernelINS0_14default_configENS1_37merge_sort_block_sort_config_selectorIlNS0_10empty_typeEEEZNS1_21merge_sort_block_sortIS3_PlS8_PS5_S9_ZN2at6native12_GLOBAL__N_124unique_dim_cuda_templateIaEESt5tupleIJNSA_6TensorESF_SF_EERKSF_lbbbEUlllE_EE10hipError_tT0_T1_T2_T3_mRjT4_P12ihipStream_tbNS1_7vsmem_tEEUlT_E_NS1_11comp_targetILNS1_3genE2ELNS1_11target_archE906ELNS1_3gpuE6ELNS1_3repE0EEENS1_30default_config_static_selectorELNS0_4arch9wavefront6targetE0EEEvSM_ ; -- Begin function _ZN7rocprim17ROCPRIM_400000_NS6detail17trampoline_kernelINS0_14default_configENS1_37merge_sort_block_sort_config_selectorIlNS0_10empty_typeEEEZNS1_21merge_sort_block_sortIS3_PlS8_PS5_S9_ZN2at6native12_GLOBAL__N_124unique_dim_cuda_templateIaEESt5tupleIJNSA_6TensorESF_SF_EERKSF_lbbbEUlllE_EE10hipError_tT0_T1_T2_T3_mRjT4_P12ihipStream_tbNS1_7vsmem_tEEUlT_E_NS1_11comp_targetILNS1_3genE2ELNS1_11target_archE906ELNS1_3gpuE6ELNS1_3repE0EEENS1_30default_config_static_selectorELNS0_4arch9wavefront6targetE0EEEvSM_
	.p2align	8
	.type	_ZN7rocprim17ROCPRIM_400000_NS6detail17trampoline_kernelINS0_14default_configENS1_37merge_sort_block_sort_config_selectorIlNS0_10empty_typeEEEZNS1_21merge_sort_block_sortIS3_PlS8_PS5_S9_ZN2at6native12_GLOBAL__N_124unique_dim_cuda_templateIaEESt5tupleIJNSA_6TensorESF_SF_EERKSF_lbbbEUlllE_EE10hipError_tT0_T1_T2_T3_mRjT4_P12ihipStream_tbNS1_7vsmem_tEEUlT_E_NS1_11comp_targetILNS1_3genE2ELNS1_11target_archE906ELNS1_3gpuE6ELNS1_3repE0EEENS1_30default_config_static_selectorELNS0_4arch9wavefront6targetE0EEEvSM_,@function
_ZN7rocprim17ROCPRIM_400000_NS6detail17trampoline_kernelINS0_14default_configENS1_37merge_sort_block_sort_config_selectorIlNS0_10empty_typeEEEZNS1_21merge_sort_block_sortIS3_PlS8_PS5_S9_ZN2at6native12_GLOBAL__N_124unique_dim_cuda_templateIaEESt5tupleIJNSA_6TensorESF_SF_EERKSF_lbbbEUlllE_EE10hipError_tT0_T1_T2_T3_mRjT4_P12ihipStream_tbNS1_7vsmem_tEEUlT_E_NS1_11comp_targetILNS1_3genE2ELNS1_11target_archE906ELNS1_3gpuE6ELNS1_3repE0EEENS1_30default_config_static_selectorELNS0_4arch9wavefront6targetE0EEEvSM_: ; @_ZN7rocprim17ROCPRIM_400000_NS6detail17trampoline_kernelINS0_14default_configENS1_37merge_sort_block_sort_config_selectorIlNS0_10empty_typeEEEZNS1_21merge_sort_block_sortIS3_PlS8_PS5_S9_ZN2at6native12_GLOBAL__N_124unique_dim_cuda_templateIaEESt5tupleIJNSA_6TensorESF_SF_EERKSF_lbbbEUlllE_EE10hipError_tT0_T1_T2_T3_mRjT4_P12ihipStream_tbNS1_7vsmem_tEEUlT_E_NS1_11comp_targetILNS1_3genE2ELNS1_11target_archE906ELNS1_3gpuE6ELNS1_3repE0EEENS1_30default_config_static_selectorELNS0_4arch9wavefront6targetE0EEEvSM_
; %bb.0:
	.section	.rodata,"a",@progbits
	.p2align	6, 0x0
	.amdhsa_kernel _ZN7rocprim17ROCPRIM_400000_NS6detail17trampoline_kernelINS0_14default_configENS1_37merge_sort_block_sort_config_selectorIlNS0_10empty_typeEEEZNS1_21merge_sort_block_sortIS3_PlS8_PS5_S9_ZN2at6native12_GLOBAL__N_124unique_dim_cuda_templateIaEESt5tupleIJNSA_6TensorESF_SF_EERKSF_lbbbEUlllE_EE10hipError_tT0_T1_T2_T3_mRjT4_P12ihipStream_tbNS1_7vsmem_tEEUlT_E_NS1_11comp_targetILNS1_3genE2ELNS1_11target_archE906ELNS1_3gpuE6ELNS1_3repE0EEENS1_30default_config_static_selectorELNS0_4arch9wavefront6targetE0EEEvSM_
		.amdhsa_group_segment_fixed_size 0
		.amdhsa_private_segment_fixed_size 0
		.amdhsa_kernarg_size 72
		.amdhsa_user_sgpr_count 2
		.amdhsa_user_sgpr_dispatch_ptr 0
		.amdhsa_user_sgpr_queue_ptr 0
		.amdhsa_user_sgpr_kernarg_segment_ptr 1
		.amdhsa_user_sgpr_dispatch_id 0
		.amdhsa_user_sgpr_kernarg_preload_length 0
		.amdhsa_user_sgpr_kernarg_preload_offset 0
		.amdhsa_user_sgpr_private_segment_size 0
		.amdhsa_wavefront_size32 1
		.amdhsa_uses_dynamic_stack 0
		.amdhsa_enable_private_segment 0
		.amdhsa_system_sgpr_workgroup_id_x 1
		.amdhsa_system_sgpr_workgroup_id_y 0
		.amdhsa_system_sgpr_workgroup_id_z 0
		.amdhsa_system_sgpr_workgroup_info 0
		.amdhsa_system_vgpr_workitem_id 0
		.amdhsa_next_free_vgpr 1
		.amdhsa_next_free_sgpr 1
		.amdhsa_named_barrier_count 0
		.amdhsa_reserve_vcc 0
		.amdhsa_float_round_mode_32 0
		.amdhsa_float_round_mode_16_64 0
		.amdhsa_float_denorm_mode_32 3
		.amdhsa_float_denorm_mode_16_64 3
		.amdhsa_fp16_overflow 0
		.amdhsa_memory_ordered 1
		.amdhsa_forward_progress 1
		.amdhsa_inst_pref_size 0
		.amdhsa_round_robin_scheduling 0
		.amdhsa_exception_fp_ieee_invalid_op 0
		.amdhsa_exception_fp_denorm_src 0
		.amdhsa_exception_fp_ieee_div_zero 0
		.amdhsa_exception_fp_ieee_overflow 0
		.amdhsa_exception_fp_ieee_underflow 0
		.amdhsa_exception_fp_ieee_inexact 0
		.amdhsa_exception_int_div_zero 0
	.end_amdhsa_kernel
	.section	.text._ZN7rocprim17ROCPRIM_400000_NS6detail17trampoline_kernelINS0_14default_configENS1_37merge_sort_block_sort_config_selectorIlNS0_10empty_typeEEEZNS1_21merge_sort_block_sortIS3_PlS8_PS5_S9_ZN2at6native12_GLOBAL__N_124unique_dim_cuda_templateIaEESt5tupleIJNSA_6TensorESF_SF_EERKSF_lbbbEUlllE_EE10hipError_tT0_T1_T2_T3_mRjT4_P12ihipStream_tbNS1_7vsmem_tEEUlT_E_NS1_11comp_targetILNS1_3genE2ELNS1_11target_archE906ELNS1_3gpuE6ELNS1_3repE0EEENS1_30default_config_static_selectorELNS0_4arch9wavefront6targetE0EEEvSM_,"axG",@progbits,_ZN7rocprim17ROCPRIM_400000_NS6detail17trampoline_kernelINS0_14default_configENS1_37merge_sort_block_sort_config_selectorIlNS0_10empty_typeEEEZNS1_21merge_sort_block_sortIS3_PlS8_PS5_S9_ZN2at6native12_GLOBAL__N_124unique_dim_cuda_templateIaEESt5tupleIJNSA_6TensorESF_SF_EERKSF_lbbbEUlllE_EE10hipError_tT0_T1_T2_T3_mRjT4_P12ihipStream_tbNS1_7vsmem_tEEUlT_E_NS1_11comp_targetILNS1_3genE2ELNS1_11target_archE906ELNS1_3gpuE6ELNS1_3repE0EEENS1_30default_config_static_selectorELNS0_4arch9wavefront6targetE0EEEvSM_,comdat
.Lfunc_end265:
	.size	_ZN7rocprim17ROCPRIM_400000_NS6detail17trampoline_kernelINS0_14default_configENS1_37merge_sort_block_sort_config_selectorIlNS0_10empty_typeEEEZNS1_21merge_sort_block_sortIS3_PlS8_PS5_S9_ZN2at6native12_GLOBAL__N_124unique_dim_cuda_templateIaEESt5tupleIJNSA_6TensorESF_SF_EERKSF_lbbbEUlllE_EE10hipError_tT0_T1_T2_T3_mRjT4_P12ihipStream_tbNS1_7vsmem_tEEUlT_E_NS1_11comp_targetILNS1_3genE2ELNS1_11target_archE906ELNS1_3gpuE6ELNS1_3repE0EEENS1_30default_config_static_selectorELNS0_4arch9wavefront6targetE0EEEvSM_, .Lfunc_end265-_ZN7rocprim17ROCPRIM_400000_NS6detail17trampoline_kernelINS0_14default_configENS1_37merge_sort_block_sort_config_selectorIlNS0_10empty_typeEEEZNS1_21merge_sort_block_sortIS3_PlS8_PS5_S9_ZN2at6native12_GLOBAL__N_124unique_dim_cuda_templateIaEESt5tupleIJNSA_6TensorESF_SF_EERKSF_lbbbEUlllE_EE10hipError_tT0_T1_T2_T3_mRjT4_P12ihipStream_tbNS1_7vsmem_tEEUlT_E_NS1_11comp_targetILNS1_3genE2ELNS1_11target_archE906ELNS1_3gpuE6ELNS1_3repE0EEENS1_30default_config_static_selectorELNS0_4arch9wavefront6targetE0EEEvSM_
                                        ; -- End function
	.set _ZN7rocprim17ROCPRIM_400000_NS6detail17trampoline_kernelINS0_14default_configENS1_37merge_sort_block_sort_config_selectorIlNS0_10empty_typeEEEZNS1_21merge_sort_block_sortIS3_PlS8_PS5_S9_ZN2at6native12_GLOBAL__N_124unique_dim_cuda_templateIaEESt5tupleIJNSA_6TensorESF_SF_EERKSF_lbbbEUlllE_EE10hipError_tT0_T1_T2_T3_mRjT4_P12ihipStream_tbNS1_7vsmem_tEEUlT_E_NS1_11comp_targetILNS1_3genE2ELNS1_11target_archE906ELNS1_3gpuE6ELNS1_3repE0EEENS1_30default_config_static_selectorELNS0_4arch9wavefront6targetE0EEEvSM_.num_vgpr, 0
	.set _ZN7rocprim17ROCPRIM_400000_NS6detail17trampoline_kernelINS0_14default_configENS1_37merge_sort_block_sort_config_selectorIlNS0_10empty_typeEEEZNS1_21merge_sort_block_sortIS3_PlS8_PS5_S9_ZN2at6native12_GLOBAL__N_124unique_dim_cuda_templateIaEESt5tupleIJNSA_6TensorESF_SF_EERKSF_lbbbEUlllE_EE10hipError_tT0_T1_T2_T3_mRjT4_P12ihipStream_tbNS1_7vsmem_tEEUlT_E_NS1_11comp_targetILNS1_3genE2ELNS1_11target_archE906ELNS1_3gpuE6ELNS1_3repE0EEENS1_30default_config_static_selectorELNS0_4arch9wavefront6targetE0EEEvSM_.num_agpr, 0
	.set _ZN7rocprim17ROCPRIM_400000_NS6detail17trampoline_kernelINS0_14default_configENS1_37merge_sort_block_sort_config_selectorIlNS0_10empty_typeEEEZNS1_21merge_sort_block_sortIS3_PlS8_PS5_S9_ZN2at6native12_GLOBAL__N_124unique_dim_cuda_templateIaEESt5tupleIJNSA_6TensorESF_SF_EERKSF_lbbbEUlllE_EE10hipError_tT0_T1_T2_T3_mRjT4_P12ihipStream_tbNS1_7vsmem_tEEUlT_E_NS1_11comp_targetILNS1_3genE2ELNS1_11target_archE906ELNS1_3gpuE6ELNS1_3repE0EEENS1_30default_config_static_selectorELNS0_4arch9wavefront6targetE0EEEvSM_.numbered_sgpr, 0
	.set _ZN7rocprim17ROCPRIM_400000_NS6detail17trampoline_kernelINS0_14default_configENS1_37merge_sort_block_sort_config_selectorIlNS0_10empty_typeEEEZNS1_21merge_sort_block_sortIS3_PlS8_PS5_S9_ZN2at6native12_GLOBAL__N_124unique_dim_cuda_templateIaEESt5tupleIJNSA_6TensorESF_SF_EERKSF_lbbbEUlllE_EE10hipError_tT0_T1_T2_T3_mRjT4_P12ihipStream_tbNS1_7vsmem_tEEUlT_E_NS1_11comp_targetILNS1_3genE2ELNS1_11target_archE906ELNS1_3gpuE6ELNS1_3repE0EEENS1_30default_config_static_selectorELNS0_4arch9wavefront6targetE0EEEvSM_.num_named_barrier, 0
	.set _ZN7rocprim17ROCPRIM_400000_NS6detail17trampoline_kernelINS0_14default_configENS1_37merge_sort_block_sort_config_selectorIlNS0_10empty_typeEEEZNS1_21merge_sort_block_sortIS3_PlS8_PS5_S9_ZN2at6native12_GLOBAL__N_124unique_dim_cuda_templateIaEESt5tupleIJNSA_6TensorESF_SF_EERKSF_lbbbEUlllE_EE10hipError_tT0_T1_T2_T3_mRjT4_P12ihipStream_tbNS1_7vsmem_tEEUlT_E_NS1_11comp_targetILNS1_3genE2ELNS1_11target_archE906ELNS1_3gpuE6ELNS1_3repE0EEENS1_30default_config_static_selectorELNS0_4arch9wavefront6targetE0EEEvSM_.private_seg_size, 0
	.set _ZN7rocprim17ROCPRIM_400000_NS6detail17trampoline_kernelINS0_14default_configENS1_37merge_sort_block_sort_config_selectorIlNS0_10empty_typeEEEZNS1_21merge_sort_block_sortIS3_PlS8_PS5_S9_ZN2at6native12_GLOBAL__N_124unique_dim_cuda_templateIaEESt5tupleIJNSA_6TensorESF_SF_EERKSF_lbbbEUlllE_EE10hipError_tT0_T1_T2_T3_mRjT4_P12ihipStream_tbNS1_7vsmem_tEEUlT_E_NS1_11comp_targetILNS1_3genE2ELNS1_11target_archE906ELNS1_3gpuE6ELNS1_3repE0EEENS1_30default_config_static_selectorELNS0_4arch9wavefront6targetE0EEEvSM_.uses_vcc, 0
	.set _ZN7rocprim17ROCPRIM_400000_NS6detail17trampoline_kernelINS0_14default_configENS1_37merge_sort_block_sort_config_selectorIlNS0_10empty_typeEEEZNS1_21merge_sort_block_sortIS3_PlS8_PS5_S9_ZN2at6native12_GLOBAL__N_124unique_dim_cuda_templateIaEESt5tupleIJNSA_6TensorESF_SF_EERKSF_lbbbEUlllE_EE10hipError_tT0_T1_T2_T3_mRjT4_P12ihipStream_tbNS1_7vsmem_tEEUlT_E_NS1_11comp_targetILNS1_3genE2ELNS1_11target_archE906ELNS1_3gpuE6ELNS1_3repE0EEENS1_30default_config_static_selectorELNS0_4arch9wavefront6targetE0EEEvSM_.uses_flat_scratch, 0
	.set _ZN7rocprim17ROCPRIM_400000_NS6detail17trampoline_kernelINS0_14default_configENS1_37merge_sort_block_sort_config_selectorIlNS0_10empty_typeEEEZNS1_21merge_sort_block_sortIS3_PlS8_PS5_S9_ZN2at6native12_GLOBAL__N_124unique_dim_cuda_templateIaEESt5tupleIJNSA_6TensorESF_SF_EERKSF_lbbbEUlllE_EE10hipError_tT0_T1_T2_T3_mRjT4_P12ihipStream_tbNS1_7vsmem_tEEUlT_E_NS1_11comp_targetILNS1_3genE2ELNS1_11target_archE906ELNS1_3gpuE6ELNS1_3repE0EEENS1_30default_config_static_selectorELNS0_4arch9wavefront6targetE0EEEvSM_.has_dyn_sized_stack, 0
	.set _ZN7rocprim17ROCPRIM_400000_NS6detail17trampoline_kernelINS0_14default_configENS1_37merge_sort_block_sort_config_selectorIlNS0_10empty_typeEEEZNS1_21merge_sort_block_sortIS3_PlS8_PS5_S9_ZN2at6native12_GLOBAL__N_124unique_dim_cuda_templateIaEESt5tupleIJNSA_6TensorESF_SF_EERKSF_lbbbEUlllE_EE10hipError_tT0_T1_T2_T3_mRjT4_P12ihipStream_tbNS1_7vsmem_tEEUlT_E_NS1_11comp_targetILNS1_3genE2ELNS1_11target_archE906ELNS1_3gpuE6ELNS1_3repE0EEENS1_30default_config_static_selectorELNS0_4arch9wavefront6targetE0EEEvSM_.has_recursion, 0
	.set _ZN7rocprim17ROCPRIM_400000_NS6detail17trampoline_kernelINS0_14default_configENS1_37merge_sort_block_sort_config_selectorIlNS0_10empty_typeEEEZNS1_21merge_sort_block_sortIS3_PlS8_PS5_S9_ZN2at6native12_GLOBAL__N_124unique_dim_cuda_templateIaEESt5tupleIJNSA_6TensorESF_SF_EERKSF_lbbbEUlllE_EE10hipError_tT0_T1_T2_T3_mRjT4_P12ihipStream_tbNS1_7vsmem_tEEUlT_E_NS1_11comp_targetILNS1_3genE2ELNS1_11target_archE906ELNS1_3gpuE6ELNS1_3repE0EEENS1_30default_config_static_selectorELNS0_4arch9wavefront6targetE0EEEvSM_.has_indirect_call, 0
	.section	.AMDGPU.csdata,"",@progbits
; Kernel info:
; codeLenInByte = 0
; TotalNumSgprs: 0
; NumVgprs: 0
; ScratchSize: 0
; MemoryBound: 0
; FloatMode: 240
; IeeeMode: 1
; LDSByteSize: 0 bytes/workgroup (compile time only)
; SGPRBlocks: 0
; VGPRBlocks: 0
; NumSGPRsForWavesPerEU: 1
; NumVGPRsForWavesPerEU: 1
; NamedBarCnt: 0
; Occupancy: 16
; WaveLimiterHint : 0
; COMPUTE_PGM_RSRC2:SCRATCH_EN: 0
; COMPUTE_PGM_RSRC2:USER_SGPR: 2
; COMPUTE_PGM_RSRC2:TRAP_HANDLER: 0
; COMPUTE_PGM_RSRC2:TGID_X_EN: 1
; COMPUTE_PGM_RSRC2:TGID_Y_EN: 0
; COMPUTE_PGM_RSRC2:TGID_Z_EN: 0
; COMPUTE_PGM_RSRC2:TIDIG_COMP_CNT: 0
	.section	.text._ZN7rocprim17ROCPRIM_400000_NS6detail17trampoline_kernelINS0_14default_configENS1_37merge_sort_block_sort_config_selectorIlNS0_10empty_typeEEEZNS1_21merge_sort_block_sortIS3_PlS8_PS5_S9_ZN2at6native12_GLOBAL__N_124unique_dim_cuda_templateIaEESt5tupleIJNSA_6TensorESF_SF_EERKSF_lbbbEUlllE_EE10hipError_tT0_T1_T2_T3_mRjT4_P12ihipStream_tbNS1_7vsmem_tEEUlT_E_NS1_11comp_targetILNS1_3genE10ELNS1_11target_archE1201ELNS1_3gpuE5ELNS1_3repE0EEENS1_30default_config_static_selectorELNS0_4arch9wavefront6targetE0EEEvSM_,"axG",@progbits,_ZN7rocprim17ROCPRIM_400000_NS6detail17trampoline_kernelINS0_14default_configENS1_37merge_sort_block_sort_config_selectorIlNS0_10empty_typeEEEZNS1_21merge_sort_block_sortIS3_PlS8_PS5_S9_ZN2at6native12_GLOBAL__N_124unique_dim_cuda_templateIaEESt5tupleIJNSA_6TensorESF_SF_EERKSF_lbbbEUlllE_EE10hipError_tT0_T1_T2_T3_mRjT4_P12ihipStream_tbNS1_7vsmem_tEEUlT_E_NS1_11comp_targetILNS1_3genE10ELNS1_11target_archE1201ELNS1_3gpuE5ELNS1_3repE0EEENS1_30default_config_static_selectorELNS0_4arch9wavefront6targetE0EEEvSM_,comdat
	.globl	_ZN7rocprim17ROCPRIM_400000_NS6detail17trampoline_kernelINS0_14default_configENS1_37merge_sort_block_sort_config_selectorIlNS0_10empty_typeEEEZNS1_21merge_sort_block_sortIS3_PlS8_PS5_S9_ZN2at6native12_GLOBAL__N_124unique_dim_cuda_templateIaEESt5tupleIJNSA_6TensorESF_SF_EERKSF_lbbbEUlllE_EE10hipError_tT0_T1_T2_T3_mRjT4_P12ihipStream_tbNS1_7vsmem_tEEUlT_E_NS1_11comp_targetILNS1_3genE10ELNS1_11target_archE1201ELNS1_3gpuE5ELNS1_3repE0EEENS1_30default_config_static_selectorELNS0_4arch9wavefront6targetE0EEEvSM_ ; -- Begin function _ZN7rocprim17ROCPRIM_400000_NS6detail17trampoline_kernelINS0_14default_configENS1_37merge_sort_block_sort_config_selectorIlNS0_10empty_typeEEEZNS1_21merge_sort_block_sortIS3_PlS8_PS5_S9_ZN2at6native12_GLOBAL__N_124unique_dim_cuda_templateIaEESt5tupleIJNSA_6TensorESF_SF_EERKSF_lbbbEUlllE_EE10hipError_tT0_T1_T2_T3_mRjT4_P12ihipStream_tbNS1_7vsmem_tEEUlT_E_NS1_11comp_targetILNS1_3genE10ELNS1_11target_archE1201ELNS1_3gpuE5ELNS1_3repE0EEENS1_30default_config_static_selectorELNS0_4arch9wavefront6targetE0EEEvSM_
	.p2align	8
	.type	_ZN7rocprim17ROCPRIM_400000_NS6detail17trampoline_kernelINS0_14default_configENS1_37merge_sort_block_sort_config_selectorIlNS0_10empty_typeEEEZNS1_21merge_sort_block_sortIS3_PlS8_PS5_S9_ZN2at6native12_GLOBAL__N_124unique_dim_cuda_templateIaEESt5tupleIJNSA_6TensorESF_SF_EERKSF_lbbbEUlllE_EE10hipError_tT0_T1_T2_T3_mRjT4_P12ihipStream_tbNS1_7vsmem_tEEUlT_E_NS1_11comp_targetILNS1_3genE10ELNS1_11target_archE1201ELNS1_3gpuE5ELNS1_3repE0EEENS1_30default_config_static_selectorELNS0_4arch9wavefront6targetE0EEEvSM_,@function
_ZN7rocprim17ROCPRIM_400000_NS6detail17trampoline_kernelINS0_14default_configENS1_37merge_sort_block_sort_config_selectorIlNS0_10empty_typeEEEZNS1_21merge_sort_block_sortIS3_PlS8_PS5_S9_ZN2at6native12_GLOBAL__N_124unique_dim_cuda_templateIaEESt5tupleIJNSA_6TensorESF_SF_EERKSF_lbbbEUlllE_EE10hipError_tT0_T1_T2_T3_mRjT4_P12ihipStream_tbNS1_7vsmem_tEEUlT_E_NS1_11comp_targetILNS1_3genE10ELNS1_11target_archE1201ELNS1_3gpuE5ELNS1_3repE0EEENS1_30default_config_static_selectorELNS0_4arch9wavefront6targetE0EEEvSM_: ; @_ZN7rocprim17ROCPRIM_400000_NS6detail17trampoline_kernelINS0_14default_configENS1_37merge_sort_block_sort_config_selectorIlNS0_10empty_typeEEEZNS1_21merge_sort_block_sortIS3_PlS8_PS5_S9_ZN2at6native12_GLOBAL__N_124unique_dim_cuda_templateIaEESt5tupleIJNSA_6TensorESF_SF_EERKSF_lbbbEUlllE_EE10hipError_tT0_T1_T2_T3_mRjT4_P12ihipStream_tbNS1_7vsmem_tEEUlT_E_NS1_11comp_targetILNS1_3genE10ELNS1_11target_archE1201ELNS1_3gpuE5ELNS1_3repE0EEENS1_30default_config_static_selectorELNS0_4arch9wavefront6targetE0EEEvSM_
; %bb.0:
	.section	.rodata,"a",@progbits
	.p2align	6, 0x0
	.amdhsa_kernel _ZN7rocprim17ROCPRIM_400000_NS6detail17trampoline_kernelINS0_14default_configENS1_37merge_sort_block_sort_config_selectorIlNS0_10empty_typeEEEZNS1_21merge_sort_block_sortIS3_PlS8_PS5_S9_ZN2at6native12_GLOBAL__N_124unique_dim_cuda_templateIaEESt5tupleIJNSA_6TensorESF_SF_EERKSF_lbbbEUlllE_EE10hipError_tT0_T1_T2_T3_mRjT4_P12ihipStream_tbNS1_7vsmem_tEEUlT_E_NS1_11comp_targetILNS1_3genE10ELNS1_11target_archE1201ELNS1_3gpuE5ELNS1_3repE0EEENS1_30default_config_static_selectorELNS0_4arch9wavefront6targetE0EEEvSM_
		.amdhsa_group_segment_fixed_size 0
		.amdhsa_private_segment_fixed_size 0
		.amdhsa_kernarg_size 72
		.amdhsa_user_sgpr_count 2
		.amdhsa_user_sgpr_dispatch_ptr 0
		.amdhsa_user_sgpr_queue_ptr 0
		.amdhsa_user_sgpr_kernarg_segment_ptr 1
		.amdhsa_user_sgpr_dispatch_id 0
		.amdhsa_user_sgpr_kernarg_preload_length 0
		.amdhsa_user_sgpr_kernarg_preload_offset 0
		.amdhsa_user_sgpr_private_segment_size 0
		.amdhsa_wavefront_size32 1
		.amdhsa_uses_dynamic_stack 0
		.amdhsa_enable_private_segment 0
		.amdhsa_system_sgpr_workgroup_id_x 1
		.amdhsa_system_sgpr_workgroup_id_y 0
		.amdhsa_system_sgpr_workgroup_id_z 0
		.amdhsa_system_sgpr_workgroup_info 0
		.amdhsa_system_vgpr_workitem_id 0
		.amdhsa_next_free_vgpr 1
		.amdhsa_next_free_sgpr 1
		.amdhsa_named_barrier_count 0
		.amdhsa_reserve_vcc 0
		.amdhsa_float_round_mode_32 0
		.amdhsa_float_round_mode_16_64 0
		.amdhsa_float_denorm_mode_32 3
		.amdhsa_float_denorm_mode_16_64 3
		.amdhsa_fp16_overflow 0
		.amdhsa_memory_ordered 1
		.amdhsa_forward_progress 1
		.amdhsa_inst_pref_size 0
		.amdhsa_round_robin_scheduling 0
		.amdhsa_exception_fp_ieee_invalid_op 0
		.amdhsa_exception_fp_denorm_src 0
		.amdhsa_exception_fp_ieee_div_zero 0
		.amdhsa_exception_fp_ieee_overflow 0
		.amdhsa_exception_fp_ieee_underflow 0
		.amdhsa_exception_fp_ieee_inexact 0
		.amdhsa_exception_int_div_zero 0
	.end_amdhsa_kernel
	.section	.text._ZN7rocprim17ROCPRIM_400000_NS6detail17trampoline_kernelINS0_14default_configENS1_37merge_sort_block_sort_config_selectorIlNS0_10empty_typeEEEZNS1_21merge_sort_block_sortIS3_PlS8_PS5_S9_ZN2at6native12_GLOBAL__N_124unique_dim_cuda_templateIaEESt5tupleIJNSA_6TensorESF_SF_EERKSF_lbbbEUlllE_EE10hipError_tT0_T1_T2_T3_mRjT4_P12ihipStream_tbNS1_7vsmem_tEEUlT_E_NS1_11comp_targetILNS1_3genE10ELNS1_11target_archE1201ELNS1_3gpuE5ELNS1_3repE0EEENS1_30default_config_static_selectorELNS0_4arch9wavefront6targetE0EEEvSM_,"axG",@progbits,_ZN7rocprim17ROCPRIM_400000_NS6detail17trampoline_kernelINS0_14default_configENS1_37merge_sort_block_sort_config_selectorIlNS0_10empty_typeEEEZNS1_21merge_sort_block_sortIS3_PlS8_PS5_S9_ZN2at6native12_GLOBAL__N_124unique_dim_cuda_templateIaEESt5tupleIJNSA_6TensorESF_SF_EERKSF_lbbbEUlllE_EE10hipError_tT0_T1_T2_T3_mRjT4_P12ihipStream_tbNS1_7vsmem_tEEUlT_E_NS1_11comp_targetILNS1_3genE10ELNS1_11target_archE1201ELNS1_3gpuE5ELNS1_3repE0EEENS1_30default_config_static_selectorELNS0_4arch9wavefront6targetE0EEEvSM_,comdat
.Lfunc_end266:
	.size	_ZN7rocprim17ROCPRIM_400000_NS6detail17trampoline_kernelINS0_14default_configENS1_37merge_sort_block_sort_config_selectorIlNS0_10empty_typeEEEZNS1_21merge_sort_block_sortIS3_PlS8_PS5_S9_ZN2at6native12_GLOBAL__N_124unique_dim_cuda_templateIaEESt5tupleIJNSA_6TensorESF_SF_EERKSF_lbbbEUlllE_EE10hipError_tT0_T1_T2_T3_mRjT4_P12ihipStream_tbNS1_7vsmem_tEEUlT_E_NS1_11comp_targetILNS1_3genE10ELNS1_11target_archE1201ELNS1_3gpuE5ELNS1_3repE0EEENS1_30default_config_static_selectorELNS0_4arch9wavefront6targetE0EEEvSM_, .Lfunc_end266-_ZN7rocprim17ROCPRIM_400000_NS6detail17trampoline_kernelINS0_14default_configENS1_37merge_sort_block_sort_config_selectorIlNS0_10empty_typeEEEZNS1_21merge_sort_block_sortIS3_PlS8_PS5_S9_ZN2at6native12_GLOBAL__N_124unique_dim_cuda_templateIaEESt5tupleIJNSA_6TensorESF_SF_EERKSF_lbbbEUlllE_EE10hipError_tT0_T1_T2_T3_mRjT4_P12ihipStream_tbNS1_7vsmem_tEEUlT_E_NS1_11comp_targetILNS1_3genE10ELNS1_11target_archE1201ELNS1_3gpuE5ELNS1_3repE0EEENS1_30default_config_static_selectorELNS0_4arch9wavefront6targetE0EEEvSM_
                                        ; -- End function
	.set _ZN7rocprim17ROCPRIM_400000_NS6detail17trampoline_kernelINS0_14default_configENS1_37merge_sort_block_sort_config_selectorIlNS0_10empty_typeEEEZNS1_21merge_sort_block_sortIS3_PlS8_PS5_S9_ZN2at6native12_GLOBAL__N_124unique_dim_cuda_templateIaEESt5tupleIJNSA_6TensorESF_SF_EERKSF_lbbbEUlllE_EE10hipError_tT0_T1_T2_T3_mRjT4_P12ihipStream_tbNS1_7vsmem_tEEUlT_E_NS1_11comp_targetILNS1_3genE10ELNS1_11target_archE1201ELNS1_3gpuE5ELNS1_3repE0EEENS1_30default_config_static_selectorELNS0_4arch9wavefront6targetE0EEEvSM_.num_vgpr, 0
	.set _ZN7rocprim17ROCPRIM_400000_NS6detail17trampoline_kernelINS0_14default_configENS1_37merge_sort_block_sort_config_selectorIlNS0_10empty_typeEEEZNS1_21merge_sort_block_sortIS3_PlS8_PS5_S9_ZN2at6native12_GLOBAL__N_124unique_dim_cuda_templateIaEESt5tupleIJNSA_6TensorESF_SF_EERKSF_lbbbEUlllE_EE10hipError_tT0_T1_T2_T3_mRjT4_P12ihipStream_tbNS1_7vsmem_tEEUlT_E_NS1_11comp_targetILNS1_3genE10ELNS1_11target_archE1201ELNS1_3gpuE5ELNS1_3repE0EEENS1_30default_config_static_selectorELNS0_4arch9wavefront6targetE0EEEvSM_.num_agpr, 0
	.set _ZN7rocprim17ROCPRIM_400000_NS6detail17trampoline_kernelINS0_14default_configENS1_37merge_sort_block_sort_config_selectorIlNS0_10empty_typeEEEZNS1_21merge_sort_block_sortIS3_PlS8_PS5_S9_ZN2at6native12_GLOBAL__N_124unique_dim_cuda_templateIaEESt5tupleIJNSA_6TensorESF_SF_EERKSF_lbbbEUlllE_EE10hipError_tT0_T1_T2_T3_mRjT4_P12ihipStream_tbNS1_7vsmem_tEEUlT_E_NS1_11comp_targetILNS1_3genE10ELNS1_11target_archE1201ELNS1_3gpuE5ELNS1_3repE0EEENS1_30default_config_static_selectorELNS0_4arch9wavefront6targetE0EEEvSM_.numbered_sgpr, 0
	.set _ZN7rocprim17ROCPRIM_400000_NS6detail17trampoline_kernelINS0_14default_configENS1_37merge_sort_block_sort_config_selectorIlNS0_10empty_typeEEEZNS1_21merge_sort_block_sortIS3_PlS8_PS5_S9_ZN2at6native12_GLOBAL__N_124unique_dim_cuda_templateIaEESt5tupleIJNSA_6TensorESF_SF_EERKSF_lbbbEUlllE_EE10hipError_tT0_T1_T2_T3_mRjT4_P12ihipStream_tbNS1_7vsmem_tEEUlT_E_NS1_11comp_targetILNS1_3genE10ELNS1_11target_archE1201ELNS1_3gpuE5ELNS1_3repE0EEENS1_30default_config_static_selectorELNS0_4arch9wavefront6targetE0EEEvSM_.num_named_barrier, 0
	.set _ZN7rocprim17ROCPRIM_400000_NS6detail17trampoline_kernelINS0_14default_configENS1_37merge_sort_block_sort_config_selectorIlNS0_10empty_typeEEEZNS1_21merge_sort_block_sortIS3_PlS8_PS5_S9_ZN2at6native12_GLOBAL__N_124unique_dim_cuda_templateIaEESt5tupleIJNSA_6TensorESF_SF_EERKSF_lbbbEUlllE_EE10hipError_tT0_T1_T2_T3_mRjT4_P12ihipStream_tbNS1_7vsmem_tEEUlT_E_NS1_11comp_targetILNS1_3genE10ELNS1_11target_archE1201ELNS1_3gpuE5ELNS1_3repE0EEENS1_30default_config_static_selectorELNS0_4arch9wavefront6targetE0EEEvSM_.private_seg_size, 0
	.set _ZN7rocprim17ROCPRIM_400000_NS6detail17trampoline_kernelINS0_14default_configENS1_37merge_sort_block_sort_config_selectorIlNS0_10empty_typeEEEZNS1_21merge_sort_block_sortIS3_PlS8_PS5_S9_ZN2at6native12_GLOBAL__N_124unique_dim_cuda_templateIaEESt5tupleIJNSA_6TensorESF_SF_EERKSF_lbbbEUlllE_EE10hipError_tT0_T1_T2_T3_mRjT4_P12ihipStream_tbNS1_7vsmem_tEEUlT_E_NS1_11comp_targetILNS1_3genE10ELNS1_11target_archE1201ELNS1_3gpuE5ELNS1_3repE0EEENS1_30default_config_static_selectorELNS0_4arch9wavefront6targetE0EEEvSM_.uses_vcc, 0
	.set _ZN7rocprim17ROCPRIM_400000_NS6detail17trampoline_kernelINS0_14default_configENS1_37merge_sort_block_sort_config_selectorIlNS0_10empty_typeEEEZNS1_21merge_sort_block_sortIS3_PlS8_PS5_S9_ZN2at6native12_GLOBAL__N_124unique_dim_cuda_templateIaEESt5tupleIJNSA_6TensorESF_SF_EERKSF_lbbbEUlllE_EE10hipError_tT0_T1_T2_T3_mRjT4_P12ihipStream_tbNS1_7vsmem_tEEUlT_E_NS1_11comp_targetILNS1_3genE10ELNS1_11target_archE1201ELNS1_3gpuE5ELNS1_3repE0EEENS1_30default_config_static_selectorELNS0_4arch9wavefront6targetE0EEEvSM_.uses_flat_scratch, 0
	.set _ZN7rocprim17ROCPRIM_400000_NS6detail17trampoline_kernelINS0_14default_configENS1_37merge_sort_block_sort_config_selectorIlNS0_10empty_typeEEEZNS1_21merge_sort_block_sortIS3_PlS8_PS5_S9_ZN2at6native12_GLOBAL__N_124unique_dim_cuda_templateIaEESt5tupleIJNSA_6TensorESF_SF_EERKSF_lbbbEUlllE_EE10hipError_tT0_T1_T2_T3_mRjT4_P12ihipStream_tbNS1_7vsmem_tEEUlT_E_NS1_11comp_targetILNS1_3genE10ELNS1_11target_archE1201ELNS1_3gpuE5ELNS1_3repE0EEENS1_30default_config_static_selectorELNS0_4arch9wavefront6targetE0EEEvSM_.has_dyn_sized_stack, 0
	.set _ZN7rocprim17ROCPRIM_400000_NS6detail17trampoline_kernelINS0_14default_configENS1_37merge_sort_block_sort_config_selectorIlNS0_10empty_typeEEEZNS1_21merge_sort_block_sortIS3_PlS8_PS5_S9_ZN2at6native12_GLOBAL__N_124unique_dim_cuda_templateIaEESt5tupleIJNSA_6TensorESF_SF_EERKSF_lbbbEUlllE_EE10hipError_tT0_T1_T2_T3_mRjT4_P12ihipStream_tbNS1_7vsmem_tEEUlT_E_NS1_11comp_targetILNS1_3genE10ELNS1_11target_archE1201ELNS1_3gpuE5ELNS1_3repE0EEENS1_30default_config_static_selectorELNS0_4arch9wavefront6targetE0EEEvSM_.has_recursion, 0
	.set _ZN7rocprim17ROCPRIM_400000_NS6detail17trampoline_kernelINS0_14default_configENS1_37merge_sort_block_sort_config_selectorIlNS0_10empty_typeEEEZNS1_21merge_sort_block_sortIS3_PlS8_PS5_S9_ZN2at6native12_GLOBAL__N_124unique_dim_cuda_templateIaEESt5tupleIJNSA_6TensorESF_SF_EERKSF_lbbbEUlllE_EE10hipError_tT0_T1_T2_T3_mRjT4_P12ihipStream_tbNS1_7vsmem_tEEUlT_E_NS1_11comp_targetILNS1_3genE10ELNS1_11target_archE1201ELNS1_3gpuE5ELNS1_3repE0EEENS1_30default_config_static_selectorELNS0_4arch9wavefront6targetE0EEEvSM_.has_indirect_call, 0
	.section	.AMDGPU.csdata,"",@progbits
; Kernel info:
; codeLenInByte = 0
; TotalNumSgprs: 0
; NumVgprs: 0
; ScratchSize: 0
; MemoryBound: 0
; FloatMode: 240
; IeeeMode: 1
; LDSByteSize: 0 bytes/workgroup (compile time only)
; SGPRBlocks: 0
; VGPRBlocks: 0
; NumSGPRsForWavesPerEU: 1
; NumVGPRsForWavesPerEU: 1
; NamedBarCnt: 0
; Occupancy: 16
; WaveLimiterHint : 0
; COMPUTE_PGM_RSRC2:SCRATCH_EN: 0
; COMPUTE_PGM_RSRC2:USER_SGPR: 2
; COMPUTE_PGM_RSRC2:TRAP_HANDLER: 0
; COMPUTE_PGM_RSRC2:TGID_X_EN: 1
; COMPUTE_PGM_RSRC2:TGID_Y_EN: 0
; COMPUTE_PGM_RSRC2:TGID_Z_EN: 0
; COMPUTE_PGM_RSRC2:TIDIG_COMP_CNT: 0
	.section	.text._ZN7rocprim17ROCPRIM_400000_NS6detail17trampoline_kernelINS0_14default_configENS1_37merge_sort_block_sort_config_selectorIlNS0_10empty_typeEEEZNS1_21merge_sort_block_sortIS3_PlS8_PS5_S9_ZN2at6native12_GLOBAL__N_124unique_dim_cuda_templateIaEESt5tupleIJNSA_6TensorESF_SF_EERKSF_lbbbEUlllE_EE10hipError_tT0_T1_T2_T3_mRjT4_P12ihipStream_tbNS1_7vsmem_tEEUlT_E_NS1_11comp_targetILNS1_3genE10ELNS1_11target_archE1200ELNS1_3gpuE4ELNS1_3repE0EEENS1_30default_config_static_selectorELNS0_4arch9wavefront6targetE0EEEvSM_,"axG",@progbits,_ZN7rocprim17ROCPRIM_400000_NS6detail17trampoline_kernelINS0_14default_configENS1_37merge_sort_block_sort_config_selectorIlNS0_10empty_typeEEEZNS1_21merge_sort_block_sortIS3_PlS8_PS5_S9_ZN2at6native12_GLOBAL__N_124unique_dim_cuda_templateIaEESt5tupleIJNSA_6TensorESF_SF_EERKSF_lbbbEUlllE_EE10hipError_tT0_T1_T2_T3_mRjT4_P12ihipStream_tbNS1_7vsmem_tEEUlT_E_NS1_11comp_targetILNS1_3genE10ELNS1_11target_archE1200ELNS1_3gpuE4ELNS1_3repE0EEENS1_30default_config_static_selectorELNS0_4arch9wavefront6targetE0EEEvSM_,comdat
	.globl	_ZN7rocprim17ROCPRIM_400000_NS6detail17trampoline_kernelINS0_14default_configENS1_37merge_sort_block_sort_config_selectorIlNS0_10empty_typeEEEZNS1_21merge_sort_block_sortIS3_PlS8_PS5_S9_ZN2at6native12_GLOBAL__N_124unique_dim_cuda_templateIaEESt5tupleIJNSA_6TensorESF_SF_EERKSF_lbbbEUlllE_EE10hipError_tT0_T1_T2_T3_mRjT4_P12ihipStream_tbNS1_7vsmem_tEEUlT_E_NS1_11comp_targetILNS1_3genE10ELNS1_11target_archE1200ELNS1_3gpuE4ELNS1_3repE0EEENS1_30default_config_static_selectorELNS0_4arch9wavefront6targetE0EEEvSM_ ; -- Begin function _ZN7rocprim17ROCPRIM_400000_NS6detail17trampoline_kernelINS0_14default_configENS1_37merge_sort_block_sort_config_selectorIlNS0_10empty_typeEEEZNS1_21merge_sort_block_sortIS3_PlS8_PS5_S9_ZN2at6native12_GLOBAL__N_124unique_dim_cuda_templateIaEESt5tupleIJNSA_6TensorESF_SF_EERKSF_lbbbEUlllE_EE10hipError_tT0_T1_T2_T3_mRjT4_P12ihipStream_tbNS1_7vsmem_tEEUlT_E_NS1_11comp_targetILNS1_3genE10ELNS1_11target_archE1200ELNS1_3gpuE4ELNS1_3repE0EEENS1_30default_config_static_selectorELNS0_4arch9wavefront6targetE0EEEvSM_
	.p2align	8
	.type	_ZN7rocprim17ROCPRIM_400000_NS6detail17trampoline_kernelINS0_14default_configENS1_37merge_sort_block_sort_config_selectorIlNS0_10empty_typeEEEZNS1_21merge_sort_block_sortIS3_PlS8_PS5_S9_ZN2at6native12_GLOBAL__N_124unique_dim_cuda_templateIaEESt5tupleIJNSA_6TensorESF_SF_EERKSF_lbbbEUlllE_EE10hipError_tT0_T1_T2_T3_mRjT4_P12ihipStream_tbNS1_7vsmem_tEEUlT_E_NS1_11comp_targetILNS1_3genE10ELNS1_11target_archE1200ELNS1_3gpuE4ELNS1_3repE0EEENS1_30default_config_static_selectorELNS0_4arch9wavefront6targetE0EEEvSM_,@function
_ZN7rocprim17ROCPRIM_400000_NS6detail17trampoline_kernelINS0_14default_configENS1_37merge_sort_block_sort_config_selectorIlNS0_10empty_typeEEEZNS1_21merge_sort_block_sortIS3_PlS8_PS5_S9_ZN2at6native12_GLOBAL__N_124unique_dim_cuda_templateIaEESt5tupleIJNSA_6TensorESF_SF_EERKSF_lbbbEUlllE_EE10hipError_tT0_T1_T2_T3_mRjT4_P12ihipStream_tbNS1_7vsmem_tEEUlT_E_NS1_11comp_targetILNS1_3genE10ELNS1_11target_archE1200ELNS1_3gpuE4ELNS1_3repE0EEENS1_30default_config_static_selectorELNS0_4arch9wavefront6targetE0EEEvSM_: ; @_ZN7rocprim17ROCPRIM_400000_NS6detail17trampoline_kernelINS0_14default_configENS1_37merge_sort_block_sort_config_selectorIlNS0_10empty_typeEEEZNS1_21merge_sort_block_sortIS3_PlS8_PS5_S9_ZN2at6native12_GLOBAL__N_124unique_dim_cuda_templateIaEESt5tupleIJNSA_6TensorESF_SF_EERKSF_lbbbEUlllE_EE10hipError_tT0_T1_T2_T3_mRjT4_P12ihipStream_tbNS1_7vsmem_tEEUlT_E_NS1_11comp_targetILNS1_3genE10ELNS1_11target_archE1200ELNS1_3gpuE4ELNS1_3repE0EEENS1_30default_config_static_selectorELNS0_4arch9wavefront6targetE0EEEvSM_
; %bb.0:
	.section	.rodata,"a",@progbits
	.p2align	6, 0x0
	.amdhsa_kernel _ZN7rocprim17ROCPRIM_400000_NS6detail17trampoline_kernelINS0_14default_configENS1_37merge_sort_block_sort_config_selectorIlNS0_10empty_typeEEEZNS1_21merge_sort_block_sortIS3_PlS8_PS5_S9_ZN2at6native12_GLOBAL__N_124unique_dim_cuda_templateIaEESt5tupleIJNSA_6TensorESF_SF_EERKSF_lbbbEUlllE_EE10hipError_tT0_T1_T2_T3_mRjT4_P12ihipStream_tbNS1_7vsmem_tEEUlT_E_NS1_11comp_targetILNS1_3genE10ELNS1_11target_archE1200ELNS1_3gpuE4ELNS1_3repE0EEENS1_30default_config_static_selectorELNS0_4arch9wavefront6targetE0EEEvSM_
		.amdhsa_group_segment_fixed_size 0
		.amdhsa_private_segment_fixed_size 0
		.amdhsa_kernarg_size 72
		.amdhsa_user_sgpr_count 2
		.amdhsa_user_sgpr_dispatch_ptr 0
		.amdhsa_user_sgpr_queue_ptr 0
		.amdhsa_user_sgpr_kernarg_segment_ptr 1
		.amdhsa_user_sgpr_dispatch_id 0
		.amdhsa_user_sgpr_kernarg_preload_length 0
		.amdhsa_user_sgpr_kernarg_preload_offset 0
		.amdhsa_user_sgpr_private_segment_size 0
		.amdhsa_wavefront_size32 1
		.amdhsa_uses_dynamic_stack 0
		.amdhsa_enable_private_segment 0
		.amdhsa_system_sgpr_workgroup_id_x 1
		.amdhsa_system_sgpr_workgroup_id_y 0
		.amdhsa_system_sgpr_workgroup_id_z 0
		.amdhsa_system_sgpr_workgroup_info 0
		.amdhsa_system_vgpr_workitem_id 0
		.amdhsa_next_free_vgpr 1
		.amdhsa_next_free_sgpr 1
		.amdhsa_named_barrier_count 0
		.amdhsa_reserve_vcc 0
		.amdhsa_float_round_mode_32 0
		.amdhsa_float_round_mode_16_64 0
		.amdhsa_float_denorm_mode_32 3
		.amdhsa_float_denorm_mode_16_64 3
		.amdhsa_fp16_overflow 0
		.amdhsa_memory_ordered 1
		.amdhsa_forward_progress 1
		.amdhsa_inst_pref_size 0
		.amdhsa_round_robin_scheduling 0
		.amdhsa_exception_fp_ieee_invalid_op 0
		.amdhsa_exception_fp_denorm_src 0
		.amdhsa_exception_fp_ieee_div_zero 0
		.amdhsa_exception_fp_ieee_overflow 0
		.amdhsa_exception_fp_ieee_underflow 0
		.amdhsa_exception_fp_ieee_inexact 0
		.amdhsa_exception_int_div_zero 0
	.end_amdhsa_kernel
	.section	.text._ZN7rocprim17ROCPRIM_400000_NS6detail17trampoline_kernelINS0_14default_configENS1_37merge_sort_block_sort_config_selectorIlNS0_10empty_typeEEEZNS1_21merge_sort_block_sortIS3_PlS8_PS5_S9_ZN2at6native12_GLOBAL__N_124unique_dim_cuda_templateIaEESt5tupleIJNSA_6TensorESF_SF_EERKSF_lbbbEUlllE_EE10hipError_tT0_T1_T2_T3_mRjT4_P12ihipStream_tbNS1_7vsmem_tEEUlT_E_NS1_11comp_targetILNS1_3genE10ELNS1_11target_archE1200ELNS1_3gpuE4ELNS1_3repE0EEENS1_30default_config_static_selectorELNS0_4arch9wavefront6targetE0EEEvSM_,"axG",@progbits,_ZN7rocprim17ROCPRIM_400000_NS6detail17trampoline_kernelINS0_14default_configENS1_37merge_sort_block_sort_config_selectorIlNS0_10empty_typeEEEZNS1_21merge_sort_block_sortIS3_PlS8_PS5_S9_ZN2at6native12_GLOBAL__N_124unique_dim_cuda_templateIaEESt5tupleIJNSA_6TensorESF_SF_EERKSF_lbbbEUlllE_EE10hipError_tT0_T1_T2_T3_mRjT4_P12ihipStream_tbNS1_7vsmem_tEEUlT_E_NS1_11comp_targetILNS1_3genE10ELNS1_11target_archE1200ELNS1_3gpuE4ELNS1_3repE0EEENS1_30default_config_static_selectorELNS0_4arch9wavefront6targetE0EEEvSM_,comdat
.Lfunc_end267:
	.size	_ZN7rocprim17ROCPRIM_400000_NS6detail17trampoline_kernelINS0_14default_configENS1_37merge_sort_block_sort_config_selectorIlNS0_10empty_typeEEEZNS1_21merge_sort_block_sortIS3_PlS8_PS5_S9_ZN2at6native12_GLOBAL__N_124unique_dim_cuda_templateIaEESt5tupleIJNSA_6TensorESF_SF_EERKSF_lbbbEUlllE_EE10hipError_tT0_T1_T2_T3_mRjT4_P12ihipStream_tbNS1_7vsmem_tEEUlT_E_NS1_11comp_targetILNS1_3genE10ELNS1_11target_archE1200ELNS1_3gpuE4ELNS1_3repE0EEENS1_30default_config_static_selectorELNS0_4arch9wavefront6targetE0EEEvSM_, .Lfunc_end267-_ZN7rocprim17ROCPRIM_400000_NS6detail17trampoline_kernelINS0_14default_configENS1_37merge_sort_block_sort_config_selectorIlNS0_10empty_typeEEEZNS1_21merge_sort_block_sortIS3_PlS8_PS5_S9_ZN2at6native12_GLOBAL__N_124unique_dim_cuda_templateIaEESt5tupleIJNSA_6TensorESF_SF_EERKSF_lbbbEUlllE_EE10hipError_tT0_T1_T2_T3_mRjT4_P12ihipStream_tbNS1_7vsmem_tEEUlT_E_NS1_11comp_targetILNS1_3genE10ELNS1_11target_archE1200ELNS1_3gpuE4ELNS1_3repE0EEENS1_30default_config_static_selectorELNS0_4arch9wavefront6targetE0EEEvSM_
                                        ; -- End function
	.set _ZN7rocprim17ROCPRIM_400000_NS6detail17trampoline_kernelINS0_14default_configENS1_37merge_sort_block_sort_config_selectorIlNS0_10empty_typeEEEZNS1_21merge_sort_block_sortIS3_PlS8_PS5_S9_ZN2at6native12_GLOBAL__N_124unique_dim_cuda_templateIaEESt5tupleIJNSA_6TensorESF_SF_EERKSF_lbbbEUlllE_EE10hipError_tT0_T1_T2_T3_mRjT4_P12ihipStream_tbNS1_7vsmem_tEEUlT_E_NS1_11comp_targetILNS1_3genE10ELNS1_11target_archE1200ELNS1_3gpuE4ELNS1_3repE0EEENS1_30default_config_static_selectorELNS0_4arch9wavefront6targetE0EEEvSM_.num_vgpr, 0
	.set _ZN7rocprim17ROCPRIM_400000_NS6detail17trampoline_kernelINS0_14default_configENS1_37merge_sort_block_sort_config_selectorIlNS0_10empty_typeEEEZNS1_21merge_sort_block_sortIS3_PlS8_PS5_S9_ZN2at6native12_GLOBAL__N_124unique_dim_cuda_templateIaEESt5tupleIJNSA_6TensorESF_SF_EERKSF_lbbbEUlllE_EE10hipError_tT0_T1_T2_T3_mRjT4_P12ihipStream_tbNS1_7vsmem_tEEUlT_E_NS1_11comp_targetILNS1_3genE10ELNS1_11target_archE1200ELNS1_3gpuE4ELNS1_3repE0EEENS1_30default_config_static_selectorELNS0_4arch9wavefront6targetE0EEEvSM_.num_agpr, 0
	.set _ZN7rocprim17ROCPRIM_400000_NS6detail17trampoline_kernelINS0_14default_configENS1_37merge_sort_block_sort_config_selectorIlNS0_10empty_typeEEEZNS1_21merge_sort_block_sortIS3_PlS8_PS5_S9_ZN2at6native12_GLOBAL__N_124unique_dim_cuda_templateIaEESt5tupleIJNSA_6TensorESF_SF_EERKSF_lbbbEUlllE_EE10hipError_tT0_T1_T2_T3_mRjT4_P12ihipStream_tbNS1_7vsmem_tEEUlT_E_NS1_11comp_targetILNS1_3genE10ELNS1_11target_archE1200ELNS1_3gpuE4ELNS1_3repE0EEENS1_30default_config_static_selectorELNS0_4arch9wavefront6targetE0EEEvSM_.numbered_sgpr, 0
	.set _ZN7rocprim17ROCPRIM_400000_NS6detail17trampoline_kernelINS0_14default_configENS1_37merge_sort_block_sort_config_selectorIlNS0_10empty_typeEEEZNS1_21merge_sort_block_sortIS3_PlS8_PS5_S9_ZN2at6native12_GLOBAL__N_124unique_dim_cuda_templateIaEESt5tupleIJNSA_6TensorESF_SF_EERKSF_lbbbEUlllE_EE10hipError_tT0_T1_T2_T3_mRjT4_P12ihipStream_tbNS1_7vsmem_tEEUlT_E_NS1_11comp_targetILNS1_3genE10ELNS1_11target_archE1200ELNS1_3gpuE4ELNS1_3repE0EEENS1_30default_config_static_selectorELNS0_4arch9wavefront6targetE0EEEvSM_.num_named_barrier, 0
	.set _ZN7rocprim17ROCPRIM_400000_NS6detail17trampoline_kernelINS0_14default_configENS1_37merge_sort_block_sort_config_selectorIlNS0_10empty_typeEEEZNS1_21merge_sort_block_sortIS3_PlS8_PS5_S9_ZN2at6native12_GLOBAL__N_124unique_dim_cuda_templateIaEESt5tupleIJNSA_6TensorESF_SF_EERKSF_lbbbEUlllE_EE10hipError_tT0_T1_T2_T3_mRjT4_P12ihipStream_tbNS1_7vsmem_tEEUlT_E_NS1_11comp_targetILNS1_3genE10ELNS1_11target_archE1200ELNS1_3gpuE4ELNS1_3repE0EEENS1_30default_config_static_selectorELNS0_4arch9wavefront6targetE0EEEvSM_.private_seg_size, 0
	.set _ZN7rocprim17ROCPRIM_400000_NS6detail17trampoline_kernelINS0_14default_configENS1_37merge_sort_block_sort_config_selectorIlNS0_10empty_typeEEEZNS1_21merge_sort_block_sortIS3_PlS8_PS5_S9_ZN2at6native12_GLOBAL__N_124unique_dim_cuda_templateIaEESt5tupleIJNSA_6TensorESF_SF_EERKSF_lbbbEUlllE_EE10hipError_tT0_T1_T2_T3_mRjT4_P12ihipStream_tbNS1_7vsmem_tEEUlT_E_NS1_11comp_targetILNS1_3genE10ELNS1_11target_archE1200ELNS1_3gpuE4ELNS1_3repE0EEENS1_30default_config_static_selectorELNS0_4arch9wavefront6targetE0EEEvSM_.uses_vcc, 0
	.set _ZN7rocprim17ROCPRIM_400000_NS6detail17trampoline_kernelINS0_14default_configENS1_37merge_sort_block_sort_config_selectorIlNS0_10empty_typeEEEZNS1_21merge_sort_block_sortIS3_PlS8_PS5_S9_ZN2at6native12_GLOBAL__N_124unique_dim_cuda_templateIaEESt5tupleIJNSA_6TensorESF_SF_EERKSF_lbbbEUlllE_EE10hipError_tT0_T1_T2_T3_mRjT4_P12ihipStream_tbNS1_7vsmem_tEEUlT_E_NS1_11comp_targetILNS1_3genE10ELNS1_11target_archE1200ELNS1_3gpuE4ELNS1_3repE0EEENS1_30default_config_static_selectorELNS0_4arch9wavefront6targetE0EEEvSM_.uses_flat_scratch, 0
	.set _ZN7rocprim17ROCPRIM_400000_NS6detail17trampoline_kernelINS0_14default_configENS1_37merge_sort_block_sort_config_selectorIlNS0_10empty_typeEEEZNS1_21merge_sort_block_sortIS3_PlS8_PS5_S9_ZN2at6native12_GLOBAL__N_124unique_dim_cuda_templateIaEESt5tupleIJNSA_6TensorESF_SF_EERKSF_lbbbEUlllE_EE10hipError_tT0_T1_T2_T3_mRjT4_P12ihipStream_tbNS1_7vsmem_tEEUlT_E_NS1_11comp_targetILNS1_3genE10ELNS1_11target_archE1200ELNS1_3gpuE4ELNS1_3repE0EEENS1_30default_config_static_selectorELNS0_4arch9wavefront6targetE0EEEvSM_.has_dyn_sized_stack, 0
	.set _ZN7rocprim17ROCPRIM_400000_NS6detail17trampoline_kernelINS0_14default_configENS1_37merge_sort_block_sort_config_selectorIlNS0_10empty_typeEEEZNS1_21merge_sort_block_sortIS3_PlS8_PS5_S9_ZN2at6native12_GLOBAL__N_124unique_dim_cuda_templateIaEESt5tupleIJNSA_6TensorESF_SF_EERKSF_lbbbEUlllE_EE10hipError_tT0_T1_T2_T3_mRjT4_P12ihipStream_tbNS1_7vsmem_tEEUlT_E_NS1_11comp_targetILNS1_3genE10ELNS1_11target_archE1200ELNS1_3gpuE4ELNS1_3repE0EEENS1_30default_config_static_selectorELNS0_4arch9wavefront6targetE0EEEvSM_.has_recursion, 0
	.set _ZN7rocprim17ROCPRIM_400000_NS6detail17trampoline_kernelINS0_14default_configENS1_37merge_sort_block_sort_config_selectorIlNS0_10empty_typeEEEZNS1_21merge_sort_block_sortIS3_PlS8_PS5_S9_ZN2at6native12_GLOBAL__N_124unique_dim_cuda_templateIaEESt5tupleIJNSA_6TensorESF_SF_EERKSF_lbbbEUlllE_EE10hipError_tT0_T1_T2_T3_mRjT4_P12ihipStream_tbNS1_7vsmem_tEEUlT_E_NS1_11comp_targetILNS1_3genE10ELNS1_11target_archE1200ELNS1_3gpuE4ELNS1_3repE0EEENS1_30default_config_static_selectorELNS0_4arch9wavefront6targetE0EEEvSM_.has_indirect_call, 0
	.section	.AMDGPU.csdata,"",@progbits
; Kernel info:
; codeLenInByte = 0
; TotalNumSgprs: 0
; NumVgprs: 0
; ScratchSize: 0
; MemoryBound: 0
; FloatMode: 240
; IeeeMode: 1
; LDSByteSize: 0 bytes/workgroup (compile time only)
; SGPRBlocks: 0
; VGPRBlocks: 0
; NumSGPRsForWavesPerEU: 1
; NumVGPRsForWavesPerEU: 1
; NamedBarCnt: 0
; Occupancy: 16
; WaveLimiterHint : 0
; COMPUTE_PGM_RSRC2:SCRATCH_EN: 0
; COMPUTE_PGM_RSRC2:USER_SGPR: 2
; COMPUTE_PGM_RSRC2:TRAP_HANDLER: 0
; COMPUTE_PGM_RSRC2:TGID_X_EN: 1
; COMPUTE_PGM_RSRC2:TGID_Y_EN: 0
; COMPUTE_PGM_RSRC2:TGID_Z_EN: 0
; COMPUTE_PGM_RSRC2:TIDIG_COMP_CNT: 0
	.section	.text._ZN7rocprim17ROCPRIM_400000_NS6detail17trampoline_kernelINS0_14default_configENS1_37merge_sort_block_sort_config_selectorIlNS0_10empty_typeEEEZNS1_21merge_sort_block_sortIS3_PlS8_PS5_S9_ZN2at6native12_GLOBAL__N_124unique_dim_cuda_templateIaEESt5tupleIJNSA_6TensorESF_SF_EERKSF_lbbbEUlllE_EE10hipError_tT0_T1_T2_T3_mRjT4_P12ihipStream_tbNS1_7vsmem_tEEUlT_E_NS1_11comp_targetILNS1_3genE9ELNS1_11target_archE1100ELNS1_3gpuE3ELNS1_3repE0EEENS1_30default_config_static_selectorELNS0_4arch9wavefront6targetE0EEEvSM_,"axG",@progbits,_ZN7rocprim17ROCPRIM_400000_NS6detail17trampoline_kernelINS0_14default_configENS1_37merge_sort_block_sort_config_selectorIlNS0_10empty_typeEEEZNS1_21merge_sort_block_sortIS3_PlS8_PS5_S9_ZN2at6native12_GLOBAL__N_124unique_dim_cuda_templateIaEESt5tupleIJNSA_6TensorESF_SF_EERKSF_lbbbEUlllE_EE10hipError_tT0_T1_T2_T3_mRjT4_P12ihipStream_tbNS1_7vsmem_tEEUlT_E_NS1_11comp_targetILNS1_3genE9ELNS1_11target_archE1100ELNS1_3gpuE3ELNS1_3repE0EEENS1_30default_config_static_selectorELNS0_4arch9wavefront6targetE0EEEvSM_,comdat
	.globl	_ZN7rocprim17ROCPRIM_400000_NS6detail17trampoline_kernelINS0_14default_configENS1_37merge_sort_block_sort_config_selectorIlNS0_10empty_typeEEEZNS1_21merge_sort_block_sortIS3_PlS8_PS5_S9_ZN2at6native12_GLOBAL__N_124unique_dim_cuda_templateIaEESt5tupleIJNSA_6TensorESF_SF_EERKSF_lbbbEUlllE_EE10hipError_tT0_T1_T2_T3_mRjT4_P12ihipStream_tbNS1_7vsmem_tEEUlT_E_NS1_11comp_targetILNS1_3genE9ELNS1_11target_archE1100ELNS1_3gpuE3ELNS1_3repE0EEENS1_30default_config_static_selectorELNS0_4arch9wavefront6targetE0EEEvSM_ ; -- Begin function _ZN7rocprim17ROCPRIM_400000_NS6detail17trampoline_kernelINS0_14default_configENS1_37merge_sort_block_sort_config_selectorIlNS0_10empty_typeEEEZNS1_21merge_sort_block_sortIS3_PlS8_PS5_S9_ZN2at6native12_GLOBAL__N_124unique_dim_cuda_templateIaEESt5tupleIJNSA_6TensorESF_SF_EERKSF_lbbbEUlllE_EE10hipError_tT0_T1_T2_T3_mRjT4_P12ihipStream_tbNS1_7vsmem_tEEUlT_E_NS1_11comp_targetILNS1_3genE9ELNS1_11target_archE1100ELNS1_3gpuE3ELNS1_3repE0EEENS1_30default_config_static_selectorELNS0_4arch9wavefront6targetE0EEEvSM_
	.p2align	8
	.type	_ZN7rocprim17ROCPRIM_400000_NS6detail17trampoline_kernelINS0_14default_configENS1_37merge_sort_block_sort_config_selectorIlNS0_10empty_typeEEEZNS1_21merge_sort_block_sortIS3_PlS8_PS5_S9_ZN2at6native12_GLOBAL__N_124unique_dim_cuda_templateIaEESt5tupleIJNSA_6TensorESF_SF_EERKSF_lbbbEUlllE_EE10hipError_tT0_T1_T2_T3_mRjT4_P12ihipStream_tbNS1_7vsmem_tEEUlT_E_NS1_11comp_targetILNS1_3genE9ELNS1_11target_archE1100ELNS1_3gpuE3ELNS1_3repE0EEENS1_30default_config_static_selectorELNS0_4arch9wavefront6targetE0EEEvSM_,@function
_ZN7rocprim17ROCPRIM_400000_NS6detail17trampoline_kernelINS0_14default_configENS1_37merge_sort_block_sort_config_selectorIlNS0_10empty_typeEEEZNS1_21merge_sort_block_sortIS3_PlS8_PS5_S9_ZN2at6native12_GLOBAL__N_124unique_dim_cuda_templateIaEESt5tupleIJNSA_6TensorESF_SF_EERKSF_lbbbEUlllE_EE10hipError_tT0_T1_T2_T3_mRjT4_P12ihipStream_tbNS1_7vsmem_tEEUlT_E_NS1_11comp_targetILNS1_3genE9ELNS1_11target_archE1100ELNS1_3gpuE3ELNS1_3repE0EEENS1_30default_config_static_selectorELNS0_4arch9wavefront6targetE0EEEvSM_: ; @_ZN7rocprim17ROCPRIM_400000_NS6detail17trampoline_kernelINS0_14default_configENS1_37merge_sort_block_sort_config_selectorIlNS0_10empty_typeEEEZNS1_21merge_sort_block_sortIS3_PlS8_PS5_S9_ZN2at6native12_GLOBAL__N_124unique_dim_cuda_templateIaEESt5tupleIJNSA_6TensorESF_SF_EERKSF_lbbbEUlllE_EE10hipError_tT0_T1_T2_T3_mRjT4_P12ihipStream_tbNS1_7vsmem_tEEUlT_E_NS1_11comp_targetILNS1_3genE9ELNS1_11target_archE1100ELNS1_3gpuE3ELNS1_3repE0EEENS1_30default_config_static_selectorELNS0_4arch9wavefront6targetE0EEEvSM_
; %bb.0:
	.section	.rodata,"a",@progbits
	.p2align	6, 0x0
	.amdhsa_kernel _ZN7rocprim17ROCPRIM_400000_NS6detail17trampoline_kernelINS0_14default_configENS1_37merge_sort_block_sort_config_selectorIlNS0_10empty_typeEEEZNS1_21merge_sort_block_sortIS3_PlS8_PS5_S9_ZN2at6native12_GLOBAL__N_124unique_dim_cuda_templateIaEESt5tupleIJNSA_6TensorESF_SF_EERKSF_lbbbEUlllE_EE10hipError_tT0_T1_T2_T3_mRjT4_P12ihipStream_tbNS1_7vsmem_tEEUlT_E_NS1_11comp_targetILNS1_3genE9ELNS1_11target_archE1100ELNS1_3gpuE3ELNS1_3repE0EEENS1_30default_config_static_selectorELNS0_4arch9wavefront6targetE0EEEvSM_
		.amdhsa_group_segment_fixed_size 0
		.amdhsa_private_segment_fixed_size 0
		.amdhsa_kernarg_size 72
		.amdhsa_user_sgpr_count 2
		.amdhsa_user_sgpr_dispatch_ptr 0
		.amdhsa_user_sgpr_queue_ptr 0
		.amdhsa_user_sgpr_kernarg_segment_ptr 1
		.amdhsa_user_sgpr_dispatch_id 0
		.amdhsa_user_sgpr_kernarg_preload_length 0
		.amdhsa_user_sgpr_kernarg_preload_offset 0
		.amdhsa_user_sgpr_private_segment_size 0
		.amdhsa_wavefront_size32 1
		.amdhsa_uses_dynamic_stack 0
		.amdhsa_enable_private_segment 0
		.amdhsa_system_sgpr_workgroup_id_x 1
		.amdhsa_system_sgpr_workgroup_id_y 0
		.amdhsa_system_sgpr_workgroup_id_z 0
		.amdhsa_system_sgpr_workgroup_info 0
		.amdhsa_system_vgpr_workitem_id 0
		.amdhsa_next_free_vgpr 1
		.amdhsa_next_free_sgpr 1
		.amdhsa_named_barrier_count 0
		.amdhsa_reserve_vcc 0
		.amdhsa_float_round_mode_32 0
		.amdhsa_float_round_mode_16_64 0
		.amdhsa_float_denorm_mode_32 3
		.amdhsa_float_denorm_mode_16_64 3
		.amdhsa_fp16_overflow 0
		.amdhsa_memory_ordered 1
		.amdhsa_forward_progress 1
		.amdhsa_inst_pref_size 0
		.amdhsa_round_robin_scheduling 0
		.amdhsa_exception_fp_ieee_invalid_op 0
		.amdhsa_exception_fp_denorm_src 0
		.amdhsa_exception_fp_ieee_div_zero 0
		.amdhsa_exception_fp_ieee_overflow 0
		.amdhsa_exception_fp_ieee_underflow 0
		.amdhsa_exception_fp_ieee_inexact 0
		.amdhsa_exception_int_div_zero 0
	.end_amdhsa_kernel
	.section	.text._ZN7rocprim17ROCPRIM_400000_NS6detail17trampoline_kernelINS0_14default_configENS1_37merge_sort_block_sort_config_selectorIlNS0_10empty_typeEEEZNS1_21merge_sort_block_sortIS3_PlS8_PS5_S9_ZN2at6native12_GLOBAL__N_124unique_dim_cuda_templateIaEESt5tupleIJNSA_6TensorESF_SF_EERKSF_lbbbEUlllE_EE10hipError_tT0_T1_T2_T3_mRjT4_P12ihipStream_tbNS1_7vsmem_tEEUlT_E_NS1_11comp_targetILNS1_3genE9ELNS1_11target_archE1100ELNS1_3gpuE3ELNS1_3repE0EEENS1_30default_config_static_selectorELNS0_4arch9wavefront6targetE0EEEvSM_,"axG",@progbits,_ZN7rocprim17ROCPRIM_400000_NS6detail17trampoline_kernelINS0_14default_configENS1_37merge_sort_block_sort_config_selectorIlNS0_10empty_typeEEEZNS1_21merge_sort_block_sortIS3_PlS8_PS5_S9_ZN2at6native12_GLOBAL__N_124unique_dim_cuda_templateIaEESt5tupleIJNSA_6TensorESF_SF_EERKSF_lbbbEUlllE_EE10hipError_tT0_T1_T2_T3_mRjT4_P12ihipStream_tbNS1_7vsmem_tEEUlT_E_NS1_11comp_targetILNS1_3genE9ELNS1_11target_archE1100ELNS1_3gpuE3ELNS1_3repE0EEENS1_30default_config_static_selectorELNS0_4arch9wavefront6targetE0EEEvSM_,comdat
.Lfunc_end268:
	.size	_ZN7rocprim17ROCPRIM_400000_NS6detail17trampoline_kernelINS0_14default_configENS1_37merge_sort_block_sort_config_selectorIlNS0_10empty_typeEEEZNS1_21merge_sort_block_sortIS3_PlS8_PS5_S9_ZN2at6native12_GLOBAL__N_124unique_dim_cuda_templateIaEESt5tupleIJNSA_6TensorESF_SF_EERKSF_lbbbEUlllE_EE10hipError_tT0_T1_T2_T3_mRjT4_P12ihipStream_tbNS1_7vsmem_tEEUlT_E_NS1_11comp_targetILNS1_3genE9ELNS1_11target_archE1100ELNS1_3gpuE3ELNS1_3repE0EEENS1_30default_config_static_selectorELNS0_4arch9wavefront6targetE0EEEvSM_, .Lfunc_end268-_ZN7rocprim17ROCPRIM_400000_NS6detail17trampoline_kernelINS0_14default_configENS1_37merge_sort_block_sort_config_selectorIlNS0_10empty_typeEEEZNS1_21merge_sort_block_sortIS3_PlS8_PS5_S9_ZN2at6native12_GLOBAL__N_124unique_dim_cuda_templateIaEESt5tupleIJNSA_6TensorESF_SF_EERKSF_lbbbEUlllE_EE10hipError_tT0_T1_T2_T3_mRjT4_P12ihipStream_tbNS1_7vsmem_tEEUlT_E_NS1_11comp_targetILNS1_3genE9ELNS1_11target_archE1100ELNS1_3gpuE3ELNS1_3repE0EEENS1_30default_config_static_selectorELNS0_4arch9wavefront6targetE0EEEvSM_
                                        ; -- End function
	.set _ZN7rocprim17ROCPRIM_400000_NS6detail17trampoline_kernelINS0_14default_configENS1_37merge_sort_block_sort_config_selectorIlNS0_10empty_typeEEEZNS1_21merge_sort_block_sortIS3_PlS8_PS5_S9_ZN2at6native12_GLOBAL__N_124unique_dim_cuda_templateIaEESt5tupleIJNSA_6TensorESF_SF_EERKSF_lbbbEUlllE_EE10hipError_tT0_T1_T2_T3_mRjT4_P12ihipStream_tbNS1_7vsmem_tEEUlT_E_NS1_11comp_targetILNS1_3genE9ELNS1_11target_archE1100ELNS1_3gpuE3ELNS1_3repE0EEENS1_30default_config_static_selectorELNS0_4arch9wavefront6targetE0EEEvSM_.num_vgpr, 0
	.set _ZN7rocprim17ROCPRIM_400000_NS6detail17trampoline_kernelINS0_14default_configENS1_37merge_sort_block_sort_config_selectorIlNS0_10empty_typeEEEZNS1_21merge_sort_block_sortIS3_PlS8_PS5_S9_ZN2at6native12_GLOBAL__N_124unique_dim_cuda_templateIaEESt5tupleIJNSA_6TensorESF_SF_EERKSF_lbbbEUlllE_EE10hipError_tT0_T1_T2_T3_mRjT4_P12ihipStream_tbNS1_7vsmem_tEEUlT_E_NS1_11comp_targetILNS1_3genE9ELNS1_11target_archE1100ELNS1_3gpuE3ELNS1_3repE0EEENS1_30default_config_static_selectorELNS0_4arch9wavefront6targetE0EEEvSM_.num_agpr, 0
	.set _ZN7rocprim17ROCPRIM_400000_NS6detail17trampoline_kernelINS0_14default_configENS1_37merge_sort_block_sort_config_selectorIlNS0_10empty_typeEEEZNS1_21merge_sort_block_sortIS3_PlS8_PS5_S9_ZN2at6native12_GLOBAL__N_124unique_dim_cuda_templateIaEESt5tupleIJNSA_6TensorESF_SF_EERKSF_lbbbEUlllE_EE10hipError_tT0_T1_T2_T3_mRjT4_P12ihipStream_tbNS1_7vsmem_tEEUlT_E_NS1_11comp_targetILNS1_3genE9ELNS1_11target_archE1100ELNS1_3gpuE3ELNS1_3repE0EEENS1_30default_config_static_selectorELNS0_4arch9wavefront6targetE0EEEvSM_.numbered_sgpr, 0
	.set _ZN7rocprim17ROCPRIM_400000_NS6detail17trampoline_kernelINS0_14default_configENS1_37merge_sort_block_sort_config_selectorIlNS0_10empty_typeEEEZNS1_21merge_sort_block_sortIS3_PlS8_PS5_S9_ZN2at6native12_GLOBAL__N_124unique_dim_cuda_templateIaEESt5tupleIJNSA_6TensorESF_SF_EERKSF_lbbbEUlllE_EE10hipError_tT0_T1_T2_T3_mRjT4_P12ihipStream_tbNS1_7vsmem_tEEUlT_E_NS1_11comp_targetILNS1_3genE9ELNS1_11target_archE1100ELNS1_3gpuE3ELNS1_3repE0EEENS1_30default_config_static_selectorELNS0_4arch9wavefront6targetE0EEEvSM_.num_named_barrier, 0
	.set _ZN7rocprim17ROCPRIM_400000_NS6detail17trampoline_kernelINS0_14default_configENS1_37merge_sort_block_sort_config_selectorIlNS0_10empty_typeEEEZNS1_21merge_sort_block_sortIS3_PlS8_PS5_S9_ZN2at6native12_GLOBAL__N_124unique_dim_cuda_templateIaEESt5tupleIJNSA_6TensorESF_SF_EERKSF_lbbbEUlllE_EE10hipError_tT0_T1_T2_T3_mRjT4_P12ihipStream_tbNS1_7vsmem_tEEUlT_E_NS1_11comp_targetILNS1_3genE9ELNS1_11target_archE1100ELNS1_3gpuE3ELNS1_3repE0EEENS1_30default_config_static_selectorELNS0_4arch9wavefront6targetE0EEEvSM_.private_seg_size, 0
	.set _ZN7rocprim17ROCPRIM_400000_NS6detail17trampoline_kernelINS0_14default_configENS1_37merge_sort_block_sort_config_selectorIlNS0_10empty_typeEEEZNS1_21merge_sort_block_sortIS3_PlS8_PS5_S9_ZN2at6native12_GLOBAL__N_124unique_dim_cuda_templateIaEESt5tupleIJNSA_6TensorESF_SF_EERKSF_lbbbEUlllE_EE10hipError_tT0_T1_T2_T3_mRjT4_P12ihipStream_tbNS1_7vsmem_tEEUlT_E_NS1_11comp_targetILNS1_3genE9ELNS1_11target_archE1100ELNS1_3gpuE3ELNS1_3repE0EEENS1_30default_config_static_selectorELNS0_4arch9wavefront6targetE0EEEvSM_.uses_vcc, 0
	.set _ZN7rocprim17ROCPRIM_400000_NS6detail17trampoline_kernelINS0_14default_configENS1_37merge_sort_block_sort_config_selectorIlNS0_10empty_typeEEEZNS1_21merge_sort_block_sortIS3_PlS8_PS5_S9_ZN2at6native12_GLOBAL__N_124unique_dim_cuda_templateIaEESt5tupleIJNSA_6TensorESF_SF_EERKSF_lbbbEUlllE_EE10hipError_tT0_T1_T2_T3_mRjT4_P12ihipStream_tbNS1_7vsmem_tEEUlT_E_NS1_11comp_targetILNS1_3genE9ELNS1_11target_archE1100ELNS1_3gpuE3ELNS1_3repE0EEENS1_30default_config_static_selectorELNS0_4arch9wavefront6targetE0EEEvSM_.uses_flat_scratch, 0
	.set _ZN7rocprim17ROCPRIM_400000_NS6detail17trampoline_kernelINS0_14default_configENS1_37merge_sort_block_sort_config_selectorIlNS0_10empty_typeEEEZNS1_21merge_sort_block_sortIS3_PlS8_PS5_S9_ZN2at6native12_GLOBAL__N_124unique_dim_cuda_templateIaEESt5tupleIJNSA_6TensorESF_SF_EERKSF_lbbbEUlllE_EE10hipError_tT0_T1_T2_T3_mRjT4_P12ihipStream_tbNS1_7vsmem_tEEUlT_E_NS1_11comp_targetILNS1_3genE9ELNS1_11target_archE1100ELNS1_3gpuE3ELNS1_3repE0EEENS1_30default_config_static_selectorELNS0_4arch9wavefront6targetE0EEEvSM_.has_dyn_sized_stack, 0
	.set _ZN7rocprim17ROCPRIM_400000_NS6detail17trampoline_kernelINS0_14default_configENS1_37merge_sort_block_sort_config_selectorIlNS0_10empty_typeEEEZNS1_21merge_sort_block_sortIS3_PlS8_PS5_S9_ZN2at6native12_GLOBAL__N_124unique_dim_cuda_templateIaEESt5tupleIJNSA_6TensorESF_SF_EERKSF_lbbbEUlllE_EE10hipError_tT0_T1_T2_T3_mRjT4_P12ihipStream_tbNS1_7vsmem_tEEUlT_E_NS1_11comp_targetILNS1_3genE9ELNS1_11target_archE1100ELNS1_3gpuE3ELNS1_3repE0EEENS1_30default_config_static_selectorELNS0_4arch9wavefront6targetE0EEEvSM_.has_recursion, 0
	.set _ZN7rocprim17ROCPRIM_400000_NS6detail17trampoline_kernelINS0_14default_configENS1_37merge_sort_block_sort_config_selectorIlNS0_10empty_typeEEEZNS1_21merge_sort_block_sortIS3_PlS8_PS5_S9_ZN2at6native12_GLOBAL__N_124unique_dim_cuda_templateIaEESt5tupleIJNSA_6TensorESF_SF_EERKSF_lbbbEUlllE_EE10hipError_tT0_T1_T2_T3_mRjT4_P12ihipStream_tbNS1_7vsmem_tEEUlT_E_NS1_11comp_targetILNS1_3genE9ELNS1_11target_archE1100ELNS1_3gpuE3ELNS1_3repE0EEENS1_30default_config_static_selectorELNS0_4arch9wavefront6targetE0EEEvSM_.has_indirect_call, 0
	.section	.AMDGPU.csdata,"",@progbits
; Kernel info:
; codeLenInByte = 0
; TotalNumSgprs: 0
; NumVgprs: 0
; ScratchSize: 0
; MemoryBound: 0
; FloatMode: 240
; IeeeMode: 1
; LDSByteSize: 0 bytes/workgroup (compile time only)
; SGPRBlocks: 0
; VGPRBlocks: 0
; NumSGPRsForWavesPerEU: 1
; NumVGPRsForWavesPerEU: 1
; NamedBarCnt: 0
; Occupancy: 16
; WaveLimiterHint : 0
; COMPUTE_PGM_RSRC2:SCRATCH_EN: 0
; COMPUTE_PGM_RSRC2:USER_SGPR: 2
; COMPUTE_PGM_RSRC2:TRAP_HANDLER: 0
; COMPUTE_PGM_RSRC2:TGID_X_EN: 1
; COMPUTE_PGM_RSRC2:TGID_Y_EN: 0
; COMPUTE_PGM_RSRC2:TGID_Z_EN: 0
; COMPUTE_PGM_RSRC2:TIDIG_COMP_CNT: 0
	.section	.text._ZN7rocprim17ROCPRIM_400000_NS6detail17trampoline_kernelINS0_14default_configENS1_37merge_sort_block_sort_config_selectorIlNS0_10empty_typeEEEZNS1_21merge_sort_block_sortIS3_PlS8_PS5_S9_ZN2at6native12_GLOBAL__N_124unique_dim_cuda_templateIaEESt5tupleIJNSA_6TensorESF_SF_EERKSF_lbbbEUlllE_EE10hipError_tT0_T1_T2_T3_mRjT4_P12ihipStream_tbNS1_7vsmem_tEEUlT_E_NS1_11comp_targetILNS1_3genE8ELNS1_11target_archE1030ELNS1_3gpuE2ELNS1_3repE0EEENS1_30default_config_static_selectorELNS0_4arch9wavefront6targetE0EEEvSM_,"axG",@progbits,_ZN7rocprim17ROCPRIM_400000_NS6detail17trampoline_kernelINS0_14default_configENS1_37merge_sort_block_sort_config_selectorIlNS0_10empty_typeEEEZNS1_21merge_sort_block_sortIS3_PlS8_PS5_S9_ZN2at6native12_GLOBAL__N_124unique_dim_cuda_templateIaEESt5tupleIJNSA_6TensorESF_SF_EERKSF_lbbbEUlllE_EE10hipError_tT0_T1_T2_T3_mRjT4_P12ihipStream_tbNS1_7vsmem_tEEUlT_E_NS1_11comp_targetILNS1_3genE8ELNS1_11target_archE1030ELNS1_3gpuE2ELNS1_3repE0EEENS1_30default_config_static_selectorELNS0_4arch9wavefront6targetE0EEEvSM_,comdat
	.globl	_ZN7rocprim17ROCPRIM_400000_NS6detail17trampoline_kernelINS0_14default_configENS1_37merge_sort_block_sort_config_selectorIlNS0_10empty_typeEEEZNS1_21merge_sort_block_sortIS3_PlS8_PS5_S9_ZN2at6native12_GLOBAL__N_124unique_dim_cuda_templateIaEESt5tupleIJNSA_6TensorESF_SF_EERKSF_lbbbEUlllE_EE10hipError_tT0_T1_T2_T3_mRjT4_P12ihipStream_tbNS1_7vsmem_tEEUlT_E_NS1_11comp_targetILNS1_3genE8ELNS1_11target_archE1030ELNS1_3gpuE2ELNS1_3repE0EEENS1_30default_config_static_selectorELNS0_4arch9wavefront6targetE0EEEvSM_ ; -- Begin function _ZN7rocprim17ROCPRIM_400000_NS6detail17trampoline_kernelINS0_14default_configENS1_37merge_sort_block_sort_config_selectorIlNS0_10empty_typeEEEZNS1_21merge_sort_block_sortIS3_PlS8_PS5_S9_ZN2at6native12_GLOBAL__N_124unique_dim_cuda_templateIaEESt5tupleIJNSA_6TensorESF_SF_EERKSF_lbbbEUlllE_EE10hipError_tT0_T1_T2_T3_mRjT4_P12ihipStream_tbNS1_7vsmem_tEEUlT_E_NS1_11comp_targetILNS1_3genE8ELNS1_11target_archE1030ELNS1_3gpuE2ELNS1_3repE0EEENS1_30default_config_static_selectorELNS0_4arch9wavefront6targetE0EEEvSM_
	.p2align	8
	.type	_ZN7rocprim17ROCPRIM_400000_NS6detail17trampoline_kernelINS0_14default_configENS1_37merge_sort_block_sort_config_selectorIlNS0_10empty_typeEEEZNS1_21merge_sort_block_sortIS3_PlS8_PS5_S9_ZN2at6native12_GLOBAL__N_124unique_dim_cuda_templateIaEESt5tupleIJNSA_6TensorESF_SF_EERKSF_lbbbEUlllE_EE10hipError_tT0_T1_T2_T3_mRjT4_P12ihipStream_tbNS1_7vsmem_tEEUlT_E_NS1_11comp_targetILNS1_3genE8ELNS1_11target_archE1030ELNS1_3gpuE2ELNS1_3repE0EEENS1_30default_config_static_selectorELNS0_4arch9wavefront6targetE0EEEvSM_,@function
_ZN7rocprim17ROCPRIM_400000_NS6detail17trampoline_kernelINS0_14default_configENS1_37merge_sort_block_sort_config_selectorIlNS0_10empty_typeEEEZNS1_21merge_sort_block_sortIS3_PlS8_PS5_S9_ZN2at6native12_GLOBAL__N_124unique_dim_cuda_templateIaEESt5tupleIJNSA_6TensorESF_SF_EERKSF_lbbbEUlllE_EE10hipError_tT0_T1_T2_T3_mRjT4_P12ihipStream_tbNS1_7vsmem_tEEUlT_E_NS1_11comp_targetILNS1_3genE8ELNS1_11target_archE1030ELNS1_3gpuE2ELNS1_3repE0EEENS1_30default_config_static_selectorELNS0_4arch9wavefront6targetE0EEEvSM_: ; @_ZN7rocprim17ROCPRIM_400000_NS6detail17trampoline_kernelINS0_14default_configENS1_37merge_sort_block_sort_config_selectorIlNS0_10empty_typeEEEZNS1_21merge_sort_block_sortIS3_PlS8_PS5_S9_ZN2at6native12_GLOBAL__N_124unique_dim_cuda_templateIaEESt5tupleIJNSA_6TensorESF_SF_EERKSF_lbbbEUlllE_EE10hipError_tT0_T1_T2_T3_mRjT4_P12ihipStream_tbNS1_7vsmem_tEEUlT_E_NS1_11comp_targetILNS1_3genE8ELNS1_11target_archE1030ELNS1_3gpuE2ELNS1_3repE0EEENS1_30default_config_static_selectorELNS0_4arch9wavefront6targetE0EEEvSM_
; %bb.0:
	.section	.rodata,"a",@progbits
	.p2align	6, 0x0
	.amdhsa_kernel _ZN7rocprim17ROCPRIM_400000_NS6detail17trampoline_kernelINS0_14default_configENS1_37merge_sort_block_sort_config_selectorIlNS0_10empty_typeEEEZNS1_21merge_sort_block_sortIS3_PlS8_PS5_S9_ZN2at6native12_GLOBAL__N_124unique_dim_cuda_templateIaEESt5tupleIJNSA_6TensorESF_SF_EERKSF_lbbbEUlllE_EE10hipError_tT0_T1_T2_T3_mRjT4_P12ihipStream_tbNS1_7vsmem_tEEUlT_E_NS1_11comp_targetILNS1_3genE8ELNS1_11target_archE1030ELNS1_3gpuE2ELNS1_3repE0EEENS1_30default_config_static_selectorELNS0_4arch9wavefront6targetE0EEEvSM_
		.amdhsa_group_segment_fixed_size 0
		.amdhsa_private_segment_fixed_size 0
		.amdhsa_kernarg_size 72
		.amdhsa_user_sgpr_count 2
		.amdhsa_user_sgpr_dispatch_ptr 0
		.amdhsa_user_sgpr_queue_ptr 0
		.amdhsa_user_sgpr_kernarg_segment_ptr 1
		.amdhsa_user_sgpr_dispatch_id 0
		.amdhsa_user_sgpr_kernarg_preload_length 0
		.amdhsa_user_sgpr_kernarg_preload_offset 0
		.amdhsa_user_sgpr_private_segment_size 0
		.amdhsa_wavefront_size32 1
		.amdhsa_uses_dynamic_stack 0
		.amdhsa_enable_private_segment 0
		.amdhsa_system_sgpr_workgroup_id_x 1
		.amdhsa_system_sgpr_workgroup_id_y 0
		.amdhsa_system_sgpr_workgroup_id_z 0
		.amdhsa_system_sgpr_workgroup_info 0
		.amdhsa_system_vgpr_workitem_id 0
		.amdhsa_next_free_vgpr 1
		.amdhsa_next_free_sgpr 1
		.amdhsa_named_barrier_count 0
		.amdhsa_reserve_vcc 0
		.amdhsa_float_round_mode_32 0
		.amdhsa_float_round_mode_16_64 0
		.amdhsa_float_denorm_mode_32 3
		.amdhsa_float_denorm_mode_16_64 3
		.amdhsa_fp16_overflow 0
		.amdhsa_memory_ordered 1
		.amdhsa_forward_progress 1
		.amdhsa_inst_pref_size 0
		.amdhsa_round_robin_scheduling 0
		.amdhsa_exception_fp_ieee_invalid_op 0
		.amdhsa_exception_fp_denorm_src 0
		.amdhsa_exception_fp_ieee_div_zero 0
		.amdhsa_exception_fp_ieee_overflow 0
		.amdhsa_exception_fp_ieee_underflow 0
		.amdhsa_exception_fp_ieee_inexact 0
		.amdhsa_exception_int_div_zero 0
	.end_amdhsa_kernel
	.section	.text._ZN7rocprim17ROCPRIM_400000_NS6detail17trampoline_kernelINS0_14default_configENS1_37merge_sort_block_sort_config_selectorIlNS0_10empty_typeEEEZNS1_21merge_sort_block_sortIS3_PlS8_PS5_S9_ZN2at6native12_GLOBAL__N_124unique_dim_cuda_templateIaEESt5tupleIJNSA_6TensorESF_SF_EERKSF_lbbbEUlllE_EE10hipError_tT0_T1_T2_T3_mRjT4_P12ihipStream_tbNS1_7vsmem_tEEUlT_E_NS1_11comp_targetILNS1_3genE8ELNS1_11target_archE1030ELNS1_3gpuE2ELNS1_3repE0EEENS1_30default_config_static_selectorELNS0_4arch9wavefront6targetE0EEEvSM_,"axG",@progbits,_ZN7rocprim17ROCPRIM_400000_NS6detail17trampoline_kernelINS0_14default_configENS1_37merge_sort_block_sort_config_selectorIlNS0_10empty_typeEEEZNS1_21merge_sort_block_sortIS3_PlS8_PS5_S9_ZN2at6native12_GLOBAL__N_124unique_dim_cuda_templateIaEESt5tupleIJNSA_6TensorESF_SF_EERKSF_lbbbEUlllE_EE10hipError_tT0_T1_T2_T3_mRjT4_P12ihipStream_tbNS1_7vsmem_tEEUlT_E_NS1_11comp_targetILNS1_3genE8ELNS1_11target_archE1030ELNS1_3gpuE2ELNS1_3repE0EEENS1_30default_config_static_selectorELNS0_4arch9wavefront6targetE0EEEvSM_,comdat
.Lfunc_end269:
	.size	_ZN7rocprim17ROCPRIM_400000_NS6detail17trampoline_kernelINS0_14default_configENS1_37merge_sort_block_sort_config_selectorIlNS0_10empty_typeEEEZNS1_21merge_sort_block_sortIS3_PlS8_PS5_S9_ZN2at6native12_GLOBAL__N_124unique_dim_cuda_templateIaEESt5tupleIJNSA_6TensorESF_SF_EERKSF_lbbbEUlllE_EE10hipError_tT0_T1_T2_T3_mRjT4_P12ihipStream_tbNS1_7vsmem_tEEUlT_E_NS1_11comp_targetILNS1_3genE8ELNS1_11target_archE1030ELNS1_3gpuE2ELNS1_3repE0EEENS1_30default_config_static_selectorELNS0_4arch9wavefront6targetE0EEEvSM_, .Lfunc_end269-_ZN7rocprim17ROCPRIM_400000_NS6detail17trampoline_kernelINS0_14default_configENS1_37merge_sort_block_sort_config_selectorIlNS0_10empty_typeEEEZNS1_21merge_sort_block_sortIS3_PlS8_PS5_S9_ZN2at6native12_GLOBAL__N_124unique_dim_cuda_templateIaEESt5tupleIJNSA_6TensorESF_SF_EERKSF_lbbbEUlllE_EE10hipError_tT0_T1_T2_T3_mRjT4_P12ihipStream_tbNS1_7vsmem_tEEUlT_E_NS1_11comp_targetILNS1_3genE8ELNS1_11target_archE1030ELNS1_3gpuE2ELNS1_3repE0EEENS1_30default_config_static_selectorELNS0_4arch9wavefront6targetE0EEEvSM_
                                        ; -- End function
	.set _ZN7rocprim17ROCPRIM_400000_NS6detail17trampoline_kernelINS0_14default_configENS1_37merge_sort_block_sort_config_selectorIlNS0_10empty_typeEEEZNS1_21merge_sort_block_sortIS3_PlS8_PS5_S9_ZN2at6native12_GLOBAL__N_124unique_dim_cuda_templateIaEESt5tupleIJNSA_6TensorESF_SF_EERKSF_lbbbEUlllE_EE10hipError_tT0_T1_T2_T3_mRjT4_P12ihipStream_tbNS1_7vsmem_tEEUlT_E_NS1_11comp_targetILNS1_3genE8ELNS1_11target_archE1030ELNS1_3gpuE2ELNS1_3repE0EEENS1_30default_config_static_selectorELNS0_4arch9wavefront6targetE0EEEvSM_.num_vgpr, 0
	.set _ZN7rocprim17ROCPRIM_400000_NS6detail17trampoline_kernelINS0_14default_configENS1_37merge_sort_block_sort_config_selectorIlNS0_10empty_typeEEEZNS1_21merge_sort_block_sortIS3_PlS8_PS5_S9_ZN2at6native12_GLOBAL__N_124unique_dim_cuda_templateIaEESt5tupleIJNSA_6TensorESF_SF_EERKSF_lbbbEUlllE_EE10hipError_tT0_T1_T2_T3_mRjT4_P12ihipStream_tbNS1_7vsmem_tEEUlT_E_NS1_11comp_targetILNS1_3genE8ELNS1_11target_archE1030ELNS1_3gpuE2ELNS1_3repE0EEENS1_30default_config_static_selectorELNS0_4arch9wavefront6targetE0EEEvSM_.num_agpr, 0
	.set _ZN7rocprim17ROCPRIM_400000_NS6detail17trampoline_kernelINS0_14default_configENS1_37merge_sort_block_sort_config_selectorIlNS0_10empty_typeEEEZNS1_21merge_sort_block_sortIS3_PlS8_PS5_S9_ZN2at6native12_GLOBAL__N_124unique_dim_cuda_templateIaEESt5tupleIJNSA_6TensorESF_SF_EERKSF_lbbbEUlllE_EE10hipError_tT0_T1_T2_T3_mRjT4_P12ihipStream_tbNS1_7vsmem_tEEUlT_E_NS1_11comp_targetILNS1_3genE8ELNS1_11target_archE1030ELNS1_3gpuE2ELNS1_3repE0EEENS1_30default_config_static_selectorELNS0_4arch9wavefront6targetE0EEEvSM_.numbered_sgpr, 0
	.set _ZN7rocprim17ROCPRIM_400000_NS6detail17trampoline_kernelINS0_14default_configENS1_37merge_sort_block_sort_config_selectorIlNS0_10empty_typeEEEZNS1_21merge_sort_block_sortIS3_PlS8_PS5_S9_ZN2at6native12_GLOBAL__N_124unique_dim_cuda_templateIaEESt5tupleIJNSA_6TensorESF_SF_EERKSF_lbbbEUlllE_EE10hipError_tT0_T1_T2_T3_mRjT4_P12ihipStream_tbNS1_7vsmem_tEEUlT_E_NS1_11comp_targetILNS1_3genE8ELNS1_11target_archE1030ELNS1_3gpuE2ELNS1_3repE0EEENS1_30default_config_static_selectorELNS0_4arch9wavefront6targetE0EEEvSM_.num_named_barrier, 0
	.set _ZN7rocprim17ROCPRIM_400000_NS6detail17trampoline_kernelINS0_14default_configENS1_37merge_sort_block_sort_config_selectorIlNS0_10empty_typeEEEZNS1_21merge_sort_block_sortIS3_PlS8_PS5_S9_ZN2at6native12_GLOBAL__N_124unique_dim_cuda_templateIaEESt5tupleIJNSA_6TensorESF_SF_EERKSF_lbbbEUlllE_EE10hipError_tT0_T1_T2_T3_mRjT4_P12ihipStream_tbNS1_7vsmem_tEEUlT_E_NS1_11comp_targetILNS1_3genE8ELNS1_11target_archE1030ELNS1_3gpuE2ELNS1_3repE0EEENS1_30default_config_static_selectorELNS0_4arch9wavefront6targetE0EEEvSM_.private_seg_size, 0
	.set _ZN7rocprim17ROCPRIM_400000_NS6detail17trampoline_kernelINS0_14default_configENS1_37merge_sort_block_sort_config_selectorIlNS0_10empty_typeEEEZNS1_21merge_sort_block_sortIS3_PlS8_PS5_S9_ZN2at6native12_GLOBAL__N_124unique_dim_cuda_templateIaEESt5tupleIJNSA_6TensorESF_SF_EERKSF_lbbbEUlllE_EE10hipError_tT0_T1_T2_T3_mRjT4_P12ihipStream_tbNS1_7vsmem_tEEUlT_E_NS1_11comp_targetILNS1_3genE8ELNS1_11target_archE1030ELNS1_3gpuE2ELNS1_3repE0EEENS1_30default_config_static_selectorELNS0_4arch9wavefront6targetE0EEEvSM_.uses_vcc, 0
	.set _ZN7rocprim17ROCPRIM_400000_NS6detail17trampoline_kernelINS0_14default_configENS1_37merge_sort_block_sort_config_selectorIlNS0_10empty_typeEEEZNS1_21merge_sort_block_sortIS3_PlS8_PS5_S9_ZN2at6native12_GLOBAL__N_124unique_dim_cuda_templateIaEESt5tupleIJNSA_6TensorESF_SF_EERKSF_lbbbEUlllE_EE10hipError_tT0_T1_T2_T3_mRjT4_P12ihipStream_tbNS1_7vsmem_tEEUlT_E_NS1_11comp_targetILNS1_3genE8ELNS1_11target_archE1030ELNS1_3gpuE2ELNS1_3repE0EEENS1_30default_config_static_selectorELNS0_4arch9wavefront6targetE0EEEvSM_.uses_flat_scratch, 0
	.set _ZN7rocprim17ROCPRIM_400000_NS6detail17trampoline_kernelINS0_14default_configENS1_37merge_sort_block_sort_config_selectorIlNS0_10empty_typeEEEZNS1_21merge_sort_block_sortIS3_PlS8_PS5_S9_ZN2at6native12_GLOBAL__N_124unique_dim_cuda_templateIaEESt5tupleIJNSA_6TensorESF_SF_EERKSF_lbbbEUlllE_EE10hipError_tT0_T1_T2_T3_mRjT4_P12ihipStream_tbNS1_7vsmem_tEEUlT_E_NS1_11comp_targetILNS1_3genE8ELNS1_11target_archE1030ELNS1_3gpuE2ELNS1_3repE0EEENS1_30default_config_static_selectorELNS0_4arch9wavefront6targetE0EEEvSM_.has_dyn_sized_stack, 0
	.set _ZN7rocprim17ROCPRIM_400000_NS6detail17trampoline_kernelINS0_14default_configENS1_37merge_sort_block_sort_config_selectorIlNS0_10empty_typeEEEZNS1_21merge_sort_block_sortIS3_PlS8_PS5_S9_ZN2at6native12_GLOBAL__N_124unique_dim_cuda_templateIaEESt5tupleIJNSA_6TensorESF_SF_EERKSF_lbbbEUlllE_EE10hipError_tT0_T1_T2_T3_mRjT4_P12ihipStream_tbNS1_7vsmem_tEEUlT_E_NS1_11comp_targetILNS1_3genE8ELNS1_11target_archE1030ELNS1_3gpuE2ELNS1_3repE0EEENS1_30default_config_static_selectorELNS0_4arch9wavefront6targetE0EEEvSM_.has_recursion, 0
	.set _ZN7rocprim17ROCPRIM_400000_NS6detail17trampoline_kernelINS0_14default_configENS1_37merge_sort_block_sort_config_selectorIlNS0_10empty_typeEEEZNS1_21merge_sort_block_sortIS3_PlS8_PS5_S9_ZN2at6native12_GLOBAL__N_124unique_dim_cuda_templateIaEESt5tupleIJNSA_6TensorESF_SF_EERKSF_lbbbEUlllE_EE10hipError_tT0_T1_T2_T3_mRjT4_P12ihipStream_tbNS1_7vsmem_tEEUlT_E_NS1_11comp_targetILNS1_3genE8ELNS1_11target_archE1030ELNS1_3gpuE2ELNS1_3repE0EEENS1_30default_config_static_selectorELNS0_4arch9wavefront6targetE0EEEvSM_.has_indirect_call, 0
	.section	.AMDGPU.csdata,"",@progbits
; Kernel info:
; codeLenInByte = 0
; TotalNumSgprs: 0
; NumVgprs: 0
; ScratchSize: 0
; MemoryBound: 0
; FloatMode: 240
; IeeeMode: 1
; LDSByteSize: 0 bytes/workgroup (compile time only)
; SGPRBlocks: 0
; VGPRBlocks: 0
; NumSGPRsForWavesPerEU: 1
; NumVGPRsForWavesPerEU: 1
; NamedBarCnt: 0
; Occupancy: 16
; WaveLimiterHint : 0
; COMPUTE_PGM_RSRC2:SCRATCH_EN: 0
; COMPUTE_PGM_RSRC2:USER_SGPR: 2
; COMPUTE_PGM_RSRC2:TRAP_HANDLER: 0
; COMPUTE_PGM_RSRC2:TGID_X_EN: 1
; COMPUTE_PGM_RSRC2:TGID_Y_EN: 0
; COMPUTE_PGM_RSRC2:TGID_Z_EN: 0
; COMPUTE_PGM_RSRC2:TIDIG_COMP_CNT: 0
	.section	.text._ZN7rocprim17ROCPRIM_400000_NS6detail17trampoline_kernelINS0_14default_configENS1_38merge_sort_block_merge_config_selectorIlNS0_10empty_typeEEEZZNS1_27merge_sort_block_merge_implIS3_PlPS5_mZN2at6native12_GLOBAL__N_124unique_dim_cuda_templateIaEESt5tupleIJNSA_6TensorESF_SF_EERKSF_lbbbEUlllE_EE10hipError_tT0_T1_T2_jT3_P12ihipStream_tbPNSt15iterator_traitsISL_E10value_typeEPNSR_ISM_E10value_typeEPSN_NS1_7vsmem_tEENKUlT_SL_SM_SN_E_clIS8_S8_S9_S9_EESK_S10_SL_SM_SN_EUlS10_E_NS1_11comp_targetILNS1_3genE0ELNS1_11target_archE4294967295ELNS1_3gpuE0ELNS1_3repE0EEENS1_48merge_mergepath_partition_config_static_selectorELNS0_4arch9wavefront6targetE0EEEvSM_,"axG",@progbits,_ZN7rocprim17ROCPRIM_400000_NS6detail17trampoline_kernelINS0_14default_configENS1_38merge_sort_block_merge_config_selectorIlNS0_10empty_typeEEEZZNS1_27merge_sort_block_merge_implIS3_PlPS5_mZN2at6native12_GLOBAL__N_124unique_dim_cuda_templateIaEESt5tupleIJNSA_6TensorESF_SF_EERKSF_lbbbEUlllE_EE10hipError_tT0_T1_T2_jT3_P12ihipStream_tbPNSt15iterator_traitsISL_E10value_typeEPNSR_ISM_E10value_typeEPSN_NS1_7vsmem_tEENKUlT_SL_SM_SN_E_clIS8_S8_S9_S9_EESK_S10_SL_SM_SN_EUlS10_E_NS1_11comp_targetILNS1_3genE0ELNS1_11target_archE4294967295ELNS1_3gpuE0ELNS1_3repE0EEENS1_48merge_mergepath_partition_config_static_selectorELNS0_4arch9wavefront6targetE0EEEvSM_,comdat
	.globl	_ZN7rocprim17ROCPRIM_400000_NS6detail17trampoline_kernelINS0_14default_configENS1_38merge_sort_block_merge_config_selectorIlNS0_10empty_typeEEEZZNS1_27merge_sort_block_merge_implIS3_PlPS5_mZN2at6native12_GLOBAL__N_124unique_dim_cuda_templateIaEESt5tupleIJNSA_6TensorESF_SF_EERKSF_lbbbEUlllE_EE10hipError_tT0_T1_T2_jT3_P12ihipStream_tbPNSt15iterator_traitsISL_E10value_typeEPNSR_ISM_E10value_typeEPSN_NS1_7vsmem_tEENKUlT_SL_SM_SN_E_clIS8_S8_S9_S9_EESK_S10_SL_SM_SN_EUlS10_E_NS1_11comp_targetILNS1_3genE0ELNS1_11target_archE4294967295ELNS1_3gpuE0ELNS1_3repE0EEENS1_48merge_mergepath_partition_config_static_selectorELNS0_4arch9wavefront6targetE0EEEvSM_ ; -- Begin function _ZN7rocprim17ROCPRIM_400000_NS6detail17trampoline_kernelINS0_14default_configENS1_38merge_sort_block_merge_config_selectorIlNS0_10empty_typeEEEZZNS1_27merge_sort_block_merge_implIS3_PlPS5_mZN2at6native12_GLOBAL__N_124unique_dim_cuda_templateIaEESt5tupleIJNSA_6TensorESF_SF_EERKSF_lbbbEUlllE_EE10hipError_tT0_T1_T2_jT3_P12ihipStream_tbPNSt15iterator_traitsISL_E10value_typeEPNSR_ISM_E10value_typeEPSN_NS1_7vsmem_tEENKUlT_SL_SM_SN_E_clIS8_S8_S9_S9_EESK_S10_SL_SM_SN_EUlS10_E_NS1_11comp_targetILNS1_3genE0ELNS1_11target_archE4294967295ELNS1_3gpuE0ELNS1_3repE0EEENS1_48merge_mergepath_partition_config_static_selectorELNS0_4arch9wavefront6targetE0EEEvSM_
	.p2align	8
	.type	_ZN7rocprim17ROCPRIM_400000_NS6detail17trampoline_kernelINS0_14default_configENS1_38merge_sort_block_merge_config_selectorIlNS0_10empty_typeEEEZZNS1_27merge_sort_block_merge_implIS3_PlPS5_mZN2at6native12_GLOBAL__N_124unique_dim_cuda_templateIaEESt5tupleIJNSA_6TensorESF_SF_EERKSF_lbbbEUlllE_EE10hipError_tT0_T1_T2_jT3_P12ihipStream_tbPNSt15iterator_traitsISL_E10value_typeEPNSR_ISM_E10value_typeEPSN_NS1_7vsmem_tEENKUlT_SL_SM_SN_E_clIS8_S8_S9_S9_EESK_S10_SL_SM_SN_EUlS10_E_NS1_11comp_targetILNS1_3genE0ELNS1_11target_archE4294967295ELNS1_3gpuE0ELNS1_3repE0EEENS1_48merge_mergepath_partition_config_static_selectorELNS0_4arch9wavefront6targetE0EEEvSM_,@function
_ZN7rocprim17ROCPRIM_400000_NS6detail17trampoline_kernelINS0_14default_configENS1_38merge_sort_block_merge_config_selectorIlNS0_10empty_typeEEEZZNS1_27merge_sort_block_merge_implIS3_PlPS5_mZN2at6native12_GLOBAL__N_124unique_dim_cuda_templateIaEESt5tupleIJNSA_6TensorESF_SF_EERKSF_lbbbEUlllE_EE10hipError_tT0_T1_T2_jT3_P12ihipStream_tbPNSt15iterator_traitsISL_E10value_typeEPNSR_ISM_E10value_typeEPSN_NS1_7vsmem_tEENKUlT_SL_SM_SN_E_clIS8_S8_S9_S9_EESK_S10_SL_SM_SN_EUlS10_E_NS1_11comp_targetILNS1_3genE0ELNS1_11target_archE4294967295ELNS1_3gpuE0ELNS1_3repE0EEENS1_48merge_mergepath_partition_config_static_selectorELNS0_4arch9wavefront6targetE0EEEvSM_: ; @_ZN7rocprim17ROCPRIM_400000_NS6detail17trampoline_kernelINS0_14default_configENS1_38merge_sort_block_merge_config_selectorIlNS0_10empty_typeEEEZZNS1_27merge_sort_block_merge_implIS3_PlPS5_mZN2at6native12_GLOBAL__N_124unique_dim_cuda_templateIaEESt5tupleIJNSA_6TensorESF_SF_EERKSF_lbbbEUlllE_EE10hipError_tT0_T1_T2_jT3_P12ihipStream_tbPNSt15iterator_traitsISL_E10value_typeEPNSR_ISM_E10value_typeEPSN_NS1_7vsmem_tEENKUlT_SL_SM_SN_E_clIS8_S8_S9_S9_EESK_S10_SL_SM_SN_EUlS10_E_NS1_11comp_targetILNS1_3genE0ELNS1_11target_archE4294967295ELNS1_3gpuE0ELNS1_3repE0EEENS1_48merge_mergepath_partition_config_static_selectorELNS0_4arch9wavefront6targetE0EEEvSM_
; %bb.0:
	s_load_b32 s2, s[0:1], 0x0
	s_bfe_u32 s3, ttmp6, 0x4000c
	s_and_b32 s4, ttmp6, 15
	s_add_co_i32 s3, s3, 1
	s_getreg_b32 s5, hwreg(HW_REG_IB_STS2, 6, 4)
	s_mul_i32 s3, ttmp9, s3
	s_delay_alu instid0(SALU_CYCLE_1) | instskip(SKIP_2) | instid1(SALU_CYCLE_1)
	s_add_co_i32 s4, s4, s3
	s_cmp_eq_u32 s5, 0
	s_cselect_b32 s3, ttmp9, s4
	v_lshl_or_b32 v16, s3, 7, v0
	s_wait_kmcnt 0x0
	s_delay_alu instid0(VALU_DEP_1)
	v_cmp_gt_u32_e32 vcc_lo, s2, v16
	s_and_saveexec_b32 s2, vcc_lo
	s_cbranch_execz .LBB270_12
; %bb.1:
	s_load_b128 s[4:7], s[0:1], 0x8
	s_wait_kmcnt 0x0
	s_lshr_b64 s[2:3], s[4:5], 9
	s_delay_alu instid0(SALU_CYCLE_1) | instskip(NEXT) | instid1(SALU_CYCLE_1)
	s_and_b32 s2, s2, -2
	s_sub_co_i32 s3, 0, s2
	s_delay_alu instid0(SALU_CYCLE_1) | instskip(SKIP_1) | instid1(VALU_DEP_1)
	v_dual_mov_b32 v3, 0 :: v_dual_bitop2_b32 v2, s3, v16 bitop3:0x40
	s_add_co_i32 s2, s2, -1
	v_lshlrev_b64_e32 v[0:1], 10, v[2:3]
	v_and_b32_e32 v2, s2, v16
	s_delay_alu instid0(VALU_DEP_1) | instskip(NEXT) | instid1(VALU_DEP_3)
	v_lshlrev_b64_e32 v[2:3], 10, v[2:3]
	v_add_nc_u64_e32 v[4:5], s[4:5], v[0:1]
	v_min_u64 v[0:1], s[6:7], v[0:1]
	s_delay_alu instid0(VALU_DEP_2) | instskip(NEXT) | instid1(VALU_DEP_1)
	v_min_u64 v[6:7], s[6:7], v[4:5]
	v_add_nc_u64_e32 v[4:5], s[4:5], v[6:7]
	s_delay_alu instid0(VALU_DEP_1) | instskip(SKIP_3) | instid1(VALU_DEP_1)
	v_min_u64 v[4:5], s[6:7], v[4:5]
	s_load_b256 s[4:11], s[0:1], 0x18
	s_wait_xcnt 0x0
	s_mov_b32 s1, exec_lo
	v_sub_nc_u64_e32 v[8:9], v[4:5], v[0:1]
	s_delay_alu instid0(VALU_DEP_1) | instskip(SKIP_2) | instid1(VALU_DEP_2)
	v_min_u64 v[8:9], v[8:9], v[2:3]
	v_sub_nc_u64_e32 v[2:3], v[4:5], v[6:7]
	v_sub_nc_u64_e32 v[4:5], v[6:7], v[0:1]
	v_max_u64 v[10:11], v[8:9], v[2:3]
	s_delay_alu instid0(VALU_DEP_2) | instskip(NEXT) | instid1(VALU_DEP_2)
	v_min_u64 v[4:5], v[8:9], v[4:5]
	v_sub_nc_u64_e32 v[2:3], v[10:11], v[2:3]
	s_delay_alu instid0(VALU_DEP_1)
	v_cmpx_lt_u64_e64 v[2:3], v[4:5]
	s_cbranch_execz .LBB270_11
; %bb.2:
	s_wait_kmcnt 0x0
	v_lshl_add_u64 v[10:11], v[6:7], 3, s[4:5]
	v_lshl_add_u64 v[6:7], v[0:1], 3, s[4:5]
	v_cmp_gt_i64_e64 s4, s[6:7], 0
	s_mov_b32 s5, 0
	v_lshl_add_u64 v[8:9], v[8:9], 3, v[10:11]
	s_branch .LBB270_5
.LBB270_3:                              ;   in Loop: Header=BB270_5 Depth=1
	s_or_b32 exec_lo, exec_lo, s13
.LBB270_4:                              ;   in Loop: Header=BB270_5 Depth=1
	s_delay_alu instid0(VALU_DEP_1) | instskip(SKIP_1) | instid1(VALU_DEP_2)
	v_add_nc_u64_e32 v[12:13], 1, v[10:11]
	v_dual_cndmask_b32 v5, v5, v11, s12 :: v_dual_cndmask_b32 v4, v4, v10, s12
	v_dual_cndmask_b32 v3, v13, v3, s12 :: v_dual_cndmask_b32 v2, v12, v2, s12
	s_delay_alu instid0(VALU_DEP_1) | instskip(SKIP_1) | instid1(SALU_CYCLE_1)
	v_cmp_ge_u64_e32 vcc_lo, v[2:3], v[4:5]
	s_or_b32 s5, vcc_lo, s5
	s_and_not1_b32 exec_lo, exec_lo, s5
	s_cbranch_execz .LBB270_10
.LBB270_5:                              ; =>This Loop Header: Depth=1
                                        ;     Child Loop BB270_8 Depth 2
	v_add_nc_u64_e32 v[10:11], v[4:5], v[2:3]
	s_and_not1_b32 vcc_lo, exec_lo, s4
	s_mov_b32 s12, 0
	s_delay_alu instid0(VALU_DEP_1)
	v_lshrrev_b64 v[10:11], 1, v[10:11]
	s_cbranch_vccnz .LBB270_4
; %bb.6:                                ;   in Loop: Header=BB270_5 Depth=1
	s_delay_alu instid0(VALU_DEP_1) | instskip(NEXT) | instid1(VALU_DEP_2)
	v_not_b32_e32 v13, v11
	v_not_b32_e32 v12, v10
	v_lshl_add_u64 v[14:15], v[10:11], 3, v[6:7]
	s_mov_b32 s13, 0
	s_mov_b64 s[2:3], s[6:7]
                                        ; implicit-def: $sgpr12
                                        ; implicit-def: $sgpr14
                                        ; implicit-def: $sgpr15
                                        ; implicit-def: $sgpr16
	s_delay_alu instid0(VALU_DEP_2)
	v_lshl_add_u64 v[12:13], v[12:13], 3, v[8:9]
	s_clause 0x1
	global_load_b64 v[18:19], v[12:13], off
	global_load_b64 v[20:21], v[14:15], off
	s_wait_loadcnt 0x1
	s_wait_xcnt 0x1
	v_mad_nc_u64_u32 v[12:13], v18, s6, s[8:9]
	s_wait_loadcnt 0x0
	v_mad_nc_u64_u32 v[14:15], v20, s6, s[8:9]
	s_delay_alu instid0(VALU_DEP_2) | instskip(NEXT) | instid1(VALU_DEP_2)
	v_mad_u32 v13, v19, s6, v13
	v_mad_u32 v15, v21, s6, v15
	s_delay_alu instid0(VALU_DEP_2) | instskip(NEXT) | instid1(VALU_DEP_2)
	v_mad_u32 v13, v18, s7, v13
	v_mad_u32 v15, v20, s7, v15
	s_branch .LBB270_8
.LBB270_7:                              ;   in Loop: Header=BB270_8 Depth=2
	s_or_b32 exec_lo, exec_lo, s17
	s_delay_alu instid0(SALU_CYCLE_1) | instskip(NEXT) | instid1(SALU_CYCLE_1)
	s_and_b32 s17, exec_lo, s14
	s_or_b32 s13, s17, s13
	s_and_not1_b32 s16, s16, exec_lo
	s_and_b32 s0, s0, exec_lo
	s_and_not1_b32 s12, s12, exec_lo
	s_and_b32 s17, s15, exec_lo
	s_or_b32 s16, s16, s0
	s_or_b32 s12, s12, s17
	s_and_not1_b32 exec_lo, exec_lo, s13
	s_cbranch_execz .LBB270_3
.LBB270_8:                              ;   Parent Loop BB270_5 Depth=1
                                        ; =>  This Inner Loop Header: Depth=2
	global_load_u8 v17, v[12:13], off
	global_load_u8 v18, v[14:15], off
	s_and_not1_b32 s15, s15, exec_lo
	s_or_b32 s14, s14, exec_lo
	s_wait_loadcnt 0x1
	v_bfe_i32 v19, v17, 0, 8
	s_wait_loadcnt 0x0
	v_bfe_i32 v20, v18, 0, 8
	v_and_b32_e32 v17, 0xff, v17
	v_and_b32_e32 v18, 0xff, v18
	s_delay_alu instid0(VALU_DEP_3) | instskip(SKIP_2) | instid1(SALU_CYCLE_1)
	v_cmp_le_i16_e32 vcc_lo, v19, v20
	v_cmp_lt_i16_e64 s0, v19, v20
	s_and_b32 s17, vcc_lo, s16
	s_or_b32 s0, s0, s17
	s_delay_alu instid0(SALU_CYCLE_1) | instskip(NEXT) | instid1(SALU_CYCLE_1)
	s_and_b32 s17, s0, exec_lo
	s_or_b32 s15, s15, s17
	s_mov_b32 s17, exec_lo
	v_cmpx_eq_u16_e64 v17, v18
	s_cbranch_execz .LBB270_7
; %bb.9:                                ;   in Loop: Header=BB270_8 Depth=2
	s_add_nc_u64 s[2:3], s[2:3], -1
	v_add_nc_u64_e32 v[12:13], 1, v[12:13]
	s_cmp_eq_u64 s[2:3], 0
	v_add_nc_u64_e32 v[14:15], 1, v[14:15]
	s_cselect_b32 s16, -1, 0
	s_and_not1_b32 s14, s14, exec_lo
	s_and_b32 s16, s16, exec_lo
	s_and_not1_b32 s15, s15, exec_lo
	s_or_b32 s14, s14, s16
                                        ; implicit-def: $sgpr16
	s_branch .LBB270_7
.LBB270_10:
	s_or_b32 exec_lo, exec_lo, s5
.LBB270_11:
	s_delay_alu instid0(SALU_CYCLE_1)
	s_or_b32 exec_lo, exec_lo, s1
	v_add_nc_u64_e32 v[0:1], v[2:3], v[0:1]
	s_wait_kmcnt 0x0
	global_store_b64 v16, v[0:1], s[10:11] scale_offset
.LBB270_12:
	s_endpgm
	.section	.rodata,"a",@progbits
	.p2align	6, 0x0
	.amdhsa_kernel _ZN7rocprim17ROCPRIM_400000_NS6detail17trampoline_kernelINS0_14default_configENS1_38merge_sort_block_merge_config_selectorIlNS0_10empty_typeEEEZZNS1_27merge_sort_block_merge_implIS3_PlPS5_mZN2at6native12_GLOBAL__N_124unique_dim_cuda_templateIaEESt5tupleIJNSA_6TensorESF_SF_EERKSF_lbbbEUlllE_EE10hipError_tT0_T1_T2_jT3_P12ihipStream_tbPNSt15iterator_traitsISL_E10value_typeEPNSR_ISM_E10value_typeEPSN_NS1_7vsmem_tEENKUlT_SL_SM_SN_E_clIS8_S8_S9_S9_EESK_S10_SL_SM_SN_EUlS10_E_NS1_11comp_targetILNS1_3genE0ELNS1_11target_archE4294967295ELNS1_3gpuE0ELNS1_3repE0EEENS1_48merge_mergepath_partition_config_static_selectorELNS0_4arch9wavefront6targetE0EEEvSM_
		.amdhsa_group_segment_fixed_size 0
		.amdhsa_private_segment_fixed_size 0
		.amdhsa_kernarg_size 56
		.amdhsa_user_sgpr_count 2
		.amdhsa_user_sgpr_dispatch_ptr 0
		.amdhsa_user_sgpr_queue_ptr 0
		.amdhsa_user_sgpr_kernarg_segment_ptr 1
		.amdhsa_user_sgpr_dispatch_id 0
		.amdhsa_user_sgpr_kernarg_preload_length 0
		.amdhsa_user_sgpr_kernarg_preload_offset 0
		.amdhsa_user_sgpr_private_segment_size 0
		.amdhsa_wavefront_size32 1
		.amdhsa_uses_dynamic_stack 0
		.amdhsa_enable_private_segment 0
		.amdhsa_system_sgpr_workgroup_id_x 1
		.amdhsa_system_sgpr_workgroup_id_y 0
		.amdhsa_system_sgpr_workgroup_id_z 0
		.amdhsa_system_sgpr_workgroup_info 0
		.amdhsa_system_vgpr_workitem_id 0
		.amdhsa_next_free_vgpr 22
		.amdhsa_next_free_sgpr 18
		.amdhsa_named_barrier_count 0
		.amdhsa_reserve_vcc 1
		.amdhsa_float_round_mode_32 0
		.amdhsa_float_round_mode_16_64 0
		.amdhsa_float_denorm_mode_32 3
		.amdhsa_float_denorm_mode_16_64 3
		.amdhsa_fp16_overflow 0
		.amdhsa_memory_ordered 1
		.amdhsa_forward_progress 1
		.amdhsa_inst_pref_size 7
		.amdhsa_round_robin_scheduling 0
		.amdhsa_exception_fp_ieee_invalid_op 0
		.amdhsa_exception_fp_denorm_src 0
		.amdhsa_exception_fp_ieee_div_zero 0
		.amdhsa_exception_fp_ieee_overflow 0
		.amdhsa_exception_fp_ieee_underflow 0
		.amdhsa_exception_fp_ieee_inexact 0
		.amdhsa_exception_int_div_zero 0
	.end_amdhsa_kernel
	.section	.text._ZN7rocprim17ROCPRIM_400000_NS6detail17trampoline_kernelINS0_14default_configENS1_38merge_sort_block_merge_config_selectorIlNS0_10empty_typeEEEZZNS1_27merge_sort_block_merge_implIS3_PlPS5_mZN2at6native12_GLOBAL__N_124unique_dim_cuda_templateIaEESt5tupleIJNSA_6TensorESF_SF_EERKSF_lbbbEUlllE_EE10hipError_tT0_T1_T2_jT3_P12ihipStream_tbPNSt15iterator_traitsISL_E10value_typeEPNSR_ISM_E10value_typeEPSN_NS1_7vsmem_tEENKUlT_SL_SM_SN_E_clIS8_S8_S9_S9_EESK_S10_SL_SM_SN_EUlS10_E_NS1_11comp_targetILNS1_3genE0ELNS1_11target_archE4294967295ELNS1_3gpuE0ELNS1_3repE0EEENS1_48merge_mergepath_partition_config_static_selectorELNS0_4arch9wavefront6targetE0EEEvSM_,"axG",@progbits,_ZN7rocprim17ROCPRIM_400000_NS6detail17trampoline_kernelINS0_14default_configENS1_38merge_sort_block_merge_config_selectorIlNS0_10empty_typeEEEZZNS1_27merge_sort_block_merge_implIS3_PlPS5_mZN2at6native12_GLOBAL__N_124unique_dim_cuda_templateIaEESt5tupleIJNSA_6TensorESF_SF_EERKSF_lbbbEUlllE_EE10hipError_tT0_T1_T2_jT3_P12ihipStream_tbPNSt15iterator_traitsISL_E10value_typeEPNSR_ISM_E10value_typeEPSN_NS1_7vsmem_tEENKUlT_SL_SM_SN_E_clIS8_S8_S9_S9_EESK_S10_SL_SM_SN_EUlS10_E_NS1_11comp_targetILNS1_3genE0ELNS1_11target_archE4294967295ELNS1_3gpuE0ELNS1_3repE0EEENS1_48merge_mergepath_partition_config_static_selectorELNS0_4arch9wavefront6targetE0EEEvSM_,comdat
.Lfunc_end270:
	.size	_ZN7rocprim17ROCPRIM_400000_NS6detail17trampoline_kernelINS0_14default_configENS1_38merge_sort_block_merge_config_selectorIlNS0_10empty_typeEEEZZNS1_27merge_sort_block_merge_implIS3_PlPS5_mZN2at6native12_GLOBAL__N_124unique_dim_cuda_templateIaEESt5tupleIJNSA_6TensorESF_SF_EERKSF_lbbbEUlllE_EE10hipError_tT0_T1_T2_jT3_P12ihipStream_tbPNSt15iterator_traitsISL_E10value_typeEPNSR_ISM_E10value_typeEPSN_NS1_7vsmem_tEENKUlT_SL_SM_SN_E_clIS8_S8_S9_S9_EESK_S10_SL_SM_SN_EUlS10_E_NS1_11comp_targetILNS1_3genE0ELNS1_11target_archE4294967295ELNS1_3gpuE0ELNS1_3repE0EEENS1_48merge_mergepath_partition_config_static_selectorELNS0_4arch9wavefront6targetE0EEEvSM_, .Lfunc_end270-_ZN7rocprim17ROCPRIM_400000_NS6detail17trampoline_kernelINS0_14default_configENS1_38merge_sort_block_merge_config_selectorIlNS0_10empty_typeEEEZZNS1_27merge_sort_block_merge_implIS3_PlPS5_mZN2at6native12_GLOBAL__N_124unique_dim_cuda_templateIaEESt5tupleIJNSA_6TensorESF_SF_EERKSF_lbbbEUlllE_EE10hipError_tT0_T1_T2_jT3_P12ihipStream_tbPNSt15iterator_traitsISL_E10value_typeEPNSR_ISM_E10value_typeEPSN_NS1_7vsmem_tEENKUlT_SL_SM_SN_E_clIS8_S8_S9_S9_EESK_S10_SL_SM_SN_EUlS10_E_NS1_11comp_targetILNS1_3genE0ELNS1_11target_archE4294967295ELNS1_3gpuE0ELNS1_3repE0EEENS1_48merge_mergepath_partition_config_static_selectorELNS0_4arch9wavefront6targetE0EEEvSM_
                                        ; -- End function
	.set _ZN7rocprim17ROCPRIM_400000_NS6detail17trampoline_kernelINS0_14default_configENS1_38merge_sort_block_merge_config_selectorIlNS0_10empty_typeEEEZZNS1_27merge_sort_block_merge_implIS3_PlPS5_mZN2at6native12_GLOBAL__N_124unique_dim_cuda_templateIaEESt5tupleIJNSA_6TensorESF_SF_EERKSF_lbbbEUlllE_EE10hipError_tT0_T1_T2_jT3_P12ihipStream_tbPNSt15iterator_traitsISL_E10value_typeEPNSR_ISM_E10value_typeEPSN_NS1_7vsmem_tEENKUlT_SL_SM_SN_E_clIS8_S8_S9_S9_EESK_S10_SL_SM_SN_EUlS10_E_NS1_11comp_targetILNS1_3genE0ELNS1_11target_archE4294967295ELNS1_3gpuE0ELNS1_3repE0EEENS1_48merge_mergepath_partition_config_static_selectorELNS0_4arch9wavefront6targetE0EEEvSM_.num_vgpr, 22
	.set _ZN7rocprim17ROCPRIM_400000_NS6detail17trampoline_kernelINS0_14default_configENS1_38merge_sort_block_merge_config_selectorIlNS0_10empty_typeEEEZZNS1_27merge_sort_block_merge_implIS3_PlPS5_mZN2at6native12_GLOBAL__N_124unique_dim_cuda_templateIaEESt5tupleIJNSA_6TensorESF_SF_EERKSF_lbbbEUlllE_EE10hipError_tT0_T1_T2_jT3_P12ihipStream_tbPNSt15iterator_traitsISL_E10value_typeEPNSR_ISM_E10value_typeEPSN_NS1_7vsmem_tEENKUlT_SL_SM_SN_E_clIS8_S8_S9_S9_EESK_S10_SL_SM_SN_EUlS10_E_NS1_11comp_targetILNS1_3genE0ELNS1_11target_archE4294967295ELNS1_3gpuE0ELNS1_3repE0EEENS1_48merge_mergepath_partition_config_static_selectorELNS0_4arch9wavefront6targetE0EEEvSM_.num_agpr, 0
	.set _ZN7rocprim17ROCPRIM_400000_NS6detail17trampoline_kernelINS0_14default_configENS1_38merge_sort_block_merge_config_selectorIlNS0_10empty_typeEEEZZNS1_27merge_sort_block_merge_implIS3_PlPS5_mZN2at6native12_GLOBAL__N_124unique_dim_cuda_templateIaEESt5tupleIJNSA_6TensorESF_SF_EERKSF_lbbbEUlllE_EE10hipError_tT0_T1_T2_jT3_P12ihipStream_tbPNSt15iterator_traitsISL_E10value_typeEPNSR_ISM_E10value_typeEPSN_NS1_7vsmem_tEENKUlT_SL_SM_SN_E_clIS8_S8_S9_S9_EESK_S10_SL_SM_SN_EUlS10_E_NS1_11comp_targetILNS1_3genE0ELNS1_11target_archE4294967295ELNS1_3gpuE0ELNS1_3repE0EEENS1_48merge_mergepath_partition_config_static_selectorELNS0_4arch9wavefront6targetE0EEEvSM_.numbered_sgpr, 18
	.set _ZN7rocprim17ROCPRIM_400000_NS6detail17trampoline_kernelINS0_14default_configENS1_38merge_sort_block_merge_config_selectorIlNS0_10empty_typeEEEZZNS1_27merge_sort_block_merge_implIS3_PlPS5_mZN2at6native12_GLOBAL__N_124unique_dim_cuda_templateIaEESt5tupleIJNSA_6TensorESF_SF_EERKSF_lbbbEUlllE_EE10hipError_tT0_T1_T2_jT3_P12ihipStream_tbPNSt15iterator_traitsISL_E10value_typeEPNSR_ISM_E10value_typeEPSN_NS1_7vsmem_tEENKUlT_SL_SM_SN_E_clIS8_S8_S9_S9_EESK_S10_SL_SM_SN_EUlS10_E_NS1_11comp_targetILNS1_3genE0ELNS1_11target_archE4294967295ELNS1_3gpuE0ELNS1_3repE0EEENS1_48merge_mergepath_partition_config_static_selectorELNS0_4arch9wavefront6targetE0EEEvSM_.num_named_barrier, 0
	.set _ZN7rocprim17ROCPRIM_400000_NS6detail17trampoline_kernelINS0_14default_configENS1_38merge_sort_block_merge_config_selectorIlNS0_10empty_typeEEEZZNS1_27merge_sort_block_merge_implIS3_PlPS5_mZN2at6native12_GLOBAL__N_124unique_dim_cuda_templateIaEESt5tupleIJNSA_6TensorESF_SF_EERKSF_lbbbEUlllE_EE10hipError_tT0_T1_T2_jT3_P12ihipStream_tbPNSt15iterator_traitsISL_E10value_typeEPNSR_ISM_E10value_typeEPSN_NS1_7vsmem_tEENKUlT_SL_SM_SN_E_clIS8_S8_S9_S9_EESK_S10_SL_SM_SN_EUlS10_E_NS1_11comp_targetILNS1_3genE0ELNS1_11target_archE4294967295ELNS1_3gpuE0ELNS1_3repE0EEENS1_48merge_mergepath_partition_config_static_selectorELNS0_4arch9wavefront6targetE0EEEvSM_.private_seg_size, 0
	.set _ZN7rocprim17ROCPRIM_400000_NS6detail17trampoline_kernelINS0_14default_configENS1_38merge_sort_block_merge_config_selectorIlNS0_10empty_typeEEEZZNS1_27merge_sort_block_merge_implIS3_PlPS5_mZN2at6native12_GLOBAL__N_124unique_dim_cuda_templateIaEESt5tupleIJNSA_6TensorESF_SF_EERKSF_lbbbEUlllE_EE10hipError_tT0_T1_T2_jT3_P12ihipStream_tbPNSt15iterator_traitsISL_E10value_typeEPNSR_ISM_E10value_typeEPSN_NS1_7vsmem_tEENKUlT_SL_SM_SN_E_clIS8_S8_S9_S9_EESK_S10_SL_SM_SN_EUlS10_E_NS1_11comp_targetILNS1_3genE0ELNS1_11target_archE4294967295ELNS1_3gpuE0ELNS1_3repE0EEENS1_48merge_mergepath_partition_config_static_selectorELNS0_4arch9wavefront6targetE0EEEvSM_.uses_vcc, 1
	.set _ZN7rocprim17ROCPRIM_400000_NS6detail17trampoline_kernelINS0_14default_configENS1_38merge_sort_block_merge_config_selectorIlNS0_10empty_typeEEEZZNS1_27merge_sort_block_merge_implIS3_PlPS5_mZN2at6native12_GLOBAL__N_124unique_dim_cuda_templateIaEESt5tupleIJNSA_6TensorESF_SF_EERKSF_lbbbEUlllE_EE10hipError_tT0_T1_T2_jT3_P12ihipStream_tbPNSt15iterator_traitsISL_E10value_typeEPNSR_ISM_E10value_typeEPSN_NS1_7vsmem_tEENKUlT_SL_SM_SN_E_clIS8_S8_S9_S9_EESK_S10_SL_SM_SN_EUlS10_E_NS1_11comp_targetILNS1_3genE0ELNS1_11target_archE4294967295ELNS1_3gpuE0ELNS1_3repE0EEENS1_48merge_mergepath_partition_config_static_selectorELNS0_4arch9wavefront6targetE0EEEvSM_.uses_flat_scratch, 0
	.set _ZN7rocprim17ROCPRIM_400000_NS6detail17trampoline_kernelINS0_14default_configENS1_38merge_sort_block_merge_config_selectorIlNS0_10empty_typeEEEZZNS1_27merge_sort_block_merge_implIS3_PlPS5_mZN2at6native12_GLOBAL__N_124unique_dim_cuda_templateIaEESt5tupleIJNSA_6TensorESF_SF_EERKSF_lbbbEUlllE_EE10hipError_tT0_T1_T2_jT3_P12ihipStream_tbPNSt15iterator_traitsISL_E10value_typeEPNSR_ISM_E10value_typeEPSN_NS1_7vsmem_tEENKUlT_SL_SM_SN_E_clIS8_S8_S9_S9_EESK_S10_SL_SM_SN_EUlS10_E_NS1_11comp_targetILNS1_3genE0ELNS1_11target_archE4294967295ELNS1_3gpuE0ELNS1_3repE0EEENS1_48merge_mergepath_partition_config_static_selectorELNS0_4arch9wavefront6targetE0EEEvSM_.has_dyn_sized_stack, 0
	.set _ZN7rocprim17ROCPRIM_400000_NS6detail17trampoline_kernelINS0_14default_configENS1_38merge_sort_block_merge_config_selectorIlNS0_10empty_typeEEEZZNS1_27merge_sort_block_merge_implIS3_PlPS5_mZN2at6native12_GLOBAL__N_124unique_dim_cuda_templateIaEESt5tupleIJNSA_6TensorESF_SF_EERKSF_lbbbEUlllE_EE10hipError_tT0_T1_T2_jT3_P12ihipStream_tbPNSt15iterator_traitsISL_E10value_typeEPNSR_ISM_E10value_typeEPSN_NS1_7vsmem_tEENKUlT_SL_SM_SN_E_clIS8_S8_S9_S9_EESK_S10_SL_SM_SN_EUlS10_E_NS1_11comp_targetILNS1_3genE0ELNS1_11target_archE4294967295ELNS1_3gpuE0ELNS1_3repE0EEENS1_48merge_mergepath_partition_config_static_selectorELNS0_4arch9wavefront6targetE0EEEvSM_.has_recursion, 0
	.set _ZN7rocprim17ROCPRIM_400000_NS6detail17trampoline_kernelINS0_14default_configENS1_38merge_sort_block_merge_config_selectorIlNS0_10empty_typeEEEZZNS1_27merge_sort_block_merge_implIS3_PlPS5_mZN2at6native12_GLOBAL__N_124unique_dim_cuda_templateIaEESt5tupleIJNSA_6TensorESF_SF_EERKSF_lbbbEUlllE_EE10hipError_tT0_T1_T2_jT3_P12ihipStream_tbPNSt15iterator_traitsISL_E10value_typeEPNSR_ISM_E10value_typeEPSN_NS1_7vsmem_tEENKUlT_SL_SM_SN_E_clIS8_S8_S9_S9_EESK_S10_SL_SM_SN_EUlS10_E_NS1_11comp_targetILNS1_3genE0ELNS1_11target_archE4294967295ELNS1_3gpuE0ELNS1_3repE0EEENS1_48merge_mergepath_partition_config_static_selectorELNS0_4arch9wavefront6targetE0EEEvSM_.has_indirect_call, 0
	.section	.AMDGPU.csdata,"",@progbits
; Kernel info:
; codeLenInByte = 776
; TotalNumSgprs: 20
; NumVgprs: 22
; ScratchSize: 0
; MemoryBound: 0
; FloatMode: 240
; IeeeMode: 1
; LDSByteSize: 0 bytes/workgroup (compile time only)
; SGPRBlocks: 0
; VGPRBlocks: 1
; NumSGPRsForWavesPerEU: 20
; NumVGPRsForWavesPerEU: 22
; NamedBarCnt: 0
; Occupancy: 16
; WaveLimiterHint : 0
; COMPUTE_PGM_RSRC2:SCRATCH_EN: 0
; COMPUTE_PGM_RSRC2:USER_SGPR: 2
; COMPUTE_PGM_RSRC2:TRAP_HANDLER: 0
; COMPUTE_PGM_RSRC2:TGID_X_EN: 1
; COMPUTE_PGM_RSRC2:TGID_Y_EN: 0
; COMPUTE_PGM_RSRC2:TGID_Z_EN: 0
; COMPUTE_PGM_RSRC2:TIDIG_COMP_CNT: 0
	.section	.text._ZN7rocprim17ROCPRIM_400000_NS6detail17trampoline_kernelINS0_14default_configENS1_38merge_sort_block_merge_config_selectorIlNS0_10empty_typeEEEZZNS1_27merge_sort_block_merge_implIS3_PlPS5_mZN2at6native12_GLOBAL__N_124unique_dim_cuda_templateIaEESt5tupleIJNSA_6TensorESF_SF_EERKSF_lbbbEUlllE_EE10hipError_tT0_T1_T2_jT3_P12ihipStream_tbPNSt15iterator_traitsISL_E10value_typeEPNSR_ISM_E10value_typeEPSN_NS1_7vsmem_tEENKUlT_SL_SM_SN_E_clIS8_S8_S9_S9_EESK_S10_SL_SM_SN_EUlS10_E_NS1_11comp_targetILNS1_3genE10ELNS1_11target_archE1201ELNS1_3gpuE5ELNS1_3repE0EEENS1_48merge_mergepath_partition_config_static_selectorELNS0_4arch9wavefront6targetE0EEEvSM_,"axG",@progbits,_ZN7rocprim17ROCPRIM_400000_NS6detail17trampoline_kernelINS0_14default_configENS1_38merge_sort_block_merge_config_selectorIlNS0_10empty_typeEEEZZNS1_27merge_sort_block_merge_implIS3_PlPS5_mZN2at6native12_GLOBAL__N_124unique_dim_cuda_templateIaEESt5tupleIJNSA_6TensorESF_SF_EERKSF_lbbbEUlllE_EE10hipError_tT0_T1_T2_jT3_P12ihipStream_tbPNSt15iterator_traitsISL_E10value_typeEPNSR_ISM_E10value_typeEPSN_NS1_7vsmem_tEENKUlT_SL_SM_SN_E_clIS8_S8_S9_S9_EESK_S10_SL_SM_SN_EUlS10_E_NS1_11comp_targetILNS1_3genE10ELNS1_11target_archE1201ELNS1_3gpuE5ELNS1_3repE0EEENS1_48merge_mergepath_partition_config_static_selectorELNS0_4arch9wavefront6targetE0EEEvSM_,comdat
	.globl	_ZN7rocprim17ROCPRIM_400000_NS6detail17trampoline_kernelINS0_14default_configENS1_38merge_sort_block_merge_config_selectorIlNS0_10empty_typeEEEZZNS1_27merge_sort_block_merge_implIS3_PlPS5_mZN2at6native12_GLOBAL__N_124unique_dim_cuda_templateIaEESt5tupleIJNSA_6TensorESF_SF_EERKSF_lbbbEUlllE_EE10hipError_tT0_T1_T2_jT3_P12ihipStream_tbPNSt15iterator_traitsISL_E10value_typeEPNSR_ISM_E10value_typeEPSN_NS1_7vsmem_tEENKUlT_SL_SM_SN_E_clIS8_S8_S9_S9_EESK_S10_SL_SM_SN_EUlS10_E_NS1_11comp_targetILNS1_3genE10ELNS1_11target_archE1201ELNS1_3gpuE5ELNS1_3repE0EEENS1_48merge_mergepath_partition_config_static_selectorELNS0_4arch9wavefront6targetE0EEEvSM_ ; -- Begin function _ZN7rocprim17ROCPRIM_400000_NS6detail17trampoline_kernelINS0_14default_configENS1_38merge_sort_block_merge_config_selectorIlNS0_10empty_typeEEEZZNS1_27merge_sort_block_merge_implIS3_PlPS5_mZN2at6native12_GLOBAL__N_124unique_dim_cuda_templateIaEESt5tupleIJNSA_6TensorESF_SF_EERKSF_lbbbEUlllE_EE10hipError_tT0_T1_T2_jT3_P12ihipStream_tbPNSt15iterator_traitsISL_E10value_typeEPNSR_ISM_E10value_typeEPSN_NS1_7vsmem_tEENKUlT_SL_SM_SN_E_clIS8_S8_S9_S9_EESK_S10_SL_SM_SN_EUlS10_E_NS1_11comp_targetILNS1_3genE10ELNS1_11target_archE1201ELNS1_3gpuE5ELNS1_3repE0EEENS1_48merge_mergepath_partition_config_static_selectorELNS0_4arch9wavefront6targetE0EEEvSM_
	.p2align	8
	.type	_ZN7rocprim17ROCPRIM_400000_NS6detail17trampoline_kernelINS0_14default_configENS1_38merge_sort_block_merge_config_selectorIlNS0_10empty_typeEEEZZNS1_27merge_sort_block_merge_implIS3_PlPS5_mZN2at6native12_GLOBAL__N_124unique_dim_cuda_templateIaEESt5tupleIJNSA_6TensorESF_SF_EERKSF_lbbbEUlllE_EE10hipError_tT0_T1_T2_jT3_P12ihipStream_tbPNSt15iterator_traitsISL_E10value_typeEPNSR_ISM_E10value_typeEPSN_NS1_7vsmem_tEENKUlT_SL_SM_SN_E_clIS8_S8_S9_S9_EESK_S10_SL_SM_SN_EUlS10_E_NS1_11comp_targetILNS1_3genE10ELNS1_11target_archE1201ELNS1_3gpuE5ELNS1_3repE0EEENS1_48merge_mergepath_partition_config_static_selectorELNS0_4arch9wavefront6targetE0EEEvSM_,@function
_ZN7rocprim17ROCPRIM_400000_NS6detail17trampoline_kernelINS0_14default_configENS1_38merge_sort_block_merge_config_selectorIlNS0_10empty_typeEEEZZNS1_27merge_sort_block_merge_implIS3_PlPS5_mZN2at6native12_GLOBAL__N_124unique_dim_cuda_templateIaEESt5tupleIJNSA_6TensorESF_SF_EERKSF_lbbbEUlllE_EE10hipError_tT0_T1_T2_jT3_P12ihipStream_tbPNSt15iterator_traitsISL_E10value_typeEPNSR_ISM_E10value_typeEPSN_NS1_7vsmem_tEENKUlT_SL_SM_SN_E_clIS8_S8_S9_S9_EESK_S10_SL_SM_SN_EUlS10_E_NS1_11comp_targetILNS1_3genE10ELNS1_11target_archE1201ELNS1_3gpuE5ELNS1_3repE0EEENS1_48merge_mergepath_partition_config_static_selectorELNS0_4arch9wavefront6targetE0EEEvSM_: ; @_ZN7rocprim17ROCPRIM_400000_NS6detail17trampoline_kernelINS0_14default_configENS1_38merge_sort_block_merge_config_selectorIlNS0_10empty_typeEEEZZNS1_27merge_sort_block_merge_implIS3_PlPS5_mZN2at6native12_GLOBAL__N_124unique_dim_cuda_templateIaEESt5tupleIJNSA_6TensorESF_SF_EERKSF_lbbbEUlllE_EE10hipError_tT0_T1_T2_jT3_P12ihipStream_tbPNSt15iterator_traitsISL_E10value_typeEPNSR_ISM_E10value_typeEPSN_NS1_7vsmem_tEENKUlT_SL_SM_SN_E_clIS8_S8_S9_S9_EESK_S10_SL_SM_SN_EUlS10_E_NS1_11comp_targetILNS1_3genE10ELNS1_11target_archE1201ELNS1_3gpuE5ELNS1_3repE0EEENS1_48merge_mergepath_partition_config_static_selectorELNS0_4arch9wavefront6targetE0EEEvSM_
; %bb.0:
	.section	.rodata,"a",@progbits
	.p2align	6, 0x0
	.amdhsa_kernel _ZN7rocprim17ROCPRIM_400000_NS6detail17trampoline_kernelINS0_14default_configENS1_38merge_sort_block_merge_config_selectorIlNS0_10empty_typeEEEZZNS1_27merge_sort_block_merge_implIS3_PlPS5_mZN2at6native12_GLOBAL__N_124unique_dim_cuda_templateIaEESt5tupleIJNSA_6TensorESF_SF_EERKSF_lbbbEUlllE_EE10hipError_tT0_T1_T2_jT3_P12ihipStream_tbPNSt15iterator_traitsISL_E10value_typeEPNSR_ISM_E10value_typeEPSN_NS1_7vsmem_tEENKUlT_SL_SM_SN_E_clIS8_S8_S9_S9_EESK_S10_SL_SM_SN_EUlS10_E_NS1_11comp_targetILNS1_3genE10ELNS1_11target_archE1201ELNS1_3gpuE5ELNS1_3repE0EEENS1_48merge_mergepath_partition_config_static_selectorELNS0_4arch9wavefront6targetE0EEEvSM_
		.amdhsa_group_segment_fixed_size 0
		.amdhsa_private_segment_fixed_size 0
		.amdhsa_kernarg_size 56
		.amdhsa_user_sgpr_count 2
		.amdhsa_user_sgpr_dispatch_ptr 0
		.amdhsa_user_sgpr_queue_ptr 0
		.amdhsa_user_sgpr_kernarg_segment_ptr 1
		.amdhsa_user_sgpr_dispatch_id 0
		.amdhsa_user_sgpr_kernarg_preload_length 0
		.amdhsa_user_sgpr_kernarg_preload_offset 0
		.amdhsa_user_sgpr_private_segment_size 0
		.amdhsa_wavefront_size32 1
		.amdhsa_uses_dynamic_stack 0
		.amdhsa_enable_private_segment 0
		.amdhsa_system_sgpr_workgroup_id_x 1
		.amdhsa_system_sgpr_workgroup_id_y 0
		.amdhsa_system_sgpr_workgroup_id_z 0
		.amdhsa_system_sgpr_workgroup_info 0
		.amdhsa_system_vgpr_workitem_id 0
		.amdhsa_next_free_vgpr 1
		.amdhsa_next_free_sgpr 1
		.amdhsa_named_barrier_count 0
		.amdhsa_reserve_vcc 0
		.amdhsa_float_round_mode_32 0
		.amdhsa_float_round_mode_16_64 0
		.amdhsa_float_denorm_mode_32 3
		.amdhsa_float_denorm_mode_16_64 3
		.amdhsa_fp16_overflow 0
		.amdhsa_memory_ordered 1
		.amdhsa_forward_progress 1
		.amdhsa_inst_pref_size 0
		.amdhsa_round_robin_scheduling 0
		.amdhsa_exception_fp_ieee_invalid_op 0
		.amdhsa_exception_fp_denorm_src 0
		.amdhsa_exception_fp_ieee_div_zero 0
		.amdhsa_exception_fp_ieee_overflow 0
		.amdhsa_exception_fp_ieee_underflow 0
		.amdhsa_exception_fp_ieee_inexact 0
		.amdhsa_exception_int_div_zero 0
	.end_amdhsa_kernel
	.section	.text._ZN7rocprim17ROCPRIM_400000_NS6detail17trampoline_kernelINS0_14default_configENS1_38merge_sort_block_merge_config_selectorIlNS0_10empty_typeEEEZZNS1_27merge_sort_block_merge_implIS3_PlPS5_mZN2at6native12_GLOBAL__N_124unique_dim_cuda_templateIaEESt5tupleIJNSA_6TensorESF_SF_EERKSF_lbbbEUlllE_EE10hipError_tT0_T1_T2_jT3_P12ihipStream_tbPNSt15iterator_traitsISL_E10value_typeEPNSR_ISM_E10value_typeEPSN_NS1_7vsmem_tEENKUlT_SL_SM_SN_E_clIS8_S8_S9_S9_EESK_S10_SL_SM_SN_EUlS10_E_NS1_11comp_targetILNS1_3genE10ELNS1_11target_archE1201ELNS1_3gpuE5ELNS1_3repE0EEENS1_48merge_mergepath_partition_config_static_selectorELNS0_4arch9wavefront6targetE0EEEvSM_,"axG",@progbits,_ZN7rocprim17ROCPRIM_400000_NS6detail17trampoline_kernelINS0_14default_configENS1_38merge_sort_block_merge_config_selectorIlNS0_10empty_typeEEEZZNS1_27merge_sort_block_merge_implIS3_PlPS5_mZN2at6native12_GLOBAL__N_124unique_dim_cuda_templateIaEESt5tupleIJNSA_6TensorESF_SF_EERKSF_lbbbEUlllE_EE10hipError_tT0_T1_T2_jT3_P12ihipStream_tbPNSt15iterator_traitsISL_E10value_typeEPNSR_ISM_E10value_typeEPSN_NS1_7vsmem_tEENKUlT_SL_SM_SN_E_clIS8_S8_S9_S9_EESK_S10_SL_SM_SN_EUlS10_E_NS1_11comp_targetILNS1_3genE10ELNS1_11target_archE1201ELNS1_3gpuE5ELNS1_3repE0EEENS1_48merge_mergepath_partition_config_static_selectorELNS0_4arch9wavefront6targetE0EEEvSM_,comdat
.Lfunc_end271:
	.size	_ZN7rocprim17ROCPRIM_400000_NS6detail17trampoline_kernelINS0_14default_configENS1_38merge_sort_block_merge_config_selectorIlNS0_10empty_typeEEEZZNS1_27merge_sort_block_merge_implIS3_PlPS5_mZN2at6native12_GLOBAL__N_124unique_dim_cuda_templateIaEESt5tupleIJNSA_6TensorESF_SF_EERKSF_lbbbEUlllE_EE10hipError_tT0_T1_T2_jT3_P12ihipStream_tbPNSt15iterator_traitsISL_E10value_typeEPNSR_ISM_E10value_typeEPSN_NS1_7vsmem_tEENKUlT_SL_SM_SN_E_clIS8_S8_S9_S9_EESK_S10_SL_SM_SN_EUlS10_E_NS1_11comp_targetILNS1_3genE10ELNS1_11target_archE1201ELNS1_3gpuE5ELNS1_3repE0EEENS1_48merge_mergepath_partition_config_static_selectorELNS0_4arch9wavefront6targetE0EEEvSM_, .Lfunc_end271-_ZN7rocprim17ROCPRIM_400000_NS6detail17trampoline_kernelINS0_14default_configENS1_38merge_sort_block_merge_config_selectorIlNS0_10empty_typeEEEZZNS1_27merge_sort_block_merge_implIS3_PlPS5_mZN2at6native12_GLOBAL__N_124unique_dim_cuda_templateIaEESt5tupleIJNSA_6TensorESF_SF_EERKSF_lbbbEUlllE_EE10hipError_tT0_T1_T2_jT3_P12ihipStream_tbPNSt15iterator_traitsISL_E10value_typeEPNSR_ISM_E10value_typeEPSN_NS1_7vsmem_tEENKUlT_SL_SM_SN_E_clIS8_S8_S9_S9_EESK_S10_SL_SM_SN_EUlS10_E_NS1_11comp_targetILNS1_3genE10ELNS1_11target_archE1201ELNS1_3gpuE5ELNS1_3repE0EEENS1_48merge_mergepath_partition_config_static_selectorELNS0_4arch9wavefront6targetE0EEEvSM_
                                        ; -- End function
	.set _ZN7rocprim17ROCPRIM_400000_NS6detail17trampoline_kernelINS0_14default_configENS1_38merge_sort_block_merge_config_selectorIlNS0_10empty_typeEEEZZNS1_27merge_sort_block_merge_implIS3_PlPS5_mZN2at6native12_GLOBAL__N_124unique_dim_cuda_templateIaEESt5tupleIJNSA_6TensorESF_SF_EERKSF_lbbbEUlllE_EE10hipError_tT0_T1_T2_jT3_P12ihipStream_tbPNSt15iterator_traitsISL_E10value_typeEPNSR_ISM_E10value_typeEPSN_NS1_7vsmem_tEENKUlT_SL_SM_SN_E_clIS8_S8_S9_S9_EESK_S10_SL_SM_SN_EUlS10_E_NS1_11comp_targetILNS1_3genE10ELNS1_11target_archE1201ELNS1_3gpuE5ELNS1_3repE0EEENS1_48merge_mergepath_partition_config_static_selectorELNS0_4arch9wavefront6targetE0EEEvSM_.num_vgpr, 0
	.set _ZN7rocprim17ROCPRIM_400000_NS6detail17trampoline_kernelINS0_14default_configENS1_38merge_sort_block_merge_config_selectorIlNS0_10empty_typeEEEZZNS1_27merge_sort_block_merge_implIS3_PlPS5_mZN2at6native12_GLOBAL__N_124unique_dim_cuda_templateIaEESt5tupleIJNSA_6TensorESF_SF_EERKSF_lbbbEUlllE_EE10hipError_tT0_T1_T2_jT3_P12ihipStream_tbPNSt15iterator_traitsISL_E10value_typeEPNSR_ISM_E10value_typeEPSN_NS1_7vsmem_tEENKUlT_SL_SM_SN_E_clIS8_S8_S9_S9_EESK_S10_SL_SM_SN_EUlS10_E_NS1_11comp_targetILNS1_3genE10ELNS1_11target_archE1201ELNS1_3gpuE5ELNS1_3repE0EEENS1_48merge_mergepath_partition_config_static_selectorELNS0_4arch9wavefront6targetE0EEEvSM_.num_agpr, 0
	.set _ZN7rocprim17ROCPRIM_400000_NS6detail17trampoline_kernelINS0_14default_configENS1_38merge_sort_block_merge_config_selectorIlNS0_10empty_typeEEEZZNS1_27merge_sort_block_merge_implIS3_PlPS5_mZN2at6native12_GLOBAL__N_124unique_dim_cuda_templateIaEESt5tupleIJNSA_6TensorESF_SF_EERKSF_lbbbEUlllE_EE10hipError_tT0_T1_T2_jT3_P12ihipStream_tbPNSt15iterator_traitsISL_E10value_typeEPNSR_ISM_E10value_typeEPSN_NS1_7vsmem_tEENKUlT_SL_SM_SN_E_clIS8_S8_S9_S9_EESK_S10_SL_SM_SN_EUlS10_E_NS1_11comp_targetILNS1_3genE10ELNS1_11target_archE1201ELNS1_3gpuE5ELNS1_3repE0EEENS1_48merge_mergepath_partition_config_static_selectorELNS0_4arch9wavefront6targetE0EEEvSM_.numbered_sgpr, 0
	.set _ZN7rocprim17ROCPRIM_400000_NS6detail17trampoline_kernelINS0_14default_configENS1_38merge_sort_block_merge_config_selectorIlNS0_10empty_typeEEEZZNS1_27merge_sort_block_merge_implIS3_PlPS5_mZN2at6native12_GLOBAL__N_124unique_dim_cuda_templateIaEESt5tupleIJNSA_6TensorESF_SF_EERKSF_lbbbEUlllE_EE10hipError_tT0_T1_T2_jT3_P12ihipStream_tbPNSt15iterator_traitsISL_E10value_typeEPNSR_ISM_E10value_typeEPSN_NS1_7vsmem_tEENKUlT_SL_SM_SN_E_clIS8_S8_S9_S9_EESK_S10_SL_SM_SN_EUlS10_E_NS1_11comp_targetILNS1_3genE10ELNS1_11target_archE1201ELNS1_3gpuE5ELNS1_3repE0EEENS1_48merge_mergepath_partition_config_static_selectorELNS0_4arch9wavefront6targetE0EEEvSM_.num_named_barrier, 0
	.set _ZN7rocprim17ROCPRIM_400000_NS6detail17trampoline_kernelINS0_14default_configENS1_38merge_sort_block_merge_config_selectorIlNS0_10empty_typeEEEZZNS1_27merge_sort_block_merge_implIS3_PlPS5_mZN2at6native12_GLOBAL__N_124unique_dim_cuda_templateIaEESt5tupleIJNSA_6TensorESF_SF_EERKSF_lbbbEUlllE_EE10hipError_tT0_T1_T2_jT3_P12ihipStream_tbPNSt15iterator_traitsISL_E10value_typeEPNSR_ISM_E10value_typeEPSN_NS1_7vsmem_tEENKUlT_SL_SM_SN_E_clIS8_S8_S9_S9_EESK_S10_SL_SM_SN_EUlS10_E_NS1_11comp_targetILNS1_3genE10ELNS1_11target_archE1201ELNS1_3gpuE5ELNS1_3repE0EEENS1_48merge_mergepath_partition_config_static_selectorELNS0_4arch9wavefront6targetE0EEEvSM_.private_seg_size, 0
	.set _ZN7rocprim17ROCPRIM_400000_NS6detail17trampoline_kernelINS0_14default_configENS1_38merge_sort_block_merge_config_selectorIlNS0_10empty_typeEEEZZNS1_27merge_sort_block_merge_implIS3_PlPS5_mZN2at6native12_GLOBAL__N_124unique_dim_cuda_templateIaEESt5tupleIJNSA_6TensorESF_SF_EERKSF_lbbbEUlllE_EE10hipError_tT0_T1_T2_jT3_P12ihipStream_tbPNSt15iterator_traitsISL_E10value_typeEPNSR_ISM_E10value_typeEPSN_NS1_7vsmem_tEENKUlT_SL_SM_SN_E_clIS8_S8_S9_S9_EESK_S10_SL_SM_SN_EUlS10_E_NS1_11comp_targetILNS1_3genE10ELNS1_11target_archE1201ELNS1_3gpuE5ELNS1_3repE0EEENS1_48merge_mergepath_partition_config_static_selectorELNS0_4arch9wavefront6targetE0EEEvSM_.uses_vcc, 0
	.set _ZN7rocprim17ROCPRIM_400000_NS6detail17trampoline_kernelINS0_14default_configENS1_38merge_sort_block_merge_config_selectorIlNS0_10empty_typeEEEZZNS1_27merge_sort_block_merge_implIS3_PlPS5_mZN2at6native12_GLOBAL__N_124unique_dim_cuda_templateIaEESt5tupleIJNSA_6TensorESF_SF_EERKSF_lbbbEUlllE_EE10hipError_tT0_T1_T2_jT3_P12ihipStream_tbPNSt15iterator_traitsISL_E10value_typeEPNSR_ISM_E10value_typeEPSN_NS1_7vsmem_tEENKUlT_SL_SM_SN_E_clIS8_S8_S9_S9_EESK_S10_SL_SM_SN_EUlS10_E_NS1_11comp_targetILNS1_3genE10ELNS1_11target_archE1201ELNS1_3gpuE5ELNS1_3repE0EEENS1_48merge_mergepath_partition_config_static_selectorELNS0_4arch9wavefront6targetE0EEEvSM_.uses_flat_scratch, 0
	.set _ZN7rocprim17ROCPRIM_400000_NS6detail17trampoline_kernelINS0_14default_configENS1_38merge_sort_block_merge_config_selectorIlNS0_10empty_typeEEEZZNS1_27merge_sort_block_merge_implIS3_PlPS5_mZN2at6native12_GLOBAL__N_124unique_dim_cuda_templateIaEESt5tupleIJNSA_6TensorESF_SF_EERKSF_lbbbEUlllE_EE10hipError_tT0_T1_T2_jT3_P12ihipStream_tbPNSt15iterator_traitsISL_E10value_typeEPNSR_ISM_E10value_typeEPSN_NS1_7vsmem_tEENKUlT_SL_SM_SN_E_clIS8_S8_S9_S9_EESK_S10_SL_SM_SN_EUlS10_E_NS1_11comp_targetILNS1_3genE10ELNS1_11target_archE1201ELNS1_3gpuE5ELNS1_3repE0EEENS1_48merge_mergepath_partition_config_static_selectorELNS0_4arch9wavefront6targetE0EEEvSM_.has_dyn_sized_stack, 0
	.set _ZN7rocprim17ROCPRIM_400000_NS6detail17trampoline_kernelINS0_14default_configENS1_38merge_sort_block_merge_config_selectorIlNS0_10empty_typeEEEZZNS1_27merge_sort_block_merge_implIS3_PlPS5_mZN2at6native12_GLOBAL__N_124unique_dim_cuda_templateIaEESt5tupleIJNSA_6TensorESF_SF_EERKSF_lbbbEUlllE_EE10hipError_tT0_T1_T2_jT3_P12ihipStream_tbPNSt15iterator_traitsISL_E10value_typeEPNSR_ISM_E10value_typeEPSN_NS1_7vsmem_tEENKUlT_SL_SM_SN_E_clIS8_S8_S9_S9_EESK_S10_SL_SM_SN_EUlS10_E_NS1_11comp_targetILNS1_3genE10ELNS1_11target_archE1201ELNS1_3gpuE5ELNS1_3repE0EEENS1_48merge_mergepath_partition_config_static_selectorELNS0_4arch9wavefront6targetE0EEEvSM_.has_recursion, 0
	.set _ZN7rocprim17ROCPRIM_400000_NS6detail17trampoline_kernelINS0_14default_configENS1_38merge_sort_block_merge_config_selectorIlNS0_10empty_typeEEEZZNS1_27merge_sort_block_merge_implIS3_PlPS5_mZN2at6native12_GLOBAL__N_124unique_dim_cuda_templateIaEESt5tupleIJNSA_6TensorESF_SF_EERKSF_lbbbEUlllE_EE10hipError_tT0_T1_T2_jT3_P12ihipStream_tbPNSt15iterator_traitsISL_E10value_typeEPNSR_ISM_E10value_typeEPSN_NS1_7vsmem_tEENKUlT_SL_SM_SN_E_clIS8_S8_S9_S9_EESK_S10_SL_SM_SN_EUlS10_E_NS1_11comp_targetILNS1_3genE10ELNS1_11target_archE1201ELNS1_3gpuE5ELNS1_3repE0EEENS1_48merge_mergepath_partition_config_static_selectorELNS0_4arch9wavefront6targetE0EEEvSM_.has_indirect_call, 0
	.section	.AMDGPU.csdata,"",@progbits
; Kernel info:
; codeLenInByte = 0
; TotalNumSgprs: 0
; NumVgprs: 0
; ScratchSize: 0
; MemoryBound: 0
; FloatMode: 240
; IeeeMode: 1
; LDSByteSize: 0 bytes/workgroup (compile time only)
; SGPRBlocks: 0
; VGPRBlocks: 0
; NumSGPRsForWavesPerEU: 1
; NumVGPRsForWavesPerEU: 1
; NamedBarCnt: 0
; Occupancy: 16
; WaveLimiterHint : 0
; COMPUTE_PGM_RSRC2:SCRATCH_EN: 0
; COMPUTE_PGM_RSRC2:USER_SGPR: 2
; COMPUTE_PGM_RSRC2:TRAP_HANDLER: 0
; COMPUTE_PGM_RSRC2:TGID_X_EN: 1
; COMPUTE_PGM_RSRC2:TGID_Y_EN: 0
; COMPUTE_PGM_RSRC2:TGID_Z_EN: 0
; COMPUTE_PGM_RSRC2:TIDIG_COMP_CNT: 0
	.section	.text._ZN7rocprim17ROCPRIM_400000_NS6detail17trampoline_kernelINS0_14default_configENS1_38merge_sort_block_merge_config_selectorIlNS0_10empty_typeEEEZZNS1_27merge_sort_block_merge_implIS3_PlPS5_mZN2at6native12_GLOBAL__N_124unique_dim_cuda_templateIaEESt5tupleIJNSA_6TensorESF_SF_EERKSF_lbbbEUlllE_EE10hipError_tT0_T1_T2_jT3_P12ihipStream_tbPNSt15iterator_traitsISL_E10value_typeEPNSR_ISM_E10value_typeEPSN_NS1_7vsmem_tEENKUlT_SL_SM_SN_E_clIS8_S8_S9_S9_EESK_S10_SL_SM_SN_EUlS10_E_NS1_11comp_targetILNS1_3genE5ELNS1_11target_archE942ELNS1_3gpuE9ELNS1_3repE0EEENS1_48merge_mergepath_partition_config_static_selectorELNS0_4arch9wavefront6targetE0EEEvSM_,"axG",@progbits,_ZN7rocprim17ROCPRIM_400000_NS6detail17trampoline_kernelINS0_14default_configENS1_38merge_sort_block_merge_config_selectorIlNS0_10empty_typeEEEZZNS1_27merge_sort_block_merge_implIS3_PlPS5_mZN2at6native12_GLOBAL__N_124unique_dim_cuda_templateIaEESt5tupleIJNSA_6TensorESF_SF_EERKSF_lbbbEUlllE_EE10hipError_tT0_T1_T2_jT3_P12ihipStream_tbPNSt15iterator_traitsISL_E10value_typeEPNSR_ISM_E10value_typeEPSN_NS1_7vsmem_tEENKUlT_SL_SM_SN_E_clIS8_S8_S9_S9_EESK_S10_SL_SM_SN_EUlS10_E_NS1_11comp_targetILNS1_3genE5ELNS1_11target_archE942ELNS1_3gpuE9ELNS1_3repE0EEENS1_48merge_mergepath_partition_config_static_selectorELNS0_4arch9wavefront6targetE0EEEvSM_,comdat
	.globl	_ZN7rocprim17ROCPRIM_400000_NS6detail17trampoline_kernelINS0_14default_configENS1_38merge_sort_block_merge_config_selectorIlNS0_10empty_typeEEEZZNS1_27merge_sort_block_merge_implIS3_PlPS5_mZN2at6native12_GLOBAL__N_124unique_dim_cuda_templateIaEESt5tupleIJNSA_6TensorESF_SF_EERKSF_lbbbEUlllE_EE10hipError_tT0_T1_T2_jT3_P12ihipStream_tbPNSt15iterator_traitsISL_E10value_typeEPNSR_ISM_E10value_typeEPSN_NS1_7vsmem_tEENKUlT_SL_SM_SN_E_clIS8_S8_S9_S9_EESK_S10_SL_SM_SN_EUlS10_E_NS1_11comp_targetILNS1_3genE5ELNS1_11target_archE942ELNS1_3gpuE9ELNS1_3repE0EEENS1_48merge_mergepath_partition_config_static_selectorELNS0_4arch9wavefront6targetE0EEEvSM_ ; -- Begin function _ZN7rocprim17ROCPRIM_400000_NS6detail17trampoline_kernelINS0_14default_configENS1_38merge_sort_block_merge_config_selectorIlNS0_10empty_typeEEEZZNS1_27merge_sort_block_merge_implIS3_PlPS5_mZN2at6native12_GLOBAL__N_124unique_dim_cuda_templateIaEESt5tupleIJNSA_6TensorESF_SF_EERKSF_lbbbEUlllE_EE10hipError_tT0_T1_T2_jT3_P12ihipStream_tbPNSt15iterator_traitsISL_E10value_typeEPNSR_ISM_E10value_typeEPSN_NS1_7vsmem_tEENKUlT_SL_SM_SN_E_clIS8_S8_S9_S9_EESK_S10_SL_SM_SN_EUlS10_E_NS1_11comp_targetILNS1_3genE5ELNS1_11target_archE942ELNS1_3gpuE9ELNS1_3repE0EEENS1_48merge_mergepath_partition_config_static_selectorELNS0_4arch9wavefront6targetE0EEEvSM_
	.p2align	8
	.type	_ZN7rocprim17ROCPRIM_400000_NS6detail17trampoline_kernelINS0_14default_configENS1_38merge_sort_block_merge_config_selectorIlNS0_10empty_typeEEEZZNS1_27merge_sort_block_merge_implIS3_PlPS5_mZN2at6native12_GLOBAL__N_124unique_dim_cuda_templateIaEESt5tupleIJNSA_6TensorESF_SF_EERKSF_lbbbEUlllE_EE10hipError_tT0_T1_T2_jT3_P12ihipStream_tbPNSt15iterator_traitsISL_E10value_typeEPNSR_ISM_E10value_typeEPSN_NS1_7vsmem_tEENKUlT_SL_SM_SN_E_clIS8_S8_S9_S9_EESK_S10_SL_SM_SN_EUlS10_E_NS1_11comp_targetILNS1_3genE5ELNS1_11target_archE942ELNS1_3gpuE9ELNS1_3repE0EEENS1_48merge_mergepath_partition_config_static_selectorELNS0_4arch9wavefront6targetE0EEEvSM_,@function
_ZN7rocprim17ROCPRIM_400000_NS6detail17trampoline_kernelINS0_14default_configENS1_38merge_sort_block_merge_config_selectorIlNS0_10empty_typeEEEZZNS1_27merge_sort_block_merge_implIS3_PlPS5_mZN2at6native12_GLOBAL__N_124unique_dim_cuda_templateIaEESt5tupleIJNSA_6TensorESF_SF_EERKSF_lbbbEUlllE_EE10hipError_tT0_T1_T2_jT3_P12ihipStream_tbPNSt15iterator_traitsISL_E10value_typeEPNSR_ISM_E10value_typeEPSN_NS1_7vsmem_tEENKUlT_SL_SM_SN_E_clIS8_S8_S9_S9_EESK_S10_SL_SM_SN_EUlS10_E_NS1_11comp_targetILNS1_3genE5ELNS1_11target_archE942ELNS1_3gpuE9ELNS1_3repE0EEENS1_48merge_mergepath_partition_config_static_selectorELNS0_4arch9wavefront6targetE0EEEvSM_: ; @_ZN7rocprim17ROCPRIM_400000_NS6detail17trampoline_kernelINS0_14default_configENS1_38merge_sort_block_merge_config_selectorIlNS0_10empty_typeEEEZZNS1_27merge_sort_block_merge_implIS3_PlPS5_mZN2at6native12_GLOBAL__N_124unique_dim_cuda_templateIaEESt5tupleIJNSA_6TensorESF_SF_EERKSF_lbbbEUlllE_EE10hipError_tT0_T1_T2_jT3_P12ihipStream_tbPNSt15iterator_traitsISL_E10value_typeEPNSR_ISM_E10value_typeEPSN_NS1_7vsmem_tEENKUlT_SL_SM_SN_E_clIS8_S8_S9_S9_EESK_S10_SL_SM_SN_EUlS10_E_NS1_11comp_targetILNS1_3genE5ELNS1_11target_archE942ELNS1_3gpuE9ELNS1_3repE0EEENS1_48merge_mergepath_partition_config_static_selectorELNS0_4arch9wavefront6targetE0EEEvSM_
; %bb.0:
	.section	.rodata,"a",@progbits
	.p2align	6, 0x0
	.amdhsa_kernel _ZN7rocprim17ROCPRIM_400000_NS6detail17trampoline_kernelINS0_14default_configENS1_38merge_sort_block_merge_config_selectorIlNS0_10empty_typeEEEZZNS1_27merge_sort_block_merge_implIS3_PlPS5_mZN2at6native12_GLOBAL__N_124unique_dim_cuda_templateIaEESt5tupleIJNSA_6TensorESF_SF_EERKSF_lbbbEUlllE_EE10hipError_tT0_T1_T2_jT3_P12ihipStream_tbPNSt15iterator_traitsISL_E10value_typeEPNSR_ISM_E10value_typeEPSN_NS1_7vsmem_tEENKUlT_SL_SM_SN_E_clIS8_S8_S9_S9_EESK_S10_SL_SM_SN_EUlS10_E_NS1_11comp_targetILNS1_3genE5ELNS1_11target_archE942ELNS1_3gpuE9ELNS1_3repE0EEENS1_48merge_mergepath_partition_config_static_selectorELNS0_4arch9wavefront6targetE0EEEvSM_
		.amdhsa_group_segment_fixed_size 0
		.amdhsa_private_segment_fixed_size 0
		.amdhsa_kernarg_size 56
		.amdhsa_user_sgpr_count 2
		.amdhsa_user_sgpr_dispatch_ptr 0
		.amdhsa_user_sgpr_queue_ptr 0
		.amdhsa_user_sgpr_kernarg_segment_ptr 1
		.amdhsa_user_sgpr_dispatch_id 0
		.amdhsa_user_sgpr_kernarg_preload_length 0
		.amdhsa_user_sgpr_kernarg_preload_offset 0
		.amdhsa_user_sgpr_private_segment_size 0
		.amdhsa_wavefront_size32 1
		.amdhsa_uses_dynamic_stack 0
		.amdhsa_enable_private_segment 0
		.amdhsa_system_sgpr_workgroup_id_x 1
		.amdhsa_system_sgpr_workgroup_id_y 0
		.amdhsa_system_sgpr_workgroup_id_z 0
		.amdhsa_system_sgpr_workgroup_info 0
		.amdhsa_system_vgpr_workitem_id 0
		.amdhsa_next_free_vgpr 1
		.amdhsa_next_free_sgpr 1
		.amdhsa_named_barrier_count 0
		.amdhsa_reserve_vcc 0
		.amdhsa_float_round_mode_32 0
		.amdhsa_float_round_mode_16_64 0
		.amdhsa_float_denorm_mode_32 3
		.amdhsa_float_denorm_mode_16_64 3
		.amdhsa_fp16_overflow 0
		.amdhsa_memory_ordered 1
		.amdhsa_forward_progress 1
		.amdhsa_inst_pref_size 0
		.amdhsa_round_robin_scheduling 0
		.amdhsa_exception_fp_ieee_invalid_op 0
		.amdhsa_exception_fp_denorm_src 0
		.amdhsa_exception_fp_ieee_div_zero 0
		.amdhsa_exception_fp_ieee_overflow 0
		.amdhsa_exception_fp_ieee_underflow 0
		.amdhsa_exception_fp_ieee_inexact 0
		.amdhsa_exception_int_div_zero 0
	.end_amdhsa_kernel
	.section	.text._ZN7rocprim17ROCPRIM_400000_NS6detail17trampoline_kernelINS0_14default_configENS1_38merge_sort_block_merge_config_selectorIlNS0_10empty_typeEEEZZNS1_27merge_sort_block_merge_implIS3_PlPS5_mZN2at6native12_GLOBAL__N_124unique_dim_cuda_templateIaEESt5tupleIJNSA_6TensorESF_SF_EERKSF_lbbbEUlllE_EE10hipError_tT0_T1_T2_jT3_P12ihipStream_tbPNSt15iterator_traitsISL_E10value_typeEPNSR_ISM_E10value_typeEPSN_NS1_7vsmem_tEENKUlT_SL_SM_SN_E_clIS8_S8_S9_S9_EESK_S10_SL_SM_SN_EUlS10_E_NS1_11comp_targetILNS1_3genE5ELNS1_11target_archE942ELNS1_3gpuE9ELNS1_3repE0EEENS1_48merge_mergepath_partition_config_static_selectorELNS0_4arch9wavefront6targetE0EEEvSM_,"axG",@progbits,_ZN7rocprim17ROCPRIM_400000_NS6detail17trampoline_kernelINS0_14default_configENS1_38merge_sort_block_merge_config_selectorIlNS0_10empty_typeEEEZZNS1_27merge_sort_block_merge_implIS3_PlPS5_mZN2at6native12_GLOBAL__N_124unique_dim_cuda_templateIaEESt5tupleIJNSA_6TensorESF_SF_EERKSF_lbbbEUlllE_EE10hipError_tT0_T1_T2_jT3_P12ihipStream_tbPNSt15iterator_traitsISL_E10value_typeEPNSR_ISM_E10value_typeEPSN_NS1_7vsmem_tEENKUlT_SL_SM_SN_E_clIS8_S8_S9_S9_EESK_S10_SL_SM_SN_EUlS10_E_NS1_11comp_targetILNS1_3genE5ELNS1_11target_archE942ELNS1_3gpuE9ELNS1_3repE0EEENS1_48merge_mergepath_partition_config_static_selectorELNS0_4arch9wavefront6targetE0EEEvSM_,comdat
.Lfunc_end272:
	.size	_ZN7rocprim17ROCPRIM_400000_NS6detail17trampoline_kernelINS0_14default_configENS1_38merge_sort_block_merge_config_selectorIlNS0_10empty_typeEEEZZNS1_27merge_sort_block_merge_implIS3_PlPS5_mZN2at6native12_GLOBAL__N_124unique_dim_cuda_templateIaEESt5tupleIJNSA_6TensorESF_SF_EERKSF_lbbbEUlllE_EE10hipError_tT0_T1_T2_jT3_P12ihipStream_tbPNSt15iterator_traitsISL_E10value_typeEPNSR_ISM_E10value_typeEPSN_NS1_7vsmem_tEENKUlT_SL_SM_SN_E_clIS8_S8_S9_S9_EESK_S10_SL_SM_SN_EUlS10_E_NS1_11comp_targetILNS1_3genE5ELNS1_11target_archE942ELNS1_3gpuE9ELNS1_3repE0EEENS1_48merge_mergepath_partition_config_static_selectorELNS0_4arch9wavefront6targetE0EEEvSM_, .Lfunc_end272-_ZN7rocprim17ROCPRIM_400000_NS6detail17trampoline_kernelINS0_14default_configENS1_38merge_sort_block_merge_config_selectorIlNS0_10empty_typeEEEZZNS1_27merge_sort_block_merge_implIS3_PlPS5_mZN2at6native12_GLOBAL__N_124unique_dim_cuda_templateIaEESt5tupleIJNSA_6TensorESF_SF_EERKSF_lbbbEUlllE_EE10hipError_tT0_T1_T2_jT3_P12ihipStream_tbPNSt15iterator_traitsISL_E10value_typeEPNSR_ISM_E10value_typeEPSN_NS1_7vsmem_tEENKUlT_SL_SM_SN_E_clIS8_S8_S9_S9_EESK_S10_SL_SM_SN_EUlS10_E_NS1_11comp_targetILNS1_3genE5ELNS1_11target_archE942ELNS1_3gpuE9ELNS1_3repE0EEENS1_48merge_mergepath_partition_config_static_selectorELNS0_4arch9wavefront6targetE0EEEvSM_
                                        ; -- End function
	.set _ZN7rocprim17ROCPRIM_400000_NS6detail17trampoline_kernelINS0_14default_configENS1_38merge_sort_block_merge_config_selectorIlNS0_10empty_typeEEEZZNS1_27merge_sort_block_merge_implIS3_PlPS5_mZN2at6native12_GLOBAL__N_124unique_dim_cuda_templateIaEESt5tupleIJNSA_6TensorESF_SF_EERKSF_lbbbEUlllE_EE10hipError_tT0_T1_T2_jT3_P12ihipStream_tbPNSt15iterator_traitsISL_E10value_typeEPNSR_ISM_E10value_typeEPSN_NS1_7vsmem_tEENKUlT_SL_SM_SN_E_clIS8_S8_S9_S9_EESK_S10_SL_SM_SN_EUlS10_E_NS1_11comp_targetILNS1_3genE5ELNS1_11target_archE942ELNS1_3gpuE9ELNS1_3repE0EEENS1_48merge_mergepath_partition_config_static_selectorELNS0_4arch9wavefront6targetE0EEEvSM_.num_vgpr, 0
	.set _ZN7rocprim17ROCPRIM_400000_NS6detail17trampoline_kernelINS0_14default_configENS1_38merge_sort_block_merge_config_selectorIlNS0_10empty_typeEEEZZNS1_27merge_sort_block_merge_implIS3_PlPS5_mZN2at6native12_GLOBAL__N_124unique_dim_cuda_templateIaEESt5tupleIJNSA_6TensorESF_SF_EERKSF_lbbbEUlllE_EE10hipError_tT0_T1_T2_jT3_P12ihipStream_tbPNSt15iterator_traitsISL_E10value_typeEPNSR_ISM_E10value_typeEPSN_NS1_7vsmem_tEENKUlT_SL_SM_SN_E_clIS8_S8_S9_S9_EESK_S10_SL_SM_SN_EUlS10_E_NS1_11comp_targetILNS1_3genE5ELNS1_11target_archE942ELNS1_3gpuE9ELNS1_3repE0EEENS1_48merge_mergepath_partition_config_static_selectorELNS0_4arch9wavefront6targetE0EEEvSM_.num_agpr, 0
	.set _ZN7rocprim17ROCPRIM_400000_NS6detail17trampoline_kernelINS0_14default_configENS1_38merge_sort_block_merge_config_selectorIlNS0_10empty_typeEEEZZNS1_27merge_sort_block_merge_implIS3_PlPS5_mZN2at6native12_GLOBAL__N_124unique_dim_cuda_templateIaEESt5tupleIJNSA_6TensorESF_SF_EERKSF_lbbbEUlllE_EE10hipError_tT0_T1_T2_jT3_P12ihipStream_tbPNSt15iterator_traitsISL_E10value_typeEPNSR_ISM_E10value_typeEPSN_NS1_7vsmem_tEENKUlT_SL_SM_SN_E_clIS8_S8_S9_S9_EESK_S10_SL_SM_SN_EUlS10_E_NS1_11comp_targetILNS1_3genE5ELNS1_11target_archE942ELNS1_3gpuE9ELNS1_3repE0EEENS1_48merge_mergepath_partition_config_static_selectorELNS0_4arch9wavefront6targetE0EEEvSM_.numbered_sgpr, 0
	.set _ZN7rocprim17ROCPRIM_400000_NS6detail17trampoline_kernelINS0_14default_configENS1_38merge_sort_block_merge_config_selectorIlNS0_10empty_typeEEEZZNS1_27merge_sort_block_merge_implIS3_PlPS5_mZN2at6native12_GLOBAL__N_124unique_dim_cuda_templateIaEESt5tupleIJNSA_6TensorESF_SF_EERKSF_lbbbEUlllE_EE10hipError_tT0_T1_T2_jT3_P12ihipStream_tbPNSt15iterator_traitsISL_E10value_typeEPNSR_ISM_E10value_typeEPSN_NS1_7vsmem_tEENKUlT_SL_SM_SN_E_clIS8_S8_S9_S9_EESK_S10_SL_SM_SN_EUlS10_E_NS1_11comp_targetILNS1_3genE5ELNS1_11target_archE942ELNS1_3gpuE9ELNS1_3repE0EEENS1_48merge_mergepath_partition_config_static_selectorELNS0_4arch9wavefront6targetE0EEEvSM_.num_named_barrier, 0
	.set _ZN7rocprim17ROCPRIM_400000_NS6detail17trampoline_kernelINS0_14default_configENS1_38merge_sort_block_merge_config_selectorIlNS0_10empty_typeEEEZZNS1_27merge_sort_block_merge_implIS3_PlPS5_mZN2at6native12_GLOBAL__N_124unique_dim_cuda_templateIaEESt5tupleIJNSA_6TensorESF_SF_EERKSF_lbbbEUlllE_EE10hipError_tT0_T1_T2_jT3_P12ihipStream_tbPNSt15iterator_traitsISL_E10value_typeEPNSR_ISM_E10value_typeEPSN_NS1_7vsmem_tEENKUlT_SL_SM_SN_E_clIS8_S8_S9_S9_EESK_S10_SL_SM_SN_EUlS10_E_NS1_11comp_targetILNS1_3genE5ELNS1_11target_archE942ELNS1_3gpuE9ELNS1_3repE0EEENS1_48merge_mergepath_partition_config_static_selectorELNS0_4arch9wavefront6targetE0EEEvSM_.private_seg_size, 0
	.set _ZN7rocprim17ROCPRIM_400000_NS6detail17trampoline_kernelINS0_14default_configENS1_38merge_sort_block_merge_config_selectorIlNS0_10empty_typeEEEZZNS1_27merge_sort_block_merge_implIS3_PlPS5_mZN2at6native12_GLOBAL__N_124unique_dim_cuda_templateIaEESt5tupleIJNSA_6TensorESF_SF_EERKSF_lbbbEUlllE_EE10hipError_tT0_T1_T2_jT3_P12ihipStream_tbPNSt15iterator_traitsISL_E10value_typeEPNSR_ISM_E10value_typeEPSN_NS1_7vsmem_tEENKUlT_SL_SM_SN_E_clIS8_S8_S9_S9_EESK_S10_SL_SM_SN_EUlS10_E_NS1_11comp_targetILNS1_3genE5ELNS1_11target_archE942ELNS1_3gpuE9ELNS1_3repE0EEENS1_48merge_mergepath_partition_config_static_selectorELNS0_4arch9wavefront6targetE0EEEvSM_.uses_vcc, 0
	.set _ZN7rocprim17ROCPRIM_400000_NS6detail17trampoline_kernelINS0_14default_configENS1_38merge_sort_block_merge_config_selectorIlNS0_10empty_typeEEEZZNS1_27merge_sort_block_merge_implIS3_PlPS5_mZN2at6native12_GLOBAL__N_124unique_dim_cuda_templateIaEESt5tupleIJNSA_6TensorESF_SF_EERKSF_lbbbEUlllE_EE10hipError_tT0_T1_T2_jT3_P12ihipStream_tbPNSt15iterator_traitsISL_E10value_typeEPNSR_ISM_E10value_typeEPSN_NS1_7vsmem_tEENKUlT_SL_SM_SN_E_clIS8_S8_S9_S9_EESK_S10_SL_SM_SN_EUlS10_E_NS1_11comp_targetILNS1_3genE5ELNS1_11target_archE942ELNS1_3gpuE9ELNS1_3repE0EEENS1_48merge_mergepath_partition_config_static_selectorELNS0_4arch9wavefront6targetE0EEEvSM_.uses_flat_scratch, 0
	.set _ZN7rocprim17ROCPRIM_400000_NS6detail17trampoline_kernelINS0_14default_configENS1_38merge_sort_block_merge_config_selectorIlNS0_10empty_typeEEEZZNS1_27merge_sort_block_merge_implIS3_PlPS5_mZN2at6native12_GLOBAL__N_124unique_dim_cuda_templateIaEESt5tupleIJNSA_6TensorESF_SF_EERKSF_lbbbEUlllE_EE10hipError_tT0_T1_T2_jT3_P12ihipStream_tbPNSt15iterator_traitsISL_E10value_typeEPNSR_ISM_E10value_typeEPSN_NS1_7vsmem_tEENKUlT_SL_SM_SN_E_clIS8_S8_S9_S9_EESK_S10_SL_SM_SN_EUlS10_E_NS1_11comp_targetILNS1_3genE5ELNS1_11target_archE942ELNS1_3gpuE9ELNS1_3repE0EEENS1_48merge_mergepath_partition_config_static_selectorELNS0_4arch9wavefront6targetE0EEEvSM_.has_dyn_sized_stack, 0
	.set _ZN7rocprim17ROCPRIM_400000_NS6detail17trampoline_kernelINS0_14default_configENS1_38merge_sort_block_merge_config_selectorIlNS0_10empty_typeEEEZZNS1_27merge_sort_block_merge_implIS3_PlPS5_mZN2at6native12_GLOBAL__N_124unique_dim_cuda_templateIaEESt5tupleIJNSA_6TensorESF_SF_EERKSF_lbbbEUlllE_EE10hipError_tT0_T1_T2_jT3_P12ihipStream_tbPNSt15iterator_traitsISL_E10value_typeEPNSR_ISM_E10value_typeEPSN_NS1_7vsmem_tEENKUlT_SL_SM_SN_E_clIS8_S8_S9_S9_EESK_S10_SL_SM_SN_EUlS10_E_NS1_11comp_targetILNS1_3genE5ELNS1_11target_archE942ELNS1_3gpuE9ELNS1_3repE0EEENS1_48merge_mergepath_partition_config_static_selectorELNS0_4arch9wavefront6targetE0EEEvSM_.has_recursion, 0
	.set _ZN7rocprim17ROCPRIM_400000_NS6detail17trampoline_kernelINS0_14default_configENS1_38merge_sort_block_merge_config_selectorIlNS0_10empty_typeEEEZZNS1_27merge_sort_block_merge_implIS3_PlPS5_mZN2at6native12_GLOBAL__N_124unique_dim_cuda_templateIaEESt5tupleIJNSA_6TensorESF_SF_EERKSF_lbbbEUlllE_EE10hipError_tT0_T1_T2_jT3_P12ihipStream_tbPNSt15iterator_traitsISL_E10value_typeEPNSR_ISM_E10value_typeEPSN_NS1_7vsmem_tEENKUlT_SL_SM_SN_E_clIS8_S8_S9_S9_EESK_S10_SL_SM_SN_EUlS10_E_NS1_11comp_targetILNS1_3genE5ELNS1_11target_archE942ELNS1_3gpuE9ELNS1_3repE0EEENS1_48merge_mergepath_partition_config_static_selectorELNS0_4arch9wavefront6targetE0EEEvSM_.has_indirect_call, 0
	.section	.AMDGPU.csdata,"",@progbits
; Kernel info:
; codeLenInByte = 0
; TotalNumSgprs: 0
; NumVgprs: 0
; ScratchSize: 0
; MemoryBound: 0
; FloatMode: 240
; IeeeMode: 1
; LDSByteSize: 0 bytes/workgroup (compile time only)
; SGPRBlocks: 0
; VGPRBlocks: 0
; NumSGPRsForWavesPerEU: 1
; NumVGPRsForWavesPerEU: 1
; NamedBarCnt: 0
; Occupancy: 16
; WaveLimiterHint : 0
; COMPUTE_PGM_RSRC2:SCRATCH_EN: 0
; COMPUTE_PGM_RSRC2:USER_SGPR: 2
; COMPUTE_PGM_RSRC2:TRAP_HANDLER: 0
; COMPUTE_PGM_RSRC2:TGID_X_EN: 1
; COMPUTE_PGM_RSRC2:TGID_Y_EN: 0
; COMPUTE_PGM_RSRC2:TGID_Z_EN: 0
; COMPUTE_PGM_RSRC2:TIDIG_COMP_CNT: 0
	.section	.text._ZN7rocprim17ROCPRIM_400000_NS6detail17trampoline_kernelINS0_14default_configENS1_38merge_sort_block_merge_config_selectorIlNS0_10empty_typeEEEZZNS1_27merge_sort_block_merge_implIS3_PlPS5_mZN2at6native12_GLOBAL__N_124unique_dim_cuda_templateIaEESt5tupleIJNSA_6TensorESF_SF_EERKSF_lbbbEUlllE_EE10hipError_tT0_T1_T2_jT3_P12ihipStream_tbPNSt15iterator_traitsISL_E10value_typeEPNSR_ISM_E10value_typeEPSN_NS1_7vsmem_tEENKUlT_SL_SM_SN_E_clIS8_S8_S9_S9_EESK_S10_SL_SM_SN_EUlS10_E_NS1_11comp_targetILNS1_3genE4ELNS1_11target_archE910ELNS1_3gpuE8ELNS1_3repE0EEENS1_48merge_mergepath_partition_config_static_selectorELNS0_4arch9wavefront6targetE0EEEvSM_,"axG",@progbits,_ZN7rocprim17ROCPRIM_400000_NS6detail17trampoline_kernelINS0_14default_configENS1_38merge_sort_block_merge_config_selectorIlNS0_10empty_typeEEEZZNS1_27merge_sort_block_merge_implIS3_PlPS5_mZN2at6native12_GLOBAL__N_124unique_dim_cuda_templateIaEESt5tupleIJNSA_6TensorESF_SF_EERKSF_lbbbEUlllE_EE10hipError_tT0_T1_T2_jT3_P12ihipStream_tbPNSt15iterator_traitsISL_E10value_typeEPNSR_ISM_E10value_typeEPSN_NS1_7vsmem_tEENKUlT_SL_SM_SN_E_clIS8_S8_S9_S9_EESK_S10_SL_SM_SN_EUlS10_E_NS1_11comp_targetILNS1_3genE4ELNS1_11target_archE910ELNS1_3gpuE8ELNS1_3repE0EEENS1_48merge_mergepath_partition_config_static_selectorELNS0_4arch9wavefront6targetE0EEEvSM_,comdat
	.globl	_ZN7rocprim17ROCPRIM_400000_NS6detail17trampoline_kernelINS0_14default_configENS1_38merge_sort_block_merge_config_selectorIlNS0_10empty_typeEEEZZNS1_27merge_sort_block_merge_implIS3_PlPS5_mZN2at6native12_GLOBAL__N_124unique_dim_cuda_templateIaEESt5tupleIJNSA_6TensorESF_SF_EERKSF_lbbbEUlllE_EE10hipError_tT0_T1_T2_jT3_P12ihipStream_tbPNSt15iterator_traitsISL_E10value_typeEPNSR_ISM_E10value_typeEPSN_NS1_7vsmem_tEENKUlT_SL_SM_SN_E_clIS8_S8_S9_S9_EESK_S10_SL_SM_SN_EUlS10_E_NS1_11comp_targetILNS1_3genE4ELNS1_11target_archE910ELNS1_3gpuE8ELNS1_3repE0EEENS1_48merge_mergepath_partition_config_static_selectorELNS0_4arch9wavefront6targetE0EEEvSM_ ; -- Begin function _ZN7rocprim17ROCPRIM_400000_NS6detail17trampoline_kernelINS0_14default_configENS1_38merge_sort_block_merge_config_selectorIlNS0_10empty_typeEEEZZNS1_27merge_sort_block_merge_implIS3_PlPS5_mZN2at6native12_GLOBAL__N_124unique_dim_cuda_templateIaEESt5tupleIJNSA_6TensorESF_SF_EERKSF_lbbbEUlllE_EE10hipError_tT0_T1_T2_jT3_P12ihipStream_tbPNSt15iterator_traitsISL_E10value_typeEPNSR_ISM_E10value_typeEPSN_NS1_7vsmem_tEENKUlT_SL_SM_SN_E_clIS8_S8_S9_S9_EESK_S10_SL_SM_SN_EUlS10_E_NS1_11comp_targetILNS1_3genE4ELNS1_11target_archE910ELNS1_3gpuE8ELNS1_3repE0EEENS1_48merge_mergepath_partition_config_static_selectorELNS0_4arch9wavefront6targetE0EEEvSM_
	.p2align	8
	.type	_ZN7rocprim17ROCPRIM_400000_NS6detail17trampoline_kernelINS0_14default_configENS1_38merge_sort_block_merge_config_selectorIlNS0_10empty_typeEEEZZNS1_27merge_sort_block_merge_implIS3_PlPS5_mZN2at6native12_GLOBAL__N_124unique_dim_cuda_templateIaEESt5tupleIJNSA_6TensorESF_SF_EERKSF_lbbbEUlllE_EE10hipError_tT0_T1_T2_jT3_P12ihipStream_tbPNSt15iterator_traitsISL_E10value_typeEPNSR_ISM_E10value_typeEPSN_NS1_7vsmem_tEENKUlT_SL_SM_SN_E_clIS8_S8_S9_S9_EESK_S10_SL_SM_SN_EUlS10_E_NS1_11comp_targetILNS1_3genE4ELNS1_11target_archE910ELNS1_3gpuE8ELNS1_3repE0EEENS1_48merge_mergepath_partition_config_static_selectorELNS0_4arch9wavefront6targetE0EEEvSM_,@function
_ZN7rocprim17ROCPRIM_400000_NS6detail17trampoline_kernelINS0_14default_configENS1_38merge_sort_block_merge_config_selectorIlNS0_10empty_typeEEEZZNS1_27merge_sort_block_merge_implIS3_PlPS5_mZN2at6native12_GLOBAL__N_124unique_dim_cuda_templateIaEESt5tupleIJNSA_6TensorESF_SF_EERKSF_lbbbEUlllE_EE10hipError_tT0_T1_T2_jT3_P12ihipStream_tbPNSt15iterator_traitsISL_E10value_typeEPNSR_ISM_E10value_typeEPSN_NS1_7vsmem_tEENKUlT_SL_SM_SN_E_clIS8_S8_S9_S9_EESK_S10_SL_SM_SN_EUlS10_E_NS1_11comp_targetILNS1_3genE4ELNS1_11target_archE910ELNS1_3gpuE8ELNS1_3repE0EEENS1_48merge_mergepath_partition_config_static_selectorELNS0_4arch9wavefront6targetE0EEEvSM_: ; @_ZN7rocprim17ROCPRIM_400000_NS6detail17trampoline_kernelINS0_14default_configENS1_38merge_sort_block_merge_config_selectorIlNS0_10empty_typeEEEZZNS1_27merge_sort_block_merge_implIS3_PlPS5_mZN2at6native12_GLOBAL__N_124unique_dim_cuda_templateIaEESt5tupleIJNSA_6TensorESF_SF_EERKSF_lbbbEUlllE_EE10hipError_tT0_T1_T2_jT3_P12ihipStream_tbPNSt15iterator_traitsISL_E10value_typeEPNSR_ISM_E10value_typeEPSN_NS1_7vsmem_tEENKUlT_SL_SM_SN_E_clIS8_S8_S9_S9_EESK_S10_SL_SM_SN_EUlS10_E_NS1_11comp_targetILNS1_3genE4ELNS1_11target_archE910ELNS1_3gpuE8ELNS1_3repE0EEENS1_48merge_mergepath_partition_config_static_selectorELNS0_4arch9wavefront6targetE0EEEvSM_
; %bb.0:
	.section	.rodata,"a",@progbits
	.p2align	6, 0x0
	.amdhsa_kernel _ZN7rocprim17ROCPRIM_400000_NS6detail17trampoline_kernelINS0_14default_configENS1_38merge_sort_block_merge_config_selectorIlNS0_10empty_typeEEEZZNS1_27merge_sort_block_merge_implIS3_PlPS5_mZN2at6native12_GLOBAL__N_124unique_dim_cuda_templateIaEESt5tupleIJNSA_6TensorESF_SF_EERKSF_lbbbEUlllE_EE10hipError_tT0_T1_T2_jT3_P12ihipStream_tbPNSt15iterator_traitsISL_E10value_typeEPNSR_ISM_E10value_typeEPSN_NS1_7vsmem_tEENKUlT_SL_SM_SN_E_clIS8_S8_S9_S9_EESK_S10_SL_SM_SN_EUlS10_E_NS1_11comp_targetILNS1_3genE4ELNS1_11target_archE910ELNS1_3gpuE8ELNS1_3repE0EEENS1_48merge_mergepath_partition_config_static_selectorELNS0_4arch9wavefront6targetE0EEEvSM_
		.amdhsa_group_segment_fixed_size 0
		.amdhsa_private_segment_fixed_size 0
		.amdhsa_kernarg_size 56
		.amdhsa_user_sgpr_count 2
		.amdhsa_user_sgpr_dispatch_ptr 0
		.amdhsa_user_sgpr_queue_ptr 0
		.amdhsa_user_sgpr_kernarg_segment_ptr 1
		.amdhsa_user_sgpr_dispatch_id 0
		.amdhsa_user_sgpr_kernarg_preload_length 0
		.amdhsa_user_sgpr_kernarg_preload_offset 0
		.amdhsa_user_sgpr_private_segment_size 0
		.amdhsa_wavefront_size32 1
		.amdhsa_uses_dynamic_stack 0
		.amdhsa_enable_private_segment 0
		.amdhsa_system_sgpr_workgroup_id_x 1
		.amdhsa_system_sgpr_workgroup_id_y 0
		.amdhsa_system_sgpr_workgroup_id_z 0
		.amdhsa_system_sgpr_workgroup_info 0
		.amdhsa_system_vgpr_workitem_id 0
		.amdhsa_next_free_vgpr 1
		.amdhsa_next_free_sgpr 1
		.amdhsa_named_barrier_count 0
		.amdhsa_reserve_vcc 0
		.amdhsa_float_round_mode_32 0
		.amdhsa_float_round_mode_16_64 0
		.amdhsa_float_denorm_mode_32 3
		.amdhsa_float_denorm_mode_16_64 3
		.amdhsa_fp16_overflow 0
		.amdhsa_memory_ordered 1
		.amdhsa_forward_progress 1
		.amdhsa_inst_pref_size 0
		.amdhsa_round_robin_scheduling 0
		.amdhsa_exception_fp_ieee_invalid_op 0
		.amdhsa_exception_fp_denorm_src 0
		.amdhsa_exception_fp_ieee_div_zero 0
		.amdhsa_exception_fp_ieee_overflow 0
		.amdhsa_exception_fp_ieee_underflow 0
		.amdhsa_exception_fp_ieee_inexact 0
		.amdhsa_exception_int_div_zero 0
	.end_amdhsa_kernel
	.section	.text._ZN7rocprim17ROCPRIM_400000_NS6detail17trampoline_kernelINS0_14default_configENS1_38merge_sort_block_merge_config_selectorIlNS0_10empty_typeEEEZZNS1_27merge_sort_block_merge_implIS3_PlPS5_mZN2at6native12_GLOBAL__N_124unique_dim_cuda_templateIaEESt5tupleIJNSA_6TensorESF_SF_EERKSF_lbbbEUlllE_EE10hipError_tT0_T1_T2_jT3_P12ihipStream_tbPNSt15iterator_traitsISL_E10value_typeEPNSR_ISM_E10value_typeEPSN_NS1_7vsmem_tEENKUlT_SL_SM_SN_E_clIS8_S8_S9_S9_EESK_S10_SL_SM_SN_EUlS10_E_NS1_11comp_targetILNS1_3genE4ELNS1_11target_archE910ELNS1_3gpuE8ELNS1_3repE0EEENS1_48merge_mergepath_partition_config_static_selectorELNS0_4arch9wavefront6targetE0EEEvSM_,"axG",@progbits,_ZN7rocprim17ROCPRIM_400000_NS6detail17trampoline_kernelINS0_14default_configENS1_38merge_sort_block_merge_config_selectorIlNS0_10empty_typeEEEZZNS1_27merge_sort_block_merge_implIS3_PlPS5_mZN2at6native12_GLOBAL__N_124unique_dim_cuda_templateIaEESt5tupleIJNSA_6TensorESF_SF_EERKSF_lbbbEUlllE_EE10hipError_tT0_T1_T2_jT3_P12ihipStream_tbPNSt15iterator_traitsISL_E10value_typeEPNSR_ISM_E10value_typeEPSN_NS1_7vsmem_tEENKUlT_SL_SM_SN_E_clIS8_S8_S9_S9_EESK_S10_SL_SM_SN_EUlS10_E_NS1_11comp_targetILNS1_3genE4ELNS1_11target_archE910ELNS1_3gpuE8ELNS1_3repE0EEENS1_48merge_mergepath_partition_config_static_selectorELNS0_4arch9wavefront6targetE0EEEvSM_,comdat
.Lfunc_end273:
	.size	_ZN7rocprim17ROCPRIM_400000_NS6detail17trampoline_kernelINS0_14default_configENS1_38merge_sort_block_merge_config_selectorIlNS0_10empty_typeEEEZZNS1_27merge_sort_block_merge_implIS3_PlPS5_mZN2at6native12_GLOBAL__N_124unique_dim_cuda_templateIaEESt5tupleIJNSA_6TensorESF_SF_EERKSF_lbbbEUlllE_EE10hipError_tT0_T1_T2_jT3_P12ihipStream_tbPNSt15iterator_traitsISL_E10value_typeEPNSR_ISM_E10value_typeEPSN_NS1_7vsmem_tEENKUlT_SL_SM_SN_E_clIS8_S8_S9_S9_EESK_S10_SL_SM_SN_EUlS10_E_NS1_11comp_targetILNS1_3genE4ELNS1_11target_archE910ELNS1_3gpuE8ELNS1_3repE0EEENS1_48merge_mergepath_partition_config_static_selectorELNS0_4arch9wavefront6targetE0EEEvSM_, .Lfunc_end273-_ZN7rocprim17ROCPRIM_400000_NS6detail17trampoline_kernelINS0_14default_configENS1_38merge_sort_block_merge_config_selectorIlNS0_10empty_typeEEEZZNS1_27merge_sort_block_merge_implIS3_PlPS5_mZN2at6native12_GLOBAL__N_124unique_dim_cuda_templateIaEESt5tupleIJNSA_6TensorESF_SF_EERKSF_lbbbEUlllE_EE10hipError_tT0_T1_T2_jT3_P12ihipStream_tbPNSt15iterator_traitsISL_E10value_typeEPNSR_ISM_E10value_typeEPSN_NS1_7vsmem_tEENKUlT_SL_SM_SN_E_clIS8_S8_S9_S9_EESK_S10_SL_SM_SN_EUlS10_E_NS1_11comp_targetILNS1_3genE4ELNS1_11target_archE910ELNS1_3gpuE8ELNS1_3repE0EEENS1_48merge_mergepath_partition_config_static_selectorELNS0_4arch9wavefront6targetE0EEEvSM_
                                        ; -- End function
	.set _ZN7rocprim17ROCPRIM_400000_NS6detail17trampoline_kernelINS0_14default_configENS1_38merge_sort_block_merge_config_selectorIlNS0_10empty_typeEEEZZNS1_27merge_sort_block_merge_implIS3_PlPS5_mZN2at6native12_GLOBAL__N_124unique_dim_cuda_templateIaEESt5tupleIJNSA_6TensorESF_SF_EERKSF_lbbbEUlllE_EE10hipError_tT0_T1_T2_jT3_P12ihipStream_tbPNSt15iterator_traitsISL_E10value_typeEPNSR_ISM_E10value_typeEPSN_NS1_7vsmem_tEENKUlT_SL_SM_SN_E_clIS8_S8_S9_S9_EESK_S10_SL_SM_SN_EUlS10_E_NS1_11comp_targetILNS1_3genE4ELNS1_11target_archE910ELNS1_3gpuE8ELNS1_3repE0EEENS1_48merge_mergepath_partition_config_static_selectorELNS0_4arch9wavefront6targetE0EEEvSM_.num_vgpr, 0
	.set _ZN7rocprim17ROCPRIM_400000_NS6detail17trampoline_kernelINS0_14default_configENS1_38merge_sort_block_merge_config_selectorIlNS0_10empty_typeEEEZZNS1_27merge_sort_block_merge_implIS3_PlPS5_mZN2at6native12_GLOBAL__N_124unique_dim_cuda_templateIaEESt5tupleIJNSA_6TensorESF_SF_EERKSF_lbbbEUlllE_EE10hipError_tT0_T1_T2_jT3_P12ihipStream_tbPNSt15iterator_traitsISL_E10value_typeEPNSR_ISM_E10value_typeEPSN_NS1_7vsmem_tEENKUlT_SL_SM_SN_E_clIS8_S8_S9_S9_EESK_S10_SL_SM_SN_EUlS10_E_NS1_11comp_targetILNS1_3genE4ELNS1_11target_archE910ELNS1_3gpuE8ELNS1_3repE0EEENS1_48merge_mergepath_partition_config_static_selectorELNS0_4arch9wavefront6targetE0EEEvSM_.num_agpr, 0
	.set _ZN7rocprim17ROCPRIM_400000_NS6detail17trampoline_kernelINS0_14default_configENS1_38merge_sort_block_merge_config_selectorIlNS0_10empty_typeEEEZZNS1_27merge_sort_block_merge_implIS3_PlPS5_mZN2at6native12_GLOBAL__N_124unique_dim_cuda_templateIaEESt5tupleIJNSA_6TensorESF_SF_EERKSF_lbbbEUlllE_EE10hipError_tT0_T1_T2_jT3_P12ihipStream_tbPNSt15iterator_traitsISL_E10value_typeEPNSR_ISM_E10value_typeEPSN_NS1_7vsmem_tEENKUlT_SL_SM_SN_E_clIS8_S8_S9_S9_EESK_S10_SL_SM_SN_EUlS10_E_NS1_11comp_targetILNS1_3genE4ELNS1_11target_archE910ELNS1_3gpuE8ELNS1_3repE0EEENS1_48merge_mergepath_partition_config_static_selectorELNS0_4arch9wavefront6targetE0EEEvSM_.numbered_sgpr, 0
	.set _ZN7rocprim17ROCPRIM_400000_NS6detail17trampoline_kernelINS0_14default_configENS1_38merge_sort_block_merge_config_selectorIlNS0_10empty_typeEEEZZNS1_27merge_sort_block_merge_implIS3_PlPS5_mZN2at6native12_GLOBAL__N_124unique_dim_cuda_templateIaEESt5tupleIJNSA_6TensorESF_SF_EERKSF_lbbbEUlllE_EE10hipError_tT0_T1_T2_jT3_P12ihipStream_tbPNSt15iterator_traitsISL_E10value_typeEPNSR_ISM_E10value_typeEPSN_NS1_7vsmem_tEENKUlT_SL_SM_SN_E_clIS8_S8_S9_S9_EESK_S10_SL_SM_SN_EUlS10_E_NS1_11comp_targetILNS1_3genE4ELNS1_11target_archE910ELNS1_3gpuE8ELNS1_3repE0EEENS1_48merge_mergepath_partition_config_static_selectorELNS0_4arch9wavefront6targetE0EEEvSM_.num_named_barrier, 0
	.set _ZN7rocprim17ROCPRIM_400000_NS6detail17trampoline_kernelINS0_14default_configENS1_38merge_sort_block_merge_config_selectorIlNS0_10empty_typeEEEZZNS1_27merge_sort_block_merge_implIS3_PlPS5_mZN2at6native12_GLOBAL__N_124unique_dim_cuda_templateIaEESt5tupleIJNSA_6TensorESF_SF_EERKSF_lbbbEUlllE_EE10hipError_tT0_T1_T2_jT3_P12ihipStream_tbPNSt15iterator_traitsISL_E10value_typeEPNSR_ISM_E10value_typeEPSN_NS1_7vsmem_tEENKUlT_SL_SM_SN_E_clIS8_S8_S9_S9_EESK_S10_SL_SM_SN_EUlS10_E_NS1_11comp_targetILNS1_3genE4ELNS1_11target_archE910ELNS1_3gpuE8ELNS1_3repE0EEENS1_48merge_mergepath_partition_config_static_selectorELNS0_4arch9wavefront6targetE0EEEvSM_.private_seg_size, 0
	.set _ZN7rocprim17ROCPRIM_400000_NS6detail17trampoline_kernelINS0_14default_configENS1_38merge_sort_block_merge_config_selectorIlNS0_10empty_typeEEEZZNS1_27merge_sort_block_merge_implIS3_PlPS5_mZN2at6native12_GLOBAL__N_124unique_dim_cuda_templateIaEESt5tupleIJNSA_6TensorESF_SF_EERKSF_lbbbEUlllE_EE10hipError_tT0_T1_T2_jT3_P12ihipStream_tbPNSt15iterator_traitsISL_E10value_typeEPNSR_ISM_E10value_typeEPSN_NS1_7vsmem_tEENKUlT_SL_SM_SN_E_clIS8_S8_S9_S9_EESK_S10_SL_SM_SN_EUlS10_E_NS1_11comp_targetILNS1_3genE4ELNS1_11target_archE910ELNS1_3gpuE8ELNS1_3repE0EEENS1_48merge_mergepath_partition_config_static_selectorELNS0_4arch9wavefront6targetE0EEEvSM_.uses_vcc, 0
	.set _ZN7rocprim17ROCPRIM_400000_NS6detail17trampoline_kernelINS0_14default_configENS1_38merge_sort_block_merge_config_selectorIlNS0_10empty_typeEEEZZNS1_27merge_sort_block_merge_implIS3_PlPS5_mZN2at6native12_GLOBAL__N_124unique_dim_cuda_templateIaEESt5tupleIJNSA_6TensorESF_SF_EERKSF_lbbbEUlllE_EE10hipError_tT0_T1_T2_jT3_P12ihipStream_tbPNSt15iterator_traitsISL_E10value_typeEPNSR_ISM_E10value_typeEPSN_NS1_7vsmem_tEENKUlT_SL_SM_SN_E_clIS8_S8_S9_S9_EESK_S10_SL_SM_SN_EUlS10_E_NS1_11comp_targetILNS1_3genE4ELNS1_11target_archE910ELNS1_3gpuE8ELNS1_3repE0EEENS1_48merge_mergepath_partition_config_static_selectorELNS0_4arch9wavefront6targetE0EEEvSM_.uses_flat_scratch, 0
	.set _ZN7rocprim17ROCPRIM_400000_NS6detail17trampoline_kernelINS0_14default_configENS1_38merge_sort_block_merge_config_selectorIlNS0_10empty_typeEEEZZNS1_27merge_sort_block_merge_implIS3_PlPS5_mZN2at6native12_GLOBAL__N_124unique_dim_cuda_templateIaEESt5tupleIJNSA_6TensorESF_SF_EERKSF_lbbbEUlllE_EE10hipError_tT0_T1_T2_jT3_P12ihipStream_tbPNSt15iterator_traitsISL_E10value_typeEPNSR_ISM_E10value_typeEPSN_NS1_7vsmem_tEENKUlT_SL_SM_SN_E_clIS8_S8_S9_S9_EESK_S10_SL_SM_SN_EUlS10_E_NS1_11comp_targetILNS1_3genE4ELNS1_11target_archE910ELNS1_3gpuE8ELNS1_3repE0EEENS1_48merge_mergepath_partition_config_static_selectorELNS0_4arch9wavefront6targetE0EEEvSM_.has_dyn_sized_stack, 0
	.set _ZN7rocprim17ROCPRIM_400000_NS6detail17trampoline_kernelINS0_14default_configENS1_38merge_sort_block_merge_config_selectorIlNS0_10empty_typeEEEZZNS1_27merge_sort_block_merge_implIS3_PlPS5_mZN2at6native12_GLOBAL__N_124unique_dim_cuda_templateIaEESt5tupleIJNSA_6TensorESF_SF_EERKSF_lbbbEUlllE_EE10hipError_tT0_T1_T2_jT3_P12ihipStream_tbPNSt15iterator_traitsISL_E10value_typeEPNSR_ISM_E10value_typeEPSN_NS1_7vsmem_tEENKUlT_SL_SM_SN_E_clIS8_S8_S9_S9_EESK_S10_SL_SM_SN_EUlS10_E_NS1_11comp_targetILNS1_3genE4ELNS1_11target_archE910ELNS1_3gpuE8ELNS1_3repE0EEENS1_48merge_mergepath_partition_config_static_selectorELNS0_4arch9wavefront6targetE0EEEvSM_.has_recursion, 0
	.set _ZN7rocprim17ROCPRIM_400000_NS6detail17trampoline_kernelINS0_14default_configENS1_38merge_sort_block_merge_config_selectorIlNS0_10empty_typeEEEZZNS1_27merge_sort_block_merge_implIS3_PlPS5_mZN2at6native12_GLOBAL__N_124unique_dim_cuda_templateIaEESt5tupleIJNSA_6TensorESF_SF_EERKSF_lbbbEUlllE_EE10hipError_tT0_T1_T2_jT3_P12ihipStream_tbPNSt15iterator_traitsISL_E10value_typeEPNSR_ISM_E10value_typeEPSN_NS1_7vsmem_tEENKUlT_SL_SM_SN_E_clIS8_S8_S9_S9_EESK_S10_SL_SM_SN_EUlS10_E_NS1_11comp_targetILNS1_3genE4ELNS1_11target_archE910ELNS1_3gpuE8ELNS1_3repE0EEENS1_48merge_mergepath_partition_config_static_selectorELNS0_4arch9wavefront6targetE0EEEvSM_.has_indirect_call, 0
	.section	.AMDGPU.csdata,"",@progbits
; Kernel info:
; codeLenInByte = 0
; TotalNumSgprs: 0
; NumVgprs: 0
; ScratchSize: 0
; MemoryBound: 0
; FloatMode: 240
; IeeeMode: 1
; LDSByteSize: 0 bytes/workgroup (compile time only)
; SGPRBlocks: 0
; VGPRBlocks: 0
; NumSGPRsForWavesPerEU: 1
; NumVGPRsForWavesPerEU: 1
; NamedBarCnt: 0
; Occupancy: 16
; WaveLimiterHint : 0
; COMPUTE_PGM_RSRC2:SCRATCH_EN: 0
; COMPUTE_PGM_RSRC2:USER_SGPR: 2
; COMPUTE_PGM_RSRC2:TRAP_HANDLER: 0
; COMPUTE_PGM_RSRC2:TGID_X_EN: 1
; COMPUTE_PGM_RSRC2:TGID_Y_EN: 0
; COMPUTE_PGM_RSRC2:TGID_Z_EN: 0
; COMPUTE_PGM_RSRC2:TIDIG_COMP_CNT: 0
	.section	.text._ZN7rocprim17ROCPRIM_400000_NS6detail17trampoline_kernelINS0_14default_configENS1_38merge_sort_block_merge_config_selectorIlNS0_10empty_typeEEEZZNS1_27merge_sort_block_merge_implIS3_PlPS5_mZN2at6native12_GLOBAL__N_124unique_dim_cuda_templateIaEESt5tupleIJNSA_6TensorESF_SF_EERKSF_lbbbEUlllE_EE10hipError_tT0_T1_T2_jT3_P12ihipStream_tbPNSt15iterator_traitsISL_E10value_typeEPNSR_ISM_E10value_typeEPSN_NS1_7vsmem_tEENKUlT_SL_SM_SN_E_clIS8_S8_S9_S9_EESK_S10_SL_SM_SN_EUlS10_E_NS1_11comp_targetILNS1_3genE3ELNS1_11target_archE908ELNS1_3gpuE7ELNS1_3repE0EEENS1_48merge_mergepath_partition_config_static_selectorELNS0_4arch9wavefront6targetE0EEEvSM_,"axG",@progbits,_ZN7rocprim17ROCPRIM_400000_NS6detail17trampoline_kernelINS0_14default_configENS1_38merge_sort_block_merge_config_selectorIlNS0_10empty_typeEEEZZNS1_27merge_sort_block_merge_implIS3_PlPS5_mZN2at6native12_GLOBAL__N_124unique_dim_cuda_templateIaEESt5tupleIJNSA_6TensorESF_SF_EERKSF_lbbbEUlllE_EE10hipError_tT0_T1_T2_jT3_P12ihipStream_tbPNSt15iterator_traitsISL_E10value_typeEPNSR_ISM_E10value_typeEPSN_NS1_7vsmem_tEENKUlT_SL_SM_SN_E_clIS8_S8_S9_S9_EESK_S10_SL_SM_SN_EUlS10_E_NS1_11comp_targetILNS1_3genE3ELNS1_11target_archE908ELNS1_3gpuE7ELNS1_3repE0EEENS1_48merge_mergepath_partition_config_static_selectorELNS0_4arch9wavefront6targetE0EEEvSM_,comdat
	.globl	_ZN7rocprim17ROCPRIM_400000_NS6detail17trampoline_kernelINS0_14default_configENS1_38merge_sort_block_merge_config_selectorIlNS0_10empty_typeEEEZZNS1_27merge_sort_block_merge_implIS3_PlPS5_mZN2at6native12_GLOBAL__N_124unique_dim_cuda_templateIaEESt5tupleIJNSA_6TensorESF_SF_EERKSF_lbbbEUlllE_EE10hipError_tT0_T1_T2_jT3_P12ihipStream_tbPNSt15iterator_traitsISL_E10value_typeEPNSR_ISM_E10value_typeEPSN_NS1_7vsmem_tEENKUlT_SL_SM_SN_E_clIS8_S8_S9_S9_EESK_S10_SL_SM_SN_EUlS10_E_NS1_11comp_targetILNS1_3genE3ELNS1_11target_archE908ELNS1_3gpuE7ELNS1_3repE0EEENS1_48merge_mergepath_partition_config_static_selectorELNS0_4arch9wavefront6targetE0EEEvSM_ ; -- Begin function _ZN7rocprim17ROCPRIM_400000_NS6detail17trampoline_kernelINS0_14default_configENS1_38merge_sort_block_merge_config_selectorIlNS0_10empty_typeEEEZZNS1_27merge_sort_block_merge_implIS3_PlPS5_mZN2at6native12_GLOBAL__N_124unique_dim_cuda_templateIaEESt5tupleIJNSA_6TensorESF_SF_EERKSF_lbbbEUlllE_EE10hipError_tT0_T1_T2_jT3_P12ihipStream_tbPNSt15iterator_traitsISL_E10value_typeEPNSR_ISM_E10value_typeEPSN_NS1_7vsmem_tEENKUlT_SL_SM_SN_E_clIS8_S8_S9_S9_EESK_S10_SL_SM_SN_EUlS10_E_NS1_11comp_targetILNS1_3genE3ELNS1_11target_archE908ELNS1_3gpuE7ELNS1_3repE0EEENS1_48merge_mergepath_partition_config_static_selectorELNS0_4arch9wavefront6targetE0EEEvSM_
	.p2align	8
	.type	_ZN7rocprim17ROCPRIM_400000_NS6detail17trampoline_kernelINS0_14default_configENS1_38merge_sort_block_merge_config_selectorIlNS0_10empty_typeEEEZZNS1_27merge_sort_block_merge_implIS3_PlPS5_mZN2at6native12_GLOBAL__N_124unique_dim_cuda_templateIaEESt5tupleIJNSA_6TensorESF_SF_EERKSF_lbbbEUlllE_EE10hipError_tT0_T1_T2_jT3_P12ihipStream_tbPNSt15iterator_traitsISL_E10value_typeEPNSR_ISM_E10value_typeEPSN_NS1_7vsmem_tEENKUlT_SL_SM_SN_E_clIS8_S8_S9_S9_EESK_S10_SL_SM_SN_EUlS10_E_NS1_11comp_targetILNS1_3genE3ELNS1_11target_archE908ELNS1_3gpuE7ELNS1_3repE0EEENS1_48merge_mergepath_partition_config_static_selectorELNS0_4arch9wavefront6targetE0EEEvSM_,@function
_ZN7rocprim17ROCPRIM_400000_NS6detail17trampoline_kernelINS0_14default_configENS1_38merge_sort_block_merge_config_selectorIlNS0_10empty_typeEEEZZNS1_27merge_sort_block_merge_implIS3_PlPS5_mZN2at6native12_GLOBAL__N_124unique_dim_cuda_templateIaEESt5tupleIJNSA_6TensorESF_SF_EERKSF_lbbbEUlllE_EE10hipError_tT0_T1_T2_jT3_P12ihipStream_tbPNSt15iterator_traitsISL_E10value_typeEPNSR_ISM_E10value_typeEPSN_NS1_7vsmem_tEENKUlT_SL_SM_SN_E_clIS8_S8_S9_S9_EESK_S10_SL_SM_SN_EUlS10_E_NS1_11comp_targetILNS1_3genE3ELNS1_11target_archE908ELNS1_3gpuE7ELNS1_3repE0EEENS1_48merge_mergepath_partition_config_static_selectorELNS0_4arch9wavefront6targetE0EEEvSM_: ; @_ZN7rocprim17ROCPRIM_400000_NS6detail17trampoline_kernelINS0_14default_configENS1_38merge_sort_block_merge_config_selectorIlNS0_10empty_typeEEEZZNS1_27merge_sort_block_merge_implIS3_PlPS5_mZN2at6native12_GLOBAL__N_124unique_dim_cuda_templateIaEESt5tupleIJNSA_6TensorESF_SF_EERKSF_lbbbEUlllE_EE10hipError_tT0_T1_T2_jT3_P12ihipStream_tbPNSt15iterator_traitsISL_E10value_typeEPNSR_ISM_E10value_typeEPSN_NS1_7vsmem_tEENKUlT_SL_SM_SN_E_clIS8_S8_S9_S9_EESK_S10_SL_SM_SN_EUlS10_E_NS1_11comp_targetILNS1_3genE3ELNS1_11target_archE908ELNS1_3gpuE7ELNS1_3repE0EEENS1_48merge_mergepath_partition_config_static_selectorELNS0_4arch9wavefront6targetE0EEEvSM_
; %bb.0:
	.section	.rodata,"a",@progbits
	.p2align	6, 0x0
	.amdhsa_kernel _ZN7rocprim17ROCPRIM_400000_NS6detail17trampoline_kernelINS0_14default_configENS1_38merge_sort_block_merge_config_selectorIlNS0_10empty_typeEEEZZNS1_27merge_sort_block_merge_implIS3_PlPS5_mZN2at6native12_GLOBAL__N_124unique_dim_cuda_templateIaEESt5tupleIJNSA_6TensorESF_SF_EERKSF_lbbbEUlllE_EE10hipError_tT0_T1_T2_jT3_P12ihipStream_tbPNSt15iterator_traitsISL_E10value_typeEPNSR_ISM_E10value_typeEPSN_NS1_7vsmem_tEENKUlT_SL_SM_SN_E_clIS8_S8_S9_S9_EESK_S10_SL_SM_SN_EUlS10_E_NS1_11comp_targetILNS1_3genE3ELNS1_11target_archE908ELNS1_3gpuE7ELNS1_3repE0EEENS1_48merge_mergepath_partition_config_static_selectorELNS0_4arch9wavefront6targetE0EEEvSM_
		.amdhsa_group_segment_fixed_size 0
		.amdhsa_private_segment_fixed_size 0
		.amdhsa_kernarg_size 56
		.amdhsa_user_sgpr_count 2
		.amdhsa_user_sgpr_dispatch_ptr 0
		.amdhsa_user_sgpr_queue_ptr 0
		.amdhsa_user_sgpr_kernarg_segment_ptr 1
		.amdhsa_user_sgpr_dispatch_id 0
		.amdhsa_user_sgpr_kernarg_preload_length 0
		.amdhsa_user_sgpr_kernarg_preload_offset 0
		.amdhsa_user_sgpr_private_segment_size 0
		.amdhsa_wavefront_size32 1
		.amdhsa_uses_dynamic_stack 0
		.amdhsa_enable_private_segment 0
		.amdhsa_system_sgpr_workgroup_id_x 1
		.amdhsa_system_sgpr_workgroup_id_y 0
		.amdhsa_system_sgpr_workgroup_id_z 0
		.amdhsa_system_sgpr_workgroup_info 0
		.amdhsa_system_vgpr_workitem_id 0
		.amdhsa_next_free_vgpr 1
		.amdhsa_next_free_sgpr 1
		.amdhsa_named_barrier_count 0
		.amdhsa_reserve_vcc 0
		.amdhsa_float_round_mode_32 0
		.amdhsa_float_round_mode_16_64 0
		.amdhsa_float_denorm_mode_32 3
		.amdhsa_float_denorm_mode_16_64 3
		.amdhsa_fp16_overflow 0
		.amdhsa_memory_ordered 1
		.amdhsa_forward_progress 1
		.amdhsa_inst_pref_size 0
		.amdhsa_round_robin_scheduling 0
		.amdhsa_exception_fp_ieee_invalid_op 0
		.amdhsa_exception_fp_denorm_src 0
		.amdhsa_exception_fp_ieee_div_zero 0
		.amdhsa_exception_fp_ieee_overflow 0
		.amdhsa_exception_fp_ieee_underflow 0
		.amdhsa_exception_fp_ieee_inexact 0
		.amdhsa_exception_int_div_zero 0
	.end_amdhsa_kernel
	.section	.text._ZN7rocprim17ROCPRIM_400000_NS6detail17trampoline_kernelINS0_14default_configENS1_38merge_sort_block_merge_config_selectorIlNS0_10empty_typeEEEZZNS1_27merge_sort_block_merge_implIS3_PlPS5_mZN2at6native12_GLOBAL__N_124unique_dim_cuda_templateIaEESt5tupleIJNSA_6TensorESF_SF_EERKSF_lbbbEUlllE_EE10hipError_tT0_T1_T2_jT3_P12ihipStream_tbPNSt15iterator_traitsISL_E10value_typeEPNSR_ISM_E10value_typeEPSN_NS1_7vsmem_tEENKUlT_SL_SM_SN_E_clIS8_S8_S9_S9_EESK_S10_SL_SM_SN_EUlS10_E_NS1_11comp_targetILNS1_3genE3ELNS1_11target_archE908ELNS1_3gpuE7ELNS1_3repE0EEENS1_48merge_mergepath_partition_config_static_selectorELNS0_4arch9wavefront6targetE0EEEvSM_,"axG",@progbits,_ZN7rocprim17ROCPRIM_400000_NS6detail17trampoline_kernelINS0_14default_configENS1_38merge_sort_block_merge_config_selectorIlNS0_10empty_typeEEEZZNS1_27merge_sort_block_merge_implIS3_PlPS5_mZN2at6native12_GLOBAL__N_124unique_dim_cuda_templateIaEESt5tupleIJNSA_6TensorESF_SF_EERKSF_lbbbEUlllE_EE10hipError_tT0_T1_T2_jT3_P12ihipStream_tbPNSt15iterator_traitsISL_E10value_typeEPNSR_ISM_E10value_typeEPSN_NS1_7vsmem_tEENKUlT_SL_SM_SN_E_clIS8_S8_S9_S9_EESK_S10_SL_SM_SN_EUlS10_E_NS1_11comp_targetILNS1_3genE3ELNS1_11target_archE908ELNS1_3gpuE7ELNS1_3repE0EEENS1_48merge_mergepath_partition_config_static_selectorELNS0_4arch9wavefront6targetE0EEEvSM_,comdat
.Lfunc_end274:
	.size	_ZN7rocprim17ROCPRIM_400000_NS6detail17trampoline_kernelINS0_14default_configENS1_38merge_sort_block_merge_config_selectorIlNS0_10empty_typeEEEZZNS1_27merge_sort_block_merge_implIS3_PlPS5_mZN2at6native12_GLOBAL__N_124unique_dim_cuda_templateIaEESt5tupleIJNSA_6TensorESF_SF_EERKSF_lbbbEUlllE_EE10hipError_tT0_T1_T2_jT3_P12ihipStream_tbPNSt15iterator_traitsISL_E10value_typeEPNSR_ISM_E10value_typeEPSN_NS1_7vsmem_tEENKUlT_SL_SM_SN_E_clIS8_S8_S9_S9_EESK_S10_SL_SM_SN_EUlS10_E_NS1_11comp_targetILNS1_3genE3ELNS1_11target_archE908ELNS1_3gpuE7ELNS1_3repE0EEENS1_48merge_mergepath_partition_config_static_selectorELNS0_4arch9wavefront6targetE0EEEvSM_, .Lfunc_end274-_ZN7rocprim17ROCPRIM_400000_NS6detail17trampoline_kernelINS0_14default_configENS1_38merge_sort_block_merge_config_selectorIlNS0_10empty_typeEEEZZNS1_27merge_sort_block_merge_implIS3_PlPS5_mZN2at6native12_GLOBAL__N_124unique_dim_cuda_templateIaEESt5tupleIJNSA_6TensorESF_SF_EERKSF_lbbbEUlllE_EE10hipError_tT0_T1_T2_jT3_P12ihipStream_tbPNSt15iterator_traitsISL_E10value_typeEPNSR_ISM_E10value_typeEPSN_NS1_7vsmem_tEENKUlT_SL_SM_SN_E_clIS8_S8_S9_S9_EESK_S10_SL_SM_SN_EUlS10_E_NS1_11comp_targetILNS1_3genE3ELNS1_11target_archE908ELNS1_3gpuE7ELNS1_3repE0EEENS1_48merge_mergepath_partition_config_static_selectorELNS0_4arch9wavefront6targetE0EEEvSM_
                                        ; -- End function
	.set _ZN7rocprim17ROCPRIM_400000_NS6detail17trampoline_kernelINS0_14default_configENS1_38merge_sort_block_merge_config_selectorIlNS0_10empty_typeEEEZZNS1_27merge_sort_block_merge_implIS3_PlPS5_mZN2at6native12_GLOBAL__N_124unique_dim_cuda_templateIaEESt5tupleIJNSA_6TensorESF_SF_EERKSF_lbbbEUlllE_EE10hipError_tT0_T1_T2_jT3_P12ihipStream_tbPNSt15iterator_traitsISL_E10value_typeEPNSR_ISM_E10value_typeEPSN_NS1_7vsmem_tEENKUlT_SL_SM_SN_E_clIS8_S8_S9_S9_EESK_S10_SL_SM_SN_EUlS10_E_NS1_11comp_targetILNS1_3genE3ELNS1_11target_archE908ELNS1_3gpuE7ELNS1_3repE0EEENS1_48merge_mergepath_partition_config_static_selectorELNS0_4arch9wavefront6targetE0EEEvSM_.num_vgpr, 0
	.set _ZN7rocprim17ROCPRIM_400000_NS6detail17trampoline_kernelINS0_14default_configENS1_38merge_sort_block_merge_config_selectorIlNS0_10empty_typeEEEZZNS1_27merge_sort_block_merge_implIS3_PlPS5_mZN2at6native12_GLOBAL__N_124unique_dim_cuda_templateIaEESt5tupleIJNSA_6TensorESF_SF_EERKSF_lbbbEUlllE_EE10hipError_tT0_T1_T2_jT3_P12ihipStream_tbPNSt15iterator_traitsISL_E10value_typeEPNSR_ISM_E10value_typeEPSN_NS1_7vsmem_tEENKUlT_SL_SM_SN_E_clIS8_S8_S9_S9_EESK_S10_SL_SM_SN_EUlS10_E_NS1_11comp_targetILNS1_3genE3ELNS1_11target_archE908ELNS1_3gpuE7ELNS1_3repE0EEENS1_48merge_mergepath_partition_config_static_selectorELNS0_4arch9wavefront6targetE0EEEvSM_.num_agpr, 0
	.set _ZN7rocprim17ROCPRIM_400000_NS6detail17trampoline_kernelINS0_14default_configENS1_38merge_sort_block_merge_config_selectorIlNS0_10empty_typeEEEZZNS1_27merge_sort_block_merge_implIS3_PlPS5_mZN2at6native12_GLOBAL__N_124unique_dim_cuda_templateIaEESt5tupleIJNSA_6TensorESF_SF_EERKSF_lbbbEUlllE_EE10hipError_tT0_T1_T2_jT3_P12ihipStream_tbPNSt15iterator_traitsISL_E10value_typeEPNSR_ISM_E10value_typeEPSN_NS1_7vsmem_tEENKUlT_SL_SM_SN_E_clIS8_S8_S9_S9_EESK_S10_SL_SM_SN_EUlS10_E_NS1_11comp_targetILNS1_3genE3ELNS1_11target_archE908ELNS1_3gpuE7ELNS1_3repE0EEENS1_48merge_mergepath_partition_config_static_selectorELNS0_4arch9wavefront6targetE0EEEvSM_.numbered_sgpr, 0
	.set _ZN7rocprim17ROCPRIM_400000_NS6detail17trampoline_kernelINS0_14default_configENS1_38merge_sort_block_merge_config_selectorIlNS0_10empty_typeEEEZZNS1_27merge_sort_block_merge_implIS3_PlPS5_mZN2at6native12_GLOBAL__N_124unique_dim_cuda_templateIaEESt5tupleIJNSA_6TensorESF_SF_EERKSF_lbbbEUlllE_EE10hipError_tT0_T1_T2_jT3_P12ihipStream_tbPNSt15iterator_traitsISL_E10value_typeEPNSR_ISM_E10value_typeEPSN_NS1_7vsmem_tEENKUlT_SL_SM_SN_E_clIS8_S8_S9_S9_EESK_S10_SL_SM_SN_EUlS10_E_NS1_11comp_targetILNS1_3genE3ELNS1_11target_archE908ELNS1_3gpuE7ELNS1_3repE0EEENS1_48merge_mergepath_partition_config_static_selectorELNS0_4arch9wavefront6targetE0EEEvSM_.num_named_barrier, 0
	.set _ZN7rocprim17ROCPRIM_400000_NS6detail17trampoline_kernelINS0_14default_configENS1_38merge_sort_block_merge_config_selectorIlNS0_10empty_typeEEEZZNS1_27merge_sort_block_merge_implIS3_PlPS5_mZN2at6native12_GLOBAL__N_124unique_dim_cuda_templateIaEESt5tupleIJNSA_6TensorESF_SF_EERKSF_lbbbEUlllE_EE10hipError_tT0_T1_T2_jT3_P12ihipStream_tbPNSt15iterator_traitsISL_E10value_typeEPNSR_ISM_E10value_typeEPSN_NS1_7vsmem_tEENKUlT_SL_SM_SN_E_clIS8_S8_S9_S9_EESK_S10_SL_SM_SN_EUlS10_E_NS1_11comp_targetILNS1_3genE3ELNS1_11target_archE908ELNS1_3gpuE7ELNS1_3repE0EEENS1_48merge_mergepath_partition_config_static_selectorELNS0_4arch9wavefront6targetE0EEEvSM_.private_seg_size, 0
	.set _ZN7rocprim17ROCPRIM_400000_NS6detail17trampoline_kernelINS0_14default_configENS1_38merge_sort_block_merge_config_selectorIlNS0_10empty_typeEEEZZNS1_27merge_sort_block_merge_implIS3_PlPS5_mZN2at6native12_GLOBAL__N_124unique_dim_cuda_templateIaEESt5tupleIJNSA_6TensorESF_SF_EERKSF_lbbbEUlllE_EE10hipError_tT0_T1_T2_jT3_P12ihipStream_tbPNSt15iterator_traitsISL_E10value_typeEPNSR_ISM_E10value_typeEPSN_NS1_7vsmem_tEENKUlT_SL_SM_SN_E_clIS8_S8_S9_S9_EESK_S10_SL_SM_SN_EUlS10_E_NS1_11comp_targetILNS1_3genE3ELNS1_11target_archE908ELNS1_3gpuE7ELNS1_3repE0EEENS1_48merge_mergepath_partition_config_static_selectorELNS0_4arch9wavefront6targetE0EEEvSM_.uses_vcc, 0
	.set _ZN7rocprim17ROCPRIM_400000_NS6detail17trampoline_kernelINS0_14default_configENS1_38merge_sort_block_merge_config_selectorIlNS0_10empty_typeEEEZZNS1_27merge_sort_block_merge_implIS3_PlPS5_mZN2at6native12_GLOBAL__N_124unique_dim_cuda_templateIaEESt5tupleIJNSA_6TensorESF_SF_EERKSF_lbbbEUlllE_EE10hipError_tT0_T1_T2_jT3_P12ihipStream_tbPNSt15iterator_traitsISL_E10value_typeEPNSR_ISM_E10value_typeEPSN_NS1_7vsmem_tEENKUlT_SL_SM_SN_E_clIS8_S8_S9_S9_EESK_S10_SL_SM_SN_EUlS10_E_NS1_11comp_targetILNS1_3genE3ELNS1_11target_archE908ELNS1_3gpuE7ELNS1_3repE0EEENS1_48merge_mergepath_partition_config_static_selectorELNS0_4arch9wavefront6targetE0EEEvSM_.uses_flat_scratch, 0
	.set _ZN7rocprim17ROCPRIM_400000_NS6detail17trampoline_kernelINS0_14default_configENS1_38merge_sort_block_merge_config_selectorIlNS0_10empty_typeEEEZZNS1_27merge_sort_block_merge_implIS3_PlPS5_mZN2at6native12_GLOBAL__N_124unique_dim_cuda_templateIaEESt5tupleIJNSA_6TensorESF_SF_EERKSF_lbbbEUlllE_EE10hipError_tT0_T1_T2_jT3_P12ihipStream_tbPNSt15iterator_traitsISL_E10value_typeEPNSR_ISM_E10value_typeEPSN_NS1_7vsmem_tEENKUlT_SL_SM_SN_E_clIS8_S8_S9_S9_EESK_S10_SL_SM_SN_EUlS10_E_NS1_11comp_targetILNS1_3genE3ELNS1_11target_archE908ELNS1_3gpuE7ELNS1_3repE0EEENS1_48merge_mergepath_partition_config_static_selectorELNS0_4arch9wavefront6targetE0EEEvSM_.has_dyn_sized_stack, 0
	.set _ZN7rocprim17ROCPRIM_400000_NS6detail17trampoline_kernelINS0_14default_configENS1_38merge_sort_block_merge_config_selectorIlNS0_10empty_typeEEEZZNS1_27merge_sort_block_merge_implIS3_PlPS5_mZN2at6native12_GLOBAL__N_124unique_dim_cuda_templateIaEESt5tupleIJNSA_6TensorESF_SF_EERKSF_lbbbEUlllE_EE10hipError_tT0_T1_T2_jT3_P12ihipStream_tbPNSt15iterator_traitsISL_E10value_typeEPNSR_ISM_E10value_typeEPSN_NS1_7vsmem_tEENKUlT_SL_SM_SN_E_clIS8_S8_S9_S9_EESK_S10_SL_SM_SN_EUlS10_E_NS1_11comp_targetILNS1_3genE3ELNS1_11target_archE908ELNS1_3gpuE7ELNS1_3repE0EEENS1_48merge_mergepath_partition_config_static_selectorELNS0_4arch9wavefront6targetE0EEEvSM_.has_recursion, 0
	.set _ZN7rocprim17ROCPRIM_400000_NS6detail17trampoline_kernelINS0_14default_configENS1_38merge_sort_block_merge_config_selectorIlNS0_10empty_typeEEEZZNS1_27merge_sort_block_merge_implIS3_PlPS5_mZN2at6native12_GLOBAL__N_124unique_dim_cuda_templateIaEESt5tupleIJNSA_6TensorESF_SF_EERKSF_lbbbEUlllE_EE10hipError_tT0_T1_T2_jT3_P12ihipStream_tbPNSt15iterator_traitsISL_E10value_typeEPNSR_ISM_E10value_typeEPSN_NS1_7vsmem_tEENKUlT_SL_SM_SN_E_clIS8_S8_S9_S9_EESK_S10_SL_SM_SN_EUlS10_E_NS1_11comp_targetILNS1_3genE3ELNS1_11target_archE908ELNS1_3gpuE7ELNS1_3repE0EEENS1_48merge_mergepath_partition_config_static_selectorELNS0_4arch9wavefront6targetE0EEEvSM_.has_indirect_call, 0
	.section	.AMDGPU.csdata,"",@progbits
; Kernel info:
; codeLenInByte = 0
; TotalNumSgprs: 0
; NumVgprs: 0
; ScratchSize: 0
; MemoryBound: 0
; FloatMode: 240
; IeeeMode: 1
; LDSByteSize: 0 bytes/workgroup (compile time only)
; SGPRBlocks: 0
; VGPRBlocks: 0
; NumSGPRsForWavesPerEU: 1
; NumVGPRsForWavesPerEU: 1
; NamedBarCnt: 0
; Occupancy: 16
; WaveLimiterHint : 0
; COMPUTE_PGM_RSRC2:SCRATCH_EN: 0
; COMPUTE_PGM_RSRC2:USER_SGPR: 2
; COMPUTE_PGM_RSRC2:TRAP_HANDLER: 0
; COMPUTE_PGM_RSRC2:TGID_X_EN: 1
; COMPUTE_PGM_RSRC2:TGID_Y_EN: 0
; COMPUTE_PGM_RSRC2:TGID_Z_EN: 0
; COMPUTE_PGM_RSRC2:TIDIG_COMP_CNT: 0
	.section	.text._ZN7rocprim17ROCPRIM_400000_NS6detail17trampoline_kernelINS0_14default_configENS1_38merge_sort_block_merge_config_selectorIlNS0_10empty_typeEEEZZNS1_27merge_sort_block_merge_implIS3_PlPS5_mZN2at6native12_GLOBAL__N_124unique_dim_cuda_templateIaEESt5tupleIJNSA_6TensorESF_SF_EERKSF_lbbbEUlllE_EE10hipError_tT0_T1_T2_jT3_P12ihipStream_tbPNSt15iterator_traitsISL_E10value_typeEPNSR_ISM_E10value_typeEPSN_NS1_7vsmem_tEENKUlT_SL_SM_SN_E_clIS8_S8_S9_S9_EESK_S10_SL_SM_SN_EUlS10_E_NS1_11comp_targetILNS1_3genE2ELNS1_11target_archE906ELNS1_3gpuE6ELNS1_3repE0EEENS1_48merge_mergepath_partition_config_static_selectorELNS0_4arch9wavefront6targetE0EEEvSM_,"axG",@progbits,_ZN7rocprim17ROCPRIM_400000_NS6detail17trampoline_kernelINS0_14default_configENS1_38merge_sort_block_merge_config_selectorIlNS0_10empty_typeEEEZZNS1_27merge_sort_block_merge_implIS3_PlPS5_mZN2at6native12_GLOBAL__N_124unique_dim_cuda_templateIaEESt5tupleIJNSA_6TensorESF_SF_EERKSF_lbbbEUlllE_EE10hipError_tT0_T1_T2_jT3_P12ihipStream_tbPNSt15iterator_traitsISL_E10value_typeEPNSR_ISM_E10value_typeEPSN_NS1_7vsmem_tEENKUlT_SL_SM_SN_E_clIS8_S8_S9_S9_EESK_S10_SL_SM_SN_EUlS10_E_NS1_11comp_targetILNS1_3genE2ELNS1_11target_archE906ELNS1_3gpuE6ELNS1_3repE0EEENS1_48merge_mergepath_partition_config_static_selectorELNS0_4arch9wavefront6targetE0EEEvSM_,comdat
	.globl	_ZN7rocprim17ROCPRIM_400000_NS6detail17trampoline_kernelINS0_14default_configENS1_38merge_sort_block_merge_config_selectorIlNS0_10empty_typeEEEZZNS1_27merge_sort_block_merge_implIS3_PlPS5_mZN2at6native12_GLOBAL__N_124unique_dim_cuda_templateIaEESt5tupleIJNSA_6TensorESF_SF_EERKSF_lbbbEUlllE_EE10hipError_tT0_T1_T2_jT3_P12ihipStream_tbPNSt15iterator_traitsISL_E10value_typeEPNSR_ISM_E10value_typeEPSN_NS1_7vsmem_tEENKUlT_SL_SM_SN_E_clIS8_S8_S9_S9_EESK_S10_SL_SM_SN_EUlS10_E_NS1_11comp_targetILNS1_3genE2ELNS1_11target_archE906ELNS1_3gpuE6ELNS1_3repE0EEENS1_48merge_mergepath_partition_config_static_selectorELNS0_4arch9wavefront6targetE0EEEvSM_ ; -- Begin function _ZN7rocprim17ROCPRIM_400000_NS6detail17trampoline_kernelINS0_14default_configENS1_38merge_sort_block_merge_config_selectorIlNS0_10empty_typeEEEZZNS1_27merge_sort_block_merge_implIS3_PlPS5_mZN2at6native12_GLOBAL__N_124unique_dim_cuda_templateIaEESt5tupleIJNSA_6TensorESF_SF_EERKSF_lbbbEUlllE_EE10hipError_tT0_T1_T2_jT3_P12ihipStream_tbPNSt15iterator_traitsISL_E10value_typeEPNSR_ISM_E10value_typeEPSN_NS1_7vsmem_tEENKUlT_SL_SM_SN_E_clIS8_S8_S9_S9_EESK_S10_SL_SM_SN_EUlS10_E_NS1_11comp_targetILNS1_3genE2ELNS1_11target_archE906ELNS1_3gpuE6ELNS1_3repE0EEENS1_48merge_mergepath_partition_config_static_selectorELNS0_4arch9wavefront6targetE0EEEvSM_
	.p2align	8
	.type	_ZN7rocprim17ROCPRIM_400000_NS6detail17trampoline_kernelINS0_14default_configENS1_38merge_sort_block_merge_config_selectorIlNS0_10empty_typeEEEZZNS1_27merge_sort_block_merge_implIS3_PlPS5_mZN2at6native12_GLOBAL__N_124unique_dim_cuda_templateIaEESt5tupleIJNSA_6TensorESF_SF_EERKSF_lbbbEUlllE_EE10hipError_tT0_T1_T2_jT3_P12ihipStream_tbPNSt15iterator_traitsISL_E10value_typeEPNSR_ISM_E10value_typeEPSN_NS1_7vsmem_tEENKUlT_SL_SM_SN_E_clIS8_S8_S9_S9_EESK_S10_SL_SM_SN_EUlS10_E_NS1_11comp_targetILNS1_3genE2ELNS1_11target_archE906ELNS1_3gpuE6ELNS1_3repE0EEENS1_48merge_mergepath_partition_config_static_selectorELNS0_4arch9wavefront6targetE0EEEvSM_,@function
_ZN7rocprim17ROCPRIM_400000_NS6detail17trampoline_kernelINS0_14default_configENS1_38merge_sort_block_merge_config_selectorIlNS0_10empty_typeEEEZZNS1_27merge_sort_block_merge_implIS3_PlPS5_mZN2at6native12_GLOBAL__N_124unique_dim_cuda_templateIaEESt5tupleIJNSA_6TensorESF_SF_EERKSF_lbbbEUlllE_EE10hipError_tT0_T1_T2_jT3_P12ihipStream_tbPNSt15iterator_traitsISL_E10value_typeEPNSR_ISM_E10value_typeEPSN_NS1_7vsmem_tEENKUlT_SL_SM_SN_E_clIS8_S8_S9_S9_EESK_S10_SL_SM_SN_EUlS10_E_NS1_11comp_targetILNS1_3genE2ELNS1_11target_archE906ELNS1_3gpuE6ELNS1_3repE0EEENS1_48merge_mergepath_partition_config_static_selectorELNS0_4arch9wavefront6targetE0EEEvSM_: ; @_ZN7rocprim17ROCPRIM_400000_NS6detail17trampoline_kernelINS0_14default_configENS1_38merge_sort_block_merge_config_selectorIlNS0_10empty_typeEEEZZNS1_27merge_sort_block_merge_implIS3_PlPS5_mZN2at6native12_GLOBAL__N_124unique_dim_cuda_templateIaEESt5tupleIJNSA_6TensorESF_SF_EERKSF_lbbbEUlllE_EE10hipError_tT0_T1_T2_jT3_P12ihipStream_tbPNSt15iterator_traitsISL_E10value_typeEPNSR_ISM_E10value_typeEPSN_NS1_7vsmem_tEENKUlT_SL_SM_SN_E_clIS8_S8_S9_S9_EESK_S10_SL_SM_SN_EUlS10_E_NS1_11comp_targetILNS1_3genE2ELNS1_11target_archE906ELNS1_3gpuE6ELNS1_3repE0EEENS1_48merge_mergepath_partition_config_static_selectorELNS0_4arch9wavefront6targetE0EEEvSM_
; %bb.0:
	.section	.rodata,"a",@progbits
	.p2align	6, 0x0
	.amdhsa_kernel _ZN7rocprim17ROCPRIM_400000_NS6detail17trampoline_kernelINS0_14default_configENS1_38merge_sort_block_merge_config_selectorIlNS0_10empty_typeEEEZZNS1_27merge_sort_block_merge_implIS3_PlPS5_mZN2at6native12_GLOBAL__N_124unique_dim_cuda_templateIaEESt5tupleIJNSA_6TensorESF_SF_EERKSF_lbbbEUlllE_EE10hipError_tT0_T1_T2_jT3_P12ihipStream_tbPNSt15iterator_traitsISL_E10value_typeEPNSR_ISM_E10value_typeEPSN_NS1_7vsmem_tEENKUlT_SL_SM_SN_E_clIS8_S8_S9_S9_EESK_S10_SL_SM_SN_EUlS10_E_NS1_11comp_targetILNS1_3genE2ELNS1_11target_archE906ELNS1_3gpuE6ELNS1_3repE0EEENS1_48merge_mergepath_partition_config_static_selectorELNS0_4arch9wavefront6targetE0EEEvSM_
		.amdhsa_group_segment_fixed_size 0
		.amdhsa_private_segment_fixed_size 0
		.amdhsa_kernarg_size 56
		.amdhsa_user_sgpr_count 2
		.amdhsa_user_sgpr_dispatch_ptr 0
		.amdhsa_user_sgpr_queue_ptr 0
		.amdhsa_user_sgpr_kernarg_segment_ptr 1
		.amdhsa_user_sgpr_dispatch_id 0
		.amdhsa_user_sgpr_kernarg_preload_length 0
		.amdhsa_user_sgpr_kernarg_preload_offset 0
		.amdhsa_user_sgpr_private_segment_size 0
		.amdhsa_wavefront_size32 1
		.amdhsa_uses_dynamic_stack 0
		.amdhsa_enable_private_segment 0
		.amdhsa_system_sgpr_workgroup_id_x 1
		.amdhsa_system_sgpr_workgroup_id_y 0
		.amdhsa_system_sgpr_workgroup_id_z 0
		.amdhsa_system_sgpr_workgroup_info 0
		.amdhsa_system_vgpr_workitem_id 0
		.amdhsa_next_free_vgpr 1
		.amdhsa_next_free_sgpr 1
		.amdhsa_named_barrier_count 0
		.amdhsa_reserve_vcc 0
		.amdhsa_float_round_mode_32 0
		.amdhsa_float_round_mode_16_64 0
		.amdhsa_float_denorm_mode_32 3
		.amdhsa_float_denorm_mode_16_64 3
		.amdhsa_fp16_overflow 0
		.amdhsa_memory_ordered 1
		.amdhsa_forward_progress 1
		.amdhsa_inst_pref_size 0
		.amdhsa_round_robin_scheduling 0
		.amdhsa_exception_fp_ieee_invalid_op 0
		.amdhsa_exception_fp_denorm_src 0
		.amdhsa_exception_fp_ieee_div_zero 0
		.amdhsa_exception_fp_ieee_overflow 0
		.amdhsa_exception_fp_ieee_underflow 0
		.amdhsa_exception_fp_ieee_inexact 0
		.amdhsa_exception_int_div_zero 0
	.end_amdhsa_kernel
	.section	.text._ZN7rocprim17ROCPRIM_400000_NS6detail17trampoline_kernelINS0_14default_configENS1_38merge_sort_block_merge_config_selectorIlNS0_10empty_typeEEEZZNS1_27merge_sort_block_merge_implIS3_PlPS5_mZN2at6native12_GLOBAL__N_124unique_dim_cuda_templateIaEESt5tupleIJNSA_6TensorESF_SF_EERKSF_lbbbEUlllE_EE10hipError_tT0_T1_T2_jT3_P12ihipStream_tbPNSt15iterator_traitsISL_E10value_typeEPNSR_ISM_E10value_typeEPSN_NS1_7vsmem_tEENKUlT_SL_SM_SN_E_clIS8_S8_S9_S9_EESK_S10_SL_SM_SN_EUlS10_E_NS1_11comp_targetILNS1_3genE2ELNS1_11target_archE906ELNS1_3gpuE6ELNS1_3repE0EEENS1_48merge_mergepath_partition_config_static_selectorELNS0_4arch9wavefront6targetE0EEEvSM_,"axG",@progbits,_ZN7rocprim17ROCPRIM_400000_NS6detail17trampoline_kernelINS0_14default_configENS1_38merge_sort_block_merge_config_selectorIlNS0_10empty_typeEEEZZNS1_27merge_sort_block_merge_implIS3_PlPS5_mZN2at6native12_GLOBAL__N_124unique_dim_cuda_templateIaEESt5tupleIJNSA_6TensorESF_SF_EERKSF_lbbbEUlllE_EE10hipError_tT0_T1_T2_jT3_P12ihipStream_tbPNSt15iterator_traitsISL_E10value_typeEPNSR_ISM_E10value_typeEPSN_NS1_7vsmem_tEENKUlT_SL_SM_SN_E_clIS8_S8_S9_S9_EESK_S10_SL_SM_SN_EUlS10_E_NS1_11comp_targetILNS1_3genE2ELNS1_11target_archE906ELNS1_3gpuE6ELNS1_3repE0EEENS1_48merge_mergepath_partition_config_static_selectorELNS0_4arch9wavefront6targetE0EEEvSM_,comdat
.Lfunc_end275:
	.size	_ZN7rocprim17ROCPRIM_400000_NS6detail17trampoline_kernelINS0_14default_configENS1_38merge_sort_block_merge_config_selectorIlNS0_10empty_typeEEEZZNS1_27merge_sort_block_merge_implIS3_PlPS5_mZN2at6native12_GLOBAL__N_124unique_dim_cuda_templateIaEESt5tupleIJNSA_6TensorESF_SF_EERKSF_lbbbEUlllE_EE10hipError_tT0_T1_T2_jT3_P12ihipStream_tbPNSt15iterator_traitsISL_E10value_typeEPNSR_ISM_E10value_typeEPSN_NS1_7vsmem_tEENKUlT_SL_SM_SN_E_clIS8_S8_S9_S9_EESK_S10_SL_SM_SN_EUlS10_E_NS1_11comp_targetILNS1_3genE2ELNS1_11target_archE906ELNS1_3gpuE6ELNS1_3repE0EEENS1_48merge_mergepath_partition_config_static_selectorELNS0_4arch9wavefront6targetE0EEEvSM_, .Lfunc_end275-_ZN7rocprim17ROCPRIM_400000_NS6detail17trampoline_kernelINS0_14default_configENS1_38merge_sort_block_merge_config_selectorIlNS0_10empty_typeEEEZZNS1_27merge_sort_block_merge_implIS3_PlPS5_mZN2at6native12_GLOBAL__N_124unique_dim_cuda_templateIaEESt5tupleIJNSA_6TensorESF_SF_EERKSF_lbbbEUlllE_EE10hipError_tT0_T1_T2_jT3_P12ihipStream_tbPNSt15iterator_traitsISL_E10value_typeEPNSR_ISM_E10value_typeEPSN_NS1_7vsmem_tEENKUlT_SL_SM_SN_E_clIS8_S8_S9_S9_EESK_S10_SL_SM_SN_EUlS10_E_NS1_11comp_targetILNS1_3genE2ELNS1_11target_archE906ELNS1_3gpuE6ELNS1_3repE0EEENS1_48merge_mergepath_partition_config_static_selectorELNS0_4arch9wavefront6targetE0EEEvSM_
                                        ; -- End function
	.set _ZN7rocprim17ROCPRIM_400000_NS6detail17trampoline_kernelINS0_14default_configENS1_38merge_sort_block_merge_config_selectorIlNS0_10empty_typeEEEZZNS1_27merge_sort_block_merge_implIS3_PlPS5_mZN2at6native12_GLOBAL__N_124unique_dim_cuda_templateIaEESt5tupleIJNSA_6TensorESF_SF_EERKSF_lbbbEUlllE_EE10hipError_tT0_T1_T2_jT3_P12ihipStream_tbPNSt15iterator_traitsISL_E10value_typeEPNSR_ISM_E10value_typeEPSN_NS1_7vsmem_tEENKUlT_SL_SM_SN_E_clIS8_S8_S9_S9_EESK_S10_SL_SM_SN_EUlS10_E_NS1_11comp_targetILNS1_3genE2ELNS1_11target_archE906ELNS1_3gpuE6ELNS1_3repE0EEENS1_48merge_mergepath_partition_config_static_selectorELNS0_4arch9wavefront6targetE0EEEvSM_.num_vgpr, 0
	.set _ZN7rocprim17ROCPRIM_400000_NS6detail17trampoline_kernelINS0_14default_configENS1_38merge_sort_block_merge_config_selectorIlNS0_10empty_typeEEEZZNS1_27merge_sort_block_merge_implIS3_PlPS5_mZN2at6native12_GLOBAL__N_124unique_dim_cuda_templateIaEESt5tupleIJNSA_6TensorESF_SF_EERKSF_lbbbEUlllE_EE10hipError_tT0_T1_T2_jT3_P12ihipStream_tbPNSt15iterator_traitsISL_E10value_typeEPNSR_ISM_E10value_typeEPSN_NS1_7vsmem_tEENKUlT_SL_SM_SN_E_clIS8_S8_S9_S9_EESK_S10_SL_SM_SN_EUlS10_E_NS1_11comp_targetILNS1_3genE2ELNS1_11target_archE906ELNS1_3gpuE6ELNS1_3repE0EEENS1_48merge_mergepath_partition_config_static_selectorELNS0_4arch9wavefront6targetE0EEEvSM_.num_agpr, 0
	.set _ZN7rocprim17ROCPRIM_400000_NS6detail17trampoline_kernelINS0_14default_configENS1_38merge_sort_block_merge_config_selectorIlNS0_10empty_typeEEEZZNS1_27merge_sort_block_merge_implIS3_PlPS5_mZN2at6native12_GLOBAL__N_124unique_dim_cuda_templateIaEESt5tupleIJNSA_6TensorESF_SF_EERKSF_lbbbEUlllE_EE10hipError_tT0_T1_T2_jT3_P12ihipStream_tbPNSt15iterator_traitsISL_E10value_typeEPNSR_ISM_E10value_typeEPSN_NS1_7vsmem_tEENKUlT_SL_SM_SN_E_clIS8_S8_S9_S9_EESK_S10_SL_SM_SN_EUlS10_E_NS1_11comp_targetILNS1_3genE2ELNS1_11target_archE906ELNS1_3gpuE6ELNS1_3repE0EEENS1_48merge_mergepath_partition_config_static_selectorELNS0_4arch9wavefront6targetE0EEEvSM_.numbered_sgpr, 0
	.set _ZN7rocprim17ROCPRIM_400000_NS6detail17trampoline_kernelINS0_14default_configENS1_38merge_sort_block_merge_config_selectorIlNS0_10empty_typeEEEZZNS1_27merge_sort_block_merge_implIS3_PlPS5_mZN2at6native12_GLOBAL__N_124unique_dim_cuda_templateIaEESt5tupleIJNSA_6TensorESF_SF_EERKSF_lbbbEUlllE_EE10hipError_tT0_T1_T2_jT3_P12ihipStream_tbPNSt15iterator_traitsISL_E10value_typeEPNSR_ISM_E10value_typeEPSN_NS1_7vsmem_tEENKUlT_SL_SM_SN_E_clIS8_S8_S9_S9_EESK_S10_SL_SM_SN_EUlS10_E_NS1_11comp_targetILNS1_3genE2ELNS1_11target_archE906ELNS1_3gpuE6ELNS1_3repE0EEENS1_48merge_mergepath_partition_config_static_selectorELNS0_4arch9wavefront6targetE0EEEvSM_.num_named_barrier, 0
	.set _ZN7rocprim17ROCPRIM_400000_NS6detail17trampoline_kernelINS0_14default_configENS1_38merge_sort_block_merge_config_selectorIlNS0_10empty_typeEEEZZNS1_27merge_sort_block_merge_implIS3_PlPS5_mZN2at6native12_GLOBAL__N_124unique_dim_cuda_templateIaEESt5tupleIJNSA_6TensorESF_SF_EERKSF_lbbbEUlllE_EE10hipError_tT0_T1_T2_jT3_P12ihipStream_tbPNSt15iterator_traitsISL_E10value_typeEPNSR_ISM_E10value_typeEPSN_NS1_7vsmem_tEENKUlT_SL_SM_SN_E_clIS8_S8_S9_S9_EESK_S10_SL_SM_SN_EUlS10_E_NS1_11comp_targetILNS1_3genE2ELNS1_11target_archE906ELNS1_3gpuE6ELNS1_3repE0EEENS1_48merge_mergepath_partition_config_static_selectorELNS0_4arch9wavefront6targetE0EEEvSM_.private_seg_size, 0
	.set _ZN7rocprim17ROCPRIM_400000_NS6detail17trampoline_kernelINS0_14default_configENS1_38merge_sort_block_merge_config_selectorIlNS0_10empty_typeEEEZZNS1_27merge_sort_block_merge_implIS3_PlPS5_mZN2at6native12_GLOBAL__N_124unique_dim_cuda_templateIaEESt5tupleIJNSA_6TensorESF_SF_EERKSF_lbbbEUlllE_EE10hipError_tT0_T1_T2_jT3_P12ihipStream_tbPNSt15iterator_traitsISL_E10value_typeEPNSR_ISM_E10value_typeEPSN_NS1_7vsmem_tEENKUlT_SL_SM_SN_E_clIS8_S8_S9_S9_EESK_S10_SL_SM_SN_EUlS10_E_NS1_11comp_targetILNS1_3genE2ELNS1_11target_archE906ELNS1_3gpuE6ELNS1_3repE0EEENS1_48merge_mergepath_partition_config_static_selectorELNS0_4arch9wavefront6targetE0EEEvSM_.uses_vcc, 0
	.set _ZN7rocprim17ROCPRIM_400000_NS6detail17trampoline_kernelINS0_14default_configENS1_38merge_sort_block_merge_config_selectorIlNS0_10empty_typeEEEZZNS1_27merge_sort_block_merge_implIS3_PlPS5_mZN2at6native12_GLOBAL__N_124unique_dim_cuda_templateIaEESt5tupleIJNSA_6TensorESF_SF_EERKSF_lbbbEUlllE_EE10hipError_tT0_T1_T2_jT3_P12ihipStream_tbPNSt15iterator_traitsISL_E10value_typeEPNSR_ISM_E10value_typeEPSN_NS1_7vsmem_tEENKUlT_SL_SM_SN_E_clIS8_S8_S9_S9_EESK_S10_SL_SM_SN_EUlS10_E_NS1_11comp_targetILNS1_3genE2ELNS1_11target_archE906ELNS1_3gpuE6ELNS1_3repE0EEENS1_48merge_mergepath_partition_config_static_selectorELNS0_4arch9wavefront6targetE0EEEvSM_.uses_flat_scratch, 0
	.set _ZN7rocprim17ROCPRIM_400000_NS6detail17trampoline_kernelINS0_14default_configENS1_38merge_sort_block_merge_config_selectorIlNS0_10empty_typeEEEZZNS1_27merge_sort_block_merge_implIS3_PlPS5_mZN2at6native12_GLOBAL__N_124unique_dim_cuda_templateIaEESt5tupleIJNSA_6TensorESF_SF_EERKSF_lbbbEUlllE_EE10hipError_tT0_T1_T2_jT3_P12ihipStream_tbPNSt15iterator_traitsISL_E10value_typeEPNSR_ISM_E10value_typeEPSN_NS1_7vsmem_tEENKUlT_SL_SM_SN_E_clIS8_S8_S9_S9_EESK_S10_SL_SM_SN_EUlS10_E_NS1_11comp_targetILNS1_3genE2ELNS1_11target_archE906ELNS1_3gpuE6ELNS1_3repE0EEENS1_48merge_mergepath_partition_config_static_selectorELNS0_4arch9wavefront6targetE0EEEvSM_.has_dyn_sized_stack, 0
	.set _ZN7rocprim17ROCPRIM_400000_NS6detail17trampoline_kernelINS0_14default_configENS1_38merge_sort_block_merge_config_selectorIlNS0_10empty_typeEEEZZNS1_27merge_sort_block_merge_implIS3_PlPS5_mZN2at6native12_GLOBAL__N_124unique_dim_cuda_templateIaEESt5tupleIJNSA_6TensorESF_SF_EERKSF_lbbbEUlllE_EE10hipError_tT0_T1_T2_jT3_P12ihipStream_tbPNSt15iterator_traitsISL_E10value_typeEPNSR_ISM_E10value_typeEPSN_NS1_7vsmem_tEENKUlT_SL_SM_SN_E_clIS8_S8_S9_S9_EESK_S10_SL_SM_SN_EUlS10_E_NS1_11comp_targetILNS1_3genE2ELNS1_11target_archE906ELNS1_3gpuE6ELNS1_3repE0EEENS1_48merge_mergepath_partition_config_static_selectorELNS0_4arch9wavefront6targetE0EEEvSM_.has_recursion, 0
	.set _ZN7rocprim17ROCPRIM_400000_NS6detail17trampoline_kernelINS0_14default_configENS1_38merge_sort_block_merge_config_selectorIlNS0_10empty_typeEEEZZNS1_27merge_sort_block_merge_implIS3_PlPS5_mZN2at6native12_GLOBAL__N_124unique_dim_cuda_templateIaEESt5tupleIJNSA_6TensorESF_SF_EERKSF_lbbbEUlllE_EE10hipError_tT0_T1_T2_jT3_P12ihipStream_tbPNSt15iterator_traitsISL_E10value_typeEPNSR_ISM_E10value_typeEPSN_NS1_7vsmem_tEENKUlT_SL_SM_SN_E_clIS8_S8_S9_S9_EESK_S10_SL_SM_SN_EUlS10_E_NS1_11comp_targetILNS1_3genE2ELNS1_11target_archE906ELNS1_3gpuE6ELNS1_3repE0EEENS1_48merge_mergepath_partition_config_static_selectorELNS0_4arch9wavefront6targetE0EEEvSM_.has_indirect_call, 0
	.section	.AMDGPU.csdata,"",@progbits
; Kernel info:
; codeLenInByte = 0
; TotalNumSgprs: 0
; NumVgprs: 0
; ScratchSize: 0
; MemoryBound: 0
; FloatMode: 240
; IeeeMode: 1
; LDSByteSize: 0 bytes/workgroup (compile time only)
; SGPRBlocks: 0
; VGPRBlocks: 0
; NumSGPRsForWavesPerEU: 1
; NumVGPRsForWavesPerEU: 1
; NamedBarCnt: 0
; Occupancy: 16
; WaveLimiterHint : 0
; COMPUTE_PGM_RSRC2:SCRATCH_EN: 0
; COMPUTE_PGM_RSRC2:USER_SGPR: 2
; COMPUTE_PGM_RSRC2:TRAP_HANDLER: 0
; COMPUTE_PGM_RSRC2:TGID_X_EN: 1
; COMPUTE_PGM_RSRC2:TGID_Y_EN: 0
; COMPUTE_PGM_RSRC2:TGID_Z_EN: 0
; COMPUTE_PGM_RSRC2:TIDIG_COMP_CNT: 0
	.section	.text._ZN7rocprim17ROCPRIM_400000_NS6detail17trampoline_kernelINS0_14default_configENS1_38merge_sort_block_merge_config_selectorIlNS0_10empty_typeEEEZZNS1_27merge_sort_block_merge_implIS3_PlPS5_mZN2at6native12_GLOBAL__N_124unique_dim_cuda_templateIaEESt5tupleIJNSA_6TensorESF_SF_EERKSF_lbbbEUlllE_EE10hipError_tT0_T1_T2_jT3_P12ihipStream_tbPNSt15iterator_traitsISL_E10value_typeEPNSR_ISM_E10value_typeEPSN_NS1_7vsmem_tEENKUlT_SL_SM_SN_E_clIS8_S8_S9_S9_EESK_S10_SL_SM_SN_EUlS10_E_NS1_11comp_targetILNS1_3genE9ELNS1_11target_archE1100ELNS1_3gpuE3ELNS1_3repE0EEENS1_48merge_mergepath_partition_config_static_selectorELNS0_4arch9wavefront6targetE0EEEvSM_,"axG",@progbits,_ZN7rocprim17ROCPRIM_400000_NS6detail17trampoline_kernelINS0_14default_configENS1_38merge_sort_block_merge_config_selectorIlNS0_10empty_typeEEEZZNS1_27merge_sort_block_merge_implIS3_PlPS5_mZN2at6native12_GLOBAL__N_124unique_dim_cuda_templateIaEESt5tupleIJNSA_6TensorESF_SF_EERKSF_lbbbEUlllE_EE10hipError_tT0_T1_T2_jT3_P12ihipStream_tbPNSt15iterator_traitsISL_E10value_typeEPNSR_ISM_E10value_typeEPSN_NS1_7vsmem_tEENKUlT_SL_SM_SN_E_clIS8_S8_S9_S9_EESK_S10_SL_SM_SN_EUlS10_E_NS1_11comp_targetILNS1_3genE9ELNS1_11target_archE1100ELNS1_3gpuE3ELNS1_3repE0EEENS1_48merge_mergepath_partition_config_static_selectorELNS0_4arch9wavefront6targetE0EEEvSM_,comdat
	.globl	_ZN7rocprim17ROCPRIM_400000_NS6detail17trampoline_kernelINS0_14default_configENS1_38merge_sort_block_merge_config_selectorIlNS0_10empty_typeEEEZZNS1_27merge_sort_block_merge_implIS3_PlPS5_mZN2at6native12_GLOBAL__N_124unique_dim_cuda_templateIaEESt5tupleIJNSA_6TensorESF_SF_EERKSF_lbbbEUlllE_EE10hipError_tT0_T1_T2_jT3_P12ihipStream_tbPNSt15iterator_traitsISL_E10value_typeEPNSR_ISM_E10value_typeEPSN_NS1_7vsmem_tEENKUlT_SL_SM_SN_E_clIS8_S8_S9_S9_EESK_S10_SL_SM_SN_EUlS10_E_NS1_11comp_targetILNS1_3genE9ELNS1_11target_archE1100ELNS1_3gpuE3ELNS1_3repE0EEENS1_48merge_mergepath_partition_config_static_selectorELNS0_4arch9wavefront6targetE0EEEvSM_ ; -- Begin function _ZN7rocprim17ROCPRIM_400000_NS6detail17trampoline_kernelINS0_14default_configENS1_38merge_sort_block_merge_config_selectorIlNS0_10empty_typeEEEZZNS1_27merge_sort_block_merge_implIS3_PlPS5_mZN2at6native12_GLOBAL__N_124unique_dim_cuda_templateIaEESt5tupleIJNSA_6TensorESF_SF_EERKSF_lbbbEUlllE_EE10hipError_tT0_T1_T2_jT3_P12ihipStream_tbPNSt15iterator_traitsISL_E10value_typeEPNSR_ISM_E10value_typeEPSN_NS1_7vsmem_tEENKUlT_SL_SM_SN_E_clIS8_S8_S9_S9_EESK_S10_SL_SM_SN_EUlS10_E_NS1_11comp_targetILNS1_3genE9ELNS1_11target_archE1100ELNS1_3gpuE3ELNS1_3repE0EEENS1_48merge_mergepath_partition_config_static_selectorELNS0_4arch9wavefront6targetE0EEEvSM_
	.p2align	8
	.type	_ZN7rocprim17ROCPRIM_400000_NS6detail17trampoline_kernelINS0_14default_configENS1_38merge_sort_block_merge_config_selectorIlNS0_10empty_typeEEEZZNS1_27merge_sort_block_merge_implIS3_PlPS5_mZN2at6native12_GLOBAL__N_124unique_dim_cuda_templateIaEESt5tupleIJNSA_6TensorESF_SF_EERKSF_lbbbEUlllE_EE10hipError_tT0_T1_T2_jT3_P12ihipStream_tbPNSt15iterator_traitsISL_E10value_typeEPNSR_ISM_E10value_typeEPSN_NS1_7vsmem_tEENKUlT_SL_SM_SN_E_clIS8_S8_S9_S9_EESK_S10_SL_SM_SN_EUlS10_E_NS1_11comp_targetILNS1_3genE9ELNS1_11target_archE1100ELNS1_3gpuE3ELNS1_3repE0EEENS1_48merge_mergepath_partition_config_static_selectorELNS0_4arch9wavefront6targetE0EEEvSM_,@function
_ZN7rocprim17ROCPRIM_400000_NS6detail17trampoline_kernelINS0_14default_configENS1_38merge_sort_block_merge_config_selectorIlNS0_10empty_typeEEEZZNS1_27merge_sort_block_merge_implIS3_PlPS5_mZN2at6native12_GLOBAL__N_124unique_dim_cuda_templateIaEESt5tupleIJNSA_6TensorESF_SF_EERKSF_lbbbEUlllE_EE10hipError_tT0_T1_T2_jT3_P12ihipStream_tbPNSt15iterator_traitsISL_E10value_typeEPNSR_ISM_E10value_typeEPSN_NS1_7vsmem_tEENKUlT_SL_SM_SN_E_clIS8_S8_S9_S9_EESK_S10_SL_SM_SN_EUlS10_E_NS1_11comp_targetILNS1_3genE9ELNS1_11target_archE1100ELNS1_3gpuE3ELNS1_3repE0EEENS1_48merge_mergepath_partition_config_static_selectorELNS0_4arch9wavefront6targetE0EEEvSM_: ; @_ZN7rocprim17ROCPRIM_400000_NS6detail17trampoline_kernelINS0_14default_configENS1_38merge_sort_block_merge_config_selectorIlNS0_10empty_typeEEEZZNS1_27merge_sort_block_merge_implIS3_PlPS5_mZN2at6native12_GLOBAL__N_124unique_dim_cuda_templateIaEESt5tupleIJNSA_6TensorESF_SF_EERKSF_lbbbEUlllE_EE10hipError_tT0_T1_T2_jT3_P12ihipStream_tbPNSt15iterator_traitsISL_E10value_typeEPNSR_ISM_E10value_typeEPSN_NS1_7vsmem_tEENKUlT_SL_SM_SN_E_clIS8_S8_S9_S9_EESK_S10_SL_SM_SN_EUlS10_E_NS1_11comp_targetILNS1_3genE9ELNS1_11target_archE1100ELNS1_3gpuE3ELNS1_3repE0EEENS1_48merge_mergepath_partition_config_static_selectorELNS0_4arch9wavefront6targetE0EEEvSM_
; %bb.0:
	.section	.rodata,"a",@progbits
	.p2align	6, 0x0
	.amdhsa_kernel _ZN7rocprim17ROCPRIM_400000_NS6detail17trampoline_kernelINS0_14default_configENS1_38merge_sort_block_merge_config_selectorIlNS0_10empty_typeEEEZZNS1_27merge_sort_block_merge_implIS3_PlPS5_mZN2at6native12_GLOBAL__N_124unique_dim_cuda_templateIaEESt5tupleIJNSA_6TensorESF_SF_EERKSF_lbbbEUlllE_EE10hipError_tT0_T1_T2_jT3_P12ihipStream_tbPNSt15iterator_traitsISL_E10value_typeEPNSR_ISM_E10value_typeEPSN_NS1_7vsmem_tEENKUlT_SL_SM_SN_E_clIS8_S8_S9_S9_EESK_S10_SL_SM_SN_EUlS10_E_NS1_11comp_targetILNS1_3genE9ELNS1_11target_archE1100ELNS1_3gpuE3ELNS1_3repE0EEENS1_48merge_mergepath_partition_config_static_selectorELNS0_4arch9wavefront6targetE0EEEvSM_
		.amdhsa_group_segment_fixed_size 0
		.amdhsa_private_segment_fixed_size 0
		.amdhsa_kernarg_size 56
		.amdhsa_user_sgpr_count 2
		.amdhsa_user_sgpr_dispatch_ptr 0
		.amdhsa_user_sgpr_queue_ptr 0
		.amdhsa_user_sgpr_kernarg_segment_ptr 1
		.amdhsa_user_sgpr_dispatch_id 0
		.amdhsa_user_sgpr_kernarg_preload_length 0
		.amdhsa_user_sgpr_kernarg_preload_offset 0
		.amdhsa_user_sgpr_private_segment_size 0
		.amdhsa_wavefront_size32 1
		.amdhsa_uses_dynamic_stack 0
		.amdhsa_enable_private_segment 0
		.amdhsa_system_sgpr_workgroup_id_x 1
		.amdhsa_system_sgpr_workgroup_id_y 0
		.amdhsa_system_sgpr_workgroup_id_z 0
		.amdhsa_system_sgpr_workgroup_info 0
		.amdhsa_system_vgpr_workitem_id 0
		.amdhsa_next_free_vgpr 1
		.amdhsa_next_free_sgpr 1
		.amdhsa_named_barrier_count 0
		.amdhsa_reserve_vcc 0
		.amdhsa_float_round_mode_32 0
		.amdhsa_float_round_mode_16_64 0
		.amdhsa_float_denorm_mode_32 3
		.amdhsa_float_denorm_mode_16_64 3
		.amdhsa_fp16_overflow 0
		.amdhsa_memory_ordered 1
		.amdhsa_forward_progress 1
		.amdhsa_inst_pref_size 0
		.amdhsa_round_robin_scheduling 0
		.amdhsa_exception_fp_ieee_invalid_op 0
		.amdhsa_exception_fp_denorm_src 0
		.amdhsa_exception_fp_ieee_div_zero 0
		.amdhsa_exception_fp_ieee_overflow 0
		.amdhsa_exception_fp_ieee_underflow 0
		.amdhsa_exception_fp_ieee_inexact 0
		.amdhsa_exception_int_div_zero 0
	.end_amdhsa_kernel
	.section	.text._ZN7rocprim17ROCPRIM_400000_NS6detail17trampoline_kernelINS0_14default_configENS1_38merge_sort_block_merge_config_selectorIlNS0_10empty_typeEEEZZNS1_27merge_sort_block_merge_implIS3_PlPS5_mZN2at6native12_GLOBAL__N_124unique_dim_cuda_templateIaEESt5tupleIJNSA_6TensorESF_SF_EERKSF_lbbbEUlllE_EE10hipError_tT0_T1_T2_jT3_P12ihipStream_tbPNSt15iterator_traitsISL_E10value_typeEPNSR_ISM_E10value_typeEPSN_NS1_7vsmem_tEENKUlT_SL_SM_SN_E_clIS8_S8_S9_S9_EESK_S10_SL_SM_SN_EUlS10_E_NS1_11comp_targetILNS1_3genE9ELNS1_11target_archE1100ELNS1_3gpuE3ELNS1_3repE0EEENS1_48merge_mergepath_partition_config_static_selectorELNS0_4arch9wavefront6targetE0EEEvSM_,"axG",@progbits,_ZN7rocprim17ROCPRIM_400000_NS6detail17trampoline_kernelINS0_14default_configENS1_38merge_sort_block_merge_config_selectorIlNS0_10empty_typeEEEZZNS1_27merge_sort_block_merge_implIS3_PlPS5_mZN2at6native12_GLOBAL__N_124unique_dim_cuda_templateIaEESt5tupleIJNSA_6TensorESF_SF_EERKSF_lbbbEUlllE_EE10hipError_tT0_T1_T2_jT3_P12ihipStream_tbPNSt15iterator_traitsISL_E10value_typeEPNSR_ISM_E10value_typeEPSN_NS1_7vsmem_tEENKUlT_SL_SM_SN_E_clIS8_S8_S9_S9_EESK_S10_SL_SM_SN_EUlS10_E_NS1_11comp_targetILNS1_3genE9ELNS1_11target_archE1100ELNS1_3gpuE3ELNS1_3repE0EEENS1_48merge_mergepath_partition_config_static_selectorELNS0_4arch9wavefront6targetE0EEEvSM_,comdat
.Lfunc_end276:
	.size	_ZN7rocprim17ROCPRIM_400000_NS6detail17trampoline_kernelINS0_14default_configENS1_38merge_sort_block_merge_config_selectorIlNS0_10empty_typeEEEZZNS1_27merge_sort_block_merge_implIS3_PlPS5_mZN2at6native12_GLOBAL__N_124unique_dim_cuda_templateIaEESt5tupleIJNSA_6TensorESF_SF_EERKSF_lbbbEUlllE_EE10hipError_tT0_T1_T2_jT3_P12ihipStream_tbPNSt15iterator_traitsISL_E10value_typeEPNSR_ISM_E10value_typeEPSN_NS1_7vsmem_tEENKUlT_SL_SM_SN_E_clIS8_S8_S9_S9_EESK_S10_SL_SM_SN_EUlS10_E_NS1_11comp_targetILNS1_3genE9ELNS1_11target_archE1100ELNS1_3gpuE3ELNS1_3repE0EEENS1_48merge_mergepath_partition_config_static_selectorELNS0_4arch9wavefront6targetE0EEEvSM_, .Lfunc_end276-_ZN7rocprim17ROCPRIM_400000_NS6detail17trampoline_kernelINS0_14default_configENS1_38merge_sort_block_merge_config_selectorIlNS0_10empty_typeEEEZZNS1_27merge_sort_block_merge_implIS3_PlPS5_mZN2at6native12_GLOBAL__N_124unique_dim_cuda_templateIaEESt5tupleIJNSA_6TensorESF_SF_EERKSF_lbbbEUlllE_EE10hipError_tT0_T1_T2_jT3_P12ihipStream_tbPNSt15iterator_traitsISL_E10value_typeEPNSR_ISM_E10value_typeEPSN_NS1_7vsmem_tEENKUlT_SL_SM_SN_E_clIS8_S8_S9_S9_EESK_S10_SL_SM_SN_EUlS10_E_NS1_11comp_targetILNS1_3genE9ELNS1_11target_archE1100ELNS1_3gpuE3ELNS1_3repE0EEENS1_48merge_mergepath_partition_config_static_selectorELNS0_4arch9wavefront6targetE0EEEvSM_
                                        ; -- End function
	.set _ZN7rocprim17ROCPRIM_400000_NS6detail17trampoline_kernelINS0_14default_configENS1_38merge_sort_block_merge_config_selectorIlNS0_10empty_typeEEEZZNS1_27merge_sort_block_merge_implIS3_PlPS5_mZN2at6native12_GLOBAL__N_124unique_dim_cuda_templateIaEESt5tupleIJNSA_6TensorESF_SF_EERKSF_lbbbEUlllE_EE10hipError_tT0_T1_T2_jT3_P12ihipStream_tbPNSt15iterator_traitsISL_E10value_typeEPNSR_ISM_E10value_typeEPSN_NS1_7vsmem_tEENKUlT_SL_SM_SN_E_clIS8_S8_S9_S9_EESK_S10_SL_SM_SN_EUlS10_E_NS1_11comp_targetILNS1_3genE9ELNS1_11target_archE1100ELNS1_3gpuE3ELNS1_3repE0EEENS1_48merge_mergepath_partition_config_static_selectorELNS0_4arch9wavefront6targetE0EEEvSM_.num_vgpr, 0
	.set _ZN7rocprim17ROCPRIM_400000_NS6detail17trampoline_kernelINS0_14default_configENS1_38merge_sort_block_merge_config_selectorIlNS0_10empty_typeEEEZZNS1_27merge_sort_block_merge_implIS3_PlPS5_mZN2at6native12_GLOBAL__N_124unique_dim_cuda_templateIaEESt5tupleIJNSA_6TensorESF_SF_EERKSF_lbbbEUlllE_EE10hipError_tT0_T1_T2_jT3_P12ihipStream_tbPNSt15iterator_traitsISL_E10value_typeEPNSR_ISM_E10value_typeEPSN_NS1_7vsmem_tEENKUlT_SL_SM_SN_E_clIS8_S8_S9_S9_EESK_S10_SL_SM_SN_EUlS10_E_NS1_11comp_targetILNS1_3genE9ELNS1_11target_archE1100ELNS1_3gpuE3ELNS1_3repE0EEENS1_48merge_mergepath_partition_config_static_selectorELNS0_4arch9wavefront6targetE0EEEvSM_.num_agpr, 0
	.set _ZN7rocprim17ROCPRIM_400000_NS6detail17trampoline_kernelINS0_14default_configENS1_38merge_sort_block_merge_config_selectorIlNS0_10empty_typeEEEZZNS1_27merge_sort_block_merge_implIS3_PlPS5_mZN2at6native12_GLOBAL__N_124unique_dim_cuda_templateIaEESt5tupleIJNSA_6TensorESF_SF_EERKSF_lbbbEUlllE_EE10hipError_tT0_T1_T2_jT3_P12ihipStream_tbPNSt15iterator_traitsISL_E10value_typeEPNSR_ISM_E10value_typeEPSN_NS1_7vsmem_tEENKUlT_SL_SM_SN_E_clIS8_S8_S9_S9_EESK_S10_SL_SM_SN_EUlS10_E_NS1_11comp_targetILNS1_3genE9ELNS1_11target_archE1100ELNS1_3gpuE3ELNS1_3repE0EEENS1_48merge_mergepath_partition_config_static_selectorELNS0_4arch9wavefront6targetE0EEEvSM_.numbered_sgpr, 0
	.set _ZN7rocprim17ROCPRIM_400000_NS6detail17trampoline_kernelINS0_14default_configENS1_38merge_sort_block_merge_config_selectorIlNS0_10empty_typeEEEZZNS1_27merge_sort_block_merge_implIS3_PlPS5_mZN2at6native12_GLOBAL__N_124unique_dim_cuda_templateIaEESt5tupleIJNSA_6TensorESF_SF_EERKSF_lbbbEUlllE_EE10hipError_tT0_T1_T2_jT3_P12ihipStream_tbPNSt15iterator_traitsISL_E10value_typeEPNSR_ISM_E10value_typeEPSN_NS1_7vsmem_tEENKUlT_SL_SM_SN_E_clIS8_S8_S9_S9_EESK_S10_SL_SM_SN_EUlS10_E_NS1_11comp_targetILNS1_3genE9ELNS1_11target_archE1100ELNS1_3gpuE3ELNS1_3repE0EEENS1_48merge_mergepath_partition_config_static_selectorELNS0_4arch9wavefront6targetE0EEEvSM_.num_named_barrier, 0
	.set _ZN7rocprim17ROCPRIM_400000_NS6detail17trampoline_kernelINS0_14default_configENS1_38merge_sort_block_merge_config_selectorIlNS0_10empty_typeEEEZZNS1_27merge_sort_block_merge_implIS3_PlPS5_mZN2at6native12_GLOBAL__N_124unique_dim_cuda_templateIaEESt5tupleIJNSA_6TensorESF_SF_EERKSF_lbbbEUlllE_EE10hipError_tT0_T1_T2_jT3_P12ihipStream_tbPNSt15iterator_traitsISL_E10value_typeEPNSR_ISM_E10value_typeEPSN_NS1_7vsmem_tEENKUlT_SL_SM_SN_E_clIS8_S8_S9_S9_EESK_S10_SL_SM_SN_EUlS10_E_NS1_11comp_targetILNS1_3genE9ELNS1_11target_archE1100ELNS1_3gpuE3ELNS1_3repE0EEENS1_48merge_mergepath_partition_config_static_selectorELNS0_4arch9wavefront6targetE0EEEvSM_.private_seg_size, 0
	.set _ZN7rocprim17ROCPRIM_400000_NS6detail17trampoline_kernelINS0_14default_configENS1_38merge_sort_block_merge_config_selectorIlNS0_10empty_typeEEEZZNS1_27merge_sort_block_merge_implIS3_PlPS5_mZN2at6native12_GLOBAL__N_124unique_dim_cuda_templateIaEESt5tupleIJNSA_6TensorESF_SF_EERKSF_lbbbEUlllE_EE10hipError_tT0_T1_T2_jT3_P12ihipStream_tbPNSt15iterator_traitsISL_E10value_typeEPNSR_ISM_E10value_typeEPSN_NS1_7vsmem_tEENKUlT_SL_SM_SN_E_clIS8_S8_S9_S9_EESK_S10_SL_SM_SN_EUlS10_E_NS1_11comp_targetILNS1_3genE9ELNS1_11target_archE1100ELNS1_3gpuE3ELNS1_3repE0EEENS1_48merge_mergepath_partition_config_static_selectorELNS0_4arch9wavefront6targetE0EEEvSM_.uses_vcc, 0
	.set _ZN7rocprim17ROCPRIM_400000_NS6detail17trampoline_kernelINS0_14default_configENS1_38merge_sort_block_merge_config_selectorIlNS0_10empty_typeEEEZZNS1_27merge_sort_block_merge_implIS3_PlPS5_mZN2at6native12_GLOBAL__N_124unique_dim_cuda_templateIaEESt5tupleIJNSA_6TensorESF_SF_EERKSF_lbbbEUlllE_EE10hipError_tT0_T1_T2_jT3_P12ihipStream_tbPNSt15iterator_traitsISL_E10value_typeEPNSR_ISM_E10value_typeEPSN_NS1_7vsmem_tEENKUlT_SL_SM_SN_E_clIS8_S8_S9_S9_EESK_S10_SL_SM_SN_EUlS10_E_NS1_11comp_targetILNS1_3genE9ELNS1_11target_archE1100ELNS1_3gpuE3ELNS1_3repE0EEENS1_48merge_mergepath_partition_config_static_selectorELNS0_4arch9wavefront6targetE0EEEvSM_.uses_flat_scratch, 0
	.set _ZN7rocprim17ROCPRIM_400000_NS6detail17trampoline_kernelINS0_14default_configENS1_38merge_sort_block_merge_config_selectorIlNS0_10empty_typeEEEZZNS1_27merge_sort_block_merge_implIS3_PlPS5_mZN2at6native12_GLOBAL__N_124unique_dim_cuda_templateIaEESt5tupleIJNSA_6TensorESF_SF_EERKSF_lbbbEUlllE_EE10hipError_tT0_T1_T2_jT3_P12ihipStream_tbPNSt15iterator_traitsISL_E10value_typeEPNSR_ISM_E10value_typeEPSN_NS1_7vsmem_tEENKUlT_SL_SM_SN_E_clIS8_S8_S9_S9_EESK_S10_SL_SM_SN_EUlS10_E_NS1_11comp_targetILNS1_3genE9ELNS1_11target_archE1100ELNS1_3gpuE3ELNS1_3repE0EEENS1_48merge_mergepath_partition_config_static_selectorELNS0_4arch9wavefront6targetE0EEEvSM_.has_dyn_sized_stack, 0
	.set _ZN7rocprim17ROCPRIM_400000_NS6detail17trampoline_kernelINS0_14default_configENS1_38merge_sort_block_merge_config_selectorIlNS0_10empty_typeEEEZZNS1_27merge_sort_block_merge_implIS3_PlPS5_mZN2at6native12_GLOBAL__N_124unique_dim_cuda_templateIaEESt5tupleIJNSA_6TensorESF_SF_EERKSF_lbbbEUlllE_EE10hipError_tT0_T1_T2_jT3_P12ihipStream_tbPNSt15iterator_traitsISL_E10value_typeEPNSR_ISM_E10value_typeEPSN_NS1_7vsmem_tEENKUlT_SL_SM_SN_E_clIS8_S8_S9_S9_EESK_S10_SL_SM_SN_EUlS10_E_NS1_11comp_targetILNS1_3genE9ELNS1_11target_archE1100ELNS1_3gpuE3ELNS1_3repE0EEENS1_48merge_mergepath_partition_config_static_selectorELNS0_4arch9wavefront6targetE0EEEvSM_.has_recursion, 0
	.set _ZN7rocprim17ROCPRIM_400000_NS6detail17trampoline_kernelINS0_14default_configENS1_38merge_sort_block_merge_config_selectorIlNS0_10empty_typeEEEZZNS1_27merge_sort_block_merge_implIS3_PlPS5_mZN2at6native12_GLOBAL__N_124unique_dim_cuda_templateIaEESt5tupleIJNSA_6TensorESF_SF_EERKSF_lbbbEUlllE_EE10hipError_tT0_T1_T2_jT3_P12ihipStream_tbPNSt15iterator_traitsISL_E10value_typeEPNSR_ISM_E10value_typeEPSN_NS1_7vsmem_tEENKUlT_SL_SM_SN_E_clIS8_S8_S9_S9_EESK_S10_SL_SM_SN_EUlS10_E_NS1_11comp_targetILNS1_3genE9ELNS1_11target_archE1100ELNS1_3gpuE3ELNS1_3repE0EEENS1_48merge_mergepath_partition_config_static_selectorELNS0_4arch9wavefront6targetE0EEEvSM_.has_indirect_call, 0
	.section	.AMDGPU.csdata,"",@progbits
; Kernel info:
; codeLenInByte = 0
; TotalNumSgprs: 0
; NumVgprs: 0
; ScratchSize: 0
; MemoryBound: 0
; FloatMode: 240
; IeeeMode: 1
; LDSByteSize: 0 bytes/workgroup (compile time only)
; SGPRBlocks: 0
; VGPRBlocks: 0
; NumSGPRsForWavesPerEU: 1
; NumVGPRsForWavesPerEU: 1
; NamedBarCnt: 0
; Occupancy: 16
; WaveLimiterHint : 0
; COMPUTE_PGM_RSRC2:SCRATCH_EN: 0
; COMPUTE_PGM_RSRC2:USER_SGPR: 2
; COMPUTE_PGM_RSRC2:TRAP_HANDLER: 0
; COMPUTE_PGM_RSRC2:TGID_X_EN: 1
; COMPUTE_PGM_RSRC2:TGID_Y_EN: 0
; COMPUTE_PGM_RSRC2:TGID_Z_EN: 0
; COMPUTE_PGM_RSRC2:TIDIG_COMP_CNT: 0
	.section	.text._ZN7rocprim17ROCPRIM_400000_NS6detail17trampoline_kernelINS0_14default_configENS1_38merge_sort_block_merge_config_selectorIlNS0_10empty_typeEEEZZNS1_27merge_sort_block_merge_implIS3_PlPS5_mZN2at6native12_GLOBAL__N_124unique_dim_cuda_templateIaEESt5tupleIJNSA_6TensorESF_SF_EERKSF_lbbbEUlllE_EE10hipError_tT0_T1_T2_jT3_P12ihipStream_tbPNSt15iterator_traitsISL_E10value_typeEPNSR_ISM_E10value_typeEPSN_NS1_7vsmem_tEENKUlT_SL_SM_SN_E_clIS8_S8_S9_S9_EESK_S10_SL_SM_SN_EUlS10_E_NS1_11comp_targetILNS1_3genE8ELNS1_11target_archE1030ELNS1_3gpuE2ELNS1_3repE0EEENS1_48merge_mergepath_partition_config_static_selectorELNS0_4arch9wavefront6targetE0EEEvSM_,"axG",@progbits,_ZN7rocprim17ROCPRIM_400000_NS6detail17trampoline_kernelINS0_14default_configENS1_38merge_sort_block_merge_config_selectorIlNS0_10empty_typeEEEZZNS1_27merge_sort_block_merge_implIS3_PlPS5_mZN2at6native12_GLOBAL__N_124unique_dim_cuda_templateIaEESt5tupleIJNSA_6TensorESF_SF_EERKSF_lbbbEUlllE_EE10hipError_tT0_T1_T2_jT3_P12ihipStream_tbPNSt15iterator_traitsISL_E10value_typeEPNSR_ISM_E10value_typeEPSN_NS1_7vsmem_tEENKUlT_SL_SM_SN_E_clIS8_S8_S9_S9_EESK_S10_SL_SM_SN_EUlS10_E_NS1_11comp_targetILNS1_3genE8ELNS1_11target_archE1030ELNS1_3gpuE2ELNS1_3repE0EEENS1_48merge_mergepath_partition_config_static_selectorELNS0_4arch9wavefront6targetE0EEEvSM_,comdat
	.globl	_ZN7rocprim17ROCPRIM_400000_NS6detail17trampoline_kernelINS0_14default_configENS1_38merge_sort_block_merge_config_selectorIlNS0_10empty_typeEEEZZNS1_27merge_sort_block_merge_implIS3_PlPS5_mZN2at6native12_GLOBAL__N_124unique_dim_cuda_templateIaEESt5tupleIJNSA_6TensorESF_SF_EERKSF_lbbbEUlllE_EE10hipError_tT0_T1_T2_jT3_P12ihipStream_tbPNSt15iterator_traitsISL_E10value_typeEPNSR_ISM_E10value_typeEPSN_NS1_7vsmem_tEENKUlT_SL_SM_SN_E_clIS8_S8_S9_S9_EESK_S10_SL_SM_SN_EUlS10_E_NS1_11comp_targetILNS1_3genE8ELNS1_11target_archE1030ELNS1_3gpuE2ELNS1_3repE0EEENS1_48merge_mergepath_partition_config_static_selectorELNS0_4arch9wavefront6targetE0EEEvSM_ ; -- Begin function _ZN7rocprim17ROCPRIM_400000_NS6detail17trampoline_kernelINS0_14default_configENS1_38merge_sort_block_merge_config_selectorIlNS0_10empty_typeEEEZZNS1_27merge_sort_block_merge_implIS3_PlPS5_mZN2at6native12_GLOBAL__N_124unique_dim_cuda_templateIaEESt5tupleIJNSA_6TensorESF_SF_EERKSF_lbbbEUlllE_EE10hipError_tT0_T1_T2_jT3_P12ihipStream_tbPNSt15iterator_traitsISL_E10value_typeEPNSR_ISM_E10value_typeEPSN_NS1_7vsmem_tEENKUlT_SL_SM_SN_E_clIS8_S8_S9_S9_EESK_S10_SL_SM_SN_EUlS10_E_NS1_11comp_targetILNS1_3genE8ELNS1_11target_archE1030ELNS1_3gpuE2ELNS1_3repE0EEENS1_48merge_mergepath_partition_config_static_selectorELNS0_4arch9wavefront6targetE0EEEvSM_
	.p2align	8
	.type	_ZN7rocprim17ROCPRIM_400000_NS6detail17trampoline_kernelINS0_14default_configENS1_38merge_sort_block_merge_config_selectorIlNS0_10empty_typeEEEZZNS1_27merge_sort_block_merge_implIS3_PlPS5_mZN2at6native12_GLOBAL__N_124unique_dim_cuda_templateIaEESt5tupleIJNSA_6TensorESF_SF_EERKSF_lbbbEUlllE_EE10hipError_tT0_T1_T2_jT3_P12ihipStream_tbPNSt15iterator_traitsISL_E10value_typeEPNSR_ISM_E10value_typeEPSN_NS1_7vsmem_tEENKUlT_SL_SM_SN_E_clIS8_S8_S9_S9_EESK_S10_SL_SM_SN_EUlS10_E_NS1_11comp_targetILNS1_3genE8ELNS1_11target_archE1030ELNS1_3gpuE2ELNS1_3repE0EEENS1_48merge_mergepath_partition_config_static_selectorELNS0_4arch9wavefront6targetE0EEEvSM_,@function
_ZN7rocprim17ROCPRIM_400000_NS6detail17trampoline_kernelINS0_14default_configENS1_38merge_sort_block_merge_config_selectorIlNS0_10empty_typeEEEZZNS1_27merge_sort_block_merge_implIS3_PlPS5_mZN2at6native12_GLOBAL__N_124unique_dim_cuda_templateIaEESt5tupleIJNSA_6TensorESF_SF_EERKSF_lbbbEUlllE_EE10hipError_tT0_T1_T2_jT3_P12ihipStream_tbPNSt15iterator_traitsISL_E10value_typeEPNSR_ISM_E10value_typeEPSN_NS1_7vsmem_tEENKUlT_SL_SM_SN_E_clIS8_S8_S9_S9_EESK_S10_SL_SM_SN_EUlS10_E_NS1_11comp_targetILNS1_3genE8ELNS1_11target_archE1030ELNS1_3gpuE2ELNS1_3repE0EEENS1_48merge_mergepath_partition_config_static_selectorELNS0_4arch9wavefront6targetE0EEEvSM_: ; @_ZN7rocprim17ROCPRIM_400000_NS6detail17trampoline_kernelINS0_14default_configENS1_38merge_sort_block_merge_config_selectorIlNS0_10empty_typeEEEZZNS1_27merge_sort_block_merge_implIS3_PlPS5_mZN2at6native12_GLOBAL__N_124unique_dim_cuda_templateIaEESt5tupleIJNSA_6TensorESF_SF_EERKSF_lbbbEUlllE_EE10hipError_tT0_T1_T2_jT3_P12ihipStream_tbPNSt15iterator_traitsISL_E10value_typeEPNSR_ISM_E10value_typeEPSN_NS1_7vsmem_tEENKUlT_SL_SM_SN_E_clIS8_S8_S9_S9_EESK_S10_SL_SM_SN_EUlS10_E_NS1_11comp_targetILNS1_3genE8ELNS1_11target_archE1030ELNS1_3gpuE2ELNS1_3repE0EEENS1_48merge_mergepath_partition_config_static_selectorELNS0_4arch9wavefront6targetE0EEEvSM_
; %bb.0:
	.section	.rodata,"a",@progbits
	.p2align	6, 0x0
	.amdhsa_kernel _ZN7rocprim17ROCPRIM_400000_NS6detail17trampoline_kernelINS0_14default_configENS1_38merge_sort_block_merge_config_selectorIlNS0_10empty_typeEEEZZNS1_27merge_sort_block_merge_implIS3_PlPS5_mZN2at6native12_GLOBAL__N_124unique_dim_cuda_templateIaEESt5tupleIJNSA_6TensorESF_SF_EERKSF_lbbbEUlllE_EE10hipError_tT0_T1_T2_jT3_P12ihipStream_tbPNSt15iterator_traitsISL_E10value_typeEPNSR_ISM_E10value_typeEPSN_NS1_7vsmem_tEENKUlT_SL_SM_SN_E_clIS8_S8_S9_S9_EESK_S10_SL_SM_SN_EUlS10_E_NS1_11comp_targetILNS1_3genE8ELNS1_11target_archE1030ELNS1_3gpuE2ELNS1_3repE0EEENS1_48merge_mergepath_partition_config_static_selectorELNS0_4arch9wavefront6targetE0EEEvSM_
		.amdhsa_group_segment_fixed_size 0
		.amdhsa_private_segment_fixed_size 0
		.amdhsa_kernarg_size 56
		.amdhsa_user_sgpr_count 2
		.amdhsa_user_sgpr_dispatch_ptr 0
		.amdhsa_user_sgpr_queue_ptr 0
		.amdhsa_user_sgpr_kernarg_segment_ptr 1
		.amdhsa_user_sgpr_dispatch_id 0
		.amdhsa_user_sgpr_kernarg_preload_length 0
		.amdhsa_user_sgpr_kernarg_preload_offset 0
		.amdhsa_user_sgpr_private_segment_size 0
		.amdhsa_wavefront_size32 1
		.amdhsa_uses_dynamic_stack 0
		.amdhsa_enable_private_segment 0
		.amdhsa_system_sgpr_workgroup_id_x 1
		.amdhsa_system_sgpr_workgroup_id_y 0
		.amdhsa_system_sgpr_workgroup_id_z 0
		.amdhsa_system_sgpr_workgroup_info 0
		.amdhsa_system_vgpr_workitem_id 0
		.amdhsa_next_free_vgpr 1
		.amdhsa_next_free_sgpr 1
		.amdhsa_named_barrier_count 0
		.amdhsa_reserve_vcc 0
		.amdhsa_float_round_mode_32 0
		.amdhsa_float_round_mode_16_64 0
		.amdhsa_float_denorm_mode_32 3
		.amdhsa_float_denorm_mode_16_64 3
		.amdhsa_fp16_overflow 0
		.amdhsa_memory_ordered 1
		.amdhsa_forward_progress 1
		.amdhsa_inst_pref_size 0
		.amdhsa_round_robin_scheduling 0
		.amdhsa_exception_fp_ieee_invalid_op 0
		.amdhsa_exception_fp_denorm_src 0
		.amdhsa_exception_fp_ieee_div_zero 0
		.amdhsa_exception_fp_ieee_overflow 0
		.amdhsa_exception_fp_ieee_underflow 0
		.amdhsa_exception_fp_ieee_inexact 0
		.amdhsa_exception_int_div_zero 0
	.end_amdhsa_kernel
	.section	.text._ZN7rocprim17ROCPRIM_400000_NS6detail17trampoline_kernelINS0_14default_configENS1_38merge_sort_block_merge_config_selectorIlNS0_10empty_typeEEEZZNS1_27merge_sort_block_merge_implIS3_PlPS5_mZN2at6native12_GLOBAL__N_124unique_dim_cuda_templateIaEESt5tupleIJNSA_6TensorESF_SF_EERKSF_lbbbEUlllE_EE10hipError_tT0_T1_T2_jT3_P12ihipStream_tbPNSt15iterator_traitsISL_E10value_typeEPNSR_ISM_E10value_typeEPSN_NS1_7vsmem_tEENKUlT_SL_SM_SN_E_clIS8_S8_S9_S9_EESK_S10_SL_SM_SN_EUlS10_E_NS1_11comp_targetILNS1_3genE8ELNS1_11target_archE1030ELNS1_3gpuE2ELNS1_3repE0EEENS1_48merge_mergepath_partition_config_static_selectorELNS0_4arch9wavefront6targetE0EEEvSM_,"axG",@progbits,_ZN7rocprim17ROCPRIM_400000_NS6detail17trampoline_kernelINS0_14default_configENS1_38merge_sort_block_merge_config_selectorIlNS0_10empty_typeEEEZZNS1_27merge_sort_block_merge_implIS3_PlPS5_mZN2at6native12_GLOBAL__N_124unique_dim_cuda_templateIaEESt5tupleIJNSA_6TensorESF_SF_EERKSF_lbbbEUlllE_EE10hipError_tT0_T1_T2_jT3_P12ihipStream_tbPNSt15iterator_traitsISL_E10value_typeEPNSR_ISM_E10value_typeEPSN_NS1_7vsmem_tEENKUlT_SL_SM_SN_E_clIS8_S8_S9_S9_EESK_S10_SL_SM_SN_EUlS10_E_NS1_11comp_targetILNS1_3genE8ELNS1_11target_archE1030ELNS1_3gpuE2ELNS1_3repE0EEENS1_48merge_mergepath_partition_config_static_selectorELNS0_4arch9wavefront6targetE0EEEvSM_,comdat
.Lfunc_end277:
	.size	_ZN7rocprim17ROCPRIM_400000_NS6detail17trampoline_kernelINS0_14default_configENS1_38merge_sort_block_merge_config_selectorIlNS0_10empty_typeEEEZZNS1_27merge_sort_block_merge_implIS3_PlPS5_mZN2at6native12_GLOBAL__N_124unique_dim_cuda_templateIaEESt5tupleIJNSA_6TensorESF_SF_EERKSF_lbbbEUlllE_EE10hipError_tT0_T1_T2_jT3_P12ihipStream_tbPNSt15iterator_traitsISL_E10value_typeEPNSR_ISM_E10value_typeEPSN_NS1_7vsmem_tEENKUlT_SL_SM_SN_E_clIS8_S8_S9_S9_EESK_S10_SL_SM_SN_EUlS10_E_NS1_11comp_targetILNS1_3genE8ELNS1_11target_archE1030ELNS1_3gpuE2ELNS1_3repE0EEENS1_48merge_mergepath_partition_config_static_selectorELNS0_4arch9wavefront6targetE0EEEvSM_, .Lfunc_end277-_ZN7rocprim17ROCPRIM_400000_NS6detail17trampoline_kernelINS0_14default_configENS1_38merge_sort_block_merge_config_selectorIlNS0_10empty_typeEEEZZNS1_27merge_sort_block_merge_implIS3_PlPS5_mZN2at6native12_GLOBAL__N_124unique_dim_cuda_templateIaEESt5tupleIJNSA_6TensorESF_SF_EERKSF_lbbbEUlllE_EE10hipError_tT0_T1_T2_jT3_P12ihipStream_tbPNSt15iterator_traitsISL_E10value_typeEPNSR_ISM_E10value_typeEPSN_NS1_7vsmem_tEENKUlT_SL_SM_SN_E_clIS8_S8_S9_S9_EESK_S10_SL_SM_SN_EUlS10_E_NS1_11comp_targetILNS1_3genE8ELNS1_11target_archE1030ELNS1_3gpuE2ELNS1_3repE0EEENS1_48merge_mergepath_partition_config_static_selectorELNS0_4arch9wavefront6targetE0EEEvSM_
                                        ; -- End function
	.set _ZN7rocprim17ROCPRIM_400000_NS6detail17trampoline_kernelINS0_14default_configENS1_38merge_sort_block_merge_config_selectorIlNS0_10empty_typeEEEZZNS1_27merge_sort_block_merge_implIS3_PlPS5_mZN2at6native12_GLOBAL__N_124unique_dim_cuda_templateIaEESt5tupleIJNSA_6TensorESF_SF_EERKSF_lbbbEUlllE_EE10hipError_tT0_T1_T2_jT3_P12ihipStream_tbPNSt15iterator_traitsISL_E10value_typeEPNSR_ISM_E10value_typeEPSN_NS1_7vsmem_tEENKUlT_SL_SM_SN_E_clIS8_S8_S9_S9_EESK_S10_SL_SM_SN_EUlS10_E_NS1_11comp_targetILNS1_3genE8ELNS1_11target_archE1030ELNS1_3gpuE2ELNS1_3repE0EEENS1_48merge_mergepath_partition_config_static_selectorELNS0_4arch9wavefront6targetE0EEEvSM_.num_vgpr, 0
	.set _ZN7rocprim17ROCPRIM_400000_NS6detail17trampoline_kernelINS0_14default_configENS1_38merge_sort_block_merge_config_selectorIlNS0_10empty_typeEEEZZNS1_27merge_sort_block_merge_implIS3_PlPS5_mZN2at6native12_GLOBAL__N_124unique_dim_cuda_templateIaEESt5tupleIJNSA_6TensorESF_SF_EERKSF_lbbbEUlllE_EE10hipError_tT0_T1_T2_jT3_P12ihipStream_tbPNSt15iterator_traitsISL_E10value_typeEPNSR_ISM_E10value_typeEPSN_NS1_7vsmem_tEENKUlT_SL_SM_SN_E_clIS8_S8_S9_S9_EESK_S10_SL_SM_SN_EUlS10_E_NS1_11comp_targetILNS1_3genE8ELNS1_11target_archE1030ELNS1_3gpuE2ELNS1_3repE0EEENS1_48merge_mergepath_partition_config_static_selectorELNS0_4arch9wavefront6targetE0EEEvSM_.num_agpr, 0
	.set _ZN7rocprim17ROCPRIM_400000_NS6detail17trampoline_kernelINS0_14default_configENS1_38merge_sort_block_merge_config_selectorIlNS0_10empty_typeEEEZZNS1_27merge_sort_block_merge_implIS3_PlPS5_mZN2at6native12_GLOBAL__N_124unique_dim_cuda_templateIaEESt5tupleIJNSA_6TensorESF_SF_EERKSF_lbbbEUlllE_EE10hipError_tT0_T1_T2_jT3_P12ihipStream_tbPNSt15iterator_traitsISL_E10value_typeEPNSR_ISM_E10value_typeEPSN_NS1_7vsmem_tEENKUlT_SL_SM_SN_E_clIS8_S8_S9_S9_EESK_S10_SL_SM_SN_EUlS10_E_NS1_11comp_targetILNS1_3genE8ELNS1_11target_archE1030ELNS1_3gpuE2ELNS1_3repE0EEENS1_48merge_mergepath_partition_config_static_selectorELNS0_4arch9wavefront6targetE0EEEvSM_.numbered_sgpr, 0
	.set _ZN7rocprim17ROCPRIM_400000_NS6detail17trampoline_kernelINS0_14default_configENS1_38merge_sort_block_merge_config_selectorIlNS0_10empty_typeEEEZZNS1_27merge_sort_block_merge_implIS3_PlPS5_mZN2at6native12_GLOBAL__N_124unique_dim_cuda_templateIaEESt5tupleIJNSA_6TensorESF_SF_EERKSF_lbbbEUlllE_EE10hipError_tT0_T1_T2_jT3_P12ihipStream_tbPNSt15iterator_traitsISL_E10value_typeEPNSR_ISM_E10value_typeEPSN_NS1_7vsmem_tEENKUlT_SL_SM_SN_E_clIS8_S8_S9_S9_EESK_S10_SL_SM_SN_EUlS10_E_NS1_11comp_targetILNS1_3genE8ELNS1_11target_archE1030ELNS1_3gpuE2ELNS1_3repE0EEENS1_48merge_mergepath_partition_config_static_selectorELNS0_4arch9wavefront6targetE0EEEvSM_.num_named_barrier, 0
	.set _ZN7rocprim17ROCPRIM_400000_NS6detail17trampoline_kernelINS0_14default_configENS1_38merge_sort_block_merge_config_selectorIlNS0_10empty_typeEEEZZNS1_27merge_sort_block_merge_implIS3_PlPS5_mZN2at6native12_GLOBAL__N_124unique_dim_cuda_templateIaEESt5tupleIJNSA_6TensorESF_SF_EERKSF_lbbbEUlllE_EE10hipError_tT0_T1_T2_jT3_P12ihipStream_tbPNSt15iterator_traitsISL_E10value_typeEPNSR_ISM_E10value_typeEPSN_NS1_7vsmem_tEENKUlT_SL_SM_SN_E_clIS8_S8_S9_S9_EESK_S10_SL_SM_SN_EUlS10_E_NS1_11comp_targetILNS1_3genE8ELNS1_11target_archE1030ELNS1_3gpuE2ELNS1_3repE0EEENS1_48merge_mergepath_partition_config_static_selectorELNS0_4arch9wavefront6targetE0EEEvSM_.private_seg_size, 0
	.set _ZN7rocprim17ROCPRIM_400000_NS6detail17trampoline_kernelINS0_14default_configENS1_38merge_sort_block_merge_config_selectorIlNS0_10empty_typeEEEZZNS1_27merge_sort_block_merge_implIS3_PlPS5_mZN2at6native12_GLOBAL__N_124unique_dim_cuda_templateIaEESt5tupleIJNSA_6TensorESF_SF_EERKSF_lbbbEUlllE_EE10hipError_tT0_T1_T2_jT3_P12ihipStream_tbPNSt15iterator_traitsISL_E10value_typeEPNSR_ISM_E10value_typeEPSN_NS1_7vsmem_tEENKUlT_SL_SM_SN_E_clIS8_S8_S9_S9_EESK_S10_SL_SM_SN_EUlS10_E_NS1_11comp_targetILNS1_3genE8ELNS1_11target_archE1030ELNS1_3gpuE2ELNS1_3repE0EEENS1_48merge_mergepath_partition_config_static_selectorELNS0_4arch9wavefront6targetE0EEEvSM_.uses_vcc, 0
	.set _ZN7rocprim17ROCPRIM_400000_NS6detail17trampoline_kernelINS0_14default_configENS1_38merge_sort_block_merge_config_selectorIlNS0_10empty_typeEEEZZNS1_27merge_sort_block_merge_implIS3_PlPS5_mZN2at6native12_GLOBAL__N_124unique_dim_cuda_templateIaEESt5tupleIJNSA_6TensorESF_SF_EERKSF_lbbbEUlllE_EE10hipError_tT0_T1_T2_jT3_P12ihipStream_tbPNSt15iterator_traitsISL_E10value_typeEPNSR_ISM_E10value_typeEPSN_NS1_7vsmem_tEENKUlT_SL_SM_SN_E_clIS8_S8_S9_S9_EESK_S10_SL_SM_SN_EUlS10_E_NS1_11comp_targetILNS1_3genE8ELNS1_11target_archE1030ELNS1_3gpuE2ELNS1_3repE0EEENS1_48merge_mergepath_partition_config_static_selectorELNS0_4arch9wavefront6targetE0EEEvSM_.uses_flat_scratch, 0
	.set _ZN7rocprim17ROCPRIM_400000_NS6detail17trampoline_kernelINS0_14default_configENS1_38merge_sort_block_merge_config_selectorIlNS0_10empty_typeEEEZZNS1_27merge_sort_block_merge_implIS3_PlPS5_mZN2at6native12_GLOBAL__N_124unique_dim_cuda_templateIaEESt5tupleIJNSA_6TensorESF_SF_EERKSF_lbbbEUlllE_EE10hipError_tT0_T1_T2_jT3_P12ihipStream_tbPNSt15iterator_traitsISL_E10value_typeEPNSR_ISM_E10value_typeEPSN_NS1_7vsmem_tEENKUlT_SL_SM_SN_E_clIS8_S8_S9_S9_EESK_S10_SL_SM_SN_EUlS10_E_NS1_11comp_targetILNS1_3genE8ELNS1_11target_archE1030ELNS1_3gpuE2ELNS1_3repE0EEENS1_48merge_mergepath_partition_config_static_selectorELNS0_4arch9wavefront6targetE0EEEvSM_.has_dyn_sized_stack, 0
	.set _ZN7rocprim17ROCPRIM_400000_NS6detail17trampoline_kernelINS0_14default_configENS1_38merge_sort_block_merge_config_selectorIlNS0_10empty_typeEEEZZNS1_27merge_sort_block_merge_implIS3_PlPS5_mZN2at6native12_GLOBAL__N_124unique_dim_cuda_templateIaEESt5tupleIJNSA_6TensorESF_SF_EERKSF_lbbbEUlllE_EE10hipError_tT0_T1_T2_jT3_P12ihipStream_tbPNSt15iterator_traitsISL_E10value_typeEPNSR_ISM_E10value_typeEPSN_NS1_7vsmem_tEENKUlT_SL_SM_SN_E_clIS8_S8_S9_S9_EESK_S10_SL_SM_SN_EUlS10_E_NS1_11comp_targetILNS1_3genE8ELNS1_11target_archE1030ELNS1_3gpuE2ELNS1_3repE0EEENS1_48merge_mergepath_partition_config_static_selectorELNS0_4arch9wavefront6targetE0EEEvSM_.has_recursion, 0
	.set _ZN7rocprim17ROCPRIM_400000_NS6detail17trampoline_kernelINS0_14default_configENS1_38merge_sort_block_merge_config_selectorIlNS0_10empty_typeEEEZZNS1_27merge_sort_block_merge_implIS3_PlPS5_mZN2at6native12_GLOBAL__N_124unique_dim_cuda_templateIaEESt5tupleIJNSA_6TensorESF_SF_EERKSF_lbbbEUlllE_EE10hipError_tT0_T1_T2_jT3_P12ihipStream_tbPNSt15iterator_traitsISL_E10value_typeEPNSR_ISM_E10value_typeEPSN_NS1_7vsmem_tEENKUlT_SL_SM_SN_E_clIS8_S8_S9_S9_EESK_S10_SL_SM_SN_EUlS10_E_NS1_11comp_targetILNS1_3genE8ELNS1_11target_archE1030ELNS1_3gpuE2ELNS1_3repE0EEENS1_48merge_mergepath_partition_config_static_selectorELNS0_4arch9wavefront6targetE0EEEvSM_.has_indirect_call, 0
	.section	.AMDGPU.csdata,"",@progbits
; Kernel info:
; codeLenInByte = 0
; TotalNumSgprs: 0
; NumVgprs: 0
; ScratchSize: 0
; MemoryBound: 0
; FloatMode: 240
; IeeeMode: 1
; LDSByteSize: 0 bytes/workgroup (compile time only)
; SGPRBlocks: 0
; VGPRBlocks: 0
; NumSGPRsForWavesPerEU: 1
; NumVGPRsForWavesPerEU: 1
; NamedBarCnt: 0
; Occupancy: 16
; WaveLimiterHint : 0
; COMPUTE_PGM_RSRC2:SCRATCH_EN: 0
; COMPUTE_PGM_RSRC2:USER_SGPR: 2
; COMPUTE_PGM_RSRC2:TRAP_HANDLER: 0
; COMPUTE_PGM_RSRC2:TGID_X_EN: 1
; COMPUTE_PGM_RSRC2:TGID_Y_EN: 0
; COMPUTE_PGM_RSRC2:TGID_Z_EN: 0
; COMPUTE_PGM_RSRC2:TIDIG_COMP_CNT: 0
	.section	.text._ZN7rocprim17ROCPRIM_400000_NS6detail17trampoline_kernelINS0_14default_configENS1_38merge_sort_block_merge_config_selectorIlNS0_10empty_typeEEEZZNS1_27merge_sort_block_merge_implIS3_PlPS5_mZN2at6native12_GLOBAL__N_124unique_dim_cuda_templateIaEESt5tupleIJNSA_6TensorESF_SF_EERKSF_lbbbEUlllE_EE10hipError_tT0_T1_T2_jT3_P12ihipStream_tbPNSt15iterator_traitsISL_E10value_typeEPNSR_ISM_E10value_typeEPSN_NS1_7vsmem_tEENKUlT_SL_SM_SN_E_clIS8_S8_S9_S9_EESK_S10_SL_SM_SN_EUlS10_E0_NS1_11comp_targetILNS1_3genE0ELNS1_11target_archE4294967295ELNS1_3gpuE0ELNS1_3repE0EEENS1_38merge_mergepath_config_static_selectorELNS0_4arch9wavefront6targetE0EEEvSM_,"axG",@progbits,_ZN7rocprim17ROCPRIM_400000_NS6detail17trampoline_kernelINS0_14default_configENS1_38merge_sort_block_merge_config_selectorIlNS0_10empty_typeEEEZZNS1_27merge_sort_block_merge_implIS3_PlPS5_mZN2at6native12_GLOBAL__N_124unique_dim_cuda_templateIaEESt5tupleIJNSA_6TensorESF_SF_EERKSF_lbbbEUlllE_EE10hipError_tT0_T1_T2_jT3_P12ihipStream_tbPNSt15iterator_traitsISL_E10value_typeEPNSR_ISM_E10value_typeEPSN_NS1_7vsmem_tEENKUlT_SL_SM_SN_E_clIS8_S8_S9_S9_EESK_S10_SL_SM_SN_EUlS10_E0_NS1_11comp_targetILNS1_3genE0ELNS1_11target_archE4294967295ELNS1_3gpuE0ELNS1_3repE0EEENS1_38merge_mergepath_config_static_selectorELNS0_4arch9wavefront6targetE0EEEvSM_,comdat
	.globl	_ZN7rocprim17ROCPRIM_400000_NS6detail17trampoline_kernelINS0_14default_configENS1_38merge_sort_block_merge_config_selectorIlNS0_10empty_typeEEEZZNS1_27merge_sort_block_merge_implIS3_PlPS5_mZN2at6native12_GLOBAL__N_124unique_dim_cuda_templateIaEESt5tupleIJNSA_6TensorESF_SF_EERKSF_lbbbEUlllE_EE10hipError_tT0_T1_T2_jT3_P12ihipStream_tbPNSt15iterator_traitsISL_E10value_typeEPNSR_ISM_E10value_typeEPSN_NS1_7vsmem_tEENKUlT_SL_SM_SN_E_clIS8_S8_S9_S9_EESK_S10_SL_SM_SN_EUlS10_E0_NS1_11comp_targetILNS1_3genE0ELNS1_11target_archE4294967295ELNS1_3gpuE0ELNS1_3repE0EEENS1_38merge_mergepath_config_static_selectorELNS0_4arch9wavefront6targetE0EEEvSM_ ; -- Begin function _ZN7rocprim17ROCPRIM_400000_NS6detail17trampoline_kernelINS0_14default_configENS1_38merge_sort_block_merge_config_selectorIlNS0_10empty_typeEEEZZNS1_27merge_sort_block_merge_implIS3_PlPS5_mZN2at6native12_GLOBAL__N_124unique_dim_cuda_templateIaEESt5tupleIJNSA_6TensorESF_SF_EERKSF_lbbbEUlllE_EE10hipError_tT0_T1_T2_jT3_P12ihipStream_tbPNSt15iterator_traitsISL_E10value_typeEPNSR_ISM_E10value_typeEPSN_NS1_7vsmem_tEENKUlT_SL_SM_SN_E_clIS8_S8_S9_S9_EESK_S10_SL_SM_SN_EUlS10_E0_NS1_11comp_targetILNS1_3genE0ELNS1_11target_archE4294967295ELNS1_3gpuE0ELNS1_3repE0EEENS1_38merge_mergepath_config_static_selectorELNS0_4arch9wavefront6targetE0EEEvSM_
	.p2align	8
	.type	_ZN7rocprim17ROCPRIM_400000_NS6detail17trampoline_kernelINS0_14default_configENS1_38merge_sort_block_merge_config_selectorIlNS0_10empty_typeEEEZZNS1_27merge_sort_block_merge_implIS3_PlPS5_mZN2at6native12_GLOBAL__N_124unique_dim_cuda_templateIaEESt5tupleIJNSA_6TensorESF_SF_EERKSF_lbbbEUlllE_EE10hipError_tT0_T1_T2_jT3_P12ihipStream_tbPNSt15iterator_traitsISL_E10value_typeEPNSR_ISM_E10value_typeEPSN_NS1_7vsmem_tEENKUlT_SL_SM_SN_E_clIS8_S8_S9_S9_EESK_S10_SL_SM_SN_EUlS10_E0_NS1_11comp_targetILNS1_3genE0ELNS1_11target_archE4294967295ELNS1_3gpuE0ELNS1_3repE0EEENS1_38merge_mergepath_config_static_selectorELNS0_4arch9wavefront6targetE0EEEvSM_,@function
_ZN7rocprim17ROCPRIM_400000_NS6detail17trampoline_kernelINS0_14default_configENS1_38merge_sort_block_merge_config_selectorIlNS0_10empty_typeEEEZZNS1_27merge_sort_block_merge_implIS3_PlPS5_mZN2at6native12_GLOBAL__N_124unique_dim_cuda_templateIaEESt5tupleIJNSA_6TensorESF_SF_EERKSF_lbbbEUlllE_EE10hipError_tT0_T1_T2_jT3_P12ihipStream_tbPNSt15iterator_traitsISL_E10value_typeEPNSR_ISM_E10value_typeEPSN_NS1_7vsmem_tEENKUlT_SL_SM_SN_E_clIS8_S8_S9_S9_EESK_S10_SL_SM_SN_EUlS10_E0_NS1_11comp_targetILNS1_3genE0ELNS1_11target_archE4294967295ELNS1_3gpuE0ELNS1_3repE0EEENS1_38merge_mergepath_config_static_selectorELNS0_4arch9wavefront6targetE0EEEvSM_: ; @_ZN7rocprim17ROCPRIM_400000_NS6detail17trampoline_kernelINS0_14default_configENS1_38merge_sort_block_merge_config_selectorIlNS0_10empty_typeEEEZZNS1_27merge_sort_block_merge_implIS3_PlPS5_mZN2at6native12_GLOBAL__N_124unique_dim_cuda_templateIaEESt5tupleIJNSA_6TensorESF_SF_EERKSF_lbbbEUlllE_EE10hipError_tT0_T1_T2_jT3_P12ihipStream_tbPNSt15iterator_traitsISL_E10value_typeEPNSR_ISM_E10value_typeEPSN_NS1_7vsmem_tEENKUlT_SL_SM_SN_E_clIS8_S8_S9_S9_EESK_S10_SL_SM_SN_EUlS10_E0_NS1_11comp_targetILNS1_3genE0ELNS1_11target_archE4294967295ELNS1_3gpuE0ELNS1_3repE0EEENS1_38merge_mergepath_config_static_selectorELNS0_4arch9wavefront6targetE0EEEvSM_
; %bb.0:
	s_bfe_u32 s2, ttmp6, 0x40010
	s_and_b32 s4, ttmp7, 0xffff
	s_add_co_i32 s5, s2, 1
	s_clause 0x1
	s_load_b32 s6, s[0:1], 0x38
	s_load_b64 s[2:3], s[0:1], 0x58
	s_bfe_u32 s8, ttmp6, 0x4000c
	s_mul_i32 s5, s4, s5
	s_bfe_u32 s7, ttmp6, 0x40004
	s_add_co_i32 s8, s8, 1
	s_bfe_u32 s9, ttmp6, 0x40014
	s_add_co_i32 s7, s7, s5
	s_and_b32 s5, ttmp6, 15
	s_mul_i32 s8, ttmp9, s8
	s_lshr_b32 s10, ttmp7, 16
	s_add_co_i32 s9, s9, 1
	s_add_co_i32 s5, s5, s8
	s_mul_i32 s8, s10, s9
	s_bfe_u32 s9, ttmp6, 0x40008
	s_getreg_b32 s11, hwreg(HW_REG_IB_STS2, 6, 4)
	s_add_co_i32 s9, s9, s8
	s_cmp_eq_u32 s11, 0
	s_mov_b32 s19, 0
	s_cselect_b32 s8, s10, s9
	s_cselect_b32 s4, s4, s7
	s_wait_kmcnt 0x0
	s_mul_i32 s8, s3, s8
	s_cselect_b32 s3, ttmp9, s5
	s_add_co_i32 s4, s8, s4
	s_delay_alu instid0(SALU_CYCLE_1) | instskip(NEXT) | instid1(SALU_CYCLE_1)
	s_mul_i32 s4, s4, s2
	s_add_co_i32 s18, s4, s3
	s_delay_alu instid0(SALU_CYCLE_1)
	s_cmp_ge_u32 s18, s6
	s_cbranch_scc1 .LBB278_139
; %bb.1:
	s_clause 0x1
	s_load_b64 s[4:5], s[0:1], 0x50
	s_load_b128 s[8:11], s[0:1], 0x28
	s_lshl_b64 s[6:7], s[18:19], 3
	s_mov_b32 s23, s19
	s_add_nc_u64 s[20:21], s[0:1], 0x58
	s_wait_kmcnt 0x0
	s_add_nc_u64 s[16:17], s[4:5], s[6:7]
	s_load_b128 s[12:15], s[16:17], 0x0
	s_load_b128 s[4:7], s[0:1], 0x8
	s_wait_xcnt 0x0
	s_lshr_b64 s[16:17], s[10:11], 9
	s_delay_alu instid0(SALU_CYCLE_1) | instskip(NEXT) | instid1(SALU_CYCLE_1)
	s_and_b32 s16, s16, -2
	s_sub_co_i32 s30, 0, s16
	s_lshl_b64 s[16:17], s[18:19], 10
	s_and_b32 s22, s18, s30
	s_or_b32 s30, s18, s30
	s_lshl_b64 s[24:25], s[22:23], 10
	s_lshl_b64 s[22:23], s[22:23], 11
	s_sub_nc_u64 s[28:29], s[16:17], s[24:25]
	s_add_nc_u64 s[26:27], s[22:23], s[10:11]
	s_cmp_lg_u32 s30, -1
	s_add_nc_u64 s[22:23], s[26:27], s[28:29]
	s_mov_b32 s28, -1
	s_cbranch_scc0 .LBB278_3
; %bb.2:
	s_wait_kmcnt 0x0
	s_sub_nc_u64 s[10:11], s[22:23], s[14:15]
	v_mov_b64_e32 v[2:3], s[14:15]
	s_add_nc_u64 s[10:11], s[10:11], 0x400
	s_branch .LBB278_4
.LBB278_3:
	s_wait_kmcnt 0x0
	s_sub_nc_u64 s[14:15], s[26:27], s[24:25]
	s_delay_alu instid0(SALU_CYCLE_1)
	v_min_u64 v[2:3], s[8:9], s[14:15]
	s_add_nc_u64 s[10:11], s[14:15], s[10:11]
.LBB278_4:
	v_mov_b32_e32 v21, 0
	v_min_u64 v[4:5], s[8:9], s[10:11]
	s_sub_nc_u64 s[10:11], s[22:23], s[12:13]
	v_lshlrev_b32_e32 v20, 3, v0
	v_min_u64 v[6:7], s[8:9], s[10:11]
	global_load_b32 v1, v21, s[20:21] offset:14
	s_lshr_b64 s[10:11], s[8:9], 10
	s_delay_alu instid0(SALU_CYCLE_1)
	s_cmp_lg_u64 s[10:11], s[18:19]
	s_cselect_b32 s9, -1, 0
	s_lshl_b64 s[14:15], s[12:13], 3
	s_cmp_lt_u32 s3, s2
	s_mov_b32 s3, 0
	s_cselect_b32 s2, 12, 18
	s_cmp_eq_u64 s[10:11], s[18:19]
	s_add_nc_u64 s[2:3], s[20:21], s[2:3]
	s_add_nc_u64 s[10:11], s[4:5], s[14:15]
	s_load_u16 s2, s[2:3], 0x0
	v_lshlrev_b64_e32 v[8:9], 3, v[6:7]
	v_sub_nc_u32_e32 v25, v4, v6
	s_delay_alu instid0(VALU_DEP_2) | instskip(SKIP_3) | instid1(VALU_DEP_1)
	v_add_nc_u64_e32 v[22:23], s[4:5], v[8:9]
	s_wait_loadcnt 0x0
	v_lshrrev_b32_e32 v3, 16, v1
	v_and_b32_e32 v1, 0xffff, v1
	v_mul_lo_u32 v1, v1, v3
	s_wait_kmcnt 0x0
	s_delay_alu instid0(VALU_DEP_1)
	v_mul_lo_u32 v26, v1, s2
	v_subrev_nc_u32_e32 v1, s12, v2
	s_cbranch_scc1 .LBB278_6
; %bb.5:
	s_delay_alu instid0(VALU_DEP_1) | instskip(NEXT) | instid1(VALU_DEP_3)
	v_sub_co_u32 v4, vcc_lo, v0, v1
	v_dual_mov_b32 v5, v21 :: v_dual_add_nc_u32 v6, v26, v0
	v_dual_mov_b32 v7, v21 :: v_dual_mov_b32 v11, v21
	v_add_nc_u64_e32 v[2:3], s[10:11], v[20:21]
	s_delay_alu instid0(VALU_DEP_3) | instskip(NEXT) | instid1(VALU_DEP_4)
	v_lshl_add_u64 v[4:5], v[4:5], 3, v[22:23]
	v_sub_co_u32 v10, s2, v6, v1
	s_delay_alu instid0(VALU_DEP_4) | instskip(SKIP_1) | instid1(VALU_DEP_4)
	v_lshl_add_u64 v[8:9], v[6:7], 3, s[10:11]
	v_dual_mov_b32 v13, v21 :: v_dual_add_nc_u32 v6, v6, v26
	v_dual_cndmask_b32 v2, v4, v2 :: v_dual_cndmask_b32 v3, v5, v3
	s_delay_alu instid0(VALU_DEP_4) | instskip(NEXT) | instid1(VALU_DEP_3)
	v_lshl_add_u64 v[4:5], v[10:11], 3, v[22:23]
	v_lshl_add_u64 v[10:11], v[6:7], 3, s[10:11]
	v_sub_co_u32 v12, vcc_lo, v6, v1
	s_delay_alu instid0(VALU_DEP_3) | instskip(NEXT) | instid1(VALU_DEP_4)
	v_dual_add_nc_u32 v6, v6, v26 :: v_dual_cndmask_b32 v5, v5, v9, s2
	v_dual_cndmask_b32 v4, v4, v8, s2 :: v_dual_mov_b32 v15, v21
	s_delay_alu instid0(VALU_DEP_3) | instskip(NEXT) | instid1(VALU_DEP_3)
	v_lshl_add_u64 v[8:9], v[12:13], 3, v[22:23]
	v_lshl_add_u64 v[12:13], v[6:7], 3, s[10:11]
	v_sub_co_u32 v14, s2, v6, v1
	s_delay_alu instid0(VALU_DEP_3) | instskip(NEXT) | instid1(VALU_DEP_4)
	v_dual_cndmask_b32 v9, v9, v11 :: v_dual_add_nc_u32 v6, v6, v26
	v_dual_cndmask_b32 v8, v8, v10 :: v_dual_mov_b32 v17, v21
	s_delay_alu instid0(VALU_DEP_3) | instskip(NEXT) | instid1(VALU_DEP_3)
	v_lshl_add_u64 v[10:11], v[14:15], 3, v[22:23]
	v_dual_mov_b32 v19, v21 :: v_dual_add_nc_u32 v18, v6, v26
	v_sub_co_u32 v16, vcc_lo, v6, v1
	s_delay_alu instid0(VALU_DEP_3) | instskip(NEXT) | instid1(VALU_DEP_3)
	v_dual_cndmask_b32 v29, v11, v13, s2 :: v_dual_cndmask_b32 v28, v10, v12, s2
	v_dual_mov_b32 v13, v21 :: v_dual_add_nc_u32 v12, v18, v26
	v_lshl_add_u64 v[14:15], v[6:7], 3, s[10:11]
	global_load_b64 v[6:7], v[8:9], off
	s_wait_xcnt 0x0
	v_lshl_add_u64 v[8:9], v[16:17], 3, v[22:23]
	v_lshl_add_u64 v[10:11], v[18:19], 3, s[10:11]
	v_sub_co_u32 v16, s2, v18, v1
	s_delay_alu instid0(VALU_DEP_3) | instskip(SKIP_2) | instid1(VALU_DEP_3)
	v_dual_cndmask_b32 v35, v9, v15 :: v_dual_add_nc_u32 v18, v12, v26
	v_lshl_add_u64 v[30:31], v[12:13], 3, s[10:11]
	v_sub_co_u32 v12, s3, v12, v1
	v_lshl_add_u64 v[32:33], v[18:19], 3, s[10:11]
	v_sub_co_u32 v18, s4, v18, v1
	v_lshl_add_u64 v[16:17], v[16:17], 3, v[22:23]
	s_delay_alu instid0(VALU_DEP_4) | instskip(SKIP_1) | instid1(VALU_DEP_4)
	v_lshl_add_u64 v[12:13], v[12:13], 3, v[22:23]
	v_cndmask_b32_e32 v34, v8, v14, vcc_lo
	v_lshl_add_u64 v[8:9], v[18:19], 3, v[22:23]
	global_load_b64 v[2:3], v[2:3], off
	v_dual_cndmask_b32 v19, v17, v11, s2 :: v_dual_cndmask_b32 v18, v16, v10, s2
	v_dual_cndmask_b32 v31, v13, v31, s3 :: v_dual_cndmask_b32 v30, v12, v30, s3
	;; [unrolled: 1-line block ×3, first 2 shown]
	v_add_nc_u32_e32 v24, v1, v25
	global_load_b64 v[4:5], v[4:5], off
	global_load_b64 v[8:9], v[28:29], off
	;; [unrolled: 1-line block ×6, first 2 shown]
	s_cbranch_execz .LBB278_7
	s_branch .LBB278_24
.LBB278_6:
                                        ; implicit-def: $vgpr2_vgpr3_vgpr4_vgpr5_vgpr6_vgpr7_vgpr8_vgpr9_vgpr10_vgpr11_vgpr12_vgpr13_vgpr14_vgpr15_vgpr16_vgpr17
                                        ; implicit-def: $vgpr24
	s_and_not1_b32 vcc_lo, exec_lo, s28
	s_cbranch_vccnz .LBB278_24
.LBB278_7:
	s_wait_loadcnt 0x6
	s_wait_xcnt 0x6
	v_dual_add_nc_u32 v24, v1, v25 :: v_dual_mov_b32 v2, 0
	s_mov_b32 s2, exec_lo
	s_wait_loadcnt 0x5
	s_wait_xcnt 0x5
	s_delay_alu instid0(VALU_DEP_1)
	v_dual_mov_b32 v3, v2 :: v_dual_mov_b32 v4, v2
	v_dual_mov_b32 v5, v2 :: v_dual_mov_b32 v6, v2
	s_wait_loadcnt 0x4
	v_dual_mov_b32 v7, v2 :: v_dual_mov_b32 v8, v2
	s_wait_loadcnt 0x3
	;; [unrolled: 2-line block ×5, first 2 shown]
	v_dual_mov_b32 v15, v2 :: v_dual_mov_b32 v16, v2
	v_mov_b32_e32 v17, v2
	v_cmpx_lt_u32_e64 v0, v24
	s_cbranch_execz .LBB278_9
; %bb.8:
	v_dual_mov_b32 v21, v2 :: v_dual_mov_b32 v5, v2
	v_sub_co_u32 v4, vcc_lo, v0, v1
	v_dual_mov_b32 v18, v2 :: v_dual_mov_b32 v19, v2
	s_delay_alu instid0(VALU_DEP_3) | instskip(NEXT) | instid1(VALU_DEP_3)
	v_add_nc_u64_e32 v[6:7], s[10:11], v[20:21]
	v_lshl_add_u64 v[4:5], v[4:5], 3, v[22:23]
	v_dual_mov_b32 v8, v2 :: v_dual_mov_b32 v9, v2
	v_dual_mov_b32 v10, v2 :: v_dual_mov_b32 v11, v2
	;; [unrolled: 1-line block ×3, first 2 shown]
	s_delay_alu instid0(VALU_DEP_4)
	v_dual_cndmask_b32 v5, v5, v7 :: v_dual_cndmask_b32 v4, v4, v6
	v_dual_mov_b32 v6, v2 :: v_dual_mov_b32 v7, v2
	v_dual_mov_b32 v14, v2 :: v_dual_mov_b32 v15, v2
	global_load_b64 v[4:5], v[4:5], off
	v_dual_mov_b32 v16, v2 :: v_dual_mov_b32 v17, v2
	s_wait_loadcnt 0x0
	v_mov_b64_e32 v[2:3], v[4:5]
	v_mov_b64_e32 v[4:5], v[6:7]
	v_mov_b64_e32 v[6:7], v[8:9]
	v_mov_b64_e32 v[8:9], v[10:11]
	v_mov_b64_e32 v[10:11], v[12:13]
	v_mov_b64_e32 v[12:13], v[14:15]
	v_mov_b64_e32 v[14:15], v[16:17]
	v_mov_b64_e32 v[16:17], v[18:19]
.LBB278_9:
	s_or_b32 exec_lo, exec_lo, s2
	v_add_nc_u32_e32 v18, v26, v0
	s_mov_b32 s2, exec_lo
	s_delay_alu instid0(VALU_DEP_1)
	v_cmpx_lt_u32_e64 v18, v24
	s_cbranch_execz .LBB278_11
; %bb.10:
	v_sub_co_u32 v28, vcc_lo, v18, v1
	v_mov_b32_e32 v19, 0
	s_delay_alu instid0(VALU_DEP_1) | instskip(SKIP_1) | instid1(VALU_DEP_1)
	v_lshl_add_u64 v[4:5], v[18:19], 3, s[10:11]
	v_mov_b32_e32 v29, v19
	v_lshl_add_u64 v[28:29], v[28:29], 3, v[22:23]
	s_delay_alu instid0(VALU_DEP_1)
	v_dual_cndmask_b32 v5, v29, v5 :: v_dual_cndmask_b32 v4, v28, v4
	global_load_b64 v[4:5], v[4:5], off
.LBB278_11:
	s_wait_xcnt 0x0
	s_or_b32 exec_lo, exec_lo, s2
	v_add_nc_u32_e32 v18, v18, v26
	s_mov_b32 s2, exec_lo
	s_delay_alu instid0(VALU_DEP_1)
	v_cmpx_lt_u32_e64 v18, v24
	s_cbranch_execz .LBB278_13
; %bb.12:
	v_sub_co_u32 v28, vcc_lo, v18, v1
	v_mov_b32_e32 v19, 0
	s_delay_alu instid0(VALU_DEP_1) | instskip(SKIP_1) | instid1(VALU_DEP_1)
	v_lshl_add_u64 v[6:7], v[18:19], 3, s[10:11]
	v_mov_b32_e32 v29, v19
	v_lshl_add_u64 v[28:29], v[28:29], 3, v[22:23]
	s_delay_alu instid0(VALU_DEP_1)
	v_dual_cndmask_b32 v7, v29, v7 :: v_dual_cndmask_b32 v6, v28, v6
	global_load_b64 v[6:7], v[6:7], off
.LBB278_13:
	s_wait_xcnt 0x0
	;; [unrolled: 18-line block ×6, first 2 shown]
	s_or_b32 exec_lo, exec_lo, s2
	v_add_nc_u32_e32 v18, v18, v26
	s_mov_b32 s2, exec_lo
	s_delay_alu instid0(VALU_DEP_1)
	v_cmpx_lt_u32_e64 v18, v24
	s_cbranch_execz .LBB278_23
; %bb.22:
	v_mov_b32_e32 v19, 0
	s_delay_alu instid0(VALU_DEP_1) | instskip(SKIP_1) | instid1(VALU_DEP_1)
	v_lshl_add_u64 v[16:17], v[18:19], 3, s[10:11]
	v_sub_co_u32 v18, vcc_lo, v18, v1
	v_lshl_add_u64 v[18:19], v[18:19], 3, v[22:23]
	s_delay_alu instid0(VALU_DEP_1)
	v_dual_cndmask_b32 v17, v19, v17 :: v_dual_cndmask_b32 v16, v18, v16
	global_load_b64 v[16:17], v[16:17], off
.LBB278_23:
	s_wait_xcnt 0x0
	s_or_b32 exec_lo, exec_lo, s2
.LBB278_24:
	s_load_b128 s[12:15], s[0:1], 0x40
	v_min_u32_e32 v26, v24, v20
	s_wait_xcnt 0x0
	s_mov_b32 s1, exec_lo
	s_wait_loadcnt 0x0
	ds_store_2addr_stride64_b64 v20, v[2:3], v[4:5] offset1:2
	ds_store_2addr_stride64_b64 v20, v[6:7], v[8:9] offset0:4 offset1:6
	ds_store_2addr_stride64_b64 v20, v[10:11], v[12:13] offset0:8 offset1:10
	;; [unrolled: 1-line block ×3, first 2 shown]
	s_wait_dscnt 0x0
	s_barrier_signal -1
	v_sub_nc_u32_e64 v21, v26, v25 clamp
	v_min_u32_e32 v25, v26, v1
	s_barrier_wait -1
	s_delay_alu instid0(VALU_DEP_1)
	v_cmpx_lt_u32_e64 v21, v25
	s_cbranch_execz .LBB278_34
; %bb.25:
	v_lshlrev_b32_e32 v18, 3, v26
	s_wait_kmcnt 0x0
	v_cmp_gt_i64_e64 s4, s[12:13], 0
	s_mov_b32 s5, 0
	v_lshl_add_u32 v27, v1, 3, v18
	s_branch .LBB278_28
.LBB278_26:                             ;   in Loop: Header=BB278_28 Depth=1
	s_or_b32 exec_lo, exec_lo, s11
.LBB278_27:                             ;   in Loop: Header=BB278_28 Depth=1
	s_delay_alu instid0(VALU_DEP_1) | instskip(NEXT) | instid1(VALU_DEP_1)
	v_dual_add_nc_u32 v18, 1, v28 :: v_dual_cndmask_b32 v25, v25, v28, s10
	v_cndmask_b32_e64 v21, v18, v21, s10
	s_delay_alu instid0(VALU_DEP_1) | instskip(SKIP_1) | instid1(SALU_CYCLE_1)
	v_cmp_ge_u32_e32 vcc_lo, v21, v25
	s_or_b32 s5, vcc_lo, s5
	s_and_not1_b32 exec_lo, exec_lo, s5
	s_cbranch_execz .LBB278_33
.LBB278_28:                             ; =>This Loop Header: Depth=1
                                        ;     Child Loop BB278_31 Depth 2
	v_add_nc_u32_e32 v18, v25, v21
	s_and_not1_b32 vcc_lo, exec_lo, s4
	s_mov_b32 s10, 0
	s_delay_alu instid0(VALU_DEP_1)
	v_lshrrev_b32_e32 v28, 1, v18
	s_cbranch_vccnz .LBB278_27
; %bb.29:                               ;   in Loop: Header=BB278_28 Depth=1
	s_delay_alu instid0(VALU_DEP_1) | instskip(SKIP_3) | instid1(VALU_DEP_2)
	v_not_b32_e32 v18, v28
	v_lshlrev_b32_e32 v19, 3, v28
	s_mov_b32 s11, 0
	s_mov_b64 s[2:3], s[12:13]
                                        ; implicit-def: $sgpr10
                                        ; implicit-def: $sgpr18
                                        ; implicit-def: $sgpr19
                                        ; implicit-def: $sgpr20
	v_lshl_add_u32 v18, v18, 3, v27
	ds_load_b64 v[30:31], v18
	ds_load_b64 v[32:33], v19
	s_wait_dscnt 0x1
	v_mad_nc_u64_u32 v[18:19], v30, s12, s[14:15]
	s_wait_dscnt 0x0
	v_mad_nc_u64_u32 v[22:23], v32, s12, s[14:15]
	s_delay_alu instid0(VALU_DEP_2) | instskip(NEXT) | instid1(VALU_DEP_2)
	v_mad_u32 v19, v31, s12, v19
	v_mad_u32 v23, v33, s12, v23
	s_delay_alu instid0(VALU_DEP_2) | instskip(NEXT) | instid1(VALU_DEP_2)
	v_mad_u32 v19, v30, s13, v19
	v_mad_u32 v23, v32, s13, v23
	s_branch .LBB278_31
.LBB278_30:                             ;   in Loop: Header=BB278_31 Depth=2
	s_or_b32 exec_lo, exec_lo, s21
	s_delay_alu instid0(SALU_CYCLE_1) | instskip(NEXT) | instid1(SALU_CYCLE_1)
	s_and_b32 s21, exec_lo, s18
	s_or_b32 s11, s21, s11
	s_and_not1_b32 s20, s20, exec_lo
	s_and_b32 s0, s0, exec_lo
	s_and_not1_b32 s10, s10, exec_lo
	s_and_b32 s21, s19, exec_lo
	s_or_b32 s20, s20, s0
	s_or_b32 s10, s10, s21
	s_and_not1_b32 exec_lo, exec_lo, s11
	s_cbranch_execz .LBB278_26
.LBB278_31:                             ;   Parent Loop BB278_28 Depth=1
                                        ; =>  This Inner Loop Header: Depth=2
	global_load_u8 v29, v[18:19], off
	global_load_u8 v30, v[22:23], off
	s_and_not1_b32 s19, s19, exec_lo
	s_or_b32 s18, s18, exec_lo
	s_wait_loadcnt 0x1
	v_bfe_i32 v31, v29, 0, 8
	s_wait_loadcnt 0x0
	v_bfe_i32 v32, v30, 0, 8
	v_and_b32_e32 v29, 0xff, v29
	v_and_b32_e32 v30, 0xff, v30
	s_delay_alu instid0(VALU_DEP_3) | instskip(SKIP_2) | instid1(SALU_CYCLE_1)
	v_cmp_le_i16_e32 vcc_lo, v31, v32
	v_cmp_lt_i16_e64 s0, v31, v32
	s_and_b32 s21, vcc_lo, s20
	s_or_b32 s0, s0, s21
	s_delay_alu instid0(SALU_CYCLE_1) | instskip(NEXT) | instid1(SALU_CYCLE_1)
	s_and_b32 s21, s0, exec_lo
	s_or_b32 s19, s19, s21
	s_mov_b32 s21, exec_lo
	v_cmpx_eq_u16_e64 v29, v30
	s_cbranch_execz .LBB278_30
; %bb.32:                               ;   in Loop: Header=BB278_31 Depth=2
	s_add_nc_u64 s[2:3], s[2:3], -1
	v_add_nc_u64_e32 v[18:19], 1, v[18:19]
	s_cmp_eq_u64 s[2:3], 0
	v_add_nc_u64_e32 v[22:23], 1, v[22:23]
	s_cselect_b32 s20, -1, 0
	s_and_not1_b32 s18, s18, exec_lo
	s_and_b32 s20, s20, exec_lo
	s_and_not1_b32 s19, s19, exec_lo
	s_or_b32 s18, s18, s20
                                        ; implicit-def: $sgpr20
	s_branch .LBB278_30
.LBB278_33:
	s_or_b32 exec_lo, exec_lo, s5
.LBB278_34:
	s_delay_alu instid0(SALU_CYCLE_1) | instskip(SKIP_2) | instid1(VALU_DEP_2)
	s_or_b32 exec_lo, exec_lo, s1
	v_sub_nc_u32_e32 v18, v26, v21
	v_cmp_le_u32_e32 vcc_lo, v21, v1
	v_add_nc_u32_e32 v18, v18, v1
	s_delay_alu instid0(VALU_DEP_1) | instskip(SKIP_1) | instid1(SALU_CYCLE_1)
	v_cmp_le_u32_e64 s0, v18, v24
	s_or_b32 s0, vcc_lo, s0
	s_and_saveexec_b32 s1, s0
	s_cbranch_execz .LBB278_125
; %bb.35:
	s_mov_b32 s2, exec_lo
	v_cmp_ge_u32_e32 vcc_lo, v21, v1
                                        ; implicit-def: $vgpr2_vgpr3
	v_cmpx_lt_u32_e64 v21, v1
; %bb.36:
	v_lshlrev_b32_e32 v2, 3, v21
	ds_load_b64 v[2:3], v2
; %bb.37:
	s_or_b32 exec_lo, exec_lo, s2
	v_cmp_ge_u32_e64 s5, v18, v24
	s_mov_b32 s2, exec_lo
                                        ; implicit-def: $vgpr14_vgpr15
	v_cmpx_lt_u32_e64 v18, v24
; %bb.38:
	v_lshlrev_b32_e32 v4, 3, v18
	ds_load_b64 v[14:15], v4
; %bb.39:
	s_or_b32 exec_lo, exec_lo, s2
	s_wait_kmcnt 0x0
	v_cmp_gt_i64_e64 s4, s[12:13], 0
	s_nor_b32 s0, vcc_lo, s5
	s_delay_alu instid0(SALU_CYCLE_1)
	s_and_saveexec_b32 s10, s0
	s_cbranch_execz .LBB278_48
; %bb.40:
	s_and_not1_b32 vcc_lo, exec_lo, s4
	s_cbranch_vccnz .LBB278_46
; %bb.41:
	s_wait_dscnt 0x0
	v_mad_nc_u64_u32 v[4:5], v14, s12, s[14:15]
	v_mad_nc_u64_u32 v[6:7], v2, s12, s[14:15]
	s_mov_b32 s11, 0
	s_mov_b64 s[2:3], s[12:13]
                                        ; implicit-def: $sgpr18
                                        ; implicit-def: $sgpr19
                                        ; implicit-def: $sgpr20
                                        ; implicit-def: $sgpr21
	s_delay_alu instid0(VALU_DEP_2) | instskip(NEXT) | instid1(VALU_DEP_2)
	v_mad_u32 v5, v15, s12, v5
	v_mad_u32 v7, v3, s12, v7
	s_delay_alu instid0(VALU_DEP_2) | instskip(NEXT) | instid1(VALU_DEP_2)
	v_mad_u32 v5, v14, s13, v5
	v_mad_u32 v7, v2, s13, v7
	s_branch .LBB278_43
.LBB278_42:                             ;   in Loop: Header=BB278_43 Depth=1
	s_or_b32 exec_lo, exec_lo, s22
	s_delay_alu instid0(SALU_CYCLE_1) | instskip(NEXT) | instid1(SALU_CYCLE_1)
	s_and_b32 s22, exec_lo, s19
	s_or_b32 s11, s22, s11
	s_and_not1_b32 s21, s21, exec_lo
	s_and_b32 s0, s0, exec_lo
	s_and_not1_b32 s18, s18, exec_lo
	s_and_b32 s22, s20, exec_lo
	s_or_b32 s21, s21, s0
	s_or_b32 s18, s18, s22
	s_and_not1_b32 exec_lo, exec_lo, s11
	s_cbranch_execz .LBB278_45
.LBB278_43:                             ; =>This Inner Loop Header: Depth=1
	global_load_u8 v8, v[4:5], off
	global_load_u8 v9, v[6:7], off
	s_and_not1_b32 s20, s20, exec_lo
	s_or_b32 s19, s19, exec_lo
	s_wait_loadcnt 0x1
	v_bfe_i32 v10, v8, 0, 8
	s_wait_loadcnt 0x0
	v_bfe_i32 v11, v9, 0, 8
	v_and_b32_e32 v8, 0xff, v8
	v_and_b32_e32 v9, 0xff, v9
	s_delay_alu instid0(VALU_DEP_3) | instskip(SKIP_2) | instid1(SALU_CYCLE_1)
	v_cmp_le_i16_e32 vcc_lo, v10, v11
	v_cmp_lt_i16_e64 s0, v10, v11
	s_and_b32 s22, vcc_lo, s21
	s_or_b32 s0, s0, s22
	s_delay_alu instid0(SALU_CYCLE_1) | instskip(NEXT) | instid1(SALU_CYCLE_1)
	s_and_b32 s22, s0, exec_lo
	s_or_b32 s20, s20, s22
	s_mov_b32 s22, exec_lo
	v_cmpx_eq_u16_e64 v8, v9
	s_cbranch_execz .LBB278_42
; %bb.44:                               ;   in Loop: Header=BB278_43 Depth=1
	s_add_nc_u64 s[2:3], s[2:3], -1
	v_add_nc_u64_e32 v[4:5], 1, v[4:5]
	s_cmp_eq_u64 s[2:3], 0
	v_add_nc_u64_e32 v[6:7], 1, v[6:7]
	s_cselect_b32 s21, -1, 0
	s_and_not1_b32 s19, s19, exec_lo
	s_and_b32 s21, s21, exec_lo
	s_and_not1_b32 s20, s20, exec_lo
	s_or_b32 s19, s19, s21
                                        ; implicit-def: $sgpr21
	s_branch .LBB278_42
.LBB278_45:
	s_or_b32 exec_lo, exec_lo, s11
	s_xor_b32 s0, s18, -1
	s_branch .LBB278_47
.LBB278_46:
	s_mov_b32 s0, -1
.LBB278_47:
	s_and_not1_b32 s2, s5, exec_lo
	s_and_b32 s0, s0, exec_lo
	s_delay_alu instid0(SALU_CYCLE_1)
	s_or_b32 s5, s2, s0
.LBB278_48:
	s_or_b32 exec_lo, exec_lo, s10
	v_cndmask_b32_e64 v4, v18, v21, s5
	v_cndmask_b32_e64 v5, v24, v1, s5
	s_mov_b32 s11, -1
	s_mov_b32 s10, -1
	s_mov_b32 s18, exec_lo
	v_add_nc_u32_e32 v6, 1, v4
	s_delay_alu instid0(VALU_DEP_1) | instskip(SKIP_1) | instid1(VALU_DEP_2)
	v_add_min_u32_e64 v4, v5, -1, v6
	v_cndmask_b32_e64 v9, v21, v6, s5
	v_dual_cndmask_b32 v8, v6, v18, s5 :: v_dual_lshlrev_b32 v4, 3, v4
	ds_load_b64 v[4:5], v4
	s_wait_dscnt 0x0
	v_dual_cndmask_b32 v16, v5, v15, s5 :: v_dual_cndmask_b32 v17, v4, v14, s5
	v_dual_cndmask_b32 v21, v3, v5, s5 :: v_dual_cndmask_b32 v22, v2, v4, s5
	v_cmpx_lt_u32_e64 v8, v24
	s_cbranch_execz .LBB278_59
; %bb.49:
	s_mov_b32 s0, 0
	s_mov_b32 s10, exec_lo
	v_cmpx_lt_u32_e64 v9, v1
	s_cbranch_execz .LBB278_58
; %bb.50:
	s_and_not1_b32 vcc_lo, exec_lo, s4
	s_cbranch_vccnz .LBB278_56
; %bb.51:
	v_mad_nc_u64_u32 v[4:5], v17, s12, s[14:15]
	v_mad_nc_u64_u32 v[6:7], v22, s12, s[14:15]
	s_mov_b32 s19, 0
	s_mov_b64 s[2:3], s[12:13]
                                        ; implicit-def: $sgpr20
                                        ; implicit-def: $sgpr21
                                        ; implicit-def: $sgpr22
                                        ; implicit-def: $sgpr23
	s_delay_alu instid0(VALU_DEP_2) | instskip(NEXT) | instid1(VALU_DEP_2)
	v_mad_u32 v5, v16, s12, v5
	v_mad_u32 v7, v21, s12, v7
	s_delay_alu instid0(VALU_DEP_2) | instskip(NEXT) | instid1(VALU_DEP_2)
	v_mad_u32 v5, v17, s13, v5
	v_mad_u32 v7, v22, s13, v7
	s_branch .LBB278_53
.LBB278_52:                             ;   in Loop: Header=BB278_53 Depth=1
	s_or_b32 exec_lo, exec_lo, s24
	s_delay_alu instid0(SALU_CYCLE_1) | instskip(NEXT) | instid1(SALU_CYCLE_1)
	s_and_b32 s24, exec_lo, s21
	s_or_b32 s19, s24, s19
	s_and_not1_b32 s23, s23, exec_lo
	s_and_b32 s0, s0, exec_lo
	s_and_not1_b32 s20, s20, exec_lo
	s_and_b32 s24, s22, exec_lo
	s_or_b32 s23, s23, s0
	s_or_b32 s20, s20, s24
	s_and_not1_b32 exec_lo, exec_lo, s19
	s_cbranch_execz .LBB278_55
.LBB278_53:                             ; =>This Inner Loop Header: Depth=1
	global_load_u8 v10, v[4:5], off
	global_load_u8 v11, v[6:7], off
	s_and_not1_b32 s22, s22, exec_lo
	s_or_b32 s21, s21, exec_lo
	s_wait_loadcnt 0x1
	v_bfe_i32 v12, v10, 0, 8
	s_wait_loadcnt 0x0
	v_bfe_i32 v13, v11, 0, 8
	v_and_b32_e32 v10, 0xff, v10
	v_and_b32_e32 v11, 0xff, v11
	s_delay_alu instid0(VALU_DEP_3) | instskip(SKIP_2) | instid1(SALU_CYCLE_1)
	v_cmp_le_i16_e32 vcc_lo, v12, v13
	v_cmp_lt_i16_e64 s0, v12, v13
	s_and_b32 s24, vcc_lo, s23
	s_or_b32 s0, s0, s24
	s_delay_alu instid0(SALU_CYCLE_1) | instskip(NEXT) | instid1(SALU_CYCLE_1)
	s_and_b32 s24, s0, exec_lo
	s_or_b32 s22, s22, s24
	s_mov_b32 s24, exec_lo
	v_cmpx_eq_u16_e64 v10, v11
	s_cbranch_execz .LBB278_52
; %bb.54:                               ;   in Loop: Header=BB278_53 Depth=1
	s_add_nc_u64 s[2:3], s[2:3], -1
	v_add_nc_u64_e32 v[4:5], 1, v[4:5]
	s_cmp_eq_u64 s[2:3], 0
	v_add_nc_u64_e32 v[6:7], 1, v[6:7]
	s_cselect_b32 s23, -1, 0
	s_and_not1_b32 s21, s21, exec_lo
	s_and_b32 s23, s23, exec_lo
	s_and_not1_b32 s22, s22, exec_lo
	s_or_b32 s21, s21, s23
                                        ; implicit-def: $sgpr23
	s_branch .LBB278_52
.LBB278_55:
	s_or_b32 exec_lo, exec_lo, s19
	s_xor_b32 s0, s20, -1
	s_branch .LBB278_57
.LBB278_56:
	s_mov_b32 s0, -1
.LBB278_57:
	s_delay_alu instid0(SALU_CYCLE_1)
	s_and_b32 s0, s0, exec_lo
.LBB278_58:
	s_or_b32 exec_lo, exec_lo, s10
	s_delay_alu instid0(SALU_CYCLE_1)
	s_or_not1_b32 s10, s0, exec_lo
.LBB278_59:
	s_or_b32 exec_lo, exec_lo, s18
	v_cndmask_b32_e64 v4, v8, v9, s10
	v_cndmask_b32_e64 v5, v24, v1, s10
	s_mov_b32 s18, exec_lo
	s_delay_alu instid0(VALU_DEP_2) | instskip(NEXT) | instid1(VALU_DEP_1)
	v_add_nc_u32_e32 v6, 1, v4
	v_add_min_u32_e64 v4, v5, -1, v6
	v_dual_cndmask_b32 v8, v6, v8, s10 :: v_dual_cndmask_b32 v9, v9, v6, s10
	s_delay_alu instid0(VALU_DEP_2)
	v_lshlrev_b32_e32 v4, 3, v4
	ds_load_b64 v[4:5], v4
	s_wait_dscnt 0x0
	v_dual_cndmask_b32 v23, v5, v16, s10 :: v_dual_cndmask_b32 v25, v4, v17, s10
	v_dual_cndmask_b32 v26, v21, v5, s10 :: v_dual_cndmask_b32 v27, v22, v4, s10
	v_cmpx_lt_u32_e64 v8, v24
	s_cbranch_execz .LBB278_70
; %bb.60:
	s_mov_b32 s0, 0
	s_mov_b32 s11, exec_lo
	v_cmpx_lt_u32_e64 v9, v1
	s_cbranch_execz .LBB278_69
; %bb.61:
	s_and_not1_b32 vcc_lo, exec_lo, s4
	s_cbranch_vccnz .LBB278_67
; %bb.62:
	v_mad_nc_u64_u32 v[4:5], v25, s12, s[14:15]
	v_mad_nc_u64_u32 v[6:7], v27, s12, s[14:15]
	s_mov_b32 s19, 0
	s_mov_b64 s[2:3], s[12:13]
                                        ; implicit-def: $sgpr20
                                        ; implicit-def: $sgpr21
                                        ; implicit-def: $sgpr22
                                        ; implicit-def: $sgpr23
	s_delay_alu instid0(VALU_DEP_2) | instskip(NEXT) | instid1(VALU_DEP_2)
	v_mad_u32 v5, v23, s12, v5
	v_mad_u32 v7, v26, s12, v7
	s_delay_alu instid0(VALU_DEP_2) | instskip(NEXT) | instid1(VALU_DEP_2)
	v_mad_u32 v5, v25, s13, v5
	v_mad_u32 v7, v27, s13, v7
	s_branch .LBB278_64
.LBB278_63:                             ;   in Loop: Header=BB278_64 Depth=1
	s_or_b32 exec_lo, exec_lo, s24
	s_delay_alu instid0(SALU_CYCLE_1) | instskip(NEXT) | instid1(SALU_CYCLE_1)
	s_and_b32 s24, exec_lo, s21
	s_or_b32 s19, s24, s19
	s_and_not1_b32 s23, s23, exec_lo
	s_and_b32 s0, s0, exec_lo
	s_and_not1_b32 s20, s20, exec_lo
	s_and_b32 s24, s22, exec_lo
	s_or_b32 s23, s23, s0
	s_or_b32 s20, s20, s24
	s_and_not1_b32 exec_lo, exec_lo, s19
	s_cbranch_execz .LBB278_66
.LBB278_64:                             ; =>This Inner Loop Header: Depth=1
	global_load_u8 v10, v[4:5], off
	global_load_u8 v11, v[6:7], off
	s_and_not1_b32 s22, s22, exec_lo
	s_or_b32 s21, s21, exec_lo
	s_wait_loadcnt 0x1
	v_bfe_i32 v12, v10, 0, 8
	s_wait_loadcnt 0x0
	v_bfe_i32 v13, v11, 0, 8
	v_and_b32_e32 v10, 0xff, v10
	v_and_b32_e32 v11, 0xff, v11
	s_delay_alu instid0(VALU_DEP_3) | instskip(SKIP_2) | instid1(SALU_CYCLE_1)
	v_cmp_le_i16_e32 vcc_lo, v12, v13
	v_cmp_lt_i16_e64 s0, v12, v13
	s_and_b32 s24, vcc_lo, s23
	s_or_b32 s0, s0, s24
	s_delay_alu instid0(SALU_CYCLE_1) | instskip(NEXT) | instid1(SALU_CYCLE_1)
	s_and_b32 s24, s0, exec_lo
	s_or_b32 s22, s22, s24
	s_mov_b32 s24, exec_lo
	v_cmpx_eq_u16_e64 v10, v11
	s_cbranch_execz .LBB278_63
; %bb.65:                               ;   in Loop: Header=BB278_64 Depth=1
	s_add_nc_u64 s[2:3], s[2:3], -1
	v_add_nc_u64_e32 v[4:5], 1, v[4:5]
	s_cmp_eq_u64 s[2:3], 0
	v_add_nc_u64_e32 v[6:7], 1, v[6:7]
	s_cselect_b32 s23, -1, 0
	s_and_not1_b32 s21, s21, exec_lo
	s_and_b32 s23, s23, exec_lo
	s_and_not1_b32 s22, s22, exec_lo
	s_or_b32 s21, s21, s23
                                        ; implicit-def: $sgpr23
	s_branch .LBB278_63
.LBB278_66:
	s_or_b32 exec_lo, exec_lo, s19
	s_xor_b32 s0, s20, -1
	s_branch .LBB278_68
.LBB278_67:
	s_mov_b32 s0, -1
.LBB278_68:
	s_delay_alu instid0(SALU_CYCLE_1)
	s_and_b32 s0, s0, exec_lo
.LBB278_69:
	s_or_b32 exec_lo, exec_lo, s11
	s_delay_alu instid0(SALU_CYCLE_1)
	s_or_not1_b32 s11, s0, exec_lo
.LBB278_70:
	s_or_b32 exec_lo, exec_lo, s18
	v_cndmask_b32_e64 v4, v8, v9, s11
	v_cndmask_b32_e64 v5, v24, v1, s11
	s_mov_b32 s19, -1
	s_mov_b32 s18, -1
	s_mov_b32 s20, exec_lo
	v_add_nc_u32_e32 v6, 1, v4
	s_delay_alu instid0(VALU_DEP_1) | instskip(SKIP_1) | instid1(VALU_DEP_2)
	v_add_min_u32_e64 v4, v5, -1, v6
	v_dual_cndmask_b32 v10, v6, v8, s11 :: v_dual_cndmask_b32 v11, v9, v6, s11
	v_lshlrev_b32_e32 v4, 3, v4
	ds_load_b64 v[4:5], v4
	s_wait_dscnt 0x0
	v_dual_cndmask_b32 v8, v5, v23, s11 :: v_dual_cndmask_b32 v28, v4, v25, s11
	v_dual_cndmask_b32 v9, v26, v5, s11 :: v_dual_cndmask_b32 v29, v27, v4, s11
	v_cmpx_lt_u32_e64 v10, v24
	s_cbranch_execz .LBB278_81
; %bb.71:
	s_mov_b32 s0, 0
	s_mov_b32 s18, exec_lo
	v_cmpx_lt_u32_e64 v11, v1
	s_cbranch_execz .LBB278_80
; %bb.72:
	s_and_not1_b32 vcc_lo, exec_lo, s4
	s_cbranch_vccnz .LBB278_78
; %bb.73:
	v_mad_nc_u64_u32 v[4:5], v28, s12, s[14:15]
	v_mad_nc_u64_u32 v[6:7], v29, s12, s[14:15]
	s_mov_b32 s21, 0
	s_mov_b64 s[2:3], s[12:13]
                                        ; implicit-def: $sgpr22
                                        ; implicit-def: $sgpr23
                                        ; implicit-def: $sgpr24
                                        ; implicit-def: $sgpr25
	s_delay_alu instid0(VALU_DEP_2) | instskip(NEXT) | instid1(VALU_DEP_2)
	v_mad_u32 v5, v8, s12, v5
	v_mad_u32 v7, v9, s12, v7
	s_delay_alu instid0(VALU_DEP_2) | instskip(NEXT) | instid1(VALU_DEP_2)
	v_mad_u32 v5, v28, s13, v5
	v_mad_u32 v7, v29, s13, v7
	s_branch .LBB278_75
.LBB278_74:                             ;   in Loop: Header=BB278_75 Depth=1
	s_or_b32 exec_lo, exec_lo, s26
	s_delay_alu instid0(SALU_CYCLE_1) | instskip(NEXT) | instid1(SALU_CYCLE_1)
	s_and_b32 s26, exec_lo, s23
	s_or_b32 s21, s26, s21
	s_and_not1_b32 s25, s25, exec_lo
	s_and_b32 s0, s0, exec_lo
	s_and_not1_b32 s22, s22, exec_lo
	s_and_b32 s26, s24, exec_lo
	s_or_b32 s25, s25, s0
	s_or_b32 s22, s22, s26
	s_and_not1_b32 exec_lo, exec_lo, s21
	s_cbranch_execz .LBB278_77
.LBB278_75:                             ; =>This Inner Loop Header: Depth=1
	global_load_u8 v12, v[4:5], off
	global_load_u8 v13, v[6:7], off
	s_and_not1_b32 s24, s24, exec_lo
	s_or_b32 s23, s23, exec_lo
	s_wait_loadcnt 0x1
	v_bfe_i32 v18, v12, 0, 8
	s_wait_loadcnt 0x0
	v_bfe_i32 v19, v13, 0, 8
	v_and_b32_e32 v12, 0xff, v12
	v_and_b32_e32 v13, 0xff, v13
	s_delay_alu instid0(VALU_DEP_3) | instskip(SKIP_2) | instid1(SALU_CYCLE_1)
	v_cmp_le_i16_e32 vcc_lo, v18, v19
	v_cmp_lt_i16_e64 s0, v18, v19
	s_and_b32 s26, vcc_lo, s25
	s_or_b32 s0, s0, s26
	s_delay_alu instid0(SALU_CYCLE_1) | instskip(NEXT) | instid1(SALU_CYCLE_1)
	s_and_b32 s26, s0, exec_lo
	s_or_b32 s24, s24, s26
	s_mov_b32 s26, exec_lo
	v_cmpx_eq_u16_e64 v12, v13
	s_cbranch_execz .LBB278_74
; %bb.76:                               ;   in Loop: Header=BB278_75 Depth=1
	s_add_nc_u64 s[2:3], s[2:3], -1
	v_add_nc_u64_e32 v[4:5], 1, v[4:5]
	s_cmp_eq_u64 s[2:3], 0
	v_add_nc_u64_e32 v[6:7], 1, v[6:7]
	s_cselect_b32 s25, -1, 0
	s_and_not1_b32 s23, s23, exec_lo
	s_and_b32 s25, s25, exec_lo
	s_and_not1_b32 s24, s24, exec_lo
	s_or_b32 s23, s23, s25
                                        ; implicit-def: $sgpr25
	s_branch .LBB278_74
.LBB278_77:
	s_or_b32 exec_lo, exec_lo, s21
	s_xor_b32 s0, s22, -1
	s_branch .LBB278_79
.LBB278_78:
	s_mov_b32 s0, -1
.LBB278_79:
	s_delay_alu instid0(SALU_CYCLE_1)
	s_and_b32 s0, s0, exec_lo
.LBB278_80:
	s_or_b32 exec_lo, exec_lo, s18
	s_delay_alu instid0(SALU_CYCLE_1)
	s_or_not1_b32 s18, s0, exec_lo
.LBB278_81:
	s_or_b32 exec_lo, exec_lo, s20
	v_dual_cndmask_b32 v4, v10, v11, s18 :: v_dual_cndmask_b32 v5, v24, v1, s18
	s_mov_b32 s20, exec_lo
	s_delay_alu instid0(VALU_DEP_1) | instskip(NEXT) | instid1(VALU_DEP_1)
	v_add_nc_u32_e32 v6, 1, v4
	v_add_min_u32_e64 v4, v5, -1, v6
	s_delay_alu instid0(VALU_DEP_1)
	v_lshlrev_b32_e32 v4, 3, v4
	ds_load_b64 v[4:5], v4
	v_cndmask_b32_e64 v12, v6, v10, s18
	s_wait_dscnt 0x0
	v_dual_cndmask_b32 v13, v11, v6, s18 :: v_dual_cndmask_b32 v30, v4, v28, s18
	v_cndmask_b32_e64 v10, v5, v8, s18
	v_cndmask_b32_e64 v11, v9, v5, s18
	;; [unrolled: 1-line block ×3, first 2 shown]
	v_cmpx_lt_u32_e64 v12, v24
	s_cbranch_execz .LBB278_92
; %bb.82:
	s_mov_b32 s0, 0
	s_mov_b32 s19, exec_lo
	v_cmpx_lt_u32_e64 v13, v1
	s_cbranch_execz .LBB278_91
; %bb.83:
	s_and_not1_b32 vcc_lo, exec_lo, s4
	s_cbranch_vccnz .LBB278_89
; %bb.84:
	v_mad_nc_u64_u32 v[4:5], v30, s12, s[14:15]
	v_mad_nc_u64_u32 v[6:7], v31, s12, s[14:15]
	s_mov_b32 s21, 0
	s_mov_b64 s[2:3], s[12:13]
                                        ; implicit-def: $sgpr22
                                        ; implicit-def: $sgpr23
                                        ; implicit-def: $sgpr24
                                        ; implicit-def: $sgpr25
	s_delay_alu instid0(VALU_DEP_2) | instskip(NEXT) | instid1(VALU_DEP_2)
	v_mad_u32 v5, v10, s12, v5
	v_mad_u32 v7, v11, s12, v7
	s_delay_alu instid0(VALU_DEP_2) | instskip(NEXT) | instid1(VALU_DEP_2)
	v_mad_u32 v5, v30, s13, v5
	v_mad_u32 v7, v31, s13, v7
	s_branch .LBB278_86
.LBB278_85:                             ;   in Loop: Header=BB278_86 Depth=1
	s_or_b32 exec_lo, exec_lo, s26
	s_delay_alu instid0(SALU_CYCLE_1) | instskip(NEXT) | instid1(SALU_CYCLE_1)
	s_and_b32 s26, exec_lo, s23
	s_or_b32 s21, s26, s21
	s_and_not1_b32 s25, s25, exec_lo
	s_and_b32 s0, s0, exec_lo
	s_and_not1_b32 s22, s22, exec_lo
	s_and_b32 s26, s24, exec_lo
	s_or_b32 s25, s25, s0
	s_or_b32 s22, s22, s26
	s_and_not1_b32 exec_lo, exec_lo, s21
	s_cbranch_execz .LBB278_88
.LBB278_86:                             ; =>This Inner Loop Header: Depth=1
	global_load_u8 v18, v[4:5], off
	global_load_u8 v19, v[6:7], off
	s_and_not1_b32 s24, s24, exec_lo
	s_or_b32 s23, s23, exec_lo
	s_wait_loadcnt 0x1
	v_bfe_i32 v32, v18, 0, 8
	s_wait_loadcnt 0x0
	v_bfe_i32 v33, v19, 0, 8
	v_and_b32_e32 v18, 0xff, v18
	v_and_b32_e32 v19, 0xff, v19
	s_delay_alu instid0(VALU_DEP_3) | instskip(SKIP_2) | instid1(SALU_CYCLE_1)
	v_cmp_le_i16_e32 vcc_lo, v32, v33
	v_cmp_lt_i16_e64 s0, v32, v33
	s_and_b32 s26, vcc_lo, s25
	s_or_b32 s0, s0, s26
	s_delay_alu instid0(SALU_CYCLE_1) | instskip(NEXT) | instid1(SALU_CYCLE_1)
	s_and_b32 s26, s0, exec_lo
	s_or_b32 s24, s24, s26
	s_mov_b32 s26, exec_lo
	v_cmpx_eq_u16_e64 v18, v19
	s_cbranch_execz .LBB278_85
; %bb.87:                               ;   in Loop: Header=BB278_86 Depth=1
	s_add_nc_u64 s[2:3], s[2:3], -1
	v_add_nc_u64_e32 v[4:5], 1, v[4:5]
	s_cmp_eq_u64 s[2:3], 0
	v_add_nc_u64_e32 v[6:7], 1, v[6:7]
	s_cselect_b32 s25, -1, 0
	s_and_not1_b32 s23, s23, exec_lo
	s_and_b32 s25, s25, exec_lo
	s_and_not1_b32 s24, s24, exec_lo
	s_or_b32 s23, s23, s25
                                        ; implicit-def: $sgpr25
	s_branch .LBB278_85
.LBB278_88:
	s_or_b32 exec_lo, exec_lo, s21
	s_xor_b32 s0, s22, -1
	s_branch .LBB278_90
.LBB278_89:
	s_mov_b32 s0, -1
.LBB278_90:
	s_delay_alu instid0(SALU_CYCLE_1)
	s_and_b32 s0, s0, exec_lo
.LBB278_91:
	s_or_b32 exec_lo, exec_lo, s19
	s_delay_alu instid0(SALU_CYCLE_1)
	s_or_not1_b32 s19, s0, exec_lo
.LBB278_92:
	s_or_b32 exec_lo, exec_lo, s20
	v_cndmask_b32_e64 v4, v12, v13, s19
	v_cndmask_b32_e64 v5, v24, v1, s19
	s_mov_b32 s20, -1
	s_mov_b32 s21, -1
	s_mov_b32 s22, exec_lo
	v_add_nc_u32_e32 v6, 1, v4
	s_delay_alu instid0(VALU_DEP_1) | instskip(SKIP_1) | instid1(VALU_DEP_2)
	v_add_min_u32_e64 v4, v5, -1, v6
	v_dual_cndmask_b32 v18, v6, v12, s19 :: v_dual_cndmask_b32 v19, v13, v6, s19
	v_lshlrev_b32_e32 v4, 3, v4
	ds_load_b64 v[4:5], v4
	s_wait_dscnt 0x0
	v_dual_cndmask_b32 v12, v5, v10, s19 :: v_dual_cndmask_b32 v13, v11, v5, s19
	v_dual_cndmask_b32 v32, v4, v30, s19 :: v_dual_cndmask_b32 v33, v31, v4, s19
	v_cmpx_lt_u32_e64 v18, v24
	s_cbranch_execz .LBB278_103
; %bb.93:
	s_mov_b32 s0, 0
	s_mov_b32 s21, exec_lo
	v_cmpx_lt_u32_e64 v19, v1
	s_cbranch_execz .LBB278_102
; %bb.94:
	s_and_not1_b32 vcc_lo, exec_lo, s4
	s_cbranch_vccnz .LBB278_100
; %bb.95:
	v_mad_nc_u64_u32 v[4:5], v32, s12, s[14:15]
	v_mad_nc_u64_u32 v[6:7], v33, s12, s[14:15]
	s_mov_b32 s23, 0
	s_mov_b64 s[2:3], s[12:13]
                                        ; implicit-def: $sgpr24
                                        ; implicit-def: $sgpr25
                                        ; implicit-def: $sgpr26
                                        ; implicit-def: $sgpr27
	s_delay_alu instid0(VALU_DEP_2) | instskip(NEXT) | instid1(VALU_DEP_2)
	v_mad_u32 v5, v12, s12, v5
	v_mad_u32 v7, v13, s12, v7
	s_delay_alu instid0(VALU_DEP_2) | instskip(NEXT) | instid1(VALU_DEP_2)
	v_mad_u32 v5, v32, s13, v5
	v_mad_u32 v7, v33, s13, v7
	s_branch .LBB278_97
.LBB278_96:                             ;   in Loop: Header=BB278_97 Depth=1
	s_or_b32 exec_lo, exec_lo, s28
	s_delay_alu instid0(SALU_CYCLE_1) | instskip(NEXT) | instid1(SALU_CYCLE_1)
	s_and_b32 s28, exec_lo, s25
	s_or_b32 s23, s28, s23
	s_and_not1_b32 s27, s27, exec_lo
	s_and_b32 s0, s0, exec_lo
	s_and_not1_b32 s24, s24, exec_lo
	s_and_b32 s28, s26, exec_lo
	s_or_b32 s27, s27, s0
	s_or_b32 s24, s24, s28
	s_and_not1_b32 exec_lo, exec_lo, s23
	s_cbranch_execz .LBB278_99
.LBB278_97:                             ; =>This Inner Loop Header: Depth=1
	global_load_u8 v34, v[4:5], off
	global_load_u8 v35, v[6:7], off
	s_and_not1_b32 s26, s26, exec_lo
	s_or_b32 s25, s25, exec_lo
	s_wait_loadcnt 0x1
	v_bfe_i32 v36, v34, 0, 8
	s_wait_loadcnt 0x0
	v_bfe_i32 v37, v35, 0, 8
	v_and_b32_e32 v34, 0xff, v34
	v_and_b32_e32 v35, 0xff, v35
	s_delay_alu instid0(VALU_DEP_3) | instskip(SKIP_2) | instid1(SALU_CYCLE_1)
	v_cmp_le_i16_e32 vcc_lo, v36, v37
	v_cmp_lt_i16_e64 s0, v36, v37
	s_and_b32 s28, vcc_lo, s27
	s_or_b32 s0, s0, s28
	s_delay_alu instid0(SALU_CYCLE_1) | instskip(NEXT) | instid1(SALU_CYCLE_1)
	s_and_b32 s28, s0, exec_lo
	s_or_b32 s26, s26, s28
	s_mov_b32 s28, exec_lo
	v_cmpx_eq_u16_e64 v34, v35
	s_cbranch_execz .LBB278_96
; %bb.98:                               ;   in Loop: Header=BB278_97 Depth=1
	s_add_nc_u64 s[2:3], s[2:3], -1
	v_add_nc_u64_e32 v[4:5], 1, v[4:5]
	s_cmp_eq_u64 s[2:3], 0
	v_add_nc_u64_e32 v[6:7], 1, v[6:7]
	s_cselect_b32 s27, -1, 0
	s_and_not1_b32 s25, s25, exec_lo
	s_and_b32 s27, s27, exec_lo
	s_and_not1_b32 s26, s26, exec_lo
	s_or_b32 s25, s25, s27
                                        ; implicit-def: $sgpr27
	s_branch .LBB278_96
.LBB278_99:
	s_or_b32 exec_lo, exec_lo, s23
	s_xor_b32 s0, s24, -1
	s_branch .LBB278_101
.LBB278_100:
	s_mov_b32 s0, -1
.LBB278_101:
	s_delay_alu instid0(SALU_CYCLE_1)
	s_and_b32 s0, s0, exec_lo
.LBB278_102:
	s_or_b32 exec_lo, exec_lo, s21
	s_delay_alu instid0(SALU_CYCLE_1)
	s_or_not1_b32 s21, s0, exec_lo
.LBB278_103:
	s_or_b32 exec_lo, exec_lo, s22
	v_dual_cndmask_b32 v4, v18, v19, s21 :: v_dual_cndmask_b32 v5, v24, v1, s21
	s_mov_b32 s22, exec_lo
	s_delay_alu instid0(VALU_DEP_1) | instskip(NEXT) | instid1(VALU_DEP_1)
	v_add_nc_u32_e32 v6, 1, v4
	v_add_min_u32_e64 v4, v5, -1, v6
	s_delay_alu instid0(VALU_DEP_1)
	v_lshlrev_b32_e32 v4, 3, v4
	ds_load_b64 v[4:5], v4
	v_cndmask_b32_e64 v37, v6, v18, s21
	s_wait_dscnt 0x0
	v_dual_cndmask_b32 v34, v19, v6, s21 :: v_dual_cndmask_b32 v36, v4, v32, s21
	v_cndmask_b32_e64 v35, v5, v12, s21
	v_cndmask_b32_e64 v38, v13, v5, s21
	v_cndmask_b32_e64 v39, v33, v4, s21
	v_cmpx_lt_u32_e64 v37, v24
	s_cbranch_execz .LBB278_114
; %bb.104:
	s_mov_b32 s0, 0
	s_mov_b32 s20, exec_lo
	v_cmpx_lt_u32_e64 v34, v1
	s_cbranch_execz .LBB278_113
; %bb.105:
	s_and_not1_b32 vcc_lo, exec_lo, s4
	s_cbranch_vccnz .LBB278_111
; %bb.106:
	v_mad_nc_u64_u32 v[4:5], v36, s12, s[14:15]
	v_mad_nc_u64_u32 v[6:7], v39, s12, s[14:15]
	s_mov_b32 s23, 0
	s_mov_b64 s[2:3], s[12:13]
                                        ; implicit-def: $sgpr24
                                        ; implicit-def: $sgpr25
                                        ; implicit-def: $sgpr26
                                        ; implicit-def: $sgpr27
	s_delay_alu instid0(VALU_DEP_2) | instskip(NEXT) | instid1(VALU_DEP_2)
	v_mad_u32 v5, v35, s12, v5
	v_mad_u32 v7, v38, s12, v7
	s_delay_alu instid0(VALU_DEP_2) | instskip(NEXT) | instid1(VALU_DEP_2)
	v_mad_u32 v5, v36, s13, v5
	v_mad_u32 v7, v39, s13, v7
	s_branch .LBB278_108
.LBB278_107:                            ;   in Loop: Header=BB278_108 Depth=1
	s_or_b32 exec_lo, exec_lo, s28
	s_delay_alu instid0(SALU_CYCLE_1) | instskip(NEXT) | instid1(SALU_CYCLE_1)
	s_and_b32 s28, exec_lo, s25
	s_or_b32 s23, s28, s23
	s_and_not1_b32 s27, s27, exec_lo
	s_and_b32 s0, s0, exec_lo
	s_and_not1_b32 s24, s24, exec_lo
	s_and_b32 s28, s26, exec_lo
	s_or_b32 s27, s27, s0
	s_or_b32 s24, s24, s28
	s_and_not1_b32 exec_lo, exec_lo, s23
	s_cbranch_execz .LBB278_110
.LBB278_108:                            ; =>This Inner Loop Header: Depth=1
	global_load_u8 v18, v[4:5], off
	global_load_u8 v19, v[6:7], off
	s_and_not1_b32 s26, s26, exec_lo
	s_or_b32 s25, s25, exec_lo
	s_wait_loadcnt 0x1
	v_bfe_i32 v40, v18, 0, 8
	s_wait_loadcnt 0x0
	v_bfe_i32 v41, v19, 0, 8
	v_and_b32_e32 v18, 0xff, v18
	v_and_b32_e32 v19, 0xff, v19
	s_delay_alu instid0(VALU_DEP_3) | instskip(SKIP_2) | instid1(SALU_CYCLE_1)
	v_cmp_le_i16_e32 vcc_lo, v40, v41
	v_cmp_lt_i16_e64 s0, v40, v41
	s_and_b32 s28, vcc_lo, s27
	s_or_b32 s0, s0, s28
	s_delay_alu instid0(SALU_CYCLE_1) | instskip(NEXT) | instid1(SALU_CYCLE_1)
	s_and_b32 s28, s0, exec_lo
	s_or_b32 s26, s26, s28
	s_mov_b32 s28, exec_lo
	v_cmpx_eq_u16_e64 v18, v19
	s_cbranch_execz .LBB278_107
; %bb.109:                              ;   in Loop: Header=BB278_108 Depth=1
	s_add_nc_u64 s[2:3], s[2:3], -1
	v_add_nc_u64_e32 v[4:5], 1, v[4:5]
	s_cmp_eq_u64 s[2:3], 0
	v_add_nc_u64_e32 v[6:7], 1, v[6:7]
	s_cselect_b32 s27, -1, 0
	s_and_not1_b32 s25, s25, exec_lo
	s_and_b32 s27, s27, exec_lo
	s_and_not1_b32 s26, s26, exec_lo
	s_or_b32 s25, s25, s27
                                        ; implicit-def: $sgpr27
	s_branch .LBB278_107
.LBB278_110:
	s_or_b32 exec_lo, exec_lo, s23
	s_xor_b32 s0, s24, -1
	s_branch .LBB278_112
.LBB278_111:
	s_mov_b32 s0, -1
.LBB278_112:
	s_delay_alu instid0(SALU_CYCLE_1)
	s_and_b32 s0, s0, exec_lo
.LBB278_113:
	s_or_b32 exec_lo, exec_lo, s20
	s_delay_alu instid0(SALU_CYCLE_1)
	s_or_not1_b32 s20, s0, exec_lo
.LBB278_114:
	s_or_b32 exec_lo, exec_lo, s22
	v_dual_cndmask_b32 v4, v37, v34, s20 :: v_dual_cndmask_b32 v5, v24, v1, s20
	v_dual_cndmask_b32 v13, v12, v13, s21 :: v_dual_cndmask_b32 v11, v10, v11, s19
	;; [unrolled: 1-line block ×3, first 2 shown]
	s_delay_alu instid0(VALU_DEP_3) | instskip(SKIP_2) | instid1(VALU_DEP_3)
	v_dual_add_nc_u32 v40, 1, v4 :: v_dual_cndmask_b32 v9, v8, v9, s18
	v_dual_cndmask_b32 v7, v23, v26, s11 :: v_dual_cndmask_b32 v8, v28, v29, s18
	v_cndmask_b32_e64 v6, v25, v27, s11
	v_add_min_u32_e64 v4, v5, -1, v40
	v_dual_cndmask_b32 v5, v16, v21, s10 :: v_dual_cndmask_b32 v3, v15, v3, s5
	v_cndmask_b32_e64 v2, v14, v2, s5
	s_delay_alu instid0(VALU_DEP_3)
	v_dual_cndmask_b32 v15, v35, v38, s20 :: v_dual_lshlrev_b32 v4, 3, v4
	v_cndmask_b32_e64 v21, v40, v37, s20
	s_mov_b32 s2, exec_lo
	ds_load_b64 v[18:19], v4
	v_dual_cndmask_b32 v4, v17, v22, s10 :: v_dual_cndmask_b32 v14, v36, v39, s20
	s_wait_dscnt 0x0
	v_dual_cndmask_b32 v16, v39, v18, s20 :: v_dual_cndmask_b32 v17, v38, v19, s20
	v_cmpx_lt_u32_e64 v21, v24
	s_cbranch_execz .LBB278_124
; %bb.115:
	v_dual_cndmask_b32 v21, v34, v40, s20 :: v_dual_cndmask_b32 v19, v19, v35, s20
	v_cndmask_b32_e64 v18, v18, v36, s20
	s_mov_b32 s3, exec_lo
	s_delay_alu instid0(VALU_DEP_2)
	v_cmpx_lt_u32_e64 v21, v1
	s_cbranch_execz .LBB278_123
; %bb.116:
	s_and_not1_b32 vcc_lo, exec_lo, s4
	s_cbranch_vccnz .LBB278_122
; %bb.117:
	v_mad_nc_u64_u32 v[22:23], v18, s12, s[14:15]
	v_mad_nc_u64_u32 v[24:25], v16, s12, s[14:15]
	s_mov_b32 s4, 0
                                        ; implicit-def: $sgpr5
                                        ; implicit-def: $sgpr10
                                        ; implicit-def: $sgpr11
                                        ; implicit-def: $sgpr14
	s_delay_alu instid0(VALU_DEP_2) | instskip(NEXT) | instid1(VALU_DEP_2)
	v_mad_u32 v1, v19, s12, v23
	v_mad_u32 v21, v17, s12, v25
	s_delay_alu instid0(VALU_DEP_2) | instskip(NEXT) | instid1(VALU_DEP_2)
	v_mad_u32 v23, v18, s13, v1
	v_mad_u32 v25, v16, s13, v21
	s_branch .LBB278_119
.LBB278_118:                            ;   in Loop: Header=BB278_119 Depth=1
	s_or_b32 exec_lo, exec_lo, s15
	s_delay_alu instid0(SALU_CYCLE_1) | instskip(NEXT) | instid1(SALU_CYCLE_1)
	s_and_b32 s15, exec_lo, s10
	s_or_b32 s4, s15, s4
	s_and_not1_b32 s14, s14, exec_lo
	s_and_b32 s0, s0, exec_lo
	s_and_not1_b32 s5, s5, exec_lo
	s_and_b32 s15, s11, exec_lo
	s_or_b32 s14, s14, s0
	s_or_b32 s5, s5, s15
	s_and_not1_b32 exec_lo, exec_lo, s4
	s_cbranch_execz .LBB278_121
.LBB278_119:                            ; =>This Inner Loop Header: Depth=1
	global_load_u8 v1, v[22:23], off
	global_load_u8 v21, v[24:25], off
	s_and_not1_b32 s11, s11, exec_lo
	s_or_b32 s10, s10, exec_lo
	s_wait_loadcnt 0x1
	v_bfe_i32 v26, v1, 0, 8
	s_wait_loadcnt 0x0
	v_bfe_i32 v27, v21, 0, 8
	v_and_b32_e32 v1, 0xff, v1
	v_and_b32_e32 v21, 0xff, v21
	s_delay_alu instid0(VALU_DEP_3) | instskip(SKIP_2) | instid1(SALU_CYCLE_1)
	v_cmp_le_i16_e32 vcc_lo, v26, v27
	v_cmp_lt_i16_e64 s0, v26, v27
	s_and_b32 s15, vcc_lo, s14
	s_or_b32 s0, s0, s15
	s_delay_alu instid0(SALU_CYCLE_1) | instskip(NEXT) | instid1(SALU_CYCLE_1)
	s_and_b32 s15, s0, exec_lo
	s_or_b32 s11, s11, s15
	s_mov_b32 s15, exec_lo
	v_cmpx_eq_u16_e64 v1, v21
	s_cbranch_execz .LBB278_118
; %bb.120:                              ;   in Loop: Header=BB278_119 Depth=1
	s_add_nc_u64 s[12:13], s[12:13], -1
	v_add_nc_u64_e32 v[22:23], 1, v[22:23]
	s_cmp_eq_u64 s[12:13], 0
	v_add_nc_u64_e32 v[24:25], 1, v[24:25]
	s_cselect_b32 s14, -1, 0
	s_and_not1_b32 s10, s10, exec_lo
	s_and_b32 s14, s14, exec_lo
	s_and_not1_b32 s11, s11, exec_lo
	s_or_b32 s10, s10, s14
                                        ; implicit-def: $sgpr14
	s_branch .LBB278_118
.LBB278_121:
	s_or_b32 exec_lo, exec_lo, s4
	v_dual_cndmask_b32 v17, v17, v19, s5 :: v_dual_cndmask_b32 v16, v16, v18, s5
.LBB278_122:
	s_delay_alu instid0(VALU_DEP_1)
	v_mov_b64_e32 v[18:19], v[16:17]
.LBB278_123:
	s_or_b32 exec_lo, exec_lo, s3
	s_delay_alu instid0(VALU_DEP_1)
	v_mov_b64_e32 v[16:17], v[18:19]
.LBB278_124:
	s_or_b32 exec_lo, exec_lo, s2
.LBB278_125:
	s_delay_alu instid0(SALU_CYCLE_1) | instskip(SKIP_4) | instid1(VALU_DEP_4)
	s_or_b32 exec_lo, exec_lo, s1
	v_or_b32_e32 v25, 0x80, v0
	v_lshrrev_b32_e32 v1, 2, v0
	v_or_b32_e32 v22, 0x100, v0
	v_lshlrev_b32_e32 v18, 3, v20
	v_lshrrev_b32_e32 v19, 2, v25
	s_barrier_signal -1
	s_delay_alu instid0(VALU_DEP_3) | instskip(NEXT) | instid1(VALU_DEP_3)
	v_lshrrev_b32_e32 v21, 2, v22
	v_lshl_add_u32 v18, v1, 3, v18
	s_barrier_wait -1
	s_barrier_signal -1
	s_barrier_wait -1
	ds_store_2addr_b64 v18, v[2:3], v[4:5] offset1:1
	ds_store_2addr_b64 v18, v[6:7], v[8:9] offset0:2 offset1:3
	v_and_b32_e32 v2, 56, v19
	v_and_b32_e32 v1, 24, v1
	v_or_b32_e32 v24, 0x180, v0
	v_and_b32_e32 v3, 0x58, v21
	v_or_b32_e32 v23, 0x200, v0
	s_delay_alu instid0(VALU_DEP_4) | instskip(NEXT) | instid1(VALU_DEP_4)
	v_dual_add_nc_u32 v6, v2, v20 :: v_dual_add_nc_u32 v26, v1, v20
	v_lshrrev_b32_e32 v1, 2, v24
	ds_store_2addr_b64 v18, v[10:11], v[12:13] offset0:4 offset1:5
	ds_store_2addr_b64 v18, v[14:15], v[16:17] offset0:6 offset1:7
	v_or_b32_e32 v19, 0x280, v0
	v_add_nc_u32_e32 v7, v3, v20
	v_or_b32_e32 v18, 0x300, v0
	v_lshrrev_b32_e32 v3, 2, v23
	v_and_b32_e32 v2, 0x78, v1
	v_or_b32_e32 v1, 0x380, v0
	s_delay_alu instid0(VALU_DEP_4) | instskip(NEXT) | instid1(VALU_DEP_4)
	v_dual_lshrrev_b32 v4, 2, v19 :: v_dual_lshrrev_b32 v5, 2, v18
	v_and_b32_e32 v3, 0x98, v3
	s_delay_alu instid0(VALU_DEP_3)
	v_dual_add_nc_u32 v8, v2, v20 :: v_dual_lshrrev_b32 v2, 2, v1
	v_mov_b32_e32 v21, 0
	s_lshl_b64 s[0:1], s[16:17], 3
	v_and_b32_e32 v4, 0xb8, v4
	v_and_b32_e32 v5, 0xd8, v5
	;; [unrolled: 1-line block ×3, first 2 shown]
	s_add_nc_u64 s[0:1], s[6:7], s[0:1]
	s_delay_alu instid0(VALU_DEP_3) | instskip(SKIP_1) | instid1(VALU_DEP_3)
	v_dual_add_nc_u32 v9, v3, v20 :: v_dual_add_nc_u32 v27, v4, v20
	v_add_nc_u64_e32 v[2:3], s[0:1], v[20:21]
	v_dual_add_nc_u32 v28, v5, v20 :: v_dual_add_nc_u32 v20, v10, v20
	s_and_b32 vcc_lo, exec_lo, s9
	s_wait_dscnt 0x0
	s_cbranch_vccz .LBB278_127
; %bb.126:
	s_barrier_signal -1
	s_barrier_wait -1
	ds_load_b64 v[10:11], v26
	ds_load_b64 v[12:13], v6 offset:1024
	ds_load_b64 v[14:15], v7 offset:2048
	;; [unrolled: 1-line block ×7, first 2 shown]
	s_mov_b32 s0, -1
	s_wait_dscnt 0x7
	global_store_b64 v[2:3], v[10:11], off
	s_wait_dscnt 0x6
	global_store_b64 v[2:3], v[12:13], off offset:1024
	s_wait_dscnt 0x5
	global_store_b64 v[2:3], v[14:15], off offset:2048
	;; [unrolled: 2-line block ×6, first 2 shown]
	s_cbranch_execz .LBB278_128
	s_branch .LBB278_137
.LBB278_127:
	s_mov_b32 s0, 0
                                        ; implicit-def: $vgpr4_vgpr5
.LBB278_128:
	s_barrier_signal -1
	s_barrier_wait -1
	s_wait_storecnt_dscnt 0x0
	s_wait_xcnt 0x3
	ds_load_b64 v[16:17], v6 offset:1024
	ds_load_b64 v[14:15], v7 offset:2048
	;; [unrolled: 1-line block ×7, first 2 shown]
	s_sub_co_i32 s0, s8, s16
	s_mov_b32 s1, exec_lo
	s_wait_xcnt 0x0
	v_cmpx_gt_u32_e64 s0, v0
	s_cbranch_execnz .LBB278_140
; %bb.129:
	s_or_b32 exec_lo, exec_lo, s1
	s_delay_alu instid0(SALU_CYCLE_1)
	s_mov_b32 s1, exec_lo
	v_cmpx_gt_u32_e64 s0, v25
	s_cbranch_execnz .LBB278_141
.LBB278_130:
	s_or_b32 exec_lo, exec_lo, s1
	s_delay_alu instid0(SALU_CYCLE_1)
	s_mov_b32 s1, exec_lo
	v_cmpx_gt_u32_e64 s0, v22
	s_cbranch_execnz .LBB278_142
.LBB278_131:
	s_or_b32 exec_lo, exec_lo, s1
	s_delay_alu instid0(SALU_CYCLE_1)
	s_mov_b32 s1, exec_lo
	v_cmpx_gt_u32_e64 s0, v24
	s_cbranch_execnz .LBB278_143
.LBB278_132:
	s_or_b32 exec_lo, exec_lo, s1
	s_delay_alu instid0(SALU_CYCLE_1)
	s_mov_b32 s1, exec_lo
	v_cmpx_gt_u32_e64 s0, v23
	s_cbranch_execnz .LBB278_144
.LBB278_133:
	s_or_b32 exec_lo, exec_lo, s1
	s_delay_alu instid0(SALU_CYCLE_1)
	s_mov_b32 s1, exec_lo
	v_cmpx_gt_u32_e64 s0, v19
	s_cbranch_execnz .LBB278_145
.LBB278_134:
	s_or_b32 exec_lo, exec_lo, s1
	s_delay_alu instid0(SALU_CYCLE_1)
	s_mov_b32 s1, exec_lo
	v_cmpx_gt_u32_e64 s0, v18
	s_cbranch_execz .LBB278_136
.LBB278_135:
	s_wait_dscnt 0x1
	global_store_b64 v[2:3], v[6:7], off offset:6144
.LBB278_136:
	s_wait_xcnt 0x0
	s_or_b32 exec_lo, exec_lo, s1
	v_cmp_gt_u32_e64 s0, s0, v1
.LBB278_137:
	s_wait_xcnt 0x0
	s_delay_alu instid0(VALU_DEP_1)
	s_and_saveexec_b32 s1, s0
	s_cbranch_execz .LBB278_139
; %bb.138:
	s_wait_dscnt 0x0
	global_store_b64 v[2:3], v[4:5], off offset:7168
.LBB278_139:
	s_endpgm
.LBB278_140:
	ds_load_b64 v[20:21], v26
	s_wait_dscnt 0x0
	global_store_b64 v[2:3], v[20:21], off
	s_wait_xcnt 0x0
	s_or_b32 exec_lo, exec_lo, s1
	s_delay_alu instid0(SALU_CYCLE_1)
	s_mov_b32 s1, exec_lo
	v_cmpx_gt_u32_e64 s0, v25
	s_cbranch_execz .LBB278_130
.LBB278_141:
	s_wait_dscnt 0x6
	global_store_b64 v[2:3], v[16:17], off offset:1024
	s_wait_xcnt 0x0
	s_or_b32 exec_lo, exec_lo, s1
	s_delay_alu instid0(SALU_CYCLE_1)
	s_mov_b32 s1, exec_lo
	v_cmpx_gt_u32_e64 s0, v22
	s_cbranch_execz .LBB278_131
.LBB278_142:
	s_wait_dscnt 0x5
	global_store_b64 v[2:3], v[14:15], off offset:2048
	s_wait_xcnt 0x0
	s_or_b32 exec_lo, exec_lo, s1
	s_delay_alu instid0(SALU_CYCLE_1)
	s_mov_b32 s1, exec_lo
	v_cmpx_gt_u32_e64 s0, v24
	s_cbranch_execz .LBB278_132
.LBB278_143:
	s_wait_dscnt 0x4
	global_store_b64 v[2:3], v[12:13], off offset:3072
	s_wait_xcnt 0x0
	s_or_b32 exec_lo, exec_lo, s1
	s_delay_alu instid0(SALU_CYCLE_1)
	s_mov_b32 s1, exec_lo
	v_cmpx_gt_u32_e64 s0, v23
	s_cbranch_execz .LBB278_133
.LBB278_144:
	s_wait_dscnt 0x3
	global_store_b64 v[2:3], v[10:11], off offset:4096
	s_wait_xcnt 0x0
	s_or_b32 exec_lo, exec_lo, s1
	s_delay_alu instid0(SALU_CYCLE_1)
	s_mov_b32 s1, exec_lo
	v_cmpx_gt_u32_e64 s0, v19
	s_cbranch_execz .LBB278_134
.LBB278_145:
	s_wait_dscnt 0x2
	global_store_b64 v[2:3], v[8:9], off offset:5120
	s_wait_xcnt 0x0
	s_or_b32 exec_lo, exec_lo, s1
	s_delay_alu instid0(SALU_CYCLE_1)
	s_mov_b32 s1, exec_lo
	v_cmpx_gt_u32_e64 s0, v18
	s_cbranch_execnz .LBB278_135
	s_branch .LBB278_136
	.section	.rodata,"a",@progbits
	.p2align	6, 0x0
	.amdhsa_kernel _ZN7rocprim17ROCPRIM_400000_NS6detail17trampoline_kernelINS0_14default_configENS1_38merge_sort_block_merge_config_selectorIlNS0_10empty_typeEEEZZNS1_27merge_sort_block_merge_implIS3_PlPS5_mZN2at6native12_GLOBAL__N_124unique_dim_cuda_templateIaEESt5tupleIJNSA_6TensorESF_SF_EERKSF_lbbbEUlllE_EE10hipError_tT0_T1_T2_jT3_P12ihipStream_tbPNSt15iterator_traitsISL_E10value_typeEPNSR_ISM_E10value_typeEPSN_NS1_7vsmem_tEENKUlT_SL_SM_SN_E_clIS8_S8_S9_S9_EESK_S10_SL_SM_SN_EUlS10_E0_NS1_11comp_targetILNS1_3genE0ELNS1_11target_archE4294967295ELNS1_3gpuE0ELNS1_3repE0EEENS1_38merge_mergepath_config_static_selectorELNS0_4arch9wavefront6targetE0EEEvSM_
		.amdhsa_group_segment_fixed_size 8448
		.amdhsa_private_segment_fixed_size 0
		.amdhsa_kernarg_size 344
		.amdhsa_user_sgpr_count 2
		.amdhsa_user_sgpr_dispatch_ptr 0
		.amdhsa_user_sgpr_queue_ptr 0
		.amdhsa_user_sgpr_kernarg_segment_ptr 1
		.amdhsa_user_sgpr_dispatch_id 0
		.amdhsa_user_sgpr_kernarg_preload_length 0
		.amdhsa_user_sgpr_kernarg_preload_offset 0
		.amdhsa_user_sgpr_private_segment_size 0
		.amdhsa_wavefront_size32 1
		.amdhsa_uses_dynamic_stack 0
		.amdhsa_enable_private_segment 0
		.amdhsa_system_sgpr_workgroup_id_x 1
		.amdhsa_system_sgpr_workgroup_id_y 1
		.amdhsa_system_sgpr_workgroup_id_z 1
		.amdhsa_system_sgpr_workgroup_info 0
		.amdhsa_system_vgpr_workitem_id 0
		.amdhsa_next_free_vgpr 42
		.amdhsa_next_free_sgpr 31
		.amdhsa_named_barrier_count 0
		.amdhsa_reserve_vcc 1
		.amdhsa_float_round_mode_32 0
		.amdhsa_float_round_mode_16_64 0
		.amdhsa_float_denorm_mode_32 3
		.amdhsa_float_denorm_mode_16_64 3
		.amdhsa_fp16_overflow 0
		.amdhsa_memory_ordered 1
		.amdhsa_forward_progress 1
		.amdhsa_inst_pref_size 57
		.amdhsa_round_robin_scheduling 0
		.amdhsa_exception_fp_ieee_invalid_op 0
		.amdhsa_exception_fp_denorm_src 0
		.amdhsa_exception_fp_ieee_div_zero 0
		.amdhsa_exception_fp_ieee_overflow 0
		.amdhsa_exception_fp_ieee_underflow 0
		.amdhsa_exception_fp_ieee_inexact 0
		.amdhsa_exception_int_div_zero 0
	.end_amdhsa_kernel
	.section	.text._ZN7rocprim17ROCPRIM_400000_NS6detail17trampoline_kernelINS0_14default_configENS1_38merge_sort_block_merge_config_selectorIlNS0_10empty_typeEEEZZNS1_27merge_sort_block_merge_implIS3_PlPS5_mZN2at6native12_GLOBAL__N_124unique_dim_cuda_templateIaEESt5tupleIJNSA_6TensorESF_SF_EERKSF_lbbbEUlllE_EE10hipError_tT0_T1_T2_jT3_P12ihipStream_tbPNSt15iterator_traitsISL_E10value_typeEPNSR_ISM_E10value_typeEPSN_NS1_7vsmem_tEENKUlT_SL_SM_SN_E_clIS8_S8_S9_S9_EESK_S10_SL_SM_SN_EUlS10_E0_NS1_11comp_targetILNS1_3genE0ELNS1_11target_archE4294967295ELNS1_3gpuE0ELNS1_3repE0EEENS1_38merge_mergepath_config_static_selectorELNS0_4arch9wavefront6targetE0EEEvSM_,"axG",@progbits,_ZN7rocprim17ROCPRIM_400000_NS6detail17trampoline_kernelINS0_14default_configENS1_38merge_sort_block_merge_config_selectorIlNS0_10empty_typeEEEZZNS1_27merge_sort_block_merge_implIS3_PlPS5_mZN2at6native12_GLOBAL__N_124unique_dim_cuda_templateIaEESt5tupleIJNSA_6TensorESF_SF_EERKSF_lbbbEUlllE_EE10hipError_tT0_T1_T2_jT3_P12ihipStream_tbPNSt15iterator_traitsISL_E10value_typeEPNSR_ISM_E10value_typeEPSN_NS1_7vsmem_tEENKUlT_SL_SM_SN_E_clIS8_S8_S9_S9_EESK_S10_SL_SM_SN_EUlS10_E0_NS1_11comp_targetILNS1_3genE0ELNS1_11target_archE4294967295ELNS1_3gpuE0ELNS1_3repE0EEENS1_38merge_mergepath_config_static_selectorELNS0_4arch9wavefront6targetE0EEEvSM_,comdat
.Lfunc_end278:
	.size	_ZN7rocprim17ROCPRIM_400000_NS6detail17trampoline_kernelINS0_14default_configENS1_38merge_sort_block_merge_config_selectorIlNS0_10empty_typeEEEZZNS1_27merge_sort_block_merge_implIS3_PlPS5_mZN2at6native12_GLOBAL__N_124unique_dim_cuda_templateIaEESt5tupleIJNSA_6TensorESF_SF_EERKSF_lbbbEUlllE_EE10hipError_tT0_T1_T2_jT3_P12ihipStream_tbPNSt15iterator_traitsISL_E10value_typeEPNSR_ISM_E10value_typeEPSN_NS1_7vsmem_tEENKUlT_SL_SM_SN_E_clIS8_S8_S9_S9_EESK_S10_SL_SM_SN_EUlS10_E0_NS1_11comp_targetILNS1_3genE0ELNS1_11target_archE4294967295ELNS1_3gpuE0ELNS1_3repE0EEENS1_38merge_mergepath_config_static_selectorELNS0_4arch9wavefront6targetE0EEEvSM_, .Lfunc_end278-_ZN7rocprim17ROCPRIM_400000_NS6detail17trampoline_kernelINS0_14default_configENS1_38merge_sort_block_merge_config_selectorIlNS0_10empty_typeEEEZZNS1_27merge_sort_block_merge_implIS3_PlPS5_mZN2at6native12_GLOBAL__N_124unique_dim_cuda_templateIaEESt5tupleIJNSA_6TensorESF_SF_EERKSF_lbbbEUlllE_EE10hipError_tT0_T1_T2_jT3_P12ihipStream_tbPNSt15iterator_traitsISL_E10value_typeEPNSR_ISM_E10value_typeEPSN_NS1_7vsmem_tEENKUlT_SL_SM_SN_E_clIS8_S8_S9_S9_EESK_S10_SL_SM_SN_EUlS10_E0_NS1_11comp_targetILNS1_3genE0ELNS1_11target_archE4294967295ELNS1_3gpuE0ELNS1_3repE0EEENS1_38merge_mergepath_config_static_selectorELNS0_4arch9wavefront6targetE0EEEvSM_
                                        ; -- End function
	.set _ZN7rocprim17ROCPRIM_400000_NS6detail17trampoline_kernelINS0_14default_configENS1_38merge_sort_block_merge_config_selectorIlNS0_10empty_typeEEEZZNS1_27merge_sort_block_merge_implIS3_PlPS5_mZN2at6native12_GLOBAL__N_124unique_dim_cuda_templateIaEESt5tupleIJNSA_6TensorESF_SF_EERKSF_lbbbEUlllE_EE10hipError_tT0_T1_T2_jT3_P12ihipStream_tbPNSt15iterator_traitsISL_E10value_typeEPNSR_ISM_E10value_typeEPSN_NS1_7vsmem_tEENKUlT_SL_SM_SN_E_clIS8_S8_S9_S9_EESK_S10_SL_SM_SN_EUlS10_E0_NS1_11comp_targetILNS1_3genE0ELNS1_11target_archE4294967295ELNS1_3gpuE0ELNS1_3repE0EEENS1_38merge_mergepath_config_static_selectorELNS0_4arch9wavefront6targetE0EEEvSM_.num_vgpr, 42
	.set _ZN7rocprim17ROCPRIM_400000_NS6detail17trampoline_kernelINS0_14default_configENS1_38merge_sort_block_merge_config_selectorIlNS0_10empty_typeEEEZZNS1_27merge_sort_block_merge_implIS3_PlPS5_mZN2at6native12_GLOBAL__N_124unique_dim_cuda_templateIaEESt5tupleIJNSA_6TensorESF_SF_EERKSF_lbbbEUlllE_EE10hipError_tT0_T1_T2_jT3_P12ihipStream_tbPNSt15iterator_traitsISL_E10value_typeEPNSR_ISM_E10value_typeEPSN_NS1_7vsmem_tEENKUlT_SL_SM_SN_E_clIS8_S8_S9_S9_EESK_S10_SL_SM_SN_EUlS10_E0_NS1_11comp_targetILNS1_3genE0ELNS1_11target_archE4294967295ELNS1_3gpuE0ELNS1_3repE0EEENS1_38merge_mergepath_config_static_selectorELNS0_4arch9wavefront6targetE0EEEvSM_.num_agpr, 0
	.set _ZN7rocprim17ROCPRIM_400000_NS6detail17trampoline_kernelINS0_14default_configENS1_38merge_sort_block_merge_config_selectorIlNS0_10empty_typeEEEZZNS1_27merge_sort_block_merge_implIS3_PlPS5_mZN2at6native12_GLOBAL__N_124unique_dim_cuda_templateIaEESt5tupleIJNSA_6TensorESF_SF_EERKSF_lbbbEUlllE_EE10hipError_tT0_T1_T2_jT3_P12ihipStream_tbPNSt15iterator_traitsISL_E10value_typeEPNSR_ISM_E10value_typeEPSN_NS1_7vsmem_tEENKUlT_SL_SM_SN_E_clIS8_S8_S9_S9_EESK_S10_SL_SM_SN_EUlS10_E0_NS1_11comp_targetILNS1_3genE0ELNS1_11target_archE4294967295ELNS1_3gpuE0ELNS1_3repE0EEENS1_38merge_mergepath_config_static_selectorELNS0_4arch9wavefront6targetE0EEEvSM_.numbered_sgpr, 31
	.set _ZN7rocprim17ROCPRIM_400000_NS6detail17trampoline_kernelINS0_14default_configENS1_38merge_sort_block_merge_config_selectorIlNS0_10empty_typeEEEZZNS1_27merge_sort_block_merge_implIS3_PlPS5_mZN2at6native12_GLOBAL__N_124unique_dim_cuda_templateIaEESt5tupleIJNSA_6TensorESF_SF_EERKSF_lbbbEUlllE_EE10hipError_tT0_T1_T2_jT3_P12ihipStream_tbPNSt15iterator_traitsISL_E10value_typeEPNSR_ISM_E10value_typeEPSN_NS1_7vsmem_tEENKUlT_SL_SM_SN_E_clIS8_S8_S9_S9_EESK_S10_SL_SM_SN_EUlS10_E0_NS1_11comp_targetILNS1_3genE0ELNS1_11target_archE4294967295ELNS1_3gpuE0ELNS1_3repE0EEENS1_38merge_mergepath_config_static_selectorELNS0_4arch9wavefront6targetE0EEEvSM_.num_named_barrier, 0
	.set _ZN7rocprim17ROCPRIM_400000_NS6detail17trampoline_kernelINS0_14default_configENS1_38merge_sort_block_merge_config_selectorIlNS0_10empty_typeEEEZZNS1_27merge_sort_block_merge_implIS3_PlPS5_mZN2at6native12_GLOBAL__N_124unique_dim_cuda_templateIaEESt5tupleIJNSA_6TensorESF_SF_EERKSF_lbbbEUlllE_EE10hipError_tT0_T1_T2_jT3_P12ihipStream_tbPNSt15iterator_traitsISL_E10value_typeEPNSR_ISM_E10value_typeEPSN_NS1_7vsmem_tEENKUlT_SL_SM_SN_E_clIS8_S8_S9_S9_EESK_S10_SL_SM_SN_EUlS10_E0_NS1_11comp_targetILNS1_3genE0ELNS1_11target_archE4294967295ELNS1_3gpuE0ELNS1_3repE0EEENS1_38merge_mergepath_config_static_selectorELNS0_4arch9wavefront6targetE0EEEvSM_.private_seg_size, 0
	.set _ZN7rocprim17ROCPRIM_400000_NS6detail17trampoline_kernelINS0_14default_configENS1_38merge_sort_block_merge_config_selectorIlNS0_10empty_typeEEEZZNS1_27merge_sort_block_merge_implIS3_PlPS5_mZN2at6native12_GLOBAL__N_124unique_dim_cuda_templateIaEESt5tupleIJNSA_6TensorESF_SF_EERKSF_lbbbEUlllE_EE10hipError_tT0_T1_T2_jT3_P12ihipStream_tbPNSt15iterator_traitsISL_E10value_typeEPNSR_ISM_E10value_typeEPSN_NS1_7vsmem_tEENKUlT_SL_SM_SN_E_clIS8_S8_S9_S9_EESK_S10_SL_SM_SN_EUlS10_E0_NS1_11comp_targetILNS1_3genE0ELNS1_11target_archE4294967295ELNS1_3gpuE0ELNS1_3repE0EEENS1_38merge_mergepath_config_static_selectorELNS0_4arch9wavefront6targetE0EEEvSM_.uses_vcc, 1
	.set _ZN7rocprim17ROCPRIM_400000_NS6detail17trampoline_kernelINS0_14default_configENS1_38merge_sort_block_merge_config_selectorIlNS0_10empty_typeEEEZZNS1_27merge_sort_block_merge_implIS3_PlPS5_mZN2at6native12_GLOBAL__N_124unique_dim_cuda_templateIaEESt5tupleIJNSA_6TensorESF_SF_EERKSF_lbbbEUlllE_EE10hipError_tT0_T1_T2_jT3_P12ihipStream_tbPNSt15iterator_traitsISL_E10value_typeEPNSR_ISM_E10value_typeEPSN_NS1_7vsmem_tEENKUlT_SL_SM_SN_E_clIS8_S8_S9_S9_EESK_S10_SL_SM_SN_EUlS10_E0_NS1_11comp_targetILNS1_3genE0ELNS1_11target_archE4294967295ELNS1_3gpuE0ELNS1_3repE0EEENS1_38merge_mergepath_config_static_selectorELNS0_4arch9wavefront6targetE0EEEvSM_.uses_flat_scratch, 0
	.set _ZN7rocprim17ROCPRIM_400000_NS6detail17trampoline_kernelINS0_14default_configENS1_38merge_sort_block_merge_config_selectorIlNS0_10empty_typeEEEZZNS1_27merge_sort_block_merge_implIS3_PlPS5_mZN2at6native12_GLOBAL__N_124unique_dim_cuda_templateIaEESt5tupleIJNSA_6TensorESF_SF_EERKSF_lbbbEUlllE_EE10hipError_tT0_T1_T2_jT3_P12ihipStream_tbPNSt15iterator_traitsISL_E10value_typeEPNSR_ISM_E10value_typeEPSN_NS1_7vsmem_tEENKUlT_SL_SM_SN_E_clIS8_S8_S9_S9_EESK_S10_SL_SM_SN_EUlS10_E0_NS1_11comp_targetILNS1_3genE0ELNS1_11target_archE4294967295ELNS1_3gpuE0ELNS1_3repE0EEENS1_38merge_mergepath_config_static_selectorELNS0_4arch9wavefront6targetE0EEEvSM_.has_dyn_sized_stack, 0
	.set _ZN7rocprim17ROCPRIM_400000_NS6detail17trampoline_kernelINS0_14default_configENS1_38merge_sort_block_merge_config_selectorIlNS0_10empty_typeEEEZZNS1_27merge_sort_block_merge_implIS3_PlPS5_mZN2at6native12_GLOBAL__N_124unique_dim_cuda_templateIaEESt5tupleIJNSA_6TensorESF_SF_EERKSF_lbbbEUlllE_EE10hipError_tT0_T1_T2_jT3_P12ihipStream_tbPNSt15iterator_traitsISL_E10value_typeEPNSR_ISM_E10value_typeEPSN_NS1_7vsmem_tEENKUlT_SL_SM_SN_E_clIS8_S8_S9_S9_EESK_S10_SL_SM_SN_EUlS10_E0_NS1_11comp_targetILNS1_3genE0ELNS1_11target_archE4294967295ELNS1_3gpuE0ELNS1_3repE0EEENS1_38merge_mergepath_config_static_selectorELNS0_4arch9wavefront6targetE0EEEvSM_.has_recursion, 0
	.set _ZN7rocprim17ROCPRIM_400000_NS6detail17trampoline_kernelINS0_14default_configENS1_38merge_sort_block_merge_config_selectorIlNS0_10empty_typeEEEZZNS1_27merge_sort_block_merge_implIS3_PlPS5_mZN2at6native12_GLOBAL__N_124unique_dim_cuda_templateIaEESt5tupleIJNSA_6TensorESF_SF_EERKSF_lbbbEUlllE_EE10hipError_tT0_T1_T2_jT3_P12ihipStream_tbPNSt15iterator_traitsISL_E10value_typeEPNSR_ISM_E10value_typeEPSN_NS1_7vsmem_tEENKUlT_SL_SM_SN_E_clIS8_S8_S9_S9_EESK_S10_SL_SM_SN_EUlS10_E0_NS1_11comp_targetILNS1_3genE0ELNS1_11target_archE4294967295ELNS1_3gpuE0ELNS1_3repE0EEENS1_38merge_mergepath_config_static_selectorELNS0_4arch9wavefront6targetE0EEEvSM_.has_indirect_call, 0
	.section	.AMDGPU.csdata,"",@progbits
; Kernel info:
; codeLenInByte = 7296
; TotalNumSgprs: 33
; NumVgprs: 42
; ScratchSize: 0
; MemoryBound: 0
; FloatMode: 240
; IeeeMode: 1
; LDSByteSize: 8448 bytes/workgroup (compile time only)
; SGPRBlocks: 0
; VGPRBlocks: 2
; NumSGPRsForWavesPerEU: 33
; NumVGPRsForWavesPerEU: 42
; NamedBarCnt: 0
; Occupancy: 16
; WaveLimiterHint : 1
; COMPUTE_PGM_RSRC2:SCRATCH_EN: 0
; COMPUTE_PGM_RSRC2:USER_SGPR: 2
; COMPUTE_PGM_RSRC2:TRAP_HANDLER: 0
; COMPUTE_PGM_RSRC2:TGID_X_EN: 1
; COMPUTE_PGM_RSRC2:TGID_Y_EN: 1
; COMPUTE_PGM_RSRC2:TGID_Z_EN: 1
; COMPUTE_PGM_RSRC2:TIDIG_COMP_CNT: 0
	.section	.text._ZN7rocprim17ROCPRIM_400000_NS6detail17trampoline_kernelINS0_14default_configENS1_38merge_sort_block_merge_config_selectorIlNS0_10empty_typeEEEZZNS1_27merge_sort_block_merge_implIS3_PlPS5_mZN2at6native12_GLOBAL__N_124unique_dim_cuda_templateIaEESt5tupleIJNSA_6TensorESF_SF_EERKSF_lbbbEUlllE_EE10hipError_tT0_T1_T2_jT3_P12ihipStream_tbPNSt15iterator_traitsISL_E10value_typeEPNSR_ISM_E10value_typeEPSN_NS1_7vsmem_tEENKUlT_SL_SM_SN_E_clIS8_S8_S9_S9_EESK_S10_SL_SM_SN_EUlS10_E0_NS1_11comp_targetILNS1_3genE10ELNS1_11target_archE1201ELNS1_3gpuE5ELNS1_3repE0EEENS1_38merge_mergepath_config_static_selectorELNS0_4arch9wavefront6targetE0EEEvSM_,"axG",@progbits,_ZN7rocprim17ROCPRIM_400000_NS6detail17trampoline_kernelINS0_14default_configENS1_38merge_sort_block_merge_config_selectorIlNS0_10empty_typeEEEZZNS1_27merge_sort_block_merge_implIS3_PlPS5_mZN2at6native12_GLOBAL__N_124unique_dim_cuda_templateIaEESt5tupleIJNSA_6TensorESF_SF_EERKSF_lbbbEUlllE_EE10hipError_tT0_T1_T2_jT3_P12ihipStream_tbPNSt15iterator_traitsISL_E10value_typeEPNSR_ISM_E10value_typeEPSN_NS1_7vsmem_tEENKUlT_SL_SM_SN_E_clIS8_S8_S9_S9_EESK_S10_SL_SM_SN_EUlS10_E0_NS1_11comp_targetILNS1_3genE10ELNS1_11target_archE1201ELNS1_3gpuE5ELNS1_3repE0EEENS1_38merge_mergepath_config_static_selectorELNS0_4arch9wavefront6targetE0EEEvSM_,comdat
	.globl	_ZN7rocprim17ROCPRIM_400000_NS6detail17trampoline_kernelINS0_14default_configENS1_38merge_sort_block_merge_config_selectorIlNS0_10empty_typeEEEZZNS1_27merge_sort_block_merge_implIS3_PlPS5_mZN2at6native12_GLOBAL__N_124unique_dim_cuda_templateIaEESt5tupleIJNSA_6TensorESF_SF_EERKSF_lbbbEUlllE_EE10hipError_tT0_T1_T2_jT3_P12ihipStream_tbPNSt15iterator_traitsISL_E10value_typeEPNSR_ISM_E10value_typeEPSN_NS1_7vsmem_tEENKUlT_SL_SM_SN_E_clIS8_S8_S9_S9_EESK_S10_SL_SM_SN_EUlS10_E0_NS1_11comp_targetILNS1_3genE10ELNS1_11target_archE1201ELNS1_3gpuE5ELNS1_3repE0EEENS1_38merge_mergepath_config_static_selectorELNS0_4arch9wavefront6targetE0EEEvSM_ ; -- Begin function _ZN7rocprim17ROCPRIM_400000_NS6detail17trampoline_kernelINS0_14default_configENS1_38merge_sort_block_merge_config_selectorIlNS0_10empty_typeEEEZZNS1_27merge_sort_block_merge_implIS3_PlPS5_mZN2at6native12_GLOBAL__N_124unique_dim_cuda_templateIaEESt5tupleIJNSA_6TensorESF_SF_EERKSF_lbbbEUlllE_EE10hipError_tT0_T1_T2_jT3_P12ihipStream_tbPNSt15iterator_traitsISL_E10value_typeEPNSR_ISM_E10value_typeEPSN_NS1_7vsmem_tEENKUlT_SL_SM_SN_E_clIS8_S8_S9_S9_EESK_S10_SL_SM_SN_EUlS10_E0_NS1_11comp_targetILNS1_3genE10ELNS1_11target_archE1201ELNS1_3gpuE5ELNS1_3repE0EEENS1_38merge_mergepath_config_static_selectorELNS0_4arch9wavefront6targetE0EEEvSM_
	.p2align	8
	.type	_ZN7rocprim17ROCPRIM_400000_NS6detail17trampoline_kernelINS0_14default_configENS1_38merge_sort_block_merge_config_selectorIlNS0_10empty_typeEEEZZNS1_27merge_sort_block_merge_implIS3_PlPS5_mZN2at6native12_GLOBAL__N_124unique_dim_cuda_templateIaEESt5tupleIJNSA_6TensorESF_SF_EERKSF_lbbbEUlllE_EE10hipError_tT0_T1_T2_jT3_P12ihipStream_tbPNSt15iterator_traitsISL_E10value_typeEPNSR_ISM_E10value_typeEPSN_NS1_7vsmem_tEENKUlT_SL_SM_SN_E_clIS8_S8_S9_S9_EESK_S10_SL_SM_SN_EUlS10_E0_NS1_11comp_targetILNS1_3genE10ELNS1_11target_archE1201ELNS1_3gpuE5ELNS1_3repE0EEENS1_38merge_mergepath_config_static_selectorELNS0_4arch9wavefront6targetE0EEEvSM_,@function
_ZN7rocprim17ROCPRIM_400000_NS6detail17trampoline_kernelINS0_14default_configENS1_38merge_sort_block_merge_config_selectorIlNS0_10empty_typeEEEZZNS1_27merge_sort_block_merge_implIS3_PlPS5_mZN2at6native12_GLOBAL__N_124unique_dim_cuda_templateIaEESt5tupleIJNSA_6TensorESF_SF_EERKSF_lbbbEUlllE_EE10hipError_tT0_T1_T2_jT3_P12ihipStream_tbPNSt15iterator_traitsISL_E10value_typeEPNSR_ISM_E10value_typeEPSN_NS1_7vsmem_tEENKUlT_SL_SM_SN_E_clIS8_S8_S9_S9_EESK_S10_SL_SM_SN_EUlS10_E0_NS1_11comp_targetILNS1_3genE10ELNS1_11target_archE1201ELNS1_3gpuE5ELNS1_3repE0EEENS1_38merge_mergepath_config_static_selectorELNS0_4arch9wavefront6targetE0EEEvSM_: ; @_ZN7rocprim17ROCPRIM_400000_NS6detail17trampoline_kernelINS0_14default_configENS1_38merge_sort_block_merge_config_selectorIlNS0_10empty_typeEEEZZNS1_27merge_sort_block_merge_implIS3_PlPS5_mZN2at6native12_GLOBAL__N_124unique_dim_cuda_templateIaEESt5tupleIJNSA_6TensorESF_SF_EERKSF_lbbbEUlllE_EE10hipError_tT0_T1_T2_jT3_P12ihipStream_tbPNSt15iterator_traitsISL_E10value_typeEPNSR_ISM_E10value_typeEPSN_NS1_7vsmem_tEENKUlT_SL_SM_SN_E_clIS8_S8_S9_S9_EESK_S10_SL_SM_SN_EUlS10_E0_NS1_11comp_targetILNS1_3genE10ELNS1_11target_archE1201ELNS1_3gpuE5ELNS1_3repE0EEENS1_38merge_mergepath_config_static_selectorELNS0_4arch9wavefront6targetE0EEEvSM_
; %bb.0:
	.section	.rodata,"a",@progbits
	.p2align	6, 0x0
	.amdhsa_kernel _ZN7rocprim17ROCPRIM_400000_NS6detail17trampoline_kernelINS0_14default_configENS1_38merge_sort_block_merge_config_selectorIlNS0_10empty_typeEEEZZNS1_27merge_sort_block_merge_implIS3_PlPS5_mZN2at6native12_GLOBAL__N_124unique_dim_cuda_templateIaEESt5tupleIJNSA_6TensorESF_SF_EERKSF_lbbbEUlllE_EE10hipError_tT0_T1_T2_jT3_P12ihipStream_tbPNSt15iterator_traitsISL_E10value_typeEPNSR_ISM_E10value_typeEPSN_NS1_7vsmem_tEENKUlT_SL_SM_SN_E_clIS8_S8_S9_S9_EESK_S10_SL_SM_SN_EUlS10_E0_NS1_11comp_targetILNS1_3genE10ELNS1_11target_archE1201ELNS1_3gpuE5ELNS1_3repE0EEENS1_38merge_mergepath_config_static_selectorELNS0_4arch9wavefront6targetE0EEEvSM_
		.amdhsa_group_segment_fixed_size 0
		.amdhsa_private_segment_fixed_size 0
		.amdhsa_kernarg_size 88
		.amdhsa_user_sgpr_count 2
		.amdhsa_user_sgpr_dispatch_ptr 0
		.amdhsa_user_sgpr_queue_ptr 0
		.amdhsa_user_sgpr_kernarg_segment_ptr 1
		.amdhsa_user_sgpr_dispatch_id 0
		.amdhsa_user_sgpr_kernarg_preload_length 0
		.amdhsa_user_sgpr_kernarg_preload_offset 0
		.amdhsa_user_sgpr_private_segment_size 0
		.amdhsa_wavefront_size32 1
		.amdhsa_uses_dynamic_stack 0
		.amdhsa_enable_private_segment 0
		.amdhsa_system_sgpr_workgroup_id_x 1
		.amdhsa_system_sgpr_workgroup_id_y 0
		.amdhsa_system_sgpr_workgroup_id_z 0
		.amdhsa_system_sgpr_workgroup_info 0
		.amdhsa_system_vgpr_workitem_id 0
		.amdhsa_next_free_vgpr 1
		.amdhsa_next_free_sgpr 1
		.amdhsa_named_barrier_count 0
		.amdhsa_reserve_vcc 0
		.amdhsa_float_round_mode_32 0
		.amdhsa_float_round_mode_16_64 0
		.amdhsa_float_denorm_mode_32 3
		.amdhsa_float_denorm_mode_16_64 3
		.amdhsa_fp16_overflow 0
		.amdhsa_memory_ordered 1
		.amdhsa_forward_progress 1
		.amdhsa_inst_pref_size 0
		.amdhsa_round_robin_scheduling 0
		.amdhsa_exception_fp_ieee_invalid_op 0
		.amdhsa_exception_fp_denorm_src 0
		.amdhsa_exception_fp_ieee_div_zero 0
		.amdhsa_exception_fp_ieee_overflow 0
		.amdhsa_exception_fp_ieee_underflow 0
		.amdhsa_exception_fp_ieee_inexact 0
		.amdhsa_exception_int_div_zero 0
	.end_amdhsa_kernel
	.section	.text._ZN7rocprim17ROCPRIM_400000_NS6detail17trampoline_kernelINS0_14default_configENS1_38merge_sort_block_merge_config_selectorIlNS0_10empty_typeEEEZZNS1_27merge_sort_block_merge_implIS3_PlPS5_mZN2at6native12_GLOBAL__N_124unique_dim_cuda_templateIaEESt5tupleIJNSA_6TensorESF_SF_EERKSF_lbbbEUlllE_EE10hipError_tT0_T1_T2_jT3_P12ihipStream_tbPNSt15iterator_traitsISL_E10value_typeEPNSR_ISM_E10value_typeEPSN_NS1_7vsmem_tEENKUlT_SL_SM_SN_E_clIS8_S8_S9_S9_EESK_S10_SL_SM_SN_EUlS10_E0_NS1_11comp_targetILNS1_3genE10ELNS1_11target_archE1201ELNS1_3gpuE5ELNS1_3repE0EEENS1_38merge_mergepath_config_static_selectorELNS0_4arch9wavefront6targetE0EEEvSM_,"axG",@progbits,_ZN7rocprim17ROCPRIM_400000_NS6detail17trampoline_kernelINS0_14default_configENS1_38merge_sort_block_merge_config_selectorIlNS0_10empty_typeEEEZZNS1_27merge_sort_block_merge_implIS3_PlPS5_mZN2at6native12_GLOBAL__N_124unique_dim_cuda_templateIaEESt5tupleIJNSA_6TensorESF_SF_EERKSF_lbbbEUlllE_EE10hipError_tT0_T1_T2_jT3_P12ihipStream_tbPNSt15iterator_traitsISL_E10value_typeEPNSR_ISM_E10value_typeEPSN_NS1_7vsmem_tEENKUlT_SL_SM_SN_E_clIS8_S8_S9_S9_EESK_S10_SL_SM_SN_EUlS10_E0_NS1_11comp_targetILNS1_3genE10ELNS1_11target_archE1201ELNS1_3gpuE5ELNS1_3repE0EEENS1_38merge_mergepath_config_static_selectorELNS0_4arch9wavefront6targetE0EEEvSM_,comdat
.Lfunc_end279:
	.size	_ZN7rocprim17ROCPRIM_400000_NS6detail17trampoline_kernelINS0_14default_configENS1_38merge_sort_block_merge_config_selectorIlNS0_10empty_typeEEEZZNS1_27merge_sort_block_merge_implIS3_PlPS5_mZN2at6native12_GLOBAL__N_124unique_dim_cuda_templateIaEESt5tupleIJNSA_6TensorESF_SF_EERKSF_lbbbEUlllE_EE10hipError_tT0_T1_T2_jT3_P12ihipStream_tbPNSt15iterator_traitsISL_E10value_typeEPNSR_ISM_E10value_typeEPSN_NS1_7vsmem_tEENKUlT_SL_SM_SN_E_clIS8_S8_S9_S9_EESK_S10_SL_SM_SN_EUlS10_E0_NS1_11comp_targetILNS1_3genE10ELNS1_11target_archE1201ELNS1_3gpuE5ELNS1_3repE0EEENS1_38merge_mergepath_config_static_selectorELNS0_4arch9wavefront6targetE0EEEvSM_, .Lfunc_end279-_ZN7rocprim17ROCPRIM_400000_NS6detail17trampoline_kernelINS0_14default_configENS1_38merge_sort_block_merge_config_selectorIlNS0_10empty_typeEEEZZNS1_27merge_sort_block_merge_implIS3_PlPS5_mZN2at6native12_GLOBAL__N_124unique_dim_cuda_templateIaEESt5tupleIJNSA_6TensorESF_SF_EERKSF_lbbbEUlllE_EE10hipError_tT0_T1_T2_jT3_P12ihipStream_tbPNSt15iterator_traitsISL_E10value_typeEPNSR_ISM_E10value_typeEPSN_NS1_7vsmem_tEENKUlT_SL_SM_SN_E_clIS8_S8_S9_S9_EESK_S10_SL_SM_SN_EUlS10_E0_NS1_11comp_targetILNS1_3genE10ELNS1_11target_archE1201ELNS1_3gpuE5ELNS1_3repE0EEENS1_38merge_mergepath_config_static_selectorELNS0_4arch9wavefront6targetE0EEEvSM_
                                        ; -- End function
	.set _ZN7rocprim17ROCPRIM_400000_NS6detail17trampoline_kernelINS0_14default_configENS1_38merge_sort_block_merge_config_selectorIlNS0_10empty_typeEEEZZNS1_27merge_sort_block_merge_implIS3_PlPS5_mZN2at6native12_GLOBAL__N_124unique_dim_cuda_templateIaEESt5tupleIJNSA_6TensorESF_SF_EERKSF_lbbbEUlllE_EE10hipError_tT0_T1_T2_jT3_P12ihipStream_tbPNSt15iterator_traitsISL_E10value_typeEPNSR_ISM_E10value_typeEPSN_NS1_7vsmem_tEENKUlT_SL_SM_SN_E_clIS8_S8_S9_S9_EESK_S10_SL_SM_SN_EUlS10_E0_NS1_11comp_targetILNS1_3genE10ELNS1_11target_archE1201ELNS1_3gpuE5ELNS1_3repE0EEENS1_38merge_mergepath_config_static_selectorELNS0_4arch9wavefront6targetE0EEEvSM_.num_vgpr, 0
	.set _ZN7rocprim17ROCPRIM_400000_NS6detail17trampoline_kernelINS0_14default_configENS1_38merge_sort_block_merge_config_selectorIlNS0_10empty_typeEEEZZNS1_27merge_sort_block_merge_implIS3_PlPS5_mZN2at6native12_GLOBAL__N_124unique_dim_cuda_templateIaEESt5tupleIJNSA_6TensorESF_SF_EERKSF_lbbbEUlllE_EE10hipError_tT0_T1_T2_jT3_P12ihipStream_tbPNSt15iterator_traitsISL_E10value_typeEPNSR_ISM_E10value_typeEPSN_NS1_7vsmem_tEENKUlT_SL_SM_SN_E_clIS8_S8_S9_S9_EESK_S10_SL_SM_SN_EUlS10_E0_NS1_11comp_targetILNS1_3genE10ELNS1_11target_archE1201ELNS1_3gpuE5ELNS1_3repE0EEENS1_38merge_mergepath_config_static_selectorELNS0_4arch9wavefront6targetE0EEEvSM_.num_agpr, 0
	.set _ZN7rocprim17ROCPRIM_400000_NS6detail17trampoline_kernelINS0_14default_configENS1_38merge_sort_block_merge_config_selectorIlNS0_10empty_typeEEEZZNS1_27merge_sort_block_merge_implIS3_PlPS5_mZN2at6native12_GLOBAL__N_124unique_dim_cuda_templateIaEESt5tupleIJNSA_6TensorESF_SF_EERKSF_lbbbEUlllE_EE10hipError_tT0_T1_T2_jT3_P12ihipStream_tbPNSt15iterator_traitsISL_E10value_typeEPNSR_ISM_E10value_typeEPSN_NS1_7vsmem_tEENKUlT_SL_SM_SN_E_clIS8_S8_S9_S9_EESK_S10_SL_SM_SN_EUlS10_E0_NS1_11comp_targetILNS1_3genE10ELNS1_11target_archE1201ELNS1_3gpuE5ELNS1_3repE0EEENS1_38merge_mergepath_config_static_selectorELNS0_4arch9wavefront6targetE0EEEvSM_.numbered_sgpr, 0
	.set _ZN7rocprim17ROCPRIM_400000_NS6detail17trampoline_kernelINS0_14default_configENS1_38merge_sort_block_merge_config_selectorIlNS0_10empty_typeEEEZZNS1_27merge_sort_block_merge_implIS3_PlPS5_mZN2at6native12_GLOBAL__N_124unique_dim_cuda_templateIaEESt5tupleIJNSA_6TensorESF_SF_EERKSF_lbbbEUlllE_EE10hipError_tT0_T1_T2_jT3_P12ihipStream_tbPNSt15iterator_traitsISL_E10value_typeEPNSR_ISM_E10value_typeEPSN_NS1_7vsmem_tEENKUlT_SL_SM_SN_E_clIS8_S8_S9_S9_EESK_S10_SL_SM_SN_EUlS10_E0_NS1_11comp_targetILNS1_3genE10ELNS1_11target_archE1201ELNS1_3gpuE5ELNS1_3repE0EEENS1_38merge_mergepath_config_static_selectorELNS0_4arch9wavefront6targetE0EEEvSM_.num_named_barrier, 0
	.set _ZN7rocprim17ROCPRIM_400000_NS6detail17trampoline_kernelINS0_14default_configENS1_38merge_sort_block_merge_config_selectorIlNS0_10empty_typeEEEZZNS1_27merge_sort_block_merge_implIS3_PlPS5_mZN2at6native12_GLOBAL__N_124unique_dim_cuda_templateIaEESt5tupleIJNSA_6TensorESF_SF_EERKSF_lbbbEUlllE_EE10hipError_tT0_T1_T2_jT3_P12ihipStream_tbPNSt15iterator_traitsISL_E10value_typeEPNSR_ISM_E10value_typeEPSN_NS1_7vsmem_tEENKUlT_SL_SM_SN_E_clIS8_S8_S9_S9_EESK_S10_SL_SM_SN_EUlS10_E0_NS1_11comp_targetILNS1_3genE10ELNS1_11target_archE1201ELNS1_3gpuE5ELNS1_3repE0EEENS1_38merge_mergepath_config_static_selectorELNS0_4arch9wavefront6targetE0EEEvSM_.private_seg_size, 0
	.set _ZN7rocprim17ROCPRIM_400000_NS6detail17trampoline_kernelINS0_14default_configENS1_38merge_sort_block_merge_config_selectorIlNS0_10empty_typeEEEZZNS1_27merge_sort_block_merge_implIS3_PlPS5_mZN2at6native12_GLOBAL__N_124unique_dim_cuda_templateIaEESt5tupleIJNSA_6TensorESF_SF_EERKSF_lbbbEUlllE_EE10hipError_tT0_T1_T2_jT3_P12ihipStream_tbPNSt15iterator_traitsISL_E10value_typeEPNSR_ISM_E10value_typeEPSN_NS1_7vsmem_tEENKUlT_SL_SM_SN_E_clIS8_S8_S9_S9_EESK_S10_SL_SM_SN_EUlS10_E0_NS1_11comp_targetILNS1_3genE10ELNS1_11target_archE1201ELNS1_3gpuE5ELNS1_3repE0EEENS1_38merge_mergepath_config_static_selectorELNS0_4arch9wavefront6targetE0EEEvSM_.uses_vcc, 0
	.set _ZN7rocprim17ROCPRIM_400000_NS6detail17trampoline_kernelINS0_14default_configENS1_38merge_sort_block_merge_config_selectorIlNS0_10empty_typeEEEZZNS1_27merge_sort_block_merge_implIS3_PlPS5_mZN2at6native12_GLOBAL__N_124unique_dim_cuda_templateIaEESt5tupleIJNSA_6TensorESF_SF_EERKSF_lbbbEUlllE_EE10hipError_tT0_T1_T2_jT3_P12ihipStream_tbPNSt15iterator_traitsISL_E10value_typeEPNSR_ISM_E10value_typeEPSN_NS1_7vsmem_tEENKUlT_SL_SM_SN_E_clIS8_S8_S9_S9_EESK_S10_SL_SM_SN_EUlS10_E0_NS1_11comp_targetILNS1_3genE10ELNS1_11target_archE1201ELNS1_3gpuE5ELNS1_3repE0EEENS1_38merge_mergepath_config_static_selectorELNS0_4arch9wavefront6targetE0EEEvSM_.uses_flat_scratch, 0
	.set _ZN7rocprim17ROCPRIM_400000_NS6detail17trampoline_kernelINS0_14default_configENS1_38merge_sort_block_merge_config_selectorIlNS0_10empty_typeEEEZZNS1_27merge_sort_block_merge_implIS3_PlPS5_mZN2at6native12_GLOBAL__N_124unique_dim_cuda_templateIaEESt5tupleIJNSA_6TensorESF_SF_EERKSF_lbbbEUlllE_EE10hipError_tT0_T1_T2_jT3_P12ihipStream_tbPNSt15iterator_traitsISL_E10value_typeEPNSR_ISM_E10value_typeEPSN_NS1_7vsmem_tEENKUlT_SL_SM_SN_E_clIS8_S8_S9_S9_EESK_S10_SL_SM_SN_EUlS10_E0_NS1_11comp_targetILNS1_3genE10ELNS1_11target_archE1201ELNS1_3gpuE5ELNS1_3repE0EEENS1_38merge_mergepath_config_static_selectorELNS0_4arch9wavefront6targetE0EEEvSM_.has_dyn_sized_stack, 0
	.set _ZN7rocprim17ROCPRIM_400000_NS6detail17trampoline_kernelINS0_14default_configENS1_38merge_sort_block_merge_config_selectorIlNS0_10empty_typeEEEZZNS1_27merge_sort_block_merge_implIS3_PlPS5_mZN2at6native12_GLOBAL__N_124unique_dim_cuda_templateIaEESt5tupleIJNSA_6TensorESF_SF_EERKSF_lbbbEUlllE_EE10hipError_tT0_T1_T2_jT3_P12ihipStream_tbPNSt15iterator_traitsISL_E10value_typeEPNSR_ISM_E10value_typeEPSN_NS1_7vsmem_tEENKUlT_SL_SM_SN_E_clIS8_S8_S9_S9_EESK_S10_SL_SM_SN_EUlS10_E0_NS1_11comp_targetILNS1_3genE10ELNS1_11target_archE1201ELNS1_3gpuE5ELNS1_3repE0EEENS1_38merge_mergepath_config_static_selectorELNS0_4arch9wavefront6targetE0EEEvSM_.has_recursion, 0
	.set _ZN7rocprim17ROCPRIM_400000_NS6detail17trampoline_kernelINS0_14default_configENS1_38merge_sort_block_merge_config_selectorIlNS0_10empty_typeEEEZZNS1_27merge_sort_block_merge_implIS3_PlPS5_mZN2at6native12_GLOBAL__N_124unique_dim_cuda_templateIaEESt5tupleIJNSA_6TensorESF_SF_EERKSF_lbbbEUlllE_EE10hipError_tT0_T1_T2_jT3_P12ihipStream_tbPNSt15iterator_traitsISL_E10value_typeEPNSR_ISM_E10value_typeEPSN_NS1_7vsmem_tEENKUlT_SL_SM_SN_E_clIS8_S8_S9_S9_EESK_S10_SL_SM_SN_EUlS10_E0_NS1_11comp_targetILNS1_3genE10ELNS1_11target_archE1201ELNS1_3gpuE5ELNS1_3repE0EEENS1_38merge_mergepath_config_static_selectorELNS0_4arch9wavefront6targetE0EEEvSM_.has_indirect_call, 0
	.section	.AMDGPU.csdata,"",@progbits
; Kernel info:
; codeLenInByte = 0
; TotalNumSgprs: 0
; NumVgprs: 0
; ScratchSize: 0
; MemoryBound: 0
; FloatMode: 240
; IeeeMode: 1
; LDSByteSize: 0 bytes/workgroup (compile time only)
; SGPRBlocks: 0
; VGPRBlocks: 0
; NumSGPRsForWavesPerEU: 1
; NumVGPRsForWavesPerEU: 1
; NamedBarCnt: 0
; Occupancy: 16
; WaveLimiterHint : 0
; COMPUTE_PGM_RSRC2:SCRATCH_EN: 0
; COMPUTE_PGM_RSRC2:USER_SGPR: 2
; COMPUTE_PGM_RSRC2:TRAP_HANDLER: 0
; COMPUTE_PGM_RSRC2:TGID_X_EN: 1
; COMPUTE_PGM_RSRC2:TGID_Y_EN: 0
; COMPUTE_PGM_RSRC2:TGID_Z_EN: 0
; COMPUTE_PGM_RSRC2:TIDIG_COMP_CNT: 0
	.section	.text._ZN7rocprim17ROCPRIM_400000_NS6detail17trampoline_kernelINS0_14default_configENS1_38merge_sort_block_merge_config_selectorIlNS0_10empty_typeEEEZZNS1_27merge_sort_block_merge_implIS3_PlPS5_mZN2at6native12_GLOBAL__N_124unique_dim_cuda_templateIaEESt5tupleIJNSA_6TensorESF_SF_EERKSF_lbbbEUlllE_EE10hipError_tT0_T1_T2_jT3_P12ihipStream_tbPNSt15iterator_traitsISL_E10value_typeEPNSR_ISM_E10value_typeEPSN_NS1_7vsmem_tEENKUlT_SL_SM_SN_E_clIS8_S8_S9_S9_EESK_S10_SL_SM_SN_EUlS10_E0_NS1_11comp_targetILNS1_3genE5ELNS1_11target_archE942ELNS1_3gpuE9ELNS1_3repE0EEENS1_38merge_mergepath_config_static_selectorELNS0_4arch9wavefront6targetE0EEEvSM_,"axG",@progbits,_ZN7rocprim17ROCPRIM_400000_NS6detail17trampoline_kernelINS0_14default_configENS1_38merge_sort_block_merge_config_selectorIlNS0_10empty_typeEEEZZNS1_27merge_sort_block_merge_implIS3_PlPS5_mZN2at6native12_GLOBAL__N_124unique_dim_cuda_templateIaEESt5tupleIJNSA_6TensorESF_SF_EERKSF_lbbbEUlllE_EE10hipError_tT0_T1_T2_jT3_P12ihipStream_tbPNSt15iterator_traitsISL_E10value_typeEPNSR_ISM_E10value_typeEPSN_NS1_7vsmem_tEENKUlT_SL_SM_SN_E_clIS8_S8_S9_S9_EESK_S10_SL_SM_SN_EUlS10_E0_NS1_11comp_targetILNS1_3genE5ELNS1_11target_archE942ELNS1_3gpuE9ELNS1_3repE0EEENS1_38merge_mergepath_config_static_selectorELNS0_4arch9wavefront6targetE0EEEvSM_,comdat
	.globl	_ZN7rocprim17ROCPRIM_400000_NS6detail17trampoline_kernelINS0_14default_configENS1_38merge_sort_block_merge_config_selectorIlNS0_10empty_typeEEEZZNS1_27merge_sort_block_merge_implIS3_PlPS5_mZN2at6native12_GLOBAL__N_124unique_dim_cuda_templateIaEESt5tupleIJNSA_6TensorESF_SF_EERKSF_lbbbEUlllE_EE10hipError_tT0_T1_T2_jT3_P12ihipStream_tbPNSt15iterator_traitsISL_E10value_typeEPNSR_ISM_E10value_typeEPSN_NS1_7vsmem_tEENKUlT_SL_SM_SN_E_clIS8_S8_S9_S9_EESK_S10_SL_SM_SN_EUlS10_E0_NS1_11comp_targetILNS1_3genE5ELNS1_11target_archE942ELNS1_3gpuE9ELNS1_3repE0EEENS1_38merge_mergepath_config_static_selectorELNS0_4arch9wavefront6targetE0EEEvSM_ ; -- Begin function _ZN7rocprim17ROCPRIM_400000_NS6detail17trampoline_kernelINS0_14default_configENS1_38merge_sort_block_merge_config_selectorIlNS0_10empty_typeEEEZZNS1_27merge_sort_block_merge_implIS3_PlPS5_mZN2at6native12_GLOBAL__N_124unique_dim_cuda_templateIaEESt5tupleIJNSA_6TensorESF_SF_EERKSF_lbbbEUlllE_EE10hipError_tT0_T1_T2_jT3_P12ihipStream_tbPNSt15iterator_traitsISL_E10value_typeEPNSR_ISM_E10value_typeEPSN_NS1_7vsmem_tEENKUlT_SL_SM_SN_E_clIS8_S8_S9_S9_EESK_S10_SL_SM_SN_EUlS10_E0_NS1_11comp_targetILNS1_3genE5ELNS1_11target_archE942ELNS1_3gpuE9ELNS1_3repE0EEENS1_38merge_mergepath_config_static_selectorELNS0_4arch9wavefront6targetE0EEEvSM_
	.p2align	8
	.type	_ZN7rocprim17ROCPRIM_400000_NS6detail17trampoline_kernelINS0_14default_configENS1_38merge_sort_block_merge_config_selectorIlNS0_10empty_typeEEEZZNS1_27merge_sort_block_merge_implIS3_PlPS5_mZN2at6native12_GLOBAL__N_124unique_dim_cuda_templateIaEESt5tupleIJNSA_6TensorESF_SF_EERKSF_lbbbEUlllE_EE10hipError_tT0_T1_T2_jT3_P12ihipStream_tbPNSt15iterator_traitsISL_E10value_typeEPNSR_ISM_E10value_typeEPSN_NS1_7vsmem_tEENKUlT_SL_SM_SN_E_clIS8_S8_S9_S9_EESK_S10_SL_SM_SN_EUlS10_E0_NS1_11comp_targetILNS1_3genE5ELNS1_11target_archE942ELNS1_3gpuE9ELNS1_3repE0EEENS1_38merge_mergepath_config_static_selectorELNS0_4arch9wavefront6targetE0EEEvSM_,@function
_ZN7rocprim17ROCPRIM_400000_NS6detail17trampoline_kernelINS0_14default_configENS1_38merge_sort_block_merge_config_selectorIlNS0_10empty_typeEEEZZNS1_27merge_sort_block_merge_implIS3_PlPS5_mZN2at6native12_GLOBAL__N_124unique_dim_cuda_templateIaEESt5tupleIJNSA_6TensorESF_SF_EERKSF_lbbbEUlllE_EE10hipError_tT0_T1_T2_jT3_P12ihipStream_tbPNSt15iterator_traitsISL_E10value_typeEPNSR_ISM_E10value_typeEPSN_NS1_7vsmem_tEENKUlT_SL_SM_SN_E_clIS8_S8_S9_S9_EESK_S10_SL_SM_SN_EUlS10_E0_NS1_11comp_targetILNS1_3genE5ELNS1_11target_archE942ELNS1_3gpuE9ELNS1_3repE0EEENS1_38merge_mergepath_config_static_selectorELNS0_4arch9wavefront6targetE0EEEvSM_: ; @_ZN7rocprim17ROCPRIM_400000_NS6detail17trampoline_kernelINS0_14default_configENS1_38merge_sort_block_merge_config_selectorIlNS0_10empty_typeEEEZZNS1_27merge_sort_block_merge_implIS3_PlPS5_mZN2at6native12_GLOBAL__N_124unique_dim_cuda_templateIaEESt5tupleIJNSA_6TensorESF_SF_EERKSF_lbbbEUlllE_EE10hipError_tT0_T1_T2_jT3_P12ihipStream_tbPNSt15iterator_traitsISL_E10value_typeEPNSR_ISM_E10value_typeEPSN_NS1_7vsmem_tEENKUlT_SL_SM_SN_E_clIS8_S8_S9_S9_EESK_S10_SL_SM_SN_EUlS10_E0_NS1_11comp_targetILNS1_3genE5ELNS1_11target_archE942ELNS1_3gpuE9ELNS1_3repE0EEENS1_38merge_mergepath_config_static_selectorELNS0_4arch9wavefront6targetE0EEEvSM_
; %bb.0:
	.section	.rodata,"a",@progbits
	.p2align	6, 0x0
	.amdhsa_kernel _ZN7rocprim17ROCPRIM_400000_NS6detail17trampoline_kernelINS0_14default_configENS1_38merge_sort_block_merge_config_selectorIlNS0_10empty_typeEEEZZNS1_27merge_sort_block_merge_implIS3_PlPS5_mZN2at6native12_GLOBAL__N_124unique_dim_cuda_templateIaEESt5tupleIJNSA_6TensorESF_SF_EERKSF_lbbbEUlllE_EE10hipError_tT0_T1_T2_jT3_P12ihipStream_tbPNSt15iterator_traitsISL_E10value_typeEPNSR_ISM_E10value_typeEPSN_NS1_7vsmem_tEENKUlT_SL_SM_SN_E_clIS8_S8_S9_S9_EESK_S10_SL_SM_SN_EUlS10_E0_NS1_11comp_targetILNS1_3genE5ELNS1_11target_archE942ELNS1_3gpuE9ELNS1_3repE0EEENS1_38merge_mergepath_config_static_selectorELNS0_4arch9wavefront6targetE0EEEvSM_
		.amdhsa_group_segment_fixed_size 0
		.amdhsa_private_segment_fixed_size 0
		.amdhsa_kernarg_size 88
		.amdhsa_user_sgpr_count 2
		.amdhsa_user_sgpr_dispatch_ptr 0
		.amdhsa_user_sgpr_queue_ptr 0
		.amdhsa_user_sgpr_kernarg_segment_ptr 1
		.amdhsa_user_sgpr_dispatch_id 0
		.amdhsa_user_sgpr_kernarg_preload_length 0
		.amdhsa_user_sgpr_kernarg_preload_offset 0
		.amdhsa_user_sgpr_private_segment_size 0
		.amdhsa_wavefront_size32 1
		.amdhsa_uses_dynamic_stack 0
		.amdhsa_enable_private_segment 0
		.amdhsa_system_sgpr_workgroup_id_x 1
		.amdhsa_system_sgpr_workgroup_id_y 0
		.amdhsa_system_sgpr_workgroup_id_z 0
		.amdhsa_system_sgpr_workgroup_info 0
		.amdhsa_system_vgpr_workitem_id 0
		.amdhsa_next_free_vgpr 1
		.amdhsa_next_free_sgpr 1
		.amdhsa_named_barrier_count 0
		.amdhsa_reserve_vcc 0
		.amdhsa_float_round_mode_32 0
		.amdhsa_float_round_mode_16_64 0
		.amdhsa_float_denorm_mode_32 3
		.amdhsa_float_denorm_mode_16_64 3
		.amdhsa_fp16_overflow 0
		.amdhsa_memory_ordered 1
		.amdhsa_forward_progress 1
		.amdhsa_inst_pref_size 0
		.amdhsa_round_robin_scheduling 0
		.amdhsa_exception_fp_ieee_invalid_op 0
		.amdhsa_exception_fp_denorm_src 0
		.amdhsa_exception_fp_ieee_div_zero 0
		.amdhsa_exception_fp_ieee_overflow 0
		.amdhsa_exception_fp_ieee_underflow 0
		.amdhsa_exception_fp_ieee_inexact 0
		.amdhsa_exception_int_div_zero 0
	.end_amdhsa_kernel
	.section	.text._ZN7rocprim17ROCPRIM_400000_NS6detail17trampoline_kernelINS0_14default_configENS1_38merge_sort_block_merge_config_selectorIlNS0_10empty_typeEEEZZNS1_27merge_sort_block_merge_implIS3_PlPS5_mZN2at6native12_GLOBAL__N_124unique_dim_cuda_templateIaEESt5tupleIJNSA_6TensorESF_SF_EERKSF_lbbbEUlllE_EE10hipError_tT0_T1_T2_jT3_P12ihipStream_tbPNSt15iterator_traitsISL_E10value_typeEPNSR_ISM_E10value_typeEPSN_NS1_7vsmem_tEENKUlT_SL_SM_SN_E_clIS8_S8_S9_S9_EESK_S10_SL_SM_SN_EUlS10_E0_NS1_11comp_targetILNS1_3genE5ELNS1_11target_archE942ELNS1_3gpuE9ELNS1_3repE0EEENS1_38merge_mergepath_config_static_selectorELNS0_4arch9wavefront6targetE0EEEvSM_,"axG",@progbits,_ZN7rocprim17ROCPRIM_400000_NS6detail17trampoline_kernelINS0_14default_configENS1_38merge_sort_block_merge_config_selectorIlNS0_10empty_typeEEEZZNS1_27merge_sort_block_merge_implIS3_PlPS5_mZN2at6native12_GLOBAL__N_124unique_dim_cuda_templateIaEESt5tupleIJNSA_6TensorESF_SF_EERKSF_lbbbEUlllE_EE10hipError_tT0_T1_T2_jT3_P12ihipStream_tbPNSt15iterator_traitsISL_E10value_typeEPNSR_ISM_E10value_typeEPSN_NS1_7vsmem_tEENKUlT_SL_SM_SN_E_clIS8_S8_S9_S9_EESK_S10_SL_SM_SN_EUlS10_E0_NS1_11comp_targetILNS1_3genE5ELNS1_11target_archE942ELNS1_3gpuE9ELNS1_3repE0EEENS1_38merge_mergepath_config_static_selectorELNS0_4arch9wavefront6targetE0EEEvSM_,comdat
.Lfunc_end280:
	.size	_ZN7rocprim17ROCPRIM_400000_NS6detail17trampoline_kernelINS0_14default_configENS1_38merge_sort_block_merge_config_selectorIlNS0_10empty_typeEEEZZNS1_27merge_sort_block_merge_implIS3_PlPS5_mZN2at6native12_GLOBAL__N_124unique_dim_cuda_templateIaEESt5tupleIJNSA_6TensorESF_SF_EERKSF_lbbbEUlllE_EE10hipError_tT0_T1_T2_jT3_P12ihipStream_tbPNSt15iterator_traitsISL_E10value_typeEPNSR_ISM_E10value_typeEPSN_NS1_7vsmem_tEENKUlT_SL_SM_SN_E_clIS8_S8_S9_S9_EESK_S10_SL_SM_SN_EUlS10_E0_NS1_11comp_targetILNS1_3genE5ELNS1_11target_archE942ELNS1_3gpuE9ELNS1_3repE0EEENS1_38merge_mergepath_config_static_selectorELNS0_4arch9wavefront6targetE0EEEvSM_, .Lfunc_end280-_ZN7rocprim17ROCPRIM_400000_NS6detail17trampoline_kernelINS0_14default_configENS1_38merge_sort_block_merge_config_selectorIlNS0_10empty_typeEEEZZNS1_27merge_sort_block_merge_implIS3_PlPS5_mZN2at6native12_GLOBAL__N_124unique_dim_cuda_templateIaEESt5tupleIJNSA_6TensorESF_SF_EERKSF_lbbbEUlllE_EE10hipError_tT0_T1_T2_jT3_P12ihipStream_tbPNSt15iterator_traitsISL_E10value_typeEPNSR_ISM_E10value_typeEPSN_NS1_7vsmem_tEENKUlT_SL_SM_SN_E_clIS8_S8_S9_S9_EESK_S10_SL_SM_SN_EUlS10_E0_NS1_11comp_targetILNS1_3genE5ELNS1_11target_archE942ELNS1_3gpuE9ELNS1_3repE0EEENS1_38merge_mergepath_config_static_selectorELNS0_4arch9wavefront6targetE0EEEvSM_
                                        ; -- End function
	.set _ZN7rocprim17ROCPRIM_400000_NS6detail17trampoline_kernelINS0_14default_configENS1_38merge_sort_block_merge_config_selectorIlNS0_10empty_typeEEEZZNS1_27merge_sort_block_merge_implIS3_PlPS5_mZN2at6native12_GLOBAL__N_124unique_dim_cuda_templateIaEESt5tupleIJNSA_6TensorESF_SF_EERKSF_lbbbEUlllE_EE10hipError_tT0_T1_T2_jT3_P12ihipStream_tbPNSt15iterator_traitsISL_E10value_typeEPNSR_ISM_E10value_typeEPSN_NS1_7vsmem_tEENKUlT_SL_SM_SN_E_clIS8_S8_S9_S9_EESK_S10_SL_SM_SN_EUlS10_E0_NS1_11comp_targetILNS1_3genE5ELNS1_11target_archE942ELNS1_3gpuE9ELNS1_3repE0EEENS1_38merge_mergepath_config_static_selectorELNS0_4arch9wavefront6targetE0EEEvSM_.num_vgpr, 0
	.set _ZN7rocprim17ROCPRIM_400000_NS6detail17trampoline_kernelINS0_14default_configENS1_38merge_sort_block_merge_config_selectorIlNS0_10empty_typeEEEZZNS1_27merge_sort_block_merge_implIS3_PlPS5_mZN2at6native12_GLOBAL__N_124unique_dim_cuda_templateIaEESt5tupleIJNSA_6TensorESF_SF_EERKSF_lbbbEUlllE_EE10hipError_tT0_T1_T2_jT3_P12ihipStream_tbPNSt15iterator_traitsISL_E10value_typeEPNSR_ISM_E10value_typeEPSN_NS1_7vsmem_tEENKUlT_SL_SM_SN_E_clIS8_S8_S9_S9_EESK_S10_SL_SM_SN_EUlS10_E0_NS1_11comp_targetILNS1_3genE5ELNS1_11target_archE942ELNS1_3gpuE9ELNS1_3repE0EEENS1_38merge_mergepath_config_static_selectorELNS0_4arch9wavefront6targetE0EEEvSM_.num_agpr, 0
	.set _ZN7rocprim17ROCPRIM_400000_NS6detail17trampoline_kernelINS0_14default_configENS1_38merge_sort_block_merge_config_selectorIlNS0_10empty_typeEEEZZNS1_27merge_sort_block_merge_implIS3_PlPS5_mZN2at6native12_GLOBAL__N_124unique_dim_cuda_templateIaEESt5tupleIJNSA_6TensorESF_SF_EERKSF_lbbbEUlllE_EE10hipError_tT0_T1_T2_jT3_P12ihipStream_tbPNSt15iterator_traitsISL_E10value_typeEPNSR_ISM_E10value_typeEPSN_NS1_7vsmem_tEENKUlT_SL_SM_SN_E_clIS8_S8_S9_S9_EESK_S10_SL_SM_SN_EUlS10_E0_NS1_11comp_targetILNS1_3genE5ELNS1_11target_archE942ELNS1_3gpuE9ELNS1_3repE0EEENS1_38merge_mergepath_config_static_selectorELNS0_4arch9wavefront6targetE0EEEvSM_.numbered_sgpr, 0
	.set _ZN7rocprim17ROCPRIM_400000_NS6detail17trampoline_kernelINS0_14default_configENS1_38merge_sort_block_merge_config_selectorIlNS0_10empty_typeEEEZZNS1_27merge_sort_block_merge_implIS3_PlPS5_mZN2at6native12_GLOBAL__N_124unique_dim_cuda_templateIaEESt5tupleIJNSA_6TensorESF_SF_EERKSF_lbbbEUlllE_EE10hipError_tT0_T1_T2_jT3_P12ihipStream_tbPNSt15iterator_traitsISL_E10value_typeEPNSR_ISM_E10value_typeEPSN_NS1_7vsmem_tEENKUlT_SL_SM_SN_E_clIS8_S8_S9_S9_EESK_S10_SL_SM_SN_EUlS10_E0_NS1_11comp_targetILNS1_3genE5ELNS1_11target_archE942ELNS1_3gpuE9ELNS1_3repE0EEENS1_38merge_mergepath_config_static_selectorELNS0_4arch9wavefront6targetE0EEEvSM_.num_named_barrier, 0
	.set _ZN7rocprim17ROCPRIM_400000_NS6detail17trampoline_kernelINS0_14default_configENS1_38merge_sort_block_merge_config_selectorIlNS0_10empty_typeEEEZZNS1_27merge_sort_block_merge_implIS3_PlPS5_mZN2at6native12_GLOBAL__N_124unique_dim_cuda_templateIaEESt5tupleIJNSA_6TensorESF_SF_EERKSF_lbbbEUlllE_EE10hipError_tT0_T1_T2_jT3_P12ihipStream_tbPNSt15iterator_traitsISL_E10value_typeEPNSR_ISM_E10value_typeEPSN_NS1_7vsmem_tEENKUlT_SL_SM_SN_E_clIS8_S8_S9_S9_EESK_S10_SL_SM_SN_EUlS10_E0_NS1_11comp_targetILNS1_3genE5ELNS1_11target_archE942ELNS1_3gpuE9ELNS1_3repE0EEENS1_38merge_mergepath_config_static_selectorELNS0_4arch9wavefront6targetE0EEEvSM_.private_seg_size, 0
	.set _ZN7rocprim17ROCPRIM_400000_NS6detail17trampoline_kernelINS0_14default_configENS1_38merge_sort_block_merge_config_selectorIlNS0_10empty_typeEEEZZNS1_27merge_sort_block_merge_implIS3_PlPS5_mZN2at6native12_GLOBAL__N_124unique_dim_cuda_templateIaEESt5tupleIJNSA_6TensorESF_SF_EERKSF_lbbbEUlllE_EE10hipError_tT0_T1_T2_jT3_P12ihipStream_tbPNSt15iterator_traitsISL_E10value_typeEPNSR_ISM_E10value_typeEPSN_NS1_7vsmem_tEENKUlT_SL_SM_SN_E_clIS8_S8_S9_S9_EESK_S10_SL_SM_SN_EUlS10_E0_NS1_11comp_targetILNS1_3genE5ELNS1_11target_archE942ELNS1_3gpuE9ELNS1_3repE0EEENS1_38merge_mergepath_config_static_selectorELNS0_4arch9wavefront6targetE0EEEvSM_.uses_vcc, 0
	.set _ZN7rocprim17ROCPRIM_400000_NS6detail17trampoline_kernelINS0_14default_configENS1_38merge_sort_block_merge_config_selectorIlNS0_10empty_typeEEEZZNS1_27merge_sort_block_merge_implIS3_PlPS5_mZN2at6native12_GLOBAL__N_124unique_dim_cuda_templateIaEESt5tupleIJNSA_6TensorESF_SF_EERKSF_lbbbEUlllE_EE10hipError_tT0_T1_T2_jT3_P12ihipStream_tbPNSt15iterator_traitsISL_E10value_typeEPNSR_ISM_E10value_typeEPSN_NS1_7vsmem_tEENKUlT_SL_SM_SN_E_clIS8_S8_S9_S9_EESK_S10_SL_SM_SN_EUlS10_E0_NS1_11comp_targetILNS1_3genE5ELNS1_11target_archE942ELNS1_3gpuE9ELNS1_3repE0EEENS1_38merge_mergepath_config_static_selectorELNS0_4arch9wavefront6targetE0EEEvSM_.uses_flat_scratch, 0
	.set _ZN7rocprim17ROCPRIM_400000_NS6detail17trampoline_kernelINS0_14default_configENS1_38merge_sort_block_merge_config_selectorIlNS0_10empty_typeEEEZZNS1_27merge_sort_block_merge_implIS3_PlPS5_mZN2at6native12_GLOBAL__N_124unique_dim_cuda_templateIaEESt5tupleIJNSA_6TensorESF_SF_EERKSF_lbbbEUlllE_EE10hipError_tT0_T1_T2_jT3_P12ihipStream_tbPNSt15iterator_traitsISL_E10value_typeEPNSR_ISM_E10value_typeEPSN_NS1_7vsmem_tEENKUlT_SL_SM_SN_E_clIS8_S8_S9_S9_EESK_S10_SL_SM_SN_EUlS10_E0_NS1_11comp_targetILNS1_3genE5ELNS1_11target_archE942ELNS1_3gpuE9ELNS1_3repE0EEENS1_38merge_mergepath_config_static_selectorELNS0_4arch9wavefront6targetE0EEEvSM_.has_dyn_sized_stack, 0
	.set _ZN7rocprim17ROCPRIM_400000_NS6detail17trampoline_kernelINS0_14default_configENS1_38merge_sort_block_merge_config_selectorIlNS0_10empty_typeEEEZZNS1_27merge_sort_block_merge_implIS3_PlPS5_mZN2at6native12_GLOBAL__N_124unique_dim_cuda_templateIaEESt5tupleIJNSA_6TensorESF_SF_EERKSF_lbbbEUlllE_EE10hipError_tT0_T1_T2_jT3_P12ihipStream_tbPNSt15iterator_traitsISL_E10value_typeEPNSR_ISM_E10value_typeEPSN_NS1_7vsmem_tEENKUlT_SL_SM_SN_E_clIS8_S8_S9_S9_EESK_S10_SL_SM_SN_EUlS10_E0_NS1_11comp_targetILNS1_3genE5ELNS1_11target_archE942ELNS1_3gpuE9ELNS1_3repE0EEENS1_38merge_mergepath_config_static_selectorELNS0_4arch9wavefront6targetE0EEEvSM_.has_recursion, 0
	.set _ZN7rocprim17ROCPRIM_400000_NS6detail17trampoline_kernelINS0_14default_configENS1_38merge_sort_block_merge_config_selectorIlNS0_10empty_typeEEEZZNS1_27merge_sort_block_merge_implIS3_PlPS5_mZN2at6native12_GLOBAL__N_124unique_dim_cuda_templateIaEESt5tupleIJNSA_6TensorESF_SF_EERKSF_lbbbEUlllE_EE10hipError_tT0_T1_T2_jT3_P12ihipStream_tbPNSt15iterator_traitsISL_E10value_typeEPNSR_ISM_E10value_typeEPSN_NS1_7vsmem_tEENKUlT_SL_SM_SN_E_clIS8_S8_S9_S9_EESK_S10_SL_SM_SN_EUlS10_E0_NS1_11comp_targetILNS1_3genE5ELNS1_11target_archE942ELNS1_3gpuE9ELNS1_3repE0EEENS1_38merge_mergepath_config_static_selectorELNS0_4arch9wavefront6targetE0EEEvSM_.has_indirect_call, 0
	.section	.AMDGPU.csdata,"",@progbits
; Kernel info:
; codeLenInByte = 0
; TotalNumSgprs: 0
; NumVgprs: 0
; ScratchSize: 0
; MemoryBound: 0
; FloatMode: 240
; IeeeMode: 1
; LDSByteSize: 0 bytes/workgroup (compile time only)
; SGPRBlocks: 0
; VGPRBlocks: 0
; NumSGPRsForWavesPerEU: 1
; NumVGPRsForWavesPerEU: 1
; NamedBarCnt: 0
; Occupancy: 16
; WaveLimiterHint : 0
; COMPUTE_PGM_RSRC2:SCRATCH_EN: 0
; COMPUTE_PGM_RSRC2:USER_SGPR: 2
; COMPUTE_PGM_RSRC2:TRAP_HANDLER: 0
; COMPUTE_PGM_RSRC2:TGID_X_EN: 1
; COMPUTE_PGM_RSRC2:TGID_Y_EN: 0
; COMPUTE_PGM_RSRC2:TGID_Z_EN: 0
; COMPUTE_PGM_RSRC2:TIDIG_COMP_CNT: 0
	.section	.text._ZN7rocprim17ROCPRIM_400000_NS6detail17trampoline_kernelINS0_14default_configENS1_38merge_sort_block_merge_config_selectorIlNS0_10empty_typeEEEZZNS1_27merge_sort_block_merge_implIS3_PlPS5_mZN2at6native12_GLOBAL__N_124unique_dim_cuda_templateIaEESt5tupleIJNSA_6TensorESF_SF_EERKSF_lbbbEUlllE_EE10hipError_tT0_T1_T2_jT3_P12ihipStream_tbPNSt15iterator_traitsISL_E10value_typeEPNSR_ISM_E10value_typeEPSN_NS1_7vsmem_tEENKUlT_SL_SM_SN_E_clIS8_S8_S9_S9_EESK_S10_SL_SM_SN_EUlS10_E0_NS1_11comp_targetILNS1_3genE4ELNS1_11target_archE910ELNS1_3gpuE8ELNS1_3repE0EEENS1_38merge_mergepath_config_static_selectorELNS0_4arch9wavefront6targetE0EEEvSM_,"axG",@progbits,_ZN7rocprim17ROCPRIM_400000_NS6detail17trampoline_kernelINS0_14default_configENS1_38merge_sort_block_merge_config_selectorIlNS0_10empty_typeEEEZZNS1_27merge_sort_block_merge_implIS3_PlPS5_mZN2at6native12_GLOBAL__N_124unique_dim_cuda_templateIaEESt5tupleIJNSA_6TensorESF_SF_EERKSF_lbbbEUlllE_EE10hipError_tT0_T1_T2_jT3_P12ihipStream_tbPNSt15iterator_traitsISL_E10value_typeEPNSR_ISM_E10value_typeEPSN_NS1_7vsmem_tEENKUlT_SL_SM_SN_E_clIS8_S8_S9_S9_EESK_S10_SL_SM_SN_EUlS10_E0_NS1_11comp_targetILNS1_3genE4ELNS1_11target_archE910ELNS1_3gpuE8ELNS1_3repE0EEENS1_38merge_mergepath_config_static_selectorELNS0_4arch9wavefront6targetE0EEEvSM_,comdat
	.globl	_ZN7rocprim17ROCPRIM_400000_NS6detail17trampoline_kernelINS0_14default_configENS1_38merge_sort_block_merge_config_selectorIlNS0_10empty_typeEEEZZNS1_27merge_sort_block_merge_implIS3_PlPS5_mZN2at6native12_GLOBAL__N_124unique_dim_cuda_templateIaEESt5tupleIJNSA_6TensorESF_SF_EERKSF_lbbbEUlllE_EE10hipError_tT0_T1_T2_jT3_P12ihipStream_tbPNSt15iterator_traitsISL_E10value_typeEPNSR_ISM_E10value_typeEPSN_NS1_7vsmem_tEENKUlT_SL_SM_SN_E_clIS8_S8_S9_S9_EESK_S10_SL_SM_SN_EUlS10_E0_NS1_11comp_targetILNS1_3genE4ELNS1_11target_archE910ELNS1_3gpuE8ELNS1_3repE0EEENS1_38merge_mergepath_config_static_selectorELNS0_4arch9wavefront6targetE0EEEvSM_ ; -- Begin function _ZN7rocprim17ROCPRIM_400000_NS6detail17trampoline_kernelINS0_14default_configENS1_38merge_sort_block_merge_config_selectorIlNS0_10empty_typeEEEZZNS1_27merge_sort_block_merge_implIS3_PlPS5_mZN2at6native12_GLOBAL__N_124unique_dim_cuda_templateIaEESt5tupleIJNSA_6TensorESF_SF_EERKSF_lbbbEUlllE_EE10hipError_tT0_T1_T2_jT3_P12ihipStream_tbPNSt15iterator_traitsISL_E10value_typeEPNSR_ISM_E10value_typeEPSN_NS1_7vsmem_tEENKUlT_SL_SM_SN_E_clIS8_S8_S9_S9_EESK_S10_SL_SM_SN_EUlS10_E0_NS1_11comp_targetILNS1_3genE4ELNS1_11target_archE910ELNS1_3gpuE8ELNS1_3repE0EEENS1_38merge_mergepath_config_static_selectorELNS0_4arch9wavefront6targetE0EEEvSM_
	.p2align	8
	.type	_ZN7rocprim17ROCPRIM_400000_NS6detail17trampoline_kernelINS0_14default_configENS1_38merge_sort_block_merge_config_selectorIlNS0_10empty_typeEEEZZNS1_27merge_sort_block_merge_implIS3_PlPS5_mZN2at6native12_GLOBAL__N_124unique_dim_cuda_templateIaEESt5tupleIJNSA_6TensorESF_SF_EERKSF_lbbbEUlllE_EE10hipError_tT0_T1_T2_jT3_P12ihipStream_tbPNSt15iterator_traitsISL_E10value_typeEPNSR_ISM_E10value_typeEPSN_NS1_7vsmem_tEENKUlT_SL_SM_SN_E_clIS8_S8_S9_S9_EESK_S10_SL_SM_SN_EUlS10_E0_NS1_11comp_targetILNS1_3genE4ELNS1_11target_archE910ELNS1_3gpuE8ELNS1_3repE0EEENS1_38merge_mergepath_config_static_selectorELNS0_4arch9wavefront6targetE0EEEvSM_,@function
_ZN7rocprim17ROCPRIM_400000_NS6detail17trampoline_kernelINS0_14default_configENS1_38merge_sort_block_merge_config_selectorIlNS0_10empty_typeEEEZZNS1_27merge_sort_block_merge_implIS3_PlPS5_mZN2at6native12_GLOBAL__N_124unique_dim_cuda_templateIaEESt5tupleIJNSA_6TensorESF_SF_EERKSF_lbbbEUlllE_EE10hipError_tT0_T1_T2_jT3_P12ihipStream_tbPNSt15iterator_traitsISL_E10value_typeEPNSR_ISM_E10value_typeEPSN_NS1_7vsmem_tEENKUlT_SL_SM_SN_E_clIS8_S8_S9_S9_EESK_S10_SL_SM_SN_EUlS10_E0_NS1_11comp_targetILNS1_3genE4ELNS1_11target_archE910ELNS1_3gpuE8ELNS1_3repE0EEENS1_38merge_mergepath_config_static_selectorELNS0_4arch9wavefront6targetE0EEEvSM_: ; @_ZN7rocprim17ROCPRIM_400000_NS6detail17trampoline_kernelINS0_14default_configENS1_38merge_sort_block_merge_config_selectorIlNS0_10empty_typeEEEZZNS1_27merge_sort_block_merge_implIS3_PlPS5_mZN2at6native12_GLOBAL__N_124unique_dim_cuda_templateIaEESt5tupleIJNSA_6TensorESF_SF_EERKSF_lbbbEUlllE_EE10hipError_tT0_T1_T2_jT3_P12ihipStream_tbPNSt15iterator_traitsISL_E10value_typeEPNSR_ISM_E10value_typeEPSN_NS1_7vsmem_tEENKUlT_SL_SM_SN_E_clIS8_S8_S9_S9_EESK_S10_SL_SM_SN_EUlS10_E0_NS1_11comp_targetILNS1_3genE4ELNS1_11target_archE910ELNS1_3gpuE8ELNS1_3repE0EEENS1_38merge_mergepath_config_static_selectorELNS0_4arch9wavefront6targetE0EEEvSM_
; %bb.0:
	.section	.rodata,"a",@progbits
	.p2align	6, 0x0
	.amdhsa_kernel _ZN7rocprim17ROCPRIM_400000_NS6detail17trampoline_kernelINS0_14default_configENS1_38merge_sort_block_merge_config_selectorIlNS0_10empty_typeEEEZZNS1_27merge_sort_block_merge_implIS3_PlPS5_mZN2at6native12_GLOBAL__N_124unique_dim_cuda_templateIaEESt5tupleIJNSA_6TensorESF_SF_EERKSF_lbbbEUlllE_EE10hipError_tT0_T1_T2_jT3_P12ihipStream_tbPNSt15iterator_traitsISL_E10value_typeEPNSR_ISM_E10value_typeEPSN_NS1_7vsmem_tEENKUlT_SL_SM_SN_E_clIS8_S8_S9_S9_EESK_S10_SL_SM_SN_EUlS10_E0_NS1_11comp_targetILNS1_3genE4ELNS1_11target_archE910ELNS1_3gpuE8ELNS1_3repE0EEENS1_38merge_mergepath_config_static_selectorELNS0_4arch9wavefront6targetE0EEEvSM_
		.amdhsa_group_segment_fixed_size 0
		.amdhsa_private_segment_fixed_size 0
		.amdhsa_kernarg_size 88
		.amdhsa_user_sgpr_count 2
		.amdhsa_user_sgpr_dispatch_ptr 0
		.amdhsa_user_sgpr_queue_ptr 0
		.amdhsa_user_sgpr_kernarg_segment_ptr 1
		.amdhsa_user_sgpr_dispatch_id 0
		.amdhsa_user_sgpr_kernarg_preload_length 0
		.amdhsa_user_sgpr_kernarg_preload_offset 0
		.amdhsa_user_sgpr_private_segment_size 0
		.amdhsa_wavefront_size32 1
		.amdhsa_uses_dynamic_stack 0
		.amdhsa_enable_private_segment 0
		.amdhsa_system_sgpr_workgroup_id_x 1
		.amdhsa_system_sgpr_workgroup_id_y 0
		.amdhsa_system_sgpr_workgroup_id_z 0
		.amdhsa_system_sgpr_workgroup_info 0
		.amdhsa_system_vgpr_workitem_id 0
		.amdhsa_next_free_vgpr 1
		.amdhsa_next_free_sgpr 1
		.amdhsa_named_barrier_count 0
		.amdhsa_reserve_vcc 0
		.amdhsa_float_round_mode_32 0
		.amdhsa_float_round_mode_16_64 0
		.amdhsa_float_denorm_mode_32 3
		.amdhsa_float_denorm_mode_16_64 3
		.amdhsa_fp16_overflow 0
		.amdhsa_memory_ordered 1
		.amdhsa_forward_progress 1
		.amdhsa_inst_pref_size 0
		.amdhsa_round_robin_scheduling 0
		.amdhsa_exception_fp_ieee_invalid_op 0
		.amdhsa_exception_fp_denorm_src 0
		.amdhsa_exception_fp_ieee_div_zero 0
		.amdhsa_exception_fp_ieee_overflow 0
		.amdhsa_exception_fp_ieee_underflow 0
		.amdhsa_exception_fp_ieee_inexact 0
		.amdhsa_exception_int_div_zero 0
	.end_amdhsa_kernel
	.section	.text._ZN7rocprim17ROCPRIM_400000_NS6detail17trampoline_kernelINS0_14default_configENS1_38merge_sort_block_merge_config_selectorIlNS0_10empty_typeEEEZZNS1_27merge_sort_block_merge_implIS3_PlPS5_mZN2at6native12_GLOBAL__N_124unique_dim_cuda_templateIaEESt5tupleIJNSA_6TensorESF_SF_EERKSF_lbbbEUlllE_EE10hipError_tT0_T1_T2_jT3_P12ihipStream_tbPNSt15iterator_traitsISL_E10value_typeEPNSR_ISM_E10value_typeEPSN_NS1_7vsmem_tEENKUlT_SL_SM_SN_E_clIS8_S8_S9_S9_EESK_S10_SL_SM_SN_EUlS10_E0_NS1_11comp_targetILNS1_3genE4ELNS1_11target_archE910ELNS1_3gpuE8ELNS1_3repE0EEENS1_38merge_mergepath_config_static_selectorELNS0_4arch9wavefront6targetE0EEEvSM_,"axG",@progbits,_ZN7rocprim17ROCPRIM_400000_NS6detail17trampoline_kernelINS0_14default_configENS1_38merge_sort_block_merge_config_selectorIlNS0_10empty_typeEEEZZNS1_27merge_sort_block_merge_implIS3_PlPS5_mZN2at6native12_GLOBAL__N_124unique_dim_cuda_templateIaEESt5tupleIJNSA_6TensorESF_SF_EERKSF_lbbbEUlllE_EE10hipError_tT0_T1_T2_jT3_P12ihipStream_tbPNSt15iterator_traitsISL_E10value_typeEPNSR_ISM_E10value_typeEPSN_NS1_7vsmem_tEENKUlT_SL_SM_SN_E_clIS8_S8_S9_S9_EESK_S10_SL_SM_SN_EUlS10_E0_NS1_11comp_targetILNS1_3genE4ELNS1_11target_archE910ELNS1_3gpuE8ELNS1_3repE0EEENS1_38merge_mergepath_config_static_selectorELNS0_4arch9wavefront6targetE0EEEvSM_,comdat
.Lfunc_end281:
	.size	_ZN7rocprim17ROCPRIM_400000_NS6detail17trampoline_kernelINS0_14default_configENS1_38merge_sort_block_merge_config_selectorIlNS0_10empty_typeEEEZZNS1_27merge_sort_block_merge_implIS3_PlPS5_mZN2at6native12_GLOBAL__N_124unique_dim_cuda_templateIaEESt5tupleIJNSA_6TensorESF_SF_EERKSF_lbbbEUlllE_EE10hipError_tT0_T1_T2_jT3_P12ihipStream_tbPNSt15iterator_traitsISL_E10value_typeEPNSR_ISM_E10value_typeEPSN_NS1_7vsmem_tEENKUlT_SL_SM_SN_E_clIS8_S8_S9_S9_EESK_S10_SL_SM_SN_EUlS10_E0_NS1_11comp_targetILNS1_3genE4ELNS1_11target_archE910ELNS1_3gpuE8ELNS1_3repE0EEENS1_38merge_mergepath_config_static_selectorELNS0_4arch9wavefront6targetE0EEEvSM_, .Lfunc_end281-_ZN7rocprim17ROCPRIM_400000_NS6detail17trampoline_kernelINS0_14default_configENS1_38merge_sort_block_merge_config_selectorIlNS0_10empty_typeEEEZZNS1_27merge_sort_block_merge_implIS3_PlPS5_mZN2at6native12_GLOBAL__N_124unique_dim_cuda_templateIaEESt5tupleIJNSA_6TensorESF_SF_EERKSF_lbbbEUlllE_EE10hipError_tT0_T1_T2_jT3_P12ihipStream_tbPNSt15iterator_traitsISL_E10value_typeEPNSR_ISM_E10value_typeEPSN_NS1_7vsmem_tEENKUlT_SL_SM_SN_E_clIS8_S8_S9_S9_EESK_S10_SL_SM_SN_EUlS10_E0_NS1_11comp_targetILNS1_3genE4ELNS1_11target_archE910ELNS1_3gpuE8ELNS1_3repE0EEENS1_38merge_mergepath_config_static_selectorELNS0_4arch9wavefront6targetE0EEEvSM_
                                        ; -- End function
	.set _ZN7rocprim17ROCPRIM_400000_NS6detail17trampoline_kernelINS0_14default_configENS1_38merge_sort_block_merge_config_selectorIlNS0_10empty_typeEEEZZNS1_27merge_sort_block_merge_implIS3_PlPS5_mZN2at6native12_GLOBAL__N_124unique_dim_cuda_templateIaEESt5tupleIJNSA_6TensorESF_SF_EERKSF_lbbbEUlllE_EE10hipError_tT0_T1_T2_jT3_P12ihipStream_tbPNSt15iterator_traitsISL_E10value_typeEPNSR_ISM_E10value_typeEPSN_NS1_7vsmem_tEENKUlT_SL_SM_SN_E_clIS8_S8_S9_S9_EESK_S10_SL_SM_SN_EUlS10_E0_NS1_11comp_targetILNS1_3genE4ELNS1_11target_archE910ELNS1_3gpuE8ELNS1_3repE0EEENS1_38merge_mergepath_config_static_selectorELNS0_4arch9wavefront6targetE0EEEvSM_.num_vgpr, 0
	.set _ZN7rocprim17ROCPRIM_400000_NS6detail17trampoline_kernelINS0_14default_configENS1_38merge_sort_block_merge_config_selectorIlNS0_10empty_typeEEEZZNS1_27merge_sort_block_merge_implIS3_PlPS5_mZN2at6native12_GLOBAL__N_124unique_dim_cuda_templateIaEESt5tupleIJNSA_6TensorESF_SF_EERKSF_lbbbEUlllE_EE10hipError_tT0_T1_T2_jT3_P12ihipStream_tbPNSt15iterator_traitsISL_E10value_typeEPNSR_ISM_E10value_typeEPSN_NS1_7vsmem_tEENKUlT_SL_SM_SN_E_clIS8_S8_S9_S9_EESK_S10_SL_SM_SN_EUlS10_E0_NS1_11comp_targetILNS1_3genE4ELNS1_11target_archE910ELNS1_3gpuE8ELNS1_3repE0EEENS1_38merge_mergepath_config_static_selectorELNS0_4arch9wavefront6targetE0EEEvSM_.num_agpr, 0
	.set _ZN7rocprim17ROCPRIM_400000_NS6detail17trampoline_kernelINS0_14default_configENS1_38merge_sort_block_merge_config_selectorIlNS0_10empty_typeEEEZZNS1_27merge_sort_block_merge_implIS3_PlPS5_mZN2at6native12_GLOBAL__N_124unique_dim_cuda_templateIaEESt5tupleIJNSA_6TensorESF_SF_EERKSF_lbbbEUlllE_EE10hipError_tT0_T1_T2_jT3_P12ihipStream_tbPNSt15iterator_traitsISL_E10value_typeEPNSR_ISM_E10value_typeEPSN_NS1_7vsmem_tEENKUlT_SL_SM_SN_E_clIS8_S8_S9_S9_EESK_S10_SL_SM_SN_EUlS10_E0_NS1_11comp_targetILNS1_3genE4ELNS1_11target_archE910ELNS1_3gpuE8ELNS1_3repE0EEENS1_38merge_mergepath_config_static_selectorELNS0_4arch9wavefront6targetE0EEEvSM_.numbered_sgpr, 0
	.set _ZN7rocprim17ROCPRIM_400000_NS6detail17trampoline_kernelINS0_14default_configENS1_38merge_sort_block_merge_config_selectorIlNS0_10empty_typeEEEZZNS1_27merge_sort_block_merge_implIS3_PlPS5_mZN2at6native12_GLOBAL__N_124unique_dim_cuda_templateIaEESt5tupleIJNSA_6TensorESF_SF_EERKSF_lbbbEUlllE_EE10hipError_tT0_T1_T2_jT3_P12ihipStream_tbPNSt15iterator_traitsISL_E10value_typeEPNSR_ISM_E10value_typeEPSN_NS1_7vsmem_tEENKUlT_SL_SM_SN_E_clIS8_S8_S9_S9_EESK_S10_SL_SM_SN_EUlS10_E0_NS1_11comp_targetILNS1_3genE4ELNS1_11target_archE910ELNS1_3gpuE8ELNS1_3repE0EEENS1_38merge_mergepath_config_static_selectorELNS0_4arch9wavefront6targetE0EEEvSM_.num_named_barrier, 0
	.set _ZN7rocprim17ROCPRIM_400000_NS6detail17trampoline_kernelINS0_14default_configENS1_38merge_sort_block_merge_config_selectorIlNS0_10empty_typeEEEZZNS1_27merge_sort_block_merge_implIS3_PlPS5_mZN2at6native12_GLOBAL__N_124unique_dim_cuda_templateIaEESt5tupleIJNSA_6TensorESF_SF_EERKSF_lbbbEUlllE_EE10hipError_tT0_T1_T2_jT3_P12ihipStream_tbPNSt15iterator_traitsISL_E10value_typeEPNSR_ISM_E10value_typeEPSN_NS1_7vsmem_tEENKUlT_SL_SM_SN_E_clIS8_S8_S9_S9_EESK_S10_SL_SM_SN_EUlS10_E0_NS1_11comp_targetILNS1_3genE4ELNS1_11target_archE910ELNS1_3gpuE8ELNS1_3repE0EEENS1_38merge_mergepath_config_static_selectorELNS0_4arch9wavefront6targetE0EEEvSM_.private_seg_size, 0
	.set _ZN7rocprim17ROCPRIM_400000_NS6detail17trampoline_kernelINS0_14default_configENS1_38merge_sort_block_merge_config_selectorIlNS0_10empty_typeEEEZZNS1_27merge_sort_block_merge_implIS3_PlPS5_mZN2at6native12_GLOBAL__N_124unique_dim_cuda_templateIaEESt5tupleIJNSA_6TensorESF_SF_EERKSF_lbbbEUlllE_EE10hipError_tT0_T1_T2_jT3_P12ihipStream_tbPNSt15iterator_traitsISL_E10value_typeEPNSR_ISM_E10value_typeEPSN_NS1_7vsmem_tEENKUlT_SL_SM_SN_E_clIS8_S8_S9_S9_EESK_S10_SL_SM_SN_EUlS10_E0_NS1_11comp_targetILNS1_3genE4ELNS1_11target_archE910ELNS1_3gpuE8ELNS1_3repE0EEENS1_38merge_mergepath_config_static_selectorELNS0_4arch9wavefront6targetE0EEEvSM_.uses_vcc, 0
	.set _ZN7rocprim17ROCPRIM_400000_NS6detail17trampoline_kernelINS0_14default_configENS1_38merge_sort_block_merge_config_selectorIlNS0_10empty_typeEEEZZNS1_27merge_sort_block_merge_implIS3_PlPS5_mZN2at6native12_GLOBAL__N_124unique_dim_cuda_templateIaEESt5tupleIJNSA_6TensorESF_SF_EERKSF_lbbbEUlllE_EE10hipError_tT0_T1_T2_jT3_P12ihipStream_tbPNSt15iterator_traitsISL_E10value_typeEPNSR_ISM_E10value_typeEPSN_NS1_7vsmem_tEENKUlT_SL_SM_SN_E_clIS8_S8_S9_S9_EESK_S10_SL_SM_SN_EUlS10_E0_NS1_11comp_targetILNS1_3genE4ELNS1_11target_archE910ELNS1_3gpuE8ELNS1_3repE0EEENS1_38merge_mergepath_config_static_selectorELNS0_4arch9wavefront6targetE0EEEvSM_.uses_flat_scratch, 0
	.set _ZN7rocprim17ROCPRIM_400000_NS6detail17trampoline_kernelINS0_14default_configENS1_38merge_sort_block_merge_config_selectorIlNS0_10empty_typeEEEZZNS1_27merge_sort_block_merge_implIS3_PlPS5_mZN2at6native12_GLOBAL__N_124unique_dim_cuda_templateIaEESt5tupleIJNSA_6TensorESF_SF_EERKSF_lbbbEUlllE_EE10hipError_tT0_T1_T2_jT3_P12ihipStream_tbPNSt15iterator_traitsISL_E10value_typeEPNSR_ISM_E10value_typeEPSN_NS1_7vsmem_tEENKUlT_SL_SM_SN_E_clIS8_S8_S9_S9_EESK_S10_SL_SM_SN_EUlS10_E0_NS1_11comp_targetILNS1_3genE4ELNS1_11target_archE910ELNS1_3gpuE8ELNS1_3repE0EEENS1_38merge_mergepath_config_static_selectorELNS0_4arch9wavefront6targetE0EEEvSM_.has_dyn_sized_stack, 0
	.set _ZN7rocprim17ROCPRIM_400000_NS6detail17trampoline_kernelINS0_14default_configENS1_38merge_sort_block_merge_config_selectorIlNS0_10empty_typeEEEZZNS1_27merge_sort_block_merge_implIS3_PlPS5_mZN2at6native12_GLOBAL__N_124unique_dim_cuda_templateIaEESt5tupleIJNSA_6TensorESF_SF_EERKSF_lbbbEUlllE_EE10hipError_tT0_T1_T2_jT3_P12ihipStream_tbPNSt15iterator_traitsISL_E10value_typeEPNSR_ISM_E10value_typeEPSN_NS1_7vsmem_tEENKUlT_SL_SM_SN_E_clIS8_S8_S9_S9_EESK_S10_SL_SM_SN_EUlS10_E0_NS1_11comp_targetILNS1_3genE4ELNS1_11target_archE910ELNS1_3gpuE8ELNS1_3repE0EEENS1_38merge_mergepath_config_static_selectorELNS0_4arch9wavefront6targetE0EEEvSM_.has_recursion, 0
	.set _ZN7rocprim17ROCPRIM_400000_NS6detail17trampoline_kernelINS0_14default_configENS1_38merge_sort_block_merge_config_selectorIlNS0_10empty_typeEEEZZNS1_27merge_sort_block_merge_implIS3_PlPS5_mZN2at6native12_GLOBAL__N_124unique_dim_cuda_templateIaEESt5tupleIJNSA_6TensorESF_SF_EERKSF_lbbbEUlllE_EE10hipError_tT0_T1_T2_jT3_P12ihipStream_tbPNSt15iterator_traitsISL_E10value_typeEPNSR_ISM_E10value_typeEPSN_NS1_7vsmem_tEENKUlT_SL_SM_SN_E_clIS8_S8_S9_S9_EESK_S10_SL_SM_SN_EUlS10_E0_NS1_11comp_targetILNS1_3genE4ELNS1_11target_archE910ELNS1_3gpuE8ELNS1_3repE0EEENS1_38merge_mergepath_config_static_selectorELNS0_4arch9wavefront6targetE0EEEvSM_.has_indirect_call, 0
	.section	.AMDGPU.csdata,"",@progbits
; Kernel info:
; codeLenInByte = 0
; TotalNumSgprs: 0
; NumVgprs: 0
; ScratchSize: 0
; MemoryBound: 0
; FloatMode: 240
; IeeeMode: 1
; LDSByteSize: 0 bytes/workgroup (compile time only)
; SGPRBlocks: 0
; VGPRBlocks: 0
; NumSGPRsForWavesPerEU: 1
; NumVGPRsForWavesPerEU: 1
; NamedBarCnt: 0
; Occupancy: 16
; WaveLimiterHint : 0
; COMPUTE_PGM_RSRC2:SCRATCH_EN: 0
; COMPUTE_PGM_RSRC2:USER_SGPR: 2
; COMPUTE_PGM_RSRC2:TRAP_HANDLER: 0
; COMPUTE_PGM_RSRC2:TGID_X_EN: 1
; COMPUTE_PGM_RSRC2:TGID_Y_EN: 0
; COMPUTE_PGM_RSRC2:TGID_Z_EN: 0
; COMPUTE_PGM_RSRC2:TIDIG_COMP_CNT: 0
	.section	.text._ZN7rocprim17ROCPRIM_400000_NS6detail17trampoline_kernelINS0_14default_configENS1_38merge_sort_block_merge_config_selectorIlNS0_10empty_typeEEEZZNS1_27merge_sort_block_merge_implIS3_PlPS5_mZN2at6native12_GLOBAL__N_124unique_dim_cuda_templateIaEESt5tupleIJNSA_6TensorESF_SF_EERKSF_lbbbEUlllE_EE10hipError_tT0_T1_T2_jT3_P12ihipStream_tbPNSt15iterator_traitsISL_E10value_typeEPNSR_ISM_E10value_typeEPSN_NS1_7vsmem_tEENKUlT_SL_SM_SN_E_clIS8_S8_S9_S9_EESK_S10_SL_SM_SN_EUlS10_E0_NS1_11comp_targetILNS1_3genE3ELNS1_11target_archE908ELNS1_3gpuE7ELNS1_3repE0EEENS1_38merge_mergepath_config_static_selectorELNS0_4arch9wavefront6targetE0EEEvSM_,"axG",@progbits,_ZN7rocprim17ROCPRIM_400000_NS6detail17trampoline_kernelINS0_14default_configENS1_38merge_sort_block_merge_config_selectorIlNS0_10empty_typeEEEZZNS1_27merge_sort_block_merge_implIS3_PlPS5_mZN2at6native12_GLOBAL__N_124unique_dim_cuda_templateIaEESt5tupleIJNSA_6TensorESF_SF_EERKSF_lbbbEUlllE_EE10hipError_tT0_T1_T2_jT3_P12ihipStream_tbPNSt15iterator_traitsISL_E10value_typeEPNSR_ISM_E10value_typeEPSN_NS1_7vsmem_tEENKUlT_SL_SM_SN_E_clIS8_S8_S9_S9_EESK_S10_SL_SM_SN_EUlS10_E0_NS1_11comp_targetILNS1_3genE3ELNS1_11target_archE908ELNS1_3gpuE7ELNS1_3repE0EEENS1_38merge_mergepath_config_static_selectorELNS0_4arch9wavefront6targetE0EEEvSM_,comdat
	.globl	_ZN7rocprim17ROCPRIM_400000_NS6detail17trampoline_kernelINS0_14default_configENS1_38merge_sort_block_merge_config_selectorIlNS0_10empty_typeEEEZZNS1_27merge_sort_block_merge_implIS3_PlPS5_mZN2at6native12_GLOBAL__N_124unique_dim_cuda_templateIaEESt5tupleIJNSA_6TensorESF_SF_EERKSF_lbbbEUlllE_EE10hipError_tT0_T1_T2_jT3_P12ihipStream_tbPNSt15iterator_traitsISL_E10value_typeEPNSR_ISM_E10value_typeEPSN_NS1_7vsmem_tEENKUlT_SL_SM_SN_E_clIS8_S8_S9_S9_EESK_S10_SL_SM_SN_EUlS10_E0_NS1_11comp_targetILNS1_3genE3ELNS1_11target_archE908ELNS1_3gpuE7ELNS1_3repE0EEENS1_38merge_mergepath_config_static_selectorELNS0_4arch9wavefront6targetE0EEEvSM_ ; -- Begin function _ZN7rocprim17ROCPRIM_400000_NS6detail17trampoline_kernelINS0_14default_configENS1_38merge_sort_block_merge_config_selectorIlNS0_10empty_typeEEEZZNS1_27merge_sort_block_merge_implIS3_PlPS5_mZN2at6native12_GLOBAL__N_124unique_dim_cuda_templateIaEESt5tupleIJNSA_6TensorESF_SF_EERKSF_lbbbEUlllE_EE10hipError_tT0_T1_T2_jT3_P12ihipStream_tbPNSt15iterator_traitsISL_E10value_typeEPNSR_ISM_E10value_typeEPSN_NS1_7vsmem_tEENKUlT_SL_SM_SN_E_clIS8_S8_S9_S9_EESK_S10_SL_SM_SN_EUlS10_E0_NS1_11comp_targetILNS1_3genE3ELNS1_11target_archE908ELNS1_3gpuE7ELNS1_3repE0EEENS1_38merge_mergepath_config_static_selectorELNS0_4arch9wavefront6targetE0EEEvSM_
	.p2align	8
	.type	_ZN7rocprim17ROCPRIM_400000_NS6detail17trampoline_kernelINS0_14default_configENS1_38merge_sort_block_merge_config_selectorIlNS0_10empty_typeEEEZZNS1_27merge_sort_block_merge_implIS3_PlPS5_mZN2at6native12_GLOBAL__N_124unique_dim_cuda_templateIaEESt5tupleIJNSA_6TensorESF_SF_EERKSF_lbbbEUlllE_EE10hipError_tT0_T1_T2_jT3_P12ihipStream_tbPNSt15iterator_traitsISL_E10value_typeEPNSR_ISM_E10value_typeEPSN_NS1_7vsmem_tEENKUlT_SL_SM_SN_E_clIS8_S8_S9_S9_EESK_S10_SL_SM_SN_EUlS10_E0_NS1_11comp_targetILNS1_3genE3ELNS1_11target_archE908ELNS1_3gpuE7ELNS1_3repE0EEENS1_38merge_mergepath_config_static_selectorELNS0_4arch9wavefront6targetE0EEEvSM_,@function
_ZN7rocprim17ROCPRIM_400000_NS6detail17trampoline_kernelINS0_14default_configENS1_38merge_sort_block_merge_config_selectorIlNS0_10empty_typeEEEZZNS1_27merge_sort_block_merge_implIS3_PlPS5_mZN2at6native12_GLOBAL__N_124unique_dim_cuda_templateIaEESt5tupleIJNSA_6TensorESF_SF_EERKSF_lbbbEUlllE_EE10hipError_tT0_T1_T2_jT3_P12ihipStream_tbPNSt15iterator_traitsISL_E10value_typeEPNSR_ISM_E10value_typeEPSN_NS1_7vsmem_tEENKUlT_SL_SM_SN_E_clIS8_S8_S9_S9_EESK_S10_SL_SM_SN_EUlS10_E0_NS1_11comp_targetILNS1_3genE3ELNS1_11target_archE908ELNS1_3gpuE7ELNS1_3repE0EEENS1_38merge_mergepath_config_static_selectorELNS0_4arch9wavefront6targetE0EEEvSM_: ; @_ZN7rocprim17ROCPRIM_400000_NS6detail17trampoline_kernelINS0_14default_configENS1_38merge_sort_block_merge_config_selectorIlNS0_10empty_typeEEEZZNS1_27merge_sort_block_merge_implIS3_PlPS5_mZN2at6native12_GLOBAL__N_124unique_dim_cuda_templateIaEESt5tupleIJNSA_6TensorESF_SF_EERKSF_lbbbEUlllE_EE10hipError_tT0_T1_T2_jT3_P12ihipStream_tbPNSt15iterator_traitsISL_E10value_typeEPNSR_ISM_E10value_typeEPSN_NS1_7vsmem_tEENKUlT_SL_SM_SN_E_clIS8_S8_S9_S9_EESK_S10_SL_SM_SN_EUlS10_E0_NS1_11comp_targetILNS1_3genE3ELNS1_11target_archE908ELNS1_3gpuE7ELNS1_3repE0EEENS1_38merge_mergepath_config_static_selectorELNS0_4arch9wavefront6targetE0EEEvSM_
; %bb.0:
	.section	.rodata,"a",@progbits
	.p2align	6, 0x0
	.amdhsa_kernel _ZN7rocprim17ROCPRIM_400000_NS6detail17trampoline_kernelINS0_14default_configENS1_38merge_sort_block_merge_config_selectorIlNS0_10empty_typeEEEZZNS1_27merge_sort_block_merge_implIS3_PlPS5_mZN2at6native12_GLOBAL__N_124unique_dim_cuda_templateIaEESt5tupleIJNSA_6TensorESF_SF_EERKSF_lbbbEUlllE_EE10hipError_tT0_T1_T2_jT3_P12ihipStream_tbPNSt15iterator_traitsISL_E10value_typeEPNSR_ISM_E10value_typeEPSN_NS1_7vsmem_tEENKUlT_SL_SM_SN_E_clIS8_S8_S9_S9_EESK_S10_SL_SM_SN_EUlS10_E0_NS1_11comp_targetILNS1_3genE3ELNS1_11target_archE908ELNS1_3gpuE7ELNS1_3repE0EEENS1_38merge_mergepath_config_static_selectorELNS0_4arch9wavefront6targetE0EEEvSM_
		.amdhsa_group_segment_fixed_size 0
		.amdhsa_private_segment_fixed_size 0
		.amdhsa_kernarg_size 88
		.amdhsa_user_sgpr_count 2
		.amdhsa_user_sgpr_dispatch_ptr 0
		.amdhsa_user_sgpr_queue_ptr 0
		.amdhsa_user_sgpr_kernarg_segment_ptr 1
		.amdhsa_user_sgpr_dispatch_id 0
		.amdhsa_user_sgpr_kernarg_preload_length 0
		.amdhsa_user_sgpr_kernarg_preload_offset 0
		.amdhsa_user_sgpr_private_segment_size 0
		.amdhsa_wavefront_size32 1
		.amdhsa_uses_dynamic_stack 0
		.amdhsa_enable_private_segment 0
		.amdhsa_system_sgpr_workgroup_id_x 1
		.amdhsa_system_sgpr_workgroup_id_y 0
		.amdhsa_system_sgpr_workgroup_id_z 0
		.amdhsa_system_sgpr_workgroup_info 0
		.amdhsa_system_vgpr_workitem_id 0
		.amdhsa_next_free_vgpr 1
		.amdhsa_next_free_sgpr 1
		.amdhsa_named_barrier_count 0
		.amdhsa_reserve_vcc 0
		.amdhsa_float_round_mode_32 0
		.amdhsa_float_round_mode_16_64 0
		.amdhsa_float_denorm_mode_32 3
		.amdhsa_float_denorm_mode_16_64 3
		.amdhsa_fp16_overflow 0
		.amdhsa_memory_ordered 1
		.amdhsa_forward_progress 1
		.amdhsa_inst_pref_size 0
		.amdhsa_round_robin_scheduling 0
		.amdhsa_exception_fp_ieee_invalid_op 0
		.amdhsa_exception_fp_denorm_src 0
		.amdhsa_exception_fp_ieee_div_zero 0
		.amdhsa_exception_fp_ieee_overflow 0
		.amdhsa_exception_fp_ieee_underflow 0
		.amdhsa_exception_fp_ieee_inexact 0
		.amdhsa_exception_int_div_zero 0
	.end_amdhsa_kernel
	.section	.text._ZN7rocprim17ROCPRIM_400000_NS6detail17trampoline_kernelINS0_14default_configENS1_38merge_sort_block_merge_config_selectorIlNS0_10empty_typeEEEZZNS1_27merge_sort_block_merge_implIS3_PlPS5_mZN2at6native12_GLOBAL__N_124unique_dim_cuda_templateIaEESt5tupleIJNSA_6TensorESF_SF_EERKSF_lbbbEUlllE_EE10hipError_tT0_T1_T2_jT3_P12ihipStream_tbPNSt15iterator_traitsISL_E10value_typeEPNSR_ISM_E10value_typeEPSN_NS1_7vsmem_tEENKUlT_SL_SM_SN_E_clIS8_S8_S9_S9_EESK_S10_SL_SM_SN_EUlS10_E0_NS1_11comp_targetILNS1_3genE3ELNS1_11target_archE908ELNS1_3gpuE7ELNS1_3repE0EEENS1_38merge_mergepath_config_static_selectorELNS0_4arch9wavefront6targetE0EEEvSM_,"axG",@progbits,_ZN7rocprim17ROCPRIM_400000_NS6detail17trampoline_kernelINS0_14default_configENS1_38merge_sort_block_merge_config_selectorIlNS0_10empty_typeEEEZZNS1_27merge_sort_block_merge_implIS3_PlPS5_mZN2at6native12_GLOBAL__N_124unique_dim_cuda_templateIaEESt5tupleIJNSA_6TensorESF_SF_EERKSF_lbbbEUlllE_EE10hipError_tT0_T1_T2_jT3_P12ihipStream_tbPNSt15iterator_traitsISL_E10value_typeEPNSR_ISM_E10value_typeEPSN_NS1_7vsmem_tEENKUlT_SL_SM_SN_E_clIS8_S8_S9_S9_EESK_S10_SL_SM_SN_EUlS10_E0_NS1_11comp_targetILNS1_3genE3ELNS1_11target_archE908ELNS1_3gpuE7ELNS1_3repE0EEENS1_38merge_mergepath_config_static_selectorELNS0_4arch9wavefront6targetE0EEEvSM_,comdat
.Lfunc_end282:
	.size	_ZN7rocprim17ROCPRIM_400000_NS6detail17trampoline_kernelINS0_14default_configENS1_38merge_sort_block_merge_config_selectorIlNS0_10empty_typeEEEZZNS1_27merge_sort_block_merge_implIS3_PlPS5_mZN2at6native12_GLOBAL__N_124unique_dim_cuda_templateIaEESt5tupleIJNSA_6TensorESF_SF_EERKSF_lbbbEUlllE_EE10hipError_tT0_T1_T2_jT3_P12ihipStream_tbPNSt15iterator_traitsISL_E10value_typeEPNSR_ISM_E10value_typeEPSN_NS1_7vsmem_tEENKUlT_SL_SM_SN_E_clIS8_S8_S9_S9_EESK_S10_SL_SM_SN_EUlS10_E0_NS1_11comp_targetILNS1_3genE3ELNS1_11target_archE908ELNS1_3gpuE7ELNS1_3repE0EEENS1_38merge_mergepath_config_static_selectorELNS0_4arch9wavefront6targetE0EEEvSM_, .Lfunc_end282-_ZN7rocprim17ROCPRIM_400000_NS6detail17trampoline_kernelINS0_14default_configENS1_38merge_sort_block_merge_config_selectorIlNS0_10empty_typeEEEZZNS1_27merge_sort_block_merge_implIS3_PlPS5_mZN2at6native12_GLOBAL__N_124unique_dim_cuda_templateIaEESt5tupleIJNSA_6TensorESF_SF_EERKSF_lbbbEUlllE_EE10hipError_tT0_T1_T2_jT3_P12ihipStream_tbPNSt15iterator_traitsISL_E10value_typeEPNSR_ISM_E10value_typeEPSN_NS1_7vsmem_tEENKUlT_SL_SM_SN_E_clIS8_S8_S9_S9_EESK_S10_SL_SM_SN_EUlS10_E0_NS1_11comp_targetILNS1_3genE3ELNS1_11target_archE908ELNS1_3gpuE7ELNS1_3repE0EEENS1_38merge_mergepath_config_static_selectorELNS0_4arch9wavefront6targetE0EEEvSM_
                                        ; -- End function
	.set _ZN7rocprim17ROCPRIM_400000_NS6detail17trampoline_kernelINS0_14default_configENS1_38merge_sort_block_merge_config_selectorIlNS0_10empty_typeEEEZZNS1_27merge_sort_block_merge_implIS3_PlPS5_mZN2at6native12_GLOBAL__N_124unique_dim_cuda_templateIaEESt5tupleIJNSA_6TensorESF_SF_EERKSF_lbbbEUlllE_EE10hipError_tT0_T1_T2_jT3_P12ihipStream_tbPNSt15iterator_traitsISL_E10value_typeEPNSR_ISM_E10value_typeEPSN_NS1_7vsmem_tEENKUlT_SL_SM_SN_E_clIS8_S8_S9_S9_EESK_S10_SL_SM_SN_EUlS10_E0_NS1_11comp_targetILNS1_3genE3ELNS1_11target_archE908ELNS1_3gpuE7ELNS1_3repE0EEENS1_38merge_mergepath_config_static_selectorELNS0_4arch9wavefront6targetE0EEEvSM_.num_vgpr, 0
	.set _ZN7rocprim17ROCPRIM_400000_NS6detail17trampoline_kernelINS0_14default_configENS1_38merge_sort_block_merge_config_selectorIlNS0_10empty_typeEEEZZNS1_27merge_sort_block_merge_implIS3_PlPS5_mZN2at6native12_GLOBAL__N_124unique_dim_cuda_templateIaEESt5tupleIJNSA_6TensorESF_SF_EERKSF_lbbbEUlllE_EE10hipError_tT0_T1_T2_jT3_P12ihipStream_tbPNSt15iterator_traitsISL_E10value_typeEPNSR_ISM_E10value_typeEPSN_NS1_7vsmem_tEENKUlT_SL_SM_SN_E_clIS8_S8_S9_S9_EESK_S10_SL_SM_SN_EUlS10_E0_NS1_11comp_targetILNS1_3genE3ELNS1_11target_archE908ELNS1_3gpuE7ELNS1_3repE0EEENS1_38merge_mergepath_config_static_selectorELNS0_4arch9wavefront6targetE0EEEvSM_.num_agpr, 0
	.set _ZN7rocprim17ROCPRIM_400000_NS6detail17trampoline_kernelINS0_14default_configENS1_38merge_sort_block_merge_config_selectorIlNS0_10empty_typeEEEZZNS1_27merge_sort_block_merge_implIS3_PlPS5_mZN2at6native12_GLOBAL__N_124unique_dim_cuda_templateIaEESt5tupleIJNSA_6TensorESF_SF_EERKSF_lbbbEUlllE_EE10hipError_tT0_T1_T2_jT3_P12ihipStream_tbPNSt15iterator_traitsISL_E10value_typeEPNSR_ISM_E10value_typeEPSN_NS1_7vsmem_tEENKUlT_SL_SM_SN_E_clIS8_S8_S9_S9_EESK_S10_SL_SM_SN_EUlS10_E0_NS1_11comp_targetILNS1_3genE3ELNS1_11target_archE908ELNS1_3gpuE7ELNS1_3repE0EEENS1_38merge_mergepath_config_static_selectorELNS0_4arch9wavefront6targetE0EEEvSM_.numbered_sgpr, 0
	.set _ZN7rocprim17ROCPRIM_400000_NS6detail17trampoline_kernelINS0_14default_configENS1_38merge_sort_block_merge_config_selectorIlNS0_10empty_typeEEEZZNS1_27merge_sort_block_merge_implIS3_PlPS5_mZN2at6native12_GLOBAL__N_124unique_dim_cuda_templateIaEESt5tupleIJNSA_6TensorESF_SF_EERKSF_lbbbEUlllE_EE10hipError_tT0_T1_T2_jT3_P12ihipStream_tbPNSt15iterator_traitsISL_E10value_typeEPNSR_ISM_E10value_typeEPSN_NS1_7vsmem_tEENKUlT_SL_SM_SN_E_clIS8_S8_S9_S9_EESK_S10_SL_SM_SN_EUlS10_E0_NS1_11comp_targetILNS1_3genE3ELNS1_11target_archE908ELNS1_3gpuE7ELNS1_3repE0EEENS1_38merge_mergepath_config_static_selectorELNS0_4arch9wavefront6targetE0EEEvSM_.num_named_barrier, 0
	.set _ZN7rocprim17ROCPRIM_400000_NS6detail17trampoline_kernelINS0_14default_configENS1_38merge_sort_block_merge_config_selectorIlNS0_10empty_typeEEEZZNS1_27merge_sort_block_merge_implIS3_PlPS5_mZN2at6native12_GLOBAL__N_124unique_dim_cuda_templateIaEESt5tupleIJNSA_6TensorESF_SF_EERKSF_lbbbEUlllE_EE10hipError_tT0_T1_T2_jT3_P12ihipStream_tbPNSt15iterator_traitsISL_E10value_typeEPNSR_ISM_E10value_typeEPSN_NS1_7vsmem_tEENKUlT_SL_SM_SN_E_clIS8_S8_S9_S9_EESK_S10_SL_SM_SN_EUlS10_E0_NS1_11comp_targetILNS1_3genE3ELNS1_11target_archE908ELNS1_3gpuE7ELNS1_3repE0EEENS1_38merge_mergepath_config_static_selectorELNS0_4arch9wavefront6targetE0EEEvSM_.private_seg_size, 0
	.set _ZN7rocprim17ROCPRIM_400000_NS6detail17trampoline_kernelINS0_14default_configENS1_38merge_sort_block_merge_config_selectorIlNS0_10empty_typeEEEZZNS1_27merge_sort_block_merge_implIS3_PlPS5_mZN2at6native12_GLOBAL__N_124unique_dim_cuda_templateIaEESt5tupleIJNSA_6TensorESF_SF_EERKSF_lbbbEUlllE_EE10hipError_tT0_T1_T2_jT3_P12ihipStream_tbPNSt15iterator_traitsISL_E10value_typeEPNSR_ISM_E10value_typeEPSN_NS1_7vsmem_tEENKUlT_SL_SM_SN_E_clIS8_S8_S9_S9_EESK_S10_SL_SM_SN_EUlS10_E0_NS1_11comp_targetILNS1_3genE3ELNS1_11target_archE908ELNS1_3gpuE7ELNS1_3repE0EEENS1_38merge_mergepath_config_static_selectorELNS0_4arch9wavefront6targetE0EEEvSM_.uses_vcc, 0
	.set _ZN7rocprim17ROCPRIM_400000_NS6detail17trampoline_kernelINS0_14default_configENS1_38merge_sort_block_merge_config_selectorIlNS0_10empty_typeEEEZZNS1_27merge_sort_block_merge_implIS3_PlPS5_mZN2at6native12_GLOBAL__N_124unique_dim_cuda_templateIaEESt5tupleIJNSA_6TensorESF_SF_EERKSF_lbbbEUlllE_EE10hipError_tT0_T1_T2_jT3_P12ihipStream_tbPNSt15iterator_traitsISL_E10value_typeEPNSR_ISM_E10value_typeEPSN_NS1_7vsmem_tEENKUlT_SL_SM_SN_E_clIS8_S8_S9_S9_EESK_S10_SL_SM_SN_EUlS10_E0_NS1_11comp_targetILNS1_3genE3ELNS1_11target_archE908ELNS1_3gpuE7ELNS1_3repE0EEENS1_38merge_mergepath_config_static_selectorELNS0_4arch9wavefront6targetE0EEEvSM_.uses_flat_scratch, 0
	.set _ZN7rocprim17ROCPRIM_400000_NS6detail17trampoline_kernelINS0_14default_configENS1_38merge_sort_block_merge_config_selectorIlNS0_10empty_typeEEEZZNS1_27merge_sort_block_merge_implIS3_PlPS5_mZN2at6native12_GLOBAL__N_124unique_dim_cuda_templateIaEESt5tupleIJNSA_6TensorESF_SF_EERKSF_lbbbEUlllE_EE10hipError_tT0_T1_T2_jT3_P12ihipStream_tbPNSt15iterator_traitsISL_E10value_typeEPNSR_ISM_E10value_typeEPSN_NS1_7vsmem_tEENKUlT_SL_SM_SN_E_clIS8_S8_S9_S9_EESK_S10_SL_SM_SN_EUlS10_E0_NS1_11comp_targetILNS1_3genE3ELNS1_11target_archE908ELNS1_3gpuE7ELNS1_3repE0EEENS1_38merge_mergepath_config_static_selectorELNS0_4arch9wavefront6targetE0EEEvSM_.has_dyn_sized_stack, 0
	.set _ZN7rocprim17ROCPRIM_400000_NS6detail17trampoline_kernelINS0_14default_configENS1_38merge_sort_block_merge_config_selectorIlNS0_10empty_typeEEEZZNS1_27merge_sort_block_merge_implIS3_PlPS5_mZN2at6native12_GLOBAL__N_124unique_dim_cuda_templateIaEESt5tupleIJNSA_6TensorESF_SF_EERKSF_lbbbEUlllE_EE10hipError_tT0_T1_T2_jT3_P12ihipStream_tbPNSt15iterator_traitsISL_E10value_typeEPNSR_ISM_E10value_typeEPSN_NS1_7vsmem_tEENKUlT_SL_SM_SN_E_clIS8_S8_S9_S9_EESK_S10_SL_SM_SN_EUlS10_E0_NS1_11comp_targetILNS1_3genE3ELNS1_11target_archE908ELNS1_3gpuE7ELNS1_3repE0EEENS1_38merge_mergepath_config_static_selectorELNS0_4arch9wavefront6targetE0EEEvSM_.has_recursion, 0
	.set _ZN7rocprim17ROCPRIM_400000_NS6detail17trampoline_kernelINS0_14default_configENS1_38merge_sort_block_merge_config_selectorIlNS0_10empty_typeEEEZZNS1_27merge_sort_block_merge_implIS3_PlPS5_mZN2at6native12_GLOBAL__N_124unique_dim_cuda_templateIaEESt5tupleIJNSA_6TensorESF_SF_EERKSF_lbbbEUlllE_EE10hipError_tT0_T1_T2_jT3_P12ihipStream_tbPNSt15iterator_traitsISL_E10value_typeEPNSR_ISM_E10value_typeEPSN_NS1_7vsmem_tEENKUlT_SL_SM_SN_E_clIS8_S8_S9_S9_EESK_S10_SL_SM_SN_EUlS10_E0_NS1_11comp_targetILNS1_3genE3ELNS1_11target_archE908ELNS1_3gpuE7ELNS1_3repE0EEENS1_38merge_mergepath_config_static_selectorELNS0_4arch9wavefront6targetE0EEEvSM_.has_indirect_call, 0
	.section	.AMDGPU.csdata,"",@progbits
; Kernel info:
; codeLenInByte = 0
; TotalNumSgprs: 0
; NumVgprs: 0
; ScratchSize: 0
; MemoryBound: 0
; FloatMode: 240
; IeeeMode: 1
; LDSByteSize: 0 bytes/workgroup (compile time only)
; SGPRBlocks: 0
; VGPRBlocks: 0
; NumSGPRsForWavesPerEU: 1
; NumVGPRsForWavesPerEU: 1
; NamedBarCnt: 0
; Occupancy: 16
; WaveLimiterHint : 0
; COMPUTE_PGM_RSRC2:SCRATCH_EN: 0
; COMPUTE_PGM_RSRC2:USER_SGPR: 2
; COMPUTE_PGM_RSRC2:TRAP_HANDLER: 0
; COMPUTE_PGM_RSRC2:TGID_X_EN: 1
; COMPUTE_PGM_RSRC2:TGID_Y_EN: 0
; COMPUTE_PGM_RSRC2:TGID_Z_EN: 0
; COMPUTE_PGM_RSRC2:TIDIG_COMP_CNT: 0
	.section	.text._ZN7rocprim17ROCPRIM_400000_NS6detail17trampoline_kernelINS0_14default_configENS1_38merge_sort_block_merge_config_selectorIlNS0_10empty_typeEEEZZNS1_27merge_sort_block_merge_implIS3_PlPS5_mZN2at6native12_GLOBAL__N_124unique_dim_cuda_templateIaEESt5tupleIJNSA_6TensorESF_SF_EERKSF_lbbbEUlllE_EE10hipError_tT0_T1_T2_jT3_P12ihipStream_tbPNSt15iterator_traitsISL_E10value_typeEPNSR_ISM_E10value_typeEPSN_NS1_7vsmem_tEENKUlT_SL_SM_SN_E_clIS8_S8_S9_S9_EESK_S10_SL_SM_SN_EUlS10_E0_NS1_11comp_targetILNS1_3genE2ELNS1_11target_archE906ELNS1_3gpuE6ELNS1_3repE0EEENS1_38merge_mergepath_config_static_selectorELNS0_4arch9wavefront6targetE0EEEvSM_,"axG",@progbits,_ZN7rocprim17ROCPRIM_400000_NS6detail17trampoline_kernelINS0_14default_configENS1_38merge_sort_block_merge_config_selectorIlNS0_10empty_typeEEEZZNS1_27merge_sort_block_merge_implIS3_PlPS5_mZN2at6native12_GLOBAL__N_124unique_dim_cuda_templateIaEESt5tupleIJNSA_6TensorESF_SF_EERKSF_lbbbEUlllE_EE10hipError_tT0_T1_T2_jT3_P12ihipStream_tbPNSt15iterator_traitsISL_E10value_typeEPNSR_ISM_E10value_typeEPSN_NS1_7vsmem_tEENKUlT_SL_SM_SN_E_clIS8_S8_S9_S9_EESK_S10_SL_SM_SN_EUlS10_E0_NS1_11comp_targetILNS1_3genE2ELNS1_11target_archE906ELNS1_3gpuE6ELNS1_3repE0EEENS1_38merge_mergepath_config_static_selectorELNS0_4arch9wavefront6targetE0EEEvSM_,comdat
	.globl	_ZN7rocprim17ROCPRIM_400000_NS6detail17trampoline_kernelINS0_14default_configENS1_38merge_sort_block_merge_config_selectorIlNS0_10empty_typeEEEZZNS1_27merge_sort_block_merge_implIS3_PlPS5_mZN2at6native12_GLOBAL__N_124unique_dim_cuda_templateIaEESt5tupleIJNSA_6TensorESF_SF_EERKSF_lbbbEUlllE_EE10hipError_tT0_T1_T2_jT3_P12ihipStream_tbPNSt15iterator_traitsISL_E10value_typeEPNSR_ISM_E10value_typeEPSN_NS1_7vsmem_tEENKUlT_SL_SM_SN_E_clIS8_S8_S9_S9_EESK_S10_SL_SM_SN_EUlS10_E0_NS1_11comp_targetILNS1_3genE2ELNS1_11target_archE906ELNS1_3gpuE6ELNS1_3repE0EEENS1_38merge_mergepath_config_static_selectorELNS0_4arch9wavefront6targetE0EEEvSM_ ; -- Begin function _ZN7rocprim17ROCPRIM_400000_NS6detail17trampoline_kernelINS0_14default_configENS1_38merge_sort_block_merge_config_selectorIlNS0_10empty_typeEEEZZNS1_27merge_sort_block_merge_implIS3_PlPS5_mZN2at6native12_GLOBAL__N_124unique_dim_cuda_templateIaEESt5tupleIJNSA_6TensorESF_SF_EERKSF_lbbbEUlllE_EE10hipError_tT0_T1_T2_jT3_P12ihipStream_tbPNSt15iterator_traitsISL_E10value_typeEPNSR_ISM_E10value_typeEPSN_NS1_7vsmem_tEENKUlT_SL_SM_SN_E_clIS8_S8_S9_S9_EESK_S10_SL_SM_SN_EUlS10_E0_NS1_11comp_targetILNS1_3genE2ELNS1_11target_archE906ELNS1_3gpuE6ELNS1_3repE0EEENS1_38merge_mergepath_config_static_selectorELNS0_4arch9wavefront6targetE0EEEvSM_
	.p2align	8
	.type	_ZN7rocprim17ROCPRIM_400000_NS6detail17trampoline_kernelINS0_14default_configENS1_38merge_sort_block_merge_config_selectorIlNS0_10empty_typeEEEZZNS1_27merge_sort_block_merge_implIS3_PlPS5_mZN2at6native12_GLOBAL__N_124unique_dim_cuda_templateIaEESt5tupleIJNSA_6TensorESF_SF_EERKSF_lbbbEUlllE_EE10hipError_tT0_T1_T2_jT3_P12ihipStream_tbPNSt15iterator_traitsISL_E10value_typeEPNSR_ISM_E10value_typeEPSN_NS1_7vsmem_tEENKUlT_SL_SM_SN_E_clIS8_S8_S9_S9_EESK_S10_SL_SM_SN_EUlS10_E0_NS1_11comp_targetILNS1_3genE2ELNS1_11target_archE906ELNS1_3gpuE6ELNS1_3repE0EEENS1_38merge_mergepath_config_static_selectorELNS0_4arch9wavefront6targetE0EEEvSM_,@function
_ZN7rocprim17ROCPRIM_400000_NS6detail17trampoline_kernelINS0_14default_configENS1_38merge_sort_block_merge_config_selectorIlNS0_10empty_typeEEEZZNS1_27merge_sort_block_merge_implIS3_PlPS5_mZN2at6native12_GLOBAL__N_124unique_dim_cuda_templateIaEESt5tupleIJNSA_6TensorESF_SF_EERKSF_lbbbEUlllE_EE10hipError_tT0_T1_T2_jT3_P12ihipStream_tbPNSt15iterator_traitsISL_E10value_typeEPNSR_ISM_E10value_typeEPSN_NS1_7vsmem_tEENKUlT_SL_SM_SN_E_clIS8_S8_S9_S9_EESK_S10_SL_SM_SN_EUlS10_E0_NS1_11comp_targetILNS1_3genE2ELNS1_11target_archE906ELNS1_3gpuE6ELNS1_3repE0EEENS1_38merge_mergepath_config_static_selectorELNS0_4arch9wavefront6targetE0EEEvSM_: ; @_ZN7rocprim17ROCPRIM_400000_NS6detail17trampoline_kernelINS0_14default_configENS1_38merge_sort_block_merge_config_selectorIlNS0_10empty_typeEEEZZNS1_27merge_sort_block_merge_implIS3_PlPS5_mZN2at6native12_GLOBAL__N_124unique_dim_cuda_templateIaEESt5tupleIJNSA_6TensorESF_SF_EERKSF_lbbbEUlllE_EE10hipError_tT0_T1_T2_jT3_P12ihipStream_tbPNSt15iterator_traitsISL_E10value_typeEPNSR_ISM_E10value_typeEPSN_NS1_7vsmem_tEENKUlT_SL_SM_SN_E_clIS8_S8_S9_S9_EESK_S10_SL_SM_SN_EUlS10_E0_NS1_11comp_targetILNS1_3genE2ELNS1_11target_archE906ELNS1_3gpuE6ELNS1_3repE0EEENS1_38merge_mergepath_config_static_selectorELNS0_4arch9wavefront6targetE0EEEvSM_
; %bb.0:
	.section	.rodata,"a",@progbits
	.p2align	6, 0x0
	.amdhsa_kernel _ZN7rocprim17ROCPRIM_400000_NS6detail17trampoline_kernelINS0_14default_configENS1_38merge_sort_block_merge_config_selectorIlNS0_10empty_typeEEEZZNS1_27merge_sort_block_merge_implIS3_PlPS5_mZN2at6native12_GLOBAL__N_124unique_dim_cuda_templateIaEESt5tupleIJNSA_6TensorESF_SF_EERKSF_lbbbEUlllE_EE10hipError_tT0_T1_T2_jT3_P12ihipStream_tbPNSt15iterator_traitsISL_E10value_typeEPNSR_ISM_E10value_typeEPSN_NS1_7vsmem_tEENKUlT_SL_SM_SN_E_clIS8_S8_S9_S9_EESK_S10_SL_SM_SN_EUlS10_E0_NS1_11comp_targetILNS1_3genE2ELNS1_11target_archE906ELNS1_3gpuE6ELNS1_3repE0EEENS1_38merge_mergepath_config_static_selectorELNS0_4arch9wavefront6targetE0EEEvSM_
		.amdhsa_group_segment_fixed_size 0
		.amdhsa_private_segment_fixed_size 0
		.amdhsa_kernarg_size 88
		.amdhsa_user_sgpr_count 2
		.amdhsa_user_sgpr_dispatch_ptr 0
		.amdhsa_user_sgpr_queue_ptr 0
		.amdhsa_user_sgpr_kernarg_segment_ptr 1
		.amdhsa_user_sgpr_dispatch_id 0
		.amdhsa_user_sgpr_kernarg_preload_length 0
		.amdhsa_user_sgpr_kernarg_preload_offset 0
		.amdhsa_user_sgpr_private_segment_size 0
		.amdhsa_wavefront_size32 1
		.amdhsa_uses_dynamic_stack 0
		.amdhsa_enable_private_segment 0
		.amdhsa_system_sgpr_workgroup_id_x 1
		.amdhsa_system_sgpr_workgroup_id_y 0
		.amdhsa_system_sgpr_workgroup_id_z 0
		.amdhsa_system_sgpr_workgroup_info 0
		.amdhsa_system_vgpr_workitem_id 0
		.amdhsa_next_free_vgpr 1
		.amdhsa_next_free_sgpr 1
		.amdhsa_named_barrier_count 0
		.amdhsa_reserve_vcc 0
		.amdhsa_float_round_mode_32 0
		.amdhsa_float_round_mode_16_64 0
		.amdhsa_float_denorm_mode_32 3
		.amdhsa_float_denorm_mode_16_64 3
		.amdhsa_fp16_overflow 0
		.amdhsa_memory_ordered 1
		.amdhsa_forward_progress 1
		.amdhsa_inst_pref_size 0
		.amdhsa_round_robin_scheduling 0
		.amdhsa_exception_fp_ieee_invalid_op 0
		.amdhsa_exception_fp_denorm_src 0
		.amdhsa_exception_fp_ieee_div_zero 0
		.amdhsa_exception_fp_ieee_overflow 0
		.amdhsa_exception_fp_ieee_underflow 0
		.amdhsa_exception_fp_ieee_inexact 0
		.amdhsa_exception_int_div_zero 0
	.end_amdhsa_kernel
	.section	.text._ZN7rocprim17ROCPRIM_400000_NS6detail17trampoline_kernelINS0_14default_configENS1_38merge_sort_block_merge_config_selectorIlNS0_10empty_typeEEEZZNS1_27merge_sort_block_merge_implIS3_PlPS5_mZN2at6native12_GLOBAL__N_124unique_dim_cuda_templateIaEESt5tupleIJNSA_6TensorESF_SF_EERKSF_lbbbEUlllE_EE10hipError_tT0_T1_T2_jT3_P12ihipStream_tbPNSt15iterator_traitsISL_E10value_typeEPNSR_ISM_E10value_typeEPSN_NS1_7vsmem_tEENKUlT_SL_SM_SN_E_clIS8_S8_S9_S9_EESK_S10_SL_SM_SN_EUlS10_E0_NS1_11comp_targetILNS1_3genE2ELNS1_11target_archE906ELNS1_3gpuE6ELNS1_3repE0EEENS1_38merge_mergepath_config_static_selectorELNS0_4arch9wavefront6targetE0EEEvSM_,"axG",@progbits,_ZN7rocprim17ROCPRIM_400000_NS6detail17trampoline_kernelINS0_14default_configENS1_38merge_sort_block_merge_config_selectorIlNS0_10empty_typeEEEZZNS1_27merge_sort_block_merge_implIS3_PlPS5_mZN2at6native12_GLOBAL__N_124unique_dim_cuda_templateIaEESt5tupleIJNSA_6TensorESF_SF_EERKSF_lbbbEUlllE_EE10hipError_tT0_T1_T2_jT3_P12ihipStream_tbPNSt15iterator_traitsISL_E10value_typeEPNSR_ISM_E10value_typeEPSN_NS1_7vsmem_tEENKUlT_SL_SM_SN_E_clIS8_S8_S9_S9_EESK_S10_SL_SM_SN_EUlS10_E0_NS1_11comp_targetILNS1_3genE2ELNS1_11target_archE906ELNS1_3gpuE6ELNS1_3repE0EEENS1_38merge_mergepath_config_static_selectorELNS0_4arch9wavefront6targetE0EEEvSM_,comdat
.Lfunc_end283:
	.size	_ZN7rocprim17ROCPRIM_400000_NS6detail17trampoline_kernelINS0_14default_configENS1_38merge_sort_block_merge_config_selectorIlNS0_10empty_typeEEEZZNS1_27merge_sort_block_merge_implIS3_PlPS5_mZN2at6native12_GLOBAL__N_124unique_dim_cuda_templateIaEESt5tupleIJNSA_6TensorESF_SF_EERKSF_lbbbEUlllE_EE10hipError_tT0_T1_T2_jT3_P12ihipStream_tbPNSt15iterator_traitsISL_E10value_typeEPNSR_ISM_E10value_typeEPSN_NS1_7vsmem_tEENKUlT_SL_SM_SN_E_clIS8_S8_S9_S9_EESK_S10_SL_SM_SN_EUlS10_E0_NS1_11comp_targetILNS1_3genE2ELNS1_11target_archE906ELNS1_3gpuE6ELNS1_3repE0EEENS1_38merge_mergepath_config_static_selectorELNS0_4arch9wavefront6targetE0EEEvSM_, .Lfunc_end283-_ZN7rocprim17ROCPRIM_400000_NS6detail17trampoline_kernelINS0_14default_configENS1_38merge_sort_block_merge_config_selectorIlNS0_10empty_typeEEEZZNS1_27merge_sort_block_merge_implIS3_PlPS5_mZN2at6native12_GLOBAL__N_124unique_dim_cuda_templateIaEESt5tupleIJNSA_6TensorESF_SF_EERKSF_lbbbEUlllE_EE10hipError_tT0_T1_T2_jT3_P12ihipStream_tbPNSt15iterator_traitsISL_E10value_typeEPNSR_ISM_E10value_typeEPSN_NS1_7vsmem_tEENKUlT_SL_SM_SN_E_clIS8_S8_S9_S9_EESK_S10_SL_SM_SN_EUlS10_E0_NS1_11comp_targetILNS1_3genE2ELNS1_11target_archE906ELNS1_3gpuE6ELNS1_3repE0EEENS1_38merge_mergepath_config_static_selectorELNS0_4arch9wavefront6targetE0EEEvSM_
                                        ; -- End function
	.set _ZN7rocprim17ROCPRIM_400000_NS6detail17trampoline_kernelINS0_14default_configENS1_38merge_sort_block_merge_config_selectorIlNS0_10empty_typeEEEZZNS1_27merge_sort_block_merge_implIS3_PlPS5_mZN2at6native12_GLOBAL__N_124unique_dim_cuda_templateIaEESt5tupleIJNSA_6TensorESF_SF_EERKSF_lbbbEUlllE_EE10hipError_tT0_T1_T2_jT3_P12ihipStream_tbPNSt15iterator_traitsISL_E10value_typeEPNSR_ISM_E10value_typeEPSN_NS1_7vsmem_tEENKUlT_SL_SM_SN_E_clIS8_S8_S9_S9_EESK_S10_SL_SM_SN_EUlS10_E0_NS1_11comp_targetILNS1_3genE2ELNS1_11target_archE906ELNS1_3gpuE6ELNS1_3repE0EEENS1_38merge_mergepath_config_static_selectorELNS0_4arch9wavefront6targetE0EEEvSM_.num_vgpr, 0
	.set _ZN7rocprim17ROCPRIM_400000_NS6detail17trampoline_kernelINS0_14default_configENS1_38merge_sort_block_merge_config_selectorIlNS0_10empty_typeEEEZZNS1_27merge_sort_block_merge_implIS3_PlPS5_mZN2at6native12_GLOBAL__N_124unique_dim_cuda_templateIaEESt5tupleIJNSA_6TensorESF_SF_EERKSF_lbbbEUlllE_EE10hipError_tT0_T1_T2_jT3_P12ihipStream_tbPNSt15iterator_traitsISL_E10value_typeEPNSR_ISM_E10value_typeEPSN_NS1_7vsmem_tEENKUlT_SL_SM_SN_E_clIS8_S8_S9_S9_EESK_S10_SL_SM_SN_EUlS10_E0_NS1_11comp_targetILNS1_3genE2ELNS1_11target_archE906ELNS1_3gpuE6ELNS1_3repE0EEENS1_38merge_mergepath_config_static_selectorELNS0_4arch9wavefront6targetE0EEEvSM_.num_agpr, 0
	.set _ZN7rocprim17ROCPRIM_400000_NS6detail17trampoline_kernelINS0_14default_configENS1_38merge_sort_block_merge_config_selectorIlNS0_10empty_typeEEEZZNS1_27merge_sort_block_merge_implIS3_PlPS5_mZN2at6native12_GLOBAL__N_124unique_dim_cuda_templateIaEESt5tupleIJNSA_6TensorESF_SF_EERKSF_lbbbEUlllE_EE10hipError_tT0_T1_T2_jT3_P12ihipStream_tbPNSt15iterator_traitsISL_E10value_typeEPNSR_ISM_E10value_typeEPSN_NS1_7vsmem_tEENKUlT_SL_SM_SN_E_clIS8_S8_S9_S9_EESK_S10_SL_SM_SN_EUlS10_E0_NS1_11comp_targetILNS1_3genE2ELNS1_11target_archE906ELNS1_3gpuE6ELNS1_3repE0EEENS1_38merge_mergepath_config_static_selectorELNS0_4arch9wavefront6targetE0EEEvSM_.numbered_sgpr, 0
	.set _ZN7rocprim17ROCPRIM_400000_NS6detail17trampoline_kernelINS0_14default_configENS1_38merge_sort_block_merge_config_selectorIlNS0_10empty_typeEEEZZNS1_27merge_sort_block_merge_implIS3_PlPS5_mZN2at6native12_GLOBAL__N_124unique_dim_cuda_templateIaEESt5tupleIJNSA_6TensorESF_SF_EERKSF_lbbbEUlllE_EE10hipError_tT0_T1_T2_jT3_P12ihipStream_tbPNSt15iterator_traitsISL_E10value_typeEPNSR_ISM_E10value_typeEPSN_NS1_7vsmem_tEENKUlT_SL_SM_SN_E_clIS8_S8_S9_S9_EESK_S10_SL_SM_SN_EUlS10_E0_NS1_11comp_targetILNS1_3genE2ELNS1_11target_archE906ELNS1_3gpuE6ELNS1_3repE0EEENS1_38merge_mergepath_config_static_selectorELNS0_4arch9wavefront6targetE0EEEvSM_.num_named_barrier, 0
	.set _ZN7rocprim17ROCPRIM_400000_NS6detail17trampoline_kernelINS0_14default_configENS1_38merge_sort_block_merge_config_selectorIlNS0_10empty_typeEEEZZNS1_27merge_sort_block_merge_implIS3_PlPS5_mZN2at6native12_GLOBAL__N_124unique_dim_cuda_templateIaEESt5tupleIJNSA_6TensorESF_SF_EERKSF_lbbbEUlllE_EE10hipError_tT0_T1_T2_jT3_P12ihipStream_tbPNSt15iterator_traitsISL_E10value_typeEPNSR_ISM_E10value_typeEPSN_NS1_7vsmem_tEENKUlT_SL_SM_SN_E_clIS8_S8_S9_S9_EESK_S10_SL_SM_SN_EUlS10_E0_NS1_11comp_targetILNS1_3genE2ELNS1_11target_archE906ELNS1_3gpuE6ELNS1_3repE0EEENS1_38merge_mergepath_config_static_selectorELNS0_4arch9wavefront6targetE0EEEvSM_.private_seg_size, 0
	.set _ZN7rocprim17ROCPRIM_400000_NS6detail17trampoline_kernelINS0_14default_configENS1_38merge_sort_block_merge_config_selectorIlNS0_10empty_typeEEEZZNS1_27merge_sort_block_merge_implIS3_PlPS5_mZN2at6native12_GLOBAL__N_124unique_dim_cuda_templateIaEESt5tupleIJNSA_6TensorESF_SF_EERKSF_lbbbEUlllE_EE10hipError_tT0_T1_T2_jT3_P12ihipStream_tbPNSt15iterator_traitsISL_E10value_typeEPNSR_ISM_E10value_typeEPSN_NS1_7vsmem_tEENKUlT_SL_SM_SN_E_clIS8_S8_S9_S9_EESK_S10_SL_SM_SN_EUlS10_E0_NS1_11comp_targetILNS1_3genE2ELNS1_11target_archE906ELNS1_3gpuE6ELNS1_3repE0EEENS1_38merge_mergepath_config_static_selectorELNS0_4arch9wavefront6targetE0EEEvSM_.uses_vcc, 0
	.set _ZN7rocprim17ROCPRIM_400000_NS6detail17trampoline_kernelINS0_14default_configENS1_38merge_sort_block_merge_config_selectorIlNS0_10empty_typeEEEZZNS1_27merge_sort_block_merge_implIS3_PlPS5_mZN2at6native12_GLOBAL__N_124unique_dim_cuda_templateIaEESt5tupleIJNSA_6TensorESF_SF_EERKSF_lbbbEUlllE_EE10hipError_tT0_T1_T2_jT3_P12ihipStream_tbPNSt15iterator_traitsISL_E10value_typeEPNSR_ISM_E10value_typeEPSN_NS1_7vsmem_tEENKUlT_SL_SM_SN_E_clIS8_S8_S9_S9_EESK_S10_SL_SM_SN_EUlS10_E0_NS1_11comp_targetILNS1_3genE2ELNS1_11target_archE906ELNS1_3gpuE6ELNS1_3repE0EEENS1_38merge_mergepath_config_static_selectorELNS0_4arch9wavefront6targetE0EEEvSM_.uses_flat_scratch, 0
	.set _ZN7rocprim17ROCPRIM_400000_NS6detail17trampoline_kernelINS0_14default_configENS1_38merge_sort_block_merge_config_selectorIlNS0_10empty_typeEEEZZNS1_27merge_sort_block_merge_implIS3_PlPS5_mZN2at6native12_GLOBAL__N_124unique_dim_cuda_templateIaEESt5tupleIJNSA_6TensorESF_SF_EERKSF_lbbbEUlllE_EE10hipError_tT0_T1_T2_jT3_P12ihipStream_tbPNSt15iterator_traitsISL_E10value_typeEPNSR_ISM_E10value_typeEPSN_NS1_7vsmem_tEENKUlT_SL_SM_SN_E_clIS8_S8_S9_S9_EESK_S10_SL_SM_SN_EUlS10_E0_NS1_11comp_targetILNS1_3genE2ELNS1_11target_archE906ELNS1_3gpuE6ELNS1_3repE0EEENS1_38merge_mergepath_config_static_selectorELNS0_4arch9wavefront6targetE0EEEvSM_.has_dyn_sized_stack, 0
	.set _ZN7rocprim17ROCPRIM_400000_NS6detail17trampoline_kernelINS0_14default_configENS1_38merge_sort_block_merge_config_selectorIlNS0_10empty_typeEEEZZNS1_27merge_sort_block_merge_implIS3_PlPS5_mZN2at6native12_GLOBAL__N_124unique_dim_cuda_templateIaEESt5tupleIJNSA_6TensorESF_SF_EERKSF_lbbbEUlllE_EE10hipError_tT0_T1_T2_jT3_P12ihipStream_tbPNSt15iterator_traitsISL_E10value_typeEPNSR_ISM_E10value_typeEPSN_NS1_7vsmem_tEENKUlT_SL_SM_SN_E_clIS8_S8_S9_S9_EESK_S10_SL_SM_SN_EUlS10_E0_NS1_11comp_targetILNS1_3genE2ELNS1_11target_archE906ELNS1_3gpuE6ELNS1_3repE0EEENS1_38merge_mergepath_config_static_selectorELNS0_4arch9wavefront6targetE0EEEvSM_.has_recursion, 0
	.set _ZN7rocprim17ROCPRIM_400000_NS6detail17trampoline_kernelINS0_14default_configENS1_38merge_sort_block_merge_config_selectorIlNS0_10empty_typeEEEZZNS1_27merge_sort_block_merge_implIS3_PlPS5_mZN2at6native12_GLOBAL__N_124unique_dim_cuda_templateIaEESt5tupleIJNSA_6TensorESF_SF_EERKSF_lbbbEUlllE_EE10hipError_tT0_T1_T2_jT3_P12ihipStream_tbPNSt15iterator_traitsISL_E10value_typeEPNSR_ISM_E10value_typeEPSN_NS1_7vsmem_tEENKUlT_SL_SM_SN_E_clIS8_S8_S9_S9_EESK_S10_SL_SM_SN_EUlS10_E0_NS1_11comp_targetILNS1_3genE2ELNS1_11target_archE906ELNS1_3gpuE6ELNS1_3repE0EEENS1_38merge_mergepath_config_static_selectorELNS0_4arch9wavefront6targetE0EEEvSM_.has_indirect_call, 0
	.section	.AMDGPU.csdata,"",@progbits
; Kernel info:
; codeLenInByte = 0
; TotalNumSgprs: 0
; NumVgprs: 0
; ScratchSize: 0
; MemoryBound: 0
; FloatMode: 240
; IeeeMode: 1
; LDSByteSize: 0 bytes/workgroup (compile time only)
; SGPRBlocks: 0
; VGPRBlocks: 0
; NumSGPRsForWavesPerEU: 1
; NumVGPRsForWavesPerEU: 1
; NamedBarCnt: 0
; Occupancy: 16
; WaveLimiterHint : 0
; COMPUTE_PGM_RSRC2:SCRATCH_EN: 0
; COMPUTE_PGM_RSRC2:USER_SGPR: 2
; COMPUTE_PGM_RSRC2:TRAP_HANDLER: 0
; COMPUTE_PGM_RSRC2:TGID_X_EN: 1
; COMPUTE_PGM_RSRC2:TGID_Y_EN: 0
; COMPUTE_PGM_RSRC2:TGID_Z_EN: 0
; COMPUTE_PGM_RSRC2:TIDIG_COMP_CNT: 0
	.section	.text._ZN7rocprim17ROCPRIM_400000_NS6detail17trampoline_kernelINS0_14default_configENS1_38merge_sort_block_merge_config_selectorIlNS0_10empty_typeEEEZZNS1_27merge_sort_block_merge_implIS3_PlPS5_mZN2at6native12_GLOBAL__N_124unique_dim_cuda_templateIaEESt5tupleIJNSA_6TensorESF_SF_EERKSF_lbbbEUlllE_EE10hipError_tT0_T1_T2_jT3_P12ihipStream_tbPNSt15iterator_traitsISL_E10value_typeEPNSR_ISM_E10value_typeEPSN_NS1_7vsmem_tEENKUlT_SL_SM_SN_E_clIS8_S8_S9_S9_EESK_S10_SL_SM_SN_EUlS10_E0_NS1_11comp_targetILNS1_3genE9ELNS1_11target_archE1100ELNS1_3gpuE3ELNS1_3repE0EEENS1_38merge_mergepath_config_static_selectorELNS0_4arch9wavefront6targetE0EEEvSM_,"axG",@progbits,_ZN7rocprim17ROCPRIM_400000_NS6detail17trampoline_kernelINS0_14default_configENS1_38merge_sort_block_merge_config_selectorIlNS0_10empty_typeEEEZZNS1_27merge_sort_block_merge_implIS3_PlPS5_mZN2at6native12_GLOBAL__N_124unique_dim_cuda_templateIaEESt5tupleIJNSA_6TensorESF_SF_EERKSF_lbbbEUlllE_EE10hipError_tT0_T1_T2_jT3_P12ihipStream_tbPNSt15iterator_traitsISL_E10value_typeEPNSR_ISM_E10value_typeEPSN_NS1_7vsmem_tEENKUlT_SL_SM_SN_E_clIS8_S8_S9_S9_EESK_S10_SL_SM_SN_EUlS10_E0_NS1_11comp_targetILNS1_3genE9ELNS1_11target_archE1100ELNS1_3gpuE3ELNS1_3repE0EEENS1_38merge_mergepath_config_static_selectorELNS0_4arch9wavefront6targetE0EEEvSM_,comdat
	.globl	_ZN7rocprim17ROCPRIM_400000_NS6detail17trampoline_kernelINS0_14default_configENS1_38merge_sort_block_merge_config_selectorIlNS0_10empty_typeEEEZZNS1_27merge_sort_block_merge_implIS3_PlPS5_mZN2at6native12_GLOBAL__N_124unique_dim_cuda_templateIaEESt5tupleIJNSA_6TensorESF_SF_EERKSF_lbbbEUlllE_EE10hipError_tT0_T1_T2_jT3_P12ihipStream_tbPNSt15iterator_traitsISL_E10value_typeEPNSR_ISM_E10value_typeEPSN_NS1_7vsmem_tEENKUlT_SL_SM_SN_E_clIS8_S8_S9_S9_EESK_S10_SL_SM_SN_EUlS10_E0_NS1_11comp_targetILNS1_3genE9ELNS1_11target_archE1100ELNS1_3gpuE3ELNS1_3repE0EEENS1_38merge_mergepath_config_static_selectorELNS0_4arch9wavefront6targetE0EEEvSM_ ; -- Begin function _ZN7rocprim17ROCPRIM_400000_NS6detail17trampoline_kernelINS0_14default_configENS1_38merge_sort_block_merge_config_selectorIlNS0_10empty_typeEEEZZNS1_27merge_sort_block_merge_implIS3_PlPS5_mZN2at6native12_GLOBAL__N_124unique_dim_cuda_templateIaEESt5tupleIJNSA_6TensorESF_SF_EERKSF_lbbbEUlllE_EE10hipError_tT0_T1_T2_jT3_P12ihipStream_tbPNSt15iterator_traitsISL_E10value_typeEPNSR_ISM_E10value_typeEPSN_NS1_7vsmem_tEENKUlT_SL_SM_SN_E_clIS8_S8_S9_S9_EESK_S10_SL_SM_SN_EUlS10_E0_NS1_11comp_targetILNS1_3genE9ELNS1_11target_archE1100ELNS1_3gpuE3ELNS1_3repE0EEENS1_38merge_mergepath_config_static_selectorELNS0_4arch9wavefront6targetE0EEEvSM_
	.p2align	8
	.type	_ZN7rocprim17ROCPRIM_400000_NS6detail17trampoline_kernelINS0_14default_configENS1_38merge_sort_block_merge_config_selectorIlNS0_10empty_typeEEEZZNS1_27merge_sort_block_merge_implIS3_PlPS5_mZN2at6native12_GLOBAL__N_124unique_dim_cuda_templateIaEESt5tupleIJNSA_6TensorESF_SF_EERKSF_lbbbEUlllE_EE10hipError_tT0_T1_T2_jT3_P12ihipStream_tbPNSt15iterator_traitsISL_E10value_typeEPNSR_ISM_E10value_typeEPSN_NS1_7vsmem_tEENKUlT_SL_SM_SN_E_clIS8_S8_S9_S9_EESK_S10_SL_SM_SN_EUlS10_E0_NS1_11comp_targetILNS1_3genE9ELNS1_11target_archE1100ELNS1_3gpuE3ELNS1_3repE0EEENS1_38merge_mergepath_config_static_selectorELNS0_4arch9wavefront6targetE0EEEvSM_,@function
_ZN7rocprim17ROCPRIM_400000_NS6detail17trampoline_kernelINS0_14default_configENS1_38merge_sort_block_merge_config_selectorIlNS0_10empty_typeEEEZZNS1_27merge_sort_block_merge_implIS3_PlPS5_mZN2at6native12_GLOBAL__N_124unique_dim_cuda_templateIaEESt5tupleIJNSA_6TensorESF_SF_EERKSF_lbbbEUlllE_EE10hipError_tT0_T1_T2_jT3_P12ihipStream_tbPNSt15iterator_traitsISL_E10value_typeEPNSR_ISM_E10value_typeEPSN_NS1_7vsmem_tEENKUlT_SL_SM_SN_E_clIS8_S8_S9_S9_EESK_S10_SL_SM_SN_EUlS10_E0_NS1_11comp_targetILNS1_3genE9ELNS1_11target_archE1100ELNS1_3gpuE3ELNS1_3repE0EEENS1_38merge_mergepath_config_static_selectorELNS0_4arch9wavefront6targetE0EEEvSM_: ; @_ZN7rocprim17ROCPRIM_400000_NS6detail17trampoline_kernelINS0_14default_configENS1_38merge_sort_block_merge_config_selectorIlNS0_10empty_typeEEEZZNS1_27merge_sort_block_merge_implIS3_PlPS5_mZN2at6native12_GLOBAL__N_124unique_dim_cuda_templateIaEESt5tupleIJNSA_6TensorESF_SF_EERKSF_lbbbEUlllE_EE10hipError_tT0_T1_T2_jT3_P12ihipStream_tbPNSt15iterator_traitsISL_E10value_typeEPNSR_ISM_E10value_typeEPSN_NS1_7vsmem_tEENKUlT_SL_SM_SN_E_clIS8_S8_S9_S9_EESK_S10_SL_SM_SN_EUlS10_E0_NS1_11comp_targetILNS1_3genE9ELNS1_11target_archE1100ELNS1_3gpuE3ELNS1_3repE0EEENS1_38merge_mergepath_config_static_selectorELNS0_4arch9wavefront6targetE0EEEvSM_
; %bb.0:
	.section	.rodata,"a",@progbits
	.p2align	6, 0x0
	.amdhsa_kernel _ZN7rocprim17ROCPRIM_400000_NS6detail17trampoline_kernelINS0_14default_configENS1_38merge_sort_block_merge_config_selectorIlNS0_10empty_typeEEEZZNS1_27merge_sort_block_merge_implIS3_PlPS5_mZN2at6native12_GLOBAL__N_124unique_dim_cuda_templateIaEESt5tupleIJNSA_6TensorESF_SF_EERKSF_lbbbEUlllE_EE10hipError_tT0_T1_T2_jT3_P12ihipStream_tbPNSt15iterator_traitsISL_E10value_typeEPNSR_ISM_E10value_typeEPSN_NS1_7vsmem_tEENKUlT_SL_SM_SN_E_clIS8_S8_S9_S9_EESK_S10_SL_SM_SN_EUlS10_E0_NS1_11comp_targetILNS1_3genE9ELNS1_11target_archE1100ELNS1_3gpuE3ELNS1_3repE0EEENS1_38merge_mergepath_config_static_selectorELNS0_4arch9wavefront6targetE0EEEvSM_
		.amdhsa_group_segment_fixed_size 0
		.amdhsa_private_segment_fixed_size 0
		.amdhsa_kernarg_size 88
		.amdhsa_user_sgpr_count 2
		.amdhsa_user_sgpr_dispatch_ptr 0
		.amdhsa_user_sgpr_queue_ptr 0
		.amdhsa_user_sgpr_kernarg_segment_ptr 1
		.amdhsa_user_sgpr_dispatch_id 0
		.amdhsa_user_sgpr_kernarg_preload_length 0
		.amdhsa_user_sgpr_kernarg_preload_offset 0
		.amdhsa_user_sgpr_private_segment_size 0
		.amdhsa_wavefront_size32 1
		.amdhsa_uses_dynamic_stack 0
		.amdhsa_enable_private_segment 0
		.amdhsa_system_sgpr_workgroup_id_x 1
		.amdhsa_system_sgpr_workgroup_id_y 0
		.amdhsa_system_sgpr_workgroup_id_z 0
		.amdhsa_system_sgpr_workgroup_info 0
		.amdhsa_system_vgpr_workitem_id 0
		.amdhsa_next_free_vgpr 1
		.amdhsa_next_free_sgpr 1
		.amdhsa_named_barrier_count 0
		.amdhsa_reserve_vcc 0
		.amdhsa_float_round_mode_32 0
		.amdhsa_float_round_mode_16_64 0
		.amdhsa_float_denorm_mode_32 3
		.amdhsa_float_denorm_mode_16_64 3
		.amdhsa_fp16_overflow 0
		.amdhsa_memory_ordered 1
		.amdhsa_forward_progress 1
		.amdhsa_inst_pref_size 0
		.amdhsa_round_robin_scheduling 0
		.amdhsa_exception_fp_ieee_invalid_op 0
		.amdhsa_exception_fp_denorm_src 0
		.amdhsa_exception_fp_ieee_div_zero 0
		.amdhsa_exception_fp_ieee_overflow 0
		.amdhsa_exception_fp_ieee_underflow 0
		.amdhsa_exception_fp_ieee_inexact 0
		.amdhsa_exception_int_div_zero 0
	.end_amdhsa_kernel
	.section	.text._ZN7rocprim17ROCPRIM_400000_NS6detail17trampoline_kernelINS0_14default_configENS1_38merge_sort_block_merge_config_selectorIlNS0_10empty_typeEEEZZNS1_27merge_sort_block_merge_implIS3_PlPS5_mZN2at6native12_GLOBAL__N_124unique_dim_cuda_templateIaEESt5tupleIJNSA_6TensorESF_SF_EERKSF_lbbbEUlllE_EE10hipError_tT0_T1_T2_jT3_P12ihipStream_tbPNSt15iterator_traitsISL_E10value_typeEPNSR_ISM_E10value_typeEPSN_NS1_7vsmem_tEENKUlT_SL_SM_SN_E_clIS8_S8_S9_S9_EESK_S10_SL_SM_SN_EUlS10_E0_NS1_11comp_targetILNS1_3genE9ELNS1_11target_archE1100ELNS1_3gpuE3ELNS1_3repE0EEENS1_38merge_mergepath_config_static_selectorELNS0_4arch9wavefront6targetE0EEEvSM_,"axG",@progbits,_ZN7rocprim17ROCPRIM_400000_NS6detail17trampoline_kernelINS0_14default_configENS1_38merge_sort_block_merge_config_selectorIlNS0_10empty_typeEEEZZNS1_27merge_sort_block_merge_implIS3_PlPS5_mZN2at6native12_GLOBAL__N_124unique_dim_cuda_templateIaEESt5tupleIJNSA_6TensorESF_SF_EERKSF_lbbbEUlllE_EE10hipError_tT0_T1_T2_jT3_P12ihipStream_tbPNSt15iterator_traitsISL_E10value_typeEPNSR_ISM_E10value_typeEPSN_NS1_7vsmem_tEENKUlT_SL_SM_SN_E_clIS8_S8_S9_S9_EESK_S10_SL_SM_SN_EUlS10_E0_NS1_11comp_targetILNS1_3genE9ELNS1_11target_archE1100ELNS1_3gpuE3ELNS1_3repE0EEENS1_38merge_mergepath_config_static_selectorELNS0_4arch9wavefront6targetE0EEEvSM_,comdat
.Lfunc_end284:
	.size	_ZN7rocprim17ROCPRIM_400000_NS6detail17trampoline_kernelINS0_14default_configENS1_38merge_sort_block_merge_config_selectorIlNS0_10empty_typeEEEZZNS1_27merge_sort_block_merge_implIS3_PlPS5_mZN2at6native12_GLOBAL__N_124unique_dim_cuda_templateIaEESt5tupleIJNSA_6TensorESF_SF_EERKSF_lbbbEUlllE_EE10hipError_tT0_T1_T2_jT3_P12ihipStream_tbPNSt15iterator_traitsISL_E10value_typeEPNSR_ISM_E10value_typeEPSN_NS1_7vsmem_tEENKUlT_SL_SM_SN_E_clIS8_S8_S9_S9_EESK_S10_SL_SM_SN_EUlS10_E0_NS1_11comp_targetILNS1_3genE9ELNS1_11target_archE1100ELNS1_3gpuE3ELNS1_3repE0EEENS1_38merge_mergepath_config_static_selectorELNS0_4arch9wavefront6targetE0EEEvSM_, .Lfunc_end284-_ZN7rocprim17ROCPRIM_400000_NS6detail17trampoline_kernelINS0_14default_configENS1_38merge_sort_block_merge_config_selectorIlNS0_10empty_typeEEEZZNS1_27merge_sort_block_merge_implIS3_PlPS5_mZN2at6native12_GLOBAL__N_124unique_dim_cuda_templateIaEESt5tupleIJNSA_6TensorESF_SF_EERKSF_lbbbEUlllE_EE10hipError_tT0_T1_T2_jT3_P12ihipStream_tbPNSt15iterator_traitsISL_E10value_typeEPNSR_ISM_E10value_typeEPSN_NS1_7vsmem_tEENKUlT_SL_SM_SN_E_clIS8_S8_S9_S9_EESK_S10_SL_SM_SN_EUlS10_E0_NS1_11comp_targetILNS1_3genE9ELNS1_11target_archE1100ELNS1_3gpuE3ELNS1_3repE0EEENS1_38merge_mergepath_config_static_selectorELNS0_4arch9wavefront6targetE0EEEvSM_
                                        ; -- End function
	.set _ZN7rocprim17ROCPRIM_400000_NS6detail17trampoline_kernelINS0_14default_configENS1_38merge_sort_block_merge_config_selectorIlNS0_10empty_typeEEEZZNS1_27merge_sort_block_merge_implIS3_PlPS5_mZN2at6native12_GLOBAL__N_124unique_dim_cuda_templateIaEESt5tupleIJNSA_6TensorESF_SF_EERKSF_lbbbEUlllE_EE10hipError_tT0_T1_T2_jT3_P12ihipStream_tbPNSt15iterator_traitsISL_E10value_typeEPNSR_ISM_E10value_typeEPSN_NS1_7vsmem_tEENKUlT_SL_SM_SN_E_clIS8_S8_S9_S9_EESK_S10_SL_SM_SN_EUlS10_E0_NS1_11comp_targetILNS1_3genE9ELNS1_11target_archE1100ELNS1_3gpuE3ELNS1_3repE0EEENS1_38merge_mergepath_config_static_selectorELNS0_4arch9wavefront6targetE0EEEvSM_.num_vgpr, 0
	.set _ZN7rocprim17ROCPRIM_400000_NS6detail17trampoline_kernelINS0_14default_configENS1_38merge_sort_block_merge_config_selectorIlNS0_10empty_typeEEEZZNS1_27merge_sort_block_merge_implIS3_PlPS5_mZN2at6native12_GLOBAL__N_124unique_dim_cuda_templateIaEESt5tupleIJNSA_6TensorESF_SF_EERKSF_lbbbEUlllE_EE10hipError_tT0_T1_T2_jT3_P12ihipStream_tbPNSt15iterator_traitsISL_E10value_typeEPNSR_ISM_E10value_typeEPSN_NS1_7vsmem_tEENKUlT_SL_SM_SN_E_clIS8_S8_S9_S9_EESK_S10_SL_SM_SN_EUlS10_E0_NS1_11comp_targetILNS1_3genE9ELNS1_11target_archE1100ELNS1_3gpuE3ELNS1_3repE0EEENS1_38merge_mergepath_config_static_selectorELNS0_4arch9wavefront6targetE0EEEvSM_.num_agpr, 0
	.set _ZN7rocprim17ROCPRIM_400000_NS6detail17trampoline_kernelINS0_14default_configENS1_38merge_sort_block_merge_config_selectorIlNS0_10empty_typeEEEZZNS1_27merge_sort_block_merge_implIS3_PlPS5_mZN2at6native12_GLOBAL__N_124unique_dim_cuda_templateIaEESt5tupleIJNSA_6TensorESF_SF_EERKSF_lbbbEUlllE_EE10hipError_tT0_T1_T2_jT3_P12ihipStream_tbPNSt15iterator_traitsISL_E10value_typeEPNSR_ISM_E10value_typeEPSN_NS1_7vsmem_tEENKUlT_SL_SM_SN_E_clIS8_S8_S9_S9_EESK_S10_SL_SM_SN_EUlS10_E0_NS1_11comp_targetILNS1_3genE9ELNS1_11target_archE1100ELNS1_3gpuE3ELNS1_3repE0EEENS1_38merge_mergepath_config_static_selectorELNS0_4arch9wavefront6targetE0EEEvSM_.numbered_sgpr, 0
	.set _ZN7rocprim17ROCPRIM_400000_NS6detail17trampoline_kernelINS0_14default_configENS1_38merge_sort_block_merge_config_selectorIlNS0_10empty_typeEEEZZNS1_27merge_sort_block_merge_implIS3_PlPS5_mZN2at6native12_GLOBAL__N_124unique_dim_cuda_templateIaEESt5tupleIJNSA_6TensorESF_SF_EERKSF_lbbbEUlllE_EE10hipError_tT0_T1_T2_jT3_P12ihipStream_tbPNSt15iterator_traitsISL_E10value_typeEPNSR_ISM_E10value_typeEPSN_NS1_7vsmem_tEENKUlT_SL_SM_SN_E_clIS8_S8_S9_S9_EESK_S10_SL_SM_SN_EUlS10_E0_NS1_11comp_targetILNS1_3genE9ELNS1_11target_archE1100ELNS1_3gpuE3ELNS1_3repE0EEENS1_38merge_mergepath_config_static_selectorELNS0_4arch9wavefront6targetE0EEEvSM_.num_named_barrier, 0
	.set _ZN7rocprim17ROCPRIM_400000_NS6detail17trampoline_kernelINS0_14default_configENS1_38merge_sort_block_merge_config_selectorIlNS0_10empty_typeEEEZZNS1_27merge_sort_block_merge_implIS3_PlPS5_mZN2at6native12_GLOBAL__N_124unique_dim_cuda_templateIaEESt5tupleIJNSA_6TensorESF_SF_EERKSF_lbbbEUlllE_EE10hipError_tT0_T1_T2_jT3_P12ihipStream_tbPNSt15iterator_traitsISL_E10value_typeEPNSR_ISM_E10value_typeEPSN_NS1_7vsmem_tEENKUlT_SL_SM_SN_E_clIS8_S8_S9_S9_EESK_S10_SL_SM_SN_EUlS10_E0_NS1_11comp_targetILNS1_3genE9ELNS1_11target_archE1100ELNS1_3gpuE3ELNS1_3repE0EEENS1_38merge_mergepath_config_static_selectorELNS0_4arch9wavefront6targetE0EEEvSM_.private_seg_size, 0
	.set _ZN7rocprim17ROCPRIM_400000_NS6detail17trampoline_kernelINS0_14default_configENS1_38merge_sort_block_merge_config_selectorIlNS0_10empty_typeEEEZZNS1_27merge_sort_block_merge_implIS3_PlPS5_mZN2at6native12_GLOBAL__N_124unique_dim_cuda_templateIaEESt5tupleIJNSA_6TensorESF_SF_EERKSF_lbbbEUlllE_EE10hipError_tT0_T1_T2_jT3_P12ihipStream_tbPNSt15iterator_traitsISL_E10value_typeEPNSR_ISM_E10value_typeEPSN_NS1_7vsmem_tEENKUlT_SL_SM_SN_E_clIS8_S8_S9_S9_EESK_S10_SL_SM_SN_EUlS10_E0_NS1_11comp_targetILNS1_3genE9ELNS1_11target_archE1100ELNS1_3gpuE3ELNS1_3repE0EEENS1_38merge_mergepath_config_static_selectorELNS0_4arch9wavefront6targetE0EEEvSM_.uses_vcc, 0
	.set _ZN7rocprim17ROCPRIM_400000_NS6detail17trampoline_kernelINS0_14default_configENS1_38merge_sort_block_merge_config_selectorIlNS0_10empty_typeEEEZZNS1_27merge_sort_block_merge_implIS3_PlPS5_mZN2at6native12_GLOBAL__N_124unique_dim_cuda_templateIaEESt5tupleIJNSA_6TensorESF_SF_EERKSF_lbbbEUlllE_EE10hipError_tT0_T1_T2_jT3_P12ihipStream_tbPNSt15iterator_traitsISL_E10value_typeEPNSR_ISM_E10value_typeEPSN_NS1_7vsmem_tEENKUlT_SL_SM_SN_E_clIS8_S8_S9_S9_EESK_S10_SL_SM_SN_EUlS10_E0_NS1_11comp_targetILNS1_3genE9ELNS1_11target_archE1100ELNS1_3gpuE3ELNS1_3repE0EEENS1_38merge_mergepath_config_static_selectorELNS0_4arch9wavefront6targetE0EEEvSM_.uses_flat_scratch, 0
	.set _ZN7rocprim17ROCPRIM_400000_NS6detail17trampoline_kernelINS0_14default_configENS1_38merge_sort_block_merge_config_selectorIlNS0_10empty_typeEEEZZNS1_27merge_sort_block_merge_implIS3_PlPS5_mZN2at6native12_GLOBAL__N_124unique_dim_cuda_templateIaEESt5tupleIJNSA_6TensorESF_SF_EERKSF_lbbbEUlllE_EE10hipError_tT0_T1_T2_jT3_P12ihipStream_tbPNSt15iterator_traitsISL_E10value_typeEPNSR_ISM_E10value_typeEPSN_NS1_7vsmem_tEENKUlT_SL_SM_SN_E_clIS8_S8_S9_S9_EESK_S10_SL_SM_SN_EUlS10_E0_NS1_11comp_targetILNS1_3genE9ELNS1_11target_archE1100ELNS1_3gpuE3ELNS1_3repE0EEENS1_38merge_mergepath_config_static_selectorELNS0_4arch9wavefront6targetE0EEEvSM_.has_dyn_sized_stack, 0
	.set _ZN7rocprim17ROCPRIM_400000_NS6detail17trampoline_kernelINS0_14default_configENS1_38merge_sort_block_merge_config_selectorIlNS0_10empty_typeEEEZZNS1_27merge_sort_block_merge_implIS3_PlPS5_mZN2at6native12_GLOBAL__N_124unique_dim_cuda_templateIaEESt5tupleIJNSA_6TensorESF_SF_EERKSF_lbbbEUlllE_EE10hipError_tT0_T1_T2_jT3_P12ihipStream_tbPNSt15iterator_traitsISL_E10value_typeEPNSR_ISM_E10value_typeEPSN_NS1_7vsmem_tEENKUlT_SL_SM_SN_E_clIS8_S8_S9_S9_EESK_S10_SL_SM_SN_EUlS10_E0_NS1_11comp_targetILNS1_3genE9ELNS1_11target_archE1100ELNS1_3gpuE3ELNS1_3repE0EEENS1_38merge_mergepath_config_static_selectorELNS0_4arch9wavefront6targetE0EEEvSM_.has_recursion, 0
	.set _ZN7rocprim17ROCPRIM_400000_NS6detail17trampoline_kernelINS0_14default_configENS1_38merge_sort_block_merge_config_selectorIlNS0_10empty_typeEEEZZNS1_27merge_sort_block_merge_implIS3_PlPS5_mZN2at6native12_GLOBAL__N_124unique_dim_cuda_templateIaEESt5tupleIJNSA_6TensorESF_SF_EERKSF_lbbbEUlllE_EE10hipError_tT0_T1_T2_jT3_P12ihipStream_tbPNSt15iterator_traitsISL_E10value_typeEPNSR_ISM_E10value_typeEPSN_NS1_7vsmem_tEENKUlT_SL_SM_SN_E_clIS8_S8_S9_S9_EESK_S10_SL_SM_SN_EUlS10_E0_NS1_11comp_targetILNS1_3genE9ELNS1_11target_archE1100ELNS1_3gpuE3ELNS1_3repE0EEENS1_38merge_mergepath_config_static_selectorELNS0_4arch9wavefront6targetE0EEEvSM_.has_indirect_call, 0
	.section	.AMDGPU.csdata,"",@progbits
; Kernel info:
; codeLenInByte = 0
; TotalNumSgprs: 0
; NumVgprs: 0
; ScratchSize: 0
; MemoryBound: 0
; FloatMode: 240
; IeeeMode: 1
; LDSByteSize: 0 bytes/workgroup (compile time only)
; SGPRBlocks: 0
; VGPRBlocks: 0
; NumSGPRsForWavesPerEU: 1
; NumVGPRsForWavesPerEU: 1
; NamedBarCnt: 0
; Occupancy: 16
; WaveLimiterHint : 0
; COMPUTE_PGM_RSRC2:SCRATCH_EN: 0
; COMPUTE_PGM_RSRC2:USER_SGPR: 2
; COMPUTE_PGM_RSRC2:TRAP_HANDLER: 0
; COMPUTE_PGM_RSRC2:TGID_X_EN: 1
; COMPUTE_PGM_RSRC2:TGID_Y_EN: 0
; COMPUTE_PGM_RSRC2:TGID_Z_EN: 0
; COMPUTE_PGM_RSRC2:TIDIG_COMP_CNT: 0
	.section	.text._ZN7rocprim17ROCPRIM_400000_NS6detail17trampoline_kernelINS0_14default_configENS1_38merge_sort_block_merge_config_selectorIlNS0_10empty_typeEEEZZNS1_27merge_sort_block_merge_implIS3_PlPS5_mZN2at6native12_GLOBAL__N_124unique_dim_cuda_templateIaEESt5tupleIJNSA_6TensorESF_SF_EERKSF_lbbbEUlllE_EE10hipError_tT0_T1_T2_jT3_P12ihipStream_tbPNSt15iterator_traitsISL_E10value_typeEPNSR_ISM_E10value_typeEPSN_NS1_7vsmem_tEENKUlT_SL_SM_SN_E_clIS8_S8_S9_S9_EESK_S10_SL_SM_SN_EUlS10_E0_NS1_11comp_targetILNS1_3genE8ELNS1_11target_archE1030ELNS1_3gpuE2ELNS1_3repE0EEENS1_38merge_mergepath_config_static_selectorELNS0_4arch9wavefront6targetE0EEEvSM_,"axG",@progbits,_ZN7rocprim17ROCPRIM_400000_NS6detail17trampoline_kernelINS0_14default_configENS1_38merge_sort_block_merge_config_selectorIlNS0_10empty_typeEEEZZNS1_27merge_sort_block_merge_implIS3_PlPS5_mZN2at6native12_GLOBAL__N_124unique_dim_cuda_templateIaEESt5tupleIJNSA_6TensorESF_SF_EERKSF_lbbbEUlllE_EE10hipError_tT0_T1_T2_jT3_P12ihipStream_tbPNSt15iterator_traitsISL_E10value_typeEPNSR_ISM_E10value_typeEPSN_NS1_7vsmem_tEENKUlT_SL_SM_SN_E_clIS8_S8_S9_S9_EESK_S10_SL_SM_SN_EUlS10_E0_NS1_11comp_targetILNS1_3genE8ELNS1_11target_archE1030ELNS1_3gpuE2ELNS1_3repE0EEENS1_38merge_mergepath_config_static_selectorELNS0_4arch9wavefront6targetE0EEEvSM_,comdat
	.globl	_ZN7rocprim17ROCPRIM_400000_NS6detail17trampoline_kernelINS0_14default_configENS1_38merge_sort_block_merge_config_selectorIlNS0_10empty_typeEEEZZNS1_27merge_sort_block_merge_implIS3_PlPS5_mZN2at6native12_GLOBAL__N_124unique_dim_cuda_templateIaEESt5tupleIJNSA_6TensorESF_SF_EERKSF_lbbbEUlllE_EE10hipError_tT0_T1_T2_jT3_P12ihipStream_tbPNSt15iterator_traitsISL_E10value_typeEPNSR_ISM_E10value_typeEPSN_NS1_7vsmem_tEENKUlT_SL_SM_SN_E_clIS8_S8_S9_S9_EESK_S10_SL_SM_SN_EUlS10_E0_NS1_11comp_targetILNS1_3genE8ELNS1_11target_archE1030ELNS1_3gpuE2ELNS1_3repE0EEENS1_38merge_mergepath_config_static_selectorELNS0_4arch9wavefront6targetE0EEEvSM_ ; -- Begin function _ZN7rocprim17ROCPRIM_400000_NS6detail17trampoline_kernelINS0_14default_configENS1_38merge_sort_block_merge_config_selectorIlNS0_10empty_typeEEEZZNS1_27merge_sort_block_merge_implIS3_PlPS5_mZN2at6native12_GLOBAL__N_124unique_dim_cuda_templateIaEESt5tupleIJNSA_6TensorESF_SF_EERKSF_lbbbEUlllE_EE10hipError_tT0_T1_T2_jT3_P12ihipStream_tbPNSt15iterator_traitsISL_E10value_typeEPNSR_ISM_E10value_typeEPSN_NS1_7vsmem_tEENKUlT_SL_SM_SN_E_clIS8_S8_S9_S9_EESK_S10_SL_SM_SN_EUlS10_E0_NS1_11comp_targetILNS1_3genE8ELNS1_11target_archE1030ELNS1_3gpuE2ELNS1_3repE0EEENS1_38merge_mergepath_config_static_selectorELNS0_4arch9wavefront6targetE0EEEvSM_
	.p2align	8
	.type	_ZN7rocprim17ROCPRIM_400000_NS6detail17trampoline_kernelINS0_14default_configENS1_38merge_sort_block_merge_config_selectorIlNS0_10empty_typeEEEZZNS1_27merge_sort_block_merge_implIS3_PlPS5_mZN2at6native12_GLOBAL__N_124unique_dim_cuda_templateIaEESt5tupleIJNSA_6TensorESF_SF_EERKSF_lbbbEUlllE_EE10hipError_tT0_T1_T2_jT3_P12ihipStream_tbPNSt15iterator_traitsISL_E10value_typeEPNSR_ISM_E10value_typeEPSN_NS1_7vsmem_tEENKUlT_SL_SM_SN_E_clIS8_S8_S9_S9_EESK_S10_SL_SM_SN_EUlS10_E0_NS1_11comp_targetILNS1_3genE8ELNS1_11target_archE1030ELNS1_3gpuE2ELNS1_3repE0EEENS1_38merge_mergepath_config_static_selectorELNS0_4arch9wavefront6targetE0EEEvSM_,@function
_ZN7rocprim17ROCPRIM_400000_NS6detail17trampoline_kernelINS0_14default_configENS1_38merge_sort_block_merge_config_selectorIlNS0_10empty_typeEEEZZNS1_27merge_sort_block_merge_implIS3_PlPS5_mZN2at6native12_GLOBAL__N_124unique_dim_cuda_templateIaEESt5tupleIJNSA_6TensorESF_SF_EERKSF_lbbbEUlllE_EE10hipError_tT0_T1_T2_jT3_P12ihipStream_tbPNSt15iterator_traitsISL_E10value_typeEPNSR_ISM_E10value_typeEPSN_NS1_7vsmem_tEENKUlT_SL_SM_SN_E_clIS8_S8_S9_S9_EESK_S10_SL_SM_SN_EUlS10_E0_NS1_11comp_targetILNS1_3genE8ELNS1_11target_archE1030ELNS1_3gpuE2ELNS1_3repE0EEENS1_38merge_mergepath_config_static_selectorELNS0_4arch9wavefront6targetE0EEEvSM_: ; @_ZN7rocprim17ROCPRIM_400000_NS6detail17trampoline_kernelINS0_14default_configENS1_38merge_sort_block_merge_config_selectorIlNS0_10empty_typeEEEZZNS1_27merge_sort_block_merge_implIS3_PlPS5_mZN2at6native12_GLOBAL__N_124unique_dim_cuda_templateIaEESt5tupleIJNSA_6TensorESF_SF_EERKSF_lbbbEUlllE_EE10hipError_tT0_T1_T2_jT3_P12ihipStream_tbPNSt15iterator_traitsISL_E10value_typeEPNSR_ISM_E10value_typeEPSN_NS1_7vsmem_tEENKUlT_SL_SM_SN_E_clIS8_S8_S9_S9_EESK_S10_SL_SM_SN_EUlS10_E0_NS1_11comp_targetILNS1_3genE8ELNS1_11target_archE1030ELNS1_3gpuE2ELNS1_3repE0EEENS1_38merge_mergepath_config_static_selectorELNS0_4arch9wavefront6targetE0EEEvSM_
; %bb.0:
	.section	.rodata,"a",@progbits
	.p2align	6, 0x0
	.amdhsa_kernel _ZN7rocprim17ROCPRIM_400000_NS6detail17trampoline_kernelINS0_14default_configENS1_38merge_sort_block_merge_config_selectorIlNS0_10empty_typeEEEZZNS1_27merge_sort_block_merge_implIS3_PlPS5_mZN2at6native12_GLOBAL__N_124unique_dim_cuda_templateIaEESt5tupleIJNSA_6TensorESF_SF_EERKSF_lbbbEUlllE_EE10hipError_tT0_T1_T2_jT3_P12ihipStream_tbPNSt15iterator_traitsISL_E10value_typeEPNSR_ISM_E10value_typeEPSN_NS1_7vsmem_tEENKUlT_SL_SM_SN_E_clIS8_S8_S9_S9_EESK_S10_SL_SM_SN_EUlS10_E0_NS1_11comp_targetILNS1_3genE8ELNS1_11target_archE1030ELNS1_3gpuE2ELNS1_3repE0EEENS1_38merge_mergepath_config_static_selectorELNS0_4arch9wavefront6targetE0EEEvSM_
		.amdhsa_group_segment_fixed_size 0
		.amdhsa_private_segment_fixed_size 0
		.amdhsa_kernarg_size 88
		.amdhsa_user_sgpr_count 2
		.amdhsa_user_sgpr_dispatch_ptr 0
		.amdhsa_user_sgpr_queue_ptr 0
		.amdhsa_user_sgpr_kernarg_segment_ptr 1
		.amdhsa_user_sgpr_dispatch_id 0
		.amdhsa_user_sgpr_kernarg_preload_length 0
		.amdhsa_user_sgpr_kernarg_preload_offset 0
		.amdhsa_user_sgpr_private_segment_size 0
		.amdhsa_wavefront_size32 1
		.amdhsa_uses_dynamic_stack 0
		.amdhsa_enable_private_segment 0
		.amdhsa_system_sgpr_workgroup_id_x 1
		.amdhsa_system_sgpr_workgroup_id_y 0
		.amdhsa_system_sgpr_workgroup_id_z 0
		.amdhsa_system_sgpr_workgroup_info 0
		.amdhsa_system_vgpr_workitem_id 0
		.amdhsa_next_free_vgpr 1
		.amdhsa_next_free_sgpr 1
		.amdhsa_named_barrier_count 0
		.amdhsa_reserve_vcc 0
		.amdhsa_float_round_mode_32 0
		.amdhsa_float_round_mode_16_64 0
		.amdhsa_float_denorm_mode_32 3
		.amdhsa_float_denorm_mode_16_64 3
		.amdhsa_fp16_overflow 0
		.amdhsa_memory_ordered 1
		.amdhsa_forward_progress 1
		.amdhsa_inst_pref_size 0
		.amdhsa_round_robin_scheduling 0
		.amdhsa_exception_fp_ieee_invalid_op 0
		.amdhsa_exception_fp_denorm_src 0
		.amdhsa_exception_fp_ieee_div_zero 0
		.amdhsa_exception_fp_ieee_overflow 0
		.amdhsa_exception_fp_ieee_underflow 0
		.amdhsa_exception_fp_ieee_inexact 0
		.amdhsa_exception_int_div_zero 0
	.end_amdhsa_kernel
	.section	.text._ZN7rocprim17ROCPRIM_400000_NS6detail17trampoline_kernelINS0_14default_configENS1_38merge_sort_block_merge_config_selectorIlNS0_10empty_typeEEEZZNS1_27merge_sort_block_merge_implIS3_PlPS5_mZN2at6native12_GLOBAL__N_124unique_dim_cuda_templateIaEESt5tupleIJNSA_6TensorESF_SF_EERKSF_lbbbEUlllE_EE10hipError_tT0_T1_T2_jT3_P12ihipStream_tbPNSt15iterator_traitsISL_E10value_typeEPNSR_ISM_E10value_typeEPSN_NS1_7vsmem_tEENKUlT_SL_SM_SN_E_clIS8_S8_S9_S9_EESK_S10_SL_SM_SN_EUlS10_E0_NS1_11comp_targetILNS1_3genE8ELNS1_11target_archE1030ELNS1_3gpuE2ELNS1_3repE0EEENS1_38merge_mergepath_config_static_selectorELNS0_4arch9wavefront6targetE0EEEvSM_,"axG",@progbits,_ZN7rocprim17ROCPRIM_400000_NS6detail17trampoline_kernelINS0_14default_configENS1_38merge_sort_block_merge_config_selectorIlNS0_10empty_typeEEEZZNS1_27merge_sort_block_merge_implIS3_PlPS5_mZN2at6native12_GLOBAL__N_124unique_dim_cuda_templateIaEESt5tupleIJNSA_6TensorESF_SF_EERKSF_lbbbEUlllE_EE10hipError_tT0_T1_T2_jT3_P12ihipStream_tbPNSt15iterator_traitsISL_E10value_typeEPNSR_ISM_E10value_typeEPSN_NS1_7vsmem_tEENKUlT_SL_SM_SN_E_clIS8_S8_S9_S9_EESK_S10_SL_SM_SN_EUlS10_E0_NS1_11comp_targetILNS1_3genE8ELNS1_11target_archE1030ELNS1_3gpuE2ELNS1_3repE0EEENS1_38merge_mergepath_config_static_selectorELNS0_4arch9wavefront6targetE0EEEvSM_,comdat
.Lfunc_end285:
	.size	_ZN7rocprim17ROCPRIM_400000_NS6detail17trampoline_kernelINS0_14default_configENS1_38merge_sort_block_merge_config_selectorIlNS0_10empty_typeEEEZZNS1_27merge_sort_block_merge_implIS3_PlPS5_mZN2at6native12_GLOBAL__N_124unique_dim_cuda_templateIaEESt5tupleIJNSA_6TensorESF_SF_EERKSF_lbbbEUlllE_EE10hipError_tT0_T1_T2_jT3_P12ihipStream_tbPNSt15iterator_traitsISL_E10value_typeEPNSR_ISM_E10value_typeEPSN_NS1_7vsmem_tEENKUlT_SL_SM_SN_E_clIS8_S8_S9_S9_EESK_S10_SL_SM_SN_EUlS10_E0_NS1_11comp_targetILNS1_3genE8ELNS1_11target_archE1030ELNS1_3gpuE2ELNS1_3repE0EEENS1_38merge_mergepath_config_static_selectorELNS0_4arch9wavefront6targetE0EEEvSM_, .Lfunc_end285-_ZN7rocprim17ROCPRIM_400000_NS6detail17trampoline_kernelINS0_14default_configENS1_38merge_sort_block_merge_config_selectorIlNS0_10empty_typeEEEZZNS1_27merge_sort_block_merge_implIS3_PlPS5_mZN2at6native12_GLOBAL__N_124unique_dim_cuda_templateIaEESt5tupleIJNSA_6TensorESF_SF_EERKSF_lbbbEUlllE_EE10hipError_tT0_T1_T2_jT3_P12ihipStream_tbPNSt15iterator_traitsISL_E10value_typeEPNSR_ISM_E10value_typeEPSN_NS1_7vsmem_tEENKUlT_SL_SM_SN_E_clIS8_S8_S9_S9_EESK_S10_SL_SM_SN_EUlS10_E0_NS1_11comp_targetILNS1_3genE8ELNS1_11target_archE1030ELNS1_3gpuE2ELNS1_3repE0EEENS1_38merge_mergepath_config_static_selectorELNS0_4arch9wavefront6targetE0EEEvSM_
                                        ; -- End function
	.set _ZN7rocprim17ROCPRIM_400000_NS6detail17trampoline_kernelINS0_14default_configENS1_38merge_sort_block_merge_config_selectorIlNS0_10empty_typeEEEZZNS1_27merge_sort_block_merge_implIS3_PlPS5_mZN2at6native12_GLOBAL__N_124unique_dim_cuda_templateIaEESt5tupleIJNSA_6TensorESF_SF_EERKSF_lbbbEUlllE_EE10hipError_tT0_T1_T2_jT3_P12ihipStream_tbPNSt15iterator_traitsISL_E10value_typeEPNSR_ISM_E10value_typeEPSN_NS1_7vsmem_tEENKUlT_SL_SM_SN_E_clIS8_S8_S9_S9_EESK_S10_SL_SM_SN_EUlS10_E0_NS1_11comp_targetILNS1_3genE8ELNS1_11target_archE1030ELNS1_3gpuE2ELNS1_3repE0EEENS1_38merge_mergepath_config_static_selectorELNS0_4arch9wavefront6targetE0EEEvSM_.num_vgpr, 0
	.set _ZN7rocprim17ROCPRIM_400000_NS6detail17trampoline_kernelINS0_14default_configENS1_38merge_sort_block_merge_config_selectorIlNS0_10empty_typeEEEZZNS1_27merge_sort_block_merge_implIS3_PlPS5_mZN2at6native12_GLOBAL__N_124unique_dim_cuda_templateIaEESt5tupleIJNSA_6TensorESF_SF_EERKSF_lbbbEUlllE_EE10hipError_tT0_T1_T2_jT3_P12ihipStream_tbPNSt15iterator_traitsISL_E10value_typeEPNSR_ISM_E10value_typeEPSN_NS1_7vsmem_tEENKUlT_SL_SM_SN_E_clIS8_S8_S9_S9_EESK_S10_SL_SM_SN_EUlS10_E0_NS1_11comp_targetILNS1_3genE8ELNS1_11target_archE1030ELNS1_3gpuE2ELNS1_3repE0EEENS1_38merge_mergepath_config_static_selectorELNS0_4arch9wavefront6targetE0EEEvSM_.num_agpr, 0
	.set _ZN7rocprim17ROCPRIM_400000_NS6detail17trampoline_kernelINS0_14default_configENS1_38merge_sort_block_merge_config_selectorIlNS0_10empty_typeEEEZZNS1_27merge_sort_block_merge_implIS3_PlPS5_mZN2at6native12_GLOBAL__N_124unique_dim_cuda_templateIaEESt5tupleIJNSA_6TensorESF_SF_EERKSF_lbbbEUlllE_EE10hipError_tT0_T1_T2_jT3_P12ihipStream_tbPNSt15iterator_traitsISL_E10value_typeEPNSR_ISM_E10value_typeEPSN_NS1_7vsmem_tEENKUlT_SL_SM_SN_E_clIS8_S8_S9_S9_EESK_S10_SL_SM_SN_EUlS10_E0_NS1_11comp_targetILNS1_3genE8ELNS1_11target_archE1030ELNS1_3gpuE2ELNS1_3repE0EEENS1_38merge_mergepath_config_static_selectorELNS0_4arch9wavefront6targetE0EEEvSM_.numbered_sgpr, 0
	.set _ZN7rocprim17ROCPRIM_400000_NS6detail17trampoline_kernelINS0_14default_configENS1_38merge_sort_block_merge_config_selectorIlNS0_10empty_typeEEEZZNS1_27merge_sort_block_merge_implIS3_PlPS5_mZN2at6native12_GLOBAL__N_124unique_dim_cuda_templateIaEESt5tupleIJNSA_6TensorESF_SF_EERKSF_lbbbEUlllE_EE10hipError_tT0_T1_T2_jT3_P12ihipStream_tbPNSt15iterator_traitsISL_E10value_typeEPNSR_ISM_E10value_typeEPSN_NS1_7vsmem_tEENKUlT_SL_SM_SN_E_clIS8_S8_S9_S9_EESK_S10_SL_SM_SN_EUlS10_E0_NS1_11comp_targetILNS1_3genE8ELNS1_11target_archE1030ELNS1_3gpuE2ELNS1_3repE0EEENS1_38merge_mergepath_config_static_selectorELNS0_4arch9wavefront6targetE0EEEvSM_.num_named_barrier, 0
	.set _ZN7rocprim17ROCPRIM_400000_NS6detail17trampoline_kernelINS0_14default_configENS1_38merge_sort_block_merge_config_selectorIlNS0_10empty_typeEEEZZNS1_27merge_sort_block_merge_implIS3_PlPS5_mZN2at6native12_GLOBAL__N_124unique_dim_cuda_templateIaEESt5tupleIJNSA_6TensorESF_SF_EERKSF_lbbbEUlllE_EE10hipError_tT0_T1_T2_jT3_P12ihipStream_tbPNSt15iterator_traitsISL_E10value_typeEPNSR_ISM_E10value_typeEPSN_NS1_7vsmem_tEENKUlT_SL_SM_SN_E_clIS8_S8_S9_S9_EESK_S10_SL_SM_SN_EUlS10_E0_NS1_11comp_targetILNS1_3genE8ELNS1_11target_archE1030ELNS1_3gpuE2ELNS1_3repE0EEENS1_38merge_mergepath_config_static_selectorELNS0_4arch9wavefront6targetE0EEEvSM_.private_seg_size, 0
	.set _ZN7rocprim17ROCPRIM_400000_NS6detail17trampoline_kernelINS0_14default_configENS1_38merge_sort_block_merge_config_selectorIlNS0_10empty_typeEEEZZNS1_27merge_sort_block_merge_implIS3_PlPS5_mZN2at6native12_GLOBAL__N_124unique_dim_cuda_templateIaEESt5tupleIJNSA_6TensorESF_SF_EERKSF_lbbbEUlllE_EE10hipError_tT0_T1_T2_jT3_P12ihipStream_tbPNSt15iterator_traitsISL_E10value_typeEPNSR_ISM_E10value_typeEPSN_NS1_7vsmem_tEENKUlT_SL_SM_SN_E_clIS8_S8_S9_S9_EESK_S10_SL_SM_SN_EUlS10_E0_NS1_11comp_targetILNS1_3genE8ELNS1_11target_archE1030ELNS1_3gpuE2ELNS1_3repE0EEENS1_38merge_mergepath_config_static_selectorELNS0_4arch9wavefront6targetE0EEEvSM_.uses_vcc, 0
	.set _ZN7rocprim17ROCPRIM_400000_NS6detail17trampoline_kernelINS0_14default_configENS1_38merge_sort_block_merge_config_selectorIlNS0_10empty_typeEEEZZNS1_27merge_sort_block_merge_implIS3_PlPS5_mZN2at6native12_GLOBAL__N_124unique_dim_cuda_templateIaEESt5tupleIJNSA_6TensorESF_SF_EERKSF_lbbbEUlllE_EE10hipError_tT0_T1_T2_jT3_P12ihipStream_tbPNSt15iterator_traitsISL_E10value_typeEPNSR_ISM_E10value_typeEPSN_NS1_7vsmem_tEENKUlT_SL_SM_SN_E_clIS8_S8_S9_S9_EESK_S10_SL_SM_SN_EUlS10_E0_NS1_11comp_targetILNS1_3genE8ELNS1_11target_archE1030ELNS1_3gpuE2ELNS1_3repE0EEENS1_38merge_mergepath_config_static_selectorELNS0_4arch9wavefront6targetE0EEEvSM_.uses_flat_scratch, 0
	.set _ZN7rocprim17ROCPRIM_400000_NS6detail17trampoline_kernelINS0_14default_configENS1_38merge_sort_block_merge_config_selectorIlNS0_10empty_typeEEEZZNS1_27merge_sort_block_merge_implIS3_PlPS5_mZN2at6native12_GLOBAL__N_124unique_dim_cuda_templateIaEESt5tupleIJNSA_6TensorESF_SF_EERKSF_lbbbEUlllE_EE10hipError_tT0_T1_T2_jT3_P12ihipStream_tbPNSt15iterator_traitsISL_E10value_typeEPNSR_ISM_E10value_typeEPSN_NS1_7vsmem_tEENKUlT_SL_SM_SN_E_clIS8_S8_S9_S9_EESK_S10_SL_SM_SN_EUlS10_E0_NS1_11comp_targetILNS1_3genE8ELNS1_11target_archE1030ELNS1_3gpuE2ELNS1_3repE0EEENS1_38merge_mergepath_config_static_selectorELNS0_4arch9wavefront6targetE0EEEvSM_.has_dyn_sized_stack, 0
	.set _ZN7rocprim17ROCPRIM_400000_NS6detail17trampoline_kernelINS0_14default_configENS1_38merge_sort_block_merge_config_selectorIlNS0_10empty_typeEEEZZNS1_27merge_sort_block_merge_implIS3_PlPS5_mZN2at6native12_GLOBAL__N_124unique_dim_cuda_templateIaEESt5tupleIJNSA_6TensorESF_SF_EERKSF_lbbbEUlllE_EE10hipError_tT0_T1_T2_jT3_P12ihipStream_tbPNSt15iterator_traitsISL_E10value_typeEPNSR_ISM_E10value_typeEPSN_NS1_7vsmem_tEENKUlT_SL_SM_SN_E_clIS8_S8_S9_S9_EESK_S10_SL_SM_SN_EUlS10_E0_NS1_11comp_targetILNS1_3genE8ELNS1_11target_archE1030ELNS1_3gpuE2ELNS1_3repE0EEENS1_38merge_mergepath_config_static_selectorELNS0_4arch9wavefront6targetE0EEEvSM_.has_recursion, 0
	.set _ZN7rocprim17ROCPRIM_400000_NS6detail17trampoline_kernelINS0_14default_configENS1_38merge_sort_block_merge_config_selectorIlNS0_10empty_typeEEEZZNS1_27merge_sort_block_merge_implIS3_PlPS5_mZN2at6native12_GLOBAL__N_124unique_dim_cuda_templateIaEESt5tupleIJNSA_6TensorESF_SF_EERKSF_lbbbEUlllE_EE10hipError_tT0_T1_T2_jT3_P12ihipStream_tbPNSt15iterator_traitsISL_E10value_typeEPNSR_ISM_E10value_typeEPSN_NS1_7vsmem_tEENKUlT_SL_SM_SN_E_clIS8_S8_S9_S9_EESK_S10_SL_SM_SN_EUlS10_E0_NS1_11comp_targetILNS1_3genE8ELNS1_11target_archE1030ELNS1_3gpuE2ELNS1_3repE0EEENS1_38merge_mergepath_config_static_selectorELNS0_4arch9wavefront6targetE0EEEvSM_.has_indirect_call, 0
	.section	.AMDGPU.csdata,"",@progbits
; Kernel info:
; codeLenInByte = 0
; TotalNumSgprs: 0
; NumVgprs: 0
; ScratchSize: 0
; MemoryBound: 0
; FloatMode: 240
; IeeeMode: 1
; LDSByteSize: 0 bytes/workgroup (compile time only)
; SGPRBlocks: 0
; VGPRBlocks: 0
; NumSGPRsForWavesPerEU: 1
; NumVGPRsForWavesPerEU: 1
; NamedBarCnt: 0
; Occupancy: 16
; WaveLimiterHint : 0
; COMPUTE_PGM_RSRC2:SCRATCH_EN: 0
; COMPUTE_PGM_RSRC2:USER_SGPR: 2
; COMPUTE_PGM_RSRC2:TRAP_HANDLER: 0
; COMPUTE_PGM_RSRC2:TGID_X_EN: 1
; COMPUTE_PGM_RSRC2:TGID_Y_EN: 0
; COMPUTE_PGM_RSRC2:TGID_Z_EN: 0
; COMPUTE_PGM_RSRC2:TIDIG_COMP_CNT: 0
	.section	.text._ZN7rocprim17ROCPRIM_400000_NS6detail17trampoline_kernelINS0_14default_configENS1_38merge_sort_block_merge_config_selectorIlNS0_10empty_typeEEEZZNS1_27merge_sort_block_merge_implIS3_PlPS5_mZN2at6native12_GLOBAL__N_124unique_dim_cuda_templateIaEESt5tupleIJNSA_6TensorESF_SF_EERKSF_lbbbEUlllE_EE10hipError_tT0_T1_T2_jT3_P12ihipStream_tbPNSt15iterator_traitsISL_E10value_typeEPNSR_ISM_E10value_typeEPSN_NS1_7vsmem_tEENKUlT_SL_SM_SN_E_clIS8_S8_S9_S9_EESK_S10_SL_SM_SN_EUlS10_E1_NS1_11comp_targetILNS1_3genE0ELNS1_11target_archE4294967295ELNS1_3gpuE0ELNS1_3repE0EEENS1_36merge_oddeven_config_static_selectorELNS0_4arch9wavefront6targetE0EEEvSM_,"axG",@progbits,_ZN7rocprim17ROCPRIM_400000_NS6detail17trampoline_kernelINS0_14default_configENS1_38merge_sort_block_merge_config_selectorIlNS0_10empty_typeEEEZZNS1_27merge_sort_block_merge_implIS3_PlPS5_mZN2at6native12_GLOBAL__N_124unique_dim_cuda_templateIaEESt5tupleIJNSA_6TensorESF_SF_EERKSF_lbbbEUlllE_EE10hipError_tT0_T1_T2_jT3_P12ihipStream_tbPNSt15iterator_traitsISL_E10value_typeEPNSR_ISM_E10value_typeEPSN_NS1_7vsmem_tEENKUlT_SL_SM_SN_E_clIS8_S8_S9_S9_EESK_S10_SL_SM_SN_EUlS10_E1_NS1_11comp_targetILNS1_3genE0ELNS1_11target_archE4294967295ELNS1_3gpuE0ELNS1_3repE0EEENS1_36merge_oddeven_config_static_selectorELNS0_4arch9wavefront6targetE0EEEvSM_,comdat
	.globl	_ZN7rocprim17ROCPRIM_400000_NS6detail17trampoline_kernelINS0_14default_configENS1_38merge_sort_block_merge_config_selectorIlNS0_10empty_typeEEEZZNS1_27merge_sort_block_merge_implIS3_PlPS5_mZN2at6native12_GLOBAL__N_124unique_dim_cuda_templateIaEESt5tupleIJNSA_6TensorESF_SF_EERKSF_lbbbEUlllE_EE10hipError_tT0_T1_T2_jT3_P12ihipStream_tbPNSt15iterator_traitsISL_E10value_typeEPNSR_ISM_E10value_typeEPSN_NS1_7vsmem_tEENKUlT_SL_SM_SN_E_clIS8_S8_S9_S9_EESK_S10_SL_SM_SN_EUlS10_E1_NS1_11comp_targetILNS1_3genE0ELNS1_11target_archE4294967295ELNS1_3gpuE0ELNS1_3repE0EEENS1_36merge_oddeven_config_static_selectorELNS0_4arch9wavefront6targetE0EEEvSM_ ; -- Begin function _ZN7rocprim17ROCPRIM_400000_NS6detail17trampoline_kernelINS0_14default_configENS1_38merge_sort_block_merge_config_selectorIlNS0_10empty_typeEEEZZNS1_27merge_sort_block_merge_implIS3_PlPS5_mZN2at6native12_GLOBAL__N_124unique_dim_cuda_templateIaEESt5tupleIJNSA_6TensorESF_SF_EERKSF_lbbbEUlllE_EE10hipError_tT0_T1_T2_jT3_P12ihipStream_tbPNSt15iterator_traitsISL_E10value_typeEPNSR_ISM_E10value_typeEPSN_NS1_7vsmem_tEENKUlT_SL_SM_SN_E_clIS8_S8_S9_S9_EESK_S10_SL_SM_SN_EUlS10_E1_NS1_11comp_targetILNS1_3genE0ELNS1_11target_archE4294967295ELNS1_3gpuE0ELNS1_3repE0EEENS1_36merge_oddeven_config_static_selectorELNS0_4arch9wavefront6targetE0EEEvSM_
	.p2align	8
	.type	_ZN7rocprim17ROCPRIM_400000_NS6detail17trampoline_kernelINS0_14default_configENS1_38merge_sort_block_merge_config_selectorIlNS0_10empty_typeEEEZZNS1_27merge_sort_block_merge_implIS3_PlPS5_mZN2at6native12_GLOBAL__N_124unique_dim_cuda_templateIaEESt5tupleIJNSA_6TensorESF_SF_EERKSF_lbbbEUlllE_EE10hipError_tT0_T1_T2_jT3_P12ihipStream_tbPNSt15iterator_traitsISL_E10value_typeEPNSR_ISM_E10value_typeEPSN_NS1_7vsmem_tEENKUlT_SL_SM_SN_E_clIS8_S8_S9_S9_EESK_S10_SL_SM_SN_EUlS10_E1_NS1_11comp_targetILNS1_3genE0ELNS1_11target_archE4294967295ELNS1_3gpuE0ELNS1_3repE0EEENS1_36merge_oddeven_config_static_selectorELNS0_4arch9wavefront6targetE0EEEvSM_,@function
_ZN7rocprim17ROCPRIM_400000_NS6detail17trampoline_kernelINS0_14default_configENS1_38merge_sort_block_merge_config_selectorIlNS0_10empty_typeEEEZZNS1_27merge_sort_block_merge_implIS3_PlPS5_mZN2at6native12_GLOBAL__N_124unique_dim_cuda_templateIaEESt5tupleIJNSA_6TensorESF_SF_EERKSF_lbbbEUlllE_EE10hipError_tT0_T1_T2_jT3_P12ihipStream_tbPNSt15iterator_traitsISL_E10value_typeEPNSR_ISM_E10value_typeEPSN_NS1_7vsmem_tEENKUlT_SL_SM_SN_E_clIS8_S8_S9_S9_EESK_S10_SL_SM_SN_EUlS10_E1_NS1_11comp_targetILNS1_3genE0ELNS1_11target_archE4294967295ELNS1_3gpuE0ELNS1_3repE0EEENS1_36merge_oddeven_config_static_selectorELNS0_4arch9wavefront6targetE0EEEvSM_: ; @_ZN7rocprim17ROCPRIM_400000_NS6detail17trampoline_kernelINS0_14default_configENS1_38merge_sort_block_merge_config_selectorIlNS0_10empty_typeEEEZZNS1_27merge_sort_block_merge_implIS3_PlPS5_mZN2at6native12_GLOBAL__N_124unique_dim_cuda_templateIaEESt5tupleIJNSA_6TensorESF_SF_EERKSF_lbbbEUlllE_EE10hipError_tT0_T1_T2_jT3_P12ihipStream_tbPNSt15iterator_traitsISL_E10value_typeEPNSR_ISM_E10value_typeEPSN_NS1_7vsmem_tEENKUlT_SL_SM_SN_E_clIS8_S8_S9_S9_EESK_S10_SL_SM_SN_EUlS10_E1_NS1_11comp_targetILNS1_3genE0ELNS1_11target_archE4294967295ELNS1_3gpuE0ELNS1_3repE0EEENS1_36merge_oddeven_config_static_selectorELNS0_4arch9wavefront6targetE0EEEvSM_
; %bb.0:
	s_load_b32 s3, s[0:1], 0x20
	s_bfe_u32 s2, ttmp6, 0x4000c
	s_and_b32 s4, ttmp6, 15
	s_add_co_i32 s2, s2, 1
	s_getreg_b32 s5, hwreg(HW_REG_IB_STS2, 6, 4)
	s_mul_i32 s2, ttmp9, s2
	s_mov_b32 s13, 0
	s_add_co_i32 s4, s4, s2
	s_cmp_eq_u32 s5, 0
	s_cselect_b32 s9, ttmp9, s4
	s_wait_kmcnt 0x0
	s_lshr_b32 s2, s3, 8
	s_delay_alu instid0(SALU_CYCLE_1) | instskip(SKIP_4) | instid1(SALU_CYCLE_1)
	s_cmp_lg_u32 s9, s2
	s_cselect_b32 s8, -1, 0
	s_cmp_eq_u32 s9, s2
	s_cselect_b32 s16, -1, 0
	s_lshl_b32 s12, s9, 8
	s_sub_co_i32 s2, s3, s12
	s_delay_alu instid0(SALU_CYCLE_1) | instskip(SKIP_1) | instid1(SALU_CYCLE_1)
	v_cmp_gt_u32_e64 s2, s2, v0
	s_or_b32 s4, s8, s2
	s_and_saveexec_b32 s5, s4
	s_cbranch_execz .LBB286_54
; %bb.1:
	s_clause 0x1
	s_load_b128 s[4:7], s[0:1], 0x0
	s_load_b32 s17, s[0:1], 0x28
	s_lshl_b64 s[10:11], s[12:13], 3
	s_wait_kmcnt 0x0
	s_add_nc_u64 s[10:11], s[4:5], s[10:11]
	global_load_b64 v[2:3], v0, s[10:11] scale_offset
	s_wait_xcnt 0x0
	s_lshr_b32 s10, s17, 8
	s_delay_alu instid0(SALU_CYCLE_1) | instskip(NEXT) | instid1(SALU_CYCLE_1)
	s_sub_co_i32 s11, 0, s10
	s_and_b32 s9, s9, s11
	s_delay_alu instid0(SALU_CYCLE_1) | instskip(NEXT) | instid1(SALU_CYCLE_1)
	s_and_b32 s10, s9, s10
	s_cmp_lg_u32 s10, 0
	s_cselect_b32 s14, -1, 0
	s_lshl_b32 s18, s9, 8
	s_sub_co_i32 s9, 0, s17
	s_cmp_eq_u32 s10, 0
	s_cselect_b32 s15, s17, s9
	s_delay_alu instid0(SALU_CYCLE_1) | instskip(NEXT) | instid1(SALU_CYCLE_1)
	s_add_co_i32 s15, s15, s18
	s_cmp_lt_u32 s15, s3
	s_cbranch_scc1 .LBB286_3
; %bb.2:
	v_add_nc_u32_e32 v1, s12, v0
	s_delay_alu instid0(VALU_DEP_1) | instskip(SKIP_1) | instid1(SALU_CYCLE_1)
	v_cmp_gt_u32_e32 vcc_lo, s3, v1
	s_or_b32 s9, vcc_lo, s8
	s_and_b32 s13, s9, exec_lo
	s_cbranch_execz .LBB286_4
	s_branch .LBB286_52
.LBB286_3:
                                        ; implicit-def: $vgpr1
.LBB286_4:
	s_load_b128 s[8:11], s[0:1], 0x30
	v_add_nc_u32_e32 v0, s12, v0
	s_min_u32 s12, s15, s3
	s_and_b32 vcc_lo, exec_lo, s16
	s_wait_xcnt 0x0
	s_add_co_i32 s0, s18, s12
	s_delay_alu instid0(SALU_CYCLE_1) | instskip(SKIP_3) | instid1(VALU_DEP_1)
	v_subrev_nc_u32_e32 v0, s0, v0
	s_add_co_i32 s0, s12, s17
	s_min_u32 s17, s18, s12
	s_min_u32 s16, s0, s3
	v_add_nc_u32_e32 v12, s17, v0
	s_wait_loadcnt 0x0
	s_wait_kmcnt 0x0
	v_mul_u64_e32 v[4:5], s[8:9], v[2:3]
	v_cmp_gt_i64_e64 s1, s[8:9], 0
	s_cbranch_vccz .LBB286_26
; %bb.5:
                                        ; implicit-def: $vgpr1
	s_and_saveexec_b32 s17, s2
	s_cbranch_execz .LBB286_29
; %bb.6:
	v_mov_b32_e32 v13, s12
	s_cmp_ge_u32 s15, s16
	s_cbranch_scc1 .LBB286_28
; %bb.7:
	v_add_nc_u64_e32 v[0:1], s[10:11], v[4:5]
	v_dual_mov_b32 v14, s16 :: v_dual_mov_b32 v13, s12
	s_mov_b32 s18, 0
	s_branch .LBB286_10
.LBB286_8:                              ;   in Loop: Header=BB286_10 Depth=1
	s_or_b32 exec_lo, exec_lo, s20
.LBB286_9:                              ;   in Loop: Header=BB286_10 Depth=1
	s_wait_loadcnt 0x0
	v_dual_add_nc_u32 v6, 1, v15 :: v_dual_cndmask_b32 v14, v15, v14, s19
	s_delay_alu instid0(VALU_DEP_1) | instskip(NEXT) | instid1(VALU_DEP_1)
	v_cndmask_b32_e64 v13, v13, v6, s19
	v_cmp_ge_u32_e32 vcc_lo, v13, v14
	s_or_b32 s18, vcc_lo, s18
	s_delay_alu instid0(SALU_CYCLE_1)
	s_and_not1_b32 exec_lo, exec_lo, s18
	s_cbranch_execz .LBB286_27
.LBB286_10:                             ; =>This Loop Header: Depth=1
                                        ;     Child Loop BB286_14 Depth 2
                                        ;     Child Loop BB286_23 Depth 2
	s_delay_alu instid0(VALU_DEP_1) | instskip(SKIP_2) | instid1(VALU_DEP_1)
	v_add_nc_u32_e32 v6, v13, v14
	s_and_not1_b32 vcc_lo, exec_lo, s14
	s_mov_b32 s0, -1
                                        ; implicit-def: $sgpr19
	v_lshrrev_b32_e32 v15, 1, v6
	global_load_b64 v[6:7], v15, s[4:5] scale_offset
	s_cbranch_vccnz .LBB286_19
; %bb.11:                               ;   in Loop: Header=BB286_10 Depth=1
	s_and_not1_b32 vcc_lo, exec_lo, s1
	s_cbranch_vccnz .LBB286_17
; %bb.12:                               ;   in Loop: Header=BB286_10 Depth=1
	s_wait_loadcnt 0x0
	v_mad_nc_u64_u32 v[8:9], v6, s8, s[10:11]
	v_mov_b64_e32 v[10:11], v[0:1]
	s_mov_b32 s19, 0
	s_mov_b64 s[2:3], s[8:9]
                                        ; implicit-def: $sgpr20
                                        ; implicit-def: $sgpr21
                                        ; implicit-def: $sgpr22
                                        ; implicit-def: $sgpr23
	s_delay_alu instid0(VALU_DEP_2) | instskip(NEXT) | instid1(VALU_DEP_1)
	v_mad_u32 v9, v7, s8, v9
	v_mad_u32 v9, v6, s9, v9
	s_branch .LBB286_14
.LBB286_13:                             ;   in Loop: Header=BB286_14 Depth=2
	s_or_b32 exec_lo, exec_lo, s24
	s_delay_alu instid0(SALU_CYCLE_1) | instskip(NEXT) | instid1(SALU_CYCLE_1)
	s_and_b32 s24, exec_lo, s21
	s_or_b32 s19, s24, s19
	s_and_not1_b32 s23, s23, exec_lo
	s_and_b32 s0, s0, exec_lo
	s_and_not1_b32 s20, s20, exec_lo
	s_and_b32 s24, s22, exec_lo
	s_or_b32 s23, s23, s0
	s_or_b32 s20, s20, s24
	s_and_not1_b32 exec_lo, exec_lo, s19
	s_cbranch_execz .LBB286_16
.LBB286_14:                             ;   Parent Loop BB286_10 Depth=1
                                        ; =>  This Inner Loop Header: Depth=2
	global_load_u8 v16, v[10:11], off
	global_load_u8 v17, v[8:9], off
	s_and_not1_b32 s22, s22, exec_lo
	s_or_b32 s21, s21, exec_lo
	s_wait_loadcnt 0x1
	v_bfe_i32 v18, v16, 0, 8
	s_wait_loadcnt 0x0
	v_bfe_i32 v19, v17, 0, 8
	v_and_b32_e32 v16, 0xff, v16
	v_and_b32_e32 v17, 0xff, v17
	s_delay_alu instid0(VALU_DEP_3) | instskip(SKIP_2) | instid1(SALU_CYCLE_1)
	v_cmp_le_i16_e32 vcc_lo, v18, v19
	v_cmp_lt_i16_e64 s0, v18, v19
	s_and_b32 s24, vcc_lo, s23
	s_or_b32 s0, s0, s24
	s_delay_alu instid0(SALU_CYCLE_1) | instskip(NEXT) | instid1(SALU_CYCLE_1)
	s_and_b32 s24, s0, exec_lo
	s_or_b32 s22, s22, s24
	s_mov_b32 s24, exec_lo
	v_cmpx_eq_u16_e64 v16, v17
	s_cbranch_execz .LBB286_13
; %bb.15:                               ;   in Loop: Header=BB286_14 Depth=2
	s_add_nc_u64 s[2:3], s[2:3], -1
	v_add_nc_u64_e32 v[10:11], 1, v[10:11]
	s_cmp_eq_u64 s[2:3], 0
	v_add_nc_u64_e32 v[8:9], 1, v[8:9]
	s_cselect_b32 s23, -1, 0
	s_and_not1_b32 s21, s21, exec_lo
	s_and_b32 s23, s23, exec_lo
	s_and_not1_b32 s22, s22, exec_lo
	s_or_b32 s21, s21, s23
                                        ; implicit-def: $sgpr23
	s_branch .LBB286_13
.LBB286_16:                             ;   in Loop: Header=BB286_10 Depth=1
	s_or_b32 exec_lo, exec_lo, s19
	s_xor_b32 s19, s20, -1
	s_branch .LBB286_18
.LBB286_17:                             ;   in Loop: Header=BB286_10 Depth=1
	s_mov_b32 s19, -1
.LBB286_18:                             ;   in Loop: Header=BB286_10 Depth=1
	s_mov_b32 s0, 0
.LBB286_19:                             ;   in Loop: Header=BB286_10 Depth=1
	s_delay_alu instid0(SALU_CYCLE_1)
	s_and_not1_b32 vcc_lo, exec_lo, s0
	s_cbranch_vccnz .LBB286_9
; %bb.20:                               ;   in Loop: Header=BB286_10 Depth=1
	s_and_not1_b32 vcc_lo, exec_lo, s1
	s_cbranch_vccnz .LBB286_25
; %bb.21:                               ;   in Loop: Header=BB286_10 Depth=1
	s_wait_loadcnt 0x0
	v_mad_nc_u64_u32 v[8:9], v6, s8, s[10:11]
	s_mov_b32 s20, 0
	s_mov_b64 s[2:3], s[8:9]
                                        ; implicit-def: $sgpr19
                                        ; implicit-def: $sgpr21
                                        ; implicit-def: $sgpr22
                                        ; implicit-def: $sgpr23
	s_delay_alu instid0(VALU_DEP_1) | instskip(NEXT) | instid1(VALU_DEP_1)
	v_mad_u32 v7, v7, s8, v9
	v_mad_u32 v9, v6, s9, v7
	v_mov_b64_e32 v[6:7], v[0:1]
	s_branch .LBB286_23
.LBB286_22:                             ;   in Loop: Header=BB286_23 Depth=2
	s_or_b32 exec_lo, exec_lo, s24
	s_delay_alu instid0(SALU_CYCLE_1) | instskip(NEXT) | instid1(SALU_CYCLE_1)
	s_and_b32 s24, exec_lo, s21
	s_or_b32 s20, s24, s20
	s_and_not1_b32 s23, s23, exec_lo
	s_and_b32 s0, s0, exec_lo
	s_and_not1_b32 s19, s19, exec_lo
	s_and_b32 s24, s22, exec_lo
	s_or_b32 s23, s23, s0
	s_or_b32 s19, s19, s24
	s_and_not1_b32 exec_lo, exec_lo, s20
	s_cbranch_execz .LBB286_8
.LBB286_23:                             ;   Parent Loop BB286_10 Depth=1
                                        ; =>  This Inner Loop Header: Depth=2
	global_load_u8 v10, v[8:9], off
	global_load_u8 v11, v[6:7], off
	s_and_not1_b32 s22, s22, exec_lo
	s_or_b32 s21, s21, exec_lo
	s_wait_loadcnt 0x1
	v_bfe_i32 v16, v10, 0, 8
	s_wait_loadcnt 0x0
	v_bfe_i32 v17, v11, 0, 8
	v_and_b32_e32 v10, 0xff, v10
	v_and_b32_e32 v11, 0xff, v11
	s_delay_alu instid0(VALU_DEP_3) | instskip(SKIP_2) | instid1(SALU_CYCLE_1)
	v_cmp_le_i16_e32 vcc_lo, v16, v17
	v_cmp_lt_i16_e64 s0, v16, v17
	s_and_b32 s24, vcc_lo, s23
	s_or_b32 s0, s0, s24
	s_delay_alu instid0(SALU_CYCLE_1) | instskip(NEXT) | instid1(SALU_CYCLE_1)
	s_and_b32 s24, s0, exec_lo
	s_or_b32 s22, s22, s24
	s_mov_b32 s24, exec_lo
	v_cmpx_eq_u16_e64 v10, v11
	s_cbranch_execz .LBB286_22
; %bb.24:                               ;   in Loop: Header=BB286_23 Depth=2
	s_add_nc_u64 s[2:3], s[2:3], -1
	v_add_nc_u64_e32 v[8:9], 1, v[8:9]
	s_cmp_eq_u64 s[2:3], 0
	v_add_nc_u64_e32 v[6:7], 1, v[6:7]
	s_cselect_b32 s23, -1, 0
	s_and_not1_b32 s21, s21, exec_lo
	s_and_b32 s23, s23, exec_lo
	s_and_not1_b32 s22, s22, exec_lo
	s_or_b32 s21, s21, s23
                                        ; implicit-def: $sgpr23
	s_branch .LBB286_22
.LBB286_25:                             ;   in Loop: Header=BB286_10 Depth=1
	s_mov_b32 s19, 0
	s_branch .LBB286_9
.LBB286_26:
                                        ; implicit-def: $vgpr1
	s_cbranch_execnz .LBB286_30
	s_branch .LBB286_52
.LBB286_27:
	s_or_b32 exec_lo, exec_lo, s18
.LBB286_28:
	s_delay_alu instid0(VALU_DEP_1)
	v_add_nc_u32_e32 v1, v13, v12
	s_or_b32 s13, s13, exec_lo
.LBB286_29:
	s_or_b32 exec_lo, exec_lo, s17
	s_branch .LBB286_52
.LBB286_30:
	v_mov_b32_e32 v10, s12
	s_cmp_ge_u32 s15, s16
	s_cbranch_scc1 .LBB286_51
; %bb.31:
	v_add_nc_u64_e32 v[0:1], s[10:11], v[4:5]
	v_dual_mov_b32 v11, s16 :: v_dual_mov_b32 v10, s12
	v_cndmask_b32_e64 v13, 0, 1, s1
	s_mov_b32 s12, 0
	s_branch .LBB286_34
.LBB286_32:                             ;   in Loop: Header=BB286_34 Depth=1
	s_or_b32 exec_lo, exec_lo, s15
.LBB286_33:                             ;   in Loop: Header=BB286_34 Depth=1
	s_wait_loadcnt 0x0
	v_dual_add_nc_u32 v4, 1, v14 :: v_dual_cndmask_b32 v11, v14, v11, s13
	s_delay_alu instid0(VALU_DEP_1) | instskip(NEXT) | instid1(VALU_DEP_1)
	v_cndmask_b32_e64 v10, v10, v4, s13
	v_cmp_ge_u32_e32 vcc_lo, v10, v11
	s_or_b32 s12, vcc_lo, s12
	s_delay_alu instid0(SALU_CYCLE_1)
	s_and_not1_b32 exec_lo, exec_lo, s12
	s_cbranch_execz .LBB286_50
.LBB286_34:                             ; =>This Loop Header: Depth=1
                                        ;     Child Loop BB286_38 Depth 2
                                        ;     Child Loop BB286_47 Depth 2
	s_delay_alu instid0(VALU_DEP_2) | instskip(NEXT) | instid1(VALU_DEP_2)
	v_add_nc_u32_e32 v4, v10, v11
	v_cmp_ne_u32_e64 s0, 1, v13
	s_and_not1_b32 vcc_lo, exec_lo, s14
	s_mov_b32 s2, -1
                                        ; implicit-def: $sgpr13
	v_lshrrev_b32_e32 v14, 1, v4
	global_load_b64 v[4:5], v14, s[4:5] scale_offset
	s_cbranch_vccnz .LBB286_43
; %bb.35:                               ;   in Loop: Header=BB286_34 Depth=1
	s_and_b32 vcc_lo, exec_lo, s0
	s_cbranch_vccnz .LBB286_41
; %bb.36:                               ;   in Loop: Header=BB286_34 Depth=1
	s_wait_loadcnt 0x0
	v_mad_nc_u64_u32 v[6:7], v4, s8, s[10:11]
	v_mov_b64_e32 v[8:9], v[0:1]
	s_mov_b32 s13, 0
	s_mov_b64 s[2:3], s[8:9]
                                        ; implicit-def: $sgpr15
                                        ; implicit-def: $sgpr16
                                        ; implicit-def: $sgpr17
                                        ; implicit-def: $sgpr18
	s_delay_alu instid0(VALU_DEP_2) | instskip(NEXT) | instid1(VALU_DEP_1)
	v_mad_u32 v7, v5, s8, v7
	v_mad_u32 v7, v4, s9, v7
	s_branch .LBB286_38
.LBB286_37:                             ;   in Loop: Header=BB286_38 Depth=2
	s_or_b32 exec_lo, exec_lo, s19
	s_delay_alu instid0(SALU_CYCLE_1) | instskip(NEXT) | instid1(SALU_CYCLE_1)
	s_and_b32 s19, exec_lo, s16
	s_or_b32 s13, s19, s13
	s_and_not1_b32 s18, s18, exec_lo
	s_and_b32 s0, s0, exec_lo
	s_and_not1_b32 s15, s15, exec_lo
	s_and_b32 s19, s17, exec_lo
	s_or_b32 s18, s18, s0
	s_or_b32 s15, s15, s19
	s_and_not1_b32 exec_lo, exec_lo, s13
	s_cbranch_execz .LBB286_40
.LBB286_38:                             ;   Parent Loop BB286_34 Depth=1
                                        ; =>  This Inner Loop Header: Depth=2
	global_load_u8 v15, v[8:9], off
	global_load_u8 v16, v[6:7], off
	s_and_not1_b32 s17, s17, exec_lo
	s_or_b32 s16, s16, exec_lo
	s_wait_loadcnt 0x1
	v_bfe_i32 v17, v15, 0, 8
	s_wait_loadcnt 0x0
	v_bfe_i32 v18, v16, 0, 8
	v_and_b32_e32 v15, 0xff, v15
	v_and_b32_e32 v16, 0xff, v16
	s_delay_alu instid0(VALU_DEP_3) | instskip(SKIP_2) | instid1(SALU_CYCLE_1)
	v_cmp_le_i16_e32 vcc_lo, v17, v18
	v_cmp_lt_i16_e64 s0, v17, v18
	s_and_b32 s19, vcc_lo, s18
	s_or_b32 s0, s0, s19
	s_delay_alu instid0(SALU_CYCLE_1) | instskip(NEXT) | instid1(SALU_CYCLE_1)
	s_and_b32 s19, s0, exec_lo
	s_or_b32 s17, s17, s19
	s_mov_b32 s19, exec_lo
	v_cmpx_eq_u16_e64 v15, v16
	s_cbranch_execz .LBB286_37
; %bb.39:                               ;   in Loop: Header=BB286_38 Depth=2
	s_add_nc_u64 s[2:3], s[2:3], -1
	v_add_nc_u64_e32 v[8:9], 1, v[8:9]
	s_cmp_eq_u64 s[2:3], 0
	v_add_nc_u64_e32 v[6:7], 1, v[6:7]
	s_cselect_b32 s18, -1, 0
	s_and_not1_b32 s16, s16, exec_lo
	s_and_b32 s18, s18, exec_lo
	s_and_not1_b32 s17, s17, exec_lo
	s_or_b32 s16, s16, s18
                                        ; implicit-def: $sgpr18
	s_branch .LBB286_37
.LBB286_40:                             ;   in Loop: Header=BB286_34 Depth=1
	s_or_b32 exec_lo, exec_lo, s13
	s_xor_b32 s13, s15, -1
	s_branch .LBB286_42
.LBB286_41:                             ;   in Loop: Header=BB286_34 Depth=1
	s_mov_b32 s13, -1
.LBB286_42:                             ;   in Loop: Header=BB286_34 Depth=1
	s_mov_b32 s2, 0
.LBB286_43:                             ;   in Loop: Header=BB286_34 Depth=1
	s_delay_alu instid0(SALU_CYCLE_1)
	s_and_not1_b32 vcc_lo, exec_lo, s2
	s_cbranch_vccnz .LBB286_33
; %bb.44:                               ;   in Loop: Header=BB286_34 Depth=1
	s_and_not1_b32 vcc_lo, exec_lo, s1
	s_cbranch_vccnz .LBB286_49
; %bb.45:                               ;   in Loop: Header=BB286_34 Depth=1
	s_wait_loadcnt 0x0
	v_mad_nc_u64_u32 v[6:7], v4, s8, s[10:11]
	s_mov_b32 s15, 0
	s_mov_b64 s[2:3], s[8:9]
                                        ; implicit-def: $sgpr13
                                        ; implicit-def: $sgpr16
                                        ; implicit-def: $sgpr17
                                        ; implicit-def: $sgpr18
	s_delay_alu instid0(VALU_DEP_1) | instskip(NEXT) | instid1(VALU_DEP_1)
	v_mad_u32 v5, v5, s8, v7
	v_mad_u32 v7, v4, s9, v5
	v_mov_b64_e32 v[4:5], v[0:1]
	s_branch .LBB286_47
.LBB286_46:                             ;   in Loop: Header=BB286_47 Depth=2
	s_or_b32 exec_lo, exec_lo, s19
	s_delay_alu instid0(SALU_CYCLE_1) | instskip(NEXT) | instid1(SALU_CYCLE_1)
	s_and_b32 s19, exec_lo, s16
	s_or_b32 s15, s19, s15
	s_and_not1_b32 s18, s18, exec_lo
	s_and_b32 s0, s0, exec_lo
	s_and_not1_b32 s13, s13, exec_lo
	s_and_b32 s19, s17, exec_lo
	s_or_b32 s18, s18, s0
	s_or_b32 s13, s13, s19
	s_and_not1_b32 exec_lo, exec_lo, s15
	s_cbranch_execz .LBB286_32
.LBB286_47:                             ;   Parent Loop BB286_34 Depth=1
                                        ; =>  This Inner Loop Header: Depth=2
	global_load_u8 v8, v[6:7], off
	global_load_u8 v9, v[4:5], off
	s_and_not1_b32 s17, s17, exec_lo
	s_or_b32 s16, s16, exec_lo
	s_wait_loadcnt 0x1
	v_bfe_i32 v15, v8, 0, 8
	s_wait_loadcnt 0x0
	v_bfe_i32 v16, v9, 0, 8
	v_and_b32_e32 v8, 0xff, v8
	v_and_b32_e32 v9, 0xff, v9
	s_delay_alu instid0(VALU_DEP_3) | instskip(SKIP_2) | instid1(SALU_CYCLE_1)
	v_cmp_le_i16_e32 vcc_lo, v15, v16
	v_cmp_lt_i16_e64 s0, v15, v16
	s_and_b32 s19, vcc_lo, s18
	s_or_b32 s0, s0, s19
	s_delay_alu instid0(SALU_CYCLE_1) | instskip(NEXT) | instid1(SALU_CYCLE_1)
	s_and_b32 s19, s0, exec_lo
	s_or_b32 s17, s17, s19
	s_mov_b32 s19, exec_lo
	v_cmpx_eq_u16_e64 v8, v9
	s_cbranch_execz .LBB286_46
; %bb.48:                               ;   in Loop: Header=BB286_47 Depth=2
	s_add_nc_u64 s[2:3], s[2:3], -1
	v_add_nc_u64_e32 v[6:7], 1, v[6:7]
	s_cmp_eq_u64 s[2:3], 0
	v_add_nc_u64_e32 v[4:5], 1, v[4:5]
	s_cselect_b32 s18, -1, 0
	s_and_not1_b32 s16, s16, exec_lo
	s_and_b32 s18, s18, exec_lo
	s_and_not1_b32 s17, s17, exec_lo
	s_or_b32 s16, s16, s18
                                        ; implicit-def: $sgpr18
	s_branch .LBB286_46
.LBB286_49:                             ;   in Loop: Header=BB286_34 Depth=1
	s_mov_b32 s13, 0
	s_branch .LBB286_33
.LBB286_50:
	s_or_b32 exec_lo, exec_lo, s12
.LBB286_51:
	s_delay_alu instid0(VALU_DEP_1)
	v_add_nc_u32_e32 v1, v10, v12
	s_mov_b32 s13, -1
.LBB286_52:
	s_delay_alu instid0(SALU_CYCLE_1)
	s_and_b32 exec_lo, exec_lo, s13
	s_cbranch_execz .LBB286_54
; %bb.53:
	s_wait_loadcnt 0x0
	global_store_b64 v1, v[2:3], s[6:7] scale_offset
.LBB286_54:
	s_endpgm
	.section	.rodata,"a",@progbits
	.p2align	6, 0x0
	.amdhsa_kernel _ZN7rocprim17ROCPRIM_400000_NS6detail17trampoline_kernelINS0_14default_configENS1_38merge_sort_block_merge_config_selectorIlNS0_10empty_typeEEEZZNS1_27merge_sort_block_merge_implIS3_PlPS5_mZN2at6native12_GLOBAL__N_124unique_dim_cuda_templateIaEESt5tupleIJNSA_6TensorESF_SF_EERKSF_lbbbEUlllE_EE10hipError_tT0_T1_T2_jT3_P12ihipStream_tbPNSt15iterator_traitsISL_E10value_typeEPNSR_ISM_E10value_typeEPSN_NS1_7vsmem_tEENKUlT_SL_SM_SN_E_clIS8_S8_S9_S9_EESK_S10_SL_SM_SN_EUlS10_E1_NS1_11comp_targetILNS1_3genE0ELNS1_11target_archE4294967295ELNS1_3gpuE0ELNS1_3repE0EEENS1_36merge_oddeven_config_static_selectorELNS0_4arch9wavefront6targetE0EEEvSM_
		.amdhsa_group_segment_fixed_size 0
		.amdhsa_private_segment_fixed_size 0
		.amdhsa_kernarg_size 64
		.amdhsa_user_sgpr_count 2
		.amdhsa_user_sgpr_dispatch_ptr 0
		.amdhsa_user_sgpr_queue_ptr 0
		.amdhsa_user_sgpr_kernarg_segment_ptr 1
		.amdhsa_user_sgpr_dispatch_id 0
		.amdhsa_user_sgpr_kernarg_preload_length 0
		.amdhsa_user_sgpr_kernarg_preload_offset 0
		.amdhsa_user_sgpr_private_segment_size 0
		.amdhsa_wavefront_size32 1
		.amdhsa_uses_dynamic_stack 0
		.amdhsa_enable_private_segment 0
		.amdhsa_system_sgpr_workgroup_id_x 1
		.amdhsa_system_sgpr_workgroup_id_y 0
		.amdhsa_system_sgpr_workgroup_id_z 0
		.amdhsa_system_sgpr_workgroup_info 0
		.amdhsa_system_vgpr_workitem_id 0
		.amdhsa_next_free_vgpr 20
		.amdhsa_next_free_sgpr 25
		.amdhsa_named_barrier_count 0
		.amdhsa_reserve_vcc 1
		.amdhsa_float_round_mode_32 0
		.amdhsa_float_round_mode_16_64 0
		.amdhsa_float_denorm_mode_32 3
		.amdhsa_float_denorm_mode_16_64 3
		.amdhsa_fp16_overflow 0
		.amdhsa_memory_ordered 1
		.amdhsa_forward_progress 1
		.amdhsa_inst_pref_size 15
		.amdhsa_round_robin_scheduling 0
		.amdhsa_exception_fp_ieee_invalid_op 0
		.amdhsa_exception_fp_denorm_src 0
		.amdhsa_exception_fp_ieee_div_zero 0
		.amdhsa_exception_fp_ieee_overflow 0
		.amdhsa_exception_fp_ieee_underflow 0
		.amdhsa_exception_fp_ieee_inexact 0
		.amdhsa_exception_int_div_zero 0
	.end_amdhsa_kernel
	.section	.text._ZN7rocprim17ROCPRIM_400000_NS6detail17trampoline_kernelINS0_14default_configENS1_38merge_sort_block_merge_config_selectorIlNS0_10empty_typeEEEZZNS1_27merge_sort_block_merge_implIS3_PlPS5_mZN2at6native12_GLOBAL__N_124unique_dim_cuda_templateIaEESt5tupleIJNSA_6TensorESF_SF_EERKSF_lbbbEUlllE_EE10hipError_tT0_T1_T2_jT3_P12ihipStream_tbPNSt15iterator_traitsISL_E10value_typeEPNSR_ISM_E10value_typeEPSN_NS1_7vsmem_tEENKUlT_SL_SM_SN_E_clIS8_S8_S9_S9_EESK_S10_SL_SM_SN_EUlS10_E1_NS1_11comp_targetILNS1_3genE0ELNS1_11target_archE4294967295ELNS1_3gpuE0ELNS1_3repE0EEENS1_36merge_oddeven_config_static_selectorELNS0_4arch9wavefront6targetE0EEEvSM_,"axG",@progbits,_ZN7rocprim17ROCPRIM_400000_NS6detail17trampoline_kernelINS0_14default_configENS1_38merge_sort_block_merge_config_selectorIlNS0_10empty_typeEEEZZNS1_27merge_sort_block_merge_implIS3_PlPS5_mZN2at6native12_GLOBAL__N_124unique_dim_cuda_templateIaEESt5tupleIJNSA_6TensorESF_SF_EERKSF_lbbbEUlllE_EE10hipError_tT0_T1_T2_jT3_P12ihipStream_tbPNSt15iterator_traitsISL_E10value_typeEPNSR_ISM_E10value_typeEPSN_NS1_7vsmem_tEENKUlT_SL_SM_SN_E_clIS8_S8_S9_S9_EESK_S10_SL_SM_SN_EUlS10_E1_NS1_11comp_targetILNS1_3genE0ELNS1_11target_archE4294967295ELNS1_3gpuE0ELNS1_3repE0EEENS1_36merge_oddeven_config_static_selectorELNS0_4arch9wavefront6targetE0EEEvSM_,comdat
.Lfunc_end286:
	.size	_ZN7rocprim17ROCPRIM_400000_NS6detail17trampoline_kernelINS0_14default_configENS1_38merge_sort_block_merge_config_selectorIlNS0_10empty_typeEEEZZNS1_27merge_sort_block_merge_implIS3_PlPS5_mZN2at6native12_GLOBAL__N_124unique_dim_cuda_templateIaEESt5tupleIJNSA_6TensorESF_SF_EERKSF_lbbbEUlllE_EE10hipError_tT0_T1_T2_jT3_P12ihipStream_tbPNSt15iterator_traitsISL_E10value_typeEPNSR_ISM_E10value_typeEPSN_NS1_7vsmem_tEENKUlT_SL_SM_SN_E_clIS8_S8_S9_S9_EESK_S10_SL_SM_SN_EUlS10_E1_NS1_11comp_targetILNS1_3genE0ELNS1_11target_archE4294967295ELNS1_3gpuE0ELNS1_3repE0EEENS1_36merge_oddeven_config_static_selectorELNS0_4arch9wavefront6targetE0EEEvSM_, .Lfunc_end286-_ZN7rocprim17ROCPRIM_400000_NS6detail17trampoline_kernelINS0_14default_configENS1_38merge_sort_block_merge_config_selectorIlNS0_10empty_typeEEEZZNS1_27merge_sort_block_merge_implIS3_PlPS5_mZN2at6native12_GLOBAL__N_124unique_dim_cuda_templateIaEESt5tupleIJNSA_6TensorESF_SF_EERKSF_lbbbEUlllE_EE10hipError_tT0_T1_T2_jT3_P12ihipStream_tbPNSt15iterator_traitsISL_E10value_typeEPNSR_ISM_E10value_typeEPSN_NS1_7vsmem_tEENKUlT_SL_SM_SN_E_clIS8_S8_S9_S9_EESK_S10_SL_SM_SN_EUlS10_E1_NS1_11comp_targetILNS1_3genE0ELNS1_11target_archE4294967295ELNS1_3gpuE0ELNS1_3repE0EEENS1_36merge_oddeven_config_static_selectorELNS0_4arch9wavefront6targetE0EEEvSM_
                                        ; -- End function
	.set _ZN7rocprim17ROCPRIM_400000_NS6detail17trampoline_kernelINS0_14default_configENS1_38merge_sort_block_merge_config_selectorIlNS0_10empty_typeEEEZZNS1_27merge_sort_block_merge_implIS3_PlPS5_mZN2at6native12_GLOBAL__N_124unique_dim_cuda_templateIaEESt5tupleIJNSA_6TensorESF_SF_EERKSF_lbbbEUlllE_EE10hipError_tT0_T1_T2_jT3_P12ihipStream_tbPNSt15iterator_traitsISL_E10value_typeEPNSR_ISM_E10value_typeEPSN_NS1_7vsmem_tEENKUlT_SL_SM_SN_E_clIS8_S8_S9_S9_EESK_S10_SL_SM_SN_EUlS10_E1_NS1_11comp_targetILNS1_3genE0ELNS1_11target_archE4294967295ELNS1_3gpuE0ELNS1_3repE0EEENS1_36merge_oddeven_config_static_selectorELNS0_4arch9wavefront6targetE0EEEvSM_.num_vgpr, 20
	.set _ZN7rocprim17ROCPRIM_400000_NS6detail17trampoline_kernelINS0_14default_configENS1_38merge_sort_block_merge_config_selectorIlNS0_10empty_typeEEEZZNS1_27merge_sort_block_merge_implIS3_PlPS5_mZN2at6native12_GLOBAL__N_124unique_dim_cuda_templateIaEESt5tupleIJNSA_6TensorESF_SF_EERKSF_lbbbEUlllE_EE10hipError_tT0_T1_T2_jT3_P12ihipStream_tbPNSt15iterator_traitsISL_E10value_typeEPNSR_ISM_E10value_typeEPSN_NS1_7vsmem_tEENKUlT_SL_SM_SN_E_clIS8_S8_S9_S9_EESK_S10_SL_SM_SN_EUlS10_E1_NS1_11comp_targetILNS1_3genE0ELNS1_11target_archE4294967295ELNS1_3gpuE0ELNS1_3repE0EEENS1_36merge_oddeven_config_static_selectorELNS0_4arch9wavefront6targetE0EEEvSM_.num_agpr, 0
	.set _ZN7rocprim17ROCPRIM_400000_NS6detail17trampoline_kernelINS0_14default_configENS1_38merge_sort_block_merge_config_selectorIlNS0_10empty_typeEEEZZNS1_27merge_sort_block_merge_implIS3_PlPS5_mZN2at6native12_GLOBAL__N_124unique_dim_cuda_templateIaEESt5tupleIJNSA_6TensorESF_SF_EERKSF_lbbbEUlllE_EE10hipError_tT0_T1_T2_jT3_P12ihipStream_tbPNSt15iterator_traitsISL_E10value_typeEPNSR_ISM_E10value_typeEPSN_NS1_7vsmem_tEENKUlT_SL_SM_SN_E_clIS8_S8_S9_S9_EESK_S10_SL_SM_SN_EUlS10_E1_NS1_11comp_targetILNS1_3genE0ELNS1_11target_archE4294967295ELNS1_3gpuE0ELNS1_3repE0EEENS1_36merge_oddeven_config_static_selectorELNS0_4arch9wavefront6targetE0EEEvSM_.numbered_sgpr, 25
	.set _ZN7rocprim17ROCPRIM_400000_NS6detail17trampoline_kernelINS0_14default_configENS1_38merge_sort_block_merge_config_selectorIlNS0_10empty_typeEEEZZNS1_27merge_sort_block_merge_implIS3_PlPS5_mZN2at6native12_GLOBAL__N_124unique_dim_cuda_templateIaEESt5tupleIJNSA_6TensorESF_SF_EERKSF_lbbbEUlllE_EE10hipError_tT0_T1_T2_jT3_P12ihipStream_tbPNSt15iterator_traitsISL_E10value_typeEPNSR_ISM_E10value_typeEPSN_NS1_7vsmem_tEENKUlT_SL_SM_SN_E_clIS8_S8_S9_S9_EESK_S10_SL_SM_SN_EUlS10_E1_NS1_11comp_targetILNS1_3genE0ELNS1_11target_archE4294967295ELNS1_3gpuE0ELNS1_3repE0EEENS1_36merge_oddeven_config_static_selectorELNS0_4arch9wavefront6targetE0EEEvSM_.num_named_barrier, 0
	.set _ZN7rocprim17ROCPRIM_400000_NS6detail17trampoline_kernelINS0_14default_configENS1_38merge_sort_block_merge_config_selectorIlNS0_10empty_typeEEEZZNS1_27merge_sort_block_merge_implIS3_PlPS5_mZN2at6native12_GLOBAL__N_124unique_dim_cuda_templateIaEESt5tupleIJNSA_6TensorESF_SF_EERKSF_lbbbEUlllE_EE10hipError_tT0_T1_T2_jT3_P12ihipStream_tbPNSt15iterator_traitsISL_E10value_typeEPNSR_ISM_E10value_typeEPSN_NS1_7vsmem_tEENKUlT_SL_SM_SN_E_clIS8_S8_S9_S9_EESK_S10_SL_SM_SN_EUlS10_E1_NS1_11comp_targetILNS1_3genE0ELNS1_11target_archE4294967295ELNS1_3gpuE0ELNS1_3repE0EEENS1_36merge_oddeven_config_static_selectorELNS0_4arch9wavefront6targetE0EEEvSM_.private_seg_size, 0
	.set _ZN7rocprim17ROCPRIM_400000_NS6detail17trampoline_kernelINS0_14default_configENS1_38merge_sort_block_merge_config_selectorIlNS0_10empty_typeEEEZZNS1_27merge_sort_block_merge_implIS3_PlPS5_mZN2at6native12_GLOBAL__N_124unique_dim_cuda_templateIaEESt5tupleIJNSA_6TensorESF_SF_EERKSF_lbbbEUlllE_EE10hipError_tT0_T1_T2_jT3_P12ihipStream_tbPNSt15iterator_traitsISL_E10value_typeEPNSR_ISM_E10value_typeEPSN_NS1_7vsmem_tEENKUlT_SL_SM_SN_E_clIS8_S8_S9_S9_EESK_S10_SL_SM_SN_EUlS10_E1_NS1_11comp_targetILNS1_3genE0ELNS1_11target_archE4294967295ELNS1_3gpuE0ELNS1_3repE0EEENS1_36merge_oddeven_config_static_selectorELNS0_4arch9wavefront6targetE0EEEvSM_.uses_vcc, 1
	.set _ZN7rocprim17ROCPRIM_400000_NS6detail17trampoline_kernelINS0_14default_configENS1_38merge_sort_block_merge_config_selectorIlNS0_10empty_typeEEEZZNS1_27merge_sort_block_merge_implIS3_PlPS5_mZN2at6native12_GLOBAL__N_124unique_dim_cuda_templateIaEESt5tupleIJNSA_6TensorESF_SF_EERKSF_lbbbEUlllE_EE10hipError_tT0_T1_T2_jT3_P12ihipStream_tbPNSt15iterator_traitsISL_E10value_typeEPNSR_ISM_E10value_typeEPSN_NS1_7vsmem_tEENKUlT_SL_SM_SN_E_clIS8_S8_S9_S9_EESK_S10_SL_SM_SN_EUlS10_E1_NS1_11comp_targetILNS1_3genE0ELNS1_11target_archE4294967295ELNS1_3gpuE0ELNS1_3repE0EEENS1_36merge_oddeven_config_static_selectorELNS0_4arch9wavefront6targetE0EEEvSM_.uses_flat_scratch, 0
	.set _ZN7rocprim17ROCPRIM_400000_NS6detail17trampoline_kernelINS0_14default_configENS1_38merge_sort_block_merge_config_selectorIlNS0_10empty_typeEEEZZNS1_27merge_sort_block_merge_implIS3_PlPS5_mZN2at6native12_GLOBAL__N_124unique_dim_cuda_templateIaEESt5tupleIJNSA_6TensorESF_SF_EERKSF_lbbbEUlllE_EE10hipError_tT0_T1_T2_jT3_P12ihipStream_tbPNSt15iterator_traitsISL_E10value_typeEPNSR_ISM_E10value_typeEPSN_NS1_7vsmem_tEENKUlT_SL_SM_SN_E_clIS8_S8_S9_S9_EESK_S10_SL_SM_SN_EUlS10_E1_NS1_11comp_targetILNS1_3genE0ELNS1_11target_archE4294967295ELNS1_3gpuE0ELNS1_3repE0EEENS1_36merge_oddeven_config_static_selectorELNS0_4arch9wavefront6targetE0EEEvSM_.has_dyn_sized_stack, 0
	.set _ZN7rocprim17ROCPRIM_400000_NS6detail17trampoline_kernelINS0_14default_configENS1_38merge_sort_block_merge_config_selectorIlNS0_10empty_typeEEEZZNS1_27merge_sort_block_merge_implIS3_PlPS5_mZN2at6native12_GLOBAL__N_124unique_dim_cuda_templateIaEESt5tupleIJNSA_6TensorESF_SF_EERKSF_lbbbEUlllE_EE10hipError_tT0_T1_T2_jT3_P12ihipStream_tbPNSt15iterator_traitsISL_E10value_typeEPNSR_ISM_E10value_typeEPSN_NS1_7vsmem_tEENKUlT_SL_SM_SN_E_clIS8_S8_S9_S9_EESK_S10_SL_SM_SN_EUlS10_E1_NS1_11comp_targetILNS1_3genE0ELNS1_11target_archE4294967295ELNS1_3gpuE0ELNS1_3repE0EEENS1_36merge_oddeven_config_static_selectorELNS0_4arch9wavefront6targetE0EEEvSM_.has_recursion, 0
	.set _ZN7rocprim17ROCPRIM_400000_NS6detail17trampoline_kernelINS0_14default_configENS1_38merge_sort_block_merge_config_selectorIlNS0_10empty_typeEEEZZNS1_27merge_sort_block_merge_implIS3_PlPS5_mZN2at6native12_GLOBAL__N_124unique_dim_cuda_templateIaEESt5tupleIJNSA_6TensorESF_SF_EERKSF_lbbbEUlllE_EE10hipError_tT0_T1_T2_jT3_P12ihipStream_tbPNSt15iterator_traitsISL_E10value_typeEPNSR_ISM_E10value_typeEPSN_NS1_7vsmem_tEENKUlT_SL_SM_SN_E_clIS8_S8_S9_S9_EESK_S10_SL_SM_SN_EUlS10_E1_NS1_11comp_targetILNS1_3genE0ELNS1_11target_archE4294967295ELNS1_3gpuE0ELNS1_3repE0EEENS1_36merge_oddeven_config_static_selectorELNS0_4arch9wavefront6targetE0EEEvSM_.has_indirect_call, 0
	.section	.AMDGPU.csdata,"",@progbits
; Kernel info:
; codeLenInByte = 1820
; TotalNumSgprs: 27
; NumVgprs: 20
; ScratchSize: 0
; MemoryBound: 0
; FloatMode: 240
; IeeeMode: 1
; LDSByteSize: 0 bytes/workgroup (compile time only)
; SGPRBlocks: 0
; VGPRBlocks: 1
; NumSGPRsForWavesPerEU: 27
; NumVGPRsForWavesPerEU: 20
; NamedBarCnt: 0
; Occupancy: 16
; WaveLimiterHint : 0
; COMPUTE_PGM_RSRC2:SCRATCH_EN: 0
; COMPUTE_PGM_RSRC2:USER_SGPR: 2
; COMPUTE_PGM_RSRC2:TRAP_HANDLER: 0
; COMPUTE_PGM_RSRC2:TGID_X_EN: 1
; COMPUTE_PGM_RSRC2:TGID_Y_EN: 0
; COMPUTE_PGM_RSRC2:TGID_Z_EN: 0
; COMPUTE_PGM_RSRC2:TIDIG_COMP_CNT: 0
	.section	.text._ZN7rocprim17ROCPRIM_400000_NS6detail17trampoline_kernelINS0_14default_configENS1_38merge_sort_block_merge_config_selectorIlNS0_10empty_typeEEEZZNS1_27merge_sort_block_merge_implIS3_PlPS5_mZN2at6native12_GLOBAL__N_124unique_dim_cuda_templateIaEESt5tupleIJNSA_6TensorESF_SF_EERKSF_lbbbEUlllE_EE10hipError_tT0_T1_T2_jT3_P12ihipStream_tbPNSt15iterator_traitsISL_E10value_typeEPNSR_ISM_E10value_typeEPSN_NS1_7vsmem_tEENKUlT_SL_SM_SN_E_clIS8_S8_S9_S9_EESK_S10_SL_SM_SN_EUlS10_E1_NS1_11comp_targetILNS1_3genE10ELNS1_11target_archE1201ELNS1_3gpuE5ELNS1_3repE0EEENS1_36merge_oddeven_config_static_selectorELNS0_4arch9wavefront6targetE0EEEvSM_,"axG",@progbits,_ZN7rocprim17ROCPRIM_400000_NS6detail17trampoline_kernelINS0_14default_configENS1_38merge_sort_block_merge_config_selectorIlNS0_10empty_typeEEEZZNS1_27merge_sort_block_merge_implIS3_PlPS5_mZN2at6native12_GLOBAL__N_124unique_dim_cuda_templateIaEESt5tupleIJNSA_6TensorESF_SF_EERKSF_lbbbEUlllE_EE10hipError_tT0_T1_T2_jT3_P12ihipStream_tbPNSt15iterator_traitsISL_E10value_typeEPNSR_ISM_E10value_typeEPSN_NS1_7vsmem_tEENKUlT_SL_SM_SN_E_clIS8_S8_S9_S9_EESK_S10_SL_SM_SN_EUlS10_E1_NS1_11comp_targetILNS1_3genE10ELNS1_11target_archE1201ELNS1_3gpuE5ELNS1_3repE0EEENS1_36merge_oddeven_config_static_selectorELNS0_4arch9wavefront6targetE0EEEvSM_,comdat
	.globl	_ZN7rocprim17ROCPRIM_400000_NS6detail17trampoline_kernelINS0_14default_configENS1_38merge_sort_block_merge_config_selectorIlNS0_10empty_typeEEEZZNS1_27merge_sort_block_merge_implIS3_PlPS5_mZN2at6native12_GLOBAL__N_124unique_dim_cuda_templateIaEESt5tupleIJNSA_6TensorESF_SF_EERKSF_lbbbEUlllE_EE10hipError_tT0_T1_T2_jT3_P12ihipStream_tbPNSt15iterator_traitsISL_E10value_typeEPNSR_ISM_E10value_typeEPSN_NS1_7vsmem_tEENKUlT_SL_SM_SN_E_clIS8_S8_S9_S9_EESK_S10_SL_SM_SN_EUlS10_E1_NS1_11comp_targetILNS1_3genE10ELNS1_11target_archE1201ELNS1_3gpuE5ELNS1_3repE0EEENS1_36merge_oddeven_config_static_selectorELNS0_4arch9wavefront6targetE0EEEvSM_ ; -- Begin function _ZN7rocprim17ROCPRIM_400000_NS6detail17trampoline_kernelINS0_14default_configENS1_38merge_sort_block_merge_config_selectorIlNS0_10empty_typeEEEZZNS1_27merge_sort_block_merge_implIS3_PlPS5_mZN2at6native12_GLOBAL__N_124unique_dim_cuda_templateIaEESt5tupleIJNSA_6TensorESF_SF_EERKSF_lbbbEUlllE_EE10hipError_tT0_T1_T2_jT3_P12ihipStream_tbPNSt15iterator_traitsISL_E10value_typeEPNSR_ISM_E10value_typeEPSN_NS1_7vsmem_tEENKUlT_SL_SM_SN_E_clIS8_S8_S9_S9_EESK_S10_SL_SM_SN_EUlS10_E1_NS1_11comp_targetILNS1_3genE10ELNS1_11target_archE1201ELNS1_3gpuE5ELNS1_3repE0EEENS1_36merge_oddeven_config_static_selectorELNS0_4arch9wavefront6targetE0EEEvSM_
	.p2align	8
	.type	_ZN7rocprim17ROCPRIM_400000_NS6detail17trampoline_kernelINS0_14default_configENS1_38merge_sort_block_merge_config_selectorIlNS0_10empty_typeEEEZZNS1_27merge_sort_block_merge_implIS3_PlPS5_mZN2at6native12_GLOBAL__N_124unique_dim_cuda_templateIaEESt5tupleIJNSA_6TensorESF_SF_EERKSF_lbbbEUlllE_EE10hipError_tT0_T1_T2_jT3_P12ihipStream_tbPNSt15iterator_traitsISL_E10value_typeEPNSR_ISM_E10value_typeEPSN_NS1_7vsmem_tEENKUlT_SL_SM_SN_E_clIS8_S8_S9_S9_EESK_S10_SL_SM_SN_EUlS10_E1_NS1_11comp_targetILNS1_3genE10ELNS1_11target_archE1201ELNS1_3gpuE5ELNS1_3repE0EEENS1_36merge_oddeven_config_static_selectorELNS0_4arch9wavefront6targetE0EEEvSM_,@function
_ZN7rocprim17ROCPRIM_400000_NS6detail17trampoline_kernelINS0_14default_configENS1_38merge_sort_block_merge_config_selectorIlNS0_10empty_typeEEEZZNS1_27merge_sort_block_merge_implIS3_PlPS5_mZN2at6native12_GLOBAL__N_124unique_dim_cuda_templateIaEESt5tupleIJNSA_6TensorESF_SF_EERKSF_lbbbEUlllE_EE10hipError_tT0_T1_T2_jT3_P12ihipStream_tbPNSt15iterator_traitsISL_E10value_typeEPNSR_ISM_E10value_typeEPSN_NS1_7vsmem_tEENKUlT_SL_SM_SN_E_clIS8_S8_S9_S9_EESK_S10_SL_SM_SN_EUlS10_E1_NS1_11comp_targetILNS1_3genE10ELNS1_11target_archE1201ELNS1_3gpuE5ELNS1_3repE0EEENS1_36merge_oddeven_config_static_selectorELNS0_4arch9wavefront6targetE0EEEvSM_: ; @_ZN7rocprim17ROCPRIM_400000_NS6detail17trampoline_kernelINS0_14default_configENS1_38merge_sort_block_merge_config_selectorIlNS0_10empty_typeEEEZZNS1_27merge_sort_block_merge_implIS3_PlPS5_mZN2at6native12_GLOBAL__N_124unique_dim_cuda_templateIaEESt5tupleIJNSA_6TensorESF_SF_EERKSF_lbbbEUlllE_EE10hipError_tT0_T1_T2_jT3_P12ihipStream_tbPNSt15iterator_traitsISL_E10value_typeEPNSR_ISM_E10value_typeEPSN_NS1_7vsmem_tEENKUlT_SL_SM_SN_E_clIS8_S8_S9_S9_EESK_S10_SL_SM_SN_EUlS10_E1_NS1_11comp_targetILNS1_3genE10ELNS1_11target_archE1201ELNS1_3gpuE5ELNS1_3repE0EEENS1_36merge_oddeven_config_static_selectorELNS0_4arch9wavefront6targetE0EEEvSM_
; %bb.0:
	.section	.rodata,"a",@progbits
	.p2align	6, 0x0
	.amdhsa_kernel _ZN7rocprim17ROCPRIM_400000_NS6detail17trampoline_kernelINS0_14default_configENS1_38merge_sort_block_merge_config_selectorIlNS0_10empty_typeEEEZZNS1_27merge_sort_block_merge_implIS3_PlPS5_mZN2at6native12_GLOBAL__N_124unique_dim_cuda_templateIaEESt5tupleIJNSA_6TensorESF_SF_EERKSF_lbbbEUlllE_EE10hipError_tT0_T1_T2_jT3_P12ihipStream_tbPNSt15iterator_traitsISL_E10value_typeEPNSR_ISM_E10value_typeEPSN_NS1_7vsmem_tEENKUlT_SL_SM_SN_E_clIS8_S8_S9_S9_EESK_S10_SL_SM_SN_EUlS10_E1_NS1_11comp_targetILNS1_3genE10ELNS1_11target_archE1201ELNS1_3gpuE5ELNS1_3repE0EEENS1_36merge_oddeven_config_static_selectorELNS0_4arch9wavefront6targetE0EEEvSM_
		.amdhsa_group_segment_fixed_size 0
		.amdhsa_private_segment_fixed_size 0
		.amdhsa_kernarg_size 64
		.amdhsa_user_sgpr_count 2
		.amdhsa_user_sgpr_dispatch_ptr 0
		.amdhsa_user_sgpr_queue_ptr 0
		.amdhsa_user_sgpr_kernarg_segment_ptr 1
		.amdhsa_user_sgpr_dispatch_id 0
		.amdhsa_user_sgpr_kernarg_preload_length 0
		.amdhsa_user_sgpr_kernarg_preload_offset 0
		.amdhsa_user_sgpr_private_segment_size 0
		.amdhsa_wavefront_size32 1
		.amdhsa_uses_dynamic_stack 0
		.amdhsa_enable_private_segment 0
		.amdhsa_system_sgpr_workgroup_id_x 1
		.amdhsa_system_sgpr_workgroup_id_y 0
		.amdhsa_system_sgpr_workgroup_id_z 0
		.amdhsa_system_sgpr_workgroup_info 0
		.amdhsa_system_vgpr_workitem_id 0
		.amdhsa_next_free_vgpr 1
		.amdhsa_next_free_sgpr 1
		.amdhsa_named_barrier_count 0
		.amdhsa_reserve_vcc 0
		.amdhsa_float_round_mode_32 0
		.amdhsa_float_round_mode_16_64 0
		.amdhsa_float_denorm_mode_32 3
		.amdhsa_float_denorm_mode_16_64 3
		.amdhsa_fp16_overflow 0
		.amdhsa_memory_ordered 1
		.amdhsa_forward_progress 1
		.amdhsa_inst_pref_size 0
		.amdhsa_round_robin_scheduling 0
		.amdhsa_exception_fp_ieee_invalid_op 0
		.amdhsa_exception_fp_denorm_src 0
		.amdhsa_exception_fp_ieee_div_zero 0
		.amdhsa_exception_fp_ieee_overflow 0
		.amdhsa_exception_fp_ieee_underflow 0
		.amdhsa_exception_fp_ieee_inexact 0
		.amdhsa_exception_int_div_zero 0
	.end_amdhsa_kernel
	.section	.text._ZN7rocprim17ROCPRIM_400000_NS6detail17trampoline_kernelINS0_14default_configENS1_38merge_sort_block_merge_config_selectorIlNS0_10empty_typeEEEZZNS1_27merge_sort_block_merge_implIS3_PlPS5_mZN2at6native12_GLOBAL__N_124unique_dim_cuda_templateIaEESt5tupleIJNSA_6TensorESF_SF_EERKSF_lbbbEUlllE_EE10hipError_tT0_T1_T2_jT3_P12ihipStream_tbPNSt15iterator_traitsISL_E10value_typeEPNSR_ISM_E10value_typeEPSN_NS1_7vsmem_tEENKUlT_SL_SM_SN_E_clIS8_S8_S9_S9_EESK_S10_SL_SM_SN_EUlS10_E1_NS1_11comp_targetILNS1_3genE10ELNS1_11target_archE1201ELNS1_3gpuE5ELNS1_3repE0EEENS1_36merge_oddeven_config_static_selectorELNS0_4arch9wavefront6targetE0EEEvSM_,"axG",@progbits,_ZN7rocprim17ROCPRIM_400000_NS6detail17trampoline_kernelINS0_14default_configENS1_38merge_sort_block_merge_config_selectorIlNS0_10empty_typeEEEZZNS1_27merge_sort_block_merge_implIS3_PlPS5_mZN2at6native12_GLOBAL__N_124unique_dim_cuda_templateIaEESt5tupleIJNSA_6TensorESF_SF_EERKSF_lbbbEUlllE_EE10hipError_tT0_T1_T2_jT3_P12ihipStream_tbPNSt15iterator_traitsISL_E10value_typeEPNSR_ISM_E10value_typeEPSN_NS1_7vsmem_tEENKUlT_SL_SM_SN_E_clIS8_S8_S9_S9_EESK_S10_SL_SM_SN_EUlS10_E1_NS1_11comp_targetILNS1_3genE10ELNS1_11target_archE1201ELNS1_3gpuE5ELNS1_3repE0EEENS1_36merge_oddeven_config_static_selectorELNS0_4arch9wavefront6targetE0EEEvSM_,comdat
.Lfunc_end287:
	.size	_ZN7rocprim17ROCPRIM_400000_NS6detail17trampoline_kernelINS0_14default_configENS1_38merge_sort_block_merge_config_selectorIlNS0_10empty_typeEEEZZNS1_27merge_sort_block_merge_implIS3_PlPS5_mZN2at6native12_GLOBAL__N_124unique_dim_cuda_templateIaEESt5tupleIJNSA_6TensorESF_SF_EERKSF_lbbbEUlllE_EE10hipError_tT0_T1_T2_jT3_P12ihipStream_tbPNSt15iterator_traitsISL_E10value_typeEPNSR_ISM_E10value_typeEPSN_NS1_7vsmem_tEENKUlT_SL_SM_SN_E_clIS8_S8_S9_S9_EESK_S10_SL_SM_SN_EUlS10_E1_NS1_11comp_targetILNS1_3genE10ELNS1_11target_archE1201ELNS1_3gpuE5ELNS1_3repE0EEENS1_36merge_oddeven_config_static_selectorELNS0_4arch9wavefront6targetE0EEEvSM_, .Lfunc_end287-_ZN7rocprim17ROCPRIM_400000_NS6detail17trampoline_kernelINS0_14default_configENS1_38merge_sort_block_merge_config_selectorIlNS0_10empty_typeEEEZZNS1_27merge_sort_block_merge_implIS3_PlPS5_mZN2at6native12_GLOBAL__N_124unique_dim_cuda_templateIaEESt5tupleIJNSA_6TensorESF_SF_EERKSF_lbbbEUlllE_EE10hipError_tT0_T1_T2_jT3_P12ihipStream_tbPNSt15iterator_traitsISL_E10value_typeEPNSR_ISM_E10value_typeEPSN_NS1_7vsmem_tEENKUlT_SL_SM_SN_E_clIS8_S8_S9_S9_EESK_S10_SL_SM_SN_EUlS10_E1_NS1_11comp_targetILNS1_3genE10ELNS1_11target_archE1201ELNS1_3gpuE5ELNS1_3repE0EEENS1_36merge_oddeven_config_static_selectorELNS0_4arch9wavefront6targetE0EEEvSM_
                                        ; -- End function
	.set _ZN7rocprim17ROCPRIM_400000_NS6detail17trampoline_kernelINS0_14default_configENS1_38merge_sort_block_merge_config_selectorIlNS0_10empty_typeEEEZZNS1_27merge_sort_block_merge_implIS3_PlPS5_mZN2at6native12_GLOBAL__N_124unique_dim_cuda_templateIaEESt5tupleIJNSA_6TensorESF_SF_EERKSF_lbbbEUlllE_EE10hipError_tT0_T1_T2_jT3_P12ihipStream_tbPNSt15iterator_traitsISL_E10value_typeEPNSR_ISM_E10value_typeEPSN_NS1_7vsmem_tEENKUlT_SL_SM_SN_E_clIS8_S8_S9_S9_EESK_S10_SL_SM_SN_EUlS10_E1_NS1_11comp_targetILNS1_3genE10ELNS1_11target_archE1201ELNS1_3gpuE5ELNS1_3repE0EEENS1_36merge_oddeven_config_static_selectorELNS0_4arch9wavefront6targetE0EEEvSM_.num_vgpr, 0
	.set _ZN7rocprim17ROCPRIM_400000_NS6detail17trampoline_kernelINS0_14default_configENS1_38merge_sort_block_merge_config_selectorIlNS0_10empty_typeEEEZZNS1_27merge_sort_block_merge_implIS3_PlPS5_mZN2at6native12_GLOBAL__N_124unique_dim_cuda_templateIaEESt5tupleIJNSA_6TensorESF_SF_EERKSF_lbbbEUlllE_EE10hipError_tT0_T1_T2_jT3_P12ihipStream_tbPNSt15iterator_traitsISL_E10value_typeEPNSR_ISM_E10value_typeEPSN_NS1_7vsmem_tEENKUlT_SL_SM_SN_E_clIS8_S8_S9_S9_EESK_S10_SL_SM_SN_EUlS10_E1_NS1_11comp_targetILNS1_3genE10ELNS1_11target_archE1201ELNS1_3gpuE5ELNS1_3repE0EEENS1_36merge_oddeven_config_static_selectorELNS0_4arch9wavefront6targetE0EEEvSM_.num_agpr, 0
	.set _ZN7rocprim17ROCPRIM_400000_NS6detail17trampoline_kernelINS0_14default_configENS1_38merge_sort_block_merge_config_selectorIlNS0_10empty_typeEEEZZNS1_27merge_sort_block_merge_implIS3_PlPS5_mZN2at6native12_GLOBAL__N_124unique_dim_cuda_templateIaEESt5tupleIJNSA_6TensorESF_SF_EERKSF_lbbbEUlllE_EE10hipError_tT0_T1_T2_jT3_P12ihipStream_tbPNSt15iterator_traitsISL_E10value_typeEPNSR_ISM_E10value_typeEPSN_NS1_7vsmem_tEENKUlT_SL_SM_SN_E_clIS8_S8_S9_S9_EESK_S10_SL_SM_SN_EUlS10_E1_NS1_11comp_targetILNS1_3genE10ELNS1_11target_archE1201ELNS1_3gpuE5ELNS1_3repE0EEENS1_36merge_oddeven_config_static_selectorELNS0_4arch9wavefront6targetE0EEEvSM_.numbered_sgpr, 0
	.set _ZN7rocprim17ROCPRIM_400000_NS6detail17trampoline_kernelINS0_14default_configENS1_38merge_sort_block_merge_config_selectorIlNS0_10empty_typeEEEZZNS1_27merge_sort_block_merge_implIS3_PlPS5_mZN2at6native12_GLOBAL__N_124unique_dim_cuda_templateIaEESt5tupleIJNSA_6TensorESF_SF_EERKSF_lbbbEUlllE_EE10hipError_tT0_T1_T2_jT3_P12ihipStream_tbPNSt15iterator_traitsISL_E10value_typeEPNSR_ISM_E10value_typeEPSN_NS1_7vsmem_tEENKUlT_SL_SM_SN_E_clIS8_S8_S9_S9_EESK_S10_SL_SM_SN_EUlS10_E1_NS1_11comp_targetILNS1_3genE10ELNS1_11target_archE1201ELNS1_3gpuE5ELNS1_3repE0EEENS1_36merge_oddeven_config_static_selectorELNS0_4arch9wavefront6targetE0EEEvSM_.num_named_barrier, 0
	.set _ZN7rocprim17ROCPRIM_400000_NS6detail17trampoline_kernelINS0_14default_configENS1_38merge_sort_block_merge_config_selectorIlNS0_10empty_typeEEEZZNS1_27merge_sort_block_merge_implIS3_PlPS5_mZN2at6native12_GLOBAL__N_124unique_dim_cuda_templateIaEESt5tupleIJNSA_6TensorESF_SF_EERKSF_lbbbEUlllE_EE10hipError_tT0_T1_T2_jT3_P12ihipStream_tbPNSt15iterator_traitsISL_E10value_typeEPNSR_ISM_E10value_typeEPSN_NS1_7vsmem_tEENKUlT_SL_SM_SN_E_clIS8_S8_S9_S9_EESK_S10_SL_SM_SN_EUlS10_E1_NS1_11comp_targetILNS1_3genE10ELNS1_11target_archE1201ELNS1_3gpuE5ELNS1_3repE0EEENS1_36merge_oddeven_config_static_selectorELNS0_4arch9wavefront6targetE0EEEvSM_.private_seg_size, 0
	.set _ZN7rocprim17ROCPRIM_400000_NS6detail17trampoline_kernelINS0_14default_configENS1_38merge_sort_block_merge_config_selectorIlNS0_10empty_typeEEEZZNS1_27merge_sort_block_merge_implIS3_PlPS5_mZN2at6native12_GLOBAL__N_124unique_dim_cuda_templateIaEESt5tupleIJNSA_6TensorESF_SF_EERKSF_lbbbEUlllE_EE10hipError_tT0_T1_T2_jT3_P12ihipStream_tbPNSt15iterator_traitsISL_E10value_typeEPNSR_ISM_E10value_typeEPSN_NS1_7vsmem_tEENKUlT_SL_SM_SN_E_clIS8_S8_S9_S9_EESK_S10_SL_SM_SN_EUlS10_E1_NS1_11comp_targetILNS1_3genE10ELNS1_11target_archE1201ELNS1_3gpuE5ELNS1_3repE0EEENS1_36merge_oddeven_config_static_selectorELNS0_4arch9wavefront6targetE0EEEvSM_.uses_vcc, 0
	.set _ZN7rocprim17ROCPRIM_400000_NS6detail17trampoline_kernelINS0_14default_configENS1_38merge_sort_block_merge_config_selectorIlNS0_10empty_typeEEEZZNS1_27merge_sort_block_merge_implIS3_PlPS5_mZN2at6native12_GLOBAL__N_124unique_dim_cuda_templateIaEESt5tupleIJNSA_6TensorESF_SF_EERKSF_lbbbEUlllE_EE10hipError_tT0_T1_T2_jT3_P12ihipStream_tbPNSt15iterator_traitsISL_E10value_typeEPNSR_ISM_E10value_typeEPSN_NS1_7vsmem_tEENKUlT_SL_SM_SN_E_clIS8_S8_S9_S9_EESK_S10_SL_SM_SN_EUlS10_E1_NS1_11comp_targetILNS1_3genE10ELNS1_11target_archE1201ELNS1_3gpuE5ELNS1_3repE0EEENS1_36merge_oddeven_config_static_selectorELNS0_4arch9wavefront6targetE0EEEvSM_.uses_flat_scratch, 0
	.set _ZN7rocprim17ROCPRIM_400000_NS6detail17trampoline_kernelINS0_14default_configENS1_38merge_sort_block_merge_config_selectorIlNS0_10empty_typeEEEZZNS1_27merge_sort_block_merge_implIS3_PlPS5_mZN2at6native12_GLOBAL__N_124unique_dim_cuda_templateIaEESt5tupleIJNSA_6TensorESF_SF_EERKSF_lbbbEUlllE_EE10hipError_tT0_T1_T2_jT3_P12ihipStream_tbPNSt15iterator_traitsISL_E10value_typeEPNSR_ISM_E10value_typeEPSN_NS1_7vsmem_tEENKUlT_SL_SM_SN_E_clIS8_S8_S9_S9_EESK_S10_SL_SM_SN_EUlS10_E1_NS1_11comp_targetILNS1_3genE10ELNS1_11target_archE1201ELNS1_3gpuE5ELNS1_3repE0EEENS1_36merge_oddeven_config_static_selectorELNS0_4arch9wavefront6targetE0EEEvSM_.has_dyn_sized_stack, 0
	.set _ZN7rocprim17ROCPRIM_400000_NS6detail17trampoline_kernelINS0_14default_configENS1_38merge_sort_block_merge_config_selectorIlNS0_10empty_typeEEEZZNS1_27merge_sort_block_merge_implIS3_PlPS5_mZN2at6native12_GLOBAL__N_124unique_dim_cuda_templateIaEESt5tupleIJNSA_6TensorESF_SF_EERKSF_lbbbEUlllE_EE10hipError_tT0_T1_T2_jT3_P12ihipStream_tbPNSt15iterator_traitsISL_E10value_typeEPNSR_ISM_E10value_typeEPSN_NS1_7vsmem_tEENKUlT_SL_SM_SN_E_clIS8_S8_S9_S9_EESK_S10_SL_SM_SN_EUlS10_E1_NS1_11comp_targetILNS1_3genE10ELNS1_11target_archE1201ELNS1_3gpuE5ELNS1_3repE0EEENS1_36merge_oddeven_config_static_selectorELNS0_4arch9wavefront6targetE0EEEvSM_.has_recursion, 0
	.set _ZN7rocprim17ROCPRIM_400000_NS6detail17trampoline_kernelINS0_14default_configENS1_38merge_sort_block_merge_config_selectorIlNS0_10empty_typeEEEZZNS1_27merge_sort_block_merge_implIS3_PlPS5_mZN2at6native12_GLOBAL__N_124unique_dim_cuda_templateIaEESt5tupleIJNSA_6TensorESF_SF_EERKSF_lbbbEUlllE_EE10hipError_tT0_T1_T2_jT3_P12ihipStream_tbPNSt15iterator_traitsISL_E10value_typeEPNSR_ISM_E10value_typeEPSN_NS1_7vsmem_tEENKUlT_SL_SM_SN_E_clIS8_S8_S9_S9_EESK_S10_SL_SM_SN_EUlS10_E1_NS1_11comp_targetILNS1_3genE10ELNS1_11target_archE1201ELNS1_3gpuE5ELNS1_3repE0EEENS1_36merge_oddeven_config_static_selectorELNS0_4arch9wavefront6targetE0EEEvSM_.has_indirect_call, 0
	.section	.AMDGPU.csdata,"",@progbits
; Kernel info:
; codeLenInByte = 0
; TotalNumSgprs: 0
; NumVgprs: 0
; ScratchSize: 0
; MemoryBound: 0
; FloatMode: 240
; IeeeMode: 1
; LDSByteSize: 0 bytes/workgroup (compile time only)
; SGPRBlocks: 0
; VGPRBlocks: 0
; NumSGPRsForWavesPerEU: 1
; NumVGPRsForWavesPerEU: 1
; NamedBarCnt: 0
; Occupancy: 16
; WaveLimiterHint : 0
; COMPUTE_PGM_RSRC2:SCRATCH_EN: 0
; COMPUTE_PGM_RSRC2:USER_SGPR: 2
; COMPUTE_PGM_RSRC2:TRAP_HANDLER: 0
; COMPUTE_PGM_RSRC2:TGID_X_EN: 1
; COMPUTE_PGM_RSRC2:TGID_Y_EN: 0
; COMPUTE_PGM_RSRC2:TGID_Z_EN: 0
; COMPUTE_PGM_RSRC2:TIDIG_COMP_CNT: 0
	.section	.text._ZN7rocprim17ROCPRIM_400000_NS6detail17trampoline_kernelINS0_14default_configENS1_38merge_sort_block_merge_config_selectorIlNS0_10empty_typeEEEZZNS1_27merge_sort_block_merge_implIS3_PlPS5_mZN2at6native12_GLOBAL__N_124unique_dim_cuda_templateIaEESt5tupleIJNSA_6TensorESF_SF_EERKSF_lbbbEUlllE_EE10hipError_tT0_T1_T2_jT3_P12ihipStream_tbPNSt15iterator_traitsISL_E10value_typeEPNSR_ISM_E10value_typeEPSN_NS1_7vsmem_tEENKUlT_SL_SM_SN_E_clIS8_S8_S9_S9_EESK_S10_SL_SM_SN_EUlS10_E1_NS1_11comp_targetILNS1_3genE5ELNS1_11target_archE942ELNS1_3gpuE9ELNS1_3repE0EEENS1_36merge_oddeven_config_static_selectorELNS0_4arch9wavefront6targetE0EEEvSM_,"axG",@progbits,_ZN7rocprim17ROCPRIM_400000_NS6detail17trampoline_kernelINS0_14default_configENS1_38merge_sort_block_merge_config_selectorIlNS0_10empty_typeEEEZZNS1_27merge_sort_block_merge_implIS3_PlPS5_mZN2at6native12_GLOBAL__N_124unique_dim_cuda_templateIaEESt5tupleIJNSA_6TensorESF_SF_EERKSF_lbbbEUlllE_EE10hipError_tT0_T1_T2_jT3_P12ihipStream_tbPNSt15iterator_traitsISL_E10value_typeEPNSR_ISM_E10value_typeEPSN_NS1_7vsmem_tEENKUlT_SL_SM_SN_E_clIS8_S8_S9_S9_EESK_S10_SL_SM_SN_EUlS10_E1_NS1_11comp_targetILNS1_3genE5ELNS1_11target_archE942ELNS1_3gpuE9ELNS1_3repE0EEENS1_36merge_oddeven_config_static_selectorELNS0_4arch9wavefront6targetE0EEEvSM_,comdat
	.globl	_ZN7rocprim17ROCPRIM_400000_NS6detail17trampoline_kernelINS0_14default_configENS1_38merge_sort_block_merge_config_selectorIlNS0_10empty_typeEEEZZNS1_27merge_sort_block_merge_implIS3_PlPS5_mZN2at6native12_GLOBAL__N_124unique_dim_cuda_templateIaEESt5tupleIJNSA_6TensorESF_SF_EERKSF_lbbbEUlllE_EE10hipError_tT0_T1_T2_jT3_P12ihipStream_tbPNSt15iterator_traitsISL_E10value_typeEPNSR_ISM_E10value_typeEPSN_NS1_7vsmem_tEENKUlT_SL_SM_SN_E_clIS8_S8_S9_S9_EESK_S10_SL_SM_SN_EUlS10_E1_NS1_11comp_targetILNS1_3genE5ELNS1_11target_archE942ELNS1_3gpuE9ELNS1_3repE0EEENS1_36merge_oddeven_config_static_selectorELNS0_4arch9wavefront6targetE0EEEvSM_ ; -- Begin function _ZN7rocprim17ROCPRIM_400000_NS6detail17trampoline_kernelINS0_14default_configENS1_38merge_sort_block_merge_config_selectorIlNS0_10empty_typeEEEZZNS1_27merge_sort_block_merge_implIS3_PlPS5_mZN2at6native12_GLOBAL__N_124unique_dim_cuda_templateIaEESt5tupleIJNSA_6TensorESF_SF_EERKSF_lbbbEUlllE_EE10hipError_tT0_T1_T2_jT3_P12ihipStream_tbPNSt15iterator_traitsISL_E10value_typeEPNSR_ISM_E10value_typeEPSN_NS1_7vsmem_tEENKUlT_SL_SM_SN_E_clIS8_S8_S9_S9_EESK_S10_SL_SM_SN_EUlS10_E1_NS1_11comp_targetILNS1_3genE5ELNS1_11target_archE942ELNS1_3gpuE9ELNS1_3repE0EEENS1_36merge_oddeven_config_static_selectorELNS0_4arch9wavefront6targetE0EEEvSM_
	.p2align	8
	.type	_ZN7rocprim17ROCPRIM_400000_NS6detail17trampoline_kernelINS0_14default_configENS1_38merge_sort_block_merge_config_selectorIlNS0_10empty_typeEEEZZNS1_27merge_sort_block_merge_implIS3_PlPS5_mZN2at6native12_GLOBAL__N_124unique_dim_cuda_templateIaEESt5tupleIJNSA_6TensorESF_SF_EERKSF_lbbbEUlllE_EE10hipError_tT0_T1_T2_jT3_P12ihipStream_tbPNSt15iterator_traitsISL_E10value_typeEPNSR_ISM_E10value_typeEPSN_NS1_7vsmem_tEENKUlT_SL_SM_SN_E_clIS8_S8_S9_S9_EESK_S10_SL_SM_SN_EUlS10_E1_NS1_11comp_targetILNS1_3genE5ELNS1_11target_archE942ELNS1_3gpuE9ELNS1_3repE0EEENS1_36merge_oddeven_config_static_selectorELNS0_4arch9wavefront6targetE0EEEvSM_,@function
_ZN7rocprim17ROCPRIM_400000_NS6detail17trampoline_kernelINS0_14default_configENS1_38merge_sort_block_merge_config_selectorIlNS0_10empty_typeEEEZZNS1_27merge_sort_block_merge_implIS3_PlPS5_mZN2at6native12_GLOBAL__N_124unique_dim_cuda_templateIaEESt5tupleIJNSA_6TensorESF_SF_EERKSF_lbbbEUlllE_EE10hipError_tT0_T1_T2_jT3_P12ihipStream_tbPNSt15iterator_traitsISL_E10value_typeEPNSR_ISM_E10value_typeEPSN_NS1_7vsmem_tEENKUlT_SL_SM_SN_E_clIS8_S8_S9_S9_EESK_S10_SL_SM_SN_EUlS10_E1_NS1_11comp_targetILNS1_3genE5ELNS1_11target_archE942ELNS1_3gpuE9ELNS1_3repE0EEENS1_36merge_oddeven_config_static_selectorELNS0_4arch9wavefront6targetE0EEEvSM_: ; @_ZN7rocprim17ROCPRIM_400000_NS6detail17trampoline_kernelINS0_14default_configENS1_38merge_sort_block_merge_config_selectorIlNS0_10empty_typeEEEZZNS1_27merge_sort_block_merge_implIS3_PlPS5_mZN2at6native12_GLOBAL__N_124unique_dim_cuda_templateIaEESt5tupleIJNSA_6TensorESF_SF_EERKSF_lbbbEUlllE_EE10hipError_tT0_T1_T2_jT3_P12ihipStream_tbPNSt15iterator_traitsISL_E10value_typeEPNSR_ISM_E10value_typeEPSN_NS1_7vsmem_tEENKUlT_SL_SM_SN_E_clIS8_S8_S9_S9_EESK_S10_SL_SM_SN_EUlS10_E1_NS1_11comp_targetILNS1_3genE5ELNS1_11target_archE942ELNS1_3gpuE9ELNS1_3repE0EEENS1_36merge_oddeven_config_static_selectorELNS0_4arch9wavefront6targetE0EEEvSM_
; %bb.0:
	.section	.rodata,"a",@progbits
	.p2align	6, 0x0
	.amdhsa_kernel _ZN7rocprim17ROCPRIM_400000_NS6detail17trampoline_kernelINS0_14default_configENS1_38merge_sort_block_merge_config_selectorIlNS0_10empty_typeEEEZZNS1_27merge_sort_block_merge_implIS3_PlPS5_mZN2at6native12_GLOBAL__N_124unique_dim_cuda_templateIaEESt5tupleIJNSA_6TensorESF_SF_EERKSF_lbbbEUlllE_EE10hipError_tT0_T1_T2_jT3_P12ihipStream_tbPNSt15iterator_traitsISL_E10value_typeEPNSR_ISM_E10value_typeEPSN_NS1_7vsmem_tEENKUlT_SL_SM_SN_E_clIS8_S8_S9_S9_EESK_S10_SL_SM_SN_EUlS10_E1_NS1_11comp_targetILNS1_3genE5ELNS1_11target_archE942ELNS1_3gpuE9ELNS1_3repE0EEENS1_36merge_oddeven_config_static_selectorELNS0_4arch9wavefront6targetE0EEEvSM_
		.amdhsa_group_segment_fixed_size 0
		.amdhsa_private_segment_fixed_size 0
		.amdhsa_kernarg_size 64
		.amdhsa_user_sgpr_count 2
		.amdhsa_user_sgpr_dispatch_ptr 0
		.amdhsa_user_sgpr_queue_ptr 0
		.amdhsa_user_sgpr_kernarg_segment_ptr 1
		.amdhsa_user_sgpr_dispatch_id 0
		.amdhsa_user_sgpr_kernarg_preload_length 0
		.amdhsa_user_sgpr_kernarg_preload_offset 0
		.amdhsa_user_sgpr_private_segment_size 0
		.amdhsa_wavefront_size32 1
		.amdhsa_uses_dynamic_stack 0
		.amdhsa_enable_private_segment 0
		.amdhsa_system_sgpr_workgroup_id_x 1
		.amdhsa_system_sgpr_workgroup_id_y 0
		.amdhsa_system_sgpr_workgroup_id_z 0
		.amdhsa_system_sgpr_workgroup_info 0
		.amdhsa_system_vgpr_workitem_id 0
		.amdhsa_next_free_vgpr 1
		.amdhsa_next_free_sgpr 1
		.amdhsa_named_barrier_count 0
		.amdhsa_reserve_vcc 0
		.amdhsa_float_round_mode_32 0
		.amdhsa_float_round_mode_16_64 0
		.amdhsa_float_denorm_mode_32 3
		.amdhsa_float_denorm_mode_16_64 3
		.amdhsa_fp16_overflow 0
		.amdhsa_memory_ordered 1
		.amdhsa_forward_progress 1
		.amdhsa_inst_pref_size 0
		.amdhsa_round_robin_scheduling 0
		.amdhsa_exception_fp_ieee_invalid_op 0
		.amdhsa_exception_fp_denorm_src 0
		.amdhsa_exception_fp_ieee_div_zero 0
		.amdhsa_exception_fp_ieee_overflow 0
		.amdhsa_exception_fp_ieee_underflow 0
		.amdhsa_exception_fp_ieee_inexact 0
		.amdhsa_exception_int_div_zero 0
	.end_amdhsa_kernel
	.section	.text._ZN7rocprim17ROCPRIM_400000_NS6detail17trampoline_kernelINS0_14default_configENS1_38merge_sort_block_merge_config_selectorIlNS0_10empty_typeEEEZZNS1_27merge_sort_block_merge_implIS3_PlPS5_mZN2at6native12_GLOBAL__N_124unique_dim_cuda_templateIaEESt5tupleIJNSA_6TensorESF_SF_EERKSF_lbbbEUlllE_EE10hipError_tT0_T1_T2_jT3_P12ihipStream_tbPNSt15iterator_traitsISL_E10value_typeEPNSR_ISM_E10value_typeEPSN_NS1_7vsmem_tEENKUlT_SL_SM_SN_E_clIS8_S8_S9_S9_EESK_S10_SL_SM_SN_EUlS10_E1_NS1_11comp_targetILNS1_3genE5ELNS1_11target_archE942ELNS1_3gpuE9ELNS1_3repE0EEENS1_36merge_oddeven_config_static_selectorELNS0_4arch9wavefront6targetE0EEEvSM_,"axG",@progbits,_ZN7rocprim17ROCPRIM_400000_NS6detail17trampoline_kernelINS0_14default_configENS1_38merge_sort_block_merge_config_selectorIlNS0_10empty_typeEEEZZNS1_27merge_sort_block_merge_implIS3_PlPS5_mZN2at6native12_GLOBAL__N_124unique_dim_cuda_templateIaEESt5tupleIJNSA_6TensorESF_SF_EERKSF_lbbbEUlllE_EE10hipError_tT0_T1_T2_jT3_P12ihipStream_tbPNSt15iterator_traitsISL_E10value_typeEPNSR_ISM_E10value_typeEPSN_NS1_7vsmem_tEENKUlT_SL_SM_SN_E_clIS8_S8_S9_S9_EESK_S10_SL_SM_SN_EUlS10_E1_NS1_11comp_targetILNS1_3genE5ELNS1_11target_archE942ELNS1_3gpuE9ELNS1_3repE0EEENS1_36merge_oddeven_config_static_selectorELNS0_4arch9wavefront6targetE0EEEvSM_,comdat
.Lfunc_end288:
	.size	_ZN7rocprim17ROCPRIM_400000_NS6detail17trampoline_kernelINS0_14default_configENS1_38merge_sort_block_merge_config_selectorIlNS0_10empty_typeEEEZZNS1_27merge_sort_block_merge_implIS3_PlPS5_mZN2at6native12_GLOBAL__N_124unique_dim_cuda_templateIaEESt5tupleIJNSA_6TensorESF_SF_EERKSF_lbbbEUlllE_EE10hipError_tT0_T1_T2_jT3_P12ihipStream_tbPNSt15iterator_traitsISL_E10value_typeEPNSR_ISM_E10value_typeEPSN_NS1_7vsmem_tEENKUlT_SL_SM_SN_E_clIS8_S8_S9_S9_EESK_S10_SL_SM_SN_EUlS10_E1_NS1_11comp_targetILNS1_3genE5ELNS1_11target_archE942ELNS1_3gpuE9ELNS1_3repE0EEENS1_36merge_oddeven_config_static_selectorELNS0_4arch9wavefront6targetE0EEEvSM_, .Lfunc_end288-_ZN7rocprim17ROCPRIM_400000_NS6detail17trampoline_kernelINS0_14default_configENS1_38merge_sort_block_merge_config_selectorIlNS0_10empty_typeEEEZZNS1_27merge_sort_block_merge_implIS3_PlPS5_mZN2at6native12_GLOBAL__N_124unique_dim_cuda_templateIaEESt5tupleIJNSA_6TensorESF_SF_EERKSF_lbbbEUlllE_EE10hipError_tT0_T1_T2_jT3_P12ihipStream_tbPNSt15iterator_traitsISL_E10value_typeEPNSR_ISM_E10value_typeEPSN_NS1_7vsmem_tEENKUlT_SL_SM_SN_E_clIS8_S8_S9_S9_EESK_S10_SL_SM_SN_EUlS10_E1_NS1_11comp_targetILNS1_3genE5ELNS1_11target_archE942ELNS1_3gpuE9ELNS1_3repE0EEENS1_36merge_oddeven_config_static_selectorELNS0_4arch9wavefront6targetE0EEEvSM_
                                        ; -- End function
	.set _ZN7rocprim17ROCPRIM_400000_NS6detail17trampoline_kernelINS0_14default_configENS1_38merge_sort_block_merge_config_selectorIlNS0_10empty_typeEEEZZNS1_27merge_sort_block_merge_implIS3_PlPS5_mZN2at6native12_GLOBAL__N_124unique_dim_cuda_templateIaEESt5tupleIJNSA_6TensorESF_SF_EERKSF_lbbbEUlllE_EE10hipError_tT0_T1_T2_jT3_P12ihipStream_tbPNSt15iterator_traitsISL_E10value_typeEPNSR_ISM_E10value_typeEPSN_NS1_7vsmem_tEENKUlT_SL_SM_SN_E_clIS8_S8_S9_S9_EESK_S10_SL_SM_SN_EUlS10_E1_NS1_11comp_targetILNS1_3genE5ELNS1_11target_archE942ELNS1_3gpuE9ELNS1_3repE0EEENS1_36merge_oddeven_config_static_selectorELNS0_4arch9wavefront6targetE0EEEvSM_.num_vgpr, 0
	.set _ZN7rocprim17ROCPRIM_400000_NS6detail17trampoline_kernelINS0_14default_configENS1_38merge_sort_block_merge_config_selectorIlNS0_10empty_typeEEEZZNS1_27merge_sort_block_merge_implIS3_PlPS5_mZN2at6native12_GLOBAL__N_124unique_dim_cuda_templateIaEESt5tupleIJNSA_6TensorESF_SF_EERKSF_lbbbEUlllE_EE10hipError_tT0_T1_T2_jT3_P12ihipStream_tbPNSt15iterator_traitsISL_E10value_typeEPNSR_ISM_E10value_typeEPSN_NS1_7vsmem_tEENKUlT_SL_SM_SN_E_clIS8_S8_S9_S9_EESK_S10_SL_SM_SN_EUlS10_E1_NS1_11comp_targetILNS1_3genE5ELNS1_11target_archE942ELNS1_3gpuE9ELNS1_3repE0EEENS1_36merge_oddeven_config_static_selectorELNS0_4arch9wavefront6targetE0EEEvSM_.num_agpr, 0
	.set _ZN7rocprim17ROCPRIM_400000_NS6detail17trampoline_kernelINS0_14default_configENS1_38merge_sort_block_merge_config_selectorIlNS0_10empty_typeEEEZZNS1_27merge_sort_block_merge_implIS3_PlPS5_mZN2at6native12_GLOBAL__N_124unique_dim_cuda_templateIaEESt5tupleIJNSA_6TensorESF_SF_EERKSF_lbbbEUlllE_EE10hipError_tT0_T1_T2_jT3_P12ihipStream_tbPNSt15iterator_traitsISL_E10value_typeEPNSR_ISM_E10value_typeEPSN_NS1_7vsmem_tEENKUlT_SL_SM_SN_E_clIS8_S8_S9_S9_EESK_S10_SL_SM_SN_EUlS10_E1_NS1_11comp_targetILNS1_3genE5ELNS1_11target_archE942ELNS1_3gpuE9ELNS1_3repE0EEENS1_36merge_oddeven_config_static_selectorELNS0_4arch9wavefront6targetE0EEEvSM_.numbered_sgpr, 0
	.set _ZN7rocprim17ROCPRIM_400000_NS6detail17trampoline_kernelINS0_14default_configENS1_38merge_sort_block_merge_config_selectorIlNS0_10empty_typeEEEZZNS1_27merge_sort_block_merge_implIS3_PlPS5_mZN2at6native12_GLOBAL__N_124unique_dim_cuda_templateIaEESt5tupleIJNSA_6TensorESF_SF_EERKSF_lbbbEUlllE_EE10hipError_tT0_T1_T2_jT3_P12ihipStream_tbPNSt15iterator_traitsISL_E10value_typeEPNSR_ISM_E10value_typeEPSN_NS1_7vsmem_tEENKUlT_SL_SM_SN_E_clIS8_S8_S9_S9_EESK_S10_SL_SM_SN_EUlS10_E1_NS1_11comp_targetILNS1_3genE5ELNS1_11target_archE942ELNS1_3gpuE9ELNS1_3repE0EEENS1_36merge_oddeven_config_static_selectorELNS0_4arch9wavefront6targetE0EEEvSM_.num_named_barrier, 0
	.set _ZN7rocprim17ROCPRIM_400000_NS6detail17trampoline_kernelINS0_14default_configENS1_38merge_sort_block_merge_config_selectorIlNS0_10empty_typeEEEZZNS1_27merge_sort_block_merge_implIS3_PlPS5_mZN2at6native12_GLOBAL__N_124unique_dim_cuda_templateIaEESt5tupleIJNSA_6TensorESF_SF_EERKSF_lbbbEUlllE_EE10hipError_tT0_T1_T2_jT3_P12ihipStream_tbPNSt15iterator_traitsISL_E10value_typeEPNSR_ISM_E10value_typeEPSN_NS1_7vsmem_tEENKUlT_SL_SM_SN_E_clIS8_S8_S9_S9_EESK_S10_SL_SM_SN_EUlS10_E1_NS1_11comp_targetILNS1_3genE5ELNS1_11target_archE942ELNS1_3gpuE9ELNS1_3repE0EEENS1_36merge_oddeven_config_static_selectorELNS0_4arch9wavefront6targetE0EEEvSM_.private_seg_size, 0
	.set _ZN7rocprim17ROCPRIM_400000_NS6detail17trampoline_kernelINS0_14default_configENS1_38merge_sort_block_merge_config_selectorIlNS0_10empty_typeEEEZZNS1_27merge_sort_block_merge_implIS3_PlPS5_mZN2at6native12_GLOBAL__N_124unique_dim_cuda_templateIaEESt5tupleIJNSA_6TensorESF_SF_EERKSF_lbbbEUlllE_EE10hipError_tT0_T1_T2_jT3_P12ihipStream_tbPNSt15iterator_traitsISL_E10value_typeEPNSR_ISM_E10value_typeEPSN_NS1_7vsmem_tEENKUlT_SL_SM_SN_E_clIS8_S8_S9_S9_EESK_S10_SL_SM_SN_EUlS10_E1_NS1_11comp_targetILNS1_3genE5ELNS1_11target_archE942ELNS1_3gpuE9ELNS1_3repE0EEENS1_36merge_oddeven_config_static_selectorELNS0_4arch9wavefront6targetE0EEEvSM_.uses_vcc, 0
	.set _ZN7rocprim17ROCPRIM_400000_NS6detail17trampoline_kernelINS0_14default_configENS1_38merge_sort_block_merge_config_selectorIlNS0_10empty_typeEEEZZNS1_27merge_sort_block_merge_implIS3_PlPS5_mZN2at6native12_GLOBAL__N_124unique_dim_cuda_templateIaEESt5tupleIJNSA_6TensorESF_SF_EERKSF_lbbbEUlllE_EE10hipError_tT0_T1_T2_jT3_P12ihipStream_tbPNSt15iterator_traitsISL_E10value_typeEPNSR_ISM_E10value_typeEPSN_NS1_7vsmem_tEENKUlT_SL_SM_SN_E_clIS8_S8_S9_S9_EESK_S10_SL_SM_SN_EUlS10_E1_NS1_11comp_targetILNS1_3genE5ELNS1_11target_archE942ELNS1_3gpuE9ELNS1_3repE0EEENS1_36merge_oddeven_config_static_selectorELNS0_4arch9wavefront6targetE0EEEvSM_.uses_flat_scratch, 0
	.set _ZN7rocprim17ROCPRIM_400000_NS6detail17trampoline_kernelINS0_14default_configENS1_38merge_sort_block_merge_config_selectorIlNS0_10empty_typeEEEZZNS1_27merge_sort_block_merge_implIS3_PlPS5_mZN2at6native12_GLOBAL__N_124unique_dim_cuda_templateIaEESt5tupleIJNSA_6TensorESF_SF_EERKSF_lbbbEUlllE_EE10hipError_tT0_T1_T2_jT3_P12ihipStream_tbPNSt15iterator_traitsISL_E10value_typeEPNSR_ISM_E10value_typeEPSN_NS1_7vsmem_tEENKUlT_SL_SM_SN_E_clIS8_S8_S9_S9_EESK_S10_SL_SM_SN_EUlS10_E1_NS1_11comp_targetILNS1_3genE5ELNS1_11target_archE942ELNS1_3gpuE9ELNS1_3repE0EEENS1_36merge_oddeven_config_static_selectorELNS0_4arch9wavefront6targetE0EEEvSM_.has_dyn_sized_stack, 0
	.set _ZN7rocprim17ROCPRIM_400000_NS6detail17trampoline_kernelINS0_14default_configENS1_38merge_sort_block_merge_config_selectorIlNS0_10empty_typeEEEZZNS1_27merge_sort_block_merge_implIS3_PlPS5_mZN2at6native12_GLOBAL__N_124unique_dim_cuda_templateIaEESt5tupleIJNSA_6TensorESF_SF_EERKSF_lbbbEUlllE_EE10hipError_tT0_T1_T2_jT3_P12ihipStream_tbPNSt15iterator_traitsISL_E10value_typeEPNSR_ISM_E10value_typeEPSN_NS1_7vsmem_tEENKUlT_SL_SM_SN_E_clIS8_S8_S9_S9_EESK_S10_SL_SM_SN_EUlS10_E1_NS1_11comp_targetILNS1_3genE5ELNS1_11target_archE942ELNS1_3gpuE9ELNS1_3repE0EEENS1_36merge_oddeven_config_static_selectorELNS0_4arch9wavefront6targetE0EEEvSM_.has_recursion, 0
	.set _ZN7rocprim17ROCPRIM_400000_NS6detail17trampoline_kernelINS0_14default_configENS1_38merge_sort_block_merge_config_selectorIlNS0_10empty_typeEEEZZNS1_27merge_sort_block_merge_implIS3_PlPS5_mZN2at6native12_GLOBAL__N_124unique_dim_cuda_templateIaEESt5tupleIJNSA_6TensorESF_SF_EERKSF_lbbbEUlllE_EE10hipError_tT0_T1_T2_jT3_P12ihipStream_tbPNSt15iterator_traitsISL_E10value_typeEPNSR_ISM_E10value_typeEPSN_NS1_7vsmem_tEENKUlT_SL_SM_SN_E_clIS8_S8_S9_S9_EESK_S10_SL_SM_SN_EUlS10_E1_NS1_11comp_targetILNS1_3genE5ELNS1_11target_archE942ELNS1_3gpuE9ELNS1_3repE0EEENS1_36merge_oddeven_config_static_selectorELNS0_4arch9wavefront6targetE0EEEvSM_.has_indirect_call, 0
	.section	.AMDGPU.csdata,"",@progbits
; Kernel info:
; codeLenInByte = 0
; TotalNumSgprs: 0
; NumVgprs: 0
; ScratchSize: 0
; MemoryBound: 0
; FloatMode: 240
; IeeeMode: 1
; LDSByteSize: 0 bytes/workgroup (compile time only)
; SGPRBlocks: 0
; VGPRBlocks: 0
; NumSGPRsForWavesPerEU: 1
; NumVGPRsForWavesPerEU: 1
; NamedBarCnt: 0
; Occupancy: 16
; WaveLimiterHint : 0
; COMPUTE_PGM_RSRC2:SCRATCH_EN: 0
; COMPUTE_PGM_RSRC2:USER_SGPR: 2
; COMPUTE_PGM_RSRC2:TRAP_HANDLER: 0
; COMPUTE_PGM_RSRC2:TGID_X_EN: 1
; COMPUTE_PGM_RSRC2:TGID_Y_EN: 0
; COMPUTE_PGM_RSRC2:TGID_Z_EN: 0
; COMPUTE_PGM_RSRC2:TIDIG_COMP_CNT: 0
	.section	.text._ZN7rocprim17ROCPRIM_400000_NS6detail17trampoline_kernelINS0_14default_configENS1_38merge_sort_block_merge_config_selectorIlNS0_10empty_typeEEEZZNS1_27merge_sort_block_merge_implIS3_PlPS5_mZN2at6native12_GLOBAL__N_124unique_dim_cuda_templateIaEESt5tupleIJNSA_6TensorESF_SF_EERKSF_lbbbEUlllE_EE10hipError_tT0_T1_T2_jT3_P12ihipStream_tbPNSt15iterator_traitsISL_E10value_typeEPNSR_ISM_E10value_typeEPSN_NS1_7vsmem_tEENKUlT_SL_SM_SN_E_clIS8_S8_S9_S9_EESK_S10_SL_SM_SN_EUlS10_E1_NS1_11comp_targetILNS1_3genE4ELNS1_11target_archE910ELNS1_3gpuE8ELNS1_3repE0EEENS1_36merge_oddeven_config_static_selectorELNS0_4arch9wavefront6targetE0EEEvSM_,"axG",@progbits,_ZN7rocprim17ROCPRIM_400000_NS6detail17trampoline_kernelINS0_14default_configENS1_38merge_sort_block_merge_config_selectorIlNS0_10empty_typeEEEZZNS1_27merge_sort_block_merge_implIS3_PlPS5_mZN2at6native12_GLOBAL__N_124unique_dim_cuda_templateIaEESt5tupleIJNSA_6TensorESF_SF_EERKSF_lbbbEUlllE_EE10hipError_tT0_T1_T2_jT3_P12ihipStream_tbPNSt15iterator_traitsISL_E10value_typeEPNSR_ISM_E10value_typeEPSN_NS1_7vsmem_tEENKUlT_SL_SM_SN_E_clIS8_S8_S9_S9_EESK_S10_SL_SM_SN_EUlS10_E1_NS1_11comp_targetILNS1_3genE4ELNS1_11target_archE910ELNS1_3gpuE8ELNS1_3repE0EEENS1_36merge_oddeven_config_static_selectorELNS0_4arch9wavefront6targetE0EEEvSM_,comdat
	.globl	_ZN7rocprim17ROCPRIM_400000_NS6detail17trampoline_kernelINS0_14default_configENS1_38merge_sort_block_merge_config_selectorIlNS0_10empty_typeEEEZZNS1_27merge_sort_block_merge_implIS3_PlPS5_mZN2at6native12_GLOBAL__N_124unique_dim_cuda_templateIaEESt5tupleIJNSA_6TensorESF_SF_EERKSF_lbbbEUlllE_EE10hipError_tT0_T1_T2_jT3_P12ihipStream_tbPNSt15iterator_traitsISL_E10value_typeEPNSR_ISM_E10value_typeEPSN_NS1_7vsmem_tEENKUlT_SL_SM_SN_E_clIS8_S8_S9_S9_EESK_S10_SL_SM_SN_EUlS10_E1_NS1_11comp_targetILNS1_3genE4ELNS1_11target_archE910ELNS1_3gpuE8ELNS1_3repE0EEENS1_36merge_oddeven_config_static_selectorELNS0_4arch9wavefront6targetE0EEEvSM_ ; -- Begin function _ZN7rocprim17ROCPRIM_400000_NS6detail17trampoline_kernelINS0_14default_configENS1_38merge_sort_block_merge_config_selectorIlNS0_10empty_typeEEEZZNS1_27merge_sort_block_merge_implIS3_PlPS5_mZN2at6native12_GLOBAL__N_124unique_dim_cuda_templateIaEESt5tupleIJNSA_6TensorESF_SF_EERKSF_lbbbEUlllE_EE10hipError_tT0_T1_T2_jT3_P12ihipStream_tbPNSt15iterator_traitsISL_E10value_typeEPNSR_ISM_E10value_typeEPSN_NS1_7vsmem_tEENKUlT_SL_SM_SN_E_clIS8_S8_S9_S9_EESK_S10_SL_SM_SN_EUlS10_E1_NS1_11comp_targetILNS1_3genE4ELNS1_11target_archE910ELNS1_3gpuE8ELNS1_3repE0EEENS1_36merge_oddeven_config_static_selectorELNS0_4arch9wavefront6targetE0EEEvSM_
	.p2align	8
	.type	_ZN7rocprim17ROCPRIM_400000_NS6detail17trampoline_kernelINS0_14default_configENS1_38merge_sort_block_merge_config_selectorIlNS0_10empty_typeEEEZZNS1_27merge_sort_block_merge_implIS3_PlPS5_mZN2at6native12_GLOBAL__N_124unique_dim_cuda_templateIaEESt5tupleIJNSA_6TensorESF_SF_EERKSF_lbbbEUlllE_EE10hipError_tT0_T1_T2_jT3_P12ihipStream_tbPNSt15iterator_traitsISL_E10value_typeEPNSR_ISM_E10value_typeEPSN_NS1_7vsmem_tEENKUlT_SL_SM_SN_E_clIS8_S8_S9_S9_EESK_S10_SL_SM_SN_EUlS10_E1_NS1_11comp_targetILNS1_3genE4ELNS1_11target_archE910ELNS1_3gpuE8ELNS1_3repE0EEENS1_36merge_oddeven_config_static_selectorELNS0_4arch9wavefront6targetE0EEEvSM_,@function
_ZN7rocprim17ROCPRIM_400000_NS6detail17trampoline_kernelINS0_14default_configENS1_38merge_sort_block_merge_config_selectorIlNS0_10empty_typeEEEZZNS1_27merge_sort_block_merge_implIS3_PlPS5_mZN2at6native12_GLOBAL__N_124unique_dim_cuda_templateIaEESt5tupleIJNSA_6TensorESF_SF_EERKSF_lbbbEUlllE_EE10hipError_tT0_T1_T2_jT3_P12ihipStream_tbPNSt15iterator_traitsISL_E10value_typeEPNSR_ISM_E10value_typeEPSN_NS1_7vsmem_tEENKUlT_SL_SM_SN_E_clIS8_S8_S9_S9_EESK_S10_SL_SM_SN_EUlS10_E1_NS1_11comp_targetILNS1_3genE4ELNS1_11target_archE910ELNS1_3gpuE8ELNS1_3repE0EEENS1_36merge_oddeven_config_static_selectorELNS0_4arch9wavefront6targetE0EEEvSM_: ; @_ZN7rocprim17ROCPRIM_400000_NS6detail17trampoline_kernelINS0_14default_configENS1_38merge_sort_block_merge_config_selectorIlNS0_10empty_typeEEEZZNS1_27merge_sort_block_merge_implIS3_PlPS5_mZN2at6native12_GLOBAL__N_124unique_dim_cuda_templateIaEESt5tupleIJNSA_6TensorESF_SF_EERKSF_lbbbEUlllE_EE10hipError_tT0_T1_T2_jT3_P12ihipStream_tbPNSt15iterator_traitsISL_E10value_typeEPNSR_ISM_E10value_typeEPSN_NS1_7vsmem_tEENKUlT_SL_SM_SN_E_clIS8_S8_S9_S9_EESK_S10_SL_SM_SN_EUlS10_E1_NS1_11comp_targetILNS1_3genE4ELNS1_11target_archE910ELNS1_3gpuE8ELNS1_3repE0EEENS1_36merge_oddeven_config_static_selectorELNS0_4arch9wavefront6targetE0EEEvSM_
; %bb.0:
	.section	.rodata,"a",@progbits
	.p2align	6, 0x0
	.amdhsa_kernel _ZN7rocprim17ROCPRIM_400000_NS6detail17trampoline_kernelINS0_14default_configENS1_38merge_sort_block_merge_config_selectorIlNS0_10empty_typeEEEZZNS1_27merge_sort_block_merge_implIS3_PlPS5_mZN2at6native12_GLOBAL__N_124unique_dim_cuda_templateIaEESt5tupleIJNSA_6TensorESF_SF_EERKSF_lbbbEUlllE_EE10hipError_tT0_T1_T2_jT3_P12ihipStream_tbPNSt15iterator_traitsISL_E10value_typeEPNSR_ISM_E10value_typeEPSN_NS1_7vsmem_tEENKUlT_SL_SM_SN_E_clIS8_S8_S9_S9_EESK_S10_SL_SM_SN_EUlS10_E1_NS1_11comp_targetILNS1_3genE4ELNS1_11target_archE910ELNS1_3gpuE8ELNS1_3repE0EEENS1_36merge_oddeven_config_static_selectorELNS0_4arch9wavefront6targetE0EEEvSM_
		.amdhsa_group_segment_fixed_size 0
		.amdhsa_private_segment_fixed_size 0
		.amdhsa_kernarg_size 64
		.amdhsa_user_sgpr_count 2
		.amdhsa_user_sgpr_dispatch_ptr 0
		.amdhsa_user_sgpr_queue_ptr 0
		.amdhsa_user_sgpr_kernarg_segment_ptr 1
		.amdhsa_user_sgpr_dispatch_id 0
		.amdhsa_user_sgpr_kernarg_preload_length 0
		.amdhsa_user_sgpr_kernarg_preload_offset 0
		.amdhsa_user_sgpr_private_segment_size 0
		.amdhsa_wavefront_size32 1
		.amdhsa_uses_dynamic_stack 0
		.amdhsa_enable_private_segment 0
		.amdhsa_system_sgpr_workgroup_id_x 1
		.amdhsa_system_sgpr_workgroup_id_y 0
		.amdhsa_system_sgpr_workgroup_id_z 0
		.amdhsa_system_sgpr_workgroup_info 0
		.amdhsa_system_vgpr_workitem_id 0
		.amdhsa_next_free_vgpr 1
		.amdhsa_next_free_sgpr 1
		.amdhsa_named_barrier_count 0
		.amdhsa_reserve_vcc 0
		.amdhsa_float_round_mode_32 0
		.amdhsa_float_round_mode_16_64 0
		.amdhsa_float_denorm_mode_32 3
		.amdhsa_float_denorm_mode_16_64 3
		.amdhsa_fp16_overflow 0
		.amdhsa_memory_ordered 1
		.amdhsa_forward_progress 1
		.amdhsa_inst_pref_size 0
		.amdhsa_round_robin_scheduling 0
		.amdhsa_exception_fp_ieee_invalid_op 0
		.amdhsa_exception_fp_denorm_src 0
		.amdhsa_exception_fp_ieee_div_zero 0
		.amdhsa_exception_fp_ieee_overflow 0
		.amdhsa_exception_fp_ieee_underflow 0
		.amdhsa_exception_fp_ieee_inexact 0
		.amdhsa_exception_int_div_zero 0
	.end_amdhsa_kernel
	.section	.text._ZN7rocprim17ROCPRIM_400000_NS6detail17trampoline_kernelINS0_14default_configENS1_38merge_sort_block_merge_config_selectorIlNS0_10empty_typeEEEZZNS1_27merge_sort_block_merge_implIS3_PlPS5_mZN2at6native12_GLOBAL__N_124unique_dim_cuda_templateIaEESt5tupleIJNSA_6TensorESF_SF_EERKSF_lbbbEUlllE_EE10hipError_tT0_T1_T2_jT3_P12ihipStream_tbPNSt15iterator_traitsISL_E10value_typeEPNSR_ISM_E10value_typeEPSN_NS1_7vsmem_tEENKUlT_SL_SM_SN_E_clIS8_S8_S9_S9_EESK_S10_SL_SM_SN_EUlS10_E1_NS1_11comp_targetILNS1_3genE4ELNS1_11target_archE910ELNS1_3gpuE8ELNS1_3repE0EEENS1_36merge_oddeven_config_static_selectorELNS0_4arch9wavefront6targetE0EEEvSM_,"axG",@progbits,_ZN7rocprim17ROCPRIM_400000_NS6detail17trampoline_kernelINS0_14default_configENS1_38merge_sort_block_merge_config_selectorIlNS0_10empty_typeEEEZZNS1_27merge_sort_block_merge_implIS3_PlPS5_mZN2at6native12_GLOBAL__N_124unique_dim_cuda_templateIaEESt5tupleIJNSA_6TensorESF_SF_EERKSF_lbbbEUlllE_EE10hipError_tT0_T1_T2_jT3_P12ihipStream_tbPNSt15iterator_traitsISL_E10value_typeEPNSR_ISM_E10value_typeEPSN_NS1_7vsmem_tEENKUlT_SL_SM_SN_E_clIS8_S8_S9_S9_EESK_S10_SL_SM_SN_EUlS10_E1_NS1_11comp_targetILNS1_3genE4ELNS1_11target_archE910ELNS1_3gpuE8ELNS1_3repE0EEENS1_36merge_oddeven_config_static_selectorELNS0_4arch9wavefront6targetE0EEEvSM_,comdat
.Lfunc_end289:
	.size	_ZN7rocprim17ROCPRIM_400000_NS6detail17trampoline_kernelINS0_14default_configENS1_38merge_sort_block_merge_config_selectorIlNS0_10empty_typeEEEZZNS1_27merge_sort_block_merge_implIS3_PlPS5_mZN2at6native12_GLOBAL__N_124unique_dim_cuda_templateIaEESt5tupleIJNSA_6TensorESF_SF_EERKSF_lbbbEUlllE_EE10hipError_tT0_T1_T2_jT3_P12ihipStream_tbPNSt15iterator_traitsISL_E10value_typeEPNSR_ISM_E10value_typeEPSN_NS1_7vsmem_tEENKUlT_SL_SM_SN_E_clIS8_S8_S9_S9_EESK_S10_SL_SM_SN_EUlS10_E1_NS1_11comp_targetILNS1_3genE4ELNS1_11target_archE910ELNS1_3gpuE8ELNS1_3repE0EEENS1_36merge_oddeven_config_static_selectorELNS0_4arch9wavefront6targetE0EEEvSM_, .Lfunc_end289-_ZN7rocprim17ROCPRIM_400000_NS6detail17trampoline_kernelINS0_14default_configENS1_38merge_sort_block_merge_config_selectorIlNS0_10empty_typeEEEZZNS1_27merge_sort_block_merge_implIS3_PlPS5_mZN2at6native12_GLOBAL__N_124unique_dim_cuda_templateIaEESt5tupleIJNSA_6TensorESF_SF_EERKSF_lbbbEUlllE_EE10hipError_tT0_T1_T2_jT3_P12ihipStream_tbPNSt15iterator_traitsISL_E10value_typeEPNSR_ISM_E10value_typeEPSN_NS1_7vsmem_tEENKUlT_SL_SM_SN_E_clIS8_S8_S9_S9_EESK_S10_SL_SM_SN_EUlS10_E1_NS1_11comp_targetILNS1_3genE4ELNS1_11target_archE910ELNS1_3gpuE8ELNS1_3repE0EEENS1_36merge_oddeven_config_static_selectorELNS0_4arch9wavefront6targetE0EEEvSM_
                                        ; -- End function
	.set _ZN7rocprim17ROCPRIM_400000_NS6detail17trampoline_kernelINS0_14default_configENS1_38merge_sort_block_merge_config_selectorIlNS0_10empty_typeEEEZZNS1_27merge_sort_block_merge_implIS3_PlPS5_mZN2at6native12_GLOBAL__N_124unique_dim_cuda_templateIaEESt5tupleIJNSA_6TensorESF_SF_EERKSF_lbbbEUlllE_EE10hipError_tT0_T1_T2_jT3_P12ihipStream_tbPNSt15iterator_traitsISL_E10value_typeEPNSR_ISM_E10value_typeEPSN_NS1_7vsmem_tEENKUlT_SL_SM_SN_E_clIS8_S8_S9_S9_EESK_S10_SL_SM_SN_EUlS10_E1_NS1_11comp_targetILNS1_3genE4ELNS1_11target_archE910ELNS1_3gpuE8ELNS1_3repE0EEENS1_36merge_oddeven_config_static_selectorELNS0_4arch9wavefront6targetE0EEEvSM_.num_vgpr, 0
	.set _ZN7rocprim17ROCPRIM_400000_NS6detail17trampoline_kernelINS0_14default_configENS1_38merge_sort_block_merge_config_selectorIlNS0_10empty_typeEEEZZNS1_27merge_sort_block_merge_implIS3_PlPS5_mZN2at6native12_GLOBAL__N_124unique_dim_cuda_templateIaEESt5tupleIJNSA_6TensorESF_SF_EERKSF_lbbbEUlllE_EE10hipError_tT0_T1_T2_jT3_P12ihipStream_tbPNSt15iterator_traitsISL_E10value_typeEPNSR_ISM_E10value_typeEPSN_NS1_7vsmem_tEENKUlT_SL_SM_SN_E_clIS8_S8_S9_S9_EESK_S10_SL_SM_SN_EUlS10_E1_NS1_11comp_targetILNS1_3genE4ELNS1_11target_archE910ELNS1_3gpuE8ELNS1_3repE0EEENS1_36merge_oddeven_config_static_selectorELNS0_4arch9wavefront6targetE0EEEvSM_.num_agpr, 0
	.set _ZN7rocprim17ROCPRIM_400000_NS6detail17trampoline_kernelINS0_14default_configENS1_38merge_sort_block_merge_config_selectorIlNS0_10empty_typeEEEZZNS1_27merge_sort_block_merge_implIS3_PlPS5_mZN2at6native12_GLOBAL__N_124unique_dim_cuda_templateIaEESt5tupleIJNSA_6TensorESF_SF_EERKSF_lbbbEUlllE_EE10hipError_tT0_T1_T2_jT3_P12ihipStream_tbPNSt15iterator_traitsISL_E10value_typeEPNSR_ISM_E10value_typeEPSN_NS1_7vsmem_tEENKUlT_SL_SM_SN_E_clIS8_S8_S9_S9_EESK_S10_SL_SM_SN_EUlS10_E1_NS1_11comp_targetILNS1_3genE4ELNS1_11target_archE910ELNS1_3gpuE8ELNS1_3repE0EEENS1_36merge_oddeven_config_static_selectorELNS0_4arch9wavefront6targetE0EEEvSM_.numbered_sgpr, 0
	.set _ZN7rocprim17ROCPRIM_400000_NS6detail17trampoline_kernelINS0_14default_configENS1_38merge_sort_block_merge_config_selectorIlNS0_10empty_typeEEEZZNS1_27merge_sort_block_merge_implIS3_PlPS5_mZN2at6native12_GLOBAL__N_124unique_dim_cuda_templateIaEESt5tupleIJNSA_6TensorESF_SF_EERKSF_lbbbEUlllE_EE10hipError_tT0_T1_T2_jT3_P12ihipStream_tbPNSt15iterator_traitsISL_E10value_typeEPNSR_ISM_E10value_typeEPSN_NS1_7vsmem_tEENKUlT_SL_SM_SN_E_clIS8_S8_S9_S9_EESK_S10_SL_SM_SN_EUlS10_E1_NS1_11comp_targetILNS1_3genE4ELNS1_11target_archE910ELNS1_3gpuE8ELNS1_3repE0EEENS1_36merge_oddeven_config_static_selectorELNS0_4arch9wavefront6targetE0EEEvSM_.num_named_barrier, 0
	.set _ZN7rocprim17ROCPRIM_400000_NS6detail17trampoline_kernelINS0_14default_configENS1_38merge_sort_block_merge_config_selectorIlNS0_10empty_typeEEEZZNS1_27merge_sort_block_merge_implIS3_PlPS5_mZN2at6native12_GLOBAL__N_124unique_dim_cuda_templateIaEESt5tupleIJNSA_6TensorESF_SF_EERKSF_lbbbEUlllE_EE10hipError_tT0_T1_T2_jT3_P12ihipStream_tbPNSt15iterator_traitsISL_E10value_typeEPNSR_ISM_E10value_typeEPSN_NS1_7vsmem_tEENKUlT_SL_SM_SN_E_clIS8_S8_S9_S9_EESK_S10_SL_SM_SN_EUlS10_E1_NS1_11comp_targetILNS1_3genE4ELNS1_11target_archE910ELNS1_3gpuE8ELNS1_3repE0EEENS1_36merge_oddeven_config_static_selectorELNS0_4arch9wavefront6targetE0EEEvSM_.private_seg_size, 0
	.set _ZN7rocprim17ROCPRIM_400000_NS6detail17trampoline_kernelINS0_14default_configENS1_38merge_sort_block_merge_config_selectorIlNS0_10empty_typeEEEZZNS1_27merge_sort_block_merge_implIS3_PlPS5_mZN2at6native12_GLOBAL__N_124unique_dim_cuda_templateIaEESt5tupleIJNSA_6TensorESF_SF_EERKSF_lbbbEUlllE_EE10hipError_tT0_T1_T2_jT3_P12ihipStream_tbPNSt15iterator_traitsISL_E10value_typeEPNSR_ISM_E10value_typeEPSN_NS1_7vsmem_tEENKUlT_SL_SM_SN_E_clIS8_S8_S9_S9_EESK_S10_SL_SM_SN_EUlS10_E1_NS1_11comp_targetILNS1_3genE4ELNS1_11target_archE910ELNS1_3gpuE8ELNS1_3repE0EEENS1_36merge_oddeven_config_static_selectorELNS0_4arch9wavefront6targetE0EEEvSM_.uses_vcc, 0
	.set _ZN7rocprim17ROCPRIM_400000_NS6detail17trampoline_kernelINS0_14default_configENS1_38merge_sort_block_merge_config_selectorIlNS0_10empty_typeEEEZZNS1_27merge_sort_block_merge_implIS3_PlPS5_mZN2at6native12_GLOBAL__N_124unique_dim_cuda_templateIaEESt5tupleIJNSA_6TensorESF_SF_EERKSF_lbbbEUlllE_EE10hipError_tT0_T1_T2_jT3_P12ihipStream_tbPNSt15iterator_traitsISL_E10value_typeEPNSR_ISM_E10value_typeEPSN_NS1_7vsmem_tEENKUlT_SL_SM_SN_E_clIS8_S8_S9_S9_EESK_S10_SL_SM_SN_EUlS10_E1_NS1_11comp_targetILNS1_3genE4ELNS1_11target_archE910ELNS1_3gpuE8ELNS1_3repE0EEENS1_36merge_oddeven_config_static_selectorELNS0_4arch9wavefront6targetE0EEEvSM_.uses_flat_scratch, 0
	.set _ZN7rocprim17ROCPRIM_400000_NS6detail17trampoline_kernelINS0_14default_configENS1_38merge_sort_block_merge_config_selectorIlNS0_10empty_typeEEEZZNS1_27merge_sort_block_merge_implIS3_PlPS5_mZN2at6native12_GLOBAL__N_124unique_dim_cuda_templateIaEESt5tupleIJNSA_6TensorESF_SF_EERKSF_lbbbEUlllE_EE10hipError_tT0_T1_T2_jT3_P12ihipStream_tbPNSt15iterator_traitsISL_E10value_typeEPNSR_ISM_E10value_typeEPSN_NS1_7vsmem_tEENKUlT_SL_SM_SN_E_clIS8_S8_S9_S9_EESK_S10_SL_SM_SN_EUlS10_E1_NS1_11comp_targetILNS1_3genE4ELNS1_11target_archE910ELNS1_3gpuE8ELNS1_3repE0EEENS1_36merge_oddeven_config_static_selectorELNS0_4arch9wavefront6targetE0EEEvSM_.has_dyn_sized_stack, 0
	.set _ZN7rocprim17ROCPRIM_400000_NS6detail17trampoline_kernelINS0_14default_configENS1_38merge_sort_block_merge_config_selectorIlNS0_10empty_typeEEEZZNS1_27merge_sort_block_merge_implIS3_PlPS5_mZN2at6native12_GLOBAL__N_124unique_dim_cuda_templateIaEESt5tupleIJNSA_6TensorESF_SF_EERKSF_lbbbEUlllE_EE10hipError_tT0_T1_T2_jT3_P12ihipStream_tbPNSt15iterator_traitsISL_E10value_typeEPNSR_ISM_E10value_typeEPSN_NS1_7vsmem_tEENKUlT_SL_SM_SN_E_clIS8_S8_S9_S9_EESK_S10_SL_SM_SN_EUlS10_E1_NS1_11comp_targetILNS1_3genE4ELNS1_11target_archE910ELNS1_3gpuE8ELNS1_3repE0EEENS1_36merge_oddeven_config_static_selectorELNS0_4arch9wavefront6targetE0EEEvSM_.has_recursion, 0
	.set _ZN7rocprim17ROCPRIM_400000_NS6detail17trampoline_kernelINS0_14default_configENS1_38merge_sort_block_merge_config_selectorIlNS0_10empty_typeEEEZZNS1_27merge_sort_block_merge_implIS3_PlPS5_mZN2at6native12_GLOBAL__N_124unique_dim_cuda_templateIaEESt5tupleIJNSA_6TensorESF_SF_EERKSF_lbbbEUlllE_EE10hipError_tT0_T1_T2_jT3_P12ihipStream_tbPNSt15iterator_traitsISL_E10value_typeEPNSR_ISM_E10value_typeEPSN_NS1_7vsmem_tEENKUlT_SL_SM_SN_E_clIS8_S8_S9_S9_EESK_S10_SL_SM_SN_EUlS10_E1_NS1_11comp_targetILNS1_3genE4ELNS1_11target_archE910ELNS1_3gpuE8ELNS1_3repE0EEENS1_36merge_oddeven_config_static_selectorELNS0_4arch9wavefront6targetE0EEEvSM_.has_indirect_call, 0
	.section	.AMDGPU.csdata,"",@progbits
; Kernel info:
; codeLenInByte = 0
; TotalNumSgprs: 0
; NumVgprs: 0
; ScratchSize: 0
; MemoryBound: 0
; FloatMode: 240
; IeeeMode: 1
; LDSByteSize: 0 bytes/workgroup (compile time only)
; SGPRBlocks: 0
; VGPRBlocks: 0
; NumSGPRsForWavesPerEU: 1
; NumVGPRsForWavesPerEU: 1
; NamedBarCnt: 0
; Occupancy: 16
; WaveLimiterHint : 0
; COMPUTE_PGM_RSRC2:SCRATCH_EN: 0
; COMPUTE_PGM_RSRC2:USER_SGPR: 2
; COMPUTE_PGM_RSRC2:TRAP_HANDLER: 0
; COMPUTE_PGM_RSRC2:TGID_X_EN: 1
; COMPUTE_PGM_RSRC2:TGID_Y_EN: 0
; COMPUTE_PGM_RSRC2:TGID_Z_EN: 0
; COMPUTE_PGM_RSRC2:TIDIG_COMP_CNT: 0
	.section	.text._ZN7rocprim17ROCPRIM_400000_NS6detail17trampoline_kernelINS0_14default_configENS1_38merge_sort_block_merge_config_selectorIlNS0_10empty_typeEEEZZNS1_27merge_sort_block_merge_implIS3_PlPS5_mZN2at6native12_GLOBAL__N_124unique_dim_cuda_templateIaEESt5tupleIJNSA_6TensorESF_SF_EERKSF_lbbbEUlllE_EE10hipError_tT0_T1_T2_jT3_P12ihipStream_tbPNSt15iterator_traitsISL_E10value_typeEPNSR_ISM_E10value_typeEPSN_NS1_7vsmem_tEENKUlT_SL_SM_SN_E_clIS8_S8_S9_S9_EESK_S10_SL_SM_SN_EUlS10_E1_NS1_11comp_targetILNS1_3genE3ELNS1_11target_archE908ELNS1_3gpuE7ELNS1_3repE0EEENS1_36merge_oddeven_config_static_selectorELNS0_4arch9wavefront6targetE0EEEvSM_,"axG",@progbits,_ZN7rocprim17ROCPRIM_400000_NS6detail17trampoline_kernelINS0_14default_configENS1_38merge_sort_block_merge_config_selectorIlNS0_10empty_typeEEEZZNS1_27merge_sort_block_merge_implIS3_PlPS5_mZN2at6native12_GLOBAL__N_124unique_dim_cuda_templateIaEESt5tupleIJNSA_6TensorESF_SF_EERKSF_lbbbEUlllE_EE10hipError_tT0_T1_T2_jT3_P12ihipStream_tbPNSt15iterator_traitsISL_E10value_typeEPNSR_ISM_E10value_typeEPSN_NS1_7vsmem_tEENKUlT_SL_SM_SN_E_clIS8_S8_S9_S9_EESK_S10_SL_SM_SN_EUlS10_E1_NS1_11comp_targetILNS1_3genE3ELNS1_11target_archE908ELNS1_3gpuE7ELNS1_3repE0EEENS1_36merge_oddeven_config_static_selectorELNS0_4arch9wavefront6targetE0EEEvSM_,comdat
	.globl	_ZN7rocprim17ROCPRIM_400000_NS6detail17trampoline_kernelINS0_14default_configENS1_38merge_sort_block_merge_config_selectorIlNS0_10empty_typeEEEZZNS1_27merge_sort_block_merge_implIS3_PlPS5_mZN2at6native12_GLOBAL__N_124unique_dim_cuda_templateIaEESt5tupleIJNSA_6TensorESF_SF_EERKSF_lbbbEUlllE_EE10hipError_tT0_T1_T2_jT3_P12ihipStream_tbPNSt15iterator_traitsISL_E10value_typeEPNSR_ISM_E10value_typeEPSN_NS1_7vsmem_tEENKUlT_SL_SM_SN_E_clIS8_S8_S9_S9_EESK_S10_SL_SM_SN_EUlS10_E1_NS1_11comp_targetILNS1_3genE3ELNS1_11target_archE908ELNS1_3gpuE7ELNS1_3repE0EEENS1_36merge_oddeven_config_static_selectorELNS0_4arch9wavefront6targetE0EEEvSM_ ; -- Begin function _ZN7rocprim17ROCPRIM_400000_NS6detail17trampoline_kernelINS0_14default_configENS1_38merge_sort_block_merge_config_selectorIlNS0_10empty_typeEEEZZNS1_27merge_sort_block_merge_implIS3_PlPS5_mZN2at6native12_GLOBAL__N_124unique_dim_cuda_templateIaEESt5tupleIJNSA_6TensorESF_SF_EERKSF_lbbbEUlllE_EE10hipError_tT0_T1_T2_jT3_P12ihipStream_tbPNSt15iterator_traitsISL_E10value_typeEPNSR_ISM_E10value_typeEPSN_NS1_7vsmem_tEENKUlT_SL_SM_SN_E_clIS8_S8_S9_S9_EESK_S10_SL_SM_SN_EUlS10_E1_NS1_11comp_targetILNS1_3genE3ELNS1_11target_archE908ELNS1_3gpuE7ELNS1_3repE0EEENS1_36merge_oddeven_config_static_selectorELNS0_4arch9wavefront6targetE0EEEvSM_
	.p2align	8
	.type	_ZN7rocprim17ROCPRIM_400000_NS6detail17trampoline_kernelINS0_14default_configENS1_38merge_sort_block_merge_config_selectorIlNS0_10empty_typeEEEZZNS1_27merge_sort_block_merge_implIS3_PlPS5_mZN2at6native12_GLOBAL__N_124unique_dim_cuda_templateIaEESt5tupleIJNSA_6TensorESF_SF_EERKSF_lbbbEUlllE_EE10hipError_tT0_T1_T2_jT3_P12ihipStream_tbPNSt15iterator_traitsISL_E10value_typeEPNSR_ISM_E10value_typeEPSN_NS1_7vsmem_tEENKUlT_SL_SM_SN_E_clIS8_S8_S9_S9_EESK_S10_SL_SM_SN_EUlS10_E1_NS1_11comp_targetILNS1_3genE3ELNS1_11target_archE908ELNS1_3gpuE7ELNS1_3repE0EEENS1_36merge_oddeven_config_static_selectorELNS0_4arch9wavefront6targetE0EEEvSM_,@function
_ZN7rocprim17ROCPRIM_400000_NS6detail17trampoline_kernelINS0_14default_configENS1_38merge_sort_block_merge_config_selectorIlNS0_10empty_typeEEEZZNS1_27merge_sort_block_merge_implIS3_PlPS5_mZN2at6native12_GLOBAL__N_124unique_dim_cuda_templateIaEESt5tupleIJNSA_6TensorESF_SF_EERKSF_lbbbEUlllE_EE10hipError_tT0_T1_T2_jT3_P12ihipStream_tbPNSt15iterator_traitsISL_E10value_typeEPNSR_ISM_E10value_typeEPSN_NS1_7vsmem_tEENKUlT_SL_SM_SN_E_clIS8_S8_S9_S9_EESK_S10_SL_SM_SN_EUlS10_E1_NS1_11comp_targetILNS1_3genE3ELNS1_11target_archE908ELNS1_3gpuE7ELNS1_3repE0EEENS1_36merge_oddeven_config_static_selectorELNS0_4arch9wavefront6targetE0EEEvSM_: ; @_ZN7rocprim17ROCPRIM_400000_NS6detail17trampoline_kernelINS0_14default_configENS1_38merge_sort_block_merge_config_selectorIlNS0_10empty_typeEEEZZNS1_27merge_sort_block_merge_implIS3_PlPS5_mZN2at6native12_GLOBAL__N_124unique_dim_cuda_templateIaEESt5tupleIJNSA_6TensorESF_SF_EERKSF_lbbbEUlllE_EE10hipError_tT0_T1_T2_jT3_P12ihipStream_tbPNSt15iterator_traitsISL_E10value_typeEPNSR_ISM_E10value_typeEPSN_NS1_7vsmem_tEENKUlT_SL_SM_SN_E_clIS8_S8_S9_S9_EESK_S10_SL_SM_SN_EUlS10_E1_NS1_11comp_targetILNS1_3genE3ELNS1_11target_archE908ELNS1_3gpuE7ELNS1_3repE0EEENS1_36merge_oddeven_config_static_selectorELNS0_4arch9wavefront6targetE0EEEvSM_
; %bb.0:
	.section	.rodata,"a",@progbits
	.p2align	6, 0x0
	.amdhsa_kernel _ZN7rocprim17ROCPRIM_400000_NS6detail17trampoline_kernelINS0_14default_configENS1_38merge_sort_block_merge_config_selectorIlNS0_10empty_typeEEEZZNS1_27merge_sort_block_merge_implIS3_PlPS5_mZN2at6native12_GLOBAL__N_124unique_dim_cuda_templateIaEESt5tupleIJNSA_6TensorESF_SF_EERKSF_lbbbEUlllE_EE10hipError_tT0_T1_T2_jT3_P12ihipStream_tbPNSt15iterator_traitsISL_E10value_typeEPNSR_ISM_E10value_typeEPSN_NS1_7vsmem_tEENKUlT_SL_SM_SN_E_clIS8_S8_S9_S9_EESK_S10_SL_SM_SN_EUlS10_E1_NS1_11comp_targetILNS1_3genE3ELNS1_11target_archE908ELNS1_3gpuE7ELNS1_3repE0EEENS1_36merge_oddeven_config_static_selectorELNS0_4arch9wavefront6targetE0EEEvSM_
		.amdhsa_group_segment_fixed_size 0
		.amdhsa_private_segment_fixed_size 0
		.amdhsa_kernarg_size 64
		.amdhsa_user_sgpr_count 2
		.amdhsa_user_sgpr_dispatch_ptr 0
		.amdhsa_user_sgpr_queue_ptr 0
		.amdhsa_user_sgpr_kernarg_segment_ptr 1
		.amdhsa_user_sgpr_dispatch_id 0
		.amdhsa_user_sgpr_kernarg_preload_length 0
		.amdhsa_user_sgpr_kernarg_preload_offset 0
		.amdhsa_user_sgpr_private_segment_size 0
		.amdhsa_wavefront_size32 1
		.amdhsa_uses_dynamic_stack 0
		.amdhsa_enable_private_segment 0
		.amdhsa_system_sgpr_workgroup_id_x 1
		.amdhsa_system_sgpr_workgroup_id_y 0
		.amdhsa_system_sgpr_workgroup_id_z 0
		.amdhsa_system_sgpr_workgroup_info 0
		.amdhsa_system_vgpr_workitem_id 0
		.amdhsa_next_free_vgpr 1
		.amdhsa_next_free_sgpr 1
		.amdhsa_named_barrier_count 0
		.amdhsa_reserve_vcc 0
		.amdhsa_float_round_mode_32 0
		.amdhsa_float_round_mode_16_64 0
		.amdhsa_float_denorm_mode_32 3
		.amdhsa_float_denorm_mode_16_64 3
		.amdhsa_fp16_overflow 0
		.amdhsa_memory_ordered 1
		.amdhsa_forward_progress 1
		.amdhsa_inst_pref_size 0
		.amdhsa_round_robin_scheduling 0
		.amdhsa_exception_fp_ieee_invalid_op 0
		.amdhsa_exception_fp_denorm_src 0
		.amdhsa_exception_fp_ieee_div_zero 0
		.amdhsa_exception_fp_ieee_overflow 0
		.amdhsa_exception_fp_ieee_underflow 0
		.amdhsa_exception_fp_ieee_inexact 0
		.amdhsa_exception_int_div_zero 0
	.end_amdhsa_kernel
	.section	.text._ZN7rocprim17ROCPRIM_400000_NS6detail17trampoline_kernelINS0_14default_configENS1_38merge_sort_block_merge_config_selectorIlNS0_10empty_typeEEEZZNS1_27merge_sort_block_merge_implIS3_PlPS5_mZN2at6native12_GLOBAL__N_124unique_dim_cuda_templateIaEESt5tupleIJNSA_6TensorESF_SF_EERKSF_lbbbEUlllE_EE10hipError_tT0_T1_T2_jT3_P12ihipStream_tbPNSt15iterator_traitsISL_E10value_typeEPNSR_ISM_E10value_typeEPSN_NS1_7vsmem_tEENKUlT_SL_SM_SN_E_clIS8_S8_S9_S9_EESK_S10_SL_SM_SN_EUlS10_E1_NS1_11comp_targetILNS1_3genE3ELNS1_11target_archE908ELNS1_3gpuE7ELNS1_3repE0EEENS1_36merge_oddeven_config_static_selectorELNS0_4arch9wavefront6targetE0EEEvSM_,"axG",@progbits,_ZN7rocprim17ROCPRIM_400000_NS6detail17trampoline_kernelINS0_14default_configENS1_38merge_sort_block_merge_config_selectorIlNS0_10empty_typeEEEZZNS1_27merge_sort_block_merge_implIS3_PlPS5_mZN2at6native12_GLOBAL__N_124unique_dim_cuda_templateIaEESt5tupleIJNSA_6TensorESF_SF_EERKSF_lbbbEUlllE_EE10hipError_tT0_T1_T2_jT3_P12ihipStream_tbPNSt15iterator_traitsISL_E10value_typeEPNSR_ISM_E10value_typeEPSN_NS1_7vsmem_tEENKUlT_SL_SM_SN_E_clIS8_S8_S9_S9_EESK_S10_SL_SM_SN_EUlS10_E1_NS1_11comp_targetILNS1_3genE3ELNS1_11target_archE908ELNS1_3gpuE7ELNS1_3repE0EEENS1_36merge_oddeven_config_static_selectorELNS0_4arch9wavefront6targetE0EEEvSM_,comdat
.Lfunc_end290:
	.size	_ZN7rocprim17ROCPRIM_400000_NS6detail17trampoline_kernelINS0_14default_configENS1_38merge_sort_block_merge_config_selectorIlNS0_10empty_typeEEEZZNS1_27merge_sort_block_merge_implIS3_PlPS5_mZN2at6native12_GLOBAL__N_124unique_dim_cuda_templateIaEESt5tupleIJNSA_6TensorESF_SF_EERKSF_lbbbEUlllE_EE10hipError_tT0_T1_T2_jT3_P12ihipStream_tbPNSt15iterator_traitsISL_E10value_typeEPNSR_ISM_E10value_typeEPSN_NS1_7vsmem_tEENKUlT_SL_SM_SN_E_clIS8_S8_S9_S9_EESK_S10_SL_SM_SN_EUlS10_E1_NS1_11comp_targetILNS1_3genE3ELNS1_11target_archE908ELNS1_3gpuE7ELNS1_3repE0EEENS1_36merge_oddeven_config_static_selectorELNS0_4arch9wavefront6targetE0EEEvSM_, .Lfunc_end290-_ZN7rocprim17ROCPRIM_400000_NS6detail17trampoline_kernelINS0_14default_configENS1_38merge_sort_block_merge_config_selectorIlNS0_10empty_typeEEEZZNS1_27merge_sort_block_merge_implIS3_PlPS5_mZN2at6native12_GLOBAL__N_124unique_dim_cuda_templateIaEESt5tupleIJNSA_6TensorESF_SF_EERKSF_lbbbEUlllE_EE10hipError_tT0_T1_T2_jT3_P12ihipStream_tbPNSt15iterator_traitsISL_E10value_typeEPNSR_ISM_E10value_typeEPSN_NS1_7vsmem_tEENKUlT_SL_SM_SN_E_clIS8_S8_S9_S9_EESK_S10_SL_SM_SN_EUlS10_E1_NS1_11comp_targetILNS1_3genE3ELNS1_11target_archE908ELNS1_3gpuE7ELNS1_3repE0EEENS1_36merge_oddeven_config_static_selectorELNS0_4arch9wavefront6targetE0EEEvSM_
                                        ; -- End function
	.set _ZN7rocprim17ROCPRIM_400000_NS6detail17trampoline_kernelINS0_14default_configENS1_38merge_sort_block_merge_config_selectorIlNS0_10empty_typeEEEZZNS1_27merge_sort_block_merge_implIS3_PlPS5_mZN2at6native12_GLOBAL__N_124unique_dim_cuda_templateIaEESt5tupleIJNSA_6TensorESF_SF_EERKSF_lbbbEUlllE_EE10hipError_tT0_T1_T2_jT3_P12ihipStream_tbPNSt15iterator_traitsISL_E10value_typeEPNSR_ISM_E10value_typeEPSN_NS1_7vsmem_tEENKUlT_SL_SM_SN_E_clIS8_S8_S9_S9_EESK_S10_SL_SM_SN_EUlS10_E1_NS1_11comp_targetILNS1_3genE3ELNS1_11target_archE908ELNS1_3gpuE7ELNS1_3repE0EEENS1_36merge_oddeven_config_static_selectorELNS0_4arch9wavefront6targetE0EEEvSM_.num_vgpr, 0
	.set _ZN7rocprim17ROCPRIM_400000_NS6detail17trampoline_kernelINS0_14default_configENS1_38merge_sort_block_merge_config_selectorIlNS0_10empty_typeEEEZZNS1_27merge_sort_block_merge_implIS3_PlPS5_mZN2at6native12_GLOBAL__N_124unique_dim_cuda_templateIaEESt5tupleIJNSA_6TensorESF_SF_EERKSF_lbbbEUlllE_EE10hipError_tT0_T1_T2_jT3_P12ihipStream_tbPNSt15iterator_traitsISL_E10value_typeEPNSR_ISM_E10value_typeEPSN_NS1_7vsmem_tEENKUlT_SL_SM_SN_E_clIS8_S8_S9_S9_EESK_S10_SL_SM_SN_EUlS10_E1_NS1_11comp_targetILNS1_3genE3ELNS1_11target_archE908ELNS1_3gpuE7ELNS1_3repE0EEENS1_36merge_oddeven_config_static_selectorELNS0_4arch9wavefront6targetE0EEEvSM_.num_agpr, 0
	.set _ZN7rocprim17ROCPRIM_400000_NS6detail17trampoline_kernelINS0_14default_configENS1_38merge_sort_block_merge_config_selectorIlNS0_10empty_typeEEEZZNS1_27merge_sort_block_merge_implIS3_PlPS5_mZN2at6native12_GLOBAL__N_124unique_dim_cuda_templateIaEESt5tupleIJNSA_6TensorESF_SF_EERKSF_lbbbEUlllE_EE10hipError_tT0_T1_T2_jT3_P12ihipStream_tbPNSt15iterator_traitsISL_E10value_typeEPNSR_ISM_E10value_typeEPSN_NS1_7vsmem_tEENKUlT_SL_SM_SN_E_clIS8_S8_S9_S9_EESK_S10_SL_SM_SN_EUlS10_E1_NS1_11comp_targetILNS1_3genE3ELNS1_11target_archE908ELNS1_3gpuE7ELNS1_3repE0EEENS1_36merge_oddeven_config_static_selectorELNS0_4arch9wavefront6targetE0EEEvSM_.numbered_sgpr, 0
	.set _ZN7rocprim17ROCPRIM_400000_NS6detail17trampoline_kernelINS0_14default_configENS1_38merge_sort_block_merge_config_selectorIlNS0_10empty_typeEEEZZNS1_27merge_sort_block_merge_implIS3_PlPS5_mZN2at6native12_GLOBAL__N_124unique_dim_cuda_templateIaEESt5tupleIJNSA_6TensorESF_SF_EERKSF_lbbbEUlllE_EE10hipError_tT0_T1_T2_jT3_P12ihipStream_tbPNSt15iterator_traitsISL_E10value_typeEPNSR_ISM_E10value_typeEPSN_NS1_7vsmem_tEENKUlT_SL_SM_SN_E_clIS8_S8_S9_S9_EESK_S10_SL_SM_SN_EUlS10_E1_NS1_11comp_targetILNS1_3genE3ELNS1_11target_archE908ELNS1_3gpuE7ELNS1_3repE0EEENS1_36merge_oddeven_config_static_selectorELNS0_4arch9wavefront6targetE0EEEvSM_.num_named_barrier, 0
	.set _ZN7rocprim17ROCPRIM_400000_NS6detail17trampoline_kernelINS0_14default_configENS1_38merge_sort_block_merge_config_selectorIlNS0_10empty_typeEEEZZNS1_27merge_sort_block_merge_implIS3_PlPS5_mZN2at6native12_GLOBAL__N_124unique_dim_cuda_templateIaEESt5tupleIJNSA_6TensorESF_SF_EERKSF_lbbbEUlllE_EE10hipError_tT0_T1_T2_jT3_P12ihipStream_tbPNSt15iterator_traitsISL_E10value_typeEPNSR_ISM_E10value_typeEPSN_NS1_7vsmem_tEENKUlT_SL_SM_SN_E_clIS8_S8_S9_S9_EESK_S10_SL_SM_SN_EUlS10_E1_NS1_11comp_targetILNS1_3genE3ELNS1_11target_archE908ELNS1_3gpuE7ELNS1_3repE0EEENS1_36merge_oddeven_config_static_selectorELNS0_4arch9wavefront6targetE0EEEvSM_.private_seg_size, 0
	.set _ZN7rocprim17ROCPRIM_400000_NS6detail17trampoline_kernelINS0_14default_configENS1_38merge_sort_block_merge_config_selectorIlNS0_10empty_typeEEEZZNS1_27merge_sort_block_merge_implIS3_PlPS5_mZN2at6native12_GLOBAL__N_124unique_dim_cuda_templateIaEESt5tupleIJNSA_6TensorESF_SF_EERKSF_lbbbEUlllE_EE10hipError_tT0_T1_T2_jT3_P12ihipStream_tbPNSt15iterator_traitsISL_E10value_typeEPNSR_ISM_E10value_typeEPSN_NS1_7vsmem_tEENKUlT_SL_SM_SN_E_clIS8_S8_S9_S9_EESK_S10_SL_SM_SN_EUlS10_E1_NS1_11comp_targetILNS1_3genE3ELNS1_11target_archE908ELNS1_3gpuE7ELNS1_3repE0EEENS1_36merge_oddeven_config_static_selectorELNS0_4arch9wavefront6targetE0EEEvSM_.uses_vcc, 0
	.set _ZN7rocprim17ROCPRIM_400000_NS6detail17trampoline_kernelINS0_14default_configENS1_38merge_sort_block_merge_config_selectorIlNS0_10empty_typeEEEZZNS1_27merge_sort_block_merge_implIS3_PlPS5_mZN2at6native12_GLOBAL__N_124unique_dim_cuda_templateIaEESt5tupleIJNSA_6TensorESF_SF_EERKSF_lbbbEUlllE_EE10hipError_tT0_T1_T2_jT3_P12ihipStream_tbPNSt15iterator_traitsISL_E10value_typeEPNSR_ISM_E10value_typeEPSN_NS1_7vsmem_tEENKUlT_SL_SM_SN_E_clIS8_S8_S9_S9_EESK_S10_SL_SM_SN_EUlS10_E1_NS1_11comp_targetILNS1_3genE3ELNS1_11target_archE908ELNS1_3gpuE7ELNS1_3repE0EEENS1_36merge_oddeven_config_static_selectorELNS0_4arch9wavefront6targetE0EEEvSM_.uses_flat_scratch, 0
	.set _ZN7rocprim17ROCPRIM_400000_NS6detail17trampoline_kernelINS0_14default_configENS1_38merge_sort_block_merge_config_selectorIlNS0_10empty_typeEEEZZNS1_27merge_sort_block_merge_implIS3_PlPS5_mZN2at6native12_GLOBAL__N_124unique_dim_cuda_templateIaEESt5tupleIJNSA_6TensorESF_SF_EERKSF_lbbbEUlllE_EE10hipError_tT0_T1_T2_jT3_P12ihipStream_tbPNSt15iterator_traitsISL_E10value_typeEPNSR_ISM_E10value_typeEPSN_NS1_7vsmem_tEENKUlT_SL_SM_SN_E_clIS8_S8_S9_S9_EESK_S10_SL_SM_SN_EUlS10_E1_NS1_11comp_targetILNS1_3genE3ELNS1_11target_archE908ELNS1_3gpuE7ELNS1_3repE0EEENS1_36merge_oddeven_config_static_selectorELNS0_4arch9wavefront6targetE0EEEvSM_.has_dyn_sized_stack, 0
	.set _ZN7rocprim17ROCPRIM_400000_NS6detail17trampoline_kernelINS0_14default_configENS1_38merge_sort_block_merge_config_selectorIlNS0_10empty_typeEEEZZNS1_27merge_sort_block_merge_implIS3_PlPS5_mZN2at6native12_GLOBAL__N_124unique_dim_cuda_templateIaEESt5tupleIJNSA_6TensorESF_SF_EERKSF_lbbbEUlllE_EE10hipError_tT0_T1_T2_jT3_P12ihipStream_tbPNSt15iterator_traitsISL_E10value_typeEPNSR_ISM_E10value_typeEPSN_NS1_7vsmem_tEENKUlT_SL_SM_SN_E_clIS8_S8_S9_S9_EESK_S10_SL_SM_SN_EUlS10_E1_NS1_11comp_targetILNS1_3genE3ELNS1_11target_archE908ELNS1_3gpuE7ELNS1_3repE0EEENS1_36merge_oddeven_config_static_selectorELNS0_4arch9wavefront6targetE0EEEvSM_.has_recursion, 0
	.set _ZN7rocprim17ROCPRIM_400000_NS6detail17trampoline_kernelINS0_14default_configENS1_38merge_sort_block_merge_config_selectorIlNS0_10empty_typeEEEZZNS1_27merge_sort_block_merge_implIS3_PlPS5_mZN2at6native12_GLOBAL__N_124unique_dim_cuda_templateIaEESt5tupleIJNSA_6TensorESF_SF_EERKSF_lbbbEUlllE_EE10hipError_tT0_T1_T2_jT3_P12ihipStream_tbPNSt15iterator_traitsISL_E10value_typeEPNSR_ISM_E10value_typeEPSN_NS1_7vsmem_tEENKUlT_SL_SM_SN_E_clIS8_S8_S9_S9_EESK_S10_SL_SM_SN_EUlS10_E1_NS1_11comp_targetILNS1_3genE3ELNS1_11target_archE908ELNS1_3gpuE7ELNS1_3repE0EEENS1_36merge_oddeven_config_static_selectorELNS0_4arch9wavefront6targetE0EEEvSM_.has_indirect_call, 0
	.section	.AMDGPU.csdata,"",@progbits
; Kernel info:
; codeLenInByte = 0
; TotalNumSgprs: 0
; NumVgprs: 0
; ScratchSize: 0
; MemoryBound: 0
; FloatMode: 240
; IeeeMode: 1
; LDSByteSize: 0 bytes/workgroup (compile time only)
; SGPRBlocks: 0
; VGPRBlocks: 0
; NumSGPRsForWavesPerEU: 1
; NumVGPRsForWavesPerEU: 1
; NamedBarCnt: 0
; Occupancy: 16
; WaveLimiterHint : 0
; COMPUTE_PGM_RSRC2:SCRATCH_EN: 0
; COMPUTE_PGM_RSRC2:USER_SGPR: 2
; COMPUTE_PGM_RSRC2:TRAP_HANDLER: 0
; COMPUTE_PGM_RSRC2:TGID_X_EN: 1
; COMPUTE_PGM_RSRC2:TGID_Y_EN: 0
; COMPUTE_PGM_RSRC2:TGID_Z_EN: 0
; COMPUTE_PGM_RSRC2:TIDIG_COMP_CNT: 0
	.section	.text._ZN7rocprim17ROCPRIM_400000_NS6detail17trampoline_kernelINS0_14default_configENS1_38merge_sort_block_merge_config_selectorIlNS0_10empty_typeEEEZZNS1_27merge_sort_block_merge_implIS3_PlPS5_mZN2at6native12_GLOBAL__N_124unique_dim_cuda_templateIaEESt5tupleIJNSA_6TensorESF_SF_EERKSF_lbbbEUlllE_EE10hipError_tT0_T1_T2_jT3_P12ihipStream_tbPNSt15iterator_traitsISL_E10value_typeEPNSR_ISM_E10value_typeEPSN_NS1_7vsmem_tEENKUlT_SL_SM_SN_E_clIS8_S8_S9_S9_EESK_S10_SL_SM_SN_EUlS10_E1_NS1_11comp_targetILNS1_3genE2ELNS1_11target_archE906ELNS1_3gpuE6ELNS1_3repE0EEENS1_36merge_oddeven_config_static_selectorELNS0_4arch9wavefront6targetE0EEEvSM_,"axG",@progbits,_ZN7rocprim17ROCPRIM_400000_NS6detail17trampoline_kernelINS0_14default_configENS1_38merge_sort_block_merge_config_selectorIlNS0_10empty_typeEEEZZNS1_27merge_sort_block_merge_implIS3_PlPS5_mZN2at6native12_GLOBAL__N_124unique_dim_cuda_templateIaEESt5tupleIJNSA_6TensorESF_SF_EERKSF_lbbbEUlllE_EE10hipError_tT0_T1_T2_jT3_P12ihipStream_tbPNSt15iterator_traitsISL_E10value_typeEPNSR_ISM_E10value_typeEPSN_NS1_7vsmem_tEENKUlT_SL_SM_SN_E_clIS8_S8_S9_S9_EESK_S10_SL_SM_SN_EUlS10_E1_NS1_11comp_targetILNS1_3genE2ELNS1_11target_archE906ELNS1_3gpuE6ELNS1_3repE0EEENS1_36merge_oddeven_config_static_selectorELNS0_4arch9wavefront6targetE0EEEvSM_,comdat
	.globl	_ZN7rocprim17ROCPRIM_400000_NS6detail17trampoline_kernelINS0_14default_configENS1_38merge_sort_block_merge_config_selectorIlNS0_10empty_typeEEEZZNS1_27merge_sort_block_merge_implIS3_PlPS5_mZN2at6native12_GLOBAL__N_124unique_dim_cuda_templateIaEESt5tupleIJNSA_6TensorESF_SF_EERKSF_lbbbEUlllE_EE10hipError_tT0_T1_T2_jT3_P12ihipStream_tbPNSt15iterator_traitsISL_E10value_typeEPNSR_ISM_E10value_typeEPSN_NS1_7vsmem_tEENKUlT_SL_SM_SN_E_clIS8_S8_S9_S9_EESK_S10_SL_SM_SN_EUlS10_E1_NS1_11comp_targetILNS1_3genE2ELNS1_11target_archE906ELNS1_3gpuE6ELNS1_3repE0EEENS1_36merge_oddeven_config_static_selectorELNS0_4arch9wavefront6targetE0EEEvSM_ ; -- Begin function _ZN7rocprim17ROCPRIM_400000_NS6detail17trampoline_kernelINS0_14default_configENS1_38merge_sort_block_merge_config_selectorIlNS0_10empty_typeEEEZZNS1_27merge_sort_block_merge_implIS3_PlPS5_mZN2at6native12_GLOBAL__N_124unique_dim_cuda_templateIaEESt5tupleIJNSA_6TensorESF_SF_EERKSF_lbbbEUlllE_EE10hipError_tT0_T1_T2_jT3_P12ihipStream_tbPNSt15iterator_traitsISL_E10value_typeEPNSR_ISM_E10value_typeEPSN_NS1_7vsmem_tEENKUlT_SL_SM_SN_E_clIS8_S8_S9_S9_EESK_S10_SL_SM_SN_EUlS10_E1_NS1_11comp_targetILNS1_3genE2ELNS1_11target_archE906ELNS1_3gpuE6ELNS1_3repE0EEENS1_36merge_oddeven_config_static_selectorELNS0_4arch9wavefront6targetE0EEEvSM_
	.p2align	8
	.type	_ZN7rocprim17ROCPRIM_400000_NS6detail17trampoline_kernelINS0_14default_configENS1_38merge_sort_block_merge_config_selectorIlNS0_10empty_typeEEEZZNS1_27merge_sort_block_merge_implIS3_PlPS5_mZN2at6native12_GLOBAL__N_124unique_dim_cuda_templateIaEESt5tupleIJNSA_6TensorESF_SF_EERKSF_lbbbEUlllE_EE10hipError_tT0_T1_T2_jT3_P12ihipStream_tbPNSt15iterator_traitsISL_E10value_typeEPNSR_ISM_E10value_typeEPSN_NS1_7vsmem_tEENKUlT_SL_SM_SN_E_clIS8_S8_S9_S9_EESK_S10_SL_SM_SN_EUlS10_E1_NS1_11comp_targetILNS1_3genE2ELNS1_11target_archE906ELNS1_3gpuE6ELNS1_3repE0EEENS1_36merge_oddeven_config_static_selectorELNS0_4arch9wavefront6targetE0EEEvSM_,@function
_ZN7rocprim17ROCPRIM_400000_NS6detail17trampoline_kernelINS0_14default_configENS1_38merge_sort_block_merge_config_selectorIlNS0_10empty_typeEEEZZNS1_27merge_sort_block_merge_implIS3_PlPS5_mZN2at6native12_GLOBAL__N_124unique_dim_cuda_templateIaEESt5tupleIJNSA_6TensorESF_SF_EERKSF_lbbbEUlllE_EE10hipError_tT0_T1_T2_jT3_P12ihipStream_tbPNSt15iterator_traitsISL_E10value_typeEPNSR_ISM_E10value_typeEPSN_NS1_7vsmem_tEENKUlT_SL_SM_SN_E_clIS8_S8_S9_S9_EESK_S10_SL_SM_SN_EUlS10_E1_NS1_11comp_targetILNS1_3genE2ELNS1_11target_archE906ELNS1_3gpuE6ELNS1_3repE0EEENS1_36merge_oddeven_config_static_selectorELNS0_4arch9wavefront6targetE0EEEvSM_: ; @_ZN7rocprim17ROCPRIM_400000_NS6detail17trampoline_kernelINS0_14default_configENS1_38merge_sort_block_merge_config_selectorIlNS0_10empty_typeEEEZZNS1_27merge_sort_block_merge_implIS3_PlPS5_mZN2at6native12_GLOBAL__N_124unique_dim_cuda_templateIaEESt5tupleIJNSA_6TensorESF_SF_EERKSF_lbbbEUlllE_EE10hipError_tT0_T1_T2_jT3_P12ihipStream_tbPNSt15iterator_traitsISL_E10value_typeEPNSR_ISM_E10value_typeEPSN_NS1_7vsmem_tEENKUlT_SL_SM_SN_E_clIS8_S8_S9_S9_EESK_S10_SL_SM_SN_EUlS10_E1_NS1_11comp_targetILNS1_3genE2ELNS1_11target_archE906ELNS1_3gpuE6ELNS1_3repE0EEENS1_36merge_oddeven_config_static_selectorELNS0_4arch9wavefront6targetE0EEEvSM_
; %bb.0:
	.section	.rodata,"a",@progbits
	.p2align	6, 0x0
	.amdhsa_kernel _ZN7rocprim17ROCPRIM_400000_NS6detail17trampoline_kernelINS0_14default_configENS1_38merge_sort_block_merge_config_selectorIlNS0_10empty_typeEEEZZNS1_27merge_sort_block_merge_implIS3_PlPS5_mZN2at6native12_GLOBAL__N_124unique_dim_cuda_templateIaEESt5tupleIJNSA_6TensorESF_SF_EERKSF_lbbbEUlllE_EE10hipError_tT0_T1_T2_jT3_P12ihipStream_tbPNSt15iterator_traitsISL_E10value_typeEPNSR_ISM_E10value_typeEPSN_NS1_7vsmem_tEENKUlT_SL_SM_SN_E_clIS8_S8_S9_S9_EESK_S10_SL_SM_SN_EUlS10_E1_NS1_11comp_targetILNS1_3genE2ELNS1_11target_archE906ELNS1_3gpuE6ELNS1_3repE0EEENS1_36merge_oddeven_config_static_selectorELNS0_4arch9wavefront6targetE0EEEvSM_
		.amdhsa_group_segment_fixed_size 0
		.amdhsa_private_segment_fixed_size 0
		.amdhsa_kernarg_size 64
		.amdhsa_user_sgpr_count 2
		.amdhsa_user_sgpr_dispatch_ptr 0
		.amdhsa_user_sgpr_queue_ptr 0
		.amdhsa_user_sgpr_kernarg_segment_ptr 1
		.amdhsa_user_sgpr_dispatch_id 0
		.amdhsa_user_sgpr_kernarg_preload_length 0
		.amdhsa_user_sgpr_kernarg_preload_offset 0
		.amdhsa_user_sgpr_private_segment_size 0
		.amdhsa_wavefront_size32 1
		.amdhsa_uses_dynamic_stack 0
		.amdhsa_enable_private_segment 0
		.amdhsa_system_sgpr_workgroup_id_x 1
		.amdhsa_system_sgpr_workgroup_id_y 0
		.amdhsa_system_sgpr_workgroup_id_z 0
		.amdhsa_system_sgpr_workgroup_info 0
		.amdhsa_system_vgpr_workitem_id 0
		.amdhsa_next_free_vgpr 1
		.amdhsa_next_free_sgpr 1
		.amdhsa_named_barrier_count 0
		.amdhsa_reserve_vcc 0
		.amdhsa_float_round_mode_32 0
		.amdhsa_float_round_mode_16_64 0
		.amdhsa_float_denorm_mode_32 3
		.amdhsa_float_denorm_mode_16_64 3
		.amdhsa_fp16_overflow 0
		.amdhsa_memory_ordered 1
		.amdhsa_forward_progress 1
		.amdhsa_inst_pref_size 0
		.amdhsa_round_robin_scheduling 0
		.amdhsa_exception_fp_ieee_invalid_op 0
		.amdhsa_exception_fp_denorm_src 0
		.amdhsa_exception_fp_ieee_div_zero 0
		.amdhsa_exception_fp_ieee_overflow 0
		.amdhsa_exception_fp_ieee_underflow 0
		.amdhsa_exception_fp_ieee_inexact 0
		.amdhsa_exception_int_div_zero 0
	.end_amdhsa_kernel
	.section	.text._ZN7rocprim17ROCPRIM_400000_NS6detail17trampoline_kernelINS0_14default_configENS1_38merge_sort_block_merge_config_selectorIlNS0_10empty_typeEEEZZNS1_27merge_sort_block_merge_implIS3_PlPS5_mZN2at6native12_GLOBAL__N_124unique_dim_cuda_templateIaEESt5tupleIJNSA_6TensorESF_SF_EERKSF_lbbbEUlllE_EE10hipError_tT0_T1_T2_jT3_P12ihipStream_tbPNSt15iterator_traitsISL_E10value_typeEPNSR_ISM_E10value_typeEPSN_NS1_7vsmem_tEENKUlT_SL_SM_SN_E_clIS8_S8_S9_S9_EESK_S10_SL_SM_SN_EUlS10_E1_NS1_11comp_targetILNS1_3genE2ELNS1_11target_archE906ELNS1_3gpuE6ELNS1_3repE0EEENS1_36merge_oddeven_config_static_selectorELNS0_4arch9wavefront6targetE0EEEvSM_,"axG",@progbits,_ZN7rocprim17ROCPRIM_400000_NS6detail17trampoline_kernelINS0_14default_configENS1_38merge_sort_block_merge_config_selectorIlNS0_10empty_typeEEEZZNS1_27merge_sort_block_merge_implIS3_PlPS5_mZN2at6native12_GLOBAL__N_124unique_dim_cuda_templateIaEESt5tupleIJNSA_6TensorESF_SF_EERKSF_lbbbEUlllE_EE10hipError_tT0_T1_T2_jT3_P12ihipStream_tbPNSt15iterator_traitsISL_E10value_typeEPNSR_ISM_E10value_typeEPSN_NS1_7vsmem_tEENKUlT_SL_SM_SN_E_clIS8_S8_S9_S9_EESK_S10_SL_SM_SN_EUlS10_E1_NS1_11comp_targetILNS1_3genE2ELNS1_11target_archE906ELNS1_3gpuE6ELNS1_3repE0EEENS1_36merge_oddeven_config_static_selectorELNS0_4arch9wavefront6targetE0EEEvSM_,comdat
.Lfunc_end291:
	.size	_ZN7rocprim17ROCPRIM_400000_NS6detail17trampoline_kernelINS0_14default_configENS1_38merge_sort_block_merge_config_selectorIlNS0_10empty_typeEEEZZNS1_27merge_sort_block_merge_implIS3_PlPS5_mZN2at6native12_GLOBAL__N_124unique_dim_cuda_templateIaEESt5tupleIJNSA_6TensorESF_SF_EERKSF_lbbbEUlllE_EE10hipError_tT0_T1_T2_jT3_P12ihipStream_tbPNSt15iterator_traitsISL_E10value_typeEPNSR_ISM_E10value_typeEPSN_NS1_7vsmem_tEENKUlT_SL_SM_SN_E_clIS8_S8_S9_S9_EESK_S10_SL_SM_SN_EUlS10_E1_NS1_11comp_targetILNS1_3genE2ELNS1_11target_archE906ELNS1_3gpuE6ELNS1_3repE0EEENS1_36merge_oddeven_config_static_selectorELNS0_4arch9wavefront6targetE0EEEvSM_, .Lfunc_end291-_ZN7rocprim17ROCPRIM_400000_NS6detail17trampoline_kernelINS0_14default_configENS1_38merge_sort_block_merge_config_selectorIlNS0_10empty_typeEEEZZNS1_27merge_sort_block_merge_implIS3_PlPS5_mZN2at6native12_GLOBAL__N_124unique_dim_cuda_templateIaEESt5tupleIJNSA_6TensorESF_SF_EERKSF_lbbbEUlllE_EE10hipError_tT0_T1_T2_jT3_P12ihipStream_tbPNSt15iterator_traitsISL_E10value_typeEPNSR_ISM_E10value_typeEPSN_NS1_7vsmem_tEENKUlT_SL_SM_SN_E_clIS8_S8_S9_S9_EESK_S10_SL_SM_SN_EUlS10_E1_NS1_11comp_targetILNS1_3genE2ELNS1_11target_archE906ELNS1_3gpuE6ELNS1_3repE0EEENS1_36merge_oddeven_config_static_selectorELNS0_4arch9wavefront6targetE0EEEvSM_
                                        ; -- End function
	.set _ZN7rocprim17ROCPRIM_400000_NS6detail17trampoline_kernelINS0_14default_configENS1_38merge_sort_block_merge_config_selectorIlNS0_10empty_typeEEEZZNS1_27merge_sort_block_merge_implIS3_PlPS5_mZN2at6native12_GLOBAL__N_124unique_dim_cuda_templateIaEESt5tupleIJNSA_6TensorESF_SF_EERKSF_lbbbEUlllE_EE10hipError_tT0_T1_T2_jT3_P12ihipStream_tbPNSt15iterator_traitsISL_E10value_typeEPNSR_ISM_E10value_typeEPSN_NS1_7vsmem_tEENKUlT_SL_SM_SN_E_clIS8_S8_S9_S9_EESK_S10_SL_SM_SN_EUlS10_E1_NS1_11comp_targetILNS1_3genE2ELNS1_11target_archE906ELNS1_3gpuE6ELNS1_3repE0EEENS1_36merge_oddeven_config_static_selectorELNS0_4arch9wavefront6targetE0EEEvSM_.num_vgpr, 0
	.set _ZN7rocprim17ROCPRIM_400000_NS6detail17trampoline_kernelINS0_14default_configENS1_38merge_sort_block_merge_config_selectorIlNS0_10empty_typeEEEZZNS1_27merge_sort_block_merge_implIS3_PlPS5_mZN2at6native12_GLOBAL__N_124unique_dim_cuda_templateIaEESt5tupleIJNSA_6TensorESF_SF_EERKSF_lbbbEUlllE_EE10hipError_tT0_T1_T2_jT3_P12ihipStream_tbPNSt15iterator_traitsISL_E10value_typeEPNSR_ISM_E10value_typeEPSN_NS1_7vsmem_tEENKUlT_SL_SM_SN_E_clIS8_S8_S9_S9_EESK_S10_SL_SM_SN_EUlS10_E1_NS1_11comp_targetILNS1_3genE2ELNS1_11target_archE906ELNS1_3gpuE6ELNS1_3repE0EEENS1_36merge_oddeven_config_static_selectorELNS0_4arch9wavefront6targetE0EEEvSM_.num_agpr, 0
	.set _ZN7rocprim17ROCPRIM_400000_NS6detail17trampoline_kernelINS0_14default_configENS1_38merge_sort_block_merge_config_selectorIlNS0_10empty_typeEEEZZNS1_27merge_sort_block_merge_implIS3_PlPS5_mZN2at6native12_GLOBAL__N_124unique_dim_cuda_templateIaEESt5tupleIJNSA_6TensorESF_SF_EERKSF_lbbbEUlllE_EE10hipError_tT0_T1_T2_jT3_P12ihipStream_tbPNSt15iterator_traitsISL_E10value_typeEPNSR_ISM_E10value_typeEPSN_NS1_7vsmem_tEENKUlT_SL_SM_SN_E_clIS8_S8_S9_S9_EESK_S10_SL_SM_SN_EUlS10_E1_NS1_11comp_targetILNS1_3genE2ELNS1_11target_archE906ELNS1_3gpuE6ELNS1_3repE0EEENS1_36merge_oddeven_config_static_selectorELNS0_4arch9wavefront6targetE0EEEvSM_.numbered_sgpr, 0
	.set _ZN7rocprim17ROCPRIM_400000_NS6detail17trampoline_kernelINS0_14default_configENS1_38merge_sort_block_merge_config_selectorIlNS0_10empty_typeEEEZZNS1_27merge_sort_block_merge_implIS3_PlPS5_mZN2at6native12_GLOBAL__N_124unique_dim_cuda_templateIaEESt5tupleIJNSA_6TensorESF_SF_EERKSF_lbbbEUlllE_EE10hipError_tT0_T1_T2_jT3_P12ihipStream_tbPNSt15iterator_traitsISL_E10value_typeEPNSR_ISM_E10value_typeEPSN_NS1_7vsmem_tEENKUlT_SL_SM_SN_E_clIS8_S8_S9_S9_EESK_S10_SL_SM_SN_EUlS10_E1_NS1_11comp_targetILNS1_3genE2ELNS1_11target_archE906ELNS1_3gpuE6ELNS1_3repE0EEENS1_36merge_oddeven_config_static_selectorELNS0_4arch9wavefront6targetE0EEEvSM_.num_named_barrier, 0
	.set _ZN7rocprim17ROCPRIM_400000_NS6detail17trampoline_kernelINS0_14default_configENS1_38merge_sort_block_merge_config_selectorIlNS0_10empty_typeEEEZZNS1_27merge_sort_block_merge_implIS3_PlPS5_mZN2at6native12_GLOBAL__N_124unique_dim_cuda_templateIaEESt5tupleIJNSA_6TensorESF_SF_EERKSF_lbbbEUlllE_EE10hipError_tT0_T1_T2_jT3_P12ihipStream_tbPNSt15iterator_traitsISL_E10value_typeEPNSR_ISM_E10value_typeEPSN_NS1_7vsmem_tEENKUlT_SL_SM_SN_E_clIS8_S8_S9_S9_EESK_S10_SL_SM_SN_EUlS10_E1_NS1_11comp_targetILNS1_3genE2ELNS1_11target_archE906ELNS1_3gpuE6ELNS1_3repE0EEENS1_36merge_oddeven_config_static_selectorELNS0_4arch9wavefront6targetE0EEEvSM_.private_seg_size, 0
	.set _ZN7rocprim17ROCPRIM_400000_NS6detail17trampoline_kernelINS0_14default_configENS1_38merge_sort_block_merge_config_selectorIlNS0_10empty_typeEEEZZNS1_27merge_sort_block_merge_implIS3_PlPS5_mZN2at6native12_GLOBAL__N_124unique_dim_cuda_templateIaEESt5tupleIJNSA_6TensorESF_SF_EERKSF_lbbbEUlllE_EE10hipError_tT0_T1_T2_jT3_P12ihipStream_tbPNSt15iterator_traitsISL_E10value_typeEPNSR_ISM_E10value_typeEPSN_NS1_7vsmem_tEENKUlT_SL_SM_SN_E_clIS8_S8_S9_S9_EESK_S10_SL_SM_SN_EUlS10_E1_NS1_11comp_targetILNS1_3genE2ELNS1_11target_archE906ELNS1_3gpuE6ELNS1_3repE0EEENS1_36merge_oddeven_config_static_selectorELNS0_4arch9wavefront6targetE0EEEvSM_.uses_vcc, 0
	.set _ZN7rocprim17ROCPRIM_400000_NS6detail17trampoline_kernelINS0_14default_configENS1_38merge_sort_block_merge_config_selectorIlNS0_10empty_typeEEEZZNS1_27merge_sort_block_merge_implIS3_PlPS5_mZN2at6native12_GLOBAL__N_124unique_dim_cuda_templateIaEESt5tupleIJNSA_6TensorESF_SF_EERKSF_lbbbEUlllE_EE10hipError_tT0_T1_T2_jT3_P12ihipStream_tbPNSt15iterator_traitsISL_E10value_typeEPNSR_ISM_E10value_typeEPSN_NS1_7vsmem_tEENKUlT_SL_SM_SN_E_clIS8_S8_S9_S9_EESK_S10_SL_SM_SN_EUlS10_E1_NS1_11comp_targetILNS1_3genE2ELNS1_11target_archE906ELNS1_3gpuE6ELNS1_3repE0EEENS1_36merge_oddeven_config_static_selectorELNS0_4arch9wavefront6targetE0EEEvSM_.uses_flat_scratch, 0
	.set _ZN7rocprim17ROCPRIM_400000_NS6detail17trampoline_kernelINS0_14default_configENS1_38merge_sort_block_merge_config_selectorIlNS0_10empty_typeEEEZZNS1_27merge_sort_block_merge_implIS3_PlPS5_mZN2at6native12_GLOBAL__N_124unique_dim_cuda_templateIaEESt5tupleIJNSA_6TensorESF_SF_EERKSF_lbbbEUlllE_EE10hipError_tT0_T1_T2_jT3_P12ihipStream_tbPNSt15iterator_traitsISL_E10value_typeEPNSR_ISM_E10value_typeEPSN_NS1_7vsmem_tEENKUlT_SL_SM_SN_E_clIS8_S8_S9_S9_EESK_S10_SL_SM_SN_EUlS10_E1_NS1_11comp_targetILNS1_3genE2ELNS1_11target_archE906ELNS1_3gpuE6ELNS1_3repE0EEENS1_36merge_oddeven_config_static_selectorELNS0_4arch9wavefront6targetE0EEEvSM_.has_dyn_sized_stack, 0
	.set _ZN7rocprim17ROCPRIM_400000_NS6detail17trampoline_kernelINS0_14default_configENS1_38merge_sort_block_merge_config_selectorIlNS0_10empty_typeEEEZZNS1_27merge_sort_block_merge_implIS3_PlPS5_mZN2at6native12_GLOBAL__N_124unique_dim_cuda_templateIaEESt5tupleIJNSA_6TensorESF_SF_EERKSF_lbbbEUlllE_EE10hipError_tT0_T1_T2_jT3_P12ihipStream_tbPNSt15iterator_traitsISL_E10value_typeEPNSR_ISM_E10value_typeEPSN_NS1_7vsmem_tEENKUlT_SL_SM_SN_E_clIS8_S8_S9_S9_EESK_S10_SL_SM_SN_EUlS10_E1_NS1_11comp_targetILNS1_3genE2ELNS1_11target_archE906ELNS1_3gpuE6ELNS1_3repE0EEENS1_36merge_oddeven_config_static_selectorELNS0_4arch9wavefront6targetE0EEEvSM_.has_recursion, 0
	.set _ZN7rocprim17ROCPRIM_400000_NS6detail17trampoline_kernelINS0_14default_configENS1_38merge_sort_block_merge_config_selectorIlNS0_10empty_typeEEEZZNS1_27merge_sort_block_merge_implIS3_PlPS5_mZN2at6native12_GLOBAL__N_124unique_dim_cuda_templateIaEESt5tupleIJNSA_6TensorESF_SF_EERKSF_lbbbEUlllE_EE10hipError_tT0_T1_T2_jT3_P12ihipStream_tbPNSt15iterator_traitsISL_E10value_typeEPNSR_ISM_E10value_typeEPSN_NS1_7vsmem_tEENKUlT_SL_SM_SN_E_clIS8_S8_S9_S9_EESK_S10_SL_SM_SN_EUlS10_E1_NS1_11comp_targetILNS1_3genE2ELNS1_11target_archE906ELNS1_3gpuE6ELNS1_3repE0EEENS1_36merge_oddeven_config_static_selectorELNS0_4arch9wavefront6targetE0EEEvSM_.has_indirect_call, 0
	.section	.AMDGPU.csdata,"",@progbits
; Kernel info:
; codeLenInByte = 0
; TotalNumSgprs: 0
; NumVgprs: 0
; ScratchSize: 0
; MemoryBound: 0
; FloatMode: 240
; IeeeMode: 1
; LDSByteSize: 0 bytes/workgroup (compile time only)
; SGPRBlocks: 0
; VGPRBlocks: 0
; NumSGPRsForWavesPerEU: 1
; NumVGPRsForWavesPerEU: 1
; NamedBarCnt: 0
; Occupancy: 16
; WaveLimiterHint : 0
; COMPUTE_PGM_RSRC2:SCRATCH_EN: 0
; COMPUTE_PGM_RSRC2:USER_SGPR: 2
; COMPUTE_PGM_RSRC2:TRAP_HANDLER: 0
; COMPUTE_PGM_RSRC2:TGID_X_EN: 1
; COMPUTE_PGM_RSRC2:TGID_Y_EN: 0
; COMPUTE_PGM_RSRC2:TGID_Z_EN: 0
; COMPUTE_PGM_RSRC2:TIDIG_COMP_CNT: 0
	.section	.text._ZN7rocprim17ROCPRIM_400000_NS6detail17trampoline_kernelINS0_14default_configENS1_38merge_sort_block_merge_config_selectorIlNS0_10empty_typeEEEZZNS1_27merge_sort_block_merge_implIS3_PlPS5_mZN2at6native12_GLOBAL__N_124unique_dim_cuda_templateIaEESt5tupleIJNSA_6TensorESF_SF_EERKSF_lbbbEUlllE_EE10hipError_tT0_T1_T2_jT3_P12ihipStream_tbPNSt15iterator_traitsISL_E10value_typeEPNSR_ISM_E10value_typeEPSN_NS1_7vsmem_tEENKUlT_SL_SM_SN_E_clIS8_S8_S9_S9_EESK_S10_SL_SM_SN_EUlS10_E1_NS1_11comp_targetILNS1_3genE9ELNS1_11target_archE1100ELNS1_3gpuE3ELNS1_3repE0EEENS1_36merge_oddeven_config_static_selectorELNS0_4arch9wavefront6targetE0EEEvSM_,"axG",@progbits,_ZN7rocprim17ROCPRIM_400000_NS6detail17trampoline_kernelINS0_14default_configENS1_38merge_sort_block_merge_config_selectorIlNS0_10empty_typeEEEZZNS1_27merge_sort_block_merge_implIS3_PlPS5_mZN2at6native12_GLOBAL__N_124unique_dim_cuda_templateIaEESt5tupleIJNSA_6TensorESF_SF_EERKSF_lbbbEUlllE_EE10hipError_tT0_T1_T2_jT3_P12ihipStream_tbPNSt15iterator_traitsISL_E10value_typeEPNSR_ISM_E10value_typeEPSN_NS1_7vsmem_tEENKUlT_SL_SM_SN_E_clIS8_S8_S9_S9_EESK_S10_SL_SM_SN_EUlS10_E1_NS1_11comp_targetILNS1_3genE9ELNS1_11target_archE1100ELNS1_3gpuE3ELNS1_3repE0EEENS1_36merge_oddeven_config_static_selectorELNS0_4arch9wavefront6targetE0EEEvSM_,comdat
	.globl	_ZN7rocprim17ROCPRIM_400000_NS6detail17trampoline_kernelINS0_14default_configENS1_38merge_sort_block_merge_config_selectorIlNS0_10empty_typeEEEZZNS1_27merge_sort_block_merge_implIS3_PlPS5_mZN2at6native12_GLOBAL__N_124unique_dim_cuda_templateIaEESt5tupleIJNSA_6TensorESF_SF_EERKSF_lbbbEUlllE_EE10hipError_tT0_T1_T2_jT3_P12ihipStream_tbPNSt15iterator_traitsISL_E10value_typeEPNSR_ISM_E10value_typeEPSN_NS1_7vsmem_tEENKUlT_SL_SM_SN_E_clIS8_S8_S9_S9_EESK_S10_SL_SM_SN_EUlS10_E1_NS1_11comp_targetILNS1_3genE9ELNS1_11target_archE1100ELNS1_3gpuE3ELNS1_3repE0EEENS1_36merge_oddeven_config_static_selectorELNS0_4arch9wavefront6targetE0EEEvSM_ ; -- Begin function _ZN7rocprim17ROCPRIM_400000_NS6detail17trampoline_kernelINS0_14default_configENS1_38merge_sort_block_merge_config_selectorIlNS0_10empty_typeEEEZZNS1_27merge_sort_block_merge_implIS3_PlPS5_mZN2at6native12_GLOBAL__N_124unique_dim_cuda_templateIaEESt5tupleIJNSA_6TensorESF_SF_EERKSF_lbbbEUlllE_EE10hipError_tT0_T1_T2_jT3_P12ihipStream_tbPNSt15iterator_traitsISL_E10value_typeEPNSR_ISM_E10value_typeEPSN_NS1_7vsmem_tEENKUlT_SL_SM_SN_E_clIS8_S8_S9_S9_EESK_S10_SL_SM_SN_EUlS10_E1_NS1_11comp_targetILNS1_3genE9ELNS1_11target_archE1100ELNS1_3gpuE3ELNS1_3repE0EEENS1_36merge_oddeven_config_static_selectorELNS0_4arch9wavefront6targetE0EEEvSM_
	.p2align	8
	.type	_ZN7rocprim17ROCPRIM_400000_NS6detail17trampoline_kernelINS0_14default_configENS1_38merge_sort_block_merge_config_selectorIlNS0_10empty_typeEEEZZNS1_27merge_sort_block_merge_implIS3_PlPS5_mZN2at6native12_GLOBAL__N_124unique_dim_cuda_templateIaEESt5tupleIJNSA_6TensorESF_SF_EERKSF_lbbbEUlllE_EE10hipError_tT0_T1_T2_jT3_P12ihipStream_tbPNSt15iterator_traitsISL_E10value_typeEPNSR_ISM_E10value_typeEPSN_NS1_7vsmem_tEENKUlT_SL_SM_SN_E_clIS8_S8_S9_S9_EESK_S10_SL_SM_SN_EUlS10_E1_NS1_11comp_targetILNS1_3genE9ELNS1_11target_archE1100ELNS1_3gpuE3ELNS1_3repE0EEENS1_36merge_oddeven_config_static_selectorELNS0_4arch9wavefront6targetE0EEEvSM_,@function
_ZN7rocprim17ROCPRIM_400000_NS6detail17trampoline_kernelINS0_14default_configENS1_38merge_sort_block_merge_config_selectorIlNS0_10empty_typeEEEZZNS1_27merge_sort_block_merge_implIS3_PlPS5_mZN2at6native12_GLOBAL__N_124unique_dim_cuda_templateIaEESt5tupleIJNSA_6TensorESF_SF_EERKSF_lbbbEUlllE_EE10hipError_tT0_T1_T2_jT3_P12ihipStream_tbPNSt15iterator_traitsISL_E10value_typeEPNSR_ISM_E10value_typeEPSN_NS1_7vsmem_tEENKUlT_SL_SM_SN_E_clIS8_S8_S9_S9_EESK_S10_SL_SM_SN_EUlS10_E1_NS1_11comp_targetILNS1_3genE9ELNS1_11target_archE1100ELNS1_3gpuE3ELNS1_3repE0EEENS1_36merge_oddeven_config_static_selectorELNS0_4arch9wavefront6targetE0EEEvSM_: ; @_ZN7rocprim17ROCPRIM_400000_NS6detail17trampoline_kernelINS0_14default_configENS1_38merge_sort_block_merge_config_selectorIlNS0_10empty_typeEEEZZNS1_27merge_sort_block_merge_implIS3_PlPS5_mZN2at6native12_GLOBAL__N_124unique_dim_cuda_templateIaEESt5tupleIJNSA_6TensorESF_SF_EERKSF_lbbbEUlllE_EE10hipError_tT0_T1_T2_jT3_P12ihipStream_tbPNSt15iterator_traitsISL_E10value_typeEPNSR_ISM_E10value_typeEPSN_NS1_7vsmem_tEENKUlT_SL_SM_SN_E_clIS8_S8_S9_S9_EESK_S10_SL_SM_SN_EUlS10_E1_NS1_11comp_targetILNS1_3genE9ELNS1_11target_archE1100ELNS1_3gpuE3ELNS1_3repE0EEENS1_36merge_oddeven_config_static_selectorELNS0_4arch9wavefront6targetE0EEEvSM_
; %bb.0:
	.section	.rodata,"a",@progbits
	.p2align	6, 0x0
	.amdhsa_kernel _ZN7rocprim17ROCPRIM_400000_NS6detail17trampoline_kernelINS0_14default_configENS1_38merge_sort_block_merge_config_selectorIlNS0_10empty_typeEEEZZNS1_27merge_sort_block_merge_implIS3_PlPS5_mZN2at6native12_GLOBAL__N_124unique_dim_cuda_templateIaEESt5tupleIJNSA_6TensorESF_SF_EERKSF_lbbbEUlllE_EE10hipError_tT0_T1_T2_jT3_P12ihipStream_tbPNSt15iterator_traitsISL_E10value_typeEPNSR_ISM_E10value_typeEPSN_NS1_7vsmem_tEENKUlT_SL_SM_SN_E_clIS8_S8_S9_S9_EESK_S10_SL_SM_SN_EUlS10_E1_NS1_11comp_targetILNS1_3genE9ELNS1_11target_archE1100ELNS1_3gpuE3ELNS1_3repE0EEENS1_36merge_oddeven_config_static_selectorELNS0_4arch9wavefront6targetE0EEEvSM_
		.amdhsa_group_segment_fixed_size 0
		.amdhsa_private_segment_fixed_size 0
		.amdhsa_kernarg_size 64
		.amdhsa_user_sgpr_count 2
		.amdhsa_user_sgpr_dispatch_ptr 0
		.amdhsa_user_sgpr_queue_ptr 0
		.amdhsa_user_sgpr_kernarg_segment_ptr 1
		.amdhsa_user_sgpr_dispatch_id 0
		.amdhsa_user_sgpr_kernarg_preload_length 0
		.amdhsa_user_sgpr_kernarg_preload_offset 0
		.amdhsa_user_sgpr_private_segment_size 0
		.amdhsa_wavefront_size32 1
		.amdhsa_uses_dynamic_stack 0
		.amdhsa_enable_private_segment 0
		.amdhsa_system_sgpr_workgroup_id_x 1
		.amdhsa_system_sgpr_workgroup_id_y 0
		.amdhsa_system_sgpr_workgroup_id_z 0
		.amdhsa_system_sgpr_workgroup_info 0
		.amdhsa_system_vgpr_workitem_id 0
		.amdhsa_next_free_vgpr 1
		.amdhsa_next_free_sgpr 1
		.amdhsa_named_barrier_count 0
		.amdhsa_reserve_vcc 0
		.amdhsa_float_round_mode_32 0
		.amdhsa_float_round_mode_16_64 0
		.amdhsa_float_denorm_mode_32 3
		.amdhsa_float_denorm_mode_16_64 3
		.amdhsa_fp16_overflow 0
		.amdhsa_memory_ordered 1
		.amdhsa_forward_progress 1
		.amdhsa_inst_pref_size 0
		.amdhsa_round_robin_scheduling 0
		.amdhsa_exception_fp_ieee_invalid_op 0
		.amdhsa_exception_fp_denorm_src 0
		.amdhsa_exception_fp_ieee_div_zero 0
		.amdhsa_exception_fp_ieee_overflow 0
		.amdhsa_exception_fp_ieee_underflow 0
		.amdhsa_exception_fp_ieee_inexact 0
		.amdhsa_exception_int_div_zero 0
	.end_amdhsa_kernel
	.section	.text._ZN7rocprim17ROCPRIM_400000_NS6detail17trampoline_kernelINS0_14default_configENS1_38merge_sort_block_merge_config_selectorIlNS0_10empty_typeEEEZZNS1_27merge_sort_block_merge_implIS3_PlPS5_mZN2at6native12_GLOBAL__N_124unique_dim_cuda_templateIaEESt5tupleIJNSA_6TensorESF_SF_EERKSF_lbbbEUlllE_EE10hipError_tT0_T1_T2_jT3_P12ihipStream_tbPNSt15iterator_traitsISL_E10value_typeEPNSR_ISM_E10value_typeEPSN_NS1_7vsmem_tEENKUlT_SL_SM_SN_E_clIS8_S8_S9_S9_EESK_S10_SL_SM_SN_EUlS10_E1_NS1_11comp_targetILNS1_3genE9ELNS1_11target_archE1100ELNS1_3gpuE3ELNS1_3repE0EEENS1_36merge_oddeven_config_static_selectorELNS0_4arch9wavefront6targetE0EEEvSM_,"axG",@progbits,_ZN7rocprim17ROCPRIM_400000_NS6detail17trampoline_kernelINS0_14default_configENS1_38merge_sort_block_merge_config_selectorIlNS0_10empty_typeEEEZZNS1_27merge_sort_block_merge_implIS3_PlPS5_mZN2at6native12_GLOBAL__N_124unique_dim_cuda_templateIaEESt5tupleIJNSA_6TensorESF_SF_EERKSF_lbbbEUlllE_EE10hipError_tT0_T1_T2_jT3_P12ihipStream_tbPNSt15iterator_traitsISL_E10value_typeEPNSR_ISM_E10value_typeEPSN_NS1_7vsmem_tEENKUlT_SL_SM_SN_E_clIS8_S8_S9_S9_EESK_S10_SL_SM_SN_EUlS10_E1_NS1_11comp_targetILNS1_3genE9ELNS1_11target_archE1100ELNS1_3gpuE3ELNS1_3repE0EEENS1_36merge_oddeven_config_static_selectorELNS0_4arch9wavefront6targetE0EEEvSM_,comdat
.Lfunc_end292:
	.size	_ZN7rocprim17ROCPRIM_400000_NS6detail17trampoline_kernelINS0_14default_configENS1_38merge_sort_block_merge_config_selectorIlNS0_10empty_typeEEEZZNS1_27merge_sort_block_merge_implIS3_PlPS5_mZN2at6native12_GLOBAL__N_124unique_dim_cuda_templateIaEESt5tupleIJNSA_6TensorESF_SF_EERKSF_lbbbEUlllE_EE10hipError_tT0_T1_T2_jT3_P12ihipStream_tbPNSt15iterator_traitsISL_E10value_typeEPNSR_ISM_E10value_typeEPSN_NS1_7vsmem_tEENKUlT_SL_SM_SN_E_clIS8_S8_S9_S9_EESK_S10_SL_SM_SN_EUlS10_E1_NS1_11comp_targetILNS1_3genE9ELNS1_11target_archE1100ELNS1_3gpuE3ELNS1_3repE0EEENS1_36merge_oddeven_config_static_selectorELNS0_4arch9wavefront6targetE0EEEvSM_, .Lfunc_end292-_ZN7rocprim17ROCPRIM_400000_NS6detail17trampoline_kernelINS0_14default_configENS1_38merge_sort_block_merge_config_selectorIlNS0_10empty_typeEEEZZNS1_27merge_sort_block_merge_implIS3_PlPS5_mZN2at6native12_GLOBAL__N_124unique_dim_cuda_templateIaEESt5tupleIJNSA_6TensorESF_SF_EERKSF_lbbbEUlllE_EE10hipError_tT0_T1_T2_jT3_P12ihipStream_tbPNSt15iterator_traitsISL_E10value_typeEPNSR_ISM_E10value_typeEPSN_NS1_7vsmem_tEENKUlT_SL_SM_SN_E_clIS8_S8_S9_S9_EESK_S10_SL_SM_SN_EUlS10_E1_NS1_11comp_targetILNS1_3genE9ELNS1_11target_archE1100ELNS1_3gpuE3ELNS1_3repE0EEENS1_36merge_oddeven_config_static_selectorELNS0_4arch9wavefront6targetE0EEEvSM_
                                        ; -- End function
	.set _ZN7rocprim17ROCPRIM_400000_NS6detail17trampoline_kernelINS0_14default_configENS1_38merge_sort_block_merge_config_selectorIlNS0_10empty_typeEEEZZNS1_27merge_sort_block_merge_implIS3_PlPS5_mZN2at6native12_GLOBAL__N_124unique_dim_cuda_templateIaEESt5tupleIJNSA_6TensorESF_SF_EERKSF_lbbbEUlllE_EE10hipError_tT0_T1_T2_jT3_P12ihipStream_tbPNSt15iterator_traitsISL_E10value_typeEPNSR_ISM_E10value_typeEPSN_NS1_7vsmem_tEENKUlT_SL_SM_SN_E_clIS8_S8_S9_S9_EESK_S10_SL_SM_SN_EUlS10_E1_NS1_11comp_targetILNS1_3genE9ELNS1_11target_archE1100ELNS1_3gpuE3ELNS1_3repE0EEENS1_36merge_oddeven_config_static_selectorELNS0_4arch9wavefront6targetE0EEEvSM_.num_vgpr, 0
	.set _ZN7rocprim17ROCPRIM_400000_NS6detail17trampoline_kernelINS0_14default_configENS1_38merge_sort_block_merge_config_selectorIlNS0_10empty_typeEEEZZNS1_27merge_sort_block_merge_implIS3_PlPS5_mZN2at6native12_GLOBAL__N_124unique_dim_cuda_templateIaEESt5tupleIJNSA_6TensorESF_SF_EERKSF_lbbbEUlllE_EE10hipError_tT0_T1_T2_jT3_P12ihipStream_tbPNSt15iterator_traitsISL_E10value_typeEPNSR_ISM_E10value_typeEPSN_NS1_7vsmem_tEENKUlT_SL_SM_SN_E_clIS8_S8_S9_S9_EESK_S10_SL_SM_SN_EUlS10_E1_NS1_11comp_targetILNS1_3genE9ELNS1_11target_archE1100ELNS1_3gpuE3ELNS1_3repE0EEENS1_36merge_oddeven_config_static_selectorELNS0_4arch9wavefront6targetE0EEEvSM_.num_agpr, 0
	.set _ZN7rocprim17ROCPRIM_400000_NS6detail17trampoline_kernelINS0_14default_configENS1_38merge_sort_block_merge_config_selectorIlNS0_10empty_typeEEEZZNS1_27merge_sort_block_merge_implIS3_PlPS5_mZN2at6native12_GLOBAL__N_124unique_dim_cuda_templateIaEESt5tupleIJNSA_6TensorESF_SF_EERKSF_lbbbEUlllE_EE10hipError_tT0_T1_T2_jT3_P12ihipStream_tbPNSt15iterator_traitsISL_E10value_typeEPNSR_ISM_E10value_typeEPSN_NS1_7vsmem_tEENKUlT_SL_SM_SN_E_clIS8_S8_S9_S9_EESK_S10_SL_SM_SN_EUlS10_E1_NS1_11comp_targetILNS1_3genE9ELNS1_11target_archE1100ELNS1_3gpuE3ELNS1_3repE0EEENS1_36merge_oddeven_config_static_selectorELNS0_4arch9wavefront6targetE0EEEvSM_.numbered_sgpr, 0
	.set _ZN7rocprim17ROCPRIM_400000_NS6detail17trampoline_kernelINS0_14default_configENS1_38merge_sort_block_merge_config_selectorIlNS0_10empty_typeEEEZZNS1_27merge_sort_block_merge_implIS3_PlPS5_mZN2at6native12_GLOBAL__N_124unique_dim_cuda_templateIaEESt5tupleIJNSA_6TensorESF_SF_EERKSF_lbbbEUlllE_EE10hipError_tT0_T1_T2_jT3_P12ihipStream_tbPNSt15iterator_traitsISL_E10value_typeEPNSR_ISM_E10value_typeEPSN_NS1_7vsmem_tEENKUlT_SL_SM_SN_E_clIS8_S8_S9_S9_EESK_S10_SL_SM_SN_EUlS10_E1_NS1_11comp_targetILNS1_3genE9ELNS1_11target_archE1100ELNS1_3gpuE3ELNS1_3repE0EEENS1_36merge_oddeven_config_static_selectorELNS0_4arch9wavefront6targetE0EEEvSM_.num_named_barrier, 0
	.set _ZN7rocprim17ROCPRIM_400000_NS6detail17trampoline_kernelINS0_14default_configENS1_38merge_sort_block_merge_config_selectorIlNS0_10empty_typeEEEZZNS1_27merge_sort_block_merge_implIS3_PlPS5_mZN2at6native12_GLOBAL__N_124unique_dim_cuda_templateIaEESt5tupleIJNSA_6TensorESF_SF_EERKSF_lbbbEUlllE_EE10hipError_tT0_T1_T2_jT3_P12ihipStream_tbPNSt15iterator_traitsISL_E10value_typeEPNSR_ISM_E10value_typeEPSN_NS1_7vsmem_tEENKUlT_SL_SM_SN_E_clIS8_S8_S9_S9_EESK_S10_SL_SM_SN_EUlS10_E1_NS1_11comp_targetILNS1_3genE9ELNS1_11target_archE1100ELNS1_3gpuE3ELNS1_3repE0EEENS1_36merge_oddeven_config_static_selectorELNS0_4arch9wavefront6targetE0EEEvSM_.private_seg_size, 0
	.set _ZN7rocprim17ROCPRIM_400000_NS6detail17trampoline_kernelINS0_14default_configENS1_38merge_sort_block_merge_config_selectorIlNS0_10empty_typeEEEZZNS1_27merge_sort_block_merge_implIS3_PlPS5_mZN2at6native12_GLOBAL__N_124unique_dim_cuda_templateIaEESt5tupleIJNSA_6TensorESF_SF_EERKSF_lbbbEUlllE_EE10hipError_tT0_T1_T2_jT3_P12ihipStream_tbPNSt15iterator_traitsISL_E10value_typeEPNSR_ISM_E10value_typeEPSN_NS1_7vsmem_tEENKUlT_SL_SM_SN_E_clIS8_S8_S9_S9_EESK_S10_SL_SM_SN_EUlS10_E1_NS1_11comp_targetILNS1_3genE9ELNS1_11target_archE1100ELNS1_3gpuE3ELNS1_3repE0EEENS1_36merge_oddeven_config_static_selectorELNS0_4arch9wavefront6targetE0EEEvSM_.uses_vcc, 0
	.set _ZN7rocprim17ROCPRIM_400000_NS6detail17trampoline_kernelINS0_14default_configENS1_38merge_sort_block_merge_config_selectorIlNS0_10empty_typeEEEZZNS1_27merge_sort_block_merge_implIS3_PlPS5_mZN2at6native12_GLOBAL__N_124unique_dim_cuda_templateIaEESt5tupleIJNSA_6TensorESF_SF_EERKSF_lbbbEUlllE_EE10hipError_tT0_T1_T2_jT3_P12ihipStream_tbPNSt15iterator_traitsISL_E10value_typeEPNSR_ISM_E10value_typeEPSN_NS1_7vsmem_tEENKUlT_SL_SM_SN_E_clIS8_S8_S9_S9_EESK_S10_SL_SM_SN_EUlS10_E1_NS1_11comp_targetILNS1_3genE9ELNS1_11target_archE1100ELNS1_3gpuE3ELNS1_3repE0EEENS1_36merge_oddeven_config_static_selectorELNS0_4arch9wavefront6targetE0EEEvSM_.uses_flat_scratch, 0
	.set _ZN7rocprim17ROCPRIM_400000_NS6detail17trampoline_kernelINS0_14default_configENS1_38merge_sort_block_merge_config_selectorIlNS0_10empty_typeEEEZZNS1_27merge_sort_block_merge_implIS3_PlPS5_mZN2at6native12_GLOBAL__N_124unique_dim_cuda_templateIaEESt5tupleIJNSA_6TensorESF_SF_EERKSF_lbbbEUlllE_EE10hipError_tT0_T1_T2_jT3_P12ihipStream_tbPNSt15iterator_traitsISL_E10value_typeEPNSR_ISM_E10value_typeEPSN_NS1_7vsmem_tEENKUlT_SL_SM_SN_E_clIS8_S8_S9_S9_EESK_S10_SL_SM_SN_EUlS10_E1_NS1_11comp_targetILNS1_3genE9ELNS1_11target_archE1100ELNS1_3gpuE3ELNS1_3repE0EEENS1_36merge_oddeven_config_static_selectorELNS0_4arch9wavefront6targetE0EEEvSM_.has_dyn_sized_stack, 0
	.set _ZN7rocprim17ROCPRIM_400000_NS6detail17trampoline_kernelINS0_14default_configENS1_38merge_sort_block_merge_config_selectorIlNS0_10empty_typeEEEZZNS1_27merge_sort_block_merge_implIS3_PlPS5_mZN2at6native12_GLOBAL__N_124unique_dim_cuda_templateIaEESt5tupleIJNSA_6TensorESF_SF_EERKSF_lbbbEUlllE_EE10hipError_tT0_T1_T2_jT3_P12ihipStream_tbPNSt15iterator_traitsISL_E10value_typeEPNSR_ISM_E10value_typeEPSN_NS1_7vsmem_tEENKUlT_SL_SM_SN_E_clIS8_S8_S9_S9_EESK_S10_SL_SM_SN_EUlS10_E1_NS1_11comp_targetILNS1_3genE9ELNS1_11target_archE1100ELNS1_3gpuE3ELNS1_3repE0EEENS1_36merge_oddeven_config_static_selectorELNS0_4arch9wavefront6targetE0EEEvSM_.has_recursion, 0
	.set _ZN7rocprim17ROCPRIM_400000_NS6detail17trampoline_kernelINS0_14default_configENS1_38merge_sort_block_merge_config_selectorIlNS0_10empty_typeEEEZZNS1_27merge_sort_block_merge_implIS3_PlPS5_mZN2at6native12_GLOBAL__N_124unique_dim_cuda_templateIaEESt5tupleIJNSA_6TensorESF_SF_EERKSF_lbbbEUlllE_EE10hipError_tT0_T1_T2_jT3_P12ihipStream_tbPNSt15iterator_traitsISL_E10value_typeEPNSR_ISM_E10value_typeEPSN_NS1_7vsmem_tEENKUlT_SL_SM_SN_E_clIS8_S8_S9_S9_EESK_S10_SL_SM_SN_EUlS10_E1_NS1_11comp_targetILNS1_3genE9ELNS1_11target_archE1100ELNS1_3gpuE3ELNS1_3repE0EEENS1_36merge_oddeven_config_static_selectorELNS0_4arch9wavefront6targetE0EEEvSM_.has_indirect_call, 0
	.section	.AMDGPU.csdata,"",@progbits
; Kernel info:
; codeLenInByte = 0
; TotalNumSgprs: 0
; NumVgprs: 0
; ScratchSize: 0
; MemoryBound: 0
; FloatMode: 240
; IeeeMode: 1
; LDSByteSize: 0 bytes/workgroup (compile time only)
; SGPRBlocks: 0
; VGPRBlocks: 0
; NumSGPRsForWavesPerEU: 1
; NumVGPRsForWavesPerEU: 1
; NamedBarCnt: 0
; Occupancy: 16
; WaveLimiterHint : 0
; COMPUTE_PGM_RSRC2:SCRATCH_EN: 0
; COMPUTE_PGM_RSRC2:USER_SGPR: 2
; COMPUTE_PGM_RSRC2:TRAP_HANDLER: 0
; COMPUTE_PGM_RSRC2:TGID_X_EN: 1
; COMPUTE_PGM_RSRC2:TGID_Y_EN: 0
; COMPUTE_PGM_RSRC2:TGID_Z_EN: 0
; COMPUTE_PGM_RSRC2:TIDIG_COMP_CNT: 0
	.section	.text._ZN7rocprim17ROCPRIM_400000_NS6detail17trampoline_kernelINS0_14default_configENS1_38merge_sort_block_merge_config_selectorIlNS0_10empty_typeEEEZZNS1_27merge_sort_block_merge_implIS3_PlPS5_mZN2at6native12_GLOBAL__N_124unique_dim_cuda_templateIaEESt5tupleIJNSA_6TensorESF_SF_EERKSF_lbbbEUlllE_EE10hipError_tT0_T1_T2_jT3_P12ihipStream_tbPNSt15iterator_traitsISL_E10value_typeEPNSR_ISM_E10value_typeEPSN_NS1_7vsmem_tEENKUlT_SL_SM_SN_E_clIS8_S8_S9_S9_EESK_S10_SL_SM_SN_EUlS10_E1_NS1_11comp_targetILNS1_3genE8ELNS1_11target_archE1030ELNS1_3gpuE2ELNS1_3repE0EEENS1_36merge_oddeven_config_static_selectorELNS0_4arch9wavefront6targetE0EEEvSM_,"axG",@progbits,_ZN7rocprim17ROCPRIM_400000_NS6detail17trampoline_kernelINS0_14default_configENS1_38merge_sort_block_merge_config_selectorIlNS0_10empty_typeEEEZZNS1_27merge_sort_block_merge_implIS3_PlPS5_mZN2at6native12_GLOBAL__N_124unique_dim_cuda_templateIaEESt5tupleIJNSA_6TensorESF_SF_EERKSF_lbbbEUlllE_EE10hipError_tT0_T1_T2_jT3_P12ihipStream_tbPNSt15iterator_traitsISL_E10value_typeEPNSR_ISM_E10value_typeEPSN_NS1_7vsmem_tEENKUlT_SL_SM_SN_E_clIS8_S8_S9_S9_EESK_S10_SL_SM_SN_EUlS10_E1_NS1_11comp_targetILNS1_3genE8ELNS1_11target_archE1030ELNS1_3gpuE2ELNS1_3repE0EEENS1_36merge_oddeven_config_static_selectorELNS0_4arch9wavefront6targetE0EEEvSM_,comdat
	.globl	_ZN7rocprim17ROCPRIM_400000_NS6detail17trampoline_kernelINS0_14default_configENS1_38merge_sort_block_merge_config_selectorIlNS0_10empty_typeEEEZZNS1_27merge_sort_block_merge_implIS3_PlPS5_mZN2at6native12_GLOBAL__N_124unique_dim_cuda_templateIaEESt5tupleIJNSA_6TensorESF_SF_EERKSF_lbbbEUlllE_EE10hipError_tT0_T1_T2_jT3_P12ihipStream_tbPNSt15iterator_traitsISL_E10value_typeEPNSR_ISM_E10value_typeEPSN_NS1_7vsmem_tEENKUlT_SL_SM_SN_E_clIS8_S8_S9_S9_EESK_S10_SL_SM_SN_EUlS10_E1_NS1_11comp_targetILNS1_3genE8ELNS1_11target_archE1030ELNS1_3gpuE2ELNS1_3repE0EEENS1_36merge_oddeven_config_static_selectorELNS0_4arch9wavefront6targetE0EEEvSM_ ; -- Begin function _ZN7rocprim17ROCPRIM_400000_NS6detail17trampoline_kernelINS0_14default_configENS1_38merge_sort_block_merge_config_selectorIlNS0_10empty_typeEEEZZNS1_27merge_sort_block_merge_implIS3_PlPS5_mZN2at6native12_GLOBAL__N_124unique_dim_cuda_templateIaEESt5tupleIJNSA_6TensorESF_SF_EERKSF_lbbbEUlllE_EE10hipError_tT0_T1_T2_jT3_P12ihipStream_tbPNSt15iterator_traitsISL_E10value_typeEPNSR_ISM_E10value_typeEPSN_NS1_7vsmem_tEENKUlT_SL_SM_SN_E_clIS8_S8_S9_S9_EESK_S10_SL_SM_SN_EUlS10_E1_NS1_11comp_targetILNS1_3genE8ELNS1_11target_archE1030ELNS1_3gpuE2ELNS1_3repE0EEENS1_36merge_oddeven_config_static_selectorELNS0_4arch9wavefront6targetE0EEEvSM_
	.p2align	8
	.type	_ZN7rocprim17ROCPRIM_400000_NS6detail17trampoline_kernelINS0_14default_configENS1_38merge_sort_block_merge_config_selectorIlNS0_10empty_typeEEEZZNS1_27merge_sort_block_merge_implIS3_PlPS5_mZN2at6native12_GLOBAL__N_124unique_dim_cuda_templateIaEESt5tupleIJNSA_6TensorESF_SF_EERKSF_lbbbEUlllE_EE10hipError_tT0_T1_T2_jT3_P12ihipStream_tbPNSt15iterator_traitsISL_E10value_typeEPNSR_ISM_E10value_typeEPSN_NS1_7vsmem_tEENKUlT_SL_SM_SN_E_clIS8_S8_S9_S9_EESK_S10_SL_SM_SN_EUlS10_E1_NS1_11comp_targetILNS1_3genE8ELNS1_11target_archE1030ELNS1_3gpuE2ELNS1_3repE0EEENS1_36merge_oddeven_config_static_selectorELNS0_4arch9wavefront6targetE0EEEvSM_,@function
_ZN7rocprim17ROCPRIM_400000_NS6detail17trampoline_kernelINS0_14default_configENS1_38merge_sort_block_merge_config_selectorIlNS0_10empty_typeEEEZZNS1_27merge_sort_block_merge_implIS3_PlPS5_mZN2at6native12_GLOBAL__N_124unique_dim_cuda_templateIaEESt5tupleIJNSA_6TensorESF_SF_EERKSF_lbbbEUlllE_EE10hipError_tT0_T1_T2_jT3_P12ihipStream_tbPNSt15iterator_traitsISL_E10value_typeEPNSR_ISM_E10value_typeEPSN_NS1_7vsmem_tEENKUlT_SL_SM_SN_E_clIS8_S8_S9_S9_EESK_S10_SL_SM_SN_EUlS10_E1_NS1_11comp_targetILNS1_3genE8ELNS1_11target_archE1030ELNS1_3gpuE2ELNS1_3repE0EEENS1_36merge_oddeven_config_static_selectorELNS0_4arch9wavefront6targetE0EEEvSM_: ; @_ZN7rocprim17ROCPRIM_400000_NS6detail17trampoline_kernelINS0_14default_configENS1_38merge_sort_block_merge_config_selectorIlNS0_10empty_typeEEEZZNS1_27merge_sort_block_merge_implIS3_PlPS5_mZN2at6native12_GLOBAL__N_124unique_dim_cuda_templateIaEESt5tupleIJNSA_6TensorESF_SF_EERKSF_lbbbEUlllE_EE10hipError_tT0_T1_T2_jT3_P12ihipStream_tbPNSt15iterator_traitsISL_E10value_typeEPNSR_ISM_E10value_typeEPSN_NS1_7vsmem_tEENKUlT_SL_SM_SN_E_clIS8_S8_S9_S9_EESK_S10_SL_SM_SN_EUlS10_E1_NS1_11comp_targetILNS1_3genE8ELNS1_11target_archE1030ELNS1_3gpuE2ELNS1_3repE0EEENS1_36merge_oddeven_config_static_selectorELNS0_4arch9wavefront6targetE0EEEvSM_
; %bb.0:
	.section	.rodata,"a",@progbits
	.p2align	6, 0x0
	.amdhsa_kernel _ZN7rocprim17ROCPRIM_400000_NS6detail17trampoline_kernelINS0_14default_configENS1_38merge_sort_block_merge_config_selectorIlNS0_10empty_typeEEEZZNS1_27merge_sort_block_merge_implIS3_PlPS5_mZN2at6native12_GLOBAL__N_124unique_dim_cuda_templateIaEESt5tupleIJNSA_6TensorESF_SF_EERKSF_lbbbEUlllE_EE10hipError_tT0_T1_T2_jT3_P12ihipStream_tbPNSt15iterator_traitsISL_E10value_typeEPNSR_ISM_E10value_typeEPSN_NS1_7vsmem_tEENKUlT_SL_SM_SN_E_clIS8_S8_S9_S9_EESK_S10_SL_SM_SN_EUlS10_E1_NS1_11comp_targetILNS1_3genE8ELNS1_11target_archE1030ELNS1_3gpuE2ELNS1_3repE0EEENS1_36merge_oddeven_config_static_selectorELNS0_4arch9wavefront6targetE0EEEvSM_
		.amdhsa_group_segment_fixed_size 0
		.amdhsa_private_segment_fixed_size 0
		.amdhsa_kernarg_size 64
		.amdhsa_user_sgpr_count 2
		.amdhsa_user_sgpr_dispatch_ptr 0
		.amdhsa_user_sgpr_queue_ptr 0
		.amdhsa_user_sgpr_kernarg_segment_ptr 1
		.amdhsa_user_sgpr_dispatch_id 0
		.amdhsa_user_sgpr_kernarg_preload_length 0
		.amdhsa_user_sgpr_kernarg_preload_offset 0
		.amdhsa_user_sgpr_private_segment_size 0
		.amdhsa_wavefront_size32 1
		.amdhsa_uses_dynamic_stack 0
		.amdhsa_enable_private_segment 0
		.amdhsa_system_sgpr_workgroup_id_x 1
		.amdhsa_system_sgpr_workgroup_id_y 0
		.amdhsa_system_sgpr_workgroup_id_z 0
		.amdhsa_system_sgpr_workgroup_info 0
		.amdhsa_system_vgpr_workitem_id 0
		.amdhsa_next_free_vgpr 1
		.amdhsa_next_free_sgpr 1
		.amdhsa_named_barrier_count 0
		.amdhsa_reserve_vcc 0
		.amdhsa_float_round_mode_32 0
		.amdhsa_float_round_mode_16_64 0
		.amdhsa_float_denorm_mode_32 3
		.amdhsa_float_denorm_mode_16_64 3
		.amdhsa_fp16_overflow 0
		.amdhsa_memory_ordered 1
		.amdhsa_forward_progress 1
		.amdhsa_inst_pref_size 0
		.amdhsa_round_robin_scheduling 0
		.amdhsa_exception_fp_ieee_invalid_op 0
		.amdhsa_exception_fp_denorm_src 0
		.amdhsa_exception_fp_ieee_div_zero 0
		.amdhsa_exception_fp_ieee_overflow 0
		.amdhsa_exception_fp_ieee_underflow 0
		.amdhsa_exception_fp_ieee_inexact 0
		.amdhsa_exception_int_div_zero 0
	.end_amdhsa_kernel
	.section	.text._ZN7rocprim17ROCPRIM_400000_NS6detail17trampoline_kernelINS0_14default_configENS1_38merge_sort_block_merge_config_selectorIlNS0_10empty_typeEEEZZNS1_27merge_sort_block_merge_implIS3_PlPS5_mZN2at6native12_GLOBAL__N_124unique_dim_cuda_templateIaEESt5tupleIJNSA_6TensorESF_SF_EERKSF_lbbbEUlllE_EE10hipError_tT0_T1_T2_jT3_P12ihipStream_tbPNSt15iterator_traitsISL_E10value_typeEPNSR_ISM_E10value_typeEPSN_NS1_7vsmem_tEENKUlT_SL_SM_SN_E_clIS8_S8_S9_S9_EESK_S10_SL_SM_SN_EUlS10_E1_NS1_11comp_targetILNS1_3genE8ELNS1_11target_archE1030ELNS1_3gpuE2ELNS1_3repE0EEENS1_36merge_oddeven_config_static_selectorELNS0_4arch9wavefront6targetE0EEEvSM_,"axG",@progbits,_ZN7rocprim17ROCPRIM_400000_NS6detail17trampoline_kernelINS0_14default_configENS1_38merge_sort_block_merge_config_selectorIlNS0_10empty_typeEEEZZNS1_27merge_sort_block_merge_implIS3_PlPS5_mZN2at6native12_GLOBAL__N_124unique_dim_cuda_templateIaEESt5tupleIJNSA_6TensorESF_SF_EERKSF_lbbbEUlllE_EE10hipError_tT0_T1_T2_jT3_P12ihipStream_tbPNSt15iterator_traitsISL_E10value_typeEPNSR_ISM_E10value_typeEPSN_NS1_7vsmem_tEENKUlT_SL_SM_SN_E_clIS8_S8_S9_S9_EESK_S10_SL_SM_SN_EUlS10_E1_NS1_11comp_targetILNS1_3genE8ELNS1_11target_archE1030ELNS1_3gpuE2ELNS1_3repE0EEENS1_36merge_oddeven_config_static_selectorELNS0_4arch9wavefront6targetE0EEEvSM_,comdat
.Lfunc_end293:
	.size	_ZN7rocprim17ROCPRIM_400000_NS6detail17trampoline_kernelINS0_14default_configENS1_38merge_sort_block_merge_config_selectorIlNS0_10empty_typeEEEZZNS1_27merge_sort_block_merge_implIS3_PlPS5_mZN2at6native12_GLOBAL__N_124unique_dim_cuda_templateIaEESt5tupleIJNSA_6TensorESF_SF_EERKSF_lbbbEUlllE_EE10hipError_tT0_T1_T2_jT3_P12ihipStream_tbPNSt15iterator_traitsISL_E10value_typeEPNSR_ISM_E10value_typeEPSN_NS1_7vsmem_tEENKUlT_SL_SM_SN_E_clIS8_S8_S9_S9_EESK_S10_SL_SM_SN_EUlS10_E1_NS1_11comp_targetILNS1_3genE8ELNS1_11target_archE1030ELNS1_3gpuE2ELNS1_3repE0EEENS1_36merge_oddeven_config_static_selectorELNS0_4arch9wavefront6targetE0EEEvSM_, .Lfunc_end293-_ZN7rocprim17ROCPRIM_400000_NS6detail17trampoline_kernelINS0_14default_configENS1_38merge_sort_block_merge_config_selectorIlNS0_10empty_typeEEEZZNS1_27merge_sort_block_merge_implIS3_PlPS5_mZN2at6native12_GLOBAL__N_124unique_dim_cuda_templateIaEESt5tupleIJNSA_6TensorESF_SF_EERKSF_lbbbEUlllE_EE10hipError_tT0_T1_T2_jT3_P12ihipStream_tbPNSt15iterator_traitsISL_E10value_typeEPNSR_ISM_E10value_typeEPSN_NS1_7vsmem_tEENKUlT_SL_SM_SN_E_clIS8_S8_S9_S9_EESK_S10_SL_SM_SN_EUlS10_E1_NS1_11comp_targetILNS1_3genE8ELNS1_11target_archE1030ELNS1_3gpuE2ELNS1_3repE0EEENS1_36merge_oddeven_config_static_selectorELNS0_4arch9wavefront6targetE0EEEvSM_
                                        ; -- End function
	.set _ZN7rocprim17ROCPRIM_400000_NS6detail17trampoline_kernelINS0_14default_configENS1_38merge_sort_block_merge_config_selectorIlNS0_10empty_typeEEEZZNS1_27merge_sort_block_merge_implIS3_PlPS5_mZN2at6native12_GLOBAL__N_124unique_dim_cuda_templateIaEESt5tupleIJNSA_6TensorESF_SF_EERKSF_lbbbEUlllE_EE10hipError_tT0_T1_T2_jT3_P12ihipStream_tbPNSt15iterator_traitsISL_E10value_typeEPNSR_ISM_E10value_typeEPSN_NS1_7vsmem_tEENKUlT_SL_SM_SN_E_clIS8_S8_S9_S9_EESK_S10_SL_SM_SN_EUlS10_E1_NS1_11comp_targetILNS1_3genE8ELNS1_11target_archE1030ELNS1_3gpuE2ELNS1_3repE0EEENS1_36merge_oddeven_config_static_selectorELNS0_4arch9wavefront6targetE0EEEvSM_.num_vgpr, 0
	.set _ZN7rocprim17ROCPRIM_400000_NS6detail17trampoline_kernelINS0_14default_configENS1_38merge_sort_block_merge_config_selectorIlNS0_10empty_typeEEEZZNS1_27merge_sort_block_merge_implIS3_PlPS5_mZN2at6native12_GLOBAL__N_124unique_dim_cuda_templateIaEESt5tupleIJNSA_6TensorESF_SF_EERKSF_lbbbEUlllE_EE10hipError_tT0_T1_T2_jT3_P12ihipStream_tbPNSt15iterator_traitsISL_E10value_typeEPNSR_ISM_E10value_typeEPSN_NS1_7vsmem_tEENKUlT_SL_SM_SN_E_clIS8_S8_S9_S9_EESK_S10_SL_SM_SN_EUlS10_E1_NS1_11comp_targetILNS1_3genE8ELNS1_11target_archE1030ELNS1_3gpuE2ELNS1_3repE0EEENS1_36merge_oddeven_config_static_selectorELNS0_4arch9wavefront6targetE0EEEvSM_.num_agpr, 0
	.set _ZN7rocprim17ROCPRIM_400000_NS6detail17trampoline_kernelINS0_14default_configENS1_38merge_sort_block_merge_config_selectorIlNS0_10empty_typeEEEZZNS1_27merge_sort_block_merge_implIS3_PlPS5_mZN2at6native12_GLOBAL__N_124unique_dim_cuda_templateIaEESt5tupleIJNSA_6TensorESF_SF_EERKSF_lbbbEUlllE_EE10hipError_tT0_T1_T2_jT3_P12ihipStream_tbPNSt15iterator_traitsISL_E10value_typeEPNSR_ISM_E10value_typeEPSN_NS1_7vsmem_tEENKUlT_SL_SM_SN_E_clIS8_S8_S9_S9_EESK_S10_SL_SM_SN_EUlS10_E1_NS1_11comp_targetILNS1_3genE8ELNS1_11target_archE1030ELNS1_3gpuE2ELNS1_3repE0EEENS1_36merge_oddeven_config_static_selectorELNS0_4arch9wavefront6targetE0EEEvSM_.numbered_sgpr, 0
	.set _ZN7rocprim17ROCPRIM_400000_NS6detail17trampoline_kernelINS0_14default_configENS1_38merge_sort_block_merge_config_selectorIlNS0_10empty_typeEEEZZNS1_27merge_sort_block_merge_implIS3_PlPS5_mZN2at6native12_GLOBAL__N_124unique_dim_cuda_templateIaEESt5tupleIJNSA_6TensorESF_SF_EERKSF_lbbbEUlllE_EE10hipError_tT0_T1_T2_jT3_P12ihipStream_tbPNSt15iterator_traitsISL_E10value_typeEPNSR_ISM_E10value_typeEPSN_NS1_7vsmem_tEENKUlT_SL_SM_SN_E_clIS8_S8_S9_S9_EESK_S10_SL_SM_SN_EUlS10_E1_NS1_11comp_targetILNS1_3genE8ELNS1_11target_archE1030ELNS1_3gpuE2ELNS1_3repE0EEENS1_36merge_oddeven_config_static_selectorELNS0_4arch9wavefront6targetE0EEEvSM_.num_named_barrier, 0
	.set _ZN7rocprim17ROCPRIM_400000_NS6detail17trampoline_kernelINS0_14default_configENS1_38merge_sort_block_merge_config_selectorIlNS0_10empty_typeEEEZZNS1_27merge_sort_block_merge_implIS3_PlPS5_mZN2at6native12_GLOBAL__N_124unique_dim_cuda_templateIaEESt5tupleIJNSA_6TensorESF_SF_EERKSF_lbbbEUlllE_EE10hipError_tT0_T1_T2_jT3_P12ihipStream_tbPNSt15iterator_traitsISL_E10value_typeEPNSR_ISM_E10value_typeEPSN_NS1_7vsmem_tEENKUlT_SL_SM_SN_E_clIS8_S8_S9_S9_EESK_S10_SL_SM_SN_EUlS10_E1_NS1_11comp_targetILNS1_3genE8ELNS1_11target_archE1030ELNS1_3gpuE2ELNS1_3repE0EEENS1_36merge_oddeven_config_static_selectorELNS0_4arch9wavefront6targetE0EEEvSM_.private_seg_size, 0
	.set _ZN7rocprim17ROCPRIM_400000_NS6detail17trampoline_kernelINS0_14default_configENS1_38merge_sort_block_merge_config_selectorIlNS0_10empty_typeEEEZZNS1_27merge_sort_block_merge_implIS3_PlPS5_mZN2at6native12_GLOBAL__N_124unique_dim_cuda_templateIaEESt5tupleIJNSA_6TensorESF_SF_EERKSF_lbbbEUlllE_EE10hipError_tT0_T1_T2_jT3_P12ihipStream_tbPNSt15iterator_traitsISL_E10value_typeEPNSR_ISM_E10value_typeEPSN_NS1_7vsmem_tEENKUlT_SL_SM_SN_E_clIS8_S8_S9_S9_EESK_S10_SL_SM_SN_EUlS10_E1_NS1_11comp_targetILNS1_3genE8ELNS1_11target_archE1030ELNS1_3gpuE2ELNS1_3repE0EEENS1_36merge_oddeven_config_static_selectorELNS0_4arch9wavefront6targetE0EEEvSM_.uses_vcc, 0
	.set _ZN7rocprim17ROCPRIM_400000_NS6detail17trampoline_kernelINS0_14default_configENS1_38merge_sort_block_merge_config_selectorIlNS0_10empty_typeEEEZZNS1_27merge_sort_block_merge_implIS3_PlPS5_mZN2at6native12_GLOBAL__N_124unique_dim_cuda_templateIaEESt5tupleIJNSA_6TensorESF_SF_EERKSF_lbbbEUlllE_EE10hipError_tT0_T1_T2_jT3_P12ihipStream_tbPNSt15iterator_traitsISL_E10value_typeEPNSR_ISM_E10value_typeEPSN_NS1_7vsmem_tEENKUlT_SL_SM_SN_E_clIS8_S8_S9_S9_EESK_S10_SL_SM_SN_EUlS10_E1_NS1_11comp_targetILNS1_3genE8ELNS1_11target_archE1030ELNS1_3gpuE2ELNS1_3repE0EEENS1_36merge_oddeven_config_static_selectorELNS0_4arch9wavefront6targetE0EEEvSM_.uses_flat_scratch, 0
	.set _ZN7rocprim17ROCPRIM_400000_NS6detail17trampoline_kernelINS0_14default_configENS1_38merge_sort_block_merge_config_selectorIlNS0_10empty_typeEEEZZNS1_27merge_sort_block_merge_implIS3_PlPS5_mZN2at6native12_GLOBAL__N_124unique_dim_cuda_templateIaEESt5tupleIJNSA_6TensorESF_SF_EERKSF_lbbbEUlllE_EE10hipError_tT0_T1_T2_jT3_P12ihipStream_tbPNSt15iterator_traitsISL_E10value_typeEPNSR_ISM_E10value_typeEPSN_NS1_7vsmem_tEENKUlT_SL_SM_SN_E_clIS8_S8_S9_S9_EESK_S10_SL_SM_SN_EUlS10_E1_NS1_11comp_targetILNS1_3genE8ELNS1_11target_archE1030ELNS1_3gpuE2ELNS1_3repE0EEENS1_36merge_oddeven_config_static_selectorELNS0_4arch9wavefront6targetE0EEEvSM_.has_dyn_sized_stack, 0
	.set _ZN7rocprim17ROCPRIM_400000_NS6detail17trampoline_kernelINS0_14default_configENS1_38merge_sort_block_merge_config_selectorIlNS0_10empty_typeEEEZZNS1_27merge_sort_block_merge_implIS3_PlPS5_mZN2at6native12_GLOBAL__N_124unique_dim_cuda_templateIaEESt5tupleIJNSA_6TensorESF_SF_EERKSF_lbbbEUlllE_EE10hipError_tT0_T1_T2_jT3_P12ihipStream_tbPNSt15iterator_traitsISL_E10value_typeEPNSR_ISM_E10value_typeEPSN_NS1_7vsmem_tEENKUlT_SL_SM_SN_E_clIS8_S8_S9_S9_EESK_S10_SL_SM_SN_EUlS10_E1_NS1_11comp_targetILNS1_3genE8ELNS1_11target_archE1030ELNS1_3gpuE2ELNS1_3repE0EEENS1_36merge_oddeven_config_static_selectorELNS0_4arch9wavefront6targetE0EEEvSM_.has_recursion, 0
	.set _ZN7rocprim17ROCPRIM_400000_NS6detail17trampoline_kernelINS0_14default_configENS1_38merge_sort_block_merge_config_selectorIlNS0_10empty_typeEEEZZNS1_27merge_sort_block_merge_implIS3_PlPS5_mZN2at6native12_GLOBAL__N_124unique_dim_cuda_templateIaEESt5tupleIJNSA_6TensorESF_SF_EERKSF_lbbbEUlllE_EE10hipError_tT0_T1_T2_jT3_P12ihipStream_tbPNSt15iterator_traitsISL_E10value_typeEPNSR_ISM_E10value_typeEPSN_NS1_7vsmem_tEENKUlT_SL_SM_SN_E_clIS8_S8_S9_S9_EESK_S10_SL_SM_SN_EUlS10_E1_NS1_11comp_targetILNS1_3genE8ELNS1_11target_archE1030ELNS1_3gpuE2ELNS1_3repE0EEENS1_36merge_oddeven_config_static_selectorELNS0_4arch9wavefront6targetE0EEEvSM_.has_indirect_call, 0
	.section	.AMDGPU.csdata,"",@progbits
; Kernel info:
; codeLenInByte = 0
; TotalNumSgprs: 0
; NumVgprs: 0
; ScratchSize: 0
; MemoryBound: 0
; FloatMode: 240
; IeeeMode: 1
; LDSByteSize: 0 bytes/workgroup (compile time only)
; SGPRBlocks: 0
; VGPRBlocks: 0
; NumSGPRsForWavesPerEU: 1
; NumVGPRsForWavesPerEU: 1
; NamedBarCnt: 0
; Occupancy: 16
; WaveLimiterHint : 0
; COMPUTE_PGM_RSRC2:SCRATCH_EN: 0
; COMPUTE_PGM_RSRC2:USER_SGPR: 2
; COMPUTE_PGM_RSRC2:TRAP_HANDLER: 0
; COMPUTE_PGM_RSRC2:TGID_X_EN: 1
; COMPUTE_PGM_RSRC2:TGID_Y_EN: 0
; COMPUTE_PGM_RSRC2:TGID_Z_EN: 0
; COMPUTE_PGM_RSRC2:TIDIG_COMP_CNT: 0
	.section	.text._ZN7rocprim17ROCPRIM_400000_NS6detail17trampoline_kernelINS0_14default_configENS1_35adjacent_difference_config_selectorILb0ElEEZNS1_24adjacent_difference_implIS3_Lb0ELb0EPlS7_ZN2at6native12_GLOBAL__N_124unique_dim_cuda_templateIaEESt5tupleIJNS8_6TensorESD_SD_EERKSD_lbbbEUlllE1_EE10hipError_tPvRmT2_T3_mT4_P12ihipStream_tbEUlT_E_NS1_11comp_targetILNS1_3genE0ELNS1_11target_archE4294967295ELNS1_3gpuE0ELNS1_3repE0EEENS1_30default_config_static_selectorELNS0_4arch9wavefront6targetE0EEEvT1_,"axG",@progbits,_ZN7rocprim17ROCPRIM_400000_NS6detail17trampoline_kernelINS0_14default_configENS1_35adjacent_difference_config_selectorILb0ElEEZNS1_24adjacent_difference_implIS3_Lb0ELb0EPlS7_ZN2at6native12_GLOBAL__N_124unique_dim_cuda_templateIaEESt5tupleIJNS8_6TensorESD_SD_EERKSD_lbbbEUlllE1_EE10hipError_tPvRmT2_T3_mT4_P12ihipStream_tbEUlT_E_NS1_11comp_targetILNS1_3genE0ELNS1_11target_archE4294967295ELNS1_3gpuE0ELNS1_3repE0EEENS1_30default_config_static_selectorELNS0_4arch9wavefront6targetE0EEEvT1_,comdat
	.globl	_ZN7rocprim17ROCPRIM_400000_NS6detail17trampoline_kernelINS0_14default_configENS1_35adjacent_difference_config_selectorILb0ElEEZNS1_24adjacent_difference_implIS3_Lb0ELb0EPlS7_ZN2at6native12_GLOBAL__N_124unique_dim_cuda_templateIaEESt5tupleIJNS8_6TensorESD_SD_EERKSD_lbbbEUlllE1_EE10hipError_tPvRmT2_T3_mT4_P12ihipStream_tbEUlT_E_NS1_11comp_targetILNS1_3genE0ELNS1_11target_archE4294967295ELNS1_3gpuE0ELNS1_3repE0EEENS1_30default_config_static_selectorELNS0_4arch9wavefront6targetE0EEEvT1_ ; -- Begin function _ZN7rocprim17ROCPRIM_400000_NS6detail17trampoline_kernelINS0_14default_configENS1_35adjacent_difference_config_selectorILb0ElEEZNS1_24adjacent_difference_implIS3_Lb0ELb0EPlS7_ZN2at6native12_GLOBAL__N_124unique_dim_cuda_templateIaEESt5tupleIJNS8_6TensorESD_SD_EERKSD_lbbbEUlllE1_EE10hipError_tPvRmT2_T3_mT4_P12ihipStream_tbEUlT_E_NS1_11comp_targetILNS1_3genE0ELNS1_11target_archE4294967295ELNS1_3gpuE0ELNS1_3repE0EEENS1_30default_config_static_selectorELNS0_4arch9wavefront6targetE0EEEvT1_
	.p2align	8
	.type	_ZN7rocprim17ROCPRIM_400000_NS6detail17trampoline_kernelINS0_14default_configENS1_35adjacent_difference_config_selectorILb0ElEEZNS1_24adjacent_difference_implIS3_Lb0ELb0EPlS7_ZN2at6native12_GLOBAL__N_124unique_dim_cuda_templateIaEESt5tupleIJNS8_6TensorESD_SD_EERKSD_lbbbEUlllE1_EE10hipError_tPvRmT2_T3_mT4_P12ihipStream_tbEUlT_E_NS1_11comp_targetILNS1_3genE0ELNS1_11target_archE4294967295ELNS1_3gpuE0ELNS1_3repE0EEENS1_30default_config_static_selectorELNS0_4arch9wavefront6targetE0EEEvT1_,@function
_ZN7rocprim17ROCPRIM_400000_NS6detail17trampoline_kernelINS0_14default_configENS1_35adjacent_difference_config_selectorILb0ElEEZNS1_24adjacent_difference_implIS3_Lb0ELb0EPlS7_ZN2at6native12_GLOBAL__N_124unique_dim_cuda_templateIaEESt5tupleIJNS8_6TensorESD_SD_EERKSD_lbbbEUlllE1_EE10hipError_tPvRmT2_T3_mT4_P12ihipStream_tbEUlT_E_NS1_11comp_targetILNS1_3genE0ELNS1_11target_archE4294967295ELNS1_3gpuE0ELNS1_3repE0EEENS1_30default_config_static_selectorELNS0_4arch9wavefront6targetE0EEEvT1_: ; @_ZN7rocprim17ROCPRIM_400000_NS6detail17trampoline_kernelINS0_14default_configENS1_35adjacent_difference_config_selectorILb0ElEEZNS1_24adjacent_difference_implIS3_Lb0ELb0EPlS7_ZN2at6native12_GLOBAL__N_124unique_dim_cuda_templateIaEESt5tupleIJNS8_6TensorESD_SD_EERKSD_lbbbEUlllE1_EE10hipError_tPvRmT2_T3_mT4_P12ihipStream_tbEUlT_E_NS1_11comp_targetILNS1_3genE0ELNS1_11target_archE4294967295ELNS1_3gpuE0ELNS1_3repE0EEENS1_30default_config_static_selectorELNS0_4arch9wavefront6targetE0EEEvT1_
; %bb.0:
	s_load_b256 s[4:11], s[0:1], 0x0
	s_bfe_u32 s2, ttmp6, 0x4000c
	s_and_b32 s3, ttmp6, 15
	s_add_co_i32 s2, s2, 1
	s_getreg_b32 s12, hwreg(HW_REG_IB_STS2, 6, 4)
	s_mul_i32 s2, ttmp9, s2
	s_load_b64 s[16:17], s[0:1], 0x38
	s_add_co_i32 s3, s3, s2
	s_mov_b32 s23, 0
	s_delay_alu instid0(SALU_CYCLE_1)
	s_mov_b32 s19, s23
	s_wait_kmcnt 0x0
	s_lshl_b64 s[6:7], s[6:7], 3
	s_cmp_eq_u32 s12, 0
	s_add_nc_u64 s[4:5], s[4:5], s[6:7]
	s_cselect_b32 s18, ttmp9, s3
	s_and_b64 s[12:13], s[10:11], 0x7f
	s_lshr_b64 s[20:21], s[10:11], 7
	s_lshl_b32 s2, s18, 7
	s_cmp_lg_u64 s[12:13], 0
	s_load_b128 s[12:15], s[0:1], 0x20
	s_cselect_b32 s3, -1, 0
	s_add_nc_u64 s[18:19], s[16:17], s[18:19]
	v_cndmask_b32_e64 v1, 0, 1, s3
	s_delay_alu instid0(VALU_DEP_1) | instskip(SKIP_2) | instid1(SALU_CYCLE_1)
	v_readfirstlane_b32 s22, v1
	s_wait_xcnt 0x0
	s_add_nc_u64 s[0:1], s[20:21], s[22:23]
	s_add_nc_u64 s[16:17], s[0:1], -1
	s_delay_alu instid0(SALU_CYCLE_1)
	v_cmp_ge_u64_e64 s11, s[18:19], s[16:17]
	s_and_b32 vcc_lo, exec_lo, s11
	s_cbranch_vccz .LBB294_4
; %bb.1:
	s_lshl_b32 s3, s16, 7
	s_mov_b32 s20, exec_lo
	s_sub_co_i32 s3, s10, s3
                                        ; implicit-def: $vgpr2_vgpr3
	s_delay_alu instid0(SALU_CYCLE_1)
	v_cmpx_gt_u32_e64 s3, v0
	s_cbranch_execz .LBB294_3
; %bb.2:
	s_mov_b32 s3, 0
	s_delay_alu instid0(SALU_CYCLE_1) | instskip(NEXT) | instid1(SALU_CYCLE_1)
	s_lshl_b64 s[22:23], s[2:3], 3
	s_add_nc_u64 s[22:23], s[4:5], s[22:23]
	global_load_b64 v[2:3], v0, s[22:23] scale_offset
.LBB294_3:
	s_wait_xcnt 0x0
	s_or_b32 exec_lo, exec_lo, s20
	v_lshlrev_b32_e32 v1, 3, v0
	s_wait_loadcnt 0x0
	ds_store_b64 v1, v[2:3]
	s_wait_dscnt 0x0
	s_barrier_signal -1
	s_barrier_wait -1
	s_branch .LBB294_6
.LBB294_4:
                                        ; implicit-def: $vgpr1
	s_cbranch_execz .LBB294_6
; %bb.5:
	s_mov_b32 s3, 0
	v_lshlrev_b32_e32 v1, 3, v0
	s_lshl_b64 s[20:21], s[2:3], 3
	s_delay_alu instid0(SALU_CYCLE_1)
	s_add_nc_u64 s[20:21], s[4:5], s[20:21]
	global_load_b64 v[2:3], v0, s[20:21] scale_offset
	s_wait_loadcnt 0x0
	ds_store_b64 v1, v[2:3]
	s_wait_dscnt 0x0
	s_barrier_signal -1
	s_barrier_wait -1
.LBB294_6:
	ds_load_b64 v[2:3], v1
	s_cmp_eq_u64 s[18:19], 0
	s_wait_dscnt 0x0
	s_barrier_signal -1
	s_barrier_wait -1
	s_cbranch_scc1 .LBB294_15
; %bb.7:
	s_mov_b32 s3, 0
	s_delay_alu instid0(SALU_CYCLE_1) | instskip(SKIP_2) | instid1(SALU_CYCLE_1)
	s_lshl_b64 s[20:21], s[2:3], 3
	s_cmp_eq_u64 s[18:19], s[16:17]
	s_add_nc_u64 s[4:5], s[4:5], s[20:21]
	s_add_nc_u64 s[4:5], s[4:5], -8
	s_load_b64 s[4:5], s[4:5], 0x0
	s_cbranch_scc1 .LBB294_16
; %bb.8:
	s_wait_kmcnt 0x0
	v_mov_b64_e32 v[4:5], s[4:5]
	v_lshlrev_b32_e32 v1, 3, v0
	s_mov_b32 s3, exec_lo
	ds_store_b64 v1, v[2:3]
	s_wait_dscnt 0x0
	s_barrier_signal -1
	s_barrier_wait -1
	v_cmpx_ne_u32_e32 0, v0
; %bb.9:
	v_add_nc_u32_e32 v1, -8, v1
	ds_load_b64 v[4:5], v1
; %bb.10:
	s_or_b32 exec_lo, exec_lo, s3
	v_cmp_lt_i64_e64 s3, s[12:13], 1
	s_and_b32 vcc_lo, exec_lo, s3
	s_cbranch_vccnz .LBB294_18
; %bb.11:
	v_mad_nc_u64_u32 v[6:7], v2, s12, s[14:15]
	s_wait_dscnt 0x0
	v_mad_nc_u64_u32 v[8:9], v4, s12, s[14:15]
	s_mov_b32 s3, 0
	s_mov_b64 s[20:21], s[12:13]
                                        ; implicit-def: $sgpr17
	s_delay_alu instid0(VALU_DEP_2) | instskip(NEXT) | instid1(VALU_DEP_2)
	v_mad_u32 v1, v3, s12, v7
	v_mad_u32 v5, v5, s12, v9
	s_delay_alu instid0(VALU_DEP_2) | instskip(NEXT) | instid1(VALU_DEP_2)
	v_mad_u32 v7, v2, s13, v1
	v_mad_u32 v9, v4, s13, v5
	s_branch .LBB294_13
.LBB294_12:                             ;   in Loop: Header=BB294_13 Depth=1
	s_or_b32 exec_lo, exec_lo, s19
	s_delay_alu instid0(SALU_CYCLE_1) | instskip(NEXT) | instid1(SALU_CYCLE_1)
	s_and_b32 s19, exec_lo, s17
	s_or_b32 s3, s19, s3
	s_delay_alu instid0(SALU_CYCLE_1)
	s_and_not1_b32 exec_lo, exec_lo, s3
	s_cbranch_execz .LBB294_17
.LBB294_13:                             ; =>This Inner Loop Header: Depth=1
	global_load_u8 v1, v[6:7], off
	global_load_u8 v10, v[8:9], off
	v_mov_b64_e32 v[4:5], 1
	s_or_b32 s17, s17, exec_lo
	s_mov_b32 s19, exec_lo
	s_wait_loadcnt 0x0
	v_cmpx_eq_u16_e64 v1, v10
	s_cbranch_execz .LBB294_12
; %bb.14:                               ;   in Loop: Header=BB294_13 Depth=1
	s_add_nc_u64 s[20:21], s[20:21], -1
	v_add_nc_u64_e32 v[6:7], 1, v[6:7]
	s_cmp_eq_u64 s[20:21], 0
	v_add_nc_u64_e32 v[8:9], 1, v[8:9]
	v_mov_b64_e32 v[4:5], 0
	s_cselect_b32 s22, -1, 0
	s_and_not1_b32 s17, s17, exec_lo
	s_and_b32 s22, s22, exec_lo
	s_delay_alu instid0(SALU_CYCLE_1)
	s_or_b32 s17, s17, s22
	s_branch .LBB294_12
.LBB294_15:
                                        ; implicit-def: $vgpr4_vgpr5
	s_branch .LBB294_31
.LBB294_16:
                                        ; implicit-def: $vgpr4_vgpr5
	s_cbranch_execnz .LBB294_19
	s_branch .LBB294_30
.LBB294_17:
	s_or_b32 exec_lo, exec_lo, s3
	s_branch .LBB294_30
.LBB294_18:
	s_wait_dscnt 0x0
	v_mov_b64_e32 v[4:5], 0
	s_branch .LBB294_30
.LBB294_19:
	s_wait_kmcnt 0x0
	v_mov_b64_e32 v[10:11], s[4:5]
	v_lshlrev_b32_e32 v1, 3, v0
	s_mov_b32 s3, exec_lo
	ds_store_b64 v1, v[2:3]
	s_wait_dscnt 0x0
	s_barrier_signal -1
	s_barrier_wait -1
	v_cmpx_ne_u32_e32 0, v0
; %bb.20:
	v_add_nc_u32_e32 v1, -8, v1
	ds_load_b64 v[10:11], v1
; %bb.21:
	s_or_b32 exec_lo, exec_lo, s3
	s_lshl_b32 s3, s18, 7
	v_mov_b64_e32 v[4:5], v[2:3]
	s_sub_co_i32 s3, s10, s3
	s_delay_alu instid0(SALU_CYCLE_1)
	v_cmp_gt_u32_e32 vcc_lo, s3, v0
	s_and_saveexec_b32 s3, vcc_lo
	s_cbranch_execz .LBB294_29
; %bb.22:
	v_cmp_lt_i64_e64 s4, s[12:13], 1
	s_and_b32 vcc_lo, exec_lo, s4
	s_cbranch_vccnz .LBB294_28
; %bb.23:
	v_mad_nc_u64_u32 v[6:7], v2, s12, s[14:15]
	s_wait_dscnt 0x0
	v_mad_nc_u64_u32 v[8:9], v10, s12, s[14:15]
	s_mov_b32 s17, 0
	s_mov_b64 s[4:5], s[12:13]
                                        ; implicit-def: $sgpr18
	s_delay_alu instid0(VALU_DEP_2) | instskip(NEXT) | instid1(VALU_DEP_2)
	v_mad_u32 v1, v3, s12, v7
	v_mad_u32 v4, v11, s12, v9
	s_delay_alu instid0(VALU_DEP_2) | instskip(NEXT) | instid1(VALU_DEP_2)
	v_mad_u32 v7, v2, s13, v1
	v_mad_u32 v9, v10, s13, v4
	s_branch .LBB294_25
.LBB294_24:                             ;   in Loop: Header=BB294_25 Depth=1
	s_or_b32 exec_lo, exec_lo, s19
	s_delay_alu instid0(SALU_CYCLE_1) | instskip(NEXT) | instid1(SALU_CYCLE_1)
	s_and_b32 s19, exec_lo, s18
	s_or_b32 s17, s19, s17
	s_delay_alu instid0(SALU_CYCLE_1)
	s_and_not1_b32 exec_lo, exec_lo, s17
	s_cbranch_execz .LBB294_27
.LBB294_25:                             ; =>This Inner Loop Header: Depth=1
	global_load_u8 v1, v[6:7], off
	global_load_u8 v10, v[8:9], off
	v_mov_b64_e32 v[4:5], 1
	s_or_b32 s18, s18, exec_lo
	s_mov_b32 s19, exec_lo
	s_wait_loadcnt 0x0
	v_cmpx_eq_u16_e64 v1, v10
	s_cbranch_execz .LBB294_24
; %bb.26:                               ;   in Loop: Header=BB294_25 Depth=1
	s_add_nc_u64 s[4:5], s[4:5], -1
	v_add_nc_u64_e32 v[6:7], 1, v[6:7]
	s_cmp_eq_u64 s[4:5], 0
	v_add_nc_u64_e32 v[8:9], 1, v[8:9]
	v_mov_b64_e32 v[4:5], 0
	s_cselect_b32 s20, -1, 0
	s_and_not1_b32 s18, s18, exec_lo
	s_and_b32 s20, s20, exec_lo
	s_delay_alu instid0(SALU_CYCLE_1)
	s_or_b32 s18, s18, s20
	s_branch .LBB294_24
.LBB294_27:
	s_or_b32 exec_lo, exec_lo, s17
	s_branch .LBB294_29
.LBB294_28:
	v_mov_b64_e32 v[4:5], 0
.LBB294_29:
	s_or_b32 exec_lo, exec_lo, s3
.LBB294_30:
	s_cbranch_execnz .LBB294_51
.LBB294_31:
	s_cmp_eq_u64 s[0:1], 1
	v_cmp_ne_u32_e32 vcc_lo, 0, v0
	s_cbranch_scc1 .LBB294_38
; %bb.32:
	v_mov_b64_e32 v[4:5], v[2:3]
	v_lshlrev_b32_e32 v1, 3, v0
	s_mov_b32 s3, 0
	ds_store_b64 v1, v[2:3]
	s_wait_dscnt 0x0
	s_barrier_signal -1
	s_barrier_wait -1
	s_wait_kmcnt 0x0
	s_and_saveexec_b32 s4, vcc_lo
	s_cbranch_execz .LBB294_40
; %bb.33:
	v_cmp_lt_i64_e64 s0, s[12:13], 1
	s_and_b32 vcc_lo, exec_lo, s0
	s_cbranch_vccnz .LBB294_48
; %bb.34:
	v_add_nc_u32_e32 v1, -8, v1
	v_mad_nc_u64_u32 v[6:7], v2, s12, s[14:15]
	s_mov_b32 s5, 0
	s_mov_b64 s[0:1], s[12:13]
                                        ; implicit-def: $sgpr17
	ds_load_b64 v[4:5], v1
	v_mad_u32 v1, v3, s12, v7
	s_delay_alu instid0(VALU_DEP_1) | instskip(SKIP_2) | instid1(VALU_DEP_1)
	v_mad_u32 v7, v2, s13, v1
	s_wait_dscnt 0x0
	v_mad_nc_u64_u32 v[8:9], v4, s12, s[14:15]
	v_mad_u32 v5, v5, s12, v9
	s_delay_alu instid0(VALU_DEP_1)
	v_mad_u32 v9, v4, s13, v5
	s_branch .LBB294_36
.LBB294_35:                             ;   in Loop: Header=BB294_36 Depth=1
	s_or_b32 exec_lo, exec_lo, s18
	s_delay_alu instid0(SALU_CYCLE_1) | instskip(NEXT) | instid1(SALU_CYCLE_1)
	s_and_b32 s18, exec_lo, s17
	s_or_b32 s5, s18, s5
	s_delay_alu instid0(SALU_CYCLE_1)
	s_and_not1_b32 exec_lo, exec_lo, s5
	s_cbranch_execz .LBB294_39
.LBB294_36:                             ; =>This Inner Loop Header: Depth=1
	global_load_u8 v1, v[6:7], off
	global_load_u8 v10, v[8:9], off
	v_mov_b64_e32 v[4:5], 1
	s_or_b32 s17, s17, exec_lo
	s_mov_b32 s18, exec_lo
	s_wait_loadcnt 0x0
	v_cmpx_eq_u16_e64 v1, v10
	s_cbranch_execz .LBB294_35
; %bb.37:                               ;   in Loop: Header=BB294_36 Depth=1
	s_add_nc_u64 s[0:1], s[0:1], -1
	v_add_nc_u64_e32 v[6:7], 1, v[6:7]
	s_cmp_eq_u64 s[0:1], 0
	v_add_nc_u64_e32 v[8:9], 1, v[8:9]
	v_mov_b64_e32 v[4:5], 0
	s_cselect_b32 s19, -1, 0
	s_and_not1_b32 s17, s17, exec_lo
	s_and_b32 s19, s19, exec_lo
	s_delay_alu instid0(SALU_CYCLE_1)
	s_or_b32 s17, s17, s19
	s_branch .LBB294_35
.LBB294_38:
                                        ; implicit-def: $vgpr4_vgpr5
	s_branch .LBB294_41
.LBB294_39:
	s_or_b32 exec_lo, exec_lo, s5
.LBB294_40:
	s_delay_alu instid0(SALU_CYCLE_1) | instskip(NEXT) | instid1(SALU_CYCLE_1)
	s_or_b32 exec_lo, exec_lo, s4
	s_and_not1_b32 vcc_lo, exec_lo, s3
	s_cbranch_vccnz .LBB294_51
.LBB294_41:
	v_cmp_ne_u32_e32 vcc_lo, 0, v0
	v_cmp_gt_u32_e64 s0, s10, v0
	v_lshlrev_b32_e32 v1, 3, v0
	s_and_b32 s1, vcc_lo, s0
	ds_store_b64 v1, v[2:3]
	s_wait_dscnt 0x0
	s_barrier_signal -1
	s_barrier_wait -1
	s_and_saveexec_b32 s0, s1
	s_cbranch_execz .LBB294_50
; %bb.42:
	s_wait_kmcnt 0x0
	v_cmp_lt_i64_e64 s1, s[12:13], 1
	s_and_b32 vcc_lo, exec_lo, s1
	s_cbranch_vccnz .LBB294_49
; %bb.43:
	v_add_nc_u32_e32 v1, -8, v1
	v_mad_nc_u64_u32 v[4:5], v2, s12, s[14:15]
	s_mov_b32 s1, 0
                                        ; implicit-def: $sgpr3
	ds_load_b64 v[8:9], v1
	v_mad_u32 v1, v3, s12, v5
	s_delay_alu instid0(VALU_DEP_1) | instskip(SKIP_2) | instid1(VALU_DEP_1)
	v_mad_u32 v5, v2, s13, v1
	s_wait_dscnt 0x0
	v_mad_nc_u64_u32 v[6:7], v8, s12, s[14:15]
	v_mad_u32 v3, v9, s12, v7
	s_delay_alu instid0(VALU_DEP_1)
	v_mad_u32 v7, v8, s13, v3
	s_branch .LBB294_45
.LBB294_44:                             ;   in Loop: Header=BB294_45 Depth=1
	s_or_b32 exec_lo, exec_lo, s4
	s_delay_alu instid0(SALU_CYCLE_1) | instskip(NEXT) | instid1(SALU_CYCLE_1)
	s_and_b32 s4, exec_lo, s3
	s_or_b32 s1, s4, s1
	s_delay_alu instid0(SALU_CYCLE_1)
	s_and_not1_b32 exec_lo, exec_lo, s1
	s_cbranch_execz .LBB294_47
.LBB294_45:                             ; =>This Inner Loop Header: Depth=1
	global_load_u8 v1, v[4:5], off
	global_load_u8 v8, v[6:7], off
	v_mov_b64_e32 v[2:3], 1
	s_or_b32 s3, s3, exec_lo
	s_mov_b32 s4, exec_lo
	s_wait_loadcnt 0x0
	v_cmpx_eq_u16_e64 v1, v8
	s_cbranch_execz .LBB294_44
; %bb.46:                               ;   in Loop: Header=BB294_45 Depth=1
	s_add_nc_u64 s[12:13], s[12:13], -1
	v_add_nc_u64_e32 v[4:5], 1, v[4:5]
	s_cmp_eq_u64 s[12:13], 0
	v_add_nc_u64_e32 v[6:7], 1, v[6:7]
	v_mov_b64_e32 v[2:3], 0
	s_cselect_b32 s5, -1, 0
	s_and_not1_b32 s3, s3, exec_lo
	s_and_b32 s5, s5, exec_lo
	s_delay_alu instid0(SALU_CYCLE_1)
	s_or_b32 s3, s3, s5
	s_branch .LBB294_44
.LBB294_47:
	s_or_b32 exec_lo, exec_lo, s1
	s_branch .LBB294_50
.LBB294_48:
	v_mov_b64_e32 v[4:5], 0
	s_or_b32 exec_lo, exec_lo, s4
	s_delay_alu instid0(SALU_CYCLE_1)
	s_and_not1_b32 vcc_lo, exec_lo, s3
	s_cbranch_vccz .LBB294_41
	s_branch .LBB294_51
.LBB294_49:
	v_mov_b64_e32 v[2:3], 0
.LBB294_50:
	s_or_b32 exec_lo, exec_lo, s0
	s_delay_alu instid0(VALU_DEP_1)
	v_mov_b64_e32 v[4:5], v[2:3]
.LBB294_51:
	s_add_nc_u64 s[0:1], s[8:9], s[6:7]
	s_and_b32 vcc_lo, exec_lo, s11
	s_mov_b32 s3, -1
	s_wait_dscnt 0x0
	s_barrier_signal -1
	s_barrier_wait -1
	s_cbranch_vccnz .LBB294_54
; %bb.52:
	s_and_not1_b32 vcc_lo, exec_lo, s3
	s_cbranch_vccz .LBB294_57
.LBB294_53:
	s_endpgm
.LBB294_54:
	v_lshlrev_b32_e32 v1, 3, v0
	s_lshl_b32 s3, s16, 7
	s_wait_kmcnt 0x0
	s_mov_b32 s4, exec_lo
	s_sub_co_i32 s3, s10, s3
	ds_store_b64 v1, v[4:5]
	s_wait_dscnt 0x0
	s_barrier_signal -1
	s_barrier_wait -1
	v_cmpx_gt_u32_e64 s3, v0
	s_cbranch_execz .LBB294_56
; %bb.55:
	ds_load_b64 v[2:3], v1
	s_mov_b32 s3, 0
	s_delay_alu instid0(SALU_CYCLE_1) | instskip(NEXT) | instid1(SALU_CYCLE_1)
	s_lshl_b64 s[6:7], s[2:3], 3
	s_add_nc_u64 s[6:7], s[0:1], s[6:7]
	s_wait_dscnt 0x0
	global_store_b64 v0, v[2:3], s[6:7] scale_offset
.LBB294_56:
	s_wait_xcnt 0x0
	s_or_b32 exec_lo, exec_lo, s4
	s_cbranch_execnz .LBB294_53
.LBB294_57:
	v_lshlrev_b32_e32 v1, 3, v0
	s_mov_b32 s3, 0
	s_delay_alu instid0(SALU_CYCLE_1) | instskip(NEXT) | instid1(SALU_CYCLE_1)
	s_lshl_b64 s[2:3], s[2:3], 3
	s_add_nc_u64 s[0:1], s[0:1], s[2:3]
	ds_store_b64 v1, v[4:5]
	s_wait_storecnt_dscnt 0x0
	s_barrier_signal -1
	s_barrier_wait -1
	ds_load_b64 v[2:3], v1
	s_wait_dscnt 0x0
	global_store_b64 v0, v[2:3], s[0:1] scale_offset
	s_endpgm
	.section	.rodata,"a",@progbits
	.p2align	6, 0x0
	.amdhsa_kernel _ZN7rocprim17ROCPRIM_400000_NS6detail17trampoline_kernelINS0_14default_configENS1_35adjacent_difference_config_selectorILb0ElEEZNS1_24adjacent_difference_implIS3_Lb0ELb0EPlS7_ZN2at6native12_GLOBAL__N_124unique_dim_cuda_templateIaEESt5tupleIJNS8_6TensorESD_SD_EERKSD_lbbbEUlllE1_EE10hipError_tPvRmT2_T3_mT4_P12ihipStream_tbEUlT_E_NS1_11comp_targetILNS1_3genE0ELNS1_11target_archE4294967295ELNS1_3gpuE0ELNS1_3repE0EEENS1_30default_config_static_selectorELNS0_4arch9wavefront6targetE0EEEvT1_
		.amdhsa_group_segment_fixed_size 2048
		.amdhsa_private_segment_fixed_size 0
		.amdhsa_kernarg_size 64
		.amdhsa_user_sgpr_count 2
		.amdhsa_user_sgpr_dispatch_ptr 0
		.amdhsa_user_sgpr_queue_ptr 0
		.amdhsa_user_sgpr_kernarg_segment_ptr 1
		.amdhsa_user_sgpr_dispatch_id 0
		.amdhsa_user_sgpr_kernarg_preload_length 0
		.amdhsa_user_sgpr_kernarg_preload_offset 0
		.amdhsa_user_sgpr_private_segment_size 0
		.amdhsa_wavefront_size32 1
		.amdhsa_uses_dynamic_stack 0
		.amdhsa_enable_private_segment 0
		.amdhsa_system_sgpr_workgroup_id_x 1
		.amdhsa_system_sgpr_workgroup_id_y 0
		.amdhsa_system_sgpr_workgroup_id_z 0
		.amdhsa_system_sgpr_workgroup_info 0
		.amdhsa_system_vgpr_workitem_id 0
		.amdhsa_next_free_vgpr 12
		.amdhsa_next_free_sgpr 24
		.amdhsa_named_barrier_count 0
		.amdhsa_reserve_vcc 1
		.amdhsa_float_round_mode_32 0
		.amdhsa_float_round_mode_16_64 0
		.amdhsa_float_denorm_mode_32 3
		.amdhsa_float_denorm_mode_16_64 3
		.amdhsa_fp16_overflow 0
		.amdhsa_memory_ordered 1
		.amdhsa_forward_progress 1
		.amdhsa_inst_pref_size 15
		.amdhsa_round_robin_scheduling 0
		.amdhsa_exception_fp_ieee_invalid_op 0
		.amdhsa_exception_fp_denorm_src 0
		.amdhsa_exception_fp_ieee_div_zero 0
		.amdhsa_exception_fp_ieee_overflow 0
		.amdhsa_exception_fp_ieee_underflow 0
		.amdhsa_exception_fp_ieee_inexact 0
		.amdhsa_exception_int_div_zero 0
	.end_amdhsa_kernel
	.section	.text._ZN7rocprim17ROCPRIM_400000_NS6detail17trampoline_kernelINS0_14default_configENS1_35adjacent_difference_config_selectorILb0ElEEZNS1_24adjacent_difference_implIS3_Lb0ELb0EPlS7_ZN2at6native12_GLOBAL__N_124unique_dim_cuda_templateIaEESt5tupleIJNS8_6TensorESD_SD_EERKSD_lbbbEUlllE1_EE10hipError_tPvRmT2_T3_mT4_P12ihipStream_tbEUlT_E_NS1_11comp_targetILNS1_3genE0ELNS1_11target_archE4294967295ELNS1_3gpuE0ELNS1_3repE0EEENS1_30default_config_static_selectorELNS0_4arch9wavefront6targetE0EEEvT1_,"axG",@progbits,_ZN7rocprim17ROCPRIM_400000_NS6detail17trampoline_kernelINS0_14default_configENS1_35adjacent_difference_config_selectorILb0ElEEZNS1_24adjacent_difference_implIS3_Lb0ELb0EPlS7_ZN2at6native12_GLOBAL__N_124unique_dim_cuda_templateIaEESt5tupleIJNS8_6TensorESD_SD_EERKSD_lbbbEUlllE1_EE10hipError_tPvRmT2_T3_mT4_P12ihipStream_tbEUlT_E_NS1_11comp_targetILNS1_3genE0ELNS1_11target_archE4294967295ELNS1_3gpuE0ELNS1_3repE0EEENS1_30default_config_static_selectorELNS0_4arch9wavefront6targetE0EEEvT1_,comdat
.Lfunc_end294:
	.size	_ZN7rocprim17ROCPRIM_400000_NS6detail17trampoline_kernelINS0_14default_configENS1_35adjacent_difference_config_selectorILb0ElEEZNS1_24adjacent_difference_implIS3_Lb0ELb0EPlS7_ZN2at6native12_GLOBAL__N_124unique_dim_cuda_templateIaEESt5tupleIJNS8_6TensorESD_SD_EERKSD_lbbbEUlllE1_EE10hipError_tPvRmT2_T3_mT4_P12ihipStream_tbEUlT_E_NS1_11comp_targetILNS1_3genE0ELNS1_11target_archE4294967295ELNS1_3gpuE0ELNS1_3repE0EEENS1_30default_config_static_selectorELNS0_4arch9wavefront6targetE0EEEvT1_, .Lfunc_end294-_ZN7rocprim17ROCPRIM_400000_NS6detail17trampoline_kernelINS0_14default_configENS1_35adjacent_difference_config_selectorILb0ElEEZNS1_24adjacent_difference_implIS3_Lb0ELb0EPlS7_ZN2at6native12_GLOBAL__N_124unique_dim_cuda_templateIaEESt5tupleIJNS8_6TensorESD_SD_EERKSD_lbbbEUlllE1_EE10hipError_tPvRmT2_T3_mT4_P12ihipStream_tbEUlT_E_NS1_11comp_targetILNS1_3genE0ELNS1_11target_archE4294967295ELNS1_3gpuE0ELNS1_3repE0EEENS1_30default_config_static_selectorELNS0_4arch9wavefront6targetE0EEEvT1_
                                        ; -- End function
	.set _ZN7rocprim17ROCPRIM_400000_NS6detail17trampoline_kernelINS0_14default_configENS1_35adjacent_difference_config_selectorILb0ElEEZNS1_24adjacent_difference_implIS3_Lb0ELb0EPlS7_ZN2at6native12_GLOBAL__N_124unique_dim_cuda_templateIaEESt5tupleIJNS8_6TensorESD_SD_EERKSD_lbbbEUlllE1_EE10hipError_tPvRmT2_T3_mT4_P12ihipStream_tbEUlT_E_NS1_11comp_targetILNS1_3genE0ELNS1_11target_archE4294967295ELNS1_3gpuE0ELNS1_3repE0EEENS1_30default_config_static_selectorELNS0_4arch9wavefront6targetE0EEEvT1_.num_vgpr, 12
	.set _ZN7rocprim17ROCPRIM_400000_NS6detail17trampoline_kernelINS0_14default_configENS1_35adjacent_difference_config_selectorILb0ElEEZNS1_24adjacent_difference_implIS3_Lb0ELb0EPlS7_ZN2at6native12_GLOBAL__N_124unique_dim_cuda_templateIaEESt5tupleIJNS8_6TensorESD_SD_EERKSD_lbbbEUlllE1_EE10hipError_tPvRmT2_T3_mT4_P12ihipStream_tbEUlT_E_NS1_11comp_targetILNS1_3genE0ELNS1_11target_archE4294967295ELNS1_3gpuE0ELNS1_3repE0EEENS1_30default_config_static_selectorELNS0_4arch9wavefront6targetE0EEEvT1_.num_agpr, 0
	.set _ZN7rocprim17ROCPRIM_400000_NS6detail17trampoline_kernelINS0_14default_configENS1_35adjacent_difference_config_selectorILb0ElEEZNS1_24adjacent_difference_implIS3_Lb0ELb0EPlS7_ZN2at6native12_GLOBAL__N_124unique_dim_cuda_templateIaEESt5tupleIJNS8_6TensorESD_SD_EERKSD_lbbbEUlllE1_EE10hipError_tPvRmT2_T3_mT4_P12ihipStream_tbEUlT_E_NS1_11comp_targetILNS1_3genE0ELNS1_11target_archE4294967295ELNS1_3gpuE0ELNS1_3repE0EEENS1_30default_config_static_selectorELNS0_4arch9wavefront6targetE0EEEvT1_.numbered_sgpr, 24
	.set _ZN7rocprim17ROCPRIM_400000_NS6detail17trampoline_kernelINS0_14default_configENS1_35adjacent_difference_config_selectorILb0ElEEZNS1_24adjacent_difference_implIS3_Lb0ELb0EPlS7_ZN2at6native12_GLOBAL__N_124unique_dim_cuda_templateIaEESt5tupleIJNS8_6TensorESD_SD_EERKSD_lbbbEUlllE1_EE10hipError_tPvRmT2_T3_mT4_P12ihipStream_tbEUlT_E_NS1_11comp_targetILNS1_3genE0ELNS1_11target_archE4294967295ELNS1_3gpuE0ELNS1_3repE0EEENS1_30default_config_static_selectorELNS0_4arch9wavefront6targetE0EEEvT1_.num_named_barrier, 0
	.set _ZN7rocprim17ROCPRIM_400000_NS6detail17trampoline_kernelINS0_14default_configENS1_35adjacent_difference_config_selectorILb0ElEEZNS1_24adjacent_difference_implIS3_Lb0ELb0EPlS7_ZN2at6native12_GLOBAL__N_124unique_dim_cuda_templateIaEESt5tupleIJNS8_6TensorESD_SD_EERKSD_lbbbEUlllE1_EE10hipError_tPvRmT2_T3_mT4_P12ihipStream_tbEUlT_E_NS1_11comp_targetILNS1_3genE0ELNS1_11target_archE4294967295ELNS1_3gpuE0ELNS1_3repE0EEENS1_30default_config_static_selectorELNS0_4arch9wavefront6targetE0EEEvT1_.private_seg_size, 0
	.set _ZN7rocprim17ROCPRIM_400000_NS6detail17trampoline_kernelINS0_14default_configENS1_35adjacent_difference_config_selectorILb0ElEEZNS1_24adjacent_difference_implIS3_Lb0ELb0EPlS7_ZN2at6native12_GLOBAL__N_124unique_dim_cuda_templateIaEESt5tupleIJNS8_6TensorESD_SD_EERKSD_lbbbEUlllE1_EE10hipError_tPvRmT2_T3_mT4_P12ihipStream_tbEUlT_E_NS1_11comp_targetILNS1_3genE0ELNS1_11target_archE4294967295ELNS1_3gpuE0ELNS1_3repE0EEENS1_30default_config_static_selectorELNS0_4arch9wavefront6targetE0EEEvT1_.uses_vcc, 1
	.set _ZN7rocprim17ROCPRIM_400000_NS6detail17trampoline_kernelINS0_14default_configENS1_35adjacent_difference_config_selectorILb0ElEEZNS1_24adjacent_difference_implIS3_Lb0ELb0EPlS7_ZN2at6native12_GLOBAL__N_124unique_dim_cuda_templateIaEESt5tupleIJNS8_6TensorESD_SD_EERKSD_lbbbEUlllE1_EE10hipError_tPvRmT2_T3_mT4_P12ihipStream_tbEUlT_E_NS1_11comp_targetILNS1_3genE0ELNS1_11target_archE4294967295ELNS1_3gpuE0ELNS1_3repE0EEENS1_30default_config_static_selectorELNS0_4arch9wavefront6targetE0EEEvT1_.uses_flat_scratch, 0
	.set _ZN7rocprim17ROCPRIM_400000_NS6detail17trampoline_kernelINS0_14default_configENS1_35adjacent_difference_config_selectorILb0ElEEZNS1_24adjacent_difference_implIS3_Lb0ELb0EPlS7_ZN2at6native12_GLOBAL__N_124unique_dim_cuda_templateIaEESt5tupleIJNS8_6TensorESD_SD_EERKSD_lbbbEUlllE1_EE10hipError_tPvRmT2_T3_mT4_P12ihipStream_tbEUlT_E_NS1_11comp_targetILNS1_3genE0ELNS1_11target_archE4294967295ELNS1_3gpuE0ELNS1_3repE0EEENS1_30default_config_static_selectorELNS0_4arch9wavefront6targetE0EEEvT1_.has_dyn_sized_stack, 0
	.set _ZN7rocprim17ROCPRIM_400000_NS6detail17trampoline_kernelINS0_14default_configENS1_35adjacent_difference_config_selectorILb0ElEEZNS1_24adjacent_difference_implIS3_Lb0ELb0EPlS7_ZN2at6native12_GLOBAL__N_124unique_dim_cuda_templateIaEESt5tupleIJNS8_6TensorESD_SD_EERKSD_lbbbEUlllE1_EE10hipError_tPvRmT2_T3_mT4_P12ihipStream_tbEUlT_E_NS1_11comp_targetILNS1_3genE0ELNS1_11target_archE4294967295ELNS1_3gpuE0ELNS1_3repE0EEENS1_30default_config_static_selectorELNS0_4arch9wavefront6targetE0EEEvT1_.has_recursion, 0
	.set _ZN7rocprim17ROCPRIM_400000_NS6detail17trampoline_kernelINS0_14default_configENS1_35adjacent_difference_config_selectorILb0ElEEZNS1_24adjacent_difference_implIS3_Lb0ELb0EPlS7_ZN2at6native12_GLOBAL__N_124unique_dim_cuda_templateIaEESt5tupleIJNS8_6TensorESD_SD_EERKSD_lbbbEUlllE1_EE10hipError_tPvRmT2_T3_mT4_P12ihipStream_tbEUlT_E_NS1_11comp_targetILNS1_3genE0ELNS1_11target_archE4294967295ELNS1_3gpuE0ELNS1_3repE0EEENS1_30default_config_static_selectorELNS0_4arch9wavefront6targetE0EEEvT1_.has_indirect_call, 0
	.section	.AMDGPU.csdata,"",@progbits
; Kernel info:
; codeLenInByte = 1832
; TotalNumSgprs: 26
; NumVgprs: 12
; ScratchSize: 0
; MemoryBound: 0
; FloatMode: 240
; IeeeMode: 1
; LDSByteSize: 2048 bytes/workgroup (compile time only)
; SGPRBlocks: 0
; VGPRBlocks: 0
; NumSGPRsForWavesPerEU: 26
; NumVGPRsForWavesPerEU: 12
; NamedBarCnt: 0
; Occupancy: 16
; WaveLimiterHint : 0
; COMPUTE_PGM_RSRC2:SCRATCH_EN: 0
; COMPUTE_PGM_RSRC2:USER_SGPR: 2
; COMPUTE_PGM_RSRC2:TRAP_HANDLER: 0
; COMPUTE_PGM_RSRC2:TGID_X_EN: 1
; COMPUTE_PGM_RSRC2:TGID_Y_EN: 0
; COMPUTE_PGM_RSRC2:TGID_Z_EN: 0
; COMPUTE_PGM_RSRC2:TIDIG_COMP_CNT: 0
	.section	.text._ZN7rocprim17ROCPRIM_400000_NS6detail17trampoline_kernelINS0_14default_configENS1_35adjacent_difference_config_selectorILb0ElEEZNS1_24adjacent_difference_implIS3_Lb0ELb0EPlS7_ZN2at6native12_GLOBAL__N_124unique_dim_cuda_templateIaEESt5tupleIJNS8_6TensorESD_SD_EERKSD_lbbbEUlllE1_EE10hipError_tPvRmT2_T3_mT4_P12ihipStream_tbEUlT_E_NS1_11comp_targetILNS1_3genE10ELNS1_11target_archE1201ELNS1_3gpuE5ELNS1_3repE0EEENS1_30default_config_static_selectorELNS0_4arch9wavefront6targetE0EEEvT1_,"axG",@progbits,_ZN7rocprim17ROCPRIM_400000_NS6detail17trampoline_kernelINS0_14default_configENS1_35adjacent_difference_config_selectorILb0ElEEZNS1_24adjacent_difference_implIS3_Lb0ELb0EPlS7_ZN2at6native12_GLOBAL__N_124unique_dim_cuda_templateIaEESt5tupleIJNS8_6TensorESD_SD_EERKSD_lbbbEUlllE1_EE10hipError_tPvRmT2_T3_mT4_P12ihipStream_tbEUlT_E_NS1_11comp_targetILNS1_3genE10ELNS1_11target_archE1201ELNS1_3gpuE5ELNS1_3repE0EEENS1_30default_config_static_selectorELNS0_4arch9wavefront6targetE0EEEvT1_,comdat
	.globl	_ZN7rocprim17ROCPRIM_400000_NS6detail17trampoline_kernelINS0_14default_configENS1_35adjacent_difference_config_selectorILb0ElEEZNS1_24adjacent_difference_implIS3_Lb0ELb0EPlS7_ZN2at6native12_GLOBAL__N_124unique_dim_cuda_templateIaEESt5tupleIJNS8_6TensorESD_SD_EERKSD_lbbbEUlllE1_EE10hipError_tPvRmT2_T3_mT4_P12ihipStream_tbEUlT_E_NS1_11comp_targetILNS1_3genE10ELNS1_11target_archE1201ELNS1_3gpuE5ELNS1_3repE0EEENS1_30default_config_static_selectorELNS0_4arch9wavefront6targetE0EEEvT1_ ; -- Begin function _ZN7rocprim17ROCPRIM_400000_NS6detail17trampoline_kernelINS0_14default_configENS1_35adjacent_difference_config_selectorILb0ElEEZNS1_24adjacent_difference_implIS3_Lb0ELb0EPlS7_ZN2at6native12_GLOBAL__N_124unique_dim_cuda_templateIaEESt5tupleIJNS8_6TensorESD_SD_EERKSD_lbbbEUlllE1_EE10hipError_tPvRmT2_T3_mT4_P12ihipStream_tbEUlT_E_NS1_11comp_targetILNS1_3genE10ELNS1_11target_archE1201ELNS1_3gpuE5ELNS1_3repE0EEENS1_30default_config_static_selectorELNS0_4arch9wavefront6targetE0EEEvT1_
	.p2align	8
	.type	_ZN7rocprim17ROCPRIM_400000_NS6detail17trampoline_kernelINS0_14default_configENS1_35adjacent_difference_config_selectorILb0ElEEZNS1_24adjacent_difference_implIS3_Lb0ELb0EPlS7_ZN2at6native12_GLOBAL__N_124unique_dim_cuda_templateIaEESt5tupleIJNS8_6TensorESD_SD_EERKSD_lbbbEUlllE1_EE10hipError_tPvRmT2_T3_mT4_P12ihipStream_tbEUlT_E_NS1_11comp_targetILNS1_3genE10ELNS1_11target_archE1201ELNS1_3gpuE5ELNS1_3repE0EEENS1_30default_config_static_selectorELNS0_4arch9wavefront6targetE0EEEvT1_,@function
_ZN7rocprim17ROCPRIM_400000_NS6detail17trampoline_kernelINS0_14default_configENS1_35adjacent_difference_config_selectorILb0ElEEZNS1_24adjacent_difference_implIS3_Lb0ELb0EPlS7_ZN2at6native12_GLOBAL__N_124unique_dim_cuda_templateIaEESt5tupleIJNS8_6TensorESD_SD_EERKSD_lbbbEUlllE1_EE10hipError_tPvRmT2_T3_mT4_P12ihipStream_tbEUlT_E_NS1_11comp_targetILNS1_3genE10ELNS1_11target_archE1201ELNS1_3gpuE5ELNS1_3repE0EEENS1_30default_config_static_selectorELNS0_4arch9wavefront6targetE0EEEvT1_: ; @_ZN7rocprim17ROCPRIM_400000_NS6detail17trampoline_kernelINS0_14default_configENS1_35adjacent_difference_config_selectorILb0ElEEZNS1_24adjacent_difference_implIS3_Lb0ELb0EPlS7_ZN2at6native12_GLOBAL__N_124unique_dim_cuda_templateIaEESt5tupleIJNS8_6TensorESD_SD_EERKSD_lbbbEUlllE1_EE10hipError_tPvRmT2_T3_mT4_P12ihipStream_tbEUlT_E_NS1_11comp_targetILNS1_3genE10ELNS1_11target_archE1201ELNS1_3gpuE5ELNS1_3repE0EEENS1_30default_config_static_selectorELNS0_4arch9wavefront6targetE0EEEvT1_
; %bb.0:
	.section	.rodata,"a",@progbits
	.p2align	6, 0x0
	.amdhsa_kernel _ZN7rocprim17ROCPRIM_400000_NS6detail17trampoline_kernelINS0_14default_configENS1_35adjacent_difference_config_selectorILb0ElEEZNS1_24adjacent_difference_implIS3_Lb0ELb0EPlS7_ZN2at6native12_GLOBAL__N_124unique_dim_cuda_templateIaEESt5tupleIJNS8_6TensorESD_SD_EERKSD_lbbbEUlllE1_EE10hipError_tPvRmT2_T3_mT4_P12ihipStream_tbEUlT_E_NS1_11comp_targetILNS1_3genE10ELNS1_11target_archE1201ELNS1_3gpuE5ELNS1_3repE0EEENS1_30default_config_static_selectorELNS0_4arch9wavefront6targetE0EEEvT1_
		.amdhsa_group_segment_fixed_size 0
		.amdhsa_private_segment_fixed_size 0
		.amdhsa_kernarg_size 64
		.amdhsa_user_sgpr_count 2
		.amdhsa_user_sgpr_dispatch_ptr 0
		.amdhsa_user_sgpr_queue_ptr 0
		.amdhsa_user_sgpr_kernarg_segment_ptr 1
		.amdhsa_user_sgpr_dispatch_id 0
		.amdhsa_user_sgpr_kernarg_preload_length 0
		.amdhsa_user_sgpr_kernarg_preload_offset 0
		.amdhsa_user_sgpr_private_segment_size 0
		.amdhsa_wavefront_size32 1
		.amdhsa_uses_dynamic_stack 0
		.amdhsa_enable_private_segment 0
		.amdhsa_system_sgpr_workgroup_id_x 1
		.amdhsa_system_sgpr_workgroup_id_y 0
		.amdhsa_system_sgpr_workgroup_id_z 0
		.amdhsa_system_sgpr_workgroup_info 0
		.amdhsa_system_vgpr_workitem_id 0
		.amdhsa_next_free_vgpr 1
		.amdhsa_next_free_sgpr 1
		.amdhsa_named_barrier_count 0
		.amdhsa_reserve_vcc 0
		.amdhsa_float_round_mode_32 0
		.amdhsa_float_round_mode_16_64 0
		.amdhsa_float_denorm_mode_32 3
		.amdhsa_float_denorm_mode_16_64 3
		.amdhsa_fp16_overflow 0
		.amdhsa_memory_ordered 1
		.amdhsa_forward_progress 1
		.amdhsa_inst_pref_size 0
		.amdhsa_round_robin_scheduling 0
		.amdhsa_exception_fp_ieee_invalid_op 0
		.amdhsa_exception_fp_denorm_src 0
		.amdhsa_exception_fp_ieee_div_zero 0
		.amdhsa_exception_fp_ieee_overflow 0
		.amdhsa_exception_fp_ieee_underflow 0
		.amdhsa_exception_fp_ieee_inexact 0
		.amdhsa_exception_int_div_zero 0
	.end_amdhsa_kernel
	.section	.text._ZN7rocprim17ROCPRIM_400000_NS6detail17trampoline_kernelINS0_14default_configENS1_35adjacent_difference_config_selectorILb0ElEEZNS1_24adjacent_difference_implIS3_Lb0ELb0EPlS7_ZN2at6native12_GLOBAL__N_124unique_dim_cuda_templateIaEESt5tupleIJNS8_6TensorESD_SD_EERKSD_lbbbEUlllE1_EE10hipError_tPvRmT2_T3_mT4_P12ihipStream_tbEUlT_E_NS1_11comp_targetILNS1_3genE10ELNS1_11target_archE1201ELNS1_3gpuE5ELNS1_3repE0EEENS1_30default_config_static_selectorELNS0_4arch9wavefront6targetE0EEEvT1_,"axG",@progbits,_ZN7rocprim17ROCPRIM_400000_NS6detail17trampoline_kernelINS0_14default_configENS1_35adjacent_difference_config_selectorILb0ElEEZNS1_24adjacent_difference_implIS3_Lb0ELb0EPlS7_ZN2at6native12_GLOBAL__N_124unique_dim_cuda_templateIaEESt5tupleIJNS8_6TensorESD_SD_EERKSD_lbbbEUlllE1_EE10hipError_tPvRmT2_T3_mT4_P12ihipStream_tbEUlT_E_NS1_11comp_targetILNS1_3genE10ELNS1_11target_archE1201ELNS1_3gpuE5ELNS1_3repE0EEENS1_30default_config_static_selectorELNS0_4arch9wavefront6targetE0EEEvT1_,comdat
.Lfunc_end295:
	.size	_ZN7rocprim17ROCPRIM_400000_NS6detail17trampoline_kernelINS0_14default_configENS1_35adjacent_difference_config_selectorILb0ElEEZNS1_24adjacent_difference_implIS3_Lb0ELb0EPlS7_ZN2at6native12_GLOBAL__N_124unique_dim_cuda_templateIaEESt5tupleIJNS8_6TensorESD_SD_EERKSD_lbbbEUlllE1_EE10hipError_tPvRmT2_T3_mT4_P12ihipStream_tbEUlT_E_NS1_11comp_targetILNS1_3genE10ELNS1_11target_archE1201ELNS1_3gpuE5ELNS1_3repE0EEENS1_30default_config_static_selectorELNS0_4arch9wavefront6targetE0EEEvT1_, .Lfunc_end295-_ZN7rocprim17ROCPRIM_400000_NS6detail17trampoline_kernelINS0_14default_configENS1_35adjacent_difference_config_selectorILb0ElEEZNS1_24adjacent_difference_implIS3_Lb0ELb0EPlS7_ZN2at6native12_GLOBAL__N_124unique_dim_cuda_templateIaEESt5tupleIJNS8_6TensorESD_SD_EERKSD_lbbbEUlllE1_EE10hipError_tPvRmT2_T3_mT4_P12ihipStream_tbEUlT_E_NS1_11comp_targetILNS1_3genE10ELNS1_11target_archE1201ELNS1_3gpuE5ELNS1_3repE0EEENS1_30default_config_static_selectorELNS0_4arch9wavefront6targetE0EEEvT1_
                                        ; -- End function
	.set _ZN7rocprim17ROCPRIM_400000_NS6detail17trampoline_kernelINS0_14default_configENS1_35adjacent_difference_config_selectorILb0ElEEZNS1_24adjacent_difference_implIS3_Lb0ELb0EPlS7_ZN2at6native12_GLOBAL__N_124unique_dim_cuda_templateIaEESt5tupleIJNS8_6TensorESD_SD_EERKSD_lbbbEUlllE1_EE10hipError_tPvRmT2_T3_mT4_P12ihipStream_tbEUlT_E_NS1_11comp_targetILNS1_3genE10ELNS1_11target_archE1201ELNS1_3gpuE5ELNS1_3repE0EEENS1_30default_config_static_selectorELNS0_4arch9wavefront6targetE0EEEvT1_.num_vgpr, 0
	.set _ZN7rocprim17ROCPRIM_400000_NS6detail17trampoline_kernelINS0_14default_configENS1_35adjacent_difference_config_selectorILb0ElEEZNS1_24adjacent_difference_implIS3_Lb0ELb0EPlS7_ZN2at6native12_GLOBAL__N_124unique_dim_cuda_templateIaEESt5tupleIJNS8_6TensorESD_SD_EERKSD_lbbbEUlllE1_EE10hipError_tPvRmT2_T3_mT4_P12ihipStream_tbEUlT_E_NS1_11comp_targetILNS1_3genE10ELNS1_11target_archE1201ELNS1_3gpuE5ELNS1_3repE0EEENS1_30default_config_static_selectorELNS0_4arch9wavefront6targetE0EEEvT1_.num_agpr, 0
	.set _ZN7rocprim17ROCPRIM_400000_NS6detail17trampoline_kernelINS0_14default_configENS1_35adjacent_difference_config_selectorILb0ElEEZNS1_24adjacent_difference_implIS3_Lb0ELb0EPlS7_ZN2at6native12_GLOBAL__N_124unique_dim_cuda_templateIaEESt5tupleIJNS8_6TensorESD_SD_EERKSD_lbbbEUlllE1_EE10hipError_tPvRmT2_T3_mT4_P12ihipStream_tbEUlT_E_NS1_11comp_targetILNS1_3genE10ELNS1_11target_archE1201ELNS1_3gpuE5ELNS1_3repE0EEENS1_30default_config_static_selectorELNS0_4arch9wavefront6targetE0EEEvT1_.numbered_sgpr, 0
	.set _ZN7rocprim17ROCPRIM_400000_NS6detail17trampoline_kernelINS0_14default_configENS1_35adjacent_difference_config_selectorILb0ElEEZNS1_24adjacent_difference_implIS3_Lb0ELb0EPlS7_ZN2at6native12_GLOBAL__N_124unique_dim_cuda_templateIaEESt5tupleIJNS8_6TensorESD_SD_EERKSD_lbbbEUlllE1_EE10hipError_tPvRmT2_T3_mT4_P12ihipStream_tbEUlT_E_NS1_11comp_targetILNS1_3genE10ELNS1_11target_archE1201ELNS1_3gpuE5ELNS1_3repE0EEENS1_30default_config_static_selectorELNS0_4arch9wavefront6targetE0EEEvT1_.num_named_barrier, 0
	.set _ZN7rocprim17ROCPRIM_400000_NS6detail17trampoline_kernelINS0_14default_configENS1_35adjacent_difference_config_selectorILb0ElEEZNS1_24adjacent_difference_implIS3_Lb0ELb0EPlS7_ZN2at6native12_GLOBAL__N_124unique_dim_cuda_templateIaEESt5tupleIJNS8_6TensorESD_SD_EERKSD_lbbbEUlllE1_EE10hipError_tPvRmT2_T3_mT4_P12ihipStream_tbEUlT_E_NS1_11comp_targetILNS1_3genE10ELNS1_11target_archE1201ELNS1_3gpuE5ELNS1_3repE0EEENS1_30default_config_static_selectorELNS0_4arch9wavefront6targetE0EEEvT1_.private_seg_size, 0
	.set _ZN7rocprim17ROCPRIM_400000_NS6detail17trampoline_kernelINS0_14default_configENS1_35adjacent_difference_config_selectorILb0ElEEZNS1_24adjacent_difference_implIS3_Lb0ELb0EPlS7_ZN2at6native12_GLOBAL__N_124unique_dim_cuda_templateIaEESt5tupleIJNS8_6TensorESD_SD_EERKSD_lbbbEUlllE1_EE10hipError_tPvRmT2_T3_mT4_P12ihipStream_tbEUlT_E_NS1_11comp_targetILNS1_3genE10ELNS1_11target_archE1201ELNS1_3gpuE5ELNS1_3repE0EEENS1_30default_config_static_selectorELNS0_4arch9wavefront6targetE0EEEvT1_.uses_vcc, 0
	.set _ZN7rocprim17ROCPRIM_400000_NS6detail17trampoline_kernelINS0_14default_configENS1_35adjacent_difference_config_selectorILb0ElEEZNS1_24adjacent_difference_implIS3_Lb0ELb0EPlS7_ZN2at6native12_GLOBAL__N_124unique_dim_cuda_templateIaEESt5tupleIJNS8_6TensorESD_SD_EERKSD_lbbbEUlllE1_EE10hipError_tPvRmT2_T3_mT4_P12ihipStream_tbEUlT_E_NS1_11comp_targetILNS1_3genE10ELNS1_11target_archE1201ELNS1_3gpuE5ELNS1_3repE0EEENS1_30default_config_static_selectorELNS0_4arch9wavefront6targetE0EEEvT1_.uses_flat_scratch, 0
	.set _ZN7rocprim17ROCPRIM_400000_NS6detail17trampoline_kernelINS0_14default_configENS1_35adjacent_difference_config_selectorILb0ElEEZNS1_24adjacent_difference_implIS3_Lb0ELb0EPlS7_ZN2at6native12_GLOBAL__N_124unique_dim_cuda_templateIaEESt5tupleIJNS8_6TensorESD_SD_EERKSD_lbbbEUlllE1_EE10hipError_tPvRmT2_T3_mT4_P12ihipStream_tbEUlT_E_NS1_11comp_targetILNS1_3genE10ELNS1_11target_archE1201ELNS1_3gpuE5ELNS1_3repE0EEENS1_30default_config_static_selectorELNS0_4arch9wavefront6targetE0EEEvT1_.has_dyn_sized_stack, 0
	.set _ZN7rocprim17ROCPRIM_400000_NS6detail17trampoline_kernelINS0_14default_configENS1_35adjacent_difference_config_selectorILb0ElEEZNS1_24adjacent_difference_implIS3_Lb0ELb0EPlS7_ZN2at6native12_GLOBAL__N_124unique_dim_cuda_templateIaEESt5tupleIJNS8_6TensorESD_SD_EERKSD_lbbbEUlllE1_EE10hipError_tPvRmT2_T3_mT4_P12ihipStream_tbEUlT_E_NS1_11comp_targetILNS1_3genE10ELNS1_11target_archE1201ELNS1_3gpuE5ELNS1_3repE0EEENS1_30default_config_static_selectorELNS0_4arch9wavefront6targetE0EEEvT1_.has_recursion, 0
	.set _ZN7rocprim17ROCPRIM_400000_NS6detail17trampoline_kernelINS0_14default_configENS1_35adjacent_difference_config_selectorILb0ElEEZNS1_24adjacent_difference_implIS3_Lb0ELb0EPlS7_ZN2at6native12_GLOBAL__N_124unique_dim_cuda_templateIaEESt5tupleIJNS8_6TensorESD_SD_EERKSD_lbbbEUlllE1_EE10hipError_tPvRmT2_T3_mT4_P12ihipStream_tbEUlT_E_NS1_11comp_targetILNS1_3genE10ELNS1_11target_archE1201ELNS1_3gpuE5ELNS1_3repE0EEENS1_30default_config_static_selectorELNS0_4arch9wavefront6targetE0EEEvT1_.has_indirect_call, 0
	.section	.AMDGPU.csdata,"",@progbits
; Kernel info:
; codeLenInByte = 0
; TotalNumSgprs: 0
; NumVgprs: 0
; ScratchSize: 0
; MemoryBound: 0
; FloatMode: 240
; IeeeMode: 1
; LDSByteSize: 0 bytes/workgroup (compile time only)
; SGPRBlocks: 0
; VGPRBlocks: 0
; NumSGPRsForWavesPerEU: 1
; NumVGPRsForWavesPerEU: 1
; NamedBarCnt: 0
; Occupancy: 16
; WaveLimiterHint : 0
; COMPUTE_PGM_RSRC2:SCRATCH_EN: 0
; COMPUTE_PGM_RSRC2:USER_SGPR: 2
; COMPUTE_PGM_RSRC2:TRAP_HANDLER: 0
; COMPUTE_PGM_RSRC2:TGID_X_EN: 1
; COMPUTE_PGM_RSRC2:TGID_Y_EN: 0
; COMPUTE_PGM_RSRC2:TGID_Z_EN: 0
; COMPUTE_PGM_RSRC2:TIDIG_COMP_CNT: 0
	.section	.text._ZN7rocprim17ROCPRIM_400000_NS6detail17trampoline_kernelINS0_14default_configENS1_35adjacent_difference_config_selectorILb0ElEEZNS1_24adjacent_difference_implIS3_Lb0ELb0EPlS7_ZN2at6native12_GLOBAL__N_124unique_dim_cuda_templateIaEESt5tupleIJNS8_6TensorESD_SD_EERKSD_lbbbEUlllE1_EE10hipError_tPvRmT2_T3_mT4_P12ihipStream_tbEUlT_E_NS1_11comp_targetILNS1_3genE5ELNS1_11target_archE942ELNS1_3gpuE9ELNS1_3repE0EEENS1_30default_config_static_selectorELNS0_4arch9wavefront6targetE0EEEvT1_,"axG",@progbits,_ZN7rocprim17ROCPRIM_400000_NS6detail17trampoline_kernelINS0_14default_configENS1_35adjacent_difference_config_selectorILb0ElEEZNS1_24adjacent_difference_implIS3_Lb0ELb0EPlS7_ZN2at6native12_GLOBAL__N_124unique_dim_cuda_templateIaEESt5tupleIJNS8_6TensorESD_SD_EERKSD_lbbbEUlllE1_EE10hipError_tPvRmT2_T3_mT4_P12ihipStream_tbEUlT_E_NS1_11comp_targetILNS1_3genE5ELNS1_11target_archE942ELNS1_3gpuE9ELNS1_3repE0EEENS1_30default_config_static_selectorELNS0_4arch9wavefront6targetE0EEEvT1_,comdat
	.globl	_ZN7rocprim17ROCPRIM_400000_NS6detail17trampoline_kernelINS0_14default_configENS1_35adjacent_difference_config_selectorILb0ElEEZNS1_24adjacent_difference_implIS3_Lb0ELb0EPlS7_ZN2at6native12_GLOBAL__N_124unique_dim_cuda_templateIaEESt5tupleIJNS8_6TensorESD_SD_EERKSD_lbbbEUlllE1_EE10hipError_tPvRmT2_T3_mT4_P12ihipStream_tbEUlT_E_NS1_11comp_targetILNS1_3genE5ELNS1_11target_archE942ELNS1_3gpuE9ELNS1_3repE0EEENS1_30default_config_static_selectorELNS0_4arch9wavefront6targetE0EEEvT1_ ; -- Begin function _ZN7rocprim17ROCPRIM_400000_NS6detail17trampoline_kernelINS0_14default_configENS1_35adjacent_difference_config_selectorILb0ElEEZNS1_24adjacent_difference_implIS3_Lb0ELb0EPlS7_ZN2at6native12_GLOBAL__N_124unique_dim_cuda_templateIaEESt5tupleIJNS8_6TensorESD_SD_EERKSD_lbbbEUlllE1_EE10hipError_tPvRmT2_T3_mT4_P12ihipStream_tbEUlT_E_NS1_11comp_targetILNS1_3genE5ELNS1_11target_archE942ELNS1_3gpuE9ELNS1_3repE0EEENS1_30default_config_static_selectorELNS0_4arch9wavefront6targetE0EEEvT1_
	.p2align	8
	.type	_ZN7rocprim17ROCPRIM_400000_NS6detail17trampoline_kernelINS0_14default_configENS1_35adjacent_difference_config_selectorILb0ElEEZNS1_24adjacent_difference_implIS3_Lb0ELb0EPlS7_ZN2at6native12_GLOBAL__N_124unique_dim_cuda_templateIaEESt5tupleIJNS8_6TensorESD_SD_EERKSD_lbbbEUlllE1_EE10hipError_tPvRmT2_T3_mT4_P12ihipStream_tbEUlT_E_NS1_11comp_targetILNS1_3genE5ELNS1_11target_archE942ELNS1_3gpuE9ELNS1_3repE0EEENS1_30default_config_static_selectorELNS0_4arch9wavefront6targetE0EEEvT1_,@function
_ZN7rocprim17ROCPRIM_400000_NS6detail17trampoline_kernelINS0_14default_configENS1_35adjacent_difference_config_selectorILb0ElEEZNS1_24adjacent_difference_implIS3_Lb0ELb0EPlS7_ZN2at6native12_GLOBAL__N_124unique_dim_cuda_templateIaEESt5tupleIJNS8_6TensorESD_SD_EERKSD_lbbbEUlllE1_EE10hipError_tPvRmT2_T3_mT4_P12ihipStream_tbEUlT_E_NS1_11comp_targetILNS1_3genE5ELNS1_11target_archE942ELNS1_3gpuE9ELNS1_3repE0EEENS1_30default_config_static_selectorELNS0_4arch9wavefront6targetE0EEEvT1_: ; @_ZN7rocprim17ROCPRIM_400000_NS6detail17trampoline_kernelINS0_14default_configENS1_35adjacent_difference_config_selectorILb0ElEEZNS1_24adjacent_difference_implIS3_Lb0ELb0EPlS7_ZN2at6native12_GLOBAL__N_124unique_dim_cuda_templateIaEESt5tupleIJNS8_6TensorESD_SD_EERKSD_lbbbEUlllE1_EE10hipError_tPvRmT2_T3_mT4_P12ihipStream_tbEUlT_E_NS1_11comp_targetILNS1_3genE5ELNS1_11target_archE942ELNS1_3gpuE9ELNS1_3repE0EEENS1_30default_config_static_selectorELNS0_4arch9wavefront6targetE0EEEvT1_
; %bb.0:
	.section	.rodata,"a",@progbits
	.p2align	6, 0x0
	.amdhsa_kernel _ZN7rocprim17ROCPRIM_400000_NS6detail17trampoline_kernelINS0_14default_configENS1_35adjacent_difference_config_selectorILb0ElEEZNS1_24adjacent_difference_implIS3_Lb0ELb0EPlS7_ZN2at6native12_GLOBAL__N_124unique_dim_cuda_templateIaEESt5tupleIJNS8_6TensorESD_SD_EERKSD_lbbbEUlllE1_EE10hipError_tPvRmT2_T3_mT4_P12ihipStream_tbEUlT_E_NS1_11comp_targetILNS1_3genE5ELNS1_11target_archE942ELNS1_3gpuE9ELNS1_3repE0EEENS1_30default_config_static_selectorELNS0_4arch9wavefront6targetE0EEEvT1_
		.amdhsa_group_segment_fixed_size 0
		.amdhsa_private_segment_fixed_size 0
		.amdhsa_kernarg_size 64
		.amdhsa_user_sgpr_count 2
		.amdhsa_user_sgpr_dispatch_ptr 0
		.amdhsa_user_sgpr_queue_ptr 0
		.amdhsa_user_sgpr_kernarg_segment_ptr 1
		.amdhsa_user_sgpr_dispatch_id 0
		.amdhsa_user_sgpr_kernarg_preload_length 0
		.amdhsa_user_sgpr_kernarg_preload_offset 0
		.amdhsa_user_sgpr_private_segment_size 0
		.amdhsa_wavefront_size32 1
		.amdhsa_uses_dynamic_stack 0
		.amdhsa_enable_private_segment 0
		.amdhsa_system_sgpr_workgroup_id_x 1
		.amdhsa_system_sgpr_workgroup_id_y 0
		.amdhsa_system_sgpr_workgroup_id_z 0
		.amdhsa_system_sgpr_workgroup_info 0
		.amdhsa_system_vgpr_workitem_id 0
		.amdhsa_next_free_vgpr 1
		.amdhsa_next_free_sgpr 1
		.amdhsa_named_barrier_count 0
		.amdhsa_reserve_vcc 0
		.amdhsa_float_round_mode_32 0
		.amdhsa_float_round_mode_16_64 0
		.amdhsa_float_denorm_mode_32 3
		.amdhsa_float_denorm_mode_16_64 3
		.amdhsa_fp16_overflow 0
		.amdhsa_memory_ordered 1
		.amdhsa_forward_progress 1
		.amdhsa_inst_pref_size 0
		.amdhsa_round_robin_scheduling 0
		.amdhsa_exception_fp_ieee_invalid_op 0
		.amdhsa_exception_fp_denorm_src 0
		.amdhsa_exception_fp_ieee_div_zero 0
		.amdhsa_exception_fp_ieee_overflow 0
		.amdhsa_exception_fp_ieee_underflow 0
		.amdhsa_exception_fp_ieee_inexact 0
		.amdhsa_exception_int_div_zero 0
	.end_amdhsa_kernel
	.section	.text._ZN7rocprim17ROCPRIM_400000_NS6detail17trampoline_kernelINS0_14default_configENS1_35adjacent_difference_config_selectorILb0ElEEZNS1_24adjacent_difference_implIS3_Lb0ELb0EPlS7_ZN2at6native12_GLOBAL__N_124unique_dim_cuda_templateIaEESt5tupleIJNS8_6TensorESD_SD_EERKSD_lbbbEUlllE1_EE10hipError_tPvRmT2_T3_mT4_P12ihipStream_tbEUlT_E_NS1_11comp_targetILNS1_3genE5ELNS1_11target_archE942ELNS1_3gpuE9ELNS1_3repE0EEENS1_30default_config_static_selectorELNS0_4arch9wavefront6targetE0EEEvT1_,"axG",@progbits,_ZN7rocprim17ROCPRIM_400000_NS6detail17trampoline_kernelINS0_14default_configENS1_35adjacent_difference_config_selectorILb0ElEEZNS1_24adjacent_difference_implIS3_Lb0ELb0EPlS7_ZN2at6native12_GLOBAL__N_124unique_dim_cuda_templateIaEESt5tupleIJNS8_6TensorESD_SD_EERKSD_lbbbEUlllE1_EE10hipError_tPvRmT2_T3_mT4_P12ihipStream_tbEUlT_E_NS1_11comp_targetILNS1_3genE5ELNS1_11target_archE942ELNS1_3gpuE9ELNS1_3repE0EEENS1_30default_config_static_selectorELNS0_4arch9wavefront6targetE0EEEvT1_,comdat
.Lfunc_end296:
	.size	_ZN7rocprim17ROCPRIM_400000_NS6detail17trampoline_kernelINS0_14default_configENS1_35adjacent_difference_config_selectorILb0ElEEZNS1_24adjacent_difference_implIS3_Lb0ELb0EPlS7_ZN2at6native12_GLOBAL__N_124unique_dim_cuda_templateIaEESt5tupleIJNS8_6TensorESD_SD_EERKSD_lbbbEUlllE1_EE10hipError_tPvRmT2_T3_mT4_P12ihipStream_tbEUlT_E_NS1_11comp_targetILNS1_3genE5ELNS1_11target_archE942ELNS1_3gpuE9ELNS1_3repE0EEENS1_30default_config_static_selectorELNS0_4arch9wavefront6targetE0EEEvT1_, .Lfunc_end296-_ZN7rocprim17ROCPRIM_400000_NS6detail17trampoline_kernelINS0_14default_configENS1_35adjacent_difference_config_selectorILb0ElEEZNS1_24adjacent_difference_implIS3_Lb0ELb0EPlS7_ZN2at6native12_GLOBAL__N_124unique_dim_cuda_templateIaEESt5tupleIJNS8_6TensorESD_SD_EERKSD_lbbbEUlllE1_EE10hipError_tPvRmT2_T3_mT4_P12ihipStream_tbEUlT_E_NS1_11comp_targetILNS1_3genE5ELNS1_11target_archE942ELNS1_3gpuE9ELNS1_3repE0EEENS1_30default_config_static_selectorELNS0_4arch9wavefront6targetE0EEEvT1_
                                        ; -- End function
	.set _ZN7rocprim17ROCPRIM_400000_NS6detail17trampoline_kernelINS0_14default_configENS1_35adjacent_difference_config_selectorILb0ElEEZNS1_24adjacent_difference_implIS3_Lb0ELb0EPlS7_ZN2at6native12_GLOBAL__N_124unique_dim_cuda_templateIaEESt5tupleIJNS8_6TensorESD_SD_EERKSD_lbbbEUlllE1_EE10hipError_tPvRmT2_T3_mT4_P12ihipStream_tbEUlT_E_NS1_11comp_targetILNS1_3genE5ELNS1_11target_archE942ELNS1_3gpuE9ELNS1_3repE0EEENS1_30default_config_static_selectorELNS0_4arch9wavefront6targetE0EEEvT1_.num_vgpr, 0
	.set _ZN7rocprim17ROCPRIM_400000_NS6detail17trampoline_kernelINS0_14default_configENS1_35adjacent_difference_config_selectorILb0ElEEZNS1_24adjacent_difference_implIS3_Lb0ELb0EPlS7_ZN2at6native12_GLOBAL__N_124unique_dim_cuda_templateIaEESt5tupleIJNS8_6TensorESD_SD_EERKSD_lbbbEUlllE1_EE10hipError_tPvRmT2_T3_mT4_P12ihipStream_tbEUlT_E_NS1_11comp_targetILNS1_3genE5ELNS1_11target_archE942ELNS1_3gpuE9ELNS1_3repE0EEENS1_30default_config_static_selectorELNS0_4arch9wavefront6targetE0EEEvT1_.num_agpr, 0
	.set _ZN7rocprim17ROCPRIM_400000_NS6detail17trampoline_kernelINS0_14default_configENS1_35adjacent_difference_config_selectorILb0ElEEZNS1_24adjacent_difference_implIS3_Lb0ELb0EPlS7_ZN2at6native12_GLOBAL__N_124unique_dim_cuda_templateIaEESt5tupleIJNS8_6TensorESD_SD_EERKSD_lbbbEUlllE1_EE10hipError_tPvRmT2_T3_mT4_P12ihipStream_tbEUlT_E_NS1_11comp_targetILNS1_3genE5ELNS1_11target_archE942ELNS1_3gpuE9ELNS1_3repE0EEENS1_30default_config_static_selectorELNS0_4arch9wavefront6targetE0EEEvT1_.numbered_sgpr, 0
	.set _ZN7rocprim17ROCPRIM_400000_NS6detail17trampoline_kernelINS0_14default_configENS1_35adjacent_difference_config_selectorILb0ElEEZNS1_24adjacent_difference_implIS3_Lb0ELb0EPlS7_ZN2at6native12_GLOBAL__N_124unique_dim_cuda_templateIaEESt5tupleIJNS8_6TensorESD_SD_EERKSD_lbbbEUlllE1_EE10hipError_tPvRmT2_T3_mT4_P12ihipStream_tbEUlT_E_NS1_11comp_targetILNS1_3genE5ELNS1_11target_archE942ELNS1_3gpuE9ELNS1_3repE0EEENS1_30default_config_static_selectorELNS0_4arch9wavefront6targetE0EEEvT1_.num_named_barrier, 0
	.set _ZN7rocprim17ROCPRIM_400000_NS6detail17trampoline_kernelINS0_14default_configENS1_35adjacent_difference_config_selectorILb0ElEEZNS1_24adjacent_difference_implIS3_Lb0ELb0EPlS7_ZN2at6native12_GLOBAL__N_124unique_dim_cuda_templateIaEESt5tupleIJNS8_6TensorESD_SD_EERKSD_lbbbEUlllE1_EE10hipError_tPvRmT2_T3_mT4_P12ihipStream_tbEUlT_E_NS1_11comp_targetILNS1_3genE5ELNS1_11target_archE942ELNS1_3gpuE9ELNS1_3repE0EEENS1_30default_config_static_selectorELNS0_4arch9wavefront6targetE0EEEvT1_.private_seg_size, 0
	.set _ZN7rocprim17ROCPRIM_400000_NS6detail17trampoline_kernelINS0_14default_configENS1_35adjacent_difference_config_selectorILb0ElEEZNS1_24adjacent_difference_implIS3_Lb0ELb0EPlS7_ZN2at6native12_GLOBAL__N_124unique_dim_cuda_templateIaEESt5tupleIJNS8_6TensorESD_SD_EERKSD_lbbbEUlllE1_EE10hipError_tPvRmT2_T3_mT4_P12ihipStream_tbEUlT_E_NS1_11comp_targetILNS1_3genE5ELNS1_11target_archE942ELNS1_3gpuE9ELNS1_3repE0EEENS1_30default_config_static_selectorELNS0_4arch9wavefront6targetE0EEEvT1_.uses_vcc, 0
	.set _ZN7rocprim17ROCPRIM_400000_NS6detail17trampoline_kernelINS0_14default_configENS1_35adjacent_difference_config_selectorILb0ElEEZNS1_24adjacent_difference_implIS3_Lb0ELb0EPlS7_ZN2at6native12_GLOBAL__N_124unique_dim_cuda_templateIaEESt5tupleIJNS8_6TensorESD_SD_EERKSD_lbbbEUlllE1_EE10hipError_tPvRmT2_T3_mT4_P12ihipStream_tbEUlT_E_NS1_11comp_targetILNS1_3genE5ELNS1_11target_archE942ELNS1_3gpuE9ELNS1_3repE0EEENS1_30default_config_static_selectorELNS0_4arch9wavefront6targetE0EEEvT1_.uses_flat_scratch, 0
	.set _ZN7rocprim17ROCPRIM_400000_NS6detail17trampoline_kernelINS0_14default_configENS1_35adjacent_difference_config_selectorILb0ElEEZNS1_24adjacent_difference_implIS3_Lb0ELb0EPlS7_ZN2at6native12_GLOBAL__N_124unique_dim_cuda_templateIaEESt5tupleIJNS8_6TensorESD_SD_EERKSD_lbbbEUlllE1_EE10hipError_tPvRmT2_T3_mT4_P12ihipStream_tbEUlT_E_NS1_11comp_targetILNS1_3genE5ELNS1_11target_archE942ELNS1_3gpuE9ELNS1_3repE0EEENS1_30default_config_static_selectorELNS0_4arch9wavefront6targetE0EEEvT1_.has_dyn_sized_stack, 0
	.set _ZN7rocprim17ROCPRIM_400000_NS6detail17trampoline_kernelINS0_14default_configENS1_35adjacent_difference_config_selectorILb0ElEEZNS1_24adjacent_difference_implIS3_Lb0ELb0EPlS7_ZN2at6native12_GLOBAL__N_124unique_dim_cuda_templateIaEESt5tupleIJNS8_6TensorESD_SD_EERKSD_lbbbEUlllE1_EE10hipError_tPvRmT2_T3_mT4_P12ihipStream_tbEUlT_E_NS1_11comp_targetILNS1_3genE5ELNS1_11target_archE942ELNS1_3gpuE9ELNS1_3repE0EEENS1_30default_config_static_selectorELNS0_4arch9wavefront6targetE0EEEvT1_.has_recursion, 0
	.set _ZN7rocprim17ROCPRIM_400000_NS6detail17trampoline_kernelINS0_14default_configENS1_35adjacent_difference_config_selectorILb0ElEEZNS1_24adjacent_difference_implIS3_Lb0ELb0EPlS7_ZN2at6native12_GLOBAL__N_124unique_dim_cuda_templateIaEESt5tupleIJNS8_6TensorESD_SD_EERKSD_lbbbEUlllE1_EE10hipError_tPvRmT2_T3_mT4_P12ihipStream_tbEUlT_E_NS1_11comp_targetILNS1_3genE5ELNS1_11target_archE942ELNS1_3gpuE9ELNS1_3repE0EEENS1_30default_config_static_selectorELNS0_4arch9wavefront6targetE0EEEvT1_.has_indirect_call, 0
	.section	.AMDGPU.csdata,"",@progbits
; Kernel info:
; codeLenInByte = 0
; TotalNumSgprs: 0
; NumVgprs: 0
; ScratchSize: 0
; MemoryBound: 0
; FloatMode: 240
; IeeeMode: 1
; LDSByteSize: 0 bytes/workgroup (compile time only)
; SGPRBlocks: 0
; VGPRBlocks: 0
; NumSGPRsForWavesPerEU: 1
; NumVGPRsForWavesPerEU: 1
; NamedBarCnt: 0
; Occupancy: 16
; WaveLimiterHint : 0
; COMPUTE_PGM_RSRC2:SCRATCH_EN: 0
; COMPUTE_PGM_RSRC2:USER_SGPR: 2
; COMPUTE_PGM_RSRC2:TRAP_HANDLER: 0
; COMPUTE_PGM_RSRC2:TGID_X_EN: 1
; COMPUTE_PGM_RSRC2:TGID_Y_EN: 0
; COMPUTE_PGM_RSRC2:TGID_Z_EN: 0
; COMPUTE_PGM_RSRC2:TIDIG_COMP_CNT: 0
	.section	.text._ZN7rocprim17ROCPRIM_400000_NS6detail17trampoline_kernelINS0_14default_configENS1_35adjacent_difference_config_selectorILb0ElEEZNS1_24adjacent_difference_implIS3_Lb0ELb0EPlS7_ZN2at6native12_GLOBAL__N_124unique_dim_cuda_templateIaEESt5tupleIJNS8_6TensorESD_SD_EERKSD_lbbbEUlllE1_EE10hipError_tPvRmT2_T3_mT4_P12ihipStream_tbEUlT_E_NS1_11comp_targetILNS1_3genE4ELNS1_11target_archE910ELNS1_3gpuE8ELNS1_3repE0EEENS1_30default_config_static_selectorELNS0_4arch9wavefront6targetE0EEEvT1_,"axG",@progbits,_ZN7rocprim17ROCPRIM_400000_NS6detail17trampoline_kernelINS0_14default_configENS1_35adjacent_difference_config_selectorILb0ElEEZNS1_24adjacent_difference_implIS3_Lb0ELb0EPlS7_ZN2at6native12_GLOBAL__N_124unique_dim_cuda_templateIaEESt5tupleIJNS8_6TensorESD_SD_EERKSD_lbbbEUlllE1_EE10hipError_tPvRmT2_T3_mT4_P12ihipStream_tbEUlT_E_NS1_11comp_targetILNS1_3genE4ELNS1_11target_archE910ELNS1_3gpuE8ELNS1_3repE0EEENS1_30default_config_static_selectorELNS0_4arch9wavefront6targetE0EEEvT1_,comdat
	.globl	_ZN7rocprim17ROCPRIM_400000_NS6detail17trampoline_kernelINS0_14default_configENS1_35adjacent_difference_config_selectorILb0ElEEZNS1_24adjacent_difference_implIS3_Lb0ELb0EPlS7_ZN2at6native12_GLOBAL__N_124unique_dim_cuda_templateIaEESt5tupleIJNS8_6TensorESD_SD_EERKSD_lbbbEUlllE1_EE10hipError_tPvRmT2_T3_mT4_P12ihipStream_tbEUlT_E_NS1_11comp_targetILNS1_3genE4ELNS1_11target_archE910ELNS1_3gpuE8ELNS1_3repE0EEENS1_30default_config_static_selectorELNS0_4arch9wavefront6targetE0EEEvT1_ ; -- Begin function _ZN7rocprim17ROCPRIM_400000_NS6detail17trampoline_kernelINS0_14default_configENS1_35adjacent_difference_config_selectorILb0ElEEZNS1_24adjacent_difference_implIS3_Lb0ELb0EPlS7_ZN2at6native12_GLOBAL__N_124unique_dim_cuda_templateIaEESt5tupleIJNS8_6TensorESD_SD_EERKSD_lbbbEUlllE1_EE10hipError_tPvRmT2_T3_mT4_P12ihipStream_tbEUlT_E_NS1_11comp_targetILNS1_3genE4ELNS1_11target_archE910ELNS1_3gpuE8ELNS1_3repE0EEENS1_30default_config_static_selectorELNS0_4arch9wavefront6targetE0EEEvT1_
	.p2align	8
	.type	_ZN7rocprim17ROCPRIM_400000_NS6detail17trampoline_kernelINS0_14default_configENS1_35adjacent_difference_config_selectorILb0ElEEZNS1_24adjacent_difference_implIS3_Lb0ELb0EPlS7_ZN2at6native12_GLOBAL__N_124unique_dim_cuda_templateIaEESt5tupleIJNS8_6TensorESD_SD_EERKSD_lbbbEUlllE1_EE10hipError_tPvRmT2_T3_mT4_P12ihipStream_tbEUlT_E_NS1_11comp_targetILNS1_3genE4ELNS1_11target_archE910ELNS1_3gpuE8ELNS1_3repE0EEENS1_30default_config_static_selectorELNS0_4arch9wavefront6targetE0EEEvT1_,@function
_ZN7rocprim17ROCPRIM_400000_NS6detail17trampoline_kernelINS0_14default_configENS1_35adjacent_difference_config_selectorILb0ElEEZNS1_24adjacent_difference_implIS3_Lb0ELb0EPlS7_ZN2at6native12_GLOBAL__N_124unique_dim_cuda_templateIaEESt5tupleIJNS8_6TensorESD_SD_EERKSD_lbbbEUlllE1_EE10hipError_tPvRmT2_T3_mT4_P12ihipStream_tbEUlT_E_NS1_11comp_targetILNS1_3genE4ELNS1_11target_archE910ELNS1_3gpuE8ELNS1_3repE0EEENS1_30default_config_static_selectorELNS0_4arch9wavefront6targetE0EEEvT1_: ; @_ZN7rocprim17ROCPRIM_400000_NS6detail17trampoline_kernelINS0_14default_configENS1_35adjacent_difference_config_selectorILb0ElEEZNS1_24adjacent_difference_implIS3_Lb0ELb0EPlS7_ZN2at6native12_GLOBAL__N_124unique_dim_cuda_templateIaEESt5tupleIJNS8_6TensorESD_SD_EERKSD_lbbbEUlllE1_EE10hipError_tPvRmT2_T3_mT4_P12ihipStream_tbEUlT_E_NS1_11comp_targetILNS1_3genE4ELNS1_11target_archE910ELNS1_3gpuE8ELNS1_3repE0EEENS1_30default_config_static_selectorELNS0_4arch9wavefront6targetE0EEEvT1_
; %bb.0:
	.section	.rodata,"a",@progbits
	.p2align	6, 0x0
	.amdhsa_kernel _ZN7rocprim17ROCPRIM_400000_NS6detail17trampoline_kernelINS0_14default_configENS1_35adjacent_difference_config_selectorILb0ElEEZNS1_24adjacent_difference_implIS3_Lb0ELb0EPlS7_ZN2at6native12_GLOBAL__N_124unique_dim_cuda_templateIaEESt5tupleIJNS8_6TensorESD_SD_EERKSD_lbbbEUlllE1_EE10hipError_tPvRmT2_T3_mT4_P12ihipStream_tbEUlT_E_NS1_11comp_targetILNS1_3genE4ELNS1_11target_archE910ELNS1_3gpuE8ELNS1_3repE0EEENS1_30default_config_static_selectorELNS0_4arch9wavefront6targetE0EEEvT1_
		.amdhsa_group_segment_fixed_size 0
		.amdhsa_private_segment_fixed_size 0
		.amdhsa_kernarg_size 64
		.amdhsa_user_sgpr_count 2
		.amdhsa_user_sgpr_dispatch_ptr 0
		.amdhsa_user_sgpr_queue_ptr 0
		.amdhsa_user_sgpr_kernarg_segment_ptr 1
		.amdhsa_user_sgpr_dispatch_id 0
		.amdhsa_user_sgpr_kernarg_preload_length 0
		.amdhsa_user_sgpr_kernarg_preload_offset 0
		.amdhsa_user_sgpr_private_segment_size 0
		.amdhsa_wavefront_size32 1
		.amdhsa_uses_dynamic_stack 0
		.amdhsa_enable_private_segment 0
		.amdhsa_system_sgpr_workgroup_id_x 1
		.amdhsa_system_sgpr_workgroup_id_y 0
		.amdhsa_system_sgpr_workgroup_id_z 0
		.amdhsa_system_sgpr_workgroup_info 0
		.amdhsa_system_vgpr_workitem_id 0
		.amdhsa_next_free_vgpr 1
		.amdhsa_next_free_sgpr 1
		.amdhsa_named_barrier_count 0
		.amdhsa_reserve_vcc 0
		.amdhsa_float_round_mode_32 0
		.amdhsa_float_round_mode_16_64 0
		.amdhsa_float_denorm_mode_32 3
		.amdhsa_float_denorm_mode_16_64 3
		.amdhsa_fp16_overflow 0
		.amdhsa_memory_ordered 1
		.amdhsa_forward_progress 1
		.amdhsa_inst_pref_size 0
		.amdhsa_round_robin_scheduling 0
		.amdhsa_exception_fp_ieee_invalid_op 0
		.amdhsa_exception_fp_denorm_src 0
		.amdhsa_exception_fp_ieee_div_zero 0
		.amdhsa_exception_fp_ieee_overflow 0
		.amdhsa_exception_fp_ieee_underflow 0
		.amdhsa_exception_fp_ieee_inexact 0
		.amdhsa_exception_int_div_zero 0
	.end_amdhsa_kernel
	.section	.text._ZN7rocprim17ROCPRIM_400000_NS6detail17trampoline_kernelINS0_14default_configENS1_35adjacent_difference_config_selectorILb0ElEEZNS1_24adjacent_difference_implIS3_Lb0ELb0EPlS7_ZN2at6native12_GLOBAL__N_124unique_dim_cuda_templateIaEESt5tupleIJNS8_6TensorESD_SD_EERKSD_lbbbEUlllE1_EE10hipError_tPvRmT2_T3_mT4_P12ihipStream_tbEUlT_E_NS1_11comp_targetILNS1_3genE4ELNS1_11target_archE910ELNS1_3gpuE8ELNS1_3repE0EEENS1_30default_config_static_selectorELNS0_4arch9wavefront6targetE0EEEvT1_,"axG",@progbits,_ZN7rocprim17ROCPRIM_400000_NS6detail17trampoline_kernelINS0_14default_configENS1_35adjacent_difference_config_selectorILb0ElEEZNS1_24adjacent_difference_implIS3_Lb0ELb0EPlS7_ZN2at6native12_GLOBAL__N_124unique_dim_cuda_templateIaEESt5tupleIJNS8_6TensorESD_SD_EERKSD_lbbbEUlllE1_EE10hipError_tPvRmT2_T3_mT4_P12ihipStream_tbEUlT_E_NS1_11comp_targetILNS1_3genE4ELNS1_11target_archE910ELNS1_3gpuE8ELNS1_3repE0EEENS1_30default_config_static_selectorELNS0_4arch9wavefront6targetE0EEEvT1_,comdat
.Lfunc_end297:
	.size	_ZN7rocprim17ROCPRIM_400000_NS6detail17trampoline_kernelINS0_14default_configENS1_35adjacent_difference_config_selectorILb0ElEEZNS1_24adjacent_difference_implIS3_Lb0ELb0EPlS7_ZN2at6native12_GLOBAL__N_124unique_dim_cuda_templateIaEESt5tupleIJNS8_6TensorESD_SD_EERKSD_lbbbEUlllE1_EE10hipError_tPvRmT2_T3_mT4_P12ihipStream_tbEUlT_E_NS1_11comp_targetILNS1_3genE4ELNS1_11target_archE910ELNS1_3gpuE8ELNS1_3repE0EEENS1_30default_config_static_selectorELNS0_4arch9wavefront6targetE0EEEvT1_, .Lfunc_end297-_ZN7rocprim17ROCPRIM_400000_NS6detail17trampoline_kernelINS0_14default_configENS1_35adjacent_difference_config_selectorILb0ElEEZNS1_24adjacent_difference_implIS3_Lb0ELb0EPlS7_ZN2at6native12_GLOBAL__N_124unique_dim_cuda_templateIaEESt5tupleIJNS8_6TensorESD_SD_EERKSD_lbbbEUlllE1_EE10hipError_tPvRmT2_T3_mT4_P12ihipStream_tbEUlT_E_NS1_11comp_targetILNS1_3genE4ELNS1_11target_archE910ELNS1_3gpuE8ELNS1_3repE0EEENS1_30default_config_static_selectorELNS0_4arch9wavefront6targetE0EEEvT1_
                                        ; -- End function
	.set _ZN7rocprim17ROCPRIM_400000_NS6detail17trampoline_kernelINS0_14default_configENS1_35adjacent_difference_config_selectorILb0ElEEZNS1_24adjacent_difference_implIS3_Lb0ELb0EPlS7_ZN2at6native12_GLOBAL__N_124unique_dim_cuda_templateIaEESt5tupleIJNS8_6TensorESD_SD_EERKSD_lbbbEUlllE1_EE10hipError_tPvRmT2_T3_mT4_P12ihipStream_tbEUlT_E_NS1_11comp_targetILNS1_3genE4ELNS1_11target_archE910ELNS1_3gpuE8ELNS1_3repE0EEENS1_30default_config_static_selectorELNS0_4arch9wavefront6targetE0EEEvT1_.num_vgpr, 0
	.set _ZN7rocprim17ROCPRIM_400000_NS6detail17trampoline_kernelINS0_14default_configENS1_35adjacent_difference_config_selectorILb0ElEEZNS1_24adjacent_difference_implIS3_Lb0ELb0EPlS7_ZN2at6native12_GLOBAL__N_124unique_dim_cuda_templateIaEESt5tupleIJNS8_6TensorESD_SD_EERKSD_lbbbEUlllE1_EE10hipError_tPvRmT2_T3_mT4_P12ihipStream_tbEUlT_E_NS1_11comp_targetILNS1_3genE4ELNS1_11target_archE910ELNS1_3gpuE8ELNS1_3repE0EEENS1_30default_config_static_selectorELNS0_4arch9wavefront6targetE0EEEvT1_.num_agpr, 0
	.set _ZN7rocprim17ROCPRIM_400000_NS6detail17trampoline_kernelINS0_14default_configENS1_35adjacent_difference_config_selectorILb0ElEEZNS1_24adjacent_difference_implIS3_Lb0ELb0EPlS7_ZN2at6native12_GLOBAL__N_124unique_dim_cuda_templateIaEESt5tupleIJNS8_6TensorESD_SD_EERKSD_lbbbEUlllE1_EE10hipError_tPvRmT2_T3_mT4_P12ihipStream_tbEUlT_E_NS1_11comp_targetILNS1_3genE4ELNS1_11target_archE910ELNS1_3gpuE8ELNS1_3repE0EEENS1_30default_config_static_selectorELNS0_4arch9wavefront6targetE0EEEvT1_.numbered_sgpr, 0
	.set _ZN7rocprim17ROCPRIM_400000_NS6detail17trampoline_kernelINS0_14default_configENS1_35adjacent_difference_config_selectorILb0ElEEZNS1_24adjacent_difference_implIS3_Lb0ELb0EPlS7_ZN2at6native12_GLOBAL__N_124unique_dim_cuda_templateIaEESt5tupleIJNS8_6TensorESD_SD_EERKSD_lbbbEUlllE1_EE10hipError_tPvRmT2_T3_mT4_P12ihipStream_tbEUlT_E_NS1_11comp_targetILNS1_3genE4ELNS1_11target_archE910ELNS1_3gpuE8ELNS1_3repE0EEENS1_30default_config_static_selectorELNS0_4arch9wavefront6targetE0EEEvT1_.num_named_barrier, 0
	.set _ZN7rocprim17ROCPRIM_400000_NS6detail17trampoline_kernelINS0_14default_configENS1_35adjacent_difference_config_selectorILb0ElEEZNS1_24adjacent_difference_implIS3_Lb0ELb0EPlS7_ZN2at6native12_GLOBAL__N_124unique_dim_cuda_templateIaEESt5tupleIJNS8_6TensorESD_SD_EERKSD_lbbbEUlllE1_EE10hipError_tPvRmT2_T3_mT4_P12ihipStream_tbEUlT_E_NS1_11comp_targetILNS1_3genE4ELNS1_11target_archE910ELNS1_3gpuE8ELNS1_3repE0EEENS1_30default_config_static_selectorELNS0_4arch9wavefront6targetE0EEEvT1_.private_seg_size, 0
	.set _ZN7rocprim17ROCPRIM_400000_NS6detail17trampoline_kernelINS0_14default_configENS1_35adjacent_difference_config_selectorILb0ElEEZNS1_24adjacent_difference_implIS3_Lb0ELb0EPlS7_ZN2at6native12_GLOBAL__N_124unique_dim_cuda_templateIaEESt5tupleIJNS8_6TensorESD_SD_EERKSD_lbbbEUlllE1_EE10hipError_tPvRmT2_T3_mT4_P12ihipStream_tbEUlT_E_NS1_11comp_targetILNS1_3genE4ELNS1_11target_archE910ELNS1_3gpuE8ELNS1_3repE0EEENS1_30default_config_static_selectorELNS0_4arch9wavefront6targetE0EEEvT1_.uses_vcc, 0
	.set _ZN7rocprim17ROCPRIM_400000_NS6detail17trampoline_kernelINS0_14default_configENS1_35adjacent_difference_config_selectorILb0ElEEZNS1_24adjacent_difference_implIS3_Lb0ELb0EPlS7_ZN2at6native12_GLOBAL__N_124unique_dim_cuda_templateIaEESt5tupleIJNS8_6TensorESD_SD_EERKSD_lbbbEUlllE1_EE10hipError_tPvRmT2_T3_mT4_P12ihipStream_tbEUlT_E_NS1_11comp_targetILNS1_3genE4ELNS1_11target_archE910ELNS1_3gpuE8ELNS1_3repE0EEENS1_30default_config_static_selectorELNS0_4arch9wavefront6targetE0EEEvT1_.uses_flat_scratch, 0
	.set _ZN7rocprim17ROCPRIM_400000_NS6detail17trampoline_kernelINS0_14default_configENS1_35adjacent_difference_config_selectorILb0ElEEZNS1_24adjacent_difference_implIS3_Lb0ELb0EPlS7_ZN2at6native12_GLOBAL__N_124unique_dim_cuda_templateIaEESt5tupleIJNS8_6TensorESD_SD_EERKSD_lbbbEUlllE1_EE10hipError_tPvRmT2_T3_mT4_P12ihipStream_tbEUlT_E_NS1_11comp_targetILNS1_3genE4ELNS1_11target_archE910ELNS1_3gpuE8ELNS1_3repE0EEENS1_30default_config_static_selectorELNS0_4arch9wavefront6targetE0EEEvT1_.has_dyn_sized_stack, 0
	.set _ZN7rocprim17ROCPRIM_400000_NS6detail17trampoline_kernelINS0_14default_configENS1_35adjacent_difference_config_selectorILb0ElEEZNS1_24adjacent_difference_implIS3_Lb0ELb0EPlS7_ZN2at6native12_GLOBAL__N_124unique_dim_cuda_templateIaEESt5tupleIJNS8_6TensorESD_SD_EERKSD_lbbbEUlllE1_EE10hipError_tPvRmT2_T3_mT4_P12ihipStream_tbEUlT_E_NS1_11comp_targetILNS1_3genE4ELNS1_11target_archE910ELNS1_3gpuE8ELNS1_3repE0EEENS1_30default_config_static_selectorELNS0_4arch9wavefront6targetE0EEEvT1_.has_recursion, 0
	.set _ZN7rocprim17ROCPRIM_400000_NS6detail17trampoline_kernelINS0_14default_configENS1_35adjacent_difference_config_selectorILb0ElEEZNS1_24adjacent_difference_implIS3_Lb0ELb0EPlS7_ZN2at6native12_GLOBAL__N_124unique_dim_cuda_templateIaEESt5tupleIJNS8_6TensorESD_SD_EERKSD_lbbbEUlllE1_EE10hipError_tPvRmT2_T3_mT4_P12ihipStream_tbEUlT_E_NS1_11comp_targetILNS1_3genE4ELNS1_11target_archE910ELNS1_3gpuE8ELNS1_3repE0EEENS1_30default_config_static_selectorELNS0_4arch9wavefront6targetE0EEEvT1_.has_indirect_call, 0
	.section	.AMDGPU.csdata,"",@progbits
; Kernel info:
; codeLenInByte = 0
; TotalNumSgprs: 0
; NumVgprs: 0
; ScratchSize: 0
; MemoryBound: 0
; FloatMode: 240
; IeeeMode: 1
; LDSByteSize: 0 bytes/workgroup (compile time only)
; SGPRBlocks: 0
; VGPRBlocks: 0
; NumSGPRsForWavesPerEU: 1
; NumVGPRsForWavesPerEU: 1
; NamedBarCnt: 0
; Occupancy: 16
; WaveLimiterHint : 0
; COMPUTE_PGM_RSRC2:SCRATCH_EN: 0
; COMPUTE_PGM_RSRC2:USER_SGPR: 2
; COMPUTE_PGM_RSRC2:TRAP_HANDLER: 0
; COMPUTE_PGM_RSRC2:TGID_X_EN: 1
; COMPUTE_PGM_RSRC2:TGID_Y_EN: 0
; COMPUTE_PGM_RSRC2:TGID_Z_EN: 0
; COMPUTE_PGM_RSRC2:TIDIG_COMP_CNT: 0
	.section	.text._ZN7rocprim17ROCPRIM_400000_NS6detail17trampoline_kernelINS0_14default_configENS1_35adjacent_difference_config_selectorILb0ElEEZNS1_24adjacent_difference_implIS3_Lb0ELb0EPlS7_ZN2at6native12_GLOBAL__N_124unique_dim_cuda_templateIaEESt5tupleIJNS8_6TensorESD_SD_EERKSD_lbbbEUlllE1_EE10hipError_tPvRmT2_T3_mT4_P12ihipStream_tbEUlT_E_NS1_11comp_targetILNS1_3genE3ELNS1_11target_archE908ELNS1_3gpuE7ELNS1_3repE0EEENS1_30default_config_static_selectorELNS0_4arch9wavefront6targetE0EEEvT1_,"axG",@progbits,_ZN7rocprim17ROCPRIM_400000_NS6detail17trampoline_kernelINS0_14default_configENS1_35adjacent_difference_config_selectorILb0ElEEZNS1_24adjacent_difference_implIS3_Lb0ELb0EPlS7_ZN2at6native12_GLOBAL__N_124unique_dim_cuda_templateIaEESt5tupleIJNS8_6TensorESD_SD_EERKSD_lbbbEUlllE1_EE10hipError_tPvRmT2_T3_mT4_P12ihipStream_tbEUlT_E_NS1_11comp_targetILNS1_3genE3ELNS1_11target_archE908ELNS1_3gpuE7ELNS1_3repE0EEENS1_30default_config_static_selectorELNS0_4arch9wavefront6targetE0EEEvT1_,comdat
	.globl	_ZN7rocprim17ROCPRIM_400000_NS6detail17trampoline_kernelINS0_14default_configENS1_35adjacent_difference_config_selectorILb0ElEEZNS1_24adjacent_difference_implIS3_Lb0ELb0EPlS7_ZN2at6native12_GLOBAL__N_124unique_dim_cuda_templateIaEESt5tupleIJNS8_6TensorESD_SD_EERKSD_lbbbEUlllE1_EE10hipError_tPvRmT2_T3_mT4_P12ihipStream_tbEUlT_E_NS1_11comp_targetILNS1_3genE3ELNS1_11target_archE908ELNS1_3gpuE7ELNS1_3repE0EEENS1_30default_config_static_selectorELNS0_4arch9wavefront6targetE0EEEvT1_ ; -- Begin function _ZN7rocprim17ROCPRIM_400000_NS6detail17trampoline_kernelINS0_14default_configENS1_35adjacent_difference_config_selectorILb0ElEEZNS1_24adjacent_difference_implIS3_Lb0ELb0EPlS7_ZN2at6native12_GLOBAL__N_124unique_dim_cuda_templateIaEESt5tupleIJNS8_6TensorESD_SD_EERKSD_lbbbEUlllE1_EE10hipError_tPvRmT2_T3_mT4_P12ihipStream_tbEUlT_E_NS1_11comp_targetILNS1_3genE3ELNS1_11target_archE908ELNS1_3gpuE7ELNS1_3repE0EEENS1_30default_config_static_selectorELNS0_4arch9wavefront6targetE0EEEvT1_
	.p2align	8
	.type	_ZN7rocprim17ROCPRIM_400000_NS6detail17trampoline_kernelINS0_14default_configENS1_35adjacent_difference_config_selectorILb0ElEEZNS1_24adjacent_difference_implIS3_Lb0ELb0EPlS7_ZN2at6native12_GLOBAL__N_124unique_dim_cuda_templateIaEESt5tupleIJNS8_6TensorESD_SD_EERKSD_lbbbEUlllE1_EE10hipError_tPvRmT2_T3_mT4_P12ihipStream_tbEUlT_E_NS1_11comp_targetILNS1_3genE3ELNS1_11target_archE908ELNS1_3gpuE7ELNS1_3repE0EEENS1_30default_config_static_selectorELNS0_4arch9wavefront6targetE0EEEvT1_,@function
_ZN7rocprim17ROCPRIM_400000_NS6detail17trampoline_kernelINS0_14default_configENS1_35adjacent_difference_config_selectorILb0ElEEZNS1_24adjacent_difference_implIS3_Lb0ELb0EPlS7_ZN2at6native12_GLOBAL__N_124unique_dim_cuda_templateIaEESt5tupleIJNS8_6TensorESD_SD_EERKSD_lbbbEUlllE1_EE10hipError_tPvRmT2_T3_mT4_P12ihipStream_tbEUlT_E_NS1_11comp_targetILNS1_3genE3ELNS1_11target_archE908ELNS1_3gpuE7ELNS1_3repE0EEENS1_30default_config_static_selectorELNS0_4arch9wavefront6targetE0EEEvT1_: ; @_ZN7rocprim17ROCPRIM_400000_NS6detail17trampoline_kernelINS0_14default_configENS1_35adjacent_difference_config_selectorILb0ElEEZNS1_24adjacent_difference_implIS3_Lb0ELb0EPlS7_ZN2at6native12_GLOBAL__N_124unique_dim_cuda_templateIaEESt5tupleIJNS8_6TensorESD_SD_EERKSD_lbbbEUlllE1_EE10hipError_tPvRmT2_T3_mT4_P12ihipStream_tbEUlT_E_NS1_11comp_targetILNS1_3genE3ELNS1_11target_archE908ELNS1_3gpuE7ELNS1_3repE0EEENS1_30default_config_static_selectorELNS0_4arch9wavefront6targetE0EEEvT1_
; %bb.0:
	.section	.rodata,"a",@progbits
	.p2align	6, 0x0
	.amdhsa_kernel _ZN7rocprim17ROCPRIM_400000_NS6detail17trampoline_kernelINS0_14default_configENS1_35adjacent_difference_config_selectorILb0ElEEZNS1_24adjacent_difference_implIS3_Lb0ELb0EPlS7_ZN2at6native12_GLOBAL__N_124unique_dim_cuda_templateIaEESt5tupleIJNS8_6TensorESD_SD_EERKSD_lbbbEUlllE1_EE10hipError_tPvRmT2_T3_mT4_P12ihipStream_tbEUlT_E_NS1_11comp_targetILNS1_3genE3ELNS1_11target_archE908ELNS1_3gpuE7ELNS1_3repE0EEENS1_30default_config_static_selectorELNS0_4arch9wavefront6targetE0EEEvT1_
		.amdhsa_group_segment_fixed_size 0
		.amdhsa_private_segment_fixed_size 0
		.amdhsa_kernarg_size 64
		.amdhsa_user_sgpr_count 2
		.amdhsa_user_sgpr_dispatch_ptr 0
		.amdhsa_user_sgpr_queue_ptr 0
		.amdhsa_user_sgpr_kernarg_segment_ptr 1
		.amdhsa_user_sgpr_dispatch_id 0
		.amdhsa_user_sgpr_kernarg_preload_length 0
		.amdhsa_user_sgpr_kernarg_preload_offset 0
		.amdhsa_user_sgpr_private_segment_size 0
		.amdhsa_wavefront_size32 1
		.amdhsa_uses_dynamic_stack 0
		.amdhsa_enable_private_segment 0
		.amdhsa_system_sgpr_workgroup_id_x 1
		.amdhsa_system_sgpr_workgroup_id_y 0
		.amdhsa_system_sgpr_workgroup_id_z 0
		.amdhsa_system_sgpr_workgroup_info 0
		.amdhsa_system_vgpr_workitem_id 0
		.amdhsa_next_free_vgpr 1
		.amdhsa_next_free_sgpr 1
		.amdhsa_named_barrier_count 0
		.amdhsa_reserve_vcc 0
		.amdhsa_float_round_mode_32 0
		.amdhsa_float_round_mode_16_64 0
		.amdhsa_float_denorm_mode_32 3
		.amdhsa_float_denorm_mode_16_64 3
		.amdhsa_fp16_overflow 0
		.amdhsa_memory_ordered 1
		.amdhsa_forward_progress 1
		.amdhsa_inst_pref_size 0
		.amdhsa_round_robin_scheduling 0
		.amdhsa_exception_fp_ieee_invalid_op 0
		.amdhsa_exception_fp_denorm_src 0
		.amdhsa_exception_fp_ieee_div_zero 0
		.amdhsa_exception_fp_ieee_overflow 0
		.amdhsa_exception_fp_ieee_underflow 0
		.amdhsa_exception_fp_ieee_inexact 0
		.amdhsa_exception_int_div_zero 0
	.end_amdhsa_kernel
	.section	.text._ZN7rocprim17ROCPRIM_400000_NS6detail17trampoline_kernelINS0_14default_configENS1_35adjacent_difference_config_selectorILb0ElEEZNS1_24adjacent_difference_implIS3_Lb0ELb0EPlS7_ZN2at6native12_GLOBAL__N_124unique_dim_cuda_templateIaEESt5tupleIJNS8_6TensorESD_SD_EERKSD_lbbbEUlllE1_EE10hipError_tPvRmT2_T3_mT4_P12ihipStream_tbEUlT_E_NS1_11comp_targetILNS1_3genE3ELNS1_11target_archE908ELNS1_3gpuE7ELNS1_3repE0EEENS1_30default_config_static_selectorELNS0_4arch9wavefront6targetE0EEEvT1_,"axG",@progbits,_ZN7rocprim17ROCPRIM_400000_NS6detail17trampoline_kernelINS0_14default_configENS1_35adjacent_difference_config_selectorILb0ElEEZNS1_24adjacent_difference_implIS3_Lb0ELb0EPlS7_ZN2at6native12_GLOBAL__N_124unique_dim_cuda_templateIaEESt5tupleIJNS8_6TensorESD_SD_EERKSD_lbbbEUlllE1_EE10hipError_tPvRmT2_T3_mT4_P12ihipStream_tbEUlT_E_NS1_11comp_targetILNS1_3genE3ELNS1_11target_archE908ELNS1_3gpuE7ELNS1_3repE0EEENS1_30default_config_static_selectorELNS0_4arch9wavefront6targetE0EEEvT1_,comdat
.Lfunc_end298:
	.size	_ZN7rocprim17ROCPRIM_400000_NS6detail17trampoline_kernelINS0_14default_configENS1_35adjacent_difference_config_selectorILb0ElEEZNS1_24adjacent_difference_implIS3_Lb0ELb0EPlS7_ZN2at6native12_GLOBAL__N_124unique_dim_cuda_templateIaEESt5tupleIJNS8_6TensorESD_SD_EERKSD_lbbbEUlllE1_EE10hipError_tPvRmT2_T3_mT4_P12ihipStream_tbEUlT_E_NS1_11comp_targetILNS1_3genE3ELNS1_11target_archE908ELNS1_3gpuE7ELNS1_3repE0EEENS1_30default_config_static_selectorELNS0_4arch9wavefront6targetE0EEEvT1_, .Lfunc_end298-_ZN7rocprim17ROCPRIM_400000_NS6detail17trampoline_kernelINS0_14default_configENS1_35adjacent_difference_config_selectorILb0ElEEZNS1_24adjacent_difference_implIS3_Lb0ELb0EPlS7_ZN2at6native12_GLOBAL__N_124unique_dim_cuda_templateIaEESt5tupleIJNS8_6TensorESD_SD_EERKSD_lbbbEUlllE1_EE10hipError_tPvRmT2_T3_mT4_P12ihipStream_tbEUlT_E_NS1_11comp_targetILNS1_3genE3ELNS1_11target_archE908ELNS1_3gpuE7ELNS1_3repE0EEENS1_30default_config_static_selectorELNS0_4arch9wavefront6targetE0EEEvT1_
                                        ; -- End function
	.set _ZN7rocprim17ROCPRIM_400000_NS6detail17trampoline_kernelINS0_14default_configENS1_35adjacent_difference_config_selectorILb0ElEEZNS1_24adjacent_difference_implIS3_Lb0ELb0EPlS7_ZN2at6native12_GLOBAL__N_124unique_dim_cuda_templateIaEESt5tupleIJNS8_6TensorESD_SD_EERKSD_lbbbEUlllE1_EE10hipError_tPvRmT2_T3_mT4_P12ihipStream_tbEUlT_E_NS1_11comp_targetILNS1_3genE3ELNS1_11target_archE908ELNS1_3gpuE7ELNS1_3repE0EEENS1_30default_config_static_selectorELNS0_4arch9wavefront6targetE0EEEvT1_.num_vgpr, 0
	.set _ZN7rocprim17ROCPRIM_400000_NS6detail17trampoline_kernelINS0_14default_configENS1_35adjacent_difference_config_selectorILb0ElEEZNS1_24adjacent_difference_implIS3_Lb0ELb0EPlS7_ZN2at6native12_GLOBAL__N_124unique_dim_cuda_templateIaEESt5tupleIJNS8_6TensorESD_SD_EERKSD_lbbbEUlllE1_EE10hipError_tPvRmT2_T3_mT4_P12ihipStream_tbEUlT_E_NS1_11comp_targetILNS1_3genE3ELNS1_11target_archE908ELNS1_3gpuE7ELNS1_3repE0EEENS1_30default_config_static_selectorELNS0_4arch9wavefront6targetE0EEEvT1_.num_agpr, 0
	.set _ZN7rocprim17ROCPRIM_400000_NS6detail17trampoline_kernelINS0_14default_configENS1_35adjacent_difference_config_selectorILb0ElEEZNS1_24adjacent_difference_implIS3_Lb0ELb0EPlS7_ZN2at6native12_GLOBAL__N_124unique_dim_cuda_templateIaEESt5tupleIJNS8_6TensorESD_SD_EERKSD_lbbbEUlllE1_EE10hipError_tPvRmT2_T3_mT4_P12ihipStream_tbEUlT_E_NS1_11comp_targetILNS1_3genE3ELNS1_11target_archE908ELNS1_3gpuE7ELNS1_3repE0EEENS1_30default_config_static_selectorELNS0_4arch9wavefront6targetE0EEEvT1_.numbered_sgpr, 0
	.set _ZN7rocprim17ROCPRIM_400000_NS6detail17trampoline_kernelINS0_14default_configENS1_35adjacent_difference_config_selectorILb0ElEEZNS1_24adjacent_difference_implIS3_Lb0ELb0EPlS7_ZN2at6native12_GLOBAL__N_124unique_dim_cuda_templateIaEESt5tupleIJNS8_6TensorESD_SD_EERKSD_lbbbEUlllE1_EE10hipError_tPvRmT2_T3_mT4_P12ihipStream_tbEUlT_E_NS1_11comp_targetILNS1_3genE3ELNS1_11target_archE908ELNS1_3gpuE7ELNS1_3repE0EEENS1_30default_config_static_selectorELNS0_4arch9wavefront6targetE0EEEvT1_.num_named_barrier, 0
	.set _ZN7rocprim17ROCPRIM_400000_NS6detail17trampoline_kernelINS0_14default_configENS1_35adjacent_difference_config_selectorILb0ElEEZNS1_24adjacent_difference_implIS3_Lb0ELb0EPlS7_ZN2at6native12_GLOBAL__N_124unique_dim_cuda_templateIaEESt5tupleIJNS8_6TensorESD_SD_EERKSD_lbbbEUlllE1_EE10hipError_tPvRmT2_T3_mT4_P12ihipStream_tbEUlT_E_NS1_11comp_targetILNS1_3genE3ELNS1_11target_archE908ELNS1_3gpuE7ELNS1_3repE0EEENS1_30default_config_static_selectorELNS0_4arch9wavefront6targetE0EEEvT1_.private_seg_size, 0
	.set _ZN7rocprim17ROCPRIM_400000_NS6detail17trampoline_kernelINS0_14default_configENS1_35adjacent_difference_config_selectorILb0ElEEZNS1_24adjacent_difference_implIS3_Lb0ELb0EPlS7_ZN2at6native12_GLOBAL__N_124unique_dim_cuda_templateIaEESt5tupleIJNS8_6TensorESD_SD_EERKSD_lbbbEUlllE1_EE10hipError_tPvRmT2_T3_mT4_P12ihipStream_tbEUlT_E_NS1_11comp_targetILNS1_3genE3ELNS1_11target_archE908ELNS1_3gpuE7ELNS1_3repE0EEENS1_30default_config_static_selectorELNS0_4arch9wavefront6targetE0EEEvT1_.uses_vcc, 0
	.set _ZN7rocprim17ROCPRIM_400000_NS6detail17trampoline_kernelINS0_14default_configENS1_35adjacent_difference_config_selectorILb0ElEEZNS1_24adjacent_difference_implIS3_Lb0ELb0EPlS7_ZN2at6native12_GLOBAL__N_124unique_dim_cuda_templateIaEESt5tupleIJNS8_6TensorESD_SD_EERKSD_lbbbEUlllE1_EE10hipError_tPvRmT2_T3_mT4_P12ihipStream_tbEUlT_E_NS1_11comp_targetILNS1_3genE3ELNS1_11target_archE908ELNS1_3gpuE7ELNS1_3repE0EEENS1_30default_config_static_selectorELNS0_4arch9wavefront6targetE0EEEvT1_.uses_flat_scratch, 0
	.set _ZN7rocprim17ROCPRIM_400000_NS6detail17trampoline_kernelINS0_14default_configENS1_35adjacent_difference_config_selectorILb0ElEEZNS1_24adjacent_difference_implIS3_Lb0ELb0EPlS7_ZN2at6native12_GLOBAL__N_124unique_dim_cuda_templateIaEESt5tupleIJNS8_6TensorESD_SD_EERKSD_lbbbEUlllE1_EE10hipError_tPvRmT2_T3_mT4_P12ihipStream_tbEUlT_E_NS1_11comp_targetILNS1_3genE3ELNS1_11target_archE908ELNS1_3gpuE7ELNS1_3repE0EEENS1_30default_config_static_selectorELNS0_4arch9wavefront6targetE0EEEvT1_.has_dyn_sized_stack, 0
	.set _ZN7rocprim17ROCPRIM_400000_NS6detail17trampoline_kernelINS0_14default_configENS1_35adjacent_difference_config_selectorILb0ElEEZNS1_24adjacent_difference_implIS3_Lb0ELb0EPlS7_ZN2at6native12_GLOBAL__N_124unique_dim_cuda_templateIaEESt5tupleIJNS8_6TensorESD_SD_EERKSD_lbbbEUlllE1_EE10hipError_tPvRmT2_T3_mT4_P12ihipStream_tbEUlT_E_NS1_11comp_targetILNS1_3genE3ELNS1_11target_archE908ELNS1_3gpuE7ELNS1_3repE0EEENS1_30default_config_static_selectorELNS0_4arch9wavefront6targetE0EEEvT1_.has_recursion, 0
	.set _ZN7rocprim17ROCPRIM_400000_NS6detail17trampoline_kernelINS0_14default_configENS1_35adjacent_difference_config_selectorILb0ElEEZNS1_24adjacent_difference_implIS3_Lb0ELb0EPlS7_ZN2at6native12_GLOBAL__N_124unique_dim_cuda_templateIaEESt5tupleIJNS8_6TensorESD_SD_EERKSD_lbbbEUlllE1_EE10hipError_tPvRmT2_T3_mT4_P12ihipStream_tbEUlT_E_NS1_11comp_targetILNS1_3genE3ELNS1_11target_archE908ELNS1_3gpuE7ELNS1_3repE0EEENS1_30default_config_static_selectorELNS0_4arch9wavefront6targetE0EEEvT1_.has_indirect_call, 0
	.section	.AMDGPU.csdata,"",@progbits
; Kernel info:
; codeLenInByte = 0
; TotalNumSgprs: 0
; NumVgprs: 0
; ScratchSize: 0
; MemoryBound: 0
; FloatMode: 240
; IeeeMode: 1
; LDSByteSize: 0 bytes/workgroup (compile time only)
; SGPRBlocks: 0
; VGPRBlocks: 0
; NumSGPRsForWavesPerEU: 1
; NumVGPRsForWavesPerEU: 1
; NamedBarCnt: 0
; Occupancy: 16
; WaveLimiterHint : 0
; COMPUTE_PGM_RSRC2:SCRATCH_EN: 0
; COMPUTE_PGM_RSRC2:USER_SGPR: 2
; COMPUTE_PGM_RSRC2:TRAP_HANDLER: 0
; COMPUTE_PGM_RSRC2:TGID_X_EN: 1
; COMPUTE_PGM_RSRC2:TGID_Y_EN: 0
; COMPUTE_PGM_RSRC2:TGID_Z_EN: 0
; COMPUTE_PGM_RSRC2:TIDIG_COMP_CNT: 0
	.section	.text._ZN7rocprim17ROCPRIM_400000_NS6detail17trampoline_kernelINS0_14default_configENS1_35adjacent_difference_config_selectorILb0ElEEZNS1_24adjacent_difference_implIS3_Lb0ELb0EPlS7_ZN2at6native12_GLOBAL__N_124unique_dim_cuda_templateIaEESt5tupleIJNS8_6TensorESD_SD_EERKSD_lbbbEUlllE1_EE10hipError_tPvRmT2_T3_mT4_P12ihipStream_tbEUlT_E_NS1_11comp_targetILNS1_3genE2ELNS1_11target_archE906ELNS1_3gpuE6ELNS1_3repE0EEENS1_30default_config_static_selectorELNS0_4arch9wavefront6targetE0EEEvT1_,"axG",@progbits,_ZN7rocprim17ROCPRIM_400000_NS6detail17trampoline_kernelINS0_14default_configENS1_35adjacent_difference_config_selectorILb0ElEEZNS1_24adjacent_difference_implIS3_Lb0ELb0EPlS7_ZN2at6native12_GLOBAL__N_124unique_dim_cuda_templateIaEESt5tupleIJNS8_6TensorESD_SD_EERKSD_lbbbEUlllE1_EE10hipError_tPvRmT2_T3_mT4_P12ihipStream_tbEUlT_E_NS1_11comp_targetILNS1_3genE2ELNS1_11target_archE906ELNS1_3gpuE6ELNS1_3repE0EEENS1_30default_config_static_selectorELNS0_4arch9wavefront6targetE0EEEvT1_,comdat
	.globl	_ZN7rocprim17ROCPRIM_400000_NS6detail17trampoline_kernelINS0_14default_configENS1_35adjacent_difference_config_selectorILb0ElEEZNS1_24adjacent_difference_implIS3_Lb0ELb0EPlS7_ZN2at6native12_GLOBAL__N_124unique_dim_cuda_templateIaEESt5tupleIJNS8_6TensorESD_SD_EERKSD_lbbbEUlllE1_EE10hipError_tPvRmT2_T3_mT4_P12ihipStream_tbEUlT_E_NS1_11comp_targetILNS1_3genE2ELNS1_11target_archE906ELNS1_3gpuE6ELNS1_3repE0EEENS1_30default_config_static_selectorELNS0_4arch9wavefront6targetE0EEEvT1_ ; -- Begin function _ZN7rocprim17ROCPRIM_400000_NS6detail17trampoline_kernelINS0_14default_configENS1_35adjacent_difference_config_selectorILb0ElEEZNS1_24adjacent_difference_implIS3_Lb0ELb0EPlS7_ZN2at6native12_GLOBAL__N_124unique_dim_cuda_templateIaEESt5tupleIJNS8_6TensorESD_SD_EERKSD_lbbbEUlllE1_EE10hipError_tPvRmT2_T3_mT4_P12ihipStream_tbEUlT_E_NS1_11comp_targetILNS1_3genE2ELNS1_11target_archE906ELNS1_3gpuE6ELNS1_3repE0EEENS1_30default_config_static_selectorELNS0_4arch9wavefront6targetE0EEEvT1_
	.p2align	8
	.type	_ZN7rocprim17ROCPRIM_400000_NS6detail17trampoline_kernelINS0_14default_configENS1_35adjacent_difference_config_selectorILb0ElEEZNS1_24adjacent_difference_implIS3_Lb0ELb0EPlS7_ZN2at6native12_GLOBAL__N_124unique_dim_cuda_templateIaEESt5tupleIJNS8_6TensorESD_SD_EERKSD_lbbbEUlllE1_EE10hipError_tPvRmT2_T3_mT4_P12ihipStream_tbEUlT_E_NS1_11comp_targetILNS1_3genE2ELNS1_11target_archE906ELNS1_3gpuE6ELNS1_3repE0EEENS1_30default_config_static_selectorELNS0_4arch9wavefront6targetE0EEEvT1_,@function
_ZN7rocprim17ROCPRIM_400000_NS6detail17trampoline_kernelINS0_14default_configENS1_35adjacent_difference_config_selectorILb0ElEEZNS1_24adjacent_difference_implIS3_Lb0ELb0EPlS7_ZN2at6native12_GLOBAL__N_124unique_dim_cuda_templateIaEESt5tupleIJNS8_6TensorESD_SD_EERKSD_lbbbEUlllE1_EE10hipError_tPvRmT2_T3_mT4_P12ihipStream_tbEUlT_E_NS1_11comp_targetILNS1_3genE2ELNS1_11target_archE906ELNS1_3gpuE6ELNS1_3repE0EEENS1_30default_config_static_selectorELNS0_4arch9wavefront6targetE0EEEvT1_: ; @_ZN7rocprim17ROCPRIM_400000_NS6detail17trampoline_kernelINS0_14default_configENS1_35adjacent_difference_config_selectorILb0ElEEZNS1_24adjacent_difference_implIS3_Lb0ELb0EPlS7_ZN2at6native12_GLOBAL__N_124unique_dim_cuda_templateIaEESt5tupleIJNS8_6TensorESD_SD_EERKSD_lbbbEUlllE1_EE10hipError_tPvRmT2_T3_mT4_P12ihipStream_tbEUlT_E_NS1_11comp_targetILNS1_3genE2ELNS1_11target_archE906ELNS1_3gpuE6ELNS1_3repE0EEENS1_30default_config_static_selectorELNS0_4arch9wavefront6targetE0EEEvT1_
; %bb.0:
	.section	.rodata,"a",@progbits
	.p2align	6, 0x0
	.amdhsa_kernel _ZN7rocprim17ROCPRIM_400000_NS6detail17trampoline_kernelINS0_14default_configENS1_35adjacent_difference_config_selectorILb0ElEEZNS1_24adjacent_difference_implIS3_Lb0ELb0EPlS7_ZN2at6native12_GLOBAL__N_124unique_dim_cuda_templateIaEESt5tupleIJNS8_6TensorESD_SD_EERKSD_lbbbEUlllE1_EE10hipError_tPvRmT2_T3_mT4_P12ihipStream_tbEUlT_E_NS1_11comp_targetILNS1_3genE2ELNS1_11target_archE906ELNS1_3gpuE6ELNS1_3repE0EEENS1_30default_config_static_selectorELNS0_4arch9wavefront6targetE0EEEvT1_
		.amdhsa_group_segment_fixed_size 0
		.amdhsa_private_segment_fixed_size 0
		.amdhsa_kernarg_size 64
		.amdhsa_user_sgpr_count 2
		.amdhsa_user_sgpr_dispatch_ptr 0
		.amdhsa_user_sgpr_queue_ptr 0
		.amdhsa_user_sgpr_kernarg_segment_ptr 1
		.amdhsa_user_sgpr_dispatch_id 0
		.amdhsa_user_sgpr_kernarg_preload_length 0
		.amdhsa_user_sgpr_kernarg_preload_offset 0
		.amdhsa_user_sgpr_private_segment_size 0
		.amdhsa_wavefront_size32 1
		.amdhsa_uses_dynamic_stack 0
		.amdhsa_enable_private_segment 0
		.amdhsa_system_sgpr_workgroup_id_x 1
		.amdhsa_system_sgpr_workgroup_id_y 0
		.amdhsa_system_sgpr_workgroup_id_z 0
		.amdhsa_system_sgpr_workgroup_info 0
		.amdhsa_system_vgpr_workitem_id 0
		.amdhsa_next_free_vgpr 1
		.amdhsa_next_free_sgpr 1
		.amdhsa_named_barrier_count 0
		.amdhsa_reserve_vcc 0
		.amdhsa_float_round_mode_32 0
		.amdhsa_float_round_mode_16_64 0
		.amdhsa_float_denorm_mode_32 3
		.amdhsa_float_denorm_mode_16_64 3
		.amdhsa_fp16_overflow 0
		.amdhsa_memory_ordered 1
		.amdhsa_forward_progress 1
		.amdhsa_inst_pref_size 0
		.amdhsa_round_robin_scheduling 0
		.amdhsa_exception_fp_ieee_invalid_op 0
		.amdhsa_exception_fp_denorm_src 0
		.amdhsa_exception_fp_ieee_div_zero 0
		.amdhsa_exception_fp_ieee_overflow 0
		.amdhsa_exception_fp_ieee_underflow 0
		.amdhsa_exception_fp_ieee_inexact 0
		.amdhsa_exception_int_div_zero 0
	.end_amdhsa_kernel
	.section	.text._ZN7rocprim17ROCPRIM_400000_NS6detail17trampoline_kernelINS0_14default_configENS1_35adjacent_difference_config_selectorILb0ElEEZNS1_24adjacent_difference_implIS3_Lb0ELb0EPlS7_ZN2at6native12_GLOBAL__N_124unique_dim_cuda_templateIaEESt5tupleIJNS8_6TensorESD_SD_EERKSD_lbbbEUlllE1_EE10hipError_tPvRmT2_T3_mT4_P12ihipStream_tbEUlT_E_NS1_11comp_targetILNS1_3genE2ELNS1_11target_archE906ELNS1_3gpuE6ELNS1_3repE0EEENS1_30default_config_static_selectorELNS0_4arch9wavefront6targetE0EEEvT1_,"axG",@progbits,_ZN7rocprim17ROCPRIM_400000_NS6detail17trampoline_kernelINS0_14default_configENS1_35adjacent_difference_config_selectorILb0ElEEZNS1_24adjacent_difference_implIS3_Lb0ELb0EPlS7_ZN2at6native12_GLOBAL__N_124unique_dim_cuda_templateIaEESt5tupleIJNS8_6TensorESD_SD_EERKSD_lbbbEUlllE1_EE10hipError_tPvRmT2_T3_mT4_P12ihipStream_tbEUlT_E_NS1_11comp_targetILNS1_3genE2ELNS1_11target_archE906ELNS1_3gpuE6ELNS1_3repE0EEENS1_30default_config_static_selectorELNS0_4arch9wavefront6targetE0EEEvT1_,comdat
.Lfunc_end299:
	.size	_ZN7rocprim17ROCPRIM_400000_NS6detail17trampoline_kernelINS0_14default_configENS1_35adjacent_difference_config_selectorILb0ElEEZNS1_24adjacent_difference_implIS3_Lb0ELb0EPlS7_ZN2at6native12_GLOBAL__N_124unique_dim_cuda_templateIaEESt5tupleIJNS8_6TensorESD_SD_EERKSD_lbbbEUlllE1_EE10hipError_tPvRmT2_T3_mT4_P12ihipStream_tbEUlT_E_NS1_11comp_targetILNS1_3genE2ELNS1_11target_archE906ELNS1_3gpuE6ELNS1_3repE0EEENS1_30default_config_static_selectorELNS0_4arch9wavefront6targetE0EEEvT1_, .Lfunc_end299-_ZN7rocprim17ROCPRIM_400000_NS6detail17trampoline_kernelINS0_14default_configENS1_35adjacent_difference_config_selectorILb0ElEEZNS1_24adjacent_difference_implIS3_Lb0ELb0EPlS7_ZN2at6native12_GLOBAL__N_124unique_dim_cuda_templateIaEESt5tupleIJNS8_6TensorESD_SD_EERKSD_lbbbEUlllE1_EE10hipError_tPvRmT2_T3_mT4_P12ihipStream_tbEUlT_E_NS1_11comp_targetILNS1_3genE2ELNS1_11target_archE906ELNS1_3gpuE6ELNS1_3repE0EEENS1_30default_config_static_selectorELNS0_4arch9wavefront6targetE0EEEvT1_
                                        ; -- End function
	.set _ZN7rocprim17ROCPRIM_400000_NS6detail17trampoline_kernelINS0_14default_configENS1_35adjacent_difference_config_selectorILb0ElEEZNS1_24adjacent_difference_implIS3_Lb0ELb0EPlS7_ZN2at6native12_GLOBAL__N_124unique_dim_cuda_templateIaEESt5tupleIJNS8_6TensorESD_SD_EERKSD_lbbbEUlllE1_EE10hipError_tPvRmT2_T3_mT4_P12ihipStream_tbEUlT_E_NS1_11comp_targetILNS1_3genE2ELNS1_11target_archE906ELNS1_3gpuE6ELNS1_3repE0EEENS1_30default_config_static_selectorELNS0_4arch9wavefront6targetE0EEEvT1_.num_vgpr, 0
	.set _ZN7rocprim17ROCPRIM_400000_NS6detail17trampoline_kernelINS0_14default_configENS1_35adjacent_difference_config_selectorILb0ElEEZNS1_24adjacent_difference_implIS3_Lb0ELb0EPlS7_ZN2at6native12_GLOBAL__N_124unique_dim_cuda_templateIaEESt5tupleIJNS8_6TensorESD_SD_EERKSD_lbbbEUlllE1_EE10hipError_tPvRmT2_T3_mT4_P12ihipStream_tbEUlT_E_NS1_11comp_targetILNS1_3genE2ELNS1_11target_archE906ELNS1_3gpuE6ELNS1_3repE0EEENS1_30default_config_static_selectorELNS0_4arch9wavefront6targetE0EEEvT1_.num_agpr, 0
	.set _ZN7rocprim17ROCPRIM_400000_NS6detail17trampoline_kernelINS0_14default_configENS1_35adjacent_difference_config_selectorILb0ElEEZNS1_24adjacent_difference_implIS3_Lb0ELb0EPlS7_ZN2at6native12_GLOBAL__N_124unique_dim_cuda_templateIaEESt5tupleIJNS8_6TensorESD_SD_EERKSD_lbbbEUlllE1_EE10hipError_tPvRmT2_T3_mT4_P12ihipStream_tbEUlT_E_NS1_11comp_targetILNS1_3genE2ELNS1_11target_archE906ELNS1_3gpuE6ELNS1_3repE0EEENS1_30default_config_static_selectorELNS0_4arch9wavefront6targetE0EEEvT1_.numbered_sgpr, 0
	.set _ZN7rocprim17ROCPRIM_400000_NS6detail17trampoline_kernelINS0_14default_configENS1_35adjacent_difference_config_selectorILb0ElEEZNS1_24adjacent_difference_implIS3_Lb0ELb0EPlS7_ZN2at6native12_GLOBAL__N_124unique_dim_cuda_templateIaEESt5tupleIJNS8_6TensorESD_SD_EERKSD_lbbbEUlllE1_EE10hipError_tPvRmT2_T3_mT4_P12ihipStream_tbEUlT_E_NS1_11comp_targetILNS1_3genE2ELNS1_11target_archE906ELNS1_3gpuE6ELNS1_3repE0EEENS1_30default_config_static_selectorELNS0_4arch9wavefront6targetE0EEEvT1_.num_named_barrier, 0
	.set _ZN7rocprim17ROCPRIM_400000_NS6detail17trampoline_kernelINS0_14default_configENS1_35adjacent_difference_config_selectorILb0ElEEZNS1_24adjacent_difference_implIS3_Lb0ELb0EPlS7_ZN2at6native12_GLOBAL__N_124unique_dim_cuda_templateIaEESt5tupleIJNS8_6TensorESD_SD_EERKSD_lbbbEUlllE1_EE10hipError_tPvRmT2_T3_mT4_P12ihipStream_tbEUlT_E_NS1_11comp_targetILNS1_3genE2ELNS1_11target_archE906ELNS1_3gpuE6ELNS1_3repE0EEENS1_30default_config_static_selectorELNS0_4arch9wavefront6targetE0EEEvT1_.private_seg_size, 0
	.set _ZN7rocprim17ROCPRIM_400000_NS6detail17trampoline_kernelINS0_14default_configENS1_35adjacent_difference_config_selectorILb0ElEEZNS1_24adjacent_difference_implIS3_Lb0ELb0EPlS7_ZN2at6native12_GLOBAL__N_124unique_dim_cuda_templateIaEESt5tupleIJNS8_6TensorESD_SD_EERKSD_lbbbEUlllE1_EE10hipError_tPvRmT2_T3_mT4_P12ihipStream_tbEUlT_E_NS1_11comp_targetILNS1_3genE2ELNS1_11target_archE906ELNS1_3gpuE6ELNS1_3repE0EEENS1_30default_config_static_selectorELNS0_4arch9wavefront6targetE0EEEvT1_.uses_vcc, 0
	.set _ZN7rocprim17ROCPRIM_400000_NS6detail17trampoline_kernelINS0_14default_configENS1_35adjacent_difference_config_selectorILb0ElEEZNS1_24adjacent_difference_implIS3_Lb0ELb0EPlS7_ZN2at6native12_GLOBAL__N_124unique_dim_cuda_templateIaEESt5tupleIJNS8_6TensorESD_SD_EERKSD_lbbbEUlllE1_EE10hipError_tPvRmT2_T3_mT4_P12ihipStream_tbEUlT_E_NS1_11comp_targetILNS1_3genE2ELNS1_11target_archE906ELNS1_3gpuE6ELNS1_3repE0EEENS1_30default_config_static_selectorELNS0_4arch9wavefront6targetE0EEEvT1_.uses_flat_scratch, 0
	.set _ZN7rocprim17ROCPRIM_400000_NS6detail17trampoline_kernelINS0_14default_configENS1_35adjacent_difference_config_selectorILb0ElEEZNS1_24adjacent_difference_implIS3_Lb0ELb0EPlS7_ZN2at6native12_GLOBAL__N_124unique_dim_cuda_templateIaEESt5tupleIJNS8_6TensorESD_SD_EERKSD_lbbbEUlllE1_EE10hipError_tPvRmT2_T3_mT4_P12ihipStream_tbEUlT_E_NS1_11comp_targetILNS1_3genE2ELNS1_11target_archE906ELNS1_3gpuE6ELNS1_3repE0EEENS1_30default_config_static_selectorELNS0_4arch9wavefront6targetE0EEEvT1_.has_dyn_sized_stack, 0
	.set _ZN7rocprim17ROCPRIM_400000_NS6detail17trampoline_kernelINS0_14default_configENS1_35adjacent_difference_config_selectorILb0ElEEZNS1_24adjacent_difference_implIS3_Lb0ELb0EPlS7_ZN2at6native12_GLOBAL__N_124unique_dim_cuda_templateIaEESt5tupleIJNS8_6TensorESD_SD_EERKSD_lbbbEUlllE1_EE10hipError_tPvRmT2_T3_mT4_P12ihipStream_tbEUlT_E_NS1_11comp_targetILNS1_3genE2ELNS1_11target_archE906ELNS1_3gpuE6ELNS1_3repE0EEENS1_30default_config_static_selectorELNS0_4arch9wavefront6targetE0EEEvT1_.has_recursion, 0
	.set _ZN7rocprim17ROCPRIM_400000_NS6detail17trampoline_kernelINS0_14default_configENS1_35adjacent_difference_config_selectorILb0ElEEZNS1_24adjacent_difference_implIS3_Lb0ELb0EPlS7_ZN2at6native12_GLOBAL__N_124unique_dim_cuda_templateIaEESt5tupleIJNS8_6TensorESD_SD_EERKSD_lbbbEUlllE1_EE10hipError_tPvRmT2_T3_mT4_P12ihipStream_tbEUlT_E_NS1_11comp_targetILNS1_3genE2ELNS1_11target_archE906ELNS1_3gpuE6ELNS1_3repE0EEENS1_30default_config_static_selectorELNS0_4arch9wavefront6targetE0EEEvT1_.has_indirect_call, 0
	.section	.AMDGPU.csdata,"",@progbits
; Kernel info:
; codeLenInByte = 0
; TotalNumSgprs: 0
; NumVgprs: 0
; ScratchSize: 0
; MemoryBound: 0
; FloatMode: 240
; IeeeMode: 1
; LDSByteSize: 0 bytes/workgroup (compile time only)
; SGPRBlocks: 0
; VGPRBlocks: 0
; NumSGPRsForWavesPerEU: 1
; NumVGPRsForWavesPerEU: 1
; NamedBarCnt: 0
; Occupancy: 16
; WaveLimiterHint : 0
; COMPUTE_PGM_RSRC2:SCRATCH_EN: 0
; COMPUTE_PGM_RSRC2:USER_SGPR: 2
; COMPUTE_PGM_RSRC2:TRAP_HANDLER: 0
; COMPUTE_PGM_RSRC2:TGID_X_EN: 1
; COMPUTE_PGM_RSRC2:TGID_Y_EN: 0
; COMPUTE_PGM_RSRC2:TGID_Z_EN: 0
; COMPUTE_PGM_RSRC2:TIDIG_COMP_CNT: 0
	.section	.text._ZN7rocprim17ROCPRIM_400000_NS6detail17trampoline_kernelINS0_14default_configENS1_35adjacent_difference_config_selectorILb0ElEEZNS1_24adjacent_difference_implIS3_Lb0ELb0EPlS7_ZN2at6native12_GLOBAL__N_124unique_dim_cuda_templateIaEESt5tupleIJNS8_6TensorESD_SD_EERKSD_lbbbEUlllE1_EE10hipError_tPvRmT2_T3_mT4_P12ihipStream_tbEUlT_E_NS1_11comp_targetILNS1_3genE9ELNS1_11target_archE1100ELNS1_3gpuE3ELNS1_3repE0EEENS1_30default_config_static_selectorELNS0_4arch9wavefront6targetE0EEEvT1_,"axG",@progbits,_ZN7rocprim17ROCPRIM_400000_NS6detail17trampoline_kernelINS0_14default_configENS1_35adjacent_difference_config_selectorILb0ElEEZNS1_24adjacent_difference_implIS3_Lb0ELb0EPlS7_ZN2at6native12_GLOBAL__N_124unique_dim_cuda_templateIaEESt5tupleIJNS8_6TensorESD_SD_EERKSD_lbbbEUlllE1_EE10hipError_tPvRmT2_T3_mT4_P12ihipStream_tbEUlT_E_NS1_11comp_targetILNS1_3genE9ELNS1_11target_archE1100ELNS1_3gpuE3ELNS1_3repE0EEENS1_30default_config_static_selectorELNS0_4arch9wavefront6targetE0EEEvT1_,comdat
	.globl	_ZN7rocprim17ROCPRIM_400000_NS6detail17trampoline_kernelINS0_14default_configENS1_35adjacent_difference_config_selectorILb0ElEEZNS1_24adjacent_difference_implIS3_Lb0ELb0EPlS7_ZN2at6native12_GLOBAL__N_124unique_dim_cuda_templateIaEESt5tupleIJNS8_6TensorESD_SD_EERKSD_lbbbEUlllE1_EE10hipError_tPvRmT2_T3_mT4_P12ihipStream_tbEUlT_E_NS1_11comp_targetILNS1_3genE9ELNS1_11target_archE1100ELNS1_3gpuE3ELNS1_3repE0EEENS1_30default_config_static_selectorELNS0_4arch9wavefront6targetE0EEEvT1_ ; -- Begin function _ZN7rocprim17ROCPRIM_400000_NS6detail17trampoline_kernelINS0_14default_configENS1_35adjacent_difference_config_selectorILb0ElEEZNS1_24adjacent_difference_implIS3_Lb0ELb0EPlS7_ZN2at6native12_GLOBAL__N_124unique_dim_cuda_templateIaEESt5tupleIJNS8_6TensorESD_SD_EERKSD_lbbbEUlllE1_EE10hipError_tPvRmT2_T3_mT4_P12ihipStream_tbEUlT_E_NS1_11comp_targetILNS1_3genE9ELNS1_11target_archE1100ELNS1_3gpuE3ELNS1_3repE0EEENS1_30default_config_static_selectorELNS0_4arch9wavefront6targetE0EEEvT1_
	.p2align	8
	.type	_ZN7rocprim17ROCPRIM_400000_NS6detail17trampoline_kernelINS0_14default_configENS1_35adjacent_difference_config_selectorILb0ElEEZNS1_24adjacent_difference_implIS3_Lb0ELb0EPlS7_ZN2at6native12_GLOBAL__N_124unique_dim_cuda_templateIaEESt5tupleIJNS8_6TensorESD_SD_EERKSD_lbbbEUlllE1_EE10hipError_tPvRmT2_T3_mT4_P12ihipStream_tbEUlT_E_NS1_11comp_targetILNS1_3genE9ELNS1_11target_archE1100ELNS1_3gpuE3ELNS1_3repE0EEENS1_30default_config_static_selectorELNS0_4arch9wavefront6targetE0EEEvT1_,@function
_ZN7rocprim17ROCPRIM_400000_NS6detail17trampoline_kernelINS0_14default_configENS1_35adjacent_difference_config_selectorILb0ElEEZNS1_24adjacent_difference_implIS3_Lb0ELb0EPlS7_ZN2at6native12_GLOBAL__N_124unique_dim_cuda_templateIaEESt5tupleIJNS8_6TensorESD_SD_EERKSD_lbbbEUlllE1_EE10hipError_tPvRmT2_T3_mT4_P12ihipStream_tbEUlT_E_NS1_11comp_targetILNS1_3genE9ELNS1_11target_archE1100ELNS1_3gpuE3ELNS1_3repE0EEENS1_30default_config_static_selectorELNS0_4arch9wavefront6targetE0EEEvT1_: ; @_ZN7rocprim17ROCPRIM_400000_NS6detail17trampoline_kernelINS0_14default_configENS1_35adjacent_difference_config_selectorILb0ElEEZNS1_24adjacent_difference_implIS3_Lb0ELb0EPlS7_ZN2at6native12_GLOBAL__N_124unique_dim_cuda_templateIaEESt5tupleIJNS8_6TensorESD_SD_EERKSD_lbbbEUlllE1_EE10hipError_tPvRmT2_T3_mT4_P12ihipStream_tbEUlT_E_NS1_11comp_targetILNS1_3genE9ELNS1_11target_archE1100ELNS1_3gpuE3ELNS1_3repE0EEENS1_30default_config_static_selectorELNS0_4arch9wavefront6targetE0EEEvT1_
; %bb.0:
	.section	.rodata,"a",@progbits
	.p2align	6, 0x0
	.amdhsa_kernel _ZN7rocprim17ROCPRIM_400000_NS6detail17trampoline_kernelINS0_14default_configENS1_35adjacent_difference_config_selectorILb0ElEEZNS1_24adjacent_difference_implIS3_Lb0ELb0EPlS7_ZN2at6native12_GLOBAL__N_124unique_dim_cuda_templateIaEESt5tupleIJNS8_6TensorESD_SD_EERKSD_lbbbEUlllE1_EE10hipError_tPvRmT2_T3_mT4_P12ihipStream_tbEUlT_E_NS1_11comp_targetILNS1_3genE9ELNS1_11target_archE1100ELNS1_3gpuE3ELNS1_3repE0EEENS1_30default_config_static_selectorELNS0_4arch9wavefront6targetE0EEEvT1_
		.amdhsa_group_segment_fixed_size 0
		.amdhsa_private_segment_fixed_size 0
		.amdhsa_kernarg_size 64
		.amdhsa_user_sgpr_count 2
		.amdhsa_user_sgpr_dispatch_ptr 0
		.amdhsa_user_sgpr_queue_ptr 0
		.amdhsa_user_sgpr_kernarg_segment_ptr 1
		.amdhsa_user_sgpr_dispatch_id 0
		.amdhsa_user_sgpr_kernarg_preload_length 0
		.amdhsa_user_sgpr_kernarg_preload_offset 0
		.amdhsa_user_sgpr_private_segment_size 0
		.amdhsa_wavefront_size32 1
		.amdhsa_uses_dynamic_stack 0
		.amdhsa_enable_private_segment 0
		.amdhsa_system_sgpr_workgroup_id_x 1
		.amdhsa_system_sgpr_workgroup_id_y 0
		.amdhsa_system_sgpr_workgroup_id_z 0
		.amdhsa_system_sgpr_workgroup_info 0
		.amdhsa_system_vgpr_workitem_id 0
		.amdhsa_next_free_vgpr 1
		.amdhsa_next_free_sgpr 1
		.amdhsa_named_barrier_count 0
		.amdhsa_reserve_vcc 0
		.amdhsa_float_round_mode_32 0
		.amdhsa_float_round_mode_16_64 0
		.amdhsa_float_denorm_mode_32 3
		.amdhsa_float_denorm_mode_16_64 3
		.amdhsa_fp16_overflow 0
		.amdhsa_memory_ordered 1
		.amdhsa_forward_progress 1
		.amdhsa_inst_pref_size 0
		.amdhsa_round_robin_scheduling 0
		.amdhsa_exception_fp_ieee_invalid_op 0
		.amdhsa_exception_fp_denorm_src 0
		.amdhsa_exception_fp_ieee_div_zero 0
		.amdhsa_exception_fp_ieee_overflow 0
		.amdhsa_exception_fp_ieee_underflow 0
		.amdhsa_exception_fp_ieee_inexact 0
		.amdhsa_exception_int_div_zero 0
	.end_amdhsa_kernel
	.section	.text._ZN7rocprim17ROCPRIM_400000_NS6detail17trampoline_kernelINS0_14default_configENS1_35adjacent_difference_config_selectorILb0ElEEZNS1_24adjacent_difference_implIS3_Lb0ELb0EPlS7_ZN2at6native12_GLOBAL__N_124unique_dim_cuda_templateIaEESt5tupleIJNS8_6TensorESD_SD_EERKSD_lbbbEUlllE1_EE10hipError_tPvRmT2_T3_mT4_P12ihipStream_tbEUlT_E_NS1_11comp_targetILNS1_3genE9ELNS1_11target_archE1100ELNS1_3gpuE3ELNS1_3repE0EEENS1_30default_config_static_selectorELNS0_4arch9wavefront6targetE0EEEvT1_,"axG",@progbits,_ZN7rocprim17ROCPRIM_400000_NS6detail17trampoline_kernelINS0_14default_configENS1_35adjacent_difference_config_selectorILb0ElEEZNS1_24adjacent_difference_implIS3_Lb0ELb0EPlS7_ZN2at6native12_GLOBAL__N_124unique_dim_cuda_templateIaEESt5tupleIJNS8_6TensorESD_SD_EERKSD_lbbbEUlllE1_EE10hipError_tPvRmT2_T3_mT4_P12ihipStream_tbEUlT_E_NS1_11comp_targetILNS1_3genE9ELNS1_11target_archE1100ELNS1_3gpuE3ELNS1_3repE0EEENS1_30default_config_static_selectorELNS0_4arch9wavefront6targetE0EEEvT1_,comdat
.Lfunc_end300:
	.size	_ZN7rocprim17ROCPRIM_400000_NS6detail17trampoline_kernelINS0_14default_configENS1_35adjacent_difference_config_selectorILb0ElEEZNS1_24adjacent_difference_implIS3_Lb0ELb0EPlS7_ZN2at6native12_GLOBAL__N_124unique_dim_cuda_templateIaEESt5tupleIJNS8_6TensorESD_SD_EERKSD_lbbbEUlllE1_EE10hipError_tPvRmT2_T3_mT4_P12ihipStream_tbEUlT_E_NS1_11comp_targetILNS1_3genE9ELNS1_11target_archE1100ELNS1_3gpuE3ELNS1_3repE0EEENS1_30default_config_static_selectorELNS0_4arch9wavefront6targetE0EEEvT1_, .Lfunc_end300-_ZN7rocprim17ROCPRIM_400000_NS6detail17trampoline_kernelINS0_14default_configENS1_35adjacent_difference_config_selectorILb0ElEEZNS1_24adjacent_difference_implIS3_Lb0ELb0EPlS7_ZN2at6native12_GLOBAL__N_124unique_dim_cuda_templateIaEESt5tupleIJNS8_6TensorESD_SD_EERKSD_lbbbEUlllE1_EE10hipError_tPvRmT2_T3_mT4_P12ihipStream_tbEUlT_E_NS1_11comp_targetILNS1_3genE9ELNS1_11target_archE1100ELNS1_3gpuE3ELNS1_3repE0EEENS1_30default_config_static_selectorELNS0_4arch9wavefront6targetE0EEEvT1_
                                        ; -- End function
	.set _ZN7rocprim17ROCPRIM_400000_NS6detail17trampoline_kernelINS0_14default_configENS1_35adjacent_difference_config_selectorILb0ElEEZNS1_24adjacent_difference_implIS3_Lb0ELb0EPlS7_ZN2at6native12_GLOBAL__N_124unique_dim_cuda_templateIaEESt5tupleIJNS8_6TensorESD_SD_EERKSD_lbbbEUlllE1_EE10hipError_tPvRmT2_T3_mT4_P12ihipStream_tbEUlT_E_NS1_11comp_targetILNS1_3genE9ELNS1_11target_archE1100ELNS1_3gpuE3ELNS1_3repE0EEENS1_30default_config_static_selectorELNS0_4arch9wavefront6targetE0EEEvT1_.num_vgpr, 0
	.set _ZN7rocprim17ROCPRIM_400000_NS6detail17trampoline_kernelINS0_14default_configENS1_35adjacent_difference_config_selectorILb0ElEEZNS1_24adjacent_difference_implIS3_Lb0ELb0EPlS7_ZN2at6native12_GLOBAL__N_124unique_dim_cuda_templateIaEESt5tupleIJNS8_6TensorESD_SD_EERKSD_lbbbEUlllE1_EE10hipError_tPvRmT2_T3_mT4_P12ihipStream_tbEUlT_E_NS1_11comp_targetILNS1_3genE9ELNS1_11target_archE1100ELNS1_3gpuE3ELNS1_3repE0EEENS1_30default_config_static_selectorELNS0_4arch9wavefront6targetE0EEEvT1_.num_agpr, 0
	.set _ZN7rocprim17ROCPRIM_400000_NS6detail17trampoline_kernelINS0_14default_configENS1_35adjacent_difference_config_selectorILb0ElEEZNS1_24adjacent_difference_implIS3_Lb0ELb0EPlS7_ZN2at6native12_GLOBAL__N_124unique_dim_cuda_templateIaEESt5tupleIJNS8_6TensorESD_SD_EERKSD_lbbbEUlllE1_EE10hipError_tPvRmT2_T3_mT4_P12ihipStream_tbEUlT_E_NS1_11comp_targetILNS1_3genE9ELNS1_11target_archE1100ELNS1_3gpuE3ELNS1_3repE0EEENS1_30default_config_static_selectorELNS0_4arch9wavefront6targetE0EEEvT1_.numbered_sgpr, 0
	.set _ZN7rocprim17ROCPRIM_400000_NS6detail17trampoline_kernelINS0_14default_configENS1_35adjacent_difference_config_selectorILb0ElEEZNS1_24adjacent_difference_implIS3_Lb0ELb0EPlS7_ZN2at6native12_GLOBAL__N_124unique_dim_cuda_templateIaEESt5tupleIJNS8_6TensorESD_SD_EERKSD_lbbbEUlllE1_EE10hipError_tPvRmT2_T3_mT4_P12ihipStream_tbEUlT_E_NS1_11comp_targetILNS1_3genE9ELNS1_11target_archE1100ELNS1_3gpuE3ELNS1_3repE0EEENS1_30default_config_static_selectorELNS0_4arch9wavefront6targetE0EEEvT1_.num_named_barrier, 0
	.set _ZN7rocprim17ROCPRIM_400000_NS6detail17trampoline_kernelINS0_14default_configENS1_35adjacent_difference_config_selectorILb0ElEEZNS1_24adjacent_difference_implIS3_Lb0ELb0EPlS7_ZN2at6native12_GLOBAL__N_124unique_dim_cuda_templateIaEESt5tupleIJNS8_6TensorESD_SD_EERKSD_lbbbEUlllE1_EE10hipError_tPvRmT2_T3_mT4_P12ihipStream_tbEUlT_E_NS1_11comp_targetILNS1_3genE9ELNS1_11target_archE1100ELNS1_3gpuE3ELNS1_3repE0EEENS1_30default_config_static_selectorELNS0_4arch9wavefront6targetE0EEEvT1_.private_seg_size, 0
	.set _ZN7rocprim17ROCPRIM_400000_NS6detail17trampoline_kernelINS0_14default_configENS1_35adjacent_difference_config_selectorILb0ElEEZNS1_24adjacent_difference_implIS3_Lb0ELb0EPlS7_ZN2at6native12_GLOBAL__N_124unique_dim_cuda_templateIaEESt5tupleIJNS8_6TensorESD_SD_EERKSD_lbbbEUlllE1_EE10hipError_tPvRmT2_T3_mT4_P12ihipStream_tbEUlT_E_NS1_11comp_targetILNS1_3genE9ELNS1_11target_archE1100ELNS1_3gpuE3ELNS1_3repE0EEENS1_30default_config_static_selectorELNS0_4arch9wavefront6targetE0EEEvT1_.uses_vcc, 0
	.set _ZN7rocprim17ROCPRIM_400000_NS6detail17trampoline_kernelINS0_14default_configENS1_35adjacent_difference_config_selectorILb0ElEEZNS1_24adjacent_difference_implIS3_Lb0ELb0EPlS7_ZN2at6native12_GLOBAL__N_124unique_dim_cuda_templateIaEESt5tupleIJNS8_6TensorESD_SD_EERKSD_lbbbEUlllE1_EE10hipError_tPvRmT2_T3_mT4_P12ihipStream_tbEUlT_E_NS1_11comp_targetILNS1_3genE9ELNS1_11target_archE1100ELNS1_3gpuE3ELNS1_3repE0EEENS1_30default_config_static_selectorELNS0_4arch9wavefront6targetE0EEEvT1_.uses_flat_scratch, 0
	.set _ZN7rocprim17ROCPRIM_400000_NS6detail17trampoline_kernelINS0_14default_configENS1_35adjacent_difference_config_selectorILb0ElEEZNS1_24adjacent_difference_implIS3_Lb0ELb0EPlS7_ZN2at6native12_GLOBAL__N_124unique_dim_cuda_templateIaEESt5tupleIJNS8_6TensorESD_SD_EERKSD_lbbbEUlllE1_EE10hipError_tPvRmT2_T3_mT4_P12ihipStream_tbEUlT_E_NS1_11comp_targetILNS1_3genE9ELNS1_11target_archE1100ELNS1_3gpuE3ELNS1_3repE0EEENS1_30default_config_static_selectorELNS0_4arch9wavefront6targetE0EEEvT1_.has_dyn_sized_stack, 0
	.set _ZN7rocprim17ROCPRIM_400000_NS6detail17trampoline_kernelINS0_14default_configENS1_35adjacent_difference_config_selectorILb0ElEEZNS1_24adjacent_difference_implIS3_Lb0ELb0EPlS7_ZN2at6native12_GLOBAL__N_124unique_dim_cuda_templateIaEESt5tupleIJNS8_6TensorESD_SD_EERKSD_lbbbEUlllE1_EE10hipError_tPvRmT2_T3_mT4_P12ihipStream_tbEUlT_E_NS1_11comp_targetILNS1_3genE9ELNS1_11target_archE1100ELNS1_3gpuE3ELNS1_3repE0EEENS1_30default_config_static_selectorELNS0_4arch9wavefront6targetE0EEEvT1_.has_recursion, 0
	.set _ZN7rocprim17ROCPRIM_400000_NS6detail17trampoline_kernelINS0_14default_configENS1_35adjacent_difference_config_selectorILb0ElEEZNS1_24adjacent_difference_implIS3_Lb0ELb0EPlS7_ZN2at6native12_GLOBAL__N_124unique_dim_cuda_templateIaEESt5tupleIJNS8_6TensorESD_SD_EERKSD_lbbbEUlllE1_EE10hipError_tPvRmT2_T3_mT4_P12ihipStream_tbEUlT_E_NS1_11comp_targetILNS1_3genE9ELNS1_11target_archE1100ELNS1_3gpuE3ELNS1_3repE0EEENS1_30default_config_static_selectorELNS0_4arch9wavefront6targetE0EEEvT1_.has_indirect_call, 0
	.section	.AMDGPU.csdata,"",@progbits
; Kernel info:
; codeLenInByte = 0
; TotalNumSgprs: 0
; NumVgprs: 0
; ScratchSize: 0
; MemoryBound: 0
; FloatMode: 240
; IeeeMode: 1
; LDSByteSize: 0 bytes/workgroup (compile time only)
; SGPRBlocks: 0
; VGPRBlocks: 0
; NumSGPRsForWavesPerEU: 1
; NumVGPRsForWavesPerEU: 1
; NamedBarCnt: 0
; Occupancy: 16
; WaveLimiterHint : 0
; COMPUTE_PGM_RSRC2:SCRATCH_EN: 0
; COMPUTE_PGM_RSRC2:USER_SGPR: 2
; COMPUTE_PGM_RSRC2:TRAP_HANDLER: 0
; COMPUTE_PGM_RSRC2:TGID_X_EN: 1
; COMPUTE_PGM_RSRC2:TGID_Y_EN: 0
; COMPUTE_PGM_RSRC2:TGID_Z_EN: 0
; COMPUTE_PGM_RSRC2:TIDIG_COMP_CNT: 0
	.section	.text._ZN7rocprim17ROCPRIM_400000_NS6detail17trampoline_kernelINS0_14default_configENS1_35adjacent_difference_config_selectorILb0ElEEZNS1_24adjacent_difference_implIS3_Lb0ELb0EPlS7_ZN2at6native12_GLOBAL__N_124unique_dim_cuda_templateIaEESt5tupleIJNS8_6TensorESD_SD_EERKSD_lbbbEUlllE1_EE10hipError_tPvRmT2_T3_mT4_P12ihipStream_tbEUlT_E_NS1_11comp_targetILNS1_3genE8ELNS1_11target_archE1030ELNS1_3gpuE2ELNS1_3repE0EEENS1_30default_config_static_selectorELNS0_4arch9wavefront6targetE0EEEvT1_,"axG",@progbits,_ZN7rocprim17ROCPRIM_400000_NS6detail17trampoline_kernelINS0_14default_configENS1_35adjacent_difference_config_selectorILb0ElEEZNS1_24adjacent_difference_implIS3_Lb0ELb0EPlS7_ZN2at6native12_GLOBAL__N_124unique_dim_cuda_templateIaEESt5tupleIJNS8_6TensorESD_SD_EERKSD_lbbbEUlllE1_EE10hipError_tPvRmT2_T3_mT4_P12ihipStream_tbEUlT_E_NS1_11comp_targetILNS1_3genE8ELNS1_11target_archE1030ELNS1_3gpuE2ELNS1_3repE0EEENS1_30default_config_static_selectorELNS0_4arch9wavefront6targetE0EEEvT1_,comdat
	.globl	_ZN7rocprim17ROCPRIM_400000_NS6detail17trampoline_kernelINS0_14default_configENS1_35adjacent_difference_config_selectorILb0ElEEZNS1_24adjacent_difference_implIS3_Lb0ELb0EPlS7_ZN2at6native12_GLOBAL__N_124unique_dim_cuda_templateIaEESt5tupleIJNS8_6TensorESD_SD_EERKSD_lbbbEUlllE1_EE10hipError_tPvRmT2_T3_mT4_P12ihipStream_tbEUlT_E_NS1_11comp_targetILNS1_3genE8ELNS1_11target_archE1030ELNS1_3gpuE2ELNS1_3repE0EEENS1_30default_config_static_selectorELNS0_4arch9wavefront6targetE0EEEvT1_ ; -- Begin function _ZN7rocprim17ROCPRIM_400000_NS6detail17trampoline_kernelINS0_14default_configENS1_35adjacent_difference_config_selectorILb0ElEEZNS1_24adjacent_difference_implIS3_Lb0ELb0EPlS7_ZN2at6native12_GLOBAL__N_124unique_dim_cuda_templateIaEESt5tupleIJNS8_6TensorESD_SD_EERKSD_lbbbEUlllE1_EE10hipError_tPvRmT2_T3_mT4_P12ihipStream_tbEUlT_E_NS1_11comp_targetILNS1_3genE8ELNS1_11target_archE1030ELNS1_3gpuE2ELNS1_3repE0EEENS1_30default_config_static_selectorELNS0_4arch9wavefront6targetE0EEEvT1_
	.p2align	8
	.type	_ZN7rocprim17ROCPRIM_400000_NS6detail17trampoline_kernelINS0_14default_configENS1_35adjacent_difference_config_selectorILb0ElEEZNS1_24adjacent_difference_implIS3_Lb0ELb0EPlS7_ZN2at6native12_GLOBAL__N_124unique_dim_cuda_templateIaEESt5tupleIJNS8_6TensorESD_SD_EERKSD_lbbbEUlllE1_EE10hipError_tPvRmT2_T3_mT4_P12ihipStream_tbEUlT_E_NS1_11comp_targetILNS1_3genE8ELNS1_11target_archE1030ELNS1_3gpuE2ELNS1_3repE0EEENS1_30default_config_static_selectorELNS0_4arch9wavefront6targetE0EEEvT1_,@function
_ZN7rocprim17ROCPRIM_400000_NS6detail17trampoline_kernelINS0_14default_configENS1_35adjacent_difference_config_selectorILb0ElEEZNS1_24adjacent_difference_implIS3_Lb0ELb0EPlS7_ZN2at6native12_GLOBAL__N_124unique_dim_cuda_templateIaEESt5tupleIJNS8_6TensorESD_SD_EERKSD_lbbbEUlllE1_EE10hipError_tPvRmT2_T3_mT4_P12ihipStream_tbEUlT_E_NS1_11comp_targetILNS1_3genE8ELNS1_11target_archE1030ELNS1_3gpuE2ELNS1_3repE0EEENS1_30default_config_static_selectorELNS0_4arch9wavefront6targetE0EEEvT1_: ; @_ZN7rocprim17ROCPRIM_400000_NS6detail17trampoline_kernelINS0_14default_configENS1_35adjacent_difference_config_selectorILb0ElEEZNS1_24adjacent_difference_implIS3_Lb0ELb0EPlS7_ZN2at6native12_GLOBAL__N_124unique_dim_cuda_templateIaEESt5tupleIJNS8_6TensorESD_SD_EERKSD_lbbbEUlllE1_EE10hipError_tPvRmT2_T3_mT4_P12ihipStream_tbEUlT_E_NS1_11comp_targetILNS1_3genE8ELNS1_11target_archE1030ELNS1_3gpuE2ELNS1_3repE0EEENS1_30default_config_static_selectorELNS0_4arch9wavefront6targetE0EEEvT1_
; %bb.0:
	.section	.rodata,"a",@progbits
	.p2align	6, 0x0
	.amdhsa_kernel _ZN7rocprim17ROCPRIM_400000_NS6detail17trampoline_kernelINS0_14default_configENS1_35adjacent_difference_config_selectorILb0ElEEZNS1_24adjacent_difference_implIS3_Lb0ELb0EPlS7_ZN2at6native12_GLOBAL__N_124unique_dim_cuda_templateIaEESt5tupleIJNS8_6TensorESD_SD_EERKSD_lbbbEUlllE1_EE10hipError_tPvRmT2_T3_mT4_P12ihipStream_tbEUlT_E_NS1_11comp_targetILNS1_3genE8ELNS1_11target_archE1030ELNS1_3gpuE2ELNS1_3repE0EEENS1_30default_config_static_selectorELNS0_4arch9wavefront6targetE0EEEvT1_
		.amdhsa_group_segment_fixed_size 0
		.amdhsa_private_segment_fixed_size 0
		.amdhsa_kernarg_size 64
		.amdhsa_user_sgpr_count 2
		.amdhsa_user_sgpr_dispatch_ptr 0
		.amdhsa_user_sgpr_queue_ptr 0
		.amdhsa_user_sgpr_kernarg_segment_ptr 1
		.amdhsa_user_sgpr_dispatch_id 0
		.amdhsa_user_sgpr_kernarg_preload_length 0
		.amdhsa_user_sgpr_kernarg_preload_offset 0
		.amdhsa_user_sgpr_private_segment_size 0
		.amdhsa_wavefront_size32 1
		.amdhsa_uses_dynamic_stack 0
		.amdhsa_enable_private_segment 0
		.amdhsa_system_sgpr_workgroup_id_x 1
		.amdhsa_system_sgpr_workgroup_id_y 0
		.amdhsa_system_sgpr_workgroup_id_z 0
		.amdhsa_system_sgpr_workgroup_info 0
		.amdhsa_system_vgpr_workitem_id 0
		.amdhsa_next_free_vgpr 1
		.amdhsa_next_free_sgpr 1
		.amdhsa_named_barrier_count 0
		.amdhsa_reserve_vcc 0
		.amdhsa_float_round_mode_32 0
		.amdhsa_float_round_mode_16_64 0
		.amdhsa_float_denorm_mode_32 3
		.amdhsa_float_denorm_mode_16_64 3
		.amdhsa_fp16_overflow 0
		.amdhsa_memory_ordered 1
		.amdhsa_forward_progress 1
		.amdhsa_inst_pref_size 0
		.amdhsa_round_robin_scheduling 0
		.amdhsa_exception_fp_ieee_invalid_op 0
		.amdhsa_exception_fp_denorm_src 0
		.amdhsa_exception_fp_ieee_div_zero 0
		.amdhsa_exception_fp_ieee_overflow 0
		.amdhsa_exception_fp_ieee_underflow 0
		.amdhsa_exception_fp_ieee_inexact 0
		.amdhsa_exception_int_div_zero 0
	.end_amdhsa_kernel
	.section	.text._ZN7rocprim17ROCPRIM_400000_NS6detail17trampoline_kernelINS0_14default_configENS1_35adjacent_difference_config_selectorILb0ElEEZNS1_24adjacent_difference_implIS3_Lb0ELb0EPlS7_ZN2at6native12_GLOBAL__N_124unique_dim_cuda_templateIaEESt5tupleIJNS8_6TensorESD_SD_EERKSD_lbbbEUlllE1_EE10hipError_tPvRmT2_T3_mT4_P12ihipStream_tbEUlT_E_NS1_11comp_targetILNS1_3genE8ELNS1_11target_archE1030ELNS1_3gpuE2ELNS1_3repE0EEENS1_30default_config_static_selectorELNS0_4arch9wavefront6targetE0EEEvT1_,"axG",@progbits,_ZN7rocprim17ROCPRIM_400000_NS6detail17trampoline_kernelINS0_14default_configENS1_35adjacent_difference_config_selectorILb0ElEEZNS1_24adjacent_difference_implIS3_Lb0ELb0EPlS7_ZN2at6native12_GLOBAL__N_124unique_dim_cuda_templateIaEESt5tupleIJNS8_6TensorESD_SD_EERKSD_lbbbEUlllE1_EE10hipError_tPvRmT2_T3_mT4_P12ihipStream_tbEUlT_E_NS1_11comp_targetILNS1_3genE8ELNS1_11target_archE1030ELNS1_3gpuE2ELNS1_3repE0EEENS1_30default_config_static_selectorELNS0_4arch9wavefront6targetE0EEEvT1_,comdat
.Lfunc_end301:
	.size	_ZN7rocprim17ROCPRIM_400000_NS6detail17trampoline_kernelINS0_14default_configENS1_35adjacent_difference_config_selectorILb0ElEEZNS1_24adjacent_difference_implIS3_Lb0ELb0EPlS7_ZN2at6native12_GLOBAL__N_124unique_dim_cuda_templateIaEESt5tupleIJNS8_6TensorESD_SD_EERKSD_lbbbEUlllE1_EE10hipError_tPvRmT2_T3_mT4_P12ihipStream_tbEUlT_E_NS1_11comp_targetILNS1_3genE8ELNS1_11target_archE1030ELNS1_3gpuE2ELNS1_3repE0EEENS1_30default_config_static_selectorELNS0_4arch9wavefront6targetE0EEEvT1_, .Lfunc_end301-_ZN7rocprim17ROCPRIM_400000_NS6detail17trampoline_kernelINS0_14default_configENS1_35adjacent_difference_config_selectorILb0ElEEZNS1_24adjacent_difference_implIS3_Lb0ELb0EPlS7_ZN2at6native12_GLOBAL__N_124unique_dim_cuda_templateIaEESt5tupleIJNS8_6TensorESD_SD_EERKSD_lbbbEUlllE1_EE10hipError_tPvRmT2_T3_mT4_P12ihipStream_tbEUlT_E_NS1_11comp_targetILNS1_3genE8ELNS1_11target_archE1030ELNS1_3gpuE2ELNS1_3repE0EEENS1_30default_config_static_selectorELNS0_4arch9wavefront6targetE0EEEvT1_
                                        ; -- End function
	.set _ZN7rocprim17ROCPRIM_400000_NS6detail17trampoline_kernelINS0_14default_configENS1_35adjacent_difference_config_selectorILb0ElEEZNS1_24adjacent_difference_implIS3_Lb0ELb0EPlS7_ZN2at6native12_GLOBAL__N_124unique_dim_cuda_templateIaEESt5tupleIJNS8_6TensorESD_SD_EERKSD_lbbbEUlllE1_EE10hipError_tPvRmT2_T3_mT4_P12ihipStream_tbEUlT_E_NS1_11comp_targetILNS1_3genE8ELNS1_11target_archE1030ELNS1_3gpuE2ELNS1_3repE0EEENS1_30default_config_static_selectorELNS0_4arch9wavefront6targetE0EEEvT1_.num_vgpr, 0
	.set _ZN7rocprim17ROCPRIM_400000_NS6detail17trampoline_kernelINS0_14default_configENS1_35adjacent_difference_config_selectorILb0ElEEZNS1_24adjacent_difference_implIS3_Lb0ELb0EPlS7_ZN2at6native12_GLOBAL__N_124unique_dim_cuda_templateIaEESt5tupleIJNS8_6TensorESD_SD_EERKSD_lbbbEUlllE1_EE10hipError_tPvRmT2_T3_mT4_P12ihipStream_tbEUlT_E_NS1_11comp_targetILNS1_3genE8ELNS1_11target_archE1030ELNS1_3gpuE2ELNS1_3repE0EEENS1_30default_config_static_selectorELNS0_4arch9wavefront6targetE0EEEvT1_.num_agpr, 0
	.set _ZN7rocprim17ROCPRIM_400000_NS6detail17trampoline_kernelINS0_14default_configENS1_35adjacent_difference_config_selectorILb0ElEEZNS1_24adjacent_difference_implIS3_Lb0ELb0EPlS7_ZN2at6native12_GLOBAL__N_124unique_dim_cuda_templateIaEESt5tupleIJNS8_6TensorESD_SD_EERKSD_lbbbEUlllE1_EE10hipError_tPvRmT2_T3_mT4_P12ihipStream_tbEUlT_E_NS1_11comp_targetILNS1_3genE8ELNS1_11target_archE1030ELNS1_3gpuE2ELNS1_3repE0EEENS1_30default_config_static_selectorELNS0_4arch9wavefront6targetE0EEEvT1_.numbered_sgpr, 0
	.set _ZN7rocprim17ROCPRIM_400000_NS6detail17trampoline_kernelINS0_14default_configENS1_35adjacent_difference_config_selectorILb0ElEEZNS1_24adjacent_difference_implIS3_Lb0ELb0EPlS7_ZN2at6native12_GLOBAL__N_124unique_dim_cuda_templateIaEESt5tupleIJNS8_6TensorESD_SD_EERKSD_lbbbEUlllE1_EE10hipError_tPvRmT2_T3_mT4_P12ihipStream_tbEUlT_E_NS1_11comp_targetILNS1_3genE8ELNS1_11target_archE1030ELNS1_3gpuE2ELNS1_3repE0EEENS1_30default_config_static_selectorELNS0_4arch9wavefront6targetE0EEEvT1_.num_named_barrier, 0
	.set _ZN7rocprim17ROCPRIM_400000_NS6detail17trampoline_kernelINS0_14default_configENS1_35adjacent_difference_config_selectorILb0ElEEZNS1_24adjacent_difference_implIS3_Lb0ELb0EPlS7_ZN2at6native12_GLOBAL__N_124unique_dim_cuda_templateIaEESt5tupleIJNS8_6TensorESD_SD_EERKSD_lbbbEUlllE1_EE10hipError_tPvRmT2_T3_mT4_P12ihipStream_tbEUlT_E_NS1_11comp_targetILNS1_3genE8ELNS1_11target_archE1030ELNS1_3gpuE2ELNS1_3repE0EEENS1_30default_config_static_selectorELNS0_4arch9wavefront6targetE0EEEvT1_.private_seg_size, 0
	.set _ZN7rocprim17ROCPRIM_400000_NS6detail17trampoline_kernelINS0_14default_configENS1_35adjacent_difference_config_selectorILb0ElEEZNS1_24adjacent_difference_implIS3_Lb0ELb0EPlS7_ZN2at6native12_GLOBAL__N_124unique_dim_cuda_templateIaEESt5tupleIJNS8_6TensorESD_SD_EERKSD_lbbbEUlllE1_EE10hipError_tPvRmT2_T3_mT4_P12ihipStream_tbEUlT_E_NS1_11comp_targetILNS1_3genE8ELNS1_11target_archE1030ELNS1_3gpuE2ELNS1_3repE0EEENS1_30default_config_static_selectorELNS0_4arch9wavefront6targetE0EEEvT1_.uses_vcc, 0
	.set _ZN7rocprim17ROCPRIM_400000_NS6detail17trampoline_kernelINS0_14default_configENS1_35adjacent_difference_config_selectorILb0ElEEZNS1_24adjacent_difference_implIS3_Lb0ELb0EPlS7_ZN2at6native12_GLOBAL__N_124unique_dim_cuda_templateIaEESt5tupleIJNS8_6TensorESD_SD_EERKSD_lbbbEUlllE1_EE10hipError_tPvRmT2_T3_mT4_P12ihipStream_tbEUlT_E_NS1_11comp_targetILNS1_3genE8ELNS1_11target_archE1030ELNS1_3gpuE2ELNS1_3repE0EEENS1_30default_config_static_selectorELNS0_4arch9wavefront6targetE0EEEvT1_.uses_flat_scratch, 0
	.set _ZN7rocprim17ROCPRIM_400000_NS6detail17trampoline_kernelINS0_14default_configENS1_35adjacent_difference_config_selectorILb0ElEEZNS1_24adjacent_difference_implIS3_Lb0ELb0EPlS7_ZN2at6native12_GLOBAL__N_124unique_dim_cuda_templateIaEESt5tupleIJNS8_6TensorESD_SD_EERKSD_lbbbEUlllE1_EE10hipError_tPvRmT2_T3_mT4_P12ihipStream_tbEUlT_E_NS1_11comp_targetILNS1_3genE8ELNS1_11target_archE1030ELNS1_3gpuE2ELNS1_3repE0EEENS1_30default_config_static_selectorELNS0_4arch9wavefront6targetE0EEEvT1_.has_dyn_sized_stack, 0
	.set _ZN7rocprim17ROCPRIM_400000_NS6detail17trampoline_kernelINS0_14default_configENS1_35adjacent_difference_config_selectorILb0ElEEZNS1_24adjacent_difference_implIS3_Lb0ELb0EPlS7_ZN2at6native12_GLOBAL__N_124unique_dim_cuda_templateIaEESt5tupleIJNS8_6TensorESD_SD_EERKSD_lbbbEUlllE1_EE10hipError_tPvRmT2_T3_mT4_P12ihipStream_tbEUlT_E_NS1_11comp_targetILNS1_3genE8ELNS1_11target_archE1030ELNS1_3gpuE2ELNS1_3repE0EEENS1_30default_config_static_selectorELNS0_4arch9wavefront6targetE0EEEvT1_.has_recursion, 0
	.set _ZN7rocprim17ROCPRIM_400000_NS6detail17trampoline_kernelINS0_14default_configENS1_35adjacent_difference_config_selectorILb0ElEEZNS1_24adjacent_difference_implIS3_Lb0ELb0EPlS7_ZN2at6native12_GLOBAL__N_124unique_dim_cuda_templateIaEESt5tupleIJNS8_6TensorESD_SD_EERKSD_lbbbEUlllE1_EE10hipError_tPvRmT2_T3_mT4_P12ihipStream_tbEUlT_E_NS1_11comp_targetILNS1_3genE8ELNS1_11target_archE1030ELNS1_3gpuE2ELNS1_3repE0EEENS1_30default_config_static_selectorELNS0_4arch9wavefront6targetE0EEEvT1_.has_indirect_call, 0
	.section	.AMDGPU.csdata,"",@progbits
; Kernel info:
; codeLenInByte = 0
; TotalNumSgprs: 0
; NumVgprs: 0
; ScratchSize: 0
; MemoryBound: 0
; FloatMode: 240
; IeeeMode: 1
; LDSByteSize: 0 bytes/workgroup (compile time only)
; SGPRBlocks: 0
; VGPRBlocks: 0
; NumSGPRsForWavesPerEU: 1
; NumVGPRsForWavesPerEU: 1
; NamedBarCnt: 0
; Occupancy: 16
; WaveLimiterHint : 0
; COMPUTE_PGM_RSRC2:SCRATCH_EN: 0
; COMPUTE_PGM_RSRC2:USER_SGPR: 2
; COMPUTE_PGM_RSRC2:TRAP_HANDLER: 0
; COMPUTE_PGM_RSRC2:TGID_X_EN: 1
; COMPUTE_PGM_RSRC2:TGID_Y_EN: 0
; COMPUTE_PGM_RSRC2:TGID_Z_EN: 0
; COMPUTE_PGM_RSRC2:TIDIG_COMP_CNT: 0
	.section	.text._ZN7rocprim17ROCPRIM_400000_NS6detail17trampoline_kernelINS0_14default_configENS1_25transform_config_selectorIlLb0EEEZNS1_14transform_implILb0ES3_S5_NS0_18transform_iteratorINS0_17counting_iteratorImlEEZNS1_24adjacent_difference_implIS3_Lb1ELb0EPlSB_ZN2at6native12_GLOBAL__N_124unique_dim_cuda_templateIaEESt5tupleIJNSC_6TensorESH_SH_EERKSH_lbbbEUlllE1_EE10hipError_tPvRmT2_T3_mT4_P12ihipStream_tbEUlmE_lEESB_NS0_8identityIvEEEESM_SP_SQ_mSR_ST_bEUlT_E_NS1_11comp_targetILNS1_3genE0ELNS1_11target_archE4294967295ELNS1_3gpuE0ELNS1_3repE0EEENS1_30default_config_static_selectorELNS0_4arch9wavefront6targetE0EEEvT1_,"axG",@progbits,_ZN7rocprim17ROCPRIM_400000_NS6detail17trampoline_kernelINS0_14default_configENS1_25transform_config_selectorIlLb0EEEZNS1_14transform_implILb0ES3_S5_NS0_18transform_iteratorINS0_17counting_iteratorImlEEZNS1_24adjacent_difference_implIS3_Lb1ELb0EPlSB_ZN2at6native12_GLOBAL__N_124unique_dim_cuda_templateIaEESt5tupleIJNSC_6TensorESH_SH_EERKSH_lbbbEUlllE1_EE10hipError_tPvRmT2_T3_mT4_P12ihipStream_tbEUlmE_lEESB_NS0_8identityIvEEEESM_SP_SQ_mSR_ST_bEUlT_E_NS1_11comp_targetILNS1_3genE0ELNS1_11target_archE4294967295ELNS1_3gpuE0ELNS1_3repE0EEENS1_30default_config_static_selectorELNS0_4arch9wavefront6targetE0EEEvT1_,comdat
	.globl	_ZN7rocprim17ROCPRIM_400000_NS6detail17trampoline_kernelINS0_14default_configENS1_25transform_config_selectorIlLb0EEEZNS1_14transform_implILb0ES3_S5_NS0_18transform_iteratorINS0_17counting_iteratorImlEEZNS1_24adjacent_difference_implIS3_Lb1ELb0EPlSB_ZN2at6native12_GLOBAL__N_124unique_dim_cuda_templateIaEESt5tupleIJNSC_6TensorESH_SH_EERKSH_lbbbEUlllE1_EE10hipError_tPvRmT2_T3_mT4_P12ihipStream_tbEUlmE_lEESB_NS0_8identityIvEEEESM_SP_SQ_mSR_ST_bEUlT_E_NS1_11comp_targetILNS1_3genE0ELNS1_11target_archE4294967295ELNS1_3gpuE0ELNS1_3repE0EEENS1_30default_config_static_selectorELNS0_4arch9wavefront6targetE0EEEvT1_ ; -- Begin function _ZN7rocprim17ROCPRIM_400000_NS6detail17trampoline_kernelINS0_14default_configENS1_25transform_config_selectorIlLb0EEEZNS1_14transform_implILb0ES3_S5_NS0_18transform_iteratorINS0_17counting_iteratorImlEEZNS1_24adjacent_difference_implIS3_Lb1ELb0EPlSB_ZN2at6native12_GLOBAL__N_124unique_dim_cuda_templateIaEESt5tupleIJNSC_6TensorESH_SH_EERKSH_lbbbEUlllE1_EE10hipError_tPvRmT2_T3_mT4_P12ihipStream_tbEUlmE_lEESB_NS0_8identityIvEEEESM_SP_SQ_mSR_ST_bEUlT_E_NS1_11comp_targetILNS1_3genE0ELNS1_11target_archE4294967295ELNS1_3gpuE0ELNS1_3repE0EEENS1_30default_config_static_selectorELNS0_4arch9wavefront6targetE0EEEvT1_
	.p2align	8
	.type	_ZN7rocprim17ROCPRIM_400000_NS6detail17trampoline_kernelINS0_14default_configENS1_25transform_config_selectorIlLb0EEEZNS1_14transform_implILb0ES3_S5_NS0_18transform_iteratorINS0_17counting_iteratorImlEEZNS1_24adjacent_difference_implIS3_Lb1ELb0EPlSB_ZN2at6native12_GLOBAL__N_124unique_dim_cuda_templateIaEESt5tupleIJNSC_6TensorESH_SH_EERKSH_lbbbEUlllE1_EE10hipError_tPvRmT2_T3_mT4_P12ihipStream_tbEUlmE_lEESB_NS0_8identityIvEEEESM_SP_SQ_mSR_ST_bEUlT_E_NS1_11comp_targetILNS1_3genE0ELNS1_11target_archE4294967295ELNS1_3gpuE0ELNS1_3repE0EEENS1_30default_config_static_selectorELNS0_4arch9wavefront6targetE0EEEvT1_,@function
_ZN7rocprim17ROCPRIM_400000_NS6detail17trampoline_kernelINS0_14default_configENS1_25transform_config_selectorIlLb0EEEZNS1_14transform_implILb0ES3_S5_NS0_18transform_iteratorINS0_17counting_iteratorImlEEZNS1_24adjacent_difference_implIS3_Lb1ELb0EPlSB_ZN2at6native12_GLOBAL__N_124unique_dim_cuda_templateIaEESt5tupleIJNSC_6TensorESH_SH_EERKSH_lbbbEUlllE1_EE10hipError_tPvRmT2_T3_mT4_P12ihipStream_tbEUlmE_lEESB_NS0_8identityIvEEEESM_SP_SQ_mSR_ST_bEUlT_E_NS1_11comp_targetILNS1_3genE0ELNS1_11target_archE4294967295ELNS1_3gpuE0ELNS1_3repE0EEENS1_30default_config_static_selectorELNS0_4arch9wavefront6targetE0EEEvT1_: ; @_ZN7rocprim17ROCPRIM_400000_NS6detail17trampoline_kernelINS0_14default_configENS1_25transform_config_selectorIlLb0EEEZNS1_14transform_implILb0ES3_S5_NS0_18transform_iteratorINS0_17counting_iteratorImlEEZNS1_24adjacent_difference_implIS3_Lb1ELb0EPlSB_ZN2at6native12_GLOBAL__N_124unique_dim_cuda_templateIaEESt5tupleIJNSC_6TensorESH_SH_EERKSH_lbbbEUlllE1_EE10hipError_tPvRmT2_T3_mT4_P12ihipStream_tbEUlmE_lEESB_NS0_8identityIvEEEESM_SP_SQ_mSR_ST_bEUlT_E_NS1_11comp_targetILNS1_3genE0ELNS1_11target_archE4294967295ELNS1_3gpuE0ELNS1_3repE0EEENS1_30default_config_static_selectorELNS0_4arch9wavefront6targetE0EEEvT1_
; %bb.0:
	s_clause 0x1
	s_load_b32 s2, s[0:1], 0x38
	s_load_b32 s3, s[0:1], 0x20
	s_bfe_u32 s4, ttmp6, 0x4000c
	s_and_b32 s5, ttmp6, 15
	s_add_co_i32 s4, s4, 1
	s_getreg_b32 s6, hwreg(HW_REG_IB_STS2, 6, 4)
	s_mul_i32 s4, ttmp9, s4
	s_delay_alu instid0(SALU_CYCLE_1)
	s_add_co_i32 s5, s5, s4
	s_cmp_eq_u32 s6, 0
	s_cselect_b32 s4, ttmp9, s5
	s_wait_kmcnt 0x0
	s_add_co_i32 s5, s2, -1
	s_lshl_b32 s2, s4, 7
	s_cmp_lg_u32 s4, s5
	s_cselect_b32 s4, -1, 0
	s_sub_co_i32 s3, s3, s2
	s_delay_alu instid0(SALU_CYCLE_1) | instskip(SKIP_2) | instid1(SALU_CYCLE_1)
	v_cmp_gt_u32_e32 vcc_lo, s3, v0
	s_mov_b32 s3, 0
	s_or_b32 s4, s4, vcc_lo
	s_and_saveexec_b32 s5, s4
	s_cbranch_execz .LBB302_2
; %bb.1:
	s_clause 0x3
	s_load_b64 s[8:9], s[0:1], 0x18
	s_load_b128 s[4:7], s[0:1], 0x0
	s_load_b32 s10, s[0:1], 0x10
	s_load_b64 s[12:13], s[0:1], 0x28
	v_mov_b32_e32 v1, 0
	s_mov_b32 s11, s3
	s_wait_kmcnt 0x0
	s_add_nc_u64 s[0:1], s[4:5], s[8:9]
	s_delay_alu instid0(SALU_CYCLE_1) | instskip(SKIP_3) | instid1(SALU_CYCLE_1)
	s_add_nc_u64 s[0:1], s[0:1], s[2:3]
	s_lshl_b64 s[2:3], s[2:3], 3
	v_add_nc_u64_e32 v[2:3], s[0:1], v[0:1]
	s_lshl_b64 s[0:1], s[8:9], 3
	s_add_nc_u64 s[0:1], s[12:13], s[0:1]
	s_delay_alu instid0(SALU_CYCLE_1) | instskip(NEXT) | instid1(VALU_DEP_1)
	s_add_nc_u64 s[0:1], s[0:1], s[2:3]
	v_mul_u64_e32 v[2:3], s[10:11], v[2:3]
	s_delay_alu instid0(VALU_DEP_1)
	v_lshl_add_u64 v[2:3], v[2:3], 3, s[6:7]
	global_load_b64 v[2:3], v[2:3], off
	s_wait_loadcnt 0x0
	global_store_b64 v0, v[2:3], s[0:1] scale_offset
.LBB302_2:
	s_endpgm
	.section	.rodata,"a",@progbits
	.p2align	6, 0x0
	.amdhsa_kernel _ZN7rocprim17ROCPRIM_400000_NS6detail17trampoline_kernelINS0_14default_configENS1_25transform_config_selectorIlLb0EEEZNS1_14transform_implILb0ES3_S5_NS0_18transform_iteratorINS0_17counting_iteratorImlEEZNS1_24adjacent_difference_implIS3_Lb1ELb0EPlSB_ZN2at6native12_GLOBAL__N_124unique_dim_cuda_templateIaEESt5tupleIJNSC_6TensorESH_SH_EERKSH_lbbbEUlllE1_EE10hipError_tPvRmT2_T3_mT4_P12ihipStream_tbEUlmE_lEESB_NS0_8identityIvEEEESM_SP_SQ_mSR_ST_bEUlT_E_NS1_11comp_targetILNS1_3genE0ELNS1_11target_archE4294967295ELNS1_3gpuE0ELNS1_3repE0EEENS1_30default_config_static_selectorELNS0_4arch9wavefront6targetE0EEEvT1_
		.amdhsa_group_segment_fixed_size 0
		.amdhsa_private_segment_fixed_size 0
		.amdhsa_kernarg_size 312
		.amdhsa_user_sgpr_count 2
		.amdhsa_user_sgpr_dispatch_ptr 0
		.amdhsa_user_sgpr_queue_ptr 0
		.amdhsa_user_sgpr_kernarg_segment_ptr 1
		.amdhsa_user_sgpr_dispatch_id 0
		.amdhsa_user_sgpr_kernarg_preload_length 0
		.amdhsa_user_sgpr_kernarg_preload_offset 0
		.amdhsa_user_sgpr_private_segment_size 0
		.amdhsa_wavefront_size32 1
		.amdhsa_uses_dynamic_stack 0
		.amdhsa_enable_private_segment 0
		.amdhsa_system_sgpr_workgroup_id_x 1
		.amdhsa_system_sgpr_workgroup_id_y 0
		.amdhsa_system_sgpr_workgroup_id_z 0
		.amdhsa_system_sgpr_workgroup_info 0
		.amdhsa_system_vgpr_workitem_id 0
		.amdhsa_next_free_vgpr 4
		.amdhsa_next_free_sgpr 14
		.amdhsa_named_barrier_count 0
		.amdhsa_reserve_vcc 1
		.amdhsa_float_round_mode_32 0
		.amdhsa_float_round_mode_16_64 0
		.amdhsa_float_denorm_mode_32 3
		.amdhsa_float_denorm_mode_16_64 3
		.amdhsa_fp16_overflow 0
		.amdhsa_memory_ordered 1
		.amdhsa_forward_progress 1
		.amdhsa_inst_pref_size 2
		.amdhsa_round_robin_scheduling 0
		.amdhsa_exception_fp_ieee_invalid_op 0
		.amdhsa_exception_fp_denorm_src 0
		.amdhsa_exception_fp_ieee_div_zero 0
		.amdhsa_exception_fp_ieee_overflow 0
		.amdhsa_exception_fp_ieee_underflow 0
		.amdhsa_exception_fp_ieee_inexact 0
		.amdhsa_exception_int_div_zero 0
	.end_amdhsa_kernel
	.section	.text._ZN7rocprim17ROCPRIM_400000_NS6detail17trampoline_kernelINS0_14default_configENS1_25transform_config_selectorIlLb0EEEZNS1_14transform_implILb0ES3_S5_NS0_18transform_iteratorINS0_17counting_iteratorImlEEZNS1_24adjacent_difference_implIS3_Lb1ELb0EPlSB_ZN2at6native12_GLOBAL__N_124unique_dim_cuda_templateIaEESt5tupleIJNSC_6TensorESH_SH_EERKSH_lbbbEUlllE1_EE10hipError_tPvRmT2_T3_mT4_P12ihipStream_tbEUlmE_lEESB_NS0_8identityIvEEEESM_SP_SQ_mSR_ST_bEUlT_E_NS1_11comp_targetILNS1_3genE0ELNS1_11target_archE4294967295ELNS1_3gpuE0ELNS1_3repE0EEENS1_30default_config_static_selectorELNS0_4arch9wavefront6targetE0EEEvT1_,"axG",@progbits,_ZN7rocprim17ROCPRIM_400000_NS6detail17trampoline_kernelINS0_14default_configENS1_25transform_config_selectorIlLb0EEEZNS1_14transform_implILb0ES3_S5_NS0_18transform_iteratorINS0_17counting_iteratorImlEEZNS1_24adjacent_difference_implIS3_Lb1ELb0EPlSB_ZN2at6native12_GLOBAL__N_124unique_dim_cuda_templateIaEESt5tupleIJNSC_6TensorESH_SH_EERKSH_lbbbEUlllE1_EE10hipError_tPvRmT2_T3_mT4_P12ihipStream_tbEUlmE_lEESB_NS0_8identityIvEEEESM_SP_SQ_mSR_ST_bEUlT_E_NS1_11comp_targetILNS1_3genE0ELNS1_11target_archE4294967295ELNS1_3gpuE0ELNS1_3repE0EEENS1_30default_config_static_selectorELNS0_4arch9wavefront6targetE0EEEvT1_,comdat
.Lfunc_end302:
	.size	_ZN7rocprim17ROCPRIM_400000_NS6detail17trampoline_kernelINS0_14default_configENS1_25transform_config_selectorIlLb0EEEZNS1_14transform_implILb0ES3_S5_NS0_18transform_iteratorINS0_17counting_iteratorImlEEZNS1_24adjacent_difference_implIS3_Lb1ELb0EPlSB_ZN2at6native12_GLOBAL__N_124unique_dim_cuda_templateIaEESt5tupleIJNSC_6TensorESH_SH_EERKSH_lbbbEUlllE1_EE10hipError_tPvRmT2_T3_mT4_P12ihipStream_tbEUlmE_lEESB_NS0_8identityIvEEEESM_SP_SQ_mSR_ST_bEUlT_E_NS1_11comp_targetILNS1_3genE0ELNS1_11target_archE4294967295ELNS1_3gpuE0ELNS1_3repE0EEENS1_30default_config_static_selectorELNS0_4arch9wavefront6targetE0EEEvT1_, .Lfunc_end302-_ZN7rocprim17ROCPRIM_400000_NS6detail17trampoline_kernelINS0_14default_configENS1_25transform_config_selectorIlLb0EEEZNS1_14transform_implILb0ES3_S5_NS0_18transform_iteratorINS0_17counting_iteratorImlEEZNS1_24adjacent_difference_implIS3_Lb1ELb0EPlSB_ZN2at6native12_GLOBAL__N_124unique_dim_cuda_templateIaEESt5tupleIJNSC_6TensorESH_SH_EERKSH_lbbbEUlllE1_EE10hipError_tPvRmT2_T3_mT4_P12ihipStream_tbEUlmE_lEESB_NS0_8identityIvEEEESM_SP_SQ_mSR_ST_bEUlT_E_NS1_11comp_targetILNS1_3genE0ELNS1_11target_archE4294967295ELNS1_3gpuE0ELNS1_3repE0EEENS1_30default_config_static_selectorELNS0_4arch9wavefront6targetE0EEEvT1_
                                        ; -- End function
	.set _ZN7rocprim17ROCPRIM_400000_NS6detail17trampoline_kernelINS0_14default_configENS1_25transform_config_selectorIlLb0EEEZNS1_14transform_implILb0ES3_S5_NS0_18transform_iteratorINS0_17counting_iteratorImlEEZNS1_24adjacent_difference_implIS3_Lb1ELb0EPlSB_ZN2at6native12_GLOBAL__N_124unique_dim_cuda_templateIaEESt5tupleIJNSC_6TensorESH_SH_EERKSH_lbbbEUlllE1_EE10hipError_tPvRmT2_T3_mT4_P12ihipStream_tbEUlmE_lEESB_NS0_8identityIvEEEESM_SP_SQ_mSR_ST_bEUlT_E_NS1_11comp_targetILNS1_3genE0ELNS1_11target_archE4294967295ELNS1_3gpuE0ELNS1_3repE0EEENS1_30default_config_static_selectorELNS0_4arch9wavefront6targetE0EEEvT1_.num_vgpr, 4
	.set _ZN7rocprim17ROCPRIM_400000_NS6detail17trampoline_kernelINS0_14default_configENS1_25transform_config_selectorIlLb0EEEZNS1_14transform_implILb0ES3_S5_NS0_18transform_iteratorINS0_17counting_iteratorImlEEZNS1_24adjacent_difference_implIS3_Lb1ELb0EPlSB_ZN2at6native12_GLOBAL__N_124unique_dim_cuda_templateIaEESt5tupleIJNSC_6TensorESH_SH_EERKSH_lbbbEUlllE1_EE10hipError_tPvRmT2_T3_mT4_P12ihipStream_tbEUlmE_lEESB_NS0_8identityIvEEEESM_SP_SQ_mSR_ST_bEUlT_E_NS1_11comp_targetILNS1_3genE0ELNS1_11target_archE4294967295ELNS1_3gpuE0ELNS1_3repE0EEENS1_30default_config_static_selectorELNS0_4arch9wavefront6targetE0EEEvT1_.num_agpr, 0
	.set _ZN7rocprim17ROCPRIM_400000_NS6detail17trampoline_kernelINS0_14default_configENS1_25transform_config_selectorIlLb0EEEZNS1_14transform_implILb0ES3_S5_NS0_18transform_iteratorINS0_17counting_iteratorImlEEZNS1_24adjacent_difference_implIS3_Lb1ELb0EPlSB_ZN2at6native12_GLOBAL__N_124unique_dim_cuda_templateIaEESt5tupleIJNSC_6TensorESH_SH_EERKSH_lbbbEUlllE1_EE10hipError_tPvRmT2_T3_mT4_P12ihipStream_tbEUlmE_lEESB_NS0_8identityIvEEEESM_SP_SQ_mSR_ST_bEUlT_E_NS1_11comp_targetILNS1_3genE0ELNS1_11target_archE4294967295ELNS1_3gpuE0ELNS1_3repE0EEENS1_30default_config_static_selectorELNS0_4arch9wavefront6targetE0EEEvT1_.numbered_sgpr, 14
	.set _ZN7rocprim17ROCPRIM_400000_NS6detail17trampoline_kernelINS0_14default_configENS1_25transform_config_selectorIlLb0EEEZNS1_14transform_implILb0ES3_S5_NS0_18transform_iteratorINS0_17counting_iteratorImlEEZNS1_24adjacent_difference_implIS3_Lb1ELb0EPlSB_ZN2at6native12_GLOBAL__N_124unique_dim_cuda_templateIaEESt5tupleIJNSC_6TensorESH_SH_EERKSH_lbbbEUlllE1_EE10hipError_tPvRmT2_T3_mT4_P12ihipStream_tbEUlmE_lEESB_NS0_8identityIvEEEESM_SP_SQ_mSR_ST_bEUlT_E_NS1_11comp_targetILNS1_3genE0ELNS1_11target_archE4294967295ELNS1_3gpuE0ELNS1_3repE0EEENS1_30default_config_static_selectorELNS0_4arch9wavefront6targetE0EEEvT1_.num_named_barrier, 0
	.set _ZN7rocprim17ROCPRIM_400000_NS6detail17trampoline_kernelINS0_14default_configENS1_25transform_config_selectorIlLb0EEEZNS1_14transform_implILb0ES3_S5_NS0_18transform_iteratorINS0_17counting_iteratorImlEEZNS1_24adjacent_difference_implIS3_Lb1ELb0EPlSB_ZN2at6native12_GLOBAL__N_124unique_dim_cuda_templateIaEESt5tupleIJNSC_6TensorESH_SH_EERKSH_lbbbEUlllE1_EE10hipError_tPvRmT2_T3_mT4_P12ihipStream_tbEUlmE_lEESB_NS0_8identityIvEEEESM_SP_SQ_mSR_ST_bEUlT_E_NS1_11comp_targetILNS1_3genE0ELNS1_11target_archE4294967295ELNS1_3gpuE0ELNS1_3repE0EEENS1_30default_config_static_selectorELNS0_4arch9wavefront6targetE0EEEvT1_.private_seg_size, 0
	.set _ZN7rocprim17ROCPRIM_400000_NS6detail17trampoline_kernelINS0_14default_configENS1_25transform_config_selectorIlLb0EEEZNS1_14transform_implILb0ES3_S5_NS0_18transform_iteratorINS0_17counting_iteratorImlEEZNS1_24adjacent_difference_implIS3_Lb1ELb0EPlSB_ZN2at6native12_GLOBAL__N_124unique_dim_cuda_templateIaEESt5tupleIJNSC_6TensorESH_SH_EERKSH_lbbbEUlllE1_EE10hipError_tPvRmT2_T3_mT4_P12ihipStream_tbEUlmE_lEESB_NS0_8identityIvEEEESM_SP_SQ_mSR_ST_bEUlT_E_NS1_11comp_targetILNS1_3genE0ELNS1_11target_archE4294967295ELNS1_3gpuE0ELNS1_3repE0EEENS1_30default_config_static_selectorELNS0_4arch9wavefront6targetE0EEEvT1_.uses_vcc, 1
	.set _ZN7rocprim17ROCPRIM_400000_NS6detail17trampoline_kernelINS0_14default_configENS1_25transform_config_selectorIlLb0EEEZNS1_14transform_implILb0ES3_S5_NS0_18transform_iteratorINS0_17counting_iteratorImlEEZNS1_24adjacent_difference_implIS3_Lb1ELb0EPlSB_ZN2at6native12_GLOBAL__N_124unique_dim_cuda_templateIaEESt5tupleIJNSC_6TensorESH_SH_EERKSH_lbbbEUlllE1_EE10hipError_tPvRmT2_T3_mT4_P12ihipStream_tbEUlmE_lEESB_NS0_8identityIvEEEESM_SP_SQ_mSR_ST_bEUlT_E_NS1_11comp_targetILNS1_3genE0ELNS1_11target_archE4294967295ELNS1_3gpuE0ELNS1_3repE0EEENS1_30default_config_static_selectorELNS0_4arch9wavefront6targetE0EEEvT1_.uses_flat_scratch, 0
	.set _ZN7rocprim17ROCPRIM_400000_NS6detail17trampoline_kernelINS0_14default_configENS1_25transform_config_selectorIlLb0EEEZNS1_14transform_implILb0ES3_S5_NS0_18transform_iteratorINS0_17counting_iteratorImlEEZNS1_24adjacent_difference_implIS3_Lb1ELb0EPlSB_ZN2at6native12_GLOBAL__N_124unique_dim_cuda_templateIaEESt5tupleIJNSC_6TensorESH_SH_EERKSH_lbbbEUlllE1_EE10hipError_tPvRmT2_T3_mT4_P12ihipStream_tbEUlmE_lEESB_NS0_8identityIvEEEESM_SP_SQ_mSR_ST_bEUlT_E_NS1_11comp_targetILNS1_3genE0ELNS1_11target_archE4294967295ELNS1_3gpuE0ELNS1_3repE0EEENS1_30default_config_static_selectorELNS0_4arch9wavefront6targetE0EEEvT1_.has_dyn_sized_stack, 0
	.set _ZN7rocprim17ROCPRIM_400000_NS6detail17trampoline_kernelINS0_14default_configENS1_25transform_config_selectorIlLb0EEEZNS1_14transform_implILb0ES3_S5_NS0_18transform_iteratorINS0_17counting_iteratorImlEEZNS1_24adjacent_difference_implIS3_Lb1ELb0EPlSB_ZN2at6native12_GLOBAL__N_124unique_dim_cuda_templateIaEESt5tupleIJNSC_6TensorESH_SH_EERKSH_lbbbEUlllE1_EE10hipError_tPvRmT2_T3_mT4_P12ihipStream_tbEUlmE_lEESB_NS0_8identityIvEEEESM_SP_SQ_mSR_ST_bEUlT_E_NS1_11comp_targetILNS1_3genE0ELNS1_11target_archE4294967295ELNS1_3gpuE0ELNS1_3repE0EEENS1_30default_config_static_selectorELNS0_4arch9wavefront6targetE0EEEvT1_.has_recursion, 0
	.set _ZN7rocprim17ROCPRIM_400000_NS6detail17trampoline_kernelINS0_14default_configENS1_25transform_config_selectorIlLb0EEEZNS1_14transform_implILb0ES3_S5_NS0_18transform_iteratorINS0_17counting_iteratorImlEEZNS1_24adjacent_difference_implIS3_Lb1ELb0EPlSB_ZN2at6native12_GLOBAL__N_124unique_dim_cuda_templateIaEESt5tupleIJNSC_6TensorESH_SH_EERKSH_lbbbEUlllE1_EE10hipError_tPvRmT2_T3_mT4_P12ihipStream_tbEUlmE_lEESB_NS0_8identityIvEEEESM_SP_SQ_mSR_ST_bEUlT_E_NS1_11comp_targetILNS1_3genE0ELNS1_11target_archE4294967295ELNS1_3gpuE0ELNS1_3repE0EEENS1_30default_config_static_selectorELNS0_4arch9wavefront6targetE0EEEvT1_.has_indirect_call, 0
	.section	.AMDGPU.csdata,"",@progbits
; Kernel info:
; codeLenInByte = 240
; TotalNumSgprs: 16
; NumVgprs: 4
; ScratchSize: 0
; MemoryBound: 0
; FloatMode: 240
; IeeeMode: 1
; LDSByteSize: 0 bytes/workgroup (compile time only)
; SGPRBlocks: 0
; VGPRBlocks: 0
; NumSGPRsForWavesPerEU: 16
; NumVGPRsForWavesPerEU: 4
; NamedBarCnt: 0
; Occupancy: 16
; WaveLimiterHint : 0
; COMPUTE_PGM_RSRC2:SCRATCH_EN: 0
; COMPUTE_PGM_RSRC2:USER_SGPR: 2
; COMPUTE_PGM_RSRC2:TRAP_HANDLER: 0
; COMPUTE_PGM_RSRC2:TGID_X_EN: 1
; COMPUTE_PGM_RSRC2:TGID_Y_EN: 0
; COMPUTE_PGM_RSRC2:TGID_Z_EN: 0
; COMPUTE_PGM_RSRC2:TIDIG_COMP_CNT: 0
	.section	.text._ZN7rocprim17ROCPRIM_400000_NS6detail17trampoline_kernelINS0_14default_configENS1_25transform_config_selectorIlLb0EEEZNS1_14transform_implILb0ES3_S5_NS0_18transform_iteratorINS0_17counting_iteratorImlEEZNS1_24adjacent_difference_implIS3_Lb1ELb0EPlSB_ZN2at6native12_GLOBAL__N_124unique_dim_cuda_templateIaEESt5tupleIJNSC_6TensorESH_SH_EERKSH_lbbbEUlllE1_EE10hipError_tPvRmT2_T3_mT4_P12ihipStream_tbEUlmE_lEESB_NS0_8identityIvEEEESM_SP_SQ_mSR_ST_bEUlT_E_NS1_11comp_targetILNS1_3genE5ELNS1_11target_archE942ELNS1_3gpuE9ELNS1_3repE0EEENS1_30default_config_static_selectorELNS0_4arch9wavefront6targetE0EEEvT1_,"axG",@progbits,_ZN7rocprim17ROCPRIM_400000_NS6detail17trampoline_kernelINS0_14default_configENS1_25transform_config_selectorIlLb0EEEZNS1_14transform_implILb0ES3_S5_NS0_18transform_iteratorINS0_17counting_iteratorImlEEZNS1_24adjacent_difference_implIS3_Lb1ELb0EPlSB_ZN2at6native12_GLOBAL__N_124unique_dim_cuda_templateIaEESt5tupleIJNSC_6TensorESH_SH_EERKSH_lbbbEUlllE1_EE10hipError_tPvRmT2_T3_mT4_P12ihipStream_tbEUlmE_lEESB_NS0_8identityIvEEEESM_SP_SQ_mSR_ST_bEUlT_E_NS1_11comp_targetILNS1_3genE5ELNS1_11target_archE942ELNS1_3gpuE9ELNS1_3repE0EEENS1_30default_config_static_selectorELNS0_4arch9wavefront6targetE0EEEvT1_,comdat
	.globl	_ZN7rocprim17ROCPRIM_400000_NS6detail17trampoline_kernelINS0_14default_configENS1_25transform_config_selectorIlLb0EEEZNS1_14transform_implILb0ES3_S5_NS0_18transform_iteratorINS0_17counting_iteratorImlEEZNS1_24adjacent_difference_implIS3_Lb1ELb0EPlSB_ZN2at6native12_GLOBAL__N_124unique_dim_cuda_templateIaEESt5tupleIJNSC_6TensorESH_SH_EERKSH_lbbbEUlllE1_EE10hipError_tPvRmT2_T3_mT4_P12ihipStream_tbEUlmE_lEESB_NS0_8identityIvEEEESM_SP_SQ_mSR_ST_bEUlT_E_NS1_11comp_targetILNS1_3genE5ELNS1_11target_archE942ELNS1_3gpuE9ELNS1_3repE0EEENS1_30default_config_static_selectorELNS0_4arch9wavefront6targetE0EEEvT1_ ; -- Begin function _ZN7rocprim17ROCPRIM_400000_NS6detail17trampoline_kernelINS0_14default_configENS1_25transform_config_selectorIlLb0EEEZNS1_14transform_implILb0ES3_S5_NS0_18transform_iteratorINS0_17counting_iteratorImlEEZNS1_24adjacent_difference_implIS3_Lb1ELb0EPlSB_ZN2at6native12_GLOBAL__N_124unique_dim_cuda_templateIaEESt5tupleIJNSC_6TensorESH_SH_EERKSH_lbbbEUlllE1_EE10hipError_tPvRmT2_T3_mT4_P12ihipStream_tbEUlmE_lEESB_NS0_8identityIvEEEESM_SP_SQ_mSR_ST_bEUlT_E_NS1_11comp_targetILNS1_3genE5ELNS1_11target_archE942ELNS1_3gpuE9ELNS1_3repE0EEENS1_30default_config_static_selectorELNS0_4arch9wavefront6targetE0EEEvT1_
	.p2align	8
	.type	_ZN7rocprim17ROCPRIM_400000_NS6detail17trampoline_kernelINS0_14default_configENS1_25transform_config_selectorIlLb0EEEZNS1_14transform_implILb0ES3_S5_NS0_18transform_iteratorINS0_17counting_iteratorImlEEZNS1_24adjacent_difference_implIS3_Lb1ELb0EPlSB_ZN2at6native12_GLOBAL__N_124unique_dim_cuda_templateIaEESt5tupleIJNSC_6TensorESH_SH_EERKSH_lbbbEUlllE1_EE10hipError_tPvRmT2_T3_mT4_P12ihipStream_tbEUlmE_lEESB_NS0_8identityIvEEEESM_SP_SQ_mSR_ST_bEUlT_E_NS1_11comp_targetILNS1_3genE5ELNS1_11target_archE942ELNS1_3gpuE9ELNS1_3repE0EEENS1_30default_config_static_selectorELNS0_4arch9wavefront6targetE0EEEvT1_,@function
_ZN7rocprim17ROCPRIM_400000_NS6detail17trampoline_kernelINS0_14default_configENS1_25transform_config_selectorIlLb0EEEZNS1_14transform_implILb0ES3_S5_NS0_18transform_iteratorINS0_17counting_iteratorImlEEZNS1_24adjacent_difference_implIS3_Lb1ELb0EPlSB_ZN2at6native12_GLOBAL__N_124unique_dim_cuda_templateIaEESt5tupleIJNSC_6TensorESH_SH_EERKSH_lbbbEUlllE1_EE10hipError_tPvRmT2_T3_mT4_P12ihipStream_tbEUlmE_lEESB_NS0_8identityIvEEEESM_SP_SQ_mSR_ST_bEUlT_E_NS1_11comp_targetILNS1_3genE5ELNS1_11target_archE942ELNS1_3gpuE9ELNS1_3repE0EEENS1_30default_config_static_selectorELNS0_4arch9wavefront6targetE0EEEvT1_: ; @_ZN7rocprim17ROCPRIM_400000_NS6detail17trampoline_kernelINS0_14default_configENS1_25transform_config_selectorIlLb0EEEZNS1_14transform_implILb0ES3_S5_NS0_18transform_iteratorINS0_17counting_iteratorImlEEZNS1_24adjacent_difference_implIS3_Lb1ELb0EPlSB_ZN2at6native12_GLOBAL__N_124unique_dim_cuda_templateIaEESt5tupleIJNSC_6TensorESH_SH_EERKSH_lbbbEUlllE1_EE10hipError_tPvRmT2_T3_mT4_P12ihipStream_tbEUlmE_lEESB_NS0_8identityIvEEEESM_SP_SQ_mSR_ST_bEUlT_E_NS1_11comp_targetILNS1_3genE5ELNS1_11target_archE942ELNS1_3gpuE9ELNS1_3repE0EEENS1_30default_config_static_selectorELNS0_4arch9wavefront6targetE0EEEvT1_
; %bb.0:
	.section	.rodata,"a",@progbits
	.p2align	6, 0x0
	.amdhsa_kernel _ZN7rocprim17ROCPRIM_400000_NS6detail17trampoline_kernelINS0_14default_configENS1_25transform_config_selectorIlLb0EEEZNS1_14transform_implILb0ES3_S5_NS0_18transform_iteratorINS0_17counting_iteratorImlEEZNS1_24adjacent_difference_implIS3_Lb1ELb0EPlSB_ZN2at6native12_GLOBAL__N_124unique_dim_cuda_templateIaEESt5tupleIJNSC_6TensorESH_SH_EERKSH_lbbbEUlllE1_EE10hipError_tPvRmT2_T3_mT4_P12ihipStream_tbEUlmE_lEESB_NS0_8identityIvEEEESM_SP_SQ_mSR_ST_bEUlT_E_NS1_11comp_targetILNS1_3genE5ELNS1_11target_archE942ELNS1_3gpuE9ELNS1_3repE0EEENS1_30default_config_static_selectorELNS0_4arch9wavefront6targetE0EEEvT1_
		.amdhsa_group_segment_fixed_size 0
		.amdhsa_private_segment_fixed_size 0
		.amdhsa_kernarg_size 56
		.amdhsa_user_sgpr_count 2
		.amdhsa_user_sgpr_dispatch_ptr 0
		.amdhsa_user_sgpr_queue_ptr 0
		.amdhsa_user_sgpr_kernarg_segment_ptr 1
		.amdhsa_user_sgpr_dispatch_id 0
		.amdhsa_user_sgpr_kernarg_preload_length 0
		.amdhsa_user_sgpr_kernarg_preload_offset 0
		.amdhsa_user_sgpr_private_segment_size 0
		.amdhsa_wavefront_size32 1
		.amdhsa_uses_dynamic_stack 0
		.amdhsa_enable_private_segment 0
		.amdhsa_system_sgpr_workgroup_id_x 1
		.amdhsa_system_sgpr_workgroup_id_y 0
		.amdhsa_system_sgpr_workgroup_id_z 0
		.amdhsa_system_sgpr_workgroup_info 0
		.amdhsa_system_vgpr_workitem_id 0
		.amdhsa_next_free_vgpr 1
		.amdhsa_next_free_sgpr 1
		.amdhsa_named_barrier_count 0
		.amdhsa_reserve_vcc 0
		.amdhsa_float_round_mode_32 0
		.amdhsa_float_round_mode_16_64 0
		.amdhsa_float_denorm_mode_32 3
		.amdhsa_float_denorm_mode_16_64 3
		.amdhsa_fp16_overflow 0
		.amdhsa_memory_ordered 1
		.amdhsa_forward_progress 1
		.amdhsa_inst_pref_size 0
		.amdhsa_round_robin_scheduling 0
		.amdhsa_exception_fp_ieee_invalid_op 0
		.amdhsa_exception_fp_denorm_src 0
		.amdhsa_exception_fp_ieee_div_zero 0
		.amdhsa_exception_fp_ieee_overflow 0
		.amdhsa_exception_fp_ieee_underflow 0
		.amdhsa_exception_fp_ieee_inexact 0
		.amdhsa_exception_int_div_zero 0
	.end_amdhsa_kernel
	.section	.text._ZN7rocprim17ROCPRIM_400000_NS6detail17trampoline_kernelINS0_14default_configENS1_25transform_config_selectorIlLb0EEEZNS1_14transform_implILb0ES3_S5_NS0_18transform_iteratorINS0_17counting_iteratorImlEEZNS1_24adjacent_difference_implIS3_Lb1ELb0EPlSB_ZN2at6native12_GLOBAL__N_124unique_dim_cuda_templateIaEESt5tupleIJNSC_6TensorESH_SH_EERKSH_lbbbEUlllE1_EE10hipError_tPvRmT2_T3_mT4_P12ihipStream_tbEUlmE_lEESB_NS0_8identityIvEEEESM_SP_SQ_mSR_ST_bEUlT_E_NS1_11comp_targetILNS1_3genE5ELNS1_11target_archE942ELNS1_3gpuE9ELNS1_3repE0EEENS1_30default_config_static_selectorELNS0_4arch9wavefront6targetE0EEEvT1_,"axG",@progbits,_ZN7rocprim17ROCPRIM_400000_NS6detail17trampoline_kernelINS0_14default_configENS1_25transform_config_selectorIlLb0EEEZNS1_14transform_implILb0ES3_S5_NS0_18transform_iteratorINS0_17counting_iteratorImlEEZNS1_24adjacent_difference_implIS3_Lb1ELb0EPlSB_ZN2at6native12_GLOBAL__N_124unique_dim_cuda_templateIaEESt5tupleIJNSC_6TensorESH_SH_EERKSH_lbbbEUlllE1_EE10hipError_tPvRmT2_T3_mT4_P12ihipStream_tbEUlmE_lEESB_NS0_8identityIvEEEESM_SP_SQ_mSR_ST_bEUlT_E_NS1_11comp_targetILNS1_3genE5ELNS1_11target_archE942ELNS1_3gpuE9ELNS1_3repE0EEENS1_30default_config_static_selectorELNS0_4arch9wavefront6targetE0EEEvT1_,comdat
.Lfunc_end303:
	.size	_ZN7rocprim17ROCPRIM_400000_NS6detail17trampoline_kernelINS0_14default_configENS1_25transform_config_selectorIlLb0EEEZNS1_14transform_implILb0ES3_S5_NS0_18transform_iteratorINS0_17counting_iteratorImlEEZNS1_24adjacent_difference_implIS3_Lb1ELb0EPlSB_ZN2at6native12_GLOBAL__N_124unique_dim_cuda_templateIaEESt5tupleIJNSC_6TensorESH_SH_EERKSH_lbbbEUlllE1_EE10hipError_tPvRmT2_T3_mT4_P12ihipStream_tbEUlmE_lEESB_NS0_8identityIvEEEESM_SP_SQ_mSR_ST_bEUlT_E_NS1_11comp_targetILNS1_3genE5ELNS1_11target_archE942ELNS1_3gpuE9ELNS1_3repE0EEENS1_30default_config_static_selectorELNS0_4arch9wavefront6targetE0EEEvT1_, .Lfunc_end303-_ZN7rocprim17ROCPRIM_400000_NS6detail17trampoline_kernelINS0_14default_configENS1_25transform_config_selectorIlLb0EEEZNS1_14transform_implILb0ES3_S5_NS0_18transform_iteratorINS0_17counting_iteratorImlEEZNS1_24adjacent_difference_implIS3_Lb1ELb0EPlSB_ZN2at6native12_GLOBAL__N_124unique_dim_cuda_templateIaEESt5tupleIJNSC_6TensorESH_SH_EERKSH_lbbbEUlllE1_EE10hipError_tPvRmT2_T3_mT4_P12ihipStream_tbEUlmE_lEESB_NS0_8identityIvEEEESM_SP_SQ_mSR_ST_bEUlT_E_NS1_11comp_targetILNS1_3genE5ELNS1_11target_archE942ELNS1_3gpuE9ELNS1_3repE0EEENS1_30default_config_static_selectorELNS0_4arch9wavefront6targetE0EEEvT1_
                                        ; -- End function
	.set _ZN7rocprim17ROCPRIM_400000_NS6detail17trampoline_kernelINS0_14default_configENS1_25transform_config_selectorIlLb0EEEZNS1_14transform_implILb0ES3_S5_NS0_18transform_iteratorINS0_17counting_iteratorImlEEZNS1_24adjacent_difference_implIS3_Lb1ELb0EPlSB_ZN2at6native12_GLOBAL__N_124unique_dim_cuda_templateIaEESt5tupleIJNSC_6TensorESH_SH_EERKSH_lbbbEUlllE1_EE10hipError_tPvRmT2_T3_mT4_P12ihipStream_tbEUlmE_lEESB_NS0_8identityIvEEEESM_SP_SQ_mSR_ST_bEUlT_E_NS1_11comp_targetILNS1_3genE5ELNS1_11target_archE942ELNS1_3gpuE9ELNS1_3repE0EEENS1_30default_config_static_selectorELNS0_4arch9wavefront6targetE0EEEvT1_.num_vgpr, 0
	.set _ZN7rocprim17ROCPRIM_400000_NS6detail17trampoline_kernelINS0_14default_configENS1_25transform_config_selectorIlLb0EEEZNS1_14transform_implILb0ES3_S5_NS0_18transform_iteratorINS0_17counting_iteratorImlEEZNS1_24adjacent_difference_implIS3_Lb1ELb0EPlSB_ZN2at6native12_GLOBAL__N_124unique_dim_cuda_templateIaEESt5tupleIJNSC_6TensorESH_SH_EERKSH_lbbbEUlllE1_EE10hipError_tPvRmT2_T3_mT4_P12ihipStream_tbEUlmE_lEESB_NS0_8identityIvEEEESM_SP_SQ_mSR_ST_bEUlT_E_NS1_11comp_targetILNS1_3genE5ELNS1_11target_archE942ELNS1_3gpuE9ELNS1_3repE0EEENS1_30default_config_static_selectorELNS0_4arch9wavefront6targetE0EEEvT1_.num_agpr, 0
	.set _ZN7rocprim17ROCPRIM_400000_NS6detail17trampoline_kernelINS0_14default_configENS1_25transform_config_selectorIlLb0EEEZNS1_14transform_implILb0ES3_S5_NS0_18transform_iteratorINS0_17counting_iteratorImlEEZNS1_24adjacent_difference_implIS3_Lb1ELb0EPlSB_ZN2at6native12_GLOBAL__N_124unique_dim_cuda_templateIaEESt5tupleIJNSC_6TensorESH_SH_EERKSH_lbbbEUlllE1_EE10hipError_tPvRmT2_T3_mT4_P12ihipStream_tbEUlmE_lEESB_NS0_8identityIvEEEESM_SP_SQ_mSR_ST_bEUlT_E_NS1_11comp_targetILNS1_3genE5ELNS1_11target_archE942ELNS1_3gpuE9ELNS1_3repE0EEENS1_30default_config_static_selectorELNS0_4arch9wavefront6targetE0EEEvT1_.numbered_sgpr, 0
	.set _ZN7rocprim17ROCPRIM_400000_NS6detail17trampoline_kernelINS0_14default_configENS1_25transform_config_selectorIlLb0EEEZNS1_14transform_implILb0ES3_S5_NS0_18transform_iteratorINS0_17counting_iteratorImlEEZNS1_24adjacent_difference_implIS3_Lb1ELb0EPlSB_ZN2at6native12_GLOBAL__N_124unique_dim_cuda_templateIaEESt5tupleIJNSC_6TensorESH_SH_EERKSH_lbbbEUlllE1_EE10hipError_tPvRmT2_T3_mT4_P12ihipStream_tbEUlmE_lEESB_NS0_8identityIvEEEESM_SP_SQ_mSR_ST_bEUlT_E_NS1_11comp_targetILNS1_3genE5ELNS1_11target_archE942ELNS1_3gpuE9ELNS1_3repE0EEENS1_30default_config_static_selectorELNS0_4arch9wavefront6targetE0EEEvT1_.num_named_barrier, 0
	.set _ZN7rocprim17ROCPRIM_400000_NS6detail17trampoline_kernelINS0_14default_configENS1_25transform_config_selectorIlLb0EEEZNS1_14transform_implILb0ES3_S5_NS0_18transform_iteratorINS0_17counting_iteratorImlEEZNS1_24adjacent_difference_implIS3_Lb1ELb0EPlSB_ZN2at6native12_GLOBAL__N_124unique_dim_cuda_templateIaEESt5tupleIJNSC_6TensorESH_SH_EERKSH_lbbbEUlllE1_EE10hipError_tPvRmT2_T3_mT4_P12ihipStream_tbEUlmE_lEESB_NS0_8identityIvEEEESM_SP_SQ_mSR_ST_bEUlT_E_NS1_11comp_targetILNS1_3genE5ELNS1_11target_archE942ELNS1_3gpuE9ELNS1_3repE0EEENS1_30default_config_static_selectorELNS0_4arch9wavefront6targetE0EEEvT1_.private_seg_size, 0
	.set _ZN7rocprim17ROCPRIM_400000_NS6detail17trampoline_kernelINS0_14default_configENS1_25transform_config_selectorIlLb0EEEZNS1_14transform_implILb0ES3_S5_NS0_18transform_iteratorINS0_17counting_iteratorImlEEZNS1_24adjacent_difference_implIS3_Lb1ELb0EPlSB_ZN2at6native12_GLOBAL__N_124unique_dim_cuda_templateIaEESt5tupleIJNSC_6TensorESH_SH_EERKSH_lbbbEUlllE1_EE10hipError_tPvRmT2_T3_mT4_P12ihipStream_tbEUlmE_lEESB_NS0_8identityIvEEEESM_SP_SQ_mSR_ST_bEUlT_E_NS1_11comp_targetILNS1_3genE5ELNS1_11target_archE942ELNS1_3gpuE9ELNS1_3repE0EEENS1_30default_config_static_selectorELNS0_4arch9wavefront6targetE0EEEvT1_.uses_vcc, 0
	.set _ZN7rocprim17ROCPRIM_400000_NS6detail17trampoline_kernelINS0_14default_configENS1_25transform_config_selectorIlLb0EEEZNS1_14transform_implILb0ES3_S5_NS0_18transform_iteratorINS0_17counting_iteratorImlEEZNS1_24adjacent_difference_implIS3_Lb1ELb0EPlSB_ZN2at6native12_GLOBAL__N_124unique_dim_cuda_templateIaEESt5tupleIJNSC_6TensorESH_SH_EERKSH_lbbbEUlllE1_EE10hipError_tPvRmT2_T3_mT4_P12ihipStream_tbEUlmE_lEESB_NS0_8identityIvEEEESM_SP_SQ_mSR_ST_bEUlT_E_NS1_11comp_targetILNS1_3genE5ELNS1_11target_archE942ELNS1_3gpuE9ELNS1_3repE0EEENS1_30default_config_static_selectorELNS0_4arch9wavefront6targetE0EEEvT1_.uses_flat_scratch, 0
	.set _ZN7rocprim17ROCPRIM_400000_NS6detail17trampoline_kernelINS0_14default_configENS1_25transform_config_selectorIlLb0EEEZNS1_14transform_implILb0ES3_S5_NS0_18transform_iteratorINS0_17counting_iteratorImlEEZNS1_24adjacent_difference_implIS3_Lb1ELb0EPlSB_ZN2at6native12_GLOBAL__N_124unique_dim_cuda_templateIaEESt5tupleIJNSC_6TensorESH_SH_EERKSH_lbbbEUlllE1_EE10hipError_tPvRmT2_T3_mT4_P12ihipStream_tbEUlmE_lEESB_NS0_8identityIvEEEESM_SP_SQ_mSR_ST_bEUlT_E_NS1_11comp_targetILNS1_3genE5ELNS1_11target_archE942ELNS1_3gpuE9ELNS1_3repE0EEENS1_30default_config_static_selectorELNS0_4arch9wavefront6targetE0EEEvT1_.has_dyn_sized_stack, 0
	.set _ZN7rocprim17ROCPRIM_400000_NS6detail17trampoline_kernelINS0_14default_configENS1_25transform_config_selectorIlLb0EEEZNS1_14transform_implILb0ES3_S5_NS0_18transform_iteratorINS0_17counting_iteratorImlEEZNS1_24adjacent_difference_implIS3_Lb1ELb0EPlSB_ZN2at6native12_GLOBAL__N_124unique_dim_cuda_templateIaEESt5tupleIJNSC_6TensorESH_SH_EERKSH_lbbbEUlllE1_EE10hipError_tPvRmT2_T3_mT4_P12ihipStream_tbEUlmE_lEESB_NS0_8identityIvEEEESM_SP_SQ_mSR_ST_bEUlT_E_NS1_11comp_targetILNS1_3genE5ELNS1_11target_archE942ELNS1_3gpuE9ELNS1_3repE0EEENS1_30default_config_static_selectorELNS0_4arch9wavefront6targetE0EEEvT1_.has_recursion, 0
	.set _ZN7rocprim17ROCPRIM_400000_NS6detail17trampoline_kernelINS0_14default_configENS1_25transform_config_selectorIlLb0EEEZNS1_14transform_implILb0ES3_S5_NS0_18transform_iteratorINS0_17counting_iteratorImlEEZNS1_24adjacent_difference_implIS3_Lb1ELb0EPlSB_ZN2at6native12_GLOBAL__N_124unique_dim_cuda_templateIaEESt5tupleIJNSC_6TensorESH_SH_EERKSH_lbbbEUlllE1_EE10hipError_tPvRmT2_T3_mT4_P12ihipStream_tbEUlmE_lEESB_NS0_8identityIvEEEESM_SP_SQ_mSR_ST_bEUlT_E_NS1_11comp_targetILNS1_3genE5ELNS1_11target_archE942ELNS1_3gpuE9ELNS1_3repE0EEENS1_30default_config_static_selectorELNS0_4arch9wavefront6targetE0EEEvT1_.has_indirect_call, 0
	.section	.AMDGPU.csdata,"",@progbits
; Kernel info:
; codeLenInByte = 0
; TotalNumSgprs: 0
; NumVgprs: 0
; ScratchSize: 0
; MemoryBound: 0
; FloatMode: 240
; IeeeMode: 1
; LDSByteSize: 0 bytes/workgroup (compile time only)
; SGPRBlocks: 0
; VGPRBlocks: 0
; NumSGPRsForWavesPerEU: 1
; NumVGPRsForWavesPerEU: 1
; NamedBarCnt: 0
; Occupancy: 16
; WaveLimiterHint : 0
; COMPUTE_PGM_RSRC2:SCRATCH_EN: 0
; COMPUTE_PGM_RSRC2:USER_SGPR: 2
; COMPUTE_PGM_RSRC2:TRAP_HANDLER: 0
; COMPUTE_PGM_RSRC2:TGID_X_EN: 1
; COMPUTE_PGM_RSRC2:TGID_Y_EN: 0
; COMPUTE_PGM_RSRC2:TGID_Z_EN: 0
; COMPUTE_PGM_RSRC2:TIDIG_COMP_CNT: 0
	.section	.text._ZN7rocprim17ROCPRIM_400000_NS6detail17trampoline_kernelINS0_14default_configENS1_25transform_config_selectorIlLb0EEEZNS1_14transform_implILb0ES3_S5_NS0_18transform_iteratorINS0_17counting_iteratorImlEEZNS1_24adjacent_difference_implIS3_Lb1ELb0EPlSB_ZN2at6native12_GLOBAL__N_124unique_dim_cuda_templateIaEESt5tupleIJNSC_6TensorESH_SH_EERKSH_lbbbEUlllE1_EE10hipError_tPvRmT2_T3_mT4_P12ihipStream_tbEUlmE_lEESB_NS0_8identityIvEEEESM_SP_SQ_mSR_ST_bEUlT_E_NS1_11comp_targetILNS1_3genE4ELNS1_11target_archE910ELNS1_3gpuE8ELNS1_3repE0EEENS1_30default_config_static_selectorELNS0_4arch9wavefront6targetE0EEEvT1_,"axG",@progbits,_ZN7rocprim17ROCPRIM_400000_NS6detail17trampoline_kernelINS0_14default_configENS1_25transform_config_selectorIlLb0EEEZNS1_14transform_implILb0ES3_S5_NS0_18transform_iteratorINS0_17counting_iteratorImlEEZNS1_24adjacent_difference_implIS3_Lb1ELb0EPlSB_ZN2at6native12_GLOBAL__N_124unique_dim_cuda_templateIaEESt5tupleIJNSC_6TensorESH_SH_EERKSH_lbbbEUlllE1_EE10hipError_tPvRmT2_T3_mT4_P12ihipStream_tbEUlmE_lEESB_NS0_8identityIvEEEESM_SP_SQ_mSR_ST_bEUlT_E_NS1_11comp_targetILNS1_3genE4ELNS1_11target_archE910ELNS1_3gpuE8ELNS1_3repE0EEENS1_30default_config_static_selectorELNS0_4arch9wavefront6targetE0EEEvT1_,comdat
	.globl	_ZN7rocprim17ROCPRIM_400000_NS6detail17trampoline_kernelINS0_14default_configENS1_25transform_config_selectorIlLb0EEEZNS1_14transform_implILb0ES3_S5_NS0_18transform_iteratorINS0_17counting_iteratorImlEEZNS1_24adjacent_difference_implIS3_Lb1ELb0EPlSB_ZN2at6native12_GLOBAL__N_124unique_dim_cuda_templateIaEESt5tupleIJNSC_6TensorESH_SH_EERKSH_lbbbEUlllE1_EE10hipError_tPvRmT2_T3_mT4_P12ihipStream_tbEUlmE_lEESB_NS0_8identityIvEEEESM_SP_SQ_mSR_ST_bEUlT_E_NS1_11comp_targetILNS1_3genE4ELNS1_11target_archE910ELNS1_3gpuE8ELNS1_3repE0EEENS1_30default_config_static_selectorELNS0_4arch9wavefront6targetE0EEEvT1_ ; -- Begin function _ZN7rocprim17ROCPRIM_400000_NS6detail17trampoline_kernelINS0_14default_configENS1_25transform_config_selectorIlLb0EEEZNS1_14transform_implILb0ES3_S5_NS0_18transform_iteratorINS0_17counting_iteratorImlEEZNS1_24adjacent_difference_implIS3_Lb1ELb0EPlSB_ZN2at6native12_GLOBAL__N_124unique_dim_cuda_templateIaEESt5tupleIJNSC_6TensorESH_SH_EERKSH_lbbbEUlllE1_EE10hipError_tPvRmT2_T3_mT4_P12ihipStream_tbEUlmE_lEESB_NS0_8identityIvEEEESM_SP_SQ_mSR_ST_bEUlT_E_NS1_11comp_targetILNS1_3genE4ELNS1_11target_archE910ELNS1_3gpuE8ELNS1_3repE0EEENS1_30default_config_static_selectorELNS0_4arch9wavefront6targetE0EEEvT1_
	.p2align	8
	.type	_ZN7rocprim17ROCPRIM_400000_NS6detail17trampoline_kernelINS0_14default_configENS1_25transform_config_selectorIlLb0EEEZNS1_14transform_implILb0ES3_S5_NS0_18transform_iteratorINS0_17counting_iteratorImlEEZNS1_24adjacent_difference_implIS3_Lb1ELb0EPlSB_ZN2at6native12_GLOBAL__N_124unique_dim_cuda_templateIaEESt5tupleIJNSC_6TensorESH_SH_EERKSH_lbbbEUlllE1_EE10hipError_tPvRmT2_T3_mT4_P12ihipStream_tbEUlmE_lEESB_NS0_8identityIvEEEESM_SP_SQ_mSR_ST_bEUlT_E_NS1_11comp_targetILNS1_3genE4ELNS1_11target_archE910ELNS1_3gpuE8ELNS1_3repE0EEENS1_30default_config_static_selectorELNS0_4arch9wavefront6targetE0EEEvT1_,@function
_ZN7rocprim17ROCPRIM_400000_NS6detail17trampoline_kernelINS0_14default_configENS1_25transform_config_selectorIlLb0EEEZNS1_14transform_implILb0ES3_S5_NS0_18transform_iteratorINS0_17counting_iteratorImlEEZNS1_24adjacent_difference_implIS3_Lb1ELb0EPlSB_ZN2at6native12_GLOBAL__N_124unique_dim_cuda_templateIaEESt5tupleIJNSC_6TensorESH_SH_EERKSH_lbbbEUlllE1_EE10hipError_tPvRmT2_T3_mT4_P12ihipStream_tbEUlmE_lEESB_NS0_8identityIvEEEESM_SP_SQ_mSR_ST_bEUlT_E_NS1_11comp_targetILNS1_3genE4ELNS1_11target_archE910ELNS1_3gpuE8ELNS1_3repE0EEENS1_30default_config_static_selectorELNS0_4arch9wavefront6targetE0EEEvT1_: ; @_ZN7rocprim17ROCPRIM_400000_NS6detail17trampoline_kernelINS0_14default_configENS1_25transform_config_selectorIlLb0EEEZNS1_14transform_implILb0ES3_S5_NS0_18transform_iteratorINS0_17counting_iteratorImlEEZNS1_24adjacent_difference_implIS3_Lb1ELb0EPlSB_ZN2at6native12_GLOBAL__N_124unique_dim_cuda_templateIaEESt5tupleIJNSC_6TensorESH_SH_EERKSH_lbbbEUlllE1_EE10hipError_tPvRmT2_T3_mT4_P12ihipStream_tbEUlmE_lEESB_NS0_8identityIvEEEESM_SP_SQ_mSR_ST_bEUlT_E_NS1_11comp_targetILNS1_3genE4ELNS1_11target_archE910ELNS1_3gpuE8ELNS1_3repE0EEENS1_30default_config_static_selectorELNS0_4arch9wavefront6targetE0EEEvT1_
; %bb.0:
	.section	.rodata,"a",@progbits
	.p2align	6, 0x0
	.amdhsa_kernel _ZN7rocprim17ROCPRIM_400000_NS6detail17trampoline_kernelINS0_14default_configENS1_25transform_config_selectorIlLb0EEEZNS1_14transform_implILb0ES3_S5_NS0_18transform_iteratorINS0_17counting_iteratorImlEEZNS1_24adjacent_difference_implIS3_Lb1ELb0EPlSB_ZN2at6native12_GLOBAL__N_124unique_dim_cuda_templateIaEESt5tupleIJNSC_6TensorESH_SH_EERKSH_lbbbEUlllE1_EE10hipError_tPvRmT2_T3_mT4_P12ihipStream_tbEUlmE_lEESB_NS0_8identityIvEEEESM_SP_SQ_mSR_ST_bEUlT_E_NS1_11comp_targetILNS1_3genE4ELNS1_11target_archE910ELNS1_3gpuE8ELNS1_3repE0EEENS1_30default_config_static_selectorELNS0_4arch9wavefront6targetE0EEEvT1_
		.amdhsa_group_segment_fixed_size 0
		.amdhsa_private_segment_fixed_size 0
		.amdhsa_kernarg_size 56
		.amdhsa_user_sgpr_count 2
		.amdhsa_user_sgpr_dispatch_ptr 0
		.amdhsa_user_sgpr_queue_ptr 0
		.amdhsa_user_sgpr_kernarg_segment_ptr 1
		.amdhsa_user_sgpr_dispatch_id 0
		.amdhsa_user_sgpr_kernarg_preload_length 0
		.amdhsa_user_sgpr_kernarg_preload_offset 0
		.amdhsa_user_sgpr_private_segment_size 0
		.amdhsa_wavefront_size32 1
		.amdhsa_uses_dynamic_stack 0
		.amdhsa_enable_private_segment 0
		.amdhsa_system_sgpr_workgroup_id_x 1
		.amdhsa_system_sgpr_workgroup_id_y 0
		.amdhsa_system_sgpr_workgroup_id_z 0
		.amdhsa_system_sgpr_workgroup_info 0
		.amdhsa_system_vgpr_workitem_id 0
		.amdhsa_next_free_vgpr 1
		.amdhsa_next_free_sgpr 1
		.amdhsa_named_barrier_count 0
		.amdhsa_reserve_vcc 0
		.amdhsa_float_round_mode_32 0
		.amdhsa_float_round_mode_16_64 0
		.amdhsa_float_denorm_mode_32 3
		.amdhsa_float_denorm_mode_16_64 3
		.amdhsa_fp16_overflow 0
		.amdhsa_memory_ordered 1
		.amdhsa_forward_progress 1
		.amdhsa_inst_pref_size 0
		.amdhsa_round_robin_scheduling 0
		.amdhsa_exception_fp_ieee_invalid_op 0
		.amdhsa_exception_fp_denorm_src 0
		.amdhsa_exception_fp_ieee_div_zero 0
		.amdhsa_exception_fp_ieee_overflow 0
		.amdhsa_exception_fp_ieee_underflow 0
		.amdhsa_exception_fp_ieee_inexact 0
		.amdhsa_exception_int_div_zero 0
	.end_amdhsa_kernel
	.section	.text._ZN7rocprim17ROCPRIM_400000_NS6detail17trampoline_kernelINS0_14default_configENS1_25transform_config_selectorIlLb0EEEZNS1_14transform_implILb0ES3_S5_NS0_18transform_iteratorINS0_17counting_iteratorImlEEZNS1_24adjacent_difference_implIS3_Lb1ELb0EPlSB_ZN2at6native12_GLOBAL__N_124unique_dim_cuda_templateIaEESt5tupleIJNSC_6TensorESH_SH_EERKSH_lbbbEUlllE1_EE10hipError_tPvRmT2_T3_mT4_P12ihipStream_tbEUlmE_lEESB_NS0_8identityIvEEEESM_SP_SQ_mSR_ST_bEUlT_E_NS1_11comp_targetILNS1_3genE4ELNS1_11target_archE910ELNS1_3gpuE8ELNS1_3repE0EEENS1_30default_config_static_selectorELNS0_4arch9wavefront6targetE0EEEvT1_,"axG",@progbits,_ZN7rocprim17ROCPRIM_400000_NS6detail17trampoline_kernelINS0_14default_configENS1_25transform_config_selectorIlLb0EEEZNS1_14transform_implILb0ES3_S5_NS0_18transform_iteratorINS0_17counting_iteratorImlEEZNS1_24adjacent_difference_implIS3_Lb1ELb0EPlSB_ZN2at6native12_GLOBAL__N_124unique_dim_cuda_templateIaEESt5tupleIJNSC_6TensorESH_SH_EERKSH_lbbbEUlllE1_EE10hipError_tPvRmT2_T3_mT4_P12ihipStream_tbEUlmE_lEESB_NS0_8identityIvEEEESM_SP_SQ_mSR_ST_bEUlT_E_NS1_11comp_targetILNS1_3genE4ELNS1_11target_archE910ELNS1_3gpuE8ELNS1_3repE0EEENS1_30default_config_static_selectorELNS0_4arch9wavefront6targetE0EEEvT1_,comdat
.Lfunc_end304:
	.size	_ZN7rocprim17ROCPRIM_400000_NS6detail17trampoline_kernelINS0_14default_configENS1_25transform_config_selectorIlLb0EEEZNS1_14transform_implILb0ES3_S5_NS0_18transform_iteratorINS0_17counting_iteratorImlEEZNS1_24adjacent_difference_implIS3_Lb1ELb0EPlSB_ZN2at6native12_GLOBAL__N_124unique_dim_cuda_templateIaEESt5tupleIJNSC_6TensorESH_SH_EERKSH_lbbbEUlllE1_EE10hipError_tPvRmT2_T3_mT4_P12ihipStream_tbEUlmE_lEESB_NS0_8identityIvEEEESM_SP_SQ_mSR_ST_bEUlT_E_NS1_11comp_targetILNS1_3genE4ELNS1_11target_archE910ELNS1_3gpuE8ELNS1_3repE0EEENS1_30default_config_static_selectorELNS0_4arch9wavefront6targetE0EEEvT1_, .Lfunc_end304-_ZN7rocprim17ROCPRIM_400000_NS6detail17trampoline_kernelINS0_14default_configENS1_25transform_config_selectorIlLb0EEEZNS1_14transform_implILb0ES3_S5_NS0_18transform_iteratorINS0_17counting_iteratorImlEEZNS1_24adjacent_difference_implIS3_Lb1ELb0EPlSB_ZN2at6native12_GLOBAL__N_124unique_dim_cuda_templateIaEESt5tupleIJNSC_6TensorESH_SH_EERKSH_lbbbEUlllE1_EE10hipError_tPvRmT2_T3_mT4_P12ihipStream_tbEUlmE_lEESB_NS0_8identityIvEEEESM_SP_SQ_mSR_ST_bEUlT_E_NS1_11comp_targetILNS1_3genE4ELNS1_11target_archE910ELNS1_3gpuE8ELNS1_3repE0EEENS1_30default_config_static_selectorELNS0_4arch9wavefront6targetE0EEEvT1_
                                        ; -- End function
	.set _ZN7rocprim17ROCPRIM_400000_NS6detail17trampoline_kernelINS0_14default_configENS1_25transform_config_selectorIlLb0EEEZNS1_14transform_implILb0ES3_S5_NS0_18transform_iteratorINS0_17counting_iteratorImlEEZNS1_24adjacent_difference_implIS3_Lb1ELb0EPlSB_ZN2at6native12_GLOBAL__N_124unique_dim_cuda_templateIaEESt5tupleIJNSC_6TensorESH_SH_EERKSH_lbbbEUlllE1_EE10hipError_tPvRmT2_T3_mT4_P12ihipStream_tbEUlmE_lEESB_NS0_8identityIvEEEESM_SP_SQ_mSR_ST_bEUlT_E_NS1_11comp_targetILNS1_3genE4ELNS1_11target_archE910ELNS1_3gpuE8ELNS1_3repE0EEENS1_30default_config_static_selectorELNS0_4arch9wavefront6targetE0EEEvT1_.num_vgpr, 0
	.set _ZN7rocprim17ROCPRIM_400000_NS6detail17trampoline_kernelINS0_14default_configENS1_25transform_config_selectorIlLb0EEEZNS1_14transform_implILb0ES3_S5_NS0_18transform_iteratorINS0_17counting_iteratorImlEEZNS1_24adjacent_difference_implIS3_Lb1ELb0EPlSB_ZN2at6native12_GLOBAL__N_124unique_dim_cuda_templateIaEESt5tupleIJNSC_6TensorESH_SH_EERKSH_lbbbEUlllE1_EE10hipError_tPvRmT2_T3_mT4_P12ihipStream_tbEUlmE_lEESB_NS0_8identityIvEEEESM_SP_SQ_mSR_ST_bEUlT_E_NS1_11comp_targetILNS1_3genE4ELNS1_11target_archE910ELNS1_3gpuE8ELNS1_3repE0EEENS1_30default_config_static_selectorELNS0_4arch9wavefront6targetE0EEEvT1_.num_agpr, 0
	.set _ZN7rocprim17ROCPRIM_400000_NS6detail17trampoline_kernelINS0_14default_configENS1_25transform_config_selectorIlLb0EEEZNS1_14transform_implILb0ES3_S5_NS0_18transform_iteratorINS0_17counting_iteratorImlEEZNS1_24adjacent_difference_implIS3_Lb1ELb0EPlSB_ZN2at6native12_GLOBAL__N_124unique_dim_cuda_templateIaEESt5tupleIJNSC_6TensorESH_SH_EERKSH_lbbbEUlllE1_EE10hipError_tPvRmT2_T3_mT4_P12ihipStream_tbEUlmE_lEESB_NS0_8identityIvEEEESM_SP_SQ_mSR_ST_bEUlT_E_NS1_11comp_targetILNS1_3genE4ELNS1_11target_archE910ELNS1_3gpuE8ELNS1_3repE0EEENS1_30default_config_static_selectorELNS0_4arch9wavefront6targetE0EEEvT1_.numbered_sgpr, 0
	.set _ZN7rocprim17ROCPRIM_400000_NS6detail17trampoline_kernelINS0_14default_configENS1_25transform_config_selectorIlLb0EEEZNS1_14transform_implILb0ES3_S5_NS0_18transform_iteratorINS0_17counting_iteratorImlEEZNS1_24adjacent_difference_implIS3_Lb1ELb0EPlSB_ZN2at6native12_GLOBAL__N_124unique_dim_cuda_templateIaEESt5tupleIJNSC_6TensorESH_SH_EERKSH_lbbbEUlllE1_EE10hipError_tPvRmT2_T3_mT4_P12ihipStream_tbEUlmE_lEESB_NS0_8identityIvEEEESM_SP_SQ_mSR_ST_bEUlT_E_NS1_11comp_targetILNS1_3genE4ELNS1_11target_archE910ELNS1_3gpuE8ELNS1_3repE0EEENS1_30default_config_static_selectorELNS0_4arch9wavefront6targetE0EEEvT1_.num_named_barrier, 0
	.set _ZN7rocprim17ROCPRIM_400000_NS6detail17trampoline_kernelINS0_14default_configENS1_25transform_config_selectorIlLb0EEEZNS1_14transform_implILb0ES3_S5_NS0_18transform_iteratorINS0_17counting_iteratorImlEEZNS1_24adjacent_difference_implIS3_Lb1ELb0EPlSB_ZN2at6native12_GLOBAL__N_124unique_dim_cuda_templateIaEESt5tupleIJNSC_6TensorESH_SH_EERKSH_lbbbEUlllE1_EE10hipError_tPvRmT2_T3_mT4_P12ihipStream_tbEUlmE_lEESB_NS0_8identityIvEEEESM_SP_SQ_mSR_ST_bEUlT_E_NS1_11comp_targetILNS1_3genE4ELNS1_11target_archE910ELNS1_3gpuE8ELNS1_3repE0EEENS1_30default_config_static_selectorELNS0_4arch9wavefront6targetE0EEEvT1_.private_seg_size, 0
	.set _ZN7rocprim17ROCPRIM_400000_NS6detail17trampoline_kernelINS0_14default_configENS1_25transform_config_selectorIlLb0EEEZNS1_14transform_implILb0ES3_S5_NS0_18transform_iteratorINS0_17counting_iteratorImlEEZNS1_24adjacent_difference_implIS3_Lb1ELb0EPlSB_ZN2at6native12_GLOBAL__N_124unique_dim_cuda_templateIaEESt5tupleIJNSC_6TensorESH_SH_EERKSH_lbbbEUlllE1_EE10hipError_tPvRmT2_T3_mT4_P12ihipStream_tbEUlmE_lEESB_NS0_8identityIvEEEESM_SP_SQ_mSR_ST_bEUlT_E_NS1_11comp_targetILNS1_3genE4ELNS1_11target_archE910ELNS1_3gpuE8ELNS1_3repE0EEENS1_30default_config_static_selectorELNS0_4arch9wavefront6targetE0EEEvT1_.uses_vcc, 0
	.set _ZN7rocprim17ROCPRIM_400000_NS6detail17trampoline_kernelINS0_14default_configENS1_25transform_config_selectorIlLb0EEEZNS1_14transform_implILb0ES3_S5_NS0_18transform_iteratorINS0_17counting_iteratorImlEEZNS1_24adjacent_difference_implIS3_Lb1ELb0EPlSB_ZN2at6native12_GLOBAL__N_124unique_dim_cuda_templateIaEESt5tupleIJNSC_6TensorESH_SH_EERKSH_lbbbEUlllE1_EE10hipError_tPvRmT2_T3_mT4_P12ihipStream_tbEUlmE_lEESB_NS0_8identityIvEEEESM_SP_SQ_mSR_ST_bEUlT_E_NS1_11comp_targetILNS1_3genE4ELNS1_11target_archE910ELNS1_3gpuE8ELNS1_3repE0EEENS1_30default_config_static_selectorELNS0_4arch9wavefront6targetE0EEEvT1_.uses_flat_scratch, 0
	.set _ZN7rocprim17ROCPRIM_400000_NS6detail17trampoline_kernelINS0_14default_configENS1_25transform_config_selectorIlLb0EEEZNS1_14transform_implILb0ES3_S5_NS0_18transform_iteratorINS0_17counting_iteratorImlEEZNS1_24adjacent_difference_implIS3_Lb1ELb0EPlSB_ZN2at6native12_GLOBAL__N_124unique_dim_cuda_templateIaEESt5tupleIJNSC_6TensorESH_SH_EERKSH_lbbbEUlllE1_EE10hipError_tPvRmT2_T3_mT4_P12ihipStream_tbEUlmE_lEESB_NS0_8identityIvEEEESM_SP_SQ_mSR_ST_bEUlT_E_NS1_11comp_targetILNS1_3genE4ELNS1_11target_archE910ELNS1_3gpuE8ELNS1_3repE0EEENS1_30default_config_static_selectorELNS0_4arch9wavefront6targetE0EEEvT1_.has_dyn_sized_stack, 0
	.set _ZN7rocprim17ROCPRIM_400000_NS6detail17trampoline_kernelINS0_14default_configENS1_25transform_config_selectorIlLb0EEEZNS1_14transform_implILb0ES3_S5_NS0_18transform_iteratorINS0_17counting_iteratorImlEEZNS1_24adjacent_difference_implIS3_Lb1ELb0EPlSB_ZN2at6native12_GLOBAL__N_124unique_dim_cuda_templateIaEESt5tupleIJNSC_6TensorESH_SH_EERKSH_lbbbEUlllE1_EE10hipError_tPvRmT2_T3_mT4_P12ihipStream_tbEUlmE_lEESB_NS0_8identityIvEEEESM_SP_SQ_mSR_ST_bEUlT_E_NS1_11comp_targetILNS1_3genE4ELNS1_11target_archE910ELNS1_3gpuE8ELNS1_3repE0EEENS1_30default_config_static_selectorELNS0_4arch9wavefront6targetE0EEEvT1_.has_recursion, 0
	.set _ZN7rocprim17ROCPRIM_400000_NS6detail17trampoline_kernelINS0_14default_configENS1_25transform_config_selectorIlLb0EEEZNS1_14transform_implILb0ES3_S5_NS0_18transform_iteratorINS0_17counting_iteratorImlEEZNS1_24adjacent_difference_implIS3_Lb1ELb0EPlSB_ZN2at6native12_GLOBAL__N_124unique_dim_cuda_templateIaEESt5tupleIJNSC_6TensorESH_SH_EERKSH_lbbbEUlllE1_EE10hipError_tPvRmT2_T3_mT4_P12ihipStream_tbEUlmE_lEESB_NS0_8identityIvEEEESM_SP_SQ_mSR_ST_bEUlT_E_NS1_11comp_targetILNS1_3genE4ELNS1_11target_archE910ELNS1_3gpuE8ELNS1_3repE0EEENS1_30default_config_static_selectorELNS0_4arch9wavefront6targetE0EEEvT1_.has_indirect_call, 0
	.section	.AMDGPU.csdata,"",@progbits
; Kernel info:
; codeLenInByte = 0
; TotalNumSgprs: 0
; NumVgprs: 0
; ScratchSize: 0
; MemoryBound: 0
; FloatMode: 240
; IeeeMode: 1
; LDSByteSize: 0 bytes/workgroup (compile time only)
; SGPRBlocks: 0
; VGPRBlocks: 0
; NumSGPRsForWavesPerEU: 1
; NumVGPRsForWavesPerEU: 1
; NamedBarCnt: 0
; Occupancy: 16
; WaveLimiterHint : 0
; COMPUTE_PGM_RSRC2:SCRATCH_EN: 0
; COMPUTE_PGM_RSRC2:USER_SGPR: 2
; COMPUTE_PGM_RSRC2:TRAP_HANDLER: 0
; COMPUTE_PGM_RSRC2:TGID_X_EN: 1
; COMPUTE_PGM_RSRC2:TGID_Y_EN: 0
; COMPUTE_PGM_RSRC2:TGID_Z_EN: 0
; COMPUTE_PGM_RSRC2:TIDIG_COMP_CNT: 0
	.section	.text._ZN7rocprim17ROCPRIM_400000_NS6detail17trampoline_kernelINS0_14default_configENS1_25transform_config_selectorIlLb0EEEZNS1_14transform_implILb0ES3_S5_NS0_18transform_iteratorINS0_17counting_iteratorImlEEZNS1_24adjacent_difference_implIS3_Lb1ELb0EPlSB_ZN2at6native12_GLOBAL__N_124unique_dim_cuda_templateIaEESt5tupleIJNSC_6TensorESH_SH_EERKSH_lbbbEUlllE1_EE10hipError_tPvRmT2_T3_mT4_P12ihipStream_tbEUlmE_lEESB_NS0_8identityIvEEEESM_SP_SQ_mSR_ST_bEUlT_E_NS1_11comp_targetILNS1_3genE3ELNS1_11target_archE908ELNS1_3gpuE7ELNS1_3repE0EEENS1_30default_config_static_selectorELNS0_4arch9wavefront6targetE0EEEvT1_,"axG",@progbits,_ZN7rocprim17ROCPRIM_400000_NS6detail17trampoline_kernelINS0_14default_configENS1_25transform_config_selectorIlLb0EEEZNS1_14transform_implILb0ES3_S5_NS0_18transform_iteratorINS0_17counting_iteratorImlEEZNS1_24adjacent_difference_implIS3_Lb1ELb0EPlSB_ZN2at6native12_GLOBAL__N_124unique_dim_cuda_templateIaEESt5tupleIJNSC_6TensorESH_SH_EERKSH_lbbbEUlllE1_EE10hipError_tPvRmT2_T3_mT4_P12ihipStream_tbEUlmE_lEESB_NS0_8identityIvEEEESM_SP_SQ_mSR_ST_bEUlT_E_NS1_11comp_targetILNS1_3genE3ELNS1_11target_archE908ELNS1_3gpuE7ELNS1_3repE0EEENS1_30default_config_static_selectorELNS0_4arch9wavefront6targetE0EEEvT1_,comdat
	.globl	_ZN7rocprim17ROCPRIM_400000_NS6detail17trampoline_kernelINS0_14default_configENS1_25transform_config_selectorIlLb0EEEZNS1_14transform_implILb0ES3_S5_NS0_18transform_iteratorINS0_17counting_iteratorImlEEZNS1_24adjacent_difference_implIS3_Lb1ELb0EPlSB_ZN2at6native12_GLOBAL__N_124unique_dim_cuda_templateIaEESt5tupleIJNSC_6TensorESH_SH_EERKSH_lbbbEUlllE1_EE10hipError_tPvRmT2_T3_mT4_P12ihipStream_tbEUlmE_lEESB_NS0_8identityIvEEEESM_SP_SQ_mSR_ST_bEUlT_E_NS1_11comp_targetILNS1_3genE3ELNS1_11target_archE908ELNS1_3gpuE7ELNS1_3repE0EEENS1_30default_config_static_selectorELNS0_4arch9wavefront6targetE0EEEvT1_ ; -- Begin function _ZN7rocprim17ROCPRIM_400000_NS6detail17trampoline_kernelINS0_14default_configENS1_25transform_config_selectorIlLb0EEEZNS1_14transform_implILb0ES3_S5_NS0_18transform_iteratorINS0_17counting_iteratorImlEEZNS1_24adjacent_difference_implIS3_Lb1ELb0EPlSB_ZN2at6native12_GLOBAL__N_124unique_dim_cuda_templateIaEESt5tupleIJNSC_6TensorESH_SH_EERKSH_lbbbEUlllE1_EE10hipError_tPvRmT2_T3_mT4_P12ihipStream_tbEUlmE_lEESB_NS0_8identityIvEEEESM_SP_SQ_mSR_ST_bEUlT_E_NS1_11comp_targetILNS1_3genE3ELNS1_11target_archE908ELNS1_3gpuE7ELNS1_3repE0EEENS1_30default_config_static_selectorELNS0_4arch9wavefront6targetE0EEEvT1_
	.p2align	8
	.type	_ZN7rocprim17ROCPRIM_400000_NS6detail17trampoline_kernelINS0_14default_configENS1_25transform_config_selectorIlLb0EEEZNS1_14transform_implILb0ES3_S5_NS0_18transform_iteratorINS0_17counting_iteratorImlEEZNS1_24adjacent_difference_implIS3_Lb1ELb0EPlSB_ZN2at6native12_GLOBAL__N_124unique_dim_cuda_templateIaEESt5tupleIJNSC_6TensorESH_SH_EERKSH_lbbbEUlllE1_EE10hipError_tPvRmT2_T3_mT4_P12ihipStream_tbEUlmE_lEESB_NS0_8identityIvEEEESM_SP_SQ_mSR_ST_bEUlT_E_NS1_11comp_targetILNS1_3genE3ELNS1_11target_archE908ELNS1_3gpuE7ELNS1_3repE0EEENS1_30default_config_static_selectorELNS0_4arch9wavefront6targetE0EEEvT1_,@function
_ZN7rocprim17ROCPRIM_400000_NS6detail17trampoline_kernelINS0_14default_configENS1_25transform_config_selectorIlLb0EEEZNS1_14transform_implILb0ES3_S5_NS0_18transform_iteratorINS0_17counting_iteratorImlEEZNS1_24adjacent_difference_implIS3_Lb1ELb0EPlSB_ZN2at6native12_GLOBAL__N_124unique_dim_cuda_templateIaEESt5tupleIJNSC_6TensorESH_SH_EERKSH_lbbbEUlllE1_EE10hipError_tPvRmT2_T3_mT4_P12ihipStream_tbEUlmE_lEESB_NS0_8identityIvEEEESM_SP_SQ_mSR_ST_bEUlT_E_NS1_11comp_targetILNS1_3genE3ELNS1_11target_archE908ELNS1_3gpuE7ELNS1_3repE0EEENS1_30default_config_static_selectorELNS0_4arch9wavefront6targetE0EEEvT1_: ; @_ZN7rocprim17ROCPRIM_400000_NS6detail17trampoline_kernelINS0_14default_configENS1_25transform_config_selectorIlLb0EEEZNS1_14transform_implILb0ES3_S5_NS0_18transform_iteratorINS0_17counting_iteratorImlEEZNS1_24adjacent_difference_implIS3_Lb1ELb0EPlSB_ZN2at6native12_GLOBAL__N_124unique_dim_cuda_templateIaEESt5tupleIJNSC_6TensorESH_SH_EERKSH_lbbbEUlllE1_EE10hipError_tPvRmT2_T3_mT4_P12ihipStream_tbEUlmE_lEESB_NS0_8identityIvEEEESM_SP_SQ_mSR_ST_bEUlT_E_NS1_11comp_targetILNS1_3genE3ELNS1_11target_archE908ELNS1_3gpuE7ELNS1_3repE0EEENS1_30default_config_static_selectorELNS0_4arch9wavefront6targetE0EEEvT1_
; %bb.0:
	.section	.rodata,"a",@progbits
	.p2align	6, 0x0
	.amdhsa_kernel _ZN7rocprim17ROCPRIM_400000_NS6detail17trampoline_kernelINS0_14default_configENS1_25transform_config_selectorIlLb0EEEZNS1_14transform_implILb0ES3_S5_NS0_18transform_iteratorINS0_17counting_iteratorImlEEZNS1_24adjacent_difference_implIS3_Lb1ELb0EPlSB_ZN2at6native12_GLOBAL__N_124unique_dim_cuda_templateIaEESt5tupleIJNSC_6TensorESH_SH_EERKSH_lbbbEUlllE1_EE10hipError_tPvRmT2_T3_mT4_P12ihipStream_tbEUlmE_lEESB_NS0_8identityIvEEEESM_SP_SQ_mSR_ST_bEUlT_E_NS1_11comp_targetILNS1_3genE3ELNS1_11target_archE908ELNS1_3gpuE7ELNS1_3repE0EEENS1_30default_config_static_selectorELNS0_4arch9wavefront6targetE0EEEvT1_
		.amdhsa_group_segment_fixed_size 0
		.amdhsa_private_segment_fixed_size 0
		.amdhsa_kernarg_size 56
		.amdhsa_user_sgpr_count 2
		.amdhsa_user_sgpr_dispatch_ptr 0
		.amdhsa_user_sgpr_queue_ptr 0
		.amdhsa_user_sgpr_kernarg_segment_ptr 1
		.amdhsa_user_sgpr_dispatch_id 0
		.amdhsa_user_sgpr_kernarg_preload_length 0
		.amdhsa_user_sgpr_kernarg_preload_offset 0
		.amdhsa_user_sgpr_private_segment_size 0
		.amdhsa_wavefront_size32 1
		.amdhsa_uses_dynamic_stack 0
		.amdhsa_enable_private_segment 0
		.amdhsa_system_sgpr_workgroup_id_x 1
		.amdhsa_system_sgpr_workgroup_id_y 0
		.amdhsa_system_sgpr_workgroup_id_z 0
		.amdhsa_system_sgpr_workgroup_info 0
		.amdhsa_system_vgpr_workitem_id 0
		.amdhsa_next_free_vgpr 1
		.amdhsa_next_free_sgpr 1
		.amdhsa_named_barrier_count 0
		.amdhsa_reserve_vcc 0
		.amdhsa_float_round_mode_32 0
		.amdhsa_float_round_mode_16_64 0
		.amdhsa_float_denorm_mode_32 3
		.amdhsa_float_denorm_mode_16_64 3
		.amdhsa_fp16_overflow 0
		.amdhsa_memory_ordered 1
		.amdhsa_forward_progress 1
		.amdhsa_inst_pref_size 0
		.amdhsa_round_robin_scheduling 0
		.amdhsa_exception_fp_ieee_invalid_op 0
		.amdhsa_exception_fp_denorm_src 0
		.amdhsa_exception_fp_ieee_div_zero 0
		.amdhsa_exception_fp_ieee_overflow 0
		.amdhsa_exception_fp_ieee_underflow 0
		.amdhsa_exception_fp_ieee_inexact 0
		.amdhsa_exception_int_div_zero 0
	.end_amdhsa_kernel
	.section	.text._ZN7rocprim17ROCPRIM_400000_NS6detail17trampoline_kernelINS0_14default_configENS1_25transform_config_selectorIlLb0EEEZNS1_14transform_implILb0ES3_S5_NS0_18transform_iteratorINS0_17counting_iteratorImlEEZNS1_24adjacent_difference_implIS3_Lb1ELb0EPlSB_ZN2at6native12_GLOBAL__N_124unique_dim_cuda_templateIaEESt5tupleIJNSC_6TensorESH_SH_EERKSH_lbbbEUlllE1_EE10hipError_tPvRmT2_T3_mT4_P12ihipStream_tbEUlmE_lEESB_NS0_8identityIvEEEESM_SP_SQ_mSR_ST_bEUlT_E_NS1_11comp_targetILNS1_3genE3ELNS1_11target_archE908ELNS1_3gpuE7ELNS1_3repE0EEENS1_30default_config_static_selectorELNS0_4arch9wavefront6targetE0EEEvT1_,"axG",@progbits,_ZN7rocprim17ROCPRIM_400000_NS6detail17trampoline_kernelINS0_14default_configENS1_25transform_config_selectorIlLb0EEEZNS1_14transform_implILb0ES3_S5_NS0_18transform_iteratorINS0_17counting_iteratorImlEEZNS1_24adjacent_difference_implIS3_Lb1ELb0EPlSB_ZN2at6native12_GLOBAL__N_124unique_dim_cuda_templateIaEESt5tupleIJNSC_6TensorESH_SH_EERKSH_lbbbEUlllE1_EE10hipError_tPvRmT2_T3_mT4_P12ihipStream_tbEUlmE_lEESB_NS0_8identityIvEEEESM_SP_SQ_mSR_ST_bEUlT_E_NS1_11comp_targetILNS1_3genE3ELNS1_11target_archE908ELNS1_3gpuE7ELNS1_3repE0EEENS1_30default_config_static_selectorELNS0_4arch9wavefront6targetE0EEEvT1_,comdat
.Lfunc_end305:
	.size	_ZN7rocprim17ROCPRIM_400000_NS6detail17trampoline_kernelINS0_14default_configENS1_25transform_config_selectorIlLb0EEEZNS1_14transform_implILb0ES3_S5_NS0_18transform_iteratorINS0_17counting_iteratorImlEEZNS1_24adjacent_difference_implIS3_Lb1ELb0EPlSB_ZN2at6native12_GLOBAL__N_124unique_dim_cuda_templateIaEESt5tupleIJNSC_6TensorESH_SH_EERKSH_lbbbEUlllE1_EE10hipError_tPvRmT2_T3_mT4_P12ihipStream_tbEUlmE_lEESB_NS0_8identityIvEEEESM_SP_SQ_mSR_ST_bEUlT_E_NS1_11comp_targetILNS1_3genE3ELNS1_11target_archE908ELNS1_3gpuE7ELNS1_3repE0EEENS1_30default_config_static_selectorELNS0_4arch9wavefront6targetE0EEEvT1_, .Lfunc_end305-_ZN7rocprim17ROCPRIM_400000_NS6detail17trampoline_kernelINS0_14default_configENS1_25transform_config_selectorIlLb0EEEZNS1_14transform_implILb0ES3_S5_NS0_18transform_iteratorINS0_17counting_iteratorImlEEZNS1_24adjacent_difference_implIS3_Lb1ELb0EPlSB_ZN2at6native12_GLOBAL__N_124unique_dim_cuda_templateIaEESt5tupleIJNSC_6TensorESH_SH_EERKSH_lbbbEUlllE1_EE10hipError_tPvRmT2_T3_mT4_P12ihipStream_tbEUlmE_lEESB_NS0_8identityIvEEEESM_SP_SQ_mSR_ST_bEUlT_E_NS1_11comp_targetILNS1_3genE3ELNS1_11target_archE908ELNS1_3gpuE7ELNS1_3repE0EEENS1_30default_config_static_selectorELNS0_4arch9wavefront6targetE0EEEvT1_
                                        ; -- End function
	.set _ZN7rocprim17ROCPRIM_400000_NS6detail17trampoline_kernelINS0_14default_configENS1_25transform_config_selectorIlLb0EEEZNS1_14transform_implILb0ES3_S5_NS0_18transform_iteratorINS0_17counting_iteratorImlEEZNS1_24adjacent_difference_implIS3_Lb1ELb0EPlSB_ZN2at6native12_GLOBAL__N_124unique_dim_cuda_templateIaEESt5tupleIJNSC_6TensorESH_SH_EERKSH_lbbbEUlllE1_EE10hipError_tPvRmT2_T3_mT4_P12ihipStream_tbEUlmE_lEESB_NS0_8identityIvEEEESM_SP_SQ_mSR_ST_bEUlT_E_NS1_11comp_targetILNS1_3genE3ELNS1_11target_archE908ELNS1_3gpuE7ELNS1_3repE0EEENS1_30default_config_static_selectorELNS0_4arch9wavefront6targetE0EEEvT1_.num_vgpr, 0
	.set _ZN7rocprim17ROCPRIM_400000_NS6detail17trampoline_kernelINS0_14default_configENS1_25transform_config_selectorIlLb0EEEZNS1_14transform_implILb0ES3_S5_NS0_18transform_iteratorINS0_17counting_iteratorImlEEZNS1_24adjacent_difference_implIS3_Lb1ELb0EPlSB_ZN2at6native12_GLOBAL__N_124unique_dim_cuda_templateIaEESt5tupleIJNSC_6TensorESH_SH_EERKSH_lbbbEUlllE1_EE10hipError_tPvRmT2_T3_mT4_P12ihipStream_tbEUlmE_lEESB_NS0_8identityIvEEEESM_SP_SQ_mSR_ST_bEUlT_E_NS1_11comp_targetILNS1_3genE3ELNS1_11target_archE908ELNS1_3gpuE7ELNS1_3repE0EEENS1_30default_config_static_selectorELNS0_4arch9wavefront6targetE0EEEvT1_.num_agpr, 0
	.set _ZN7rocprim17ROCPRIM_400000_NS6detail17trampoline_kernelINS0_14default_configENS1_25transform_config_selectorIlLb0EEEZNS1_14transform_implILb0ES3_S5_NS0_18transform_iteratorINS0_17counting_iteratorImlEEZNS1_24adjacent_difference_implIS3_Lb1ELb0EPlSB_ZN2at6native12_GLOBAL__N_124unique_dim_cuda_templateIaEESt5tupleIJNSC_6TensorESH_SH_EERKSH_lbbbEUlllE1_EE10hipError_tPvRmT2_T3_mT4_P12ihipStream_tbEUlmE_lEESB_NS0_8identityIvEEEESM_SP_SQ_mSR_ST_bEUlT_E_NS1_11comp_targetILNS1_3genE3ELNS1_11target_archE908ELNS1_3gpuE7ELNS1_3repE0EEENS1_30default_config_static_selectorELNS0_4arch9wavefront6targetE0EEEvT1_.numbered_sgpr, 0
	.set _ZN7rocprim17ROCPRIM_400000_NS6detail17trampoline_kernelINS0_14default_configENS1_25transform_config_selectorIlLb0EEEZNS1_14transform_implILb0ES3_S5_NS0_18transform_iteratorINS0_17counting_iteratorImlEEZNS1_24adjacent_difference_implIS3_Lb1ELb0EPlSB_ZN2at6native12_GLOBAL__N_124unique_dim_cuda_templateIaEESt5tupleIJNSC_6TensorESH_SH_EERKSH_lbbbEUlllE1_EE10hipError_tPvRmT2_T3_mT4_P12ihipStream_tbEUlmE_lEESB_NS0_8identityIvEEEESM_SP_SQ_mSR_ST_bEUlT_E_NS1_11comp_targetILNS1_3genE3ELNS1_11target_archE908ELNS1_3gpuE7ELNS1_3repE0EEENS1_30default_config_static_selectorELNS0_4arch9wavefront6targetE0EEEvT1_.num_named_barrier, 0
	.set _ZN7rocprim17ROCPRIM_400000_NS6detail17trampoline_kernelINS0_14default_configENS1_25transform_config_selectorIlLb0EEEZNS1_14transform_implILb0ES3_S5_NS0_18transform_iteratorINS0_17counting_iteratorImlEEZNS1_24adjacent_difference_implIS3_Lb1ELb0EPlSB_ZN2at6native12_GLOBAL__N_124unique_dim_cuda_templateIaEESt5tupleIJNSC_6TensorESH_SH_EERKSH_lbbbEUlllE1_EE10hipError_tPvRmT2_T3_mT4_P12ihipStream_tbEUlmE_lEESB_NS0_8identityIvEEEESM_SP_SQ_mSR_ST_bEUlT_E_NS1_11comp_targetILNS1_3genE3ELNS1_11target_archE908ELNS1_3gpuE7ELNS1_3repE0EEENS1_30default_config_static_selectorELNS0_4arch9wavefront6targetE0EEEvT1_.private_seg_size, 0
	.set _ZN7rocprim17ROCPRIM_400000_NS6detail17trampoline_kernelINS0_14default_configENS1_25transform_config_selectorIlLb0EEEZNS1_14transform_implILb0ES3_S5_NS0_18transform_iteratorINS0_17counting_iteratorImlEEZNS1_24adjacent_difference_implIS3_Lb1ELb0EPlSB_ZN2at6native12_GLOBAL__N_124unique_dim_cuda_templateIaEESt5tupleIJNSC_6TensorESH_SH_EERKSH_lbbbEUlllE1_EE10hipError_tPvRmT2_T3_mT4_P12ihipStream_tbEUlmE_lEESB_NS0_8identityIvEEEESM_SP_SQ_mSR_ST_bEUlT_E_NS1_11comp_targetILNS1_3genE3ELNS1_11target_archE908ELNS1_3gpuE7ELNS1_3repE0EEENS1_30default_config_static_selectorELNS0_4arch9wavefront6targetE0EEEvT1_.uses_vcc, 0
	.set _ZN7rocprim17ROCPRIM_400000_NS6detail17trampoline_kernelINS0_14default_configENS1_25transform_config_selectorIlLb0EEEZNS1_14transform_implILb0ES3_S5_NS0_18transform_iteratorINS0_17counting_iteratorImlEEZNS1_24adjacent_difference_implIS3_Lb1ELb0EPlSB_ZN2at6native12_GLOBAL__N_124unique_dim_cuda_templateIaEESt5tupleIJNSC_6TensorESH_SH_EERKSH_lbbbEUlllE1_EE10hipError_tPvRmT2_T3_mT4_P12ihipStream_tbEUlmE_lEESB_NS0_8identityIvEEEESM_SP_SQ_mSR_ST_bEUlT_E_NS1_11comp_targetILNS1_3genE3ELNS1_11target_archE908ELNS1_3gpuE7ELNS1_3repE0EEENS1_30default_config_static_selectorELNS0_4arch9wavefront6targetE0EEEvT1_.uses_flat_scratch, 0
	.set _ZN7rocprim17ROCPRIM_400000_NS6detail17trampoline_kernelINS0_14default_configENS1_25transform_config_selectorIlLb0EEEZNS1_14transform_implILb0ES3_S5_NS0_18transform_iteratorINS0_17counting_iteratorImlEEZNS1_24adjacent_difference_implIS3_Lb1ELb0EPlSB_ZN2at6native12_GLOBAL__N_124unique_dim_cuda_templateIaEESt5tupleIJNSC_6TensorESH_SH_EERKSH_lbbbEUlllE1_EE10hipError_tPvRmT2_T3_mT4_P12ihipStream_tbEUlmE_lEESB_NS0_8identityIvEEEESM_SP_SQ_mSR_ST_bEUlT_E_NS1_11comp_targetILNS1_3genE3ELNS1_11target_archE908ELNS1_3gpuE7ELNS1_3repE0EEENS1_30default_config_static_selectorELNS0_4arch9wavefront6targetE0EEEvT1_.has_dyn_sized_stack, 0
	.set _ZN7rocprim17ROCPRIM_400000_NS6detail17trampoline_kernelINS0_14default_configENS1_25transform_config_selectorIlLb0EEEZNS1_14transform_implILb0ES3_S5_NS0_18transform_iteratorINS0_17counting_iteratorImlEEZNS1_24adjacent_difference_implIS3_Lb1ELb0EPlSB_ZN2at6native12_GLOBAL__N_124unique_dim_cuda_templateIaEESt5tupleIJNSC_6TensorESH_SH_EERKSH_lbbbEUlllE1_EE10hipError_tPvRmT2_T3_mT4_P12ihipStream_tbEUlmE_lEESB_NS0_8identityIvEEEESM_SP_SQ_mSR_ST_bEUlT_E_NS1_11comp_targetILNS1_3genE3ELNS1_11target_archE908ELNS1_3gpuE7ELNS1_3repE0EEENS1_30default_config_static_selectorELNS0_4arch9wavefront6targetE0EEEvT1_.has_recursion, 0
	.set _ZN7rocprim17ROCPRIM_400000_NS6detail17trampoline_kernelINS0_14default_configENS1_25transform_config_selectorIlLb0EEEZNS1_14transform_implILb0ES3_S5_NS0_18transform_iteratorINS0_17counting_iteratorImlEEZNS1_24adjacent_difference_implIS3_Lb1ELb0EPlSB_ZN2at6native12_GLOBAL__N_124unique_dim_cuda_templateIaEESt5tupleIJNSC_6TensorESH_SH_EERKSH_lbbbEUlllE1_EE10hipError_tPvRmT2_T3_mT4_P12ihipStream_tbEUlmE_lEESB_NS0_8identityIvEEEESM_SP_SQ_mSR_ST_bEUlT_E_NS1_11comp_targetILNS1_3genE3ELNS1_11target_archE908ELNS1_3gpuE7ELNS1_3repE0EEENS1_30default_config_static_selectorELNS0_4arch9wavefront6targetE0EEEvT1_.has_indirect_call, 0
	.section	.AMDGPU.csdata,"",@progbits
; Kernel info:
; codeLenInByte = 0
; TotalNumSgprs: 0
; NumVgprs: 0
; ScratchSize: 0
; MemoryBound: 0
; FloatMode: 240
; IeeeMode: 1
; LDSByteSize: 0 bytes/workgroup (compile time only)
; SGPRBlocks: 0
; VGPRBlocks: 0
; NumSGPRsForWavesPerEU: 1
; NumVGPRsForWavesPerEU: 1
; NamedBarCnt: 0
; Occupancy: 16
; WaveLimiterHint : 0
; COMPUTE_PGM_RSRC2:SCRATCH_EN: 0
; COMPUTE_PGM_RSRC2:USER_SGPR: 2
; COMPUTE_PGM_RSRC2:TRAP_HANDLER: 0
; COMPUTE_PGM_RSRC2:TGID_X_EN: 1
; COMPUTE_PGM_RSRC2:TGID_Y_EN: 0
; COMPUTE_PGM_RSRC2:TGID_Z_EN: 0
; COMPUTE_PGM_RSRC2:TIDIG_COMP_CNT: 0
	.section	.text._ZN7rocprim17ROCPRIM_400000_NS6detail17trampoline_kernelINS0_14default_configENS1_25transform_config_selectorIlLb0EEEZNS1_14transform_implILb0ES3_S5_NS0_18transform_iteratorINS0_17counting_iteratorImlEEZNS1_24adjacent_difference_implIS3_Lb1ELb0EPlSB_ZN2at6native12_GLOBAL__N_124unique_dim_cuda_templateIaEESt5tupleIJNSC_6TensorESH_SH_EERKSH_lbbbEUlllE1_EE10hipError_tPvRmT2_T3_mT4_P12ihipStream_tbEUlmE_lEESB_NS0_8identityIvEEEESM_SP_SQ_mSR_ST_bEUlT_E_NS1_11comp_targetILNS1_3genE2ELNS1_11target_archE906ELNS1_3gpuE6ELNS1_3repE0EEENS1_30default_config_static_selectorELNS0_4arch9wavefront6targetE0EEEvT1_,"axG",@progbits,_ZN7rocprim17ROCPRIM_400000_NS6detail17trampoline_kernelINS0_14default_configENS1_25transform_config_selectorIlLb0EEEZNS1_14transform_implILb0ES3_S5_NS0_18transform_iteratorINS0_17counting_iteratorImlEEZNS1_24adjacent_difference_implIS3_Lb1ELb0EPlSB_ZN2at6native12_GLOBAL__N_124unique_dim_cuda_templateIaEESt5tupleIJNSC_6TensorESH_SH_EERKSH_lbbbEUlllE1_EE10hipError_tPvRmT2_T3_mT4_P12ihipStream_tbEUlmE_lEESB_NS0_8identityIvEEEESM_SP_SQ_mSR_ST_bEUlT_E_NS1_11comp_targetILNS1_3genE2ELNS1_11target_archE906ELNS1_3gpuE6ELNS1_3repE0EEENS1_30default_config_static_selectorELNS0_4arch9wavefront6targetE0EEEvT1_,comdat
	.globl	_ZN7rocprim17ROCPRIM_400000_NS6detail17trampoline_kernelINS0_14default_configENS1_25transform_config_selectorIlLb0EEEZNS1_14transform_implILb0ES3_S5_NS0_18transform_iteratorINS0_17counting_iteratorImlEEZNS1_24adjacent_difference_implIS3_Lb1ELb0EPlSB_ZN2at6native12_GLOBAL__N_124unique_dim_cuda_templateIaEESt5tupleIJNSC_6TensorESH_SH_EERKSH_lbbbEUlllE1_EE10hipError_tPvRmT2_T3_mT4_P12ihipStream_tbEUlmE_lEESB_NS0_8identityIvEEEESM_SP_SQ_mSR_ST_bEUlT_E_NS1_11comp_targetILNS1_3genE2ELNS1_11target_archE906ELNS1_3gpuE6ELNS1_3repE0EEENS1_30default_config_static_selectorELNS0_4arch9wavefront6targetE0EEEvT1_ ; -- Begin function _ZN7rocprim17ROCPRIM_400000_NS6detail17trampoline_kernelINS0_14default_configENS1_25transform_config_selectorIlLb0EEEZNS1_14transform_implILb0ES3_S5_NS0_18transform_iteratorINS0_17counting_iteratorImlEEZNS1_24adjacent_difference_implIS3_Lb1ELb0EPlSB_ZN2at6native12_GLOBAL__N_124unique_dim_cuda_templateIaEESt5tupleIJNSC_6TensorESH_SH_EERKSH_lbbbEUlllE1_EE10hipError_tPvRmT2_T3_mT4_P12ihipStream_tbEUlmE_lEESB_NS0_8identityIvEEEESM_SP_SQ_mSR_ST_bEUlT_E_NS1_11comp_targetILNS1_3genE2ELNS1_11target_archE906ELNS1_3gpuE6ELNS1_3repE0EEENS1_30default_config_static_selectorELNS0_4arch9wavefront6targetE0EEEvT1_
	.p2align	8
	.type	_ZN7rocprim17ROCPRIM_400000_NS6detail17trampoline_kernelINS0_14default_configENS1_25transform_config_selectorIlLb0EEEZNS1_14transform_implILb0ES3_S5_NS0_18transform_iteratorINS0_17counting_iteratorImlEEZNS1_24adjacent_difference_implIS3_Lb1ELb0EPlSB_ZN2at6native12_GLOBAL__N_124unique_dim_cuda_templateIaEESt5tupleIJNSC_6TensorESH_SH_EERKSH_lbbbEUlllE1_EE10hipError_tPvRmT2_T3_mT4_P12ihipStream_tbEUlmE_lEESB_NS0_8identityIvEEEESM_SP_SQ_mSR_ST_bEUlT_E_NS1_11comp_targetILNS1_3genE2ELNS1_11target_archE906ELNS1_3gpuE6ELNS1_3repE0EEENS1_30default_config_static_selectorELNS0_4arch9wavefront6targetE0EEEvT1_,@function
_ZN7rocprim17ROCPRIM_400000_NS6detail17trampoline_kernelINS0_14default_configENS1_25transform_config_selectorIlLb0EEEZNS1_14transform_implILb0ES3_S5_NS0_18transform_iteratorINS0_17counting_iteratorImlEEZNS1_24adjacent_difference_implIS3_Lb1ELb0EPlSB_ZN2at6native12_GLOBAL__N_124unique_dim_cuda_templateIaEESt5tupleIJNSC_6TensorESH_SH_EERKSH_lbbbEUlllE1_EE10hipError_tPvRmT2_T3_mT4_P12ihipStream_tbEUlmE_lEESB_NS0_8identityIvEEEESM_SP_SQ_mSR_ST_bEUlT_E_NS1_11comp_targetILNS1_3genE2ELNS1_11target_archE906ELNS1_3gpuE6ELNS1_3repE0EEENS1_30default_config_static_selectorELNS0_4arch9wavefront6targetE0EEEvT1_: ; @_ZN7rocprim17ROCPRIM_400000_NS6detail17trampoline_kernelINS0_14default_configENS1_25transform_config_selectorIlLb0EEEZNS1_14transform_implILb0ES3_S5_NS0_18transform_iteratorINS0_17counting_iteratorImlEEZNS1_24adjacent_difference_implIS3_Lb1ELb0EPlSB_ZN2at6native12_GLOBAL__N_124unique_dim_cuda_templateIaEESt5tupleIJNSC_6TensorESH_SH_EERKSH_lbbbEUlllE1_EE10hipError_tPvRmT2_T3_mT4_P12ihipStream_tbEUlmE_lEESB_NS0_8identityIvEEEESM_SP_SQ_mSR_ST_bEUlT_E_NS1_11comp_targetILNS1_3genE2ELNS1_11target_archE906ELNS1_3gpuE6ELNS1_3repE0EEENS1_30default_config_static_selectorELNS0_4arch9wavefront6targetE0EEEvT1_
; %bb.0:
	.section	.rodata,"a",@progbits
	.p2align	6, 0x0
	.amdhsa_kernel _ZN7rocprim17ROCPRIM_400000_NS6detail17trampoline_kernelINS0_14default_configENS1_25transform_config_selectorIlLb0EEEZNS1_14transform_implILb0ES3_S5_NS0_18transform_iteratorINS0_17counting_iteratorImlEEZNS1_24adjacent_difference_implIS3_Lb1ELb0EPlSB_ZN2at6native12_GLOBAL__N_124unique_dim_cuda_templateIaEESt5tupleIJNSC_6TensorESH_SH_EERKSH_lbbbEUlllE1_EE10hipError_tPvRmT2_T3_mT4_P12ihipStream_tbEUlmE_lEESB_NS0_8identityIvEEEESM_SP_SQ_mSR_ST_bEUlT_E_NS1_11comp_targetILNS1_3genE2ELNS1_11target_archE906ELNS1_3gpuE6ELNS1_3repE0EEENS1_30default_config_static_selectorELNS0_4arch9wavefront6targetE0EEEvT1_
		.amdhsa_group_segment_fixed_size 0
		.amdhsa_private_segment_fixed_size 0
		.amdhsa_kernarg_size 56
		.amdhsa_user_sgpr_count 2
		.amdhsa_user_sgpr_dispatch_ptr 0
		.amdhsa_user_sgpr_queue_ptr 0
		.amdhsa_user_sgpr_kernarg_segment_ptr 1
		.amdhsa_user_sgpr_dispatch_id 0
		.amdhsa_user_sgpr_kernarg_preload_length 0
		.amdhsa_user_sgpr_kernarg_preload_offset 0
		.amdhsa_user_sgpr_private_segment_size 0
		.amdhsa_wavefront_size32 1
		.amdhsa_uses_dynamic_stack 0
		.amdhsa_enable_private_segment 0
		.amdhsa_system_sgpr_workgroup_id_x 1
		.amdhsa_system_sgpr_workgroup_id_y 0
		.amdhsa_system_sgpr_workgroup_id_z 0
		.amdhsa_system_sgpr_workgroup_info 0
		.amdhsa_system_vgpr_workitem_id 0
		.amdhsa_next_free_vgpr 1
		.amdhsa_next_free_sgpr 1
		.amdhsa_named_barrier_count 0
		.amdhsa_reserve_vcc 0
		.amdhsa_float_round_mode_32 0
		.amdhsa_float_round_mode_16_64 0
		.amdhsa_float_denorm_mode_32 3
		.amdhsa_float_denorm_mode_16_64 3
		.amdhsa_fp16_overflow 0
		.amdhsa_memory_ordered 1
		.amdhsa_forward_progress 1
		.amdhsa_inst_pref_size 0
		.amdhsa_round_robin_scheduling 0
		.amdhsa_exception_fp_ieee_invalid_op 0
		.amdhsa_exception_fp_denorm_src 0
		.amdhsa_exception_fp_ieee_div_zero 0
		.amdhsa_exception_fp_ieee_overflow 0
		.amdhsa_exception_fp_ieee_underflow 0
		.amdhsa_exception_fp_ieee_inexact 0
		.amdhsa_exception_int_div_zero 0
	.end_amdhsa_kernel
	.section	.text._ZN7rocprim17ROCPRIM_400000_NS6detail17trampoline_kernelINS0_14default_configENS1_25transform_config_selectorIlLb0EEEZNS1_14transform_implILb0ES3_S5_NS0_18transform_iteratorINS0_17counting_iteratorImlEEZNS1_24adjacent_difference_implIS3_Lb1ELb0EPlSB_ZN2at6native12_GLOBAL__N_124unique_dim_cuda_templateIaEESt5tupleIJNSC_6TensorESH_SH_EERKSH_lbbbEUlllE1_EE10hipError_tPvRmT2_T3_mT4_P12ihipStream_tbEUlmE_lEESB_NS0_8identityIvEEEESM_SP_SQ_mSR_ST_bEUlT_E_NS1_11comp_targetILNS1_3genE2ELNS1_11target_archE906ELNS1_3gpuE6ELNS1_3repE0EEENS1_30default_config_static_selectorELNS0_4arch9wavefront6targetE0EEEvT1_,"axG",@progbits,_ZN7rocprim17ROCPRIM_400000_NS6detail17trampoline_kernelINS0_14default_configENS1_25transform_config_selectorIlLb0EEEZNS1_14transform_implILb0ES3_S5_NS0_18transform_iteratorINS0_17counting_iteratorImlEEZNS1_24adjacent_difference_implIS3_Lb1ELb0EPlSB_ZN2at6native12_GLOBAL__N_124unique_dim_cuda_templateIaEESt5tupleIJNSC_6TensorESH_SH_EERKSH_lbbbEUlllE1_EE10hipError_tPvRmT2_T3_mT4_P12ihipStream_tbEUlmE_lEESB_NS0_8identityIvEEEESM_SP_SQ_mSR_ST_bEUlT_E_NS1_11comp_targetILNS1_3genE2ELNS1_11target_archE906ELNS1_3gpuE6ELNS1_3repE0EEENS1_30default_config_static_selectorELNS0_4arch9wavefront6targetE0EEEvT1_,comdat
.Lfunc_end306:
	.size	_ZN7rocprim17ROCPRIM_400000_NS6detail17trampoline_kernelINS0_14default_configENS1_25transform_config_selectorIlLb0EEEZNS1_14transform_implILb0ES3_S5_NS0_18transform_iteratorINS0_17counting_iteratorImlEEZNS1_24adjacent_difference_implIS3_Lb1ELb0EPlSB_ZN2at6native12_GLOBAL__N_124unique_dim_cuda_templateIaEESt5tupleIJNSC_6TensorESH_SH_EERKSH_lbbbEUlllE1_EE10hipError_tPvRmT2_T3_mT4_P12ihipStream_tbEUlmE_lEESB_NS0_8identityIvEEEESM_SP_SQ_mSR_ST_bEUlT_E_NS1_11comp_targetILNS1_3genE2ELNS1_11target_archE906ELNS1_3gpuE6ELNS1_3repE0EEENS1_30default_config_static_selectorELNS0_4arch9wavefront6targetE0EEEvT1_, .Lfunc_end306-_ZN7rocprim17ROCPRIM_400000_NS6detail17trampoline_kernelINS0_14default_configENS1_25transform_config_selectorIlLb0EEEZNS1_14transform_implILb0ES3_S5_NS0_18transform_iteratorINS0_17counting_iteratorImlEEZNS1_24adjacent_difference_implIS3_Lb1ELb0EPlSB_ZN2at6native12_GLOBAL__N_124unique_dim_cuda_templateIaEESt5tupleIJNSC_6TensorESH_SH_EERKSH_lbbbEUlllE1_EE10hipError_tPvRmT2_T3_mT4_P12ihipStream_tbEUlmE_lEESB_NS0_8identityIvEEEESM_SP_SQ_mSR_ST_bEUlT_E_NS1_11comp_targetILNS1_3genE2ELNS1_11target_archE906ELNS1_3gpuE6ELNS1_3repE0EEENS1_30default_config_static_selectorELNS0_4arch9wavefront6targetE0EEEvT1_
                                        ; -- End function
	.set _ZN7rocprim17ROCPRIM_400000_NS6detail17trampoline_kernelINS0_14default_configENS1_25transform_config_selectorIlLb0EEEZNS1_14transform_implILb0ES3_S5_NS0_18transform_iteratorINS0_17counting_iteratorImlEEZNS1_24adjacent_difference_implIS3_Lb1ELb0EPlSB_ZN2at6native12_GLOBAL__N_124unique_dim_cuda_templateIaEESt5tupleIJNSC_6TensorESH_SH_EERKSH_lbbbEUlllE1_EE10hipError_tPvRmT2_T3_mT4_P12ihipStream_tbEUlmE_lEESB_NS0_8identityIvEEEESM_SP_SQ_mSR_ST_bEUlT_E_NS1_11comp_targetILNS1_3genE2ELNS1_11target_archE906ELNS1_3gpuE6ELNS1_3repE0EEENS1_30default_config_static_selectorELNS0_4arch9wavefront6targetE0EEEvT1_.num_vgpr, 0
	.set _ZN7rocprim17ROCPRIM_400000_NS6detail17trampoline_kernelINS0_14default_configENS1_25transform_config_selectorIlLb0EEEZNS1_14transform_implILb0ES3_S5_NS0_18transform_iteratorINS0_17counting_iteratorImlEEZNS1_24adjacent_difference_implIS3_Lb1ELb0EPlSB_ZN2at6native12_GLOBAL__N_124unique_dim_cuda_templateIaEESt5tupleIJNSC_6TensorESH_SH_EERKSH_lbbbEUlllE1_EE10hipError_tPvRmT2_T3_mT4_P12ihipStream_tbEUlmE_lEESB_NS0_8identityIvEEEESM_SP_SQ_mSR_ST_bEUlT_E_NS1_11comp_targetILNS1_3genE2ELNS1_11target_archE906ELNS1_3gpuE6ELNS1_3repE0EEENS1_30default_config_static_selectorELNS0_4arch9wavefront6targetE0EEEvT1_.num_agpr, 0
	.set _ZN7rocprim17ROCPRIM_400000_NS6detail17trampoline_kernelINS0_14default_configENS1_25transform_config_selectorIlLb0EEEZNS1_14transform_implILb0ES3_S5_NS0_18transform_iteratorINS0_17counting_iteratorImlEEZNS1_24adjacent_difference_implIS3_Lb1ELb0EPlSB_ZN2at6native12_GLOBAL__N_124unique_dim_cuda_templateIaEESt5tupleIJNSC_6TensorESH_SH_EERKSH_lbbbEUlllE1_EE10hipError_tPvRmT2_T3_mT4_P12ihipStream_tbEUlmE_lEESB_NS0_8identityIvEEEESM_SP_SQ_mSR_ST_bEUlT_E_NS1_11comp_targetILNS1_3genE2ELNS1_11target_archE906ELNS1_3gpuE6ELNS1_3repE0EEENS1_30default_config_static_selectorELNS0_4arch9wavefront6targetE0EEEvT1_.numbered_sgpr, 0
	.set _ZN7rocprim17ROCPRIM_400000_NS6detail17trampoline_kernelINS0_14default_configENS1_25transform_config_selectorIlLb0EEEZNS1_14transform_implILb0ES3_S5_NS0_18transform_iteratorINS0_17counting_iteratorImlEEZNS1_24adjacent_difference_implIS3_Lb1ELb0EPlSB_ZN2at6native12_GLOBAL__N_124unique_dim_cuda_templateIaEESt5tupleIJNSC_6TensorESH_SH_EERKSH_lbbbEUlllE1_EE10hipError_tPvRmT2_T3_mT4_P12ihipStream_tbEUlmE_lEESB_NS0_8identityIvEEEESM_SP_SQ_mSR_ST_bEUlT_E_NS1_11comp_targetILNS1_3genE2ELNS1_11target_archE906ELNS1_3gpuE6ELNS1_3repE0EEENS1_30default_config_static_selectorELNS0_4arch9wavefront6targetE0EEEvT1_.num_named_barrier, 0
	.set _ZN7rocprim17ROCPRIM_400000_NS6detail17trampoline_kernelINS0_14default_configENS1_25transform_config_selectorIlLb0EEEZNS1_14transform_implILb0ES3_S5_NS0_18transform_iteratorINS0_17counting_iteratorImlEEZNS1_24adjacent_difference_implIS3_Lb1ELb0EPlSB_ZN2at6native12_GLOBAL__N_124unique_dim_cuda_templateIaEESt5tupleIJNSC_6TensorESH_SH_EERKSH_lbbbEUlllE1_EE10hipError_tPvRmT2_T3_mT4_P12ihipStream_tbEUlmE_lEESB_NS0_8identityIvEEEESM_SP_SQ_mSR_ST_bEUlT_E_NS1_11comp_targetILNS1_3genE2ELNS1_11target_archE906ELNS1_3gpuE6ELNS1_3repE0EEENS1_30default_config_static_selectorELNS0_4arch9wavefront6targetE0EEEvT1_.private_seg_size, 0
	.set _ZN7rocprim17ROCPRIM_400000_NS6detail17trampoline_kernelINS0_14default_configENS1_25transform_config_selectorIlLb0EEEZNS1_14transform_implILb0ES3_S5_NS0_18transform_iteratorINS0_17counting_iteratorImlEEZNS1_24adjacent_difference_implIS3_Lb1ELb0EPlSB_ZN2at6native12_GLOBAL__N_124unique_dim_cuda_templateIaEESt5tupleIJNSC_6TensorESH_SH_EERKSH_lbbbEUlllE1_EE10hipError_tPvRmT2_T3_mT4_P12ihipStream_tbEUlmE_lEESB_NS0_8identityIvEEEESM_SP_SQ_mSR_ST_bEUlT_E_NS1_11comp_targetILNS1_3genE2ELNS1_11target_archE906ELNS1_3gpuE6ELNS1_3repE0EEENS1_30default_config_static_selectorELNS0_4arch9wavefront6targetE0EEEvT1_.uses_vcc, 0
	.set _ZN7rocprim17ROCPRIM_400000_NS6detail17trampoline_kernelINS0_14default_configENS1_25transform_config_selectorIlLb0EEEZNS1_14transform_implILb0ES3_S5_NS0_18transform_iteratorINS0_17counting_iteratorImlEEZNS1_24adjacent_difference_implIS3_Lb1ELb0EPlSB_ZN2at6native12_GLOBAL__N_124unique_dim_cuda_templateIaEESt5tupleIJNSC_6TensorESH_SH_EERKSH_lbbbEUlllE1_EE10hipError_tPvRmT2_T3_mT4_P12ihipStream_tbEUlmE_lEESB_NS0_8identityIvEEEESM_SP_SQ_mSR_ST_bEUlT_E_NS1_11comp_targetILNS1_3genE2ELNS1_11target_archE906ELNS1_3gpuE6ELNS1_3repE0EEENS1_30default_config_static_selectorELNS0_4arch9wavefront6targetE0EEEvT1_.uses_flat_scratch, 0
	.set _ZN7rocprim17ROCPRIM_400000_NS6detail17trampoline_kernelINS0_14default_configENS1_25transform_config_selectorIlLb0EEEZNS1_14transform_implILb0ES3_S5_NS0_18transform_iteratorINS0_17counting_iteratorImlEEZNS1_24adjacent_difference_implIS3_Lb1ELb0EPlSB_ZN2at6native12_GLOBAL__N_124unique_dim_cuda_templateIaEESt5tupleIJNSC_6TensorESH_SH_EERKSH_lbbbEUlllE1_EE10hipError_tPvRmT2_T3_mT4_P12ihipStream_tbEUlmE_lEESB_NS0_8identityIvEEEESM_SP_SQ_mSR_ST_bEUlT_E_NS1_11comp_targetILNS1_3genE2ELNS1_11target_archE906ELNS1_3gpuE6ELNS1_3repE0EEENS1_30default_config_static_selectorELNS0_4arch9wavefront6targetE0EEEvT1_.has_dyn_sized_stack, 0
	.set _ZN7rocprim17ROCPRIM_400000_NS6detail17trampoline_kernelINS0_14default_configENS1_25transform_config_selectorIlLb0EEEZNS1_14transform_implILb0ES3_S5_NS0_18transform_iteratorINS0_17counting_iteratorImlEEZNS1_24adjacent_difference_implIS3_Lb1ELb0EPlSB_ZN2at6native12_GLOBAL__N_124unique_dim_cuda_templateIaEESt5tupleIJNSC_6TensorESH_SH_EERKSH_lbbbEUlllE1_EE10hipError_tPvRmT2_T3_mT4_P12ihipStream_tbEUlmE_lEESB_NS0_8identityIvEEEESM_SP_SQ_mSR_ST_bEUlT_E_NS1_11comp_targetILNS1_3genE2ELNS1_11target_archE906ELNS1_3gpuE6ELNS1_3repE0EEENS1_30default_config_static_selectorELNS0_4arch9wavefront6targetE0EEEvT1_.has_recursion, 0
	.set _ZN7rocprim17ROCPRIM_400000_NS6detail17trampoline_kernelINS0_14default_configENS1_25transform_config_selectorIlLb0EEEZNS1_14transform_implILb0ES3_S5_NS0_18transform_iteratorINS0_17counting_iteratorImlEEZNS1_24adjacent_difference_implIS3_Lb1ELb0EPlSB_ZN2at6native12_GLOBAL__N_124unique_dim_cuda_templateIaEESt5tupleIJNSC_6TensorESH_SH_EERKSH_lbbbEUlllE1_EE10hipError_tPvRmT2_T3_mT4_P12ihipStream_tbEUlmE_lEESB_NS0_8identityIvEEEESM_SP_SQ_mSR_ST_bEUlT_E_NS1_11comp_targetILNS1_3genE2ELNS1_11target_archE906ELNS1_3gpuE6ELNS1_3repE0EEENS1_30default_config_static_selectorELNS0_4arch9wavefront6targetE0EEEvT1_.has_indirect_call, 0
	.section	.AMDGPU.csdata,"",@progbits
; Kernel info:
; codeLenInByte = 0
; TotalNumSgprs: 0
; NumVgprs: 0
; ScratchSize: 0
; MemoryBound: 0
; FloatMode: 240
; IeeeMode: 1
; LDSByteSize: 0 bytes/workgroup (compile time only)
; SGPRBlocks: 0
; VGPRBlocks: 0
; NumSGPRsForWavesPerEU: 1
; NumVGPRsForWavesPerEU: 1
; NamedBarCnt: 0
; Occupancy: 16
; WaveLimiterHint : 0
; COMPUTE_PGM_RSRC2:SCRATCH_EN: 0
; COMPUTE_PGM_RSRC2:USER_SGPR: 2
; COMPUTE_PGM_RSRC2:TRAP_HANDLER: 0
; COMPUTE_PGM_RSRC2:TGID_X_EN: 1
; COMPUTE_PGM_RSRC2:TGID_Y_EN: 0
; COMPUTE_PGM_RSRC2:TGID_Z_EN: 0
; COMPUTE_PGM_RSRC2:TIDIG_COMP_CNT: 0
	.section	.text._ZN7rocprim17ROCPRIM_400000_NS6detail17trampoline_kernelINS0_14default_configENS1_25transform_config_selectorIlLb0EEEZNS1_14transform_implILb0ES3_S5_NS0_18transform_iteratorINS0_17counting_iteratorImlEEZNS1_24adjacent_difference_implIS3_Lb1ELb0EPlSB_ZN2at6native12_GLOBAL__N_124unique_dim_cuda_templateIaEESt5tupleIJNSC_6TensorESH_SH_EERKSH_lbbbEUlllE1_EE10hipError_tPvRmT2_T3_mT4_P12ihipStream_tbEUlmE_lEESB_NS0_8identityIvEEEESM_SP_SQ_mSR_ST_bEUlT_E_NS1_11comp_targetILNS1_3genE10ELNS1_11target_archE1201ELNS1_3gpuE5ELNS1_3repE0EEENS1_30default_config_static_selectorELNS0_4arch9wavefront6targetE0EEEvT1_,"axG",@progbits,_ZN7rocprim17ROCPRIM_400000_NS6detail17trampoline_kernelINS0_14default_configENS1_25transform_config_selectorIlLb0EEEZNS1_14transform_implILb0ES3_S5_NS0_18transform_iteratorINS0_17counting_iteratorImlEEZNS1_24adjacent_difference_implIS3_Lb1ELb0EPlSB_ZN2at6native12_GLOBAL__N_124unique_dim_cuda_templateIaEESt5tupleIJNSC_6TensorESH_SH_EERKSH_lbbbEUlllE1_EE10hipError_tPvRmT2_T3_mT4_P12ihipStream_tbEUlmE_lEESB_NS0_8identityIvEEEESM_SP_SQ_mSR_ST_bEUlT_E_NS1_11comp_targetILNS1_3genE10ELNS1_11target_archE1201ELNS1_3gpuE5ELNS1_3repE0EEENS1_30default_config_static_selectorELNS0_4arch9wavefront6targetE0EEEvT1_,comdat
	.globl	_ZN7rocprim17ROCPRIM_400000_NS6detail17trampoline_kernelINS0_14default_configENS1_25transform_config_selectorIlLb0EEEZNS1_14transform_implILb0ES3_S5_NS0_18transform_iteratorINS0_17counting_iteratorImlEEZNS1_24adjacent_difference_implIS3_Lb1ELb0EPlSB_ZN2at6native12_GLOBAL__N_124unique_dim_cuda_templateIaEESt5tupleIJNSC_6TensorESH_SH_EERKSH_lbbbEUlllE1_EE10hipError_tPvRmT2_T3_mT4_P12ihipStream_tbEUlmE_lEESB_NS0_8identityIvEEEESM_SP_SQ_mSR_ST_bEUlT_E_NS1_11comp_targetILNS1_3genE10ELNS1_11target_archE1201ELNS1_3gpuE5ELNS1_3repE0EEENS1_30default_config_static_selectorELNS0_4arch9wavefront6targetE0EEEvT1_ ; -- Begin function _ZN7rocprim17ROCPRIM_400000_NS6detail17trampoline_kernelINS0_14default_configENS1_25transform_config_selectorIlLb0EEEZNS1_14transform_implILb0ES3_S5_NS0_18transform_iteratorINS0_17counting_iteratorImlEEZNS1_24adjacent_difference_implIS3_Lb1ELb0EPlSB_ZN2at6native12_GLOBAL__N_124unique_dim_cuda_templateIaEESt5tupleIJNSC_6TensorESH_SH_EERKSH_lbbbEUlllE1_EE10hipError_tPvRmT2_T3_mT4_P12ihipStream_tbEUlmE_lEESB_NS0_8identityIvEEEESM_SP_SQ_mSR_ST_bEUlT_E_NS1_11comp_targetILNS1_3genE10ELNS1_11target_archE1201ELNS1_3gpuE5ELNS1_3repE0EEENS1_30default_config_static_selectorELNS0_4arch9wavefront6targetE0EEEvT1_
	.p2align	8
	.type	_ZN7rocprim17ROCPRIM_400000_NS6detail17trampoline_kernelINS0_14default_configENS1_25transform_config_selectorIlLb0EEEZNS1_14transform_implILb0ES3_S5_NS0_18transform_iteratorINS0_17counting_iteratorImlEEZNS1_24adjacent_difference_implIS3_Lb1ELb0EPlSB_ZN2at6native12_GLOBAL__N_124unique_dim_cuda_templateIaEESt5tupleIJNSC_6TensorESH_SH_EERKSH_lbbbEUlllE1_EE10hipError_tPvRmT2_T3_mT4_P12ihipStream_tbEUlmE_lEESB_NS0_8identityIvEEEESM_SP_SQ_mSR_ST_bEUlT_E_NS1_11comp_targetILNS1_3genE10ELNS1_11target_archE1201ELNS1_3gpuE5ELNS1_3repE0EEENS1_30default_config_static_selectorELNS0_4arch9wavefront6targetE0EEEvT1_,@function
_ZN7rocprim17ROCPRIM_400000_NS6detail17trampoline_kernelINS0_14default_configENS1_25transform_config_selectorIlLb0EEEZNS1_14transform_implILb0ES3_S5_NS0_18transform_iteratorINS0_17counting_iteratorImlEEZNS1_24adjacent_difference_implIS3_Lb1ELb0EPlSB_ZN2at6native12_GLOBAL__N_124unique_dim_cuda_templateIaEESt5tupleIJNSC_6TensorESH_SH_EERKSH_lbbbEUlllE1_EE10hipError_tPvRmT2_T3_mT4_P12ihipStream_tbEUlmE_lEESB_NS0_8identityIvEEEESM_SP_SQ_mSR_ST_bEUlT_E_NS1_11comp_targetILNS1_3genE10ELNS1_11target_archE1201ELNS1_3gpuE5ELNS1_3repE0EEENS1_30default_config_static_selectorELNS0_4arch9wavefront6targetE0EEEvT1_: ; @_ZN7rocprim17ROCPRIM_400000_NS6detail17trampoline_kernelINS0_14default_configENS1_25transform_config_selectorIlLb0EEEZNS1_14transform_implILb0ES3_S5_NS0_18transform_iteratorINS0_17counting_iteratorImlEEZNS1_24adjacent_difference_implIS3_Lb1ELb0EPlSB_ZN2at6native12_GLOBAL__N_124unique_dim_cuda_templateIaEESt5tupleIJNSC_6TensorESH_SH_EERKSH_lbbbEUlllE1_EE10hipError_tPvRmT2_T3_mT4_P12ihipStream_tbEUlmE_lEESB_NS0_8identityIvEEEESM_SP_SQ_mSR_ST_bEUlT_E_NS1_11comp_targetILNS1_3genE10ELNS1_11target_archE1201ELNS1_3gpuE5ELNS1_3repE0EEENS1_30default_config_static_selectorELNS0_4arch9wavefront6targetE0EEEvT1_
; %bb.0:
	.section	.rodata,"a",@progbits
	.p2align	6, 0x0
	.amdhsa_kernel _ZN7rocprim17ROCPRIM_400000_NS6detail17trampoline_kernelINS0_14default_configENS1_25transform_config_selectorIlLb0EEEZNS1_14transform_implILb0ES3_S5_NS0_18transform_iteratorINS0_17counting_iteratorImlEEZNS1_24adjacent_difference_implIS3_Lb1ELb0EPlSB_ZN2at6native12_GLOBAL__N_124unique_dim_cuda_templateIaEESt5tupleIJNSC_6TensorESH_SH_EERKSH_lbbbEUlllE1_EE10hipError_tPvRmT2_T3_mT4_P12ihipStream_tbEUlmE_lEESB_NS0_8identityIvEEEESM_SP_SQ_mSR_ST_bEUlT_E_NS1_11comp_targetILNS1_3genE10ELNS1_11target_archE1201ELNS1_3gpuE5ELNS1_3repE0EEENS1_30default_config_static_selectorELNS0_4arch9wavefront6targetE0EEEvT1_
		.amdhsa_group_segment_fixed_size 0
		.amdhsa_private_segment_fixed_size 0
		.amdhsa_kernarg_size 56
		.amdhsa_user_sgpr_count 2
		.amdhsa_user_sgpr_dispatch_ptr 0
		.amdhsa_user_sgpr_queue_ptr 0
		.amdhsa_user_sgpr_kernarg_segment_ptr 1
		.amdhsa_user_sgpr_dispatch_id 0
		.amdhsa_user_sgpr_kernarg_preload_length 0
		.amdhsa_user_sgpr_kernarg_preload_offset 0
		.amdhsa_user_sgpr_private_segment_size 0
		.amdhsa_wavefront_size32 1
		.amdhsa_uses_dynamic_stack 0
		.amdhsa_enable_private_segment 0
		.amdhsa_system_sgpr_workgroup_id_x 1
		.amdhsa_system_sgpr_workgroup_id_y 0
		.amdhsa_system_sgpr_workgroup_id_z 0
		.amdhsa_system_sgpr_workgroup_info 0
		.amdhsa_system_vgpr_workitem_id 0
		.amdhsa_next_free_vgpr 1
		.amdhsa_next_free_sgpr 1
		.amdhsa_named_barrier_count 0
		.amdhsa_reserve_vcc 0
		.amdhsa_float_round_mode_32 0
		.amdhsa_float_round_mode_16_64 0
		.amdhsa_float_denorm_mode_32 3
		.amdhsa_float_denorm_mode_16_64 3
		.amdhsa_fp16_overflow 0
		.amdhsa_memory_ordered 1
		.amdhsa_forward_progress 1
		.amdhsa_inst_pref_size 0
		.amdhsa_round_robin_scheduling 0
		.amdhsa_exception_fp_ieee_invalid_op 0
		.amdhsa_exception_fp_denorm_src 0
		.amdhsa_exception_fp_ieee_div_zero 0
		.amdhsa_exception_fp_ieee_overflow 0
		.amdhsa_exception_fp_ieee_underflow 0
		.amdhsa_exception_fp_ieee_inexact 0
		.amdhsa_exception_int_div_zero 0
	.end_amdhsa_kernel
	.section	.text._ZN7rocprim17ROCPRIM_400000_NS6detail17trampoline_kernelINS0_14default_configENS1_25transform_config_selectorIlLb0EEEZNS1_14transform_implILb0ES3_S5_NS0_18transform_iteratorINS0_17counting_iteratorImlEEZNS1_24adjacent_difference_implIS3_Lb1ELb0EPlSB_ZN2at6native12_GLOBAL__N_124unique_dim_cuda_templateIaEESt5tupleIJNSC_6TensorESH_SH_EERKSH_lbbbEUlllE1_EE10hipError_tPvRmT2_T3_mT4_P12ihipStream_tbEUlmE_lEESB_NS0_8identityIvEEEESM_SP_SQ_mSR_ST_bEUlT_E_NS1_11comp_targetILNS1_3genE10ELNS1_11target_archE1201ELNS1_3gpuE5ELNS1_3repE0EEENS1_30default_config_static_selectorELNS0_4arch9wavefront6targetE0EEEvT1_,"axG",@progbits,_ZN7rocprim17ROCPRIM_400000_NS6detail17trampoline_kernelINS0_14default_configENS1_25transform_config_selectorIlLb0EEEZNS1_14transform_implILb0ES3_S5_NS0_18transform_iteratorINS0_17counting_iteratorImlEEZNS1_24adjacent_difference_implIS3_Lb1ELb0EPlSB_ZN2at6native12_GLOBAL__N_124unique_dim_cuda_templateIaEESt5tupleIJNSC_6TensorESH_SH_EERKSH_lbbbEUlllE1_EE10hipError_tPvRmT2_T3_mT4_P12ihipStream_tbEUlmE_lEESB_NS0_8identityIvEEEESM_SP_SQ_mSR_ST_bEUlT_E_NS1_11comp_targetILNS1_3genE10ELNS1_11target_archE1201ELNS1_3gpuE5ELNS1_3repE0EEENS1_30default_config_static_selectorELNS0_4arch9wavefront6targetE0EEEvT1_,comdat
.Lfunc_end307:
	.size	_ZN7rocprim17ROCPRIM_400000_NS6detail17trampoline_kernelINS0_14default_configENS1_25transform_config_selectorIlLb0EEEZNS1_14transform_implILb0ES3_S5_NS0_18transform_iteratorINS0_17counting_iteratorImlEEZNS1_24adjacent_difference_implIS3_Lb1ELb0EPlSB_ZN2at6native12_GLOBAL__N_124unique_dim_cuda_templateIaEESt5tupleIJNSC_6TensorESH_SH_EERKSH_lbbbEUlllE1_EE10hipError_tPvRmT2_T3_mT4_P12ihipStream_tbEUlmE_lEESB_NS0_8identityIvEEEESM_SP_SQ_mSR_ST_bEUlT_E_NS1_11comp_targetILNS1_3genE10ELNS1_11target_archE1201ELNS1_3gpuE5ELNS1_3repE0EEENS1_30default_config_static_selectorELNS0_4arch9wavefront6targetE0EEEvT1_, .Lfunc_end307-_ZN7rocprim17ROCPRIM_400000_NS6detail17trampoline_kernelINS0_14default_configENS1_25transform_config_selectorIlLb0EEEZNS1_14transform_implILb0ES3_S5_NS0_18transform_iteratorINS0_17counting_iteratorImlEEZNS1_24adjacent_difference_implIS3_Lb1ELb0EPlSB_ZN2at6native12_GLOBAL__N_124unique_dim_cuda_templateIaEESt5tupleIJNSC_6TensorESH_SH_EERKSH_lbbbEUlllE1_EE10hipError_tPvRmT2_T3_mT4_P12ihipStream_tbEUlmE_lEESB_NS0_8identityIvEEEESM_SP_SQ_mSR_ST_bEUlT_E_NS1_11comp_targetILNS1_3genE10ELNS1_11target_archE1201ELNS1_3gpuE5ELNS1_3repE0EEENS1_30default_config_static_selectorELNS0_4arch9wavefront6targetE0EEEvT1_
                                        ; -- End function
	.set _ZN7rocprim17ROCPRIM_400000_NS6detail17trampoline_kernelINS0_14default_configENS1_25transform_config_selectorIlLb0EEEZNS1_14transform_implILb0ES3_S5_NS0_18transform_iteratorINS0_17counting_iteratorImlEEZNS1_24adjacent_difference_implIS3_Lb1ELb0EPlSB_ZN2at6native12_GLOBAL__N_124unique_dim_cuda_templateIaEESt5tupleIJNSC_6TensorESH_SH_EERKSH_lbbbEUlllE1_EE10hipError_tPvRmT2_T3_mT4_P12ihipStream_tbEUlmE_lEESB_NS0_8identityIvEEEESM_SP_SQ_mSR_ST_bEUlT_E_NS1_11comp_targetILNS1_3genE10ELNS1_11target_archE1201ELNS1_3gpuE5ELNS1_3repE0EEENS1_30default_config_static_selectorELNS0_4arch9wavefront6targetE0EEEvT1_.num_vgpr, 0
	.set _ZN7rocprim17ROCPRIM_400000_NS6detail17trampoline_kernelINS0_14default_configENS1_25transform_config_selectorIlLb0EEEZNS1_14transform_implILb0ES3_S5_NS0_18transform_iteratorINS0_17counting_iteratorImlEEZNS1_24adjacent_difference_implIS3_Lb1ELb0EPlSB_ZN2at6native12_GLOBAL__N_124unique_dim_cuda_templateIaEESt5tupleIJNSC_6TensorESH_SH_EERKSH_lbbbEUlllE1_EE10hipError_tPvRmT2_T3_mT4_P12ihipStream_tbEUlmE_lEESB_NS0_8identityIvEEEESM_SP_SQ_mSR_ST_bEUlT_E_NS1_11comp_targetILNS1_3genE10ELNS1_11target_archE1201ELNS1_3gpuE5ELNS1_3repE0EEENS1_30default_config_static_selectorELNS0_4arch9wavefront6targetE0EEEvT1_.num_agpr, 0
	.set _ZN7rocprim17ROCPRIM_400000_NS6detail17trampoline_kernelINS0_14default_configENS1_25transform_config_selectorIlLb0EEEZNS1_14transform_implILb0ES3_S5_NS0_18transform_iteratorINS0_17counting_iteratorImlEEZNS1_24adjacent_difference_implIS3_Lb1ELb0EPlSB_ZN2at6native12_GLOBAL__N_124unique_dim_cuda_templateIaEESt5tupleIJNSC_6TensorESH_SH_EERKSH_lbbbEUlllE1_EE10hipError_tPvRmT2_T3_mT4_P12ihipStream_tbEUlmE_lEESB_NS0_8identityIvEEEESM_SP_SQ_mSR_ST_bEUlT_E_NS1_11comp_targetILNS1_3genE10ELNS1_11target_archE1201ELNS1_3gpuE5ELNS1_3repE0EEENS1_30default_config_static_selectorELNS0_4arch9wavefront6targetE0EEEvT1_.numbered_sgpr, 0
	.set _ZN7rocprim17ROCPRIM_400000_NS6detail17trampoline_kernelINS0_14default_configENS1_25transform_config_selectorIlLb0EEEZNS1_14transform_implILb0ES3_S5_NS0_18transform_iteratorINS0_17counting_iteratorImlEEZNS1_24adjacent_difference_implIS3_Lb1ELb0EPlSB_ZN2at6native12_GLOBAL__N_124unique_dim_cuda_templateIaEESt5tupleIJNSC_6TensorESH_SH_EERKSH_lbbbEUlllE1_EE10hipError_tPvRmT2_T3_mT4_P12ihipStream_tbEUlmE_lEESB_NS0_8identityIvEEEESM_SP_SQ_mSR_ST_bEUlT_E_NS1_11comp_targetILNS1_3genE10ELNS1_11target_archE1201ELNS1_3gpuE5ELNS1_3repE0EEENS1_30default_config_static_selectorELNS0_4arch9wavefront6targetE0EEEvT1_.num_named_barrier, 0
	.set _ZN7rocprim17ROCPRIM_400000_NS6detail17trampoline_kernelINS0_14default_configENS1_25transform_config_selectorIlLb0EEEZNS1_14transform_implILb0ES3_S5_NS0_18transform_iteratorINS0_17counting_iteratorImlEEZNS1_24adjacent_difference_implIS3_Lb1ELb0EPlSB_ZN2at6native12_GLOBAL__N_124unique_dim_cuda_templateIaEESt5tupleIJNSC_6TensorESH_SH_EERKSH_lbbbEUlllE1_EE10hipError_tPvRmT2_T3_mT4_P12ihipStream_tbEUlmE_lEESB_NS0_8identityIvEEEESM_SP_SQ_mSR_ST_bEUlT_E_NS1_11comp_targetILNS1_3genE10ELNS1_11target_archE1201ELNS1_3gpuE5ELNS1_3repE0EEENS1_30default_config_static_selectorELNS0_4arch9wavefront6targetE0EEEvT1_.private_seg_size, 0
	.set _ZN7rocprim17ROCPRIM_400000_NS6detail17trampoline_kernelINS0_14default_configENS1_25transform_config_selectorIlLb0EEEZNS1_14transform_implILb0ES3_S5_NS0_18transform_iteratorINS0_17counting_iteratorImlEEZNS1_24adjacent_difference_implIS3_Lb1ELb0EPlSB_ZN2at6native12_GLOBAL__N_124unique_dim_cuda_templateIaEESt5tupleIJNSC_6TensorESH_SH_EERKSH_lbbbEUlllE1_EE10hipError_tPvRmT2_T3_mT4_P12ihipStream_tbEUlmE_lEESB_NS0_8identityIvEEEESM_SP_SQ_mSR_ST_bEUlT_E_NS1_11comp_targetILNS1_3genE10ELNS1_11target_archE1201ELNS1_3gpuE5ELNS1_3repE0EEENS1_30default_config_static_selectorELNS0_4arch9wavefront6targetE0EEEvT1_.uses_vcc, 0
	.set _ZN7rocprim17ROCPRIM_400000_NS6detail17trampoline_kernelINS0_14default_configENS1_25transform_config_selectorIlLb0EEEZNS1_14transform_implILb0ES3_S5_NS0_18transform_iteratorINS0_17counting_iteratorImlEEZNS1_24adjacent_difference_implIS3_Lb1ELb0EPlSB_ZN2at6native12_GLOBAL__N_124unique_dim_cuda_templateIaEESt5tupleIJNSC_6TensorESH_SH_EERKSH_lbbbEUlllE1_EE10hipError_tPvRmT2_T3_mT4_P12ihipStream_tbEUlmE_lEESB_NS0_8identityIvEEEESM_SP_SQ_mSR_ST_bEUlT_E_NS1_11comp_targetILNS1_3genE10ELNS1_11target_archE1201ELNS1_3gpuE5ELNS1_3repE0EEENS1_30default_config_static_selectorELNS0_4arch9wavefront6targetE0EEEvT1_.uses_flat_scratch, 0
	.set _ZN7rocprim17ROCPRIM_400000_NS6detail17trampoline_kernelINS0_14default_configENS1_25transform_config_selectorIlLb0EEEZNS1_14transform_implILb0ES3_S5_NS0_18transform_iteratorINS0_17counting_iteratorImlEEZNS1_24adjacent_difference_implIS3_Lb1ELb0EPlSB_ZN2at6native12_GLOBAL__N_124unique_dim_cuda_templateIaEESt5tupleIJNSC_6TensorESH_SH_EERKSH_lbbbEUlllE1_EE10hipError_tPvRmT2_T3_mT4_P12ihipStream_tbEUlmE_lEESB_NS0_8identityIvEEEESM_SP_SQ_mSR_ST_bEUlT_E_NS1_11comp_targetILNS1_3genE10ELNS1_11target_archE1201ELNS1_3gpuE5ELNS1_3repE0EEENS1_30default_config_static_selectorELNS0_4arch9wavefront6targetE0EEEvT1_.has_dyn_sized_stack, 0
	.set _ZN7rocprim17ROCPRIM_400000_NS6detail17trampoline_kernelINS0_14default_configENS1_25transform_config_selectorIlLb0EEEZNS1_14transform_implILb0ES3_S5_NS0_18transform_iteratorINS0_17counting_iteratorImlEEZNS1_24adjacent_difference_implIS3_Lb1ELb0EPlSB_ZN2at6native12_GLOBAL__N_124unique_dim_cuda_templateIaEESt5tupleIJNSC_6TensorESH_SH_EERKSH_lbbbEUlllE1_EE10hipError_tPvRmT2_T3_mT4_P12ihipStream_tbEUlmE_lEESB_NS0_8identityIvEEEESM_SP_SQ_mSR_ST_bEUlT_E_NS1_11comp_targetILNS1_3genE10ELNS1_11target_archE1201ELNS1_3gpuE5ELNS1_3repE0EEENS1_30default_config_static_selectorELNS0_4arch9wavefront6targetE0EEEvT1_.has_recursion, 0
	.set _ZN7rocprim17ROCPRIM_400000_NS6detail17trampoline_kernelINS0_14default_configENS1_25transform_config_selectorIlLb0EEEZNS1_14transform_implILb0ES3_S5_NS0_18transform_iteratorINS0_17counting_iteratorImlEEZNS1_24adjacent_difference_implIS3_Lb1ELb0EPlSB_ZN2at6native12_GLOBAL__N_124unique_dim_cuda_templateIaEESt5tupleIJNSC_6TensorESH_SH_EERKSH_lbbbEUlllE1_EE10hipError_tPvRmT2_T3_mT4_P12ihipStream_tbEUlmE_lEESB_NS0_8identityIvEEEESM_SP_SQ_mSR_ST_bEUlT_E_NS1_11comp_targetILNS1_3genE10ELNS1_11target_archE1201ELNS1_3gpuE5ELNS1_3repE0EEENS1_30default_config_static_selectorELNS0_4arch9wavefront6targetE0EEEvT1_.has_indirect_call, 0
	.section	.AMDGPU.csdata,"",@progbits
; Kernel info:
; codeLenInByte = 0
; TotalNumSgprs: 0
; NumVgprs: 0
; ScratchSize: 0
; MemoryBound: 0
; FloatMode: 240
; IeeeMode: 1
; LDSByteSize: 0 bytes/workgroup (compile time only)
; SGPRBlocks: 0
; VGPRBlocks: 0
; NumSGPRsForWavesPerEU: 1
; NumVGPRsForWavesPerEU: 1
; NamedBarCnt: 0
; Occupancy: 16
; WaveLimiterHint : 0
; COMPUTE_PGM_RSRC2:SCRATCH_EN: 0
; COMPUTE_PGM_RSRC2:USER_SGPR: 2
; COMPUTE_PGM_RSRC2:TRAP_HANDLER: 0
; COMPUTE_PGM_RSRC2:TGID_X_EN: 1
; COMPUTE_PGM_RSRC2:TGID_Y_EN: 0
; COMPUTE_PGM_RSRC2:TGID_Z_EN: 0
; COMPUTE_PGM_RSRC2:TIDIG_COMP_CNT: 0
	.section	.text._ZN7rocprim17ROCPRIM_400000_NS6detail17trampoline_kernelINS0_14default_configENS1_25transform_config_selectorIlLb0EEEZNS1_14transform_implILb0ES3_S5_NS0_18transform_iteratorINS0_17counting_iteratorImlEEZNS1_24adjacent_difference_implIS3_Lb1ELb0EPlSB_ZN2at6native12_GLOBAL__N_124unique_dim_cuda_templateIaEESt5tupleIJNSC_6TensorESH_SH_EERKSH_lbbbEUlllE1_EE10hipError_tPvRmT2_T3_mT4_P12ihipStream_tbEUlmE_lEESB_NS0_8identityIvEEEESM_SP_SQ_mSR_ST_bEUlT_E_NS1_11comp_targetILNS1_3genE10ELNS1_11target_archE1200ELNS1_3gpuE4ELNS1_3repE0EEENS1_30default_config_static_selectorELNS0_4arch9wavefront6targetE0EEEvT1_,"axG",@progbits,_ZN7rocprim17ROCPRIM_400000_NS6detail17trampoline_kernelINS0_14default_configENS1_25transform_config_selectorIlLb0EEEZNS1_14transform_implILb0ES3_S5_NS0_18transform_iteratorINS0_17counting_iteratorImlEEZNS1_24adjacent_difference_implIS3_Lb1ELb0EPlSB_ZN2at6native12_GLOBAL__N_124unique_dim_cuda_templateIaEESt5tupleIJNSC_6TensorESH_SH_EERKSH_lbbbEUlllE1_EE10hipError_tPvRmT2_T3_mT4_P12ihipStream_tbEUlmE_lEESB_NS0_8identityIvEEEESM_SP_SQ_mSR_ST_bEUlT_E_NS1_11comp_targetILNS1_3genE10ELNS1_11target_archE1200ELNS1_3gpuE4ELNS1_3repE0EEENS1_30default_config_static_selectorELNS0_4arch9wavefront6targetE0EEEvT1_,comdat
	.globl	_ZN7rocprim17ROCPRIM_400000_NS6detail17trampoline_kernelINS0_14default_configENS1_25transform_config_selectorIlLb0EEEZNS1_14transform_implILb0ES3_S5_NS0_18transform_iteratorINS0_17counting_iteratorImlEEZNS1_24adjacent_difference_implIS3_Lb1ELb0EPlSB_ZN2at6native12_GLOBAL__N_124unique_dim_cuda_templateIaEESt5tupleIJNSC_6TensorESH_SH_EERKSH_lbbbEUlllE1_EE10hipError_tPvRmT2_T3_mT4_P12ihipStream_tbEUlmE_lEESB_NS0_8identityIvEEEESM_SP_SQ_mSR_ST_bEUlT_E_NS1_11comp_targetILNS1_3genE10ELNS1_11target_archE1200ELNS1_3gpuE4ELNS1_3repE0EEENS1_30default_config_static_selectorELNS0_4arch9wavefront6targetE0EEEvT1_ ; -- Begin function _ZN7rocprim17ROCPRIM_400000_NS6detail17trampoline_kernelINS0_14default_configENS1_25transform_config_selectorIlLb0EEEZNS1_14transform_implILb0ES3_S5_NS0_18transform_iteratorINS0_17counting_iteratorImlEEZNS1_24adjacent_difference_implIS3_Lb1ELb0EPlSB_ZN2at6native12_GLOBAL__N_124unique_dim_cuda_templateIaEESt5tupleIJNSC_6TensorESH_SH_EERKSH_lbbbEUlllE1_EE10hipError_tPvRmT2_T3_mT4_P12ihipStream_tbEUlmE_lEESB_NS0_8identityIvEEEESM_SP_SQ_mSR_ST_bEUlT_E_NS1_11comp_targetILNS1_3genE10ELNS1_11target_archE1200ELNS1_3gpuE4ELNS1_3repE0EEENS1_30default_config_static_selectorELNS0_4arch9wavefront6targetE0EEEvT1_
	.p2align	8
	.type	_ZN7rocprim17ROCPRIM_400000_NS6detail17trampoline_kernelINS0_14default_configENS1_25transform_config_selectorIlLb0EEEZNS1_14transform_implILb0ES3_S5_NS0_18transform_iteratorINS0_17counting_iteratorImlEEZNS1_24adjacent_difference_implIS3_Lb1ELb0EPlSB_ZN2at6native12_GLOBAL__N_124unique_dim_cuda_templateIaEESt5tupleIJNSC_6TensorESH_SH_EERKSH_lbbbEUlllE1_EE10hipError_tPvRmT2_T3_mT4_P12ihipStream_tbEUlmE_lEESB_NS0_8identityIvEEEESM_SP_SQ_mSR_ST_bEUlT_E_NS1_11comp_targetILNS1_3genE10ELNS1_11target_archE1200ELNS1_3gpuE4ELNS1_3repE0EEENS1_30default_config_static_selectorELNS0_4arch9wavefront6targetE0EEEvT1_,@function
_ZN7rocprim17ROCPRIM_400000_NS6detail17trampoline_kernelINS0_14default_configENS1_25transform_config_selectorIlLb0EEEZNS1_14transform_implILb0ES3_S5_NS0_18transform_iteratorINS0_17counting_iteratorImlEEZNS1_24adjacent_difference_implIS3_Lb1ELb0EPlSB_ZN2at6native12_GLOBAL__N_124unique_dim_cuda_templateIaEESt5tupleIJNSC_6TensorESH_SH_EERKSH_lbbbEUlllE1_EE10hipError_tPvRmT2_T3_mT4_P12ihipStream_tbEUlmE_lEESB_NS0_8identityIvEEEESM_SP_SQ_mSR_ST_bEUlT_E_NS1_11comp_targetILNS1_3genE10ELNS1_11target_archE1200ELNS1_3gpuE4ELNS1_3repE0EEENS1_30default_config_static_selectorELNS0_4arch9wavefront6targetE0EEEvT1_: ; @_ZN7rocprim17ROCPRIM_400000_NS6detail17trampoline_kernelINS0_14default_configENS1_25transform_config_selectorIlLb0EEEZNS1_14transform_implILb0ES3_S5_NS0_18transform_iteratorINS0_17counting_iteratorImlEEZNS1_24adjacent_difference_implIS3_Lb1ELb0EPlSB_ZN2at6native12_GLOBAL__N_124unique_dim_cuda_templateIaEESt5tupleIJNSC_6TensorESH_SH_EERKSH_lbbbEUlllE1_EE10hipError_tPvRmT2_T3_mT4_P12ihipStream_tbEUlmE_lEESB_NS0_8identityIvEEEESM_SP_SQ_mSR_ST_bEUlT_E_NS1_11comp_targetILNS1_3genE10ELNS1_11target_archE1200ELNS1_3gpuE4ELNS1_3repE0EEENS1_30default_config_static_selectorELNS0_4arch9wavefront6targetE0EEEvT1_
; %bb.0:
	.section	.rodata,"a",@progbits
	.p2align	6, 0x0
	.amdhsa_kernel _ZN7rocprim17ROCPRIM_400000_NS6detail17trampoline_kernelINS0_14default_configENS1_25transform_config_selectorIlLb0EEEZNS1_14transform_implILb0ES3_S5_NS0_18transform_iteratorINS0_17counting_iteratorImlEEZNS1_24adjacent_difference_implIS3_Lb1ELb0EPlSB_ZN2at6native12_GLOBAL__N_124unique_dim_cuda_templateIaEESt5tupleIJNSC_6TensorESH_SH_EERKSH_lbbbEUlllE1_EE10hipError_tPvRmT2_T3_mT4_P12ihipStream_tbEUlmE_lEESB_NS0_8identityIvEEEESM_SP_SQ_mSR_ST_bEUlT_E_NS1_11comp_targetILNS1_3genE10ELNS1_11target_archE1200ELNS1_3gpuE4ELNS1_3repE0EEENS1_30default_config_static_selectorELNS0_4arch9wavefront6targetE0EEEvT1_
		.amdhsa_group_segment_fixed_size 0
		.amdhsa_private_segment_fixed_size 0
		.amdhsa_kernarg_size 56
		.amdhsa_user_sgpr_count 2
		.amdhsa_user_sgpr_dispatch_ptr 0
		.amdhsa_user_sgpr_queue_ptr 0
		.amdhsa_user_sgpr_kernarg_segment_ptr 1
		.amdhsa_user_sgpr_dispatch_id 0
		.amdhsa_user_sgpr_kernarg_preload_length 0
		.amdhsa_user_sgpr_kernarg_preload_offset 0
		.amdhsa_user_sgpr_private_segment_size 0
		.amdhsa_wavefront_size32 1
		.amdhsa_uses_dynamic_stack 0
		.amdhsa_enable_private_segment 0
		.amdhsa_system_sgpr_workgroup_id_x 1
		.amdhsa_system_sgpr_workgroup_id_y 0
		.amdhsa_system_sgpr_workgroup_id_z 0
		.amdhsa_system_sgpr_workgroup_info 0
		.amdhsa_system_vgpr_workitem_id 0
		.amdhsa_next_free_vgpr 1
		.amdhsa_next_free_sgpr 1
		.amdhsa_named_barrier_count 0
		.amdhsa_reserve_vcc 0
		.amdhsa_float_round_mode_32 0
		.amdhsa_float_round_mode_16_64 0
		.amdhsa_float_denorm_mode_32 3
		.amdhsa_float_denorm_mode_16_64 3
		.amdhsa_fp16_overflow 0
		.amdhsa_memory_ordered 1
		.amdhsa_forward_progress 1
		.amdhsa_inst_pref_size 0
		.amdhsa_round_robin_scheduling 0
		.amdhsa_exception_fp_ieee_invalid_op 0
		.amdhsa_exception_fp_denorm_src 0
		.amdhsa_exception_fp_ieee_div_zero 0
		.amdhsa_exception_fp_ieee_overflow 0
		.amdhsa_exception_fp_ieee_underflow 0
		.amdhsa_exception_fp_ieee_inexact 0
		.amdhsa_exception_int_div_zero 0
	.end_amdhsa_kernel
	.section	.text._ZN7rocprim17ROCPRIM_400000_NS6detail17trampoline_kernelINS0_14default_configENS1_25transform_config_selectorIlLb0EEEZNS1_14transform_implILb0ES3_S5_NS0_18transform_iteratorINS0_17counting_iteratorImlEEZNS1_24adjacent_difference_implIS3_Lb1ELb0EPlSB_ZN2at6native12_GLOBAL__N_124unique_dim_cuda_templateIaEESt5tupleIJNSC_6TensorESH_SH_EERKSH_lbbbEUlllE1_EE10hipError_tPvRmT2_T3_mT4_P12ihipStream_tbEUlmE_lEESB_NS0_8identityIvEEEESM_SP_SQ_mSR_ST_bEUlT_E_NS1_11comp_targetILNS1_3genE10ELNS1_11target_archE1200ELNS1_3gpuE4ELNS1_3repE0EEENS1_30default_config_static_selectorELNS0_4arch9wavefront6targetE0EEEvT1_,"axG",@progbits,_ZN7rocprim17ROCPRIM_400000_NS6detail17trampoline_kernelINS0_14default_configENS1_25transform_config_selectorIlLb0EEEZNS1_14transform_implILb0ES3_S5_NS0_18transform_iteratorINS0_17counting_iteratorImlEEZNS1_24adjacent_difference_implIS3_Lb1ELb0EPlSB_ZN2at6native12_GLOBAL__N_124unique_dim_cuda_templateIaEESt5tupleIJNSC_6TensorESH_SH_EERKSH_lbbbEUlllE1_EE10hipError_tPvRmT2_T3_mT4_P12ihipStream_tbEUlmE_lEESB_NS0_8identityIvEEEESM_SP_SQ_mSR_ST_bEUlT_E_NS1_11comp_targetILNS1_3genE10ELNS1_11target_archE1200ELNS1_3gpuE4ELNS1_3repE0EEENS1_30default_config_static_selectorELNS0_4arch9wavefront6targetE0EEEvT1_,comdat
.Lfunc_end308:
	.size	_ZN7rocprim17ROCPRIM_400000_NS6detail17trampoline_kernelINS0_14default_configENS1_25transform_config_selectorIlLb0EEEZNS1_14transform_implILb0ES3_S5_NS0_18transform_iteratorINS0_17counting_iteratorImlEEZNS1_24adjacent_difference_implIS3_Lb1ELb0EPlSB_ZN2at6native12_GLOBAL__N_124unique_dim_cuda_templateIaEESt5tupleIJNSC_6TensorESH_SH_EERKSH_lbbbEUlllE1_EE10hipError_tPvRmT2_T3_mT4_P12ihipStream_tbEUlmE_lEESB_NS0_8identityIvEEEESM_SP_SQ_mSR_ST_bEUlT_E_NS1_11comp_targetILNS1_3genE10ELNS1_11target_archE1200ELNS1_3gpuE4ELNS1_3repE0EEENS1_30default_config_static_selectorELNS0_4arch9wavefront6targetE0EEEvT1_, .Lfunc_end308-_ZN7rocprim17ROCPRIM_400000_NS6detail17trampoline_kernelINS0_14default_configENS1_25transform_config_selectorIlLb0EEEZNS1_14transform_implILb0ES3_S5_NS0_18transform_iteratorINS0_17counting_iteratorImlEEZNS1_24adjacent_difference_implIS3_Lb1ELb0EPlSB_ZN2at6native12_GLOBAL__N_124unique_dim_cuda_templateIaEESt5tupleIJNSC_6TensorESH_SH_EERKSH_lbbbEUlllE1_EE10hipError_tPvRmT2_T3_mT4_P12ihipStream_tbEUlmE_lEESB_NS0_8identityIvEEEESM_SP_SQ_mSR_ST_bEUlT_E_NS1_11comp_targetILNS1_3genE10ELNS1_11target_archE1200ELNS1_3gpuE4ELNS1_3repE0EEENS1_30default_config_static_selectorELNS0_4arch9wavefront6targetE0EEEvT1_
                                        ; -- End function
	.set _ZN7rocprim17ROCPRIM_400000_NS6detail17trampoline_kernelINS0_14default_configENS1_25transform_config_selectorIlLb0EEEZNS1_14transform_implILb0ES3_S5_NS0_18transform_iteratorINS0_17counting_iteratorImlEEZNS1_24adjacent_difference_implIS3_Lb1ELb0EPlSB_ZN2at6native12_GLOBAL__N_124unique_dim_cuda_templateIaEESt5tupleIJNSC_6TensorESH_SH_EERKSH_lbbbEUlllE1_EE10hipError_tPvRmT2_T3_mT4_P12ihipStream_tbEUlmE_lEESB_NS0_8identityIvEEEESM_SP_SQ_mSR_ST_bEUlT_E_NS1_11comp_targetILNS1_3genE10ELNS1_11target_archE1200ELNS1_3gpuE4ELNS1_3repE0EEENS1_30default_config_static_selectorELNS0_4arch9wavefront6targetE0EEEvT1_.num_vgpr, 0
	.set _ZN7rocprim17ROCPRIM_400000_NS6detail17trampoline_kernelINS0_14default_configENS1_25transform_config_selectorIlLb0EEEZNS1_14transform_implILb0ES3_S5_NS0_18transform_iteratorINS0_17counting_iteratorImlEEZNS1_24adjacent_difference_implIS3_Lb1ELb0EPlSB_ZN2at6native12_GLOBAL__N_124unique_dim_cuda_templateIaEESt5tupleIJNSC_6TensorESH_SH_EERKSH_lbbbEUlllE1_EE10hipError_tPvRmT2_T3_mT4_P12ihipStream_tbEUlmE_lEESB_NS0_8identityIvEEEESM_SP_SQ_mSR_ST_bEUlT_E_NS1_11comp_targetILNS1_3genE10ELNS1_11target_archE1200ELNS1_3gpuE4ELNS1_3repE0EEENS1_30default_config_static_selectorELNS0_4arch9wavefront6targetE0EEEvT1_.num_agpr, 0
	.set _ZN7rocprim17ROCPRIM_400000_NS6detail17trampoline_kernelINS0_14default_configENS1_25transform_config_selectorIlLb0EEEZNS1_14transform_implILb0ES3_S5_NS0_18transform_iteratorINS0_17counting_iteratorImlEEZNS1_24adjacent_difference_implIS3_Lb1ELb0EPlSB_ZN2at6native12_GLOBAL__N_124unique_dim_cuda_templateIaEESt5tupleIJNSC_6TensorESH_SH_EERKSH_lbbbEUlllE1_EE10hipError_tPvRmT2_T3_mT4_P12ihipStream_tbEUlmE_lEESB_NS0_8identityIvEEEESM_SP_SQ_mSR_ST_bEUlT_E_NS1_11comp_targetILNS1_3genE10ELNS1_11target_archE1200ELNS1_3gpuE4ELNS1_3repE0EEENS1_30default_config_static_selectorELNS0_4arch9wavefront6targetE0EEEvT1_.numbered_sgpr, 0
	.set _ZN7rocprim17ROCPRIM_400000_NS6detail17trampoline_kernelINS0_14default_configENS1_25transform_config_selectorIlLb0EEEZNS1_14transform_implILb0ES3_S5_NS0_18transform_iteratorINS0_17counting_iteratorImlEEZNS1_24adjacent_difference_implIS3_Lb1ELb0EPlSB_ZN2at6native12_GLOBAL__N_124unique_dim_cuda_templateIaEESt5tupleIJNSC_6TensorESH_SH_EERKSH_lbbbEUlllE1_EE10hipError_tPvRmT2_T3_mT4_P12ihipStream_tbEUlmE_lEESB_NS0_8identityIvEEEESM_SP_SQ_mSR_ST_bEUlT_E_NS1_11comp_targetILNS1_3genE10ELNS1_11target_archE1200ELNS1_3gpuE4ELNS1_3repE0EEENS1_30default_config_static_selectorELNS0_4arch9wavefront6targetE0EEEvT1_.num_named_barrier, 0
	.set _ZN7rocprim17ROCPRIM_400000_NS6detail17trampoline_kernelINS0_14default_configENS1_25transform_config_selectorIlLb0EEEZNS1_14transform_implILb0ES3_S5_NS0_18transform_iteratorINS0_17counting_iteratorImlEEZNS1_24adjacent_difference_implIS3_Lb1ELb0EPlSB_ZN2at6native12_GLOBAL__N_124unique_dim_cuda_templateIaEESt5tupleIJNSC_6TensorESH_SH_EERKSH_lbbbEUlllE1_EE10hipError_tPvRmT2_T3_mT4_P12ihipStream_tbEUlmE_lEESB_NS0_8identityIvEEEESM_SP_SQ_mSR_ST_bEUlT_E_NS1_11comp_targetILNS1_3genE10ELNS1_11target_archE1200ELNS1_3gpuE4ELNS1_3repE0EEENS1_30default_config_static_selectorELNS0_4arch9wavefront6targetE0EEEvT1_.private_seg_size, 0
	.set _ZN7rocprim17ROCPRIM_400000_NS6detail17trampoline_kernelINS0_14default_configENS1_25transform_config_selectorIlLb0EEEZNS1_14transform_implILb0ES3_S5_NS0_18transform_iteratorINS0_17counting_iteratorImlEEZNS1_24adjacent_difference_implIS3_Lb1ELb0EPlSB_ZN2at6native12_GLOBAL__N_124unique_dim_cuda_templateIaEESt5tupleIJNSC_6TensorESH_SH_EERKSH_lbbbEUlllE1_EE10hipError_tPvRmT2_T3_mT4_P12ihipStream_tbEUlmE_lEESB_NS0_8identityIvEEEESM_SP_SQ_mSR_ST_bEUlT_E_NS1_11comp_targetILNS1_3genE10ELNS1_11target_archE1200ELNS1_3gpuE4ELNS1_3repE0EEENS1_30default_config_static_selectorELNS0_4arch9wavefront6targetE0EEEvT1_.uses_vcc, 0
	.set _ZN7rocprim17ROCPRIM_400000_NS6detail17trampoline_kernelINS0_14default_configENS1_25transform_config_selectorIlLb0EEEZNS1_14transform_implILb0ES3_S5_NS0_18transform_iteratorINS0_17counting_iteratorImlEEZNS1_24adjacent_difference_implIS3_Lb1ELb0EPlSB_ZN2at6native12_GLOBAL__N_124unique_dim_cuda_templateIaEESt5tupleIJNSC_6TensorESH_SH_EERKSH_lbbbEUlllE1_EE10hipError_tPvRmT2_T3_mT4_P12ihipStream_tbEUlmE_lEESB_NS0_8identityIvEEEESM_SP_SQ_mSR_ST_bEUlT_E_NS1_11comp_targetILNS1_3genE10ELNS1_11target_archE1200ELNS1_3gpuE4ELNS1_3repE0EEENS1_30default_config_static_selectorELNS0_4arch9wavefront6targetE0EEEvT1_.uses_flat_scratch, 0
	.set _ZN7rocprim17ROCPRIM_400000_NS6detail17trampoline_kernelINS0_14default_configENS1_25transform_config_selectorIlLb0EEEZNS1_14transform_implILb0ES3_S5_NS0_18transform_iteratorINS0_17counting_iteratorImlEEZNS1_24adjacent_difference_implIS3_Lb1ELb0EPlSB_ZN2at6native12_GLOBAL__N_124unique_dim_cuda_templateIaEESt5tupleIJNSC_6TensorESH_SH_EERKSH_lbbbEUlllE1_EE10hipError_tPvRmT2_T3_mT4_P12ihipStream_tbEUlmE_lEESB_NS0_8identityIvEEEESM_SP_SQ_mSR_ST_bEUlT_E_NS1_11comp_targetILNS1_3genE10ELNS1_11target_archE1200ELNS1_3gpuE4ELNS1_3repE0EEENS1_30default_config_static_selectorELNS0_4arch9wavefront6targetE0EEEvT1_.has_dyn_sized_stack, 0
	.set _ZN7rocprim17ROCPRIM_400000_NS6detail17trampoline_kernelINS0_14default_configENS1_25transform_config_selectorIlLb0EEEZNS1_14transform_implILb0ES3_S5_NS0_18transform_iteratorINS0_17counting_iteratorImlEEZNS1_24adjacent_difference_implIS3_Lb1ELb0EPlSB_ZN2at6native12_GLOBAL__N_124unique_dim_cuda_templateIaEESt5tupleIJNSC_6TensorESH_SH_EERKSH_lbbbEUlllE1_EE10hipError_tPvRmT2_T3_mT4_P12ihipStream_tbEUlmE_lEESB_NS0_8identityIvEEEESM_SP_SQ_mSR_ST_bEUlT_E_NS1_11comp_targetILNS1_3genE10ELNS1_11target_archE1200ELNS1_3gpuE4ELNS1_3repE0EEENS1_30default_config_static_selectorELNS0_4arch9wavefront6targetE0EEEvT1_.has_recursion, 0
	.set _ZN7rocprim17ROCPRIM_400000_NS6detail17trampoline_kernelINS0_14default_configENS1_25transform_config_selectorIlLb0EEEZNS1_14transform_implILb0ES3_S5_NS0_18transform_iteratorINS0_17counting_iteratorImlEEZNS1_24adjacent_difference_implIS3_Lb1ELb0EPlSB_ZN2at6native12_GLOBAL__N_124unique_dim_cuda_templateIaEESt5tupleIJNSC_6TensorESH_SH_EERKSH_lbbbEUlllE1_EE10hipError_tPvRmT2_T3_mT4_P12ihipStream_tbEUlmE_lEESB_NS0_8identityIvEEEESM_SP_SQ_mSR_ST_bEUlT_E_NS1_11comp_targetILNS1_3genE10ELNS1_11target_archE1200ELNS1_3gpuE4ELNS1_3repE0EEENS1_30default_config_static_selectorELNS0_4arch9wavefront6targetE0EEEvT1_.has_indirect_call, 0
	.section	.AMDGPU.csdata,"",@progbits
; Kernel info:
; codeLenInByte = 0
; TotalNumSgprs: 0
; NumVgprs: 0
; ScratchSize: 0
; MemoryBound: 0
; FloatMode: 240
; IeeeMode: 1
; LDSByteSize: 0 bytes/workgroup (compile time only)
; SGPRBlocks: 0
; VGPRBlocks: 0
; NumSGPRsForWavesPerEU: 1
; NumVGPRsForWavesPerEU: 1
; NamedBarCnt: 0
; Occupancy: 16
; WaveLimiterHint : 0
; COMPUTE_PGM_RSRC2:SCRATCH_EN: 0
; COMPUTE_PGM_RSRC2:USER_SGPR: 2
; COMPUTE_PGM_RSRC2:TRAP_HANDLER: 0
; COMPUTE_PGM_RSRC2:TGID_X_EN: 1
; COMPUTE_PGM_RSRC2:TGID_Y_EN: 0
; COMPUTE_PGM_RSRC2:TGID_Z_EN: 0
; COMPUTE_PGM_RSRC2:TIDIG_COMP_CNT: 0
	.section	.text._ZN7rocprim17ROCPRIM_400000_NS6detail17trampoline_kernelINS0_14default_configENS1_25transform_config_selectorIlLb0EEEZNS1_14transform_implILb0ES3_S5_NS0_18transform_iteratorINS0_17counting_iteratorImlEEZNS1_24adjacent_difference_implIS3_Lb1ELb0EPlSB_ZN2at6native12_GLOBAL__N_124unique_dim_cuda_templateIaEESt5tupleIJNSC_6TensorESH_SH_EERKSH_lbbbEUlllE1_EE10hipError_tPvRmT2_T3_mT4_P12ihipStream_tbEUlmE_lEESB_NS0_8identityIvEEEESM_SP_SQ_mSR_ST_bEUlT_E_NS1_11comp_targetILNS1_3genE9ELNS1_11target_archE1100ELNS1_3gpuE3ELNS1_3repE0EEENS1_30default_config_static_selectorELNS0_4arch9wavefront6targetE0EEEvT1_,"axG",@progbits,_ZN7rocprim17ROCPRIM_400000_NS6detail17trampoline_kernelINS0_14default_configENS1_25transform_config_selectorIlLb0EEEZNS1_14transform_implILb0ES3_S5_NS0_18transform_iteratorINS0_17counting_iteratorImlEEZNS1_24adjacent_difference_implIS3_Lb1ELb0EPlSB_ZN2at6native12_GLOBAL__N_124unique_dim_cuda_templateIaEESt5tupleIJNSC_6TensorESH_SH_EERKSH_lbbbEUlllE1_EE10hipError_tPvRmT2_T3_mT4_P12ihipStream_tbEUlmE_lEESB_NS0_8identityIvEEEESM_SP_SQ_mSR_ST_bEUlT_E_NS1_11comp_targetILNS1_3genE9ELNS1_11target_archE1100ELNS1_3gpuE3ELNS1_3repE0EEENS1_30default_config_static_selectorELNS0_4arch9wavefront6targetE0EEEvT1_,comdat
	.globl	_ZN7rocprim17ROCPRIM_400000_NS6detail17trampoline_kernelINS0_14default_configENS1_25transform_config_selectorIlLb0EEEZNS1_14transform_implILb0ES3_S5_NS0_18transform_iteratorINS0_17counting_iteratorImlEEZNS1_24adjacent_difference_implIS3_Lb1ELb0EPlSB_ZN2at6native12_GLOBAL__N_124unique_dim_cuda_templateIaEESt5tupleIJNSC_6TensorESH_SH_EERKSH_lbbbEUlllE1_EE10hipError_tPvRmT2_T3_mT4_P12ihipStream_tbEUlmE_lEESB_NS0_8identityIvEEEESM_SP_SQ_mSR_ST_bEUlT_E_NS1_11comp_targetILNS1_3genE9ELNS1_11target_archE1100ELNS1_3gpuE3ELNS1_3repE0EEENS1_30default_config_static_selectorELNS0_4arch9wavefront6targetE0EEEvT1_ ; -- Begin function _ZN7rocprim17ROCPRIM_400000_NS6detail17trampoline_kernelINS0_14default_configENS1_25transform_config_selectorIlLb0EEEZNS1_14transform_implILb0ES3_S5_NS0_18transform_iteratorINS0_17counting_iteratorImlEEZNS1_24adjacent_difference_implIS3_Lb1ELb0EPlSB_ZN2at6native12_GLOBAL__N_124unique_dim_cuda_templateIaEESt5tupleIJNSC_6TensorESH_SH_EERKSH_lbbbEUlllE1_EE10hipError_tPvRmT2_T3_mT4_P12ihipStream_tbEUlmE_lEESB_NS0_8identityIvEEEESM_SP_SQ_mSR_ST_bEUlT_E_NS1_11comp_targetILNS1_3genE9ELNS1_11target_archE1100ELNS1_3gpuE3ELNS1_3repE0EEENS1_30default_config_static_selectorELNS0_4arch9wavefront6targetE0EEEvT1_
	.p2align	8
	.type	_ZN7rocprim17ROCPRIM_400000_NS6detail17trampoline_kernelINS0_14default_configENS1_25transform_config_selectorIlLb0EEEZNS1_14transform_implILb0ES3_S5_NS0_18transform_iteratorINS0_17counting_iteratorImlEEZNS1_24adjacent_difference_implIS3_Lb1ELb0EPlSB_ZN2at6native12_GLOBAL__N_124unique_dim_cuda_templateIaEESt5tupleIJNSC_6TensorESH_SH_EERKSH_lbbbEUlllE1_EE10hipError_tPvRmT2_T3_mT4_P12ihipStream_tbEUlmE_lEESB_NS0_8identityIvEEEESM_SP_SQ_mSR_ST_bEUlT_E_NS1_11comp_targetILNS1_3genE9ELNS1_11target_archE1100ELNS1_3gpuE3ELNS1_3repE0EEENS1_30default_config_static_selectorELNS0_4arch9wavefront6targetE0EEEvT1_,@function
_ZN7rocprim17ROCPRIM_400000_NS6detail17trampoline_kernelINS0_14default_configENS1_25transform_config_selectorIlLb0EEEZNS1_14transform_implILb0ES3_S5_NS0_18transform_iteratorINS0_17counting_iteratorImlEEZNS1_24adjacent_difference_implIS3_Lb1ELb0EPlSB_ZN2at6native12_GLOBAL__N_124unique_dim_cuda_templateIaEESt5tupleIJNSC_6TensorESH_SH_EERKSH_lbbbEUlllE1_EE10hipError_tPvRmT2_T3_mT4_P12ihipStream_tbEUlmE_lEESB_NS0_8identityIvEEEESM_SP_SQ_mSR_ST_bEUlT_E_NS1_11comp_targetILNS1_3genE9ELNS1_11target_archE1100ELNS1_3gpuE3ELNS1_3repE0EEENS1_30default_config_static_selectorELNS0_4arch9wavefront6targetE0EEEvT1_: ; @_ZN7rocprim17ROCPRIM_400000_NS6detail17trampoline_kernelINS0_14default_configENS1_25transform_config_selectorIlLb0EEEZNS1_14transform_implILb0ES3_S5_NS0_18transform_iteratorINS0_17counting_iteratorImlEEZNS1_24adjacent_difference_implIS3_Lb1ELb0EPlSB_ZN2at6native12_GLOBAL__N_124unique_dim_cuda_templateIaEESt5tupleIJNSC_6TensorESH_SH_EERKSH_lbbbEUlllE1_EE10hipError_tPvRmT2_T3_mT4_P12ihipStream_tbEUlmE_lEESB_NS0_8identityIvEEEESM_SP_SQ_mSR_ST_bEUlT_E_NS1_11comp_targetILNS1_3genE9ELNS1_11target_archE1100ELNS1_3gpuE3ELNS1_3repE0EEENS1_30default_config_static_selectorELNS0_4arch9wavefront6targetE0EEEvT1_
; %bb.0:
	.section	.rodata,"a",@progbits
	.p2align	6, 0x0
	.amdhsa_kernel _ZN7rocprim17ROCPRIM_400000_NS6detail17trampoline_kernelINS0_14default_configENS1_25transform_config_selectorIlLb0EEEZNS1_14transform_implILb0ES3_S5_NS0_18transform_iteratorINS0_17counting_iteratorImlEEZNS1_24adjacent_difference_implIS3_Lb1ELb0EPlSB_ZN2at6native12_GLOBAL__N_124unique_dim_cuda_templateIaEESt5tupleIJNSC_6TensorESH_SH_EERKSH_lbbbEUlllE1_EE10hipError_tPvRmT2_T3_mT4_P12ihipStream_tbEUlmE_lEESB_NS0_8identityIvEEEESM_SP_SQ_mSR_ST_bEUlT_E_NS1_11comp_targetILNS1_3genE9ELNS1_11target_archE1100ELNS1_3gpuE3ELNS1_3repE0EEENS1_30default_config_static_selectorELNS0_4arch9wavefront6targetE0EEEvT1_
		.amdhsa_group_segment_fixed_size 0
		.amdhsa_private_segment_fixed_size 0
		.amdhsa_kernarg_size 56
		.amdhsa_user_sgpr_count 2
		.amdhsa_user_sgpr_dispatch_ptr 0
		.amdhsa_user_sgpr_queue_ptr 0
		.amdhsa_user_sgpr_kernarg_segment_ptr 1
		.amdhsa_user_sgpr_dispatch_id 0
		.amdhsa_user_sgpr_kernarg_preload_length 0
		.amdhsa_user_sgpr_kernarg_preload_offset 0
		.amdhsa_user_sgpr_private_segment_size 0
		.amdhsa_wavefront_size32 1
		.amdhsa_uses_dynamic_stack 0
		.amdhsa_enable_private_segment 0
		.amdhsa_system_sgpr_workgroup_id_x 1
		.amdhsa_system_sgpr_workgroup_id_y 0
		.amdhsa_system_sgpr_workgroup_id_z 0
		.amdhsa_system_sgpr_workgroup_info 0
		.amdhsa_system_vgpr_workitem_id 0
		.amdhsa_next_free_vgpr 1
		.amdhsa_next_free_sgpr 1
		.amdhsa_named_barrier_count 0
		.amdhsa_reserve_vcc 0
		.amdhsa_float_round_mode_32 0
		.amdhsa_float_round_mode_16_64 0
		.amdhsa_float_denorm_mode_32 3
		.amdhsa_float_denorm_mode_16_64 3
		.amdhsa_fp16_overflow 0
		.amdhsa_memory_ordered 1
		.amdhsa_forward_progress 1
		.amdhsa_inst_pref_size 0
		.amdhsa_round_robin_scheduling 0
		.amdhsa_exception_fp_ieee_invalid_op 0
		.amdhsa_exception_fp_denorm_src 0
		.amdhsa_exception_fp_ieee_div_zero 0
		.amdhsa_exception_fp_ieee_overflow 0
		.amdhsa_exception_fp_ieee_underflow 0
		.amdhsa_exception_fp_ieee_inexact 0
		.amdhsa_exception_int_div_zero 0
	.end_amdhsa_kernel
	.section	.text._ZN7rocprim17ROCPRIM_400000_NS6detail17trampoline_kernelINS0_14default_configENS1_25transform_config_selectorIlLb0EEEZNS1_14transform_implILb0ES3_S5_NS0_18transform_iteratorINS0_17counting_iteratorImlEEZNS1_24adjacent_difference_implIS3_Lb1ELb0EPlSB_ZN2at6native12_GLOBAL__N_124unique_dim_cuda_templateIaEESt5tupleIJNSC_6TensorESH_SH_EERKSH_lbbbEUlllE1_EE10hipError_tPvRmT2_T3_mT4_P12ihipStream_tbEUlmE_lEESB_NS0_8identityIvEEEESM_SP_SQ_mSR_ST_bEUlT_E_NS1_11comp_targetILNS1_3genE9ELNS1_11target_archE1100ELNS1_3gpuE3ELNS1_3repE0EEENS1_30default_config_static_selectorELNS0_4arch9wavefront6targetE0EEEvT1_,"axG",@progbits,_ZN7rocprim17ROCPRIM_400000_NS6detail17trampoline_kernelINS0_14default_configENS1_25transform_config_selectorIlLb0EEEZNS1_14transform_implILb0ES3_S5_NS0_18transform_iteratorINS0_17counting_iteratorImlEEZNS1_24adjacent_difference_implIS3_Lb1ELb0EPlSB_ZN2at6native12_GLOBAL__N_124unique_dim_cuda_templateIaEESt5tupleIJNSC_6TensorESH_SH_EERKSH_lbbbEUlllE1_EE10hipError_tPvRmT2_T3_mT4_P12ihipStream_tbEUlmE_lEESB_NS0_8identityIvEEEESM_SP_SQ_mSR_ST_bEUlT_E_NS1_11comp_targetILNS1_3genE9ELNS1_11target_archE1100ELNS1_3gpuE3ELNS1_3repE0EEENS1_30default_config_static_selectorELNS0_4arch9wavefront6targetE0EEEvT1_,comdat
.Lfunc_end309:
	.size	_ZN7rocprim17ROCPRIM_400000_NS6detail17trampoline_kernelINS0_14default_configENS1_25transform_config_selectorIlLb0EEEZNS1_14transform_implILb0ES3_S5_NS0_18transform_iteratorINS0_17counting_iteratorImlEEZNS1_24adjacent_difference_implIS3_Lb1ELb0EPlSB_ZN2at6native12_GLOBAL__N_124unique_dim_cuda_templateIaEESt5tupleIJNSC_6TensorESH_SH_EERKSH_lbbbEUlllE1_EE10hipError_tPvRmT2_T3_mT4_P12ihipStream_tbEUlmE_lEESB_NS0_8identityIvEEEESM_SP_SQ_mSR_ST_bEUlT_E_NS1_11comp_targetILNS1_3genE9ELNS1_11target_archE1100ELNS1_3gpuE3ELNS1_3repE0EEENS1_30default_config_static_selectorELNS0_4arch9wavefront6targetE0EEEvT1_, .Lfunc_end309-_ZN7rocprim17ROCPRIM_400000_NS6detail17trampoline_kernelINS0_14default_configENS1_25transform_config_selectorIlLb0EEEZNS1_14transform_implILb0ES3_S5_NS0_18transform_iteratorINS0_17counting_iteratorImlEEZNS1_24adjacent_difference_implIS3_Lb1ELb0EPlSB_ZN2at6native12_GLOBAL__N_124unique_dim_cuda_templateIaEESt5tupleIJNSC_6TensorESH_SH_EERKSH_lbbbEUlllE1_EE10hipError_tPvRmT2_T3_mT4_P12ihipStream_tbEUlmE_lEESB_NS0_8identityIvEEEESM_SP_SQ_mSR_ST_bEUlT_E_NS1_11comp_targetILNS1_3genE9ELNS1_11target_archE1100ELNS1_3gpuE3ELNS1_3repE0EEENS1_30default_config_static_selectorELNS0_4arch9wavefront6targetE0EEEvT1_
                                        ; -- End function
	.set _ZN7rocprim17ROCPRIM_400000_NS6detail17trampoline_kernelINS0_14default_configENS1_25transform_config_selectorIlLb0EEEZNS1_14transform_implILb0ES3_S5_NS0_18transform_iteratorINS0_17counting_iteratorImlEEZNS1_24adjacent_difference_implIS3_Lb1ELb0EPlSB_ZN2at6native12_GLOBAL__N_124unique_dim_cuda_templateIaEESt5tupleIJNSC_6TensorESH_SH_EERKSH_lbbbEUlllE1_EE10hipError_tPvRmT2_T3_mT4_P12ihipStream_tbEUlmE_lEESB_NS0_8identityIvEEEESM_SP_SQ_mSR_ST_bEUlT_E_NS1_11comp_targetILNS1_3genE9ELNS1_11target_archE1100ELNS1_3gpuE3ELNS1_3repE0EEENS1_30default_config_static_selectorELNS0_4arch9wavefront6targetE0EEEvT1_.num_vgpr, 0
	.set _ZN7rocprim17ROCPRIM_400000_NS6detail17trampoline_kernelINS0_14default_configENS1_25transform_config_selectorIlLb0EEEZNS1_14transform_implILb0ES3_S5_NS0_18transform_iteratorINS0_17counting_iteratorImlEEZNS1_24adjacent_difference_implIS3_Lb1ELb0EPlSB_ZN2at6native12_GLOBAL__N_124unique_dim_cuda_templateIaEESt5tupleIJNSC_6TensorESH_SH_EERKSH_lbbbEUlllE1_EE10hipError_tPvRmT2_T3_mT4_P12ihipStream_tbEUlmE_lEESB_NS0_8identityIvEEEESM_SP_SQ_mSR_ST_bEUlT_E_NS1_11comp_targetILNS1_3genE9ELNS1_11target_archE1100ELNS1_3gpuE3ELNS1_3repE0EEENS1_30default_config_static_selectorELNS0_4arch9wavefront6targetE0EEEvT1_.num_agpr, 0
	.set _ZN7rocprim17ROCPRIM_400000_NS6detail17trampoline_kernelINS0_14default_configENS1_25transform_config_selectorIlLb0EEEZNS1_14transform_implILb0ES3_S5_NS0_18transform_iteratorINS0_17counting_iteratorImlEEZNS1_24adjacent_difference_implIS3_Lb1ELb0EPlSB_ZN2at6native12_GLOBAL__N_124unique_dim_cuda_templateIaEESt5tupleIJNSC_6TensorESH_SH_EERKSH_lbbbEUlllE1_EE10hipError_tPvRmT2_T3_mT4_P12ihipStream_tbEUlmE_lEESB_NS0_8identityIvEEEESM_SP_SQ_mSR_ST_bEUlT_E_NS1_11comp_targetILNS1_3genE9ELNS1_11target_archE1100ELNS1_3gpuE3ELNS1_3repE0EEENS1_30default_config_static_selectorELNS0_4arch9wavefront6targetE0EEEvT1_.numbered_sgpr, 0
	.set _ZN7rocprim17ROCPRIM_400000_NS6detail17trampoline_kernelINS0_14default_configENS1_25transform_config_selectorIlLb0EEEZNS1_14transform_implILb0ES3_S5_NS0_18transform_iteratorINS0_17counting_iteratorImlEEZNS1_24adjacent_difference_implIS3_Lb1ELb0EPlSB_ZN2at6native12_GLOBAL__N_124unique_dim_cuda_templateIaEESt5tupleIJNSC_6TensorESH_SH_EERKSH_lbbbEUlllE1_EE10hipError_tPvRmT2_T3_mT4_P12ihipStream_tbEUlmE_lEESB_NS0_8identityIvEEEESM_SP_SQ_mSR_ST_bEUlT_E_NS1_11comp_targetILNS1_3genE9ELNS1_11target_archE1100ELNS1_3gpuE3ELNS1_3repE0EEENS1_30default_config_static_selectorELNS0_4arch9wavefront6targetE0EEEvT1_.num_named_barrier, 0
	.set _ZN7rocprim17ROCPRIM_400000_NS6detail17trampoline_kernelINS0_14default_configENS1_25transform_config_selectorIlLb0EEEZNS1_14transform_implILb0ES3_S5_NS0_18transform_iteratorINS0_17counting_iteratorImlEEZNS1_24adjacent_difference_implIS3_Lb1ELb0EPlSB_ZN2at6native12_GLOBAL__N_124unique_dim_cuda_templateIaEESt5tupleIJNSC_6TensorESH_SH_EERKSH_lbbbEUlllE1_EE10hipError_tPvRmT2_T3_mT4_P12ihipStream_tbEUlmE_lEESB_NS0_8identityIvEEEESM_SP_SQ_mSR_ST_bEUlT_E_NS1_11comp_targetILNS1_3genE9ELNS1_11target_archE1100ELNS1_3gpuE3ELNS1_3repE0EEENS1_30default_config_static_selectorELNS0_4arch9wavefront6targetE0EEEvT1_.private_seg_size, 0
	.set _ZN7rocprim17ROCPRIM_400000_NS6detail17trampoline_kernelINS0_14default_configENS1_25transform_config_selectorIlLb0EEEZNS1_14transform_implILb0ES3_S5_NS0_18transform_iteratorINS0_17counting_iteratorImlEEZNS1_24adjacent_difference_implIS3_Lb1ELb0EPlSB_ZN2at6native12_GLOBAL__N_124unique_dim_cuda_templateIaEESt5tupleIJNSC_6TensorESH_SH_EERKSH_lbbbEUlllE1_EE10hipError_tPvRmT2_T3_mT4_P12ihipStream_tbEUlmE_lEESB_NS0_8identityIvEEEESM_SP_SQ_mSR_ST_bEUlT_E_NS1_11comp_targetILNS1_3genE9ELNS1_11target_archE1100ELNS1_3gpuE3ELNS1_3repE0EEENS1_30default_config_static_selectorELNS0_4arch9wavefront6targetE0EEEvT1_.uses_vcc, 0
	.set _ZN7rocprim17ROCPRIM_400000_NS6detail17trampoline_kernelINS0_14default_configENS1_25transform_config_selectorIlLb0EEEZNS1_14transform_implILb0ES3_S5_NS0_18transform_iteratorINS0_17counting_iteratorImlEEZNS1_24adjacent_difference_implIS3_Lb1ELb0EPlSB_ZN2at6native12_GLOBAL__N_124unique_dim_cuda_templateIaEESt5tupleIJNSC_6TensorESH_SH_EERKSH_lbbbEUlllE1_EE10hipError_tPvRmT2_T3_mT4_P12ihipStream_tbEUlmE_lEESB_NS0_8identityIvEEEESM_SP_SQ_mSR_ST_bEUlT_E_NS1_11comp_targetILNS1_3genE9ELNS1_11target_archE1100ELNS1_3gpuE3ELNS1_3repE0EEENS1_30default_config_static_selectorELNS0_4arch9wavefront6targetE0EEEvT1_.uses_flat_scratch, 0
	.set _ZN7rocprim17ROCPRIM_400000_NS6detail17trampoline_kernelINS0_14default_configENS1_25transform_config_selectorIlLb0EEEZNS1_14transform_implILb0ES3_S5_NS0_18transform_iteratorINS0_17counting_iteratorImlEEZNS1_24adjacent_difference_implIS3_Lb1ELb0EPlSB_ZN2at6native12_GLOBAL__N_124unique_dim_cuda_templateIaEESt5tupleIJNSC_6TensorESH_SH_EERKSH_lbbbEUlllE1_EE10hipError_tPvRmT2_T3_mT4_P12ihipStream_tbEUlmE_lEESB_NS0_8identityIvEEEESM_SP_SQ_mSR_ST_bEUlT_E_NS1_11comp_targetILNS1_3genE9ELNS1_11target_archE1100ELNS1_3gpuE3ELNS1_3repE0EEENS1_30default_config_static_selectorELNS0_4arch9wavefront6targetE0EEEvT1_.has_dyn_sized_stack, 0
	.set _ZN7rocprim17ROCPRIM_400000_NS6detail17trampoline_kernelINS0_14default_configENS1_25transform_config_selectorIlLb0EEEZNS1_14transform_implILb0ES3_S5_NS0_18transform_iteratorINS0_17counting_iteratorImlEEZNS1_24adjacent_difference_implIS3_Lb1ELb0EPlSB_ZN2at6native12_GLOBAL__N_124unique_dim_cuda_templateIaEESt5tupleIJNSC_6TensorESH_SH_EERKSH_lbbbEUlllE1_EE10hipError_tPvRmT2_T3_mT4_P12ihipStream_tbEUlmE_lEESB_NS0_8identityIvEEEESM_SP_SQ_mSR_ST_bEUlT_E_NS1_11comp_targetILNS1_3genE9ELNS1_11target_archE1100ELNS1_3gpuE3ELNS1_3repE0EEENS1_30default_config_static_selectorELNS0_4arch9wavefront6targetE0EEEvT1_.has_recursion, 0
	.set _ZN7rocprim17ROCPRIM_400000_NS6detail17trampoline_kernelINS0_14default_configENS1_25transform_config_selectorIlLb0EEEZNS1_14transform_implILb0ES3_S5_NS0_18transform_iteratorINS0_17counting_iteratorImlEEZNS1_24adjacent_difference_implIS3_Lb1ELb0EPlSB_ZN2at6native12_GLOBAL__N_124unique_dim_cuda_templateIaEESt5tupleIJNSC_6TensorESH_SH_EERKSH_lbbbEUlllE1_EE10hipError_tPvRmT2_T3_mT4_P12ihipStream_tbEUlmE_lEESB_NS0_8identityIvEEEESM_SP_SQ_mSR_ST_bEUlT_E_NS1_11comp_targetILNS1_3genE9ELNS1_11target_archE1100ELNS1_3gpuE3ELNS1_3repE0EEENS1_30default_config_static_selectorELNS0_4arch9wavefront6targetE0EEEvT1_.has_indirect_call, 0
	.section	.AMDGPU.csdata,"",@progbits
; Kernel info:
; codeLenInByte = 0
; TotalNumSgprs: 0
; NumVgprs: 0
; ScratchSize: 0
; MemoryBound: 0
; FloatMode: 240
; IeeeMode: 1
; LDSByteSize: 0 bytes/workgroup (compile time only)
; SGPRBlocks: 0
; VGPRBlocks: 0
; NumSGPRsForWavesPerEU: 1
; NumVGPRsForWavesPerEU: 1
; NamedBarCnt: 0
; Occupancy: 16
; WaveLimiterHint : 0
; COMPUTE_PGM_RSRC2:SCRATCH_EN: 0
; COMPUTE_PGM_RSRC2:USER_SGPR: 2
; COMPUTE_PGM_RSRC2:TRAP_HANDLER: 0
; COMPUTE_PGM_RSRC2:TGID_X_EN: 1
; COMPUTE_PGM_RSRC2:TGID_Y_EN: 0
; COMPUTE_PGM_RSRC2:TGID_Z_EN: 0
; COMPUTE_PGM_RSRC2:TIDIG_COMP_CNT: 0
	.section	.text._ZN7rocprim17ROCPRIM_400000_NS6detail17trampoline_kernelINS0_14default_configENS1_25transform_config_selectorIlLb0EEEZNS1_14transform_implILb0ES3_S5_NS0_18transform_iteratorINS0_17counting_iteratorImlEEZNS1_24adjacent_difference_implIS3_Lb1ELb0EPlSB_ZN2at6native12_GLOBAL__N_124unique_dim_cuda_templateIaEESt5tupleIJNSC_6TensorESH_SH_EERKSH_lbbbEUlllE1_EE10hipError_tPvRmT2_T3_mT4_P12ihipStream_tbEUlmE_lEESB_NS0_8identityIvEEEESM_SP_SQ_mSR_ST_bEUlT_E_NS1_11comp_targetILNS1_3genE8ELNS1_11target_archE1030ELNS1_3gpuE2ELNS1_3repE0EEENS1_30default_config_static_selectorELNS0_4arch9wavefront6targetE0EEEvT1_,"axG",@progbits,_ZN7rocprim17ROCPRIM_400000_NS6detail17trampoline_kernelINS0_14default_configENS1_25transform_config_selectorIlLb0EEEZNS1_14transform_implILb0ES3_S5_NS0_18transform_iteratorINS0_17counting_iteratorImlEEZNS1_24adjacent_difference_implIS3_Lb1ELb0EPlSB_ZN2at6native12_GLOBAL__N_124unique_dim_cuda_templateIaEESt5tupleIJNSC_6TensorESH_SH_EERKSH_lbbbEUlllE1_EE10hipError_tPvRmT2_T3_mT4_P12ihipStream_tbEUlmE_lEESB_NS0_8identityIvEEEESM_SP_SQ_mSR_ST_bEUlT_E_NS1_11comp_targetILNS1_3genE8ELNS1_11target_archE1030ELNS1_3gpuE2ELNS1_3repE0EEENS1_30default_config_static_selectorELNS0_4arch9wavefront6targetE0EEEvT1_,comdat
	.globl	_ZN7rocprim17ROCPRIM_400000_NS6detail17trampoline_kernelINS0_14default_configENS1_25transform_config_selectorIlLb0EEEZNS1_14transform_implILb0ES3_S5_NS0_18transform_iteratorINS0_17counting_iteratorImlEEZNS1_24adjacent_difference_implIS3_Lb1ELb0EPlSB_ZN2at6native12_GLOBAL__N_124unique_dim_cuda_templateIaEESt5tupleIJNSC_6TensorESH_SH_EERKSH_lbbbEUlllE1_EE10hipError_tPvRmT2_T3_mT4_P12ihipStream_tbEUlmE_lEESB_NS0_8identityIvEEEESM_SP_SQ_mSR_ST_bEUlT_E_NS1_11comp_targetILNS1_3genE8ELNS1_11target_archE1030ELNS1_3gpuE2ELNS1_3repE0EEENS1_30default_config_static_selectorELNS0_4arch9wavefront6targetE0EEEvT1_ ; -- Begin function _ZN7rocprim17ROCPRIM_400000_NS6detail17trampoline_kernelINS0_14default_configENS1_25transform_config_selectorIlLb0EEEZNS1_14transform_implILb0ES3_S5_NS0_18transform_iteratorINS0_17counting_iteratorImlEEZNS1_24adjacent_difference_implIS3_Lb1ELb0EPlSB_ZN2at6native12_GLOBAL__N_124unique_dim_cuda_templateIaEESt5tupleIJNSC_6TensorESH_SH_EERKSH_lbbbEUlllE1_EE10hipError_tPvRmT2_T3_mT4_P12ihipStream_tbEUlmE_lEESB_NS0_8identityIvEEEESM_SP_SQ_mSR_ST_bEUlT_E_NS1_11comp_targetILNS1_3genE8ELNS1_11target_archE1030ELNS1_3gpuE2ELNS1_3repE0EEENS1_30default_config_static_selectorELNS0_4arch9wavefront6targetE0EEEvT1_
	.p2align	8
	.type	_ZN7rocprim17ROCPRIM_400000_NS6detail17trampoline_kernelINS0_14default_configENS1_25transform_config_selectorIlLb0EEEZNS1_14transform_implILb0ES3_S5_NS0_18transform_iteratorINS0_17counting_iteratorImlEEZNS1_24adjacent_difference_implIS3_Lb1ELb0EPlSB_ZN2at6native12_GLOBAL__N_124unique_dim_cuda_templateIaEESt5tupleIJNSC_6TensorESH_SH_EERKSH_lbbbEUlllE1_EE10hipError_tPvRmT2_T3_mT4_P12ihipStream_tbEUlmE_lEESB_NS0_8identityIvEEEESM_SP_SQ_mSR_ST_bEUlT_E_NS1_11comp_targetILNS1_3genE8ELNS1_11target_archE1030ELNS1_3gpuE2ELNS1_3repE0EEENS1_30default_config_static_selectorELNS0_4arch9wavefront6targetE0EEEvT1_,@function
_ZN7rocprim17ROCPRIM_400000_NS6detail17trampoline_kernelINS0_14default_configENS1_25transform_config_selectorIlLb0EEEZNS1_14transform_implILb0ES3_S5_NS0_18transform_iteratorINS0_17counting_iteratorImlEEZNS1_24adjacent_difference_implIS3_Lb1ELb0EPlSB_ZN2at6native12_GLOBAL__N_124unique_dim_cuda_templateIaEESt5tupleIJNSC_6TensorESH_SH_EERKSH_lbbbEUlllE1_EE10hipError_tPvRmT2_T3_mT4_P12ihipStream_tbEUlmE_lEESB_NS0_8identityIvEEEESM_SP_SQ_mSR_ST_bEUlT_E_NS1_11comp_targetILNS1_3genE8ELNS1_11target_archE1030ELNS1_3gpuE2ELNS1_3repE0EEENS1_30default_config_static_selectorELNS0_4arch9wavefront6targetE0EEEvT1_: ; @_ZN7rocprim17ROCPRIM_400000_NS6detail17trampoline_kernelINS0_14default_configENS1_25transform_config_selectorIlLb0EEEZNS1_14transform_implILb0ES3_S5_NS0_18transform_iteratorINS0_17counting_iteratorImlEEZNS1_24adjacent_difference_implIS3_Lb1ELb0EPlSB_ZN2at6native12_GLOBAL__N_124unique_dim_cuda_templateIaEESt5tupleIJNSC_6TensorESH_SH_EERKSH_lbbbEUlllE1_EE10hipError_tPvRmT2_T3_mT4_P12ihipStream_tbEUlmE_lEESB_NS0_8identityIvEEEESM_SP_SQ_mSR_ST_bEUlT_E_NS1_11comp_targetILNS1_3genE8ELNS1_11target_archE1030ELNS1_3gpuE2ELNS1_3repE0EEENS1_30default_config_static_selectorELNS0_4arch9wavefront6targetE0EEEvT1_
; %bb.0:
	.section	.rodata,"a",@progbits
	.p2align	6, 0x0
	.amdhsa_kernel _ZN7rocprim17ROCPRIM_400000_NS6detail17trampoline_kernelINS0_14default_configENS1_25transform_config_selectorIlLb0EEEZNS1_14transform_implILb0ES3_S5_NS0_18transform_iteratorINS0_17counting_iteratorImlEEZNS1_24adjacent_difference_implIS3_Lb1ELb0EPlSB_ZN2at6native12_GLOBAL__N_124unique_dim_cuda_templateIaEESt5tupleIJNSC_6TensorESH_SH_EERKSH_lbbbEUlllE1_EE10hipError_tPvRmT2_T3_mT4_P12ihipStream_tbEUlmE_lEESB_NS0_8identityIvEEEESM_SP_SQ_mSR_ST_bEUlT_E_NS1_11comp_targetILNS1_3genE8ELNS1_11target_archE1030ELNS1_3gpuE2ELNS1_3repE0EEENS1_30default_config_static_selectorELNS0_4arch9wavefront6targetE0EEEvT1_
		.amdhsa_group_segment_fixed_size 0
		.amdhsa_private_segment_fixed_size 0
		.amdhsa_kernarg_size 56
		.amdhsa_user_sgpr_count 2
		.amdhsa_user_sgpr_dispatch_ptr 0
		.amdhsa_user_sgpr_queue_ptr 0
		.amdhsa_user_sgpr_kernarg_segment_ptr 1
		.amdhsa_user_sgpr_dispatch_id 0
		.amdhsa_user_sgpr_kernarg_preload_length 0
		.amdhsa_user_sgpr_kernarg_preload_offset 0
		.amdhsa_user_sgpr_private_segment_size 0
		.amdhsa_wavefront_size32 1
		.amdhsa_uses_dynamic_stack 0
		.amdhsa_enable_private_segment 0
		.amdhsa_system_sgpr_workgroup_id_x 1
		.amdhsa_system_sgpr_workgroup_id_y 0
		.amdhsa_system_sgpr_workgroup_id_z 0
		.amdhsa_system_sgpr_workgroup_info 0
		.amdhsa_system_vgpr_workitem_id 0
		.amdhsa_next_free_vgpr 1
		.amdhsa_next_free_sgpr 1
		.amdhsa_named_barrier_count 0
		.amdhsa_reserve_vcc 0
		.amdhsa_float_round_mode_32 0
		.amdhsa_float_round_mode_16_64 0
		.amdhsa_float_denorm_mode_32 3
		.amdhsa_float_denorm_mode_16_64 3
		.amdhsa_fp16_overflow 0
		.amdhsa_memory_ordered 1
		.amdhsa_forward_progress 1
		.amdhsa_inst_pref_size 0
		.amdhsa_round_robin_scheduling 0
		.amdhsa_exception_fp_ieee_invalid_op 0
		.amdhsa_exception_fp_denorm_src 0
		.amdhsa_exception_fp_ieee_div_zero 0
		.amdhsa_exception_fp_ieee_overflow 0
		.amdhsa_exception_fp_ieee_underflow 0
		.amdhsa_exception_fp_ieee_inexact 0
		.amdhsa_exception_int_div_zero 0
	.end_amdhsa_kernel
	.section	.text._ZN7rocprim17ROCPRIM_400000_NS6detail17trampoline_kernelINS0_14default_configENS1_25transform_config_selectorIlLb0EEEZNS1_14transform_implILb0ES3_S5_NS0_18transform_iteratorINS0_17counting_iteratorImlEEZNS1_24adjacent_difference_implIS3_Lb1ELb0EPlSB_ZN2at6native12_GLOBAL__N_124unique_dim_cuda_templateIaEESt5tupleIJNSC_6TensorESH_SH_EERKSH_lbbbEUlllE1_EE10hipError_tPvRmT2_T3_mT4_P12ihipStream_tbEUlmE_lEESB_NS0_8identityIvEEEESM_SP_SQ_mSR_ST_bEUlT_E_NS1_11comp_targetILNS1_3genE8ELNS1_11target_archE1030ELNS1_3gpuE2ELNS1_3repE0EEENS1_30default_config_static_selectorELNS0_4arch9wavefront6targetE0EEEvT1_,"axG",@progbits,_ZN7rocprim17ROCPRIM_400000_NS6detail17trampoline_kernelINS0_14default_configENS1_25transform_config_selectorIlLb0EEEZNS1_14transform_implILb0ES3_S5_NS0_18transform_iteratorINS0_17counting_iteratorImlEEZNS1_24adjacent_difference_implIS3_Lb1ELb0EPlSB_ZN2at6native12_GLOBAL__N_124unique_dim_cuda_templateIaEESt5tupleIJNSC_6TensorESH_SH_EERKSH_lbbbEUlllE1_EE10hipError_tPvRmT2_T3_mT4_P12ihipStream_tbEUlmE_lEESB_NS0_8identityIvEEEESM_SP_SQ_mSR_ST_bEUlT_E_NS1_11comp_targetILNS1_3genE8ELNS1_11target_archE1030ELNS1_3gpuE2ELNS1_3repE0EEENS1_30default_config_static_selectorELNS0_4arch9wavefront6targetE0EEEvT1_,comdat
.Lfunc_end310:
	.size	_ZN7rocprim17ROCPRIM_400000_NS6detail17trampoline_kernelINS0_14default_configENS1_25transform_config_selectorIlLb0EEEZNS1_14transform_implILb0ES3_S5_NS0_18transform_iteratorINS0_17counting_iteratorImlEEZNS1_24adjacent_difference_implIS3_Lb1ELb0EPlSB_ZN2at6native12_GLOBAL__N_124unique_dim_cuda_templateIaEESt5tupleIJNSC_6TensorESH_SH_EERKSH_lbbbEUlllE1_EE10hipError_tPvRmT2_T3_mT4_P12ihipStream_tbEUlmE_lEESB_NS0_8identityIvEEEESM_SP_SQ_mSR_ST_bEUlT_E_NS1_11comp_targetILNS1_3genE8ELNS1_11target_archE1030ELNS1_3gpuE2ELNS1_3repE0EEENS1_30default_config_static_selectorELNS0_4arch9wavefront6targetE0EEEvT1_, .Lfunc_end310-_ZN7rocprim17ROCPRIM_400000_NS6detail17trampoline_kernelINS0_14default_configENS1_25transform_config_selectorIlLb0EEEZNS1_14transform_implILb0ES3_S5_NS0_18transform_iteratorINS0_17counting_iteratorImlEEZNS1_24adjacent_difference_implIS3_Lb1ELb0EPlSB_ZN2at6native12_GLOBAL__N_124unique_dim_cuda_templateIaEESt5tupleIJNSC_6TensorESH_SH_EERKSH_lbbbEUlllE1_EE10hipError_tPvRmT2_T3_mT4_P12ihipStream_tbEUlmE_lEESB_NS0_8identityIvEEEESM_SP_SQ_mSR_ST_bEUlT_E_NS1_11comp_targetILNS1_3genE8ELNS1_11target_archE1030ELNS1_3gpuE2ELNS1_3repE0EEENS1_30default_config_static_selectorELNS0_4arch9wavefront6targetE0EEEvT1_
                                        ; -- End function
	.set _ZN7rocprim17ROCPRIM_400000_NS6detail17trampoline_kernelINS0_14default_configENS1_25transform_config_selectorIlLb0EEEZNS1_14transform_implILb0ES3_S5_NS0_18transform_iteratorINS0_17counting_iteratorImlEEZNS1_24adjacent_difference_implIS3_Lb1ELb0EPlSB_ZN2at6native12_GLOBAL__N_124unique_dim_cuda_templateIaEESt5tupleIJNSC_6TensorESH_SH_EERKSH_lbbbEUlllE1_EE10hipError_tPvRmT2_T3_mT4_P12ihipStream_tbEUlmE_lEESB_NS0_8identityIvEEEESM_SP_SQ_mSR_ST_bEUlT_E_NS1_11comp_targetILNS1_3genE8ELNS1_11target_archE1030ELNS1_3gpuE2ELNS1_3repE0EEENS1_30default_config_static_selectorELNS0_4arch9wavefront6targetE0EEEvT1_.num_vgpr, 0
	.set _ZN7rocprim17ROCPRIM_400000_NS6detail17trampoline_kernelINS0_14default_configENS1_25transform_config_selectorIlLb0EEEZNS1_14transform_implILb0ES3_S5_NS0_18transform_iteratorINS0_17counting_iteratorImlEEZNS1_24adjacent_difference_implIS3_Lb1ELb0EPlSB_ZN2at6native12_GLOBAL__N_124unique_dim_cuda_templateIaEESt5tupleIJNSC_6TensorESH_SH_EERKSH_lbbbEUlllE1_EE10hipError_tPvRmT2_T3_mT4_P12ihipStream_tbEUlmE_lEESB_NS0_8identityIvEEEESM_SP_SQ_mSR_ST_bEUlT_E_NS1_11comp_targetILNS1_3genE8ELNS1_11target_archE1030ELNS1_3gpuE2ELNS1_3repE0EEENS1_30default_config_static_selectorELNS0_4arch9wavefront6targetE0EEEvT1_.num_agpr, 0
	.set _ZN7rocprim17ROCPRIM_400000_NS6detail17trampoline_kernelINS0_14default_configENS1_25transform_config_selectorIlLb0EEEZNS1_14transform_implILb0ES3_S5_NS0_18transform_iteratorINS0_17counting_iteratorImlEEZNS1_24adjacent_difference_implIS3_Lb1ELb0EPlSB_ZN2at6native12_GLOBAL__N_124unique_dim_cuda_templateIaEESt5tupleIJNSC_6TensorESH_SH_EERKSH_lbbbEUlllE1_EE10hipError_tPvRmT2_T3_mT4_P12ihipStream_tbEUlmE_lEESB_NS0_8identityIvEEEESM_SP_SQ_mSR_ST_bEUlT_E_NS1_11comp_targetILNS1_3genE8ELNS1_11target_archE1030ELNS1_3gpuE2ELNS1_3repE0EEENS1_30default_config_static_selectorELNS0_4arch9wavefront6targetE0EEEvT1_.numbered_sgpr, 0
	.set _ZN7rocprim17ROCPRIM_400000_NS6detail17trampoline_kernelINS0_14default_configENS1_25transform_config_selectorIlLb0EEEZNS1_14transform_implILb0ES3_S5_NS0_18transform_iteratorINS0_17counting_iteratorImlEEZNS1_24adjacent_difference_implIS3_Lb1ELb0EPlSB_ZN2at6native12_GLOBAL__N_124unique_dim_cuda_templateIaEESt5tupleIJNSC_6TensorESH_SH_EERKSH_lbbbEUlllE1_EE10hipError_tPvRmT2_T3_mT4_P12ihipStream_tbEUlmE_lEESB_NS0_8identityIvEEEESM_SP_SQ_mSR_ST_bEUlT_E_NS1_11comp_targetILNS1_3genE8ELNS1_11target_archE1030ELNS1_3gpuE2ELNS1_3repE0EEENS1_30default_config_static_selectorELNS0_4arch9wavefront6targetE0EEEvT1_.num_named_barrier, 0
	.set _ZN7rocprim17ROCPRIM_400000_NS6detail17trampoline_kernelINS0_14default_configENS1_25transform_config_selectorIlLb0EEEZNS1_14transform_implILb0ES3_S5_NS0_18transform_iteratorINS0_17counting_iteratorImlEEZNS1_24adjacent_difference_implIS3_Lb1ELb0EPlSB_ZN2at6native12_GLOBAL__N_124unique_dim_cuda_templateIaEESt5tupleIJNSC_6TensorESH_SH_EERKSH_lbbbEUlllE1_EE10hipError_tPvRmT2_T3_mT4_P12ihipStream_tbEUlmE_lEESB_NS0_8identityIvEEEESM_SP_SQ_mSR_ST_bEUlT_E_NS1_11comp_targetILNS1_3genE8ELNS1_11target_archE1030ELNS1_3gpuE2ELNS1_3repE0EEENS1_30default_config_static_selectorELNS0_4arch9wavefront6targetE0EEEvT1_.private_seg_size, 0
	.set _ZN7rocprim17ROCPRIM_400000_NS6detail17trampoline_kernelINS0_14default_configENS1_25transform_config_selectorIlLb0EEEZNS1_14transform_implILb0ES3_S5_NS0_18transform_iteratorINS0_17counting_iteratorImlEEZNS1_24adjacent_difference_implIS3_Lb1ELb0EPlSB_ZN2at6native12_GLOBAL__N_124unique_dim_cuda_templateIaEESt5tupleIJNSC_6TensorESH_SH_EERKSH_lbbbEUlllE1_EE10hipError_tPvRmT2_T3_mT4_P12ihipStream_tbEUlmE_lEESB_NS0_8identityIvEEEESM_SP_SQ_mSR_ST_bEUlT_E_NS1_11comp_targetILNS1_3genE8ELNS1_11target_archE1030ELNS1_3gpuE2ELNS1_3repE0EEENS1_30default_config_static_selectorELNS0_4arch9wavefront6targetE0EEEvT1_.uses_vcc, 0
	.set _ZN7rocprim17ROCPRIM_400000_NS6detail17trampoline_kernelINS0_14default_configENS1_25transform_config_selectorIlLb0EEEZNS1_14transform_implILb0ES3_S5_NS0_18transform_iteratorINS0_17counting_iteratorImlEEZNS1_24adjacent_difference_implIS3_Lb1ELb0EPlSB_ZN2at6native12_GLOBAL__N_124unique_dim_cuda_templateIaEESt5tupleIJNSC_6TensorESH_SH_EERKSH_lbbbEUlllE1_EE10hipError_tPvRmT2_T3_mT4_P12ihipStream_tbEUlmE_lEESB_NS0_8identityIvEEEESM_SP_SQ_mSR_ST_bEUlT_E_NS1_11comp_targetILNS1_3genE8ELNS1_11target_archE1030ELNS1_3gpuE2ELNS1_3repE0EEENS1_30default_config_static_selectorELNS0_4arch9wavefront6targetE0EEEvT1_.uses_flat_scratch, 0
	.set _ZN7rocprim17ROCPRIM_400000_NS6detail17trampoline_kernelINS0_14default_configENS1_25transform_config_selectorIlLb0EEEZNS1_14transform_implILb0ES3_S5_NS0_18transform_iteratorINS0_17counting_iteratorImlEEZNS1_24adjacent_difference_implIS3_Lb1ELb0EPlSB_ZN2at6native12_GLOBAL__N_124unique_dim_cuda_templateIaEESt5tupleIJNSC_6TensorESH_SH_EERKSH_lbbbEUlllE1_EE10hipError_tPvRmT2_T3_mT4_P12ihipStream_tbEUlmE_lEESB_NS0_8identityIvEEEESM_SP_SQ_mSR_ST_bEUlT_E_NS1_11comp_targetILNS1_3genE8ELNS1_11target_archE1030ELNS1_3gpuE2ELNS1_3repE0EEENS1_30default_config_static_selectorELNS0_4arch9wavefront6targetE0EEEvT1_.has_dyn_sized_stack, 0
	.set _ZN7rocprim17ROCPRIM_400000_NS6detail17trampoline_kernelINS0_14default_configENS1_25transform_config_selectorIlLb0EEEZNS1_14transform_implILb0ES3_S5_NS0_18transform_iteratorINS0_17counting_iteratorImlEEZNS1_24adjacent_difference_implIS3_Lb1ELb0EPlSB_ZN2at6native12_GLOBAL__N_124unique_dim_cuda_templateIaEESt5tupleIJNSC_6TensorESH_SH_EERKSH_lbbbEUlllE1_EE10hipError_tPvRmT2_T3_mT4_P12ihipStream_tbEUlmE_lEESB_NS0_8identityIvEEEESM_SP_SQ_mSR_ST_bEUlT_E_NS1_11comp_targetILNS1_3genE8ELNS1_11target_archE1030ELNS1_3gpuE2ELNS1_3repE0EEENS1_30default_config_static_selectorELNS0_4arch9wavefront6targetE0EEEvT1_.has_recursion, 0
	.set _ZN7rocprim17ROCPRIM_400000_NS6detail17trampoline_kernelINS0_14default_configENS1_25transform_config_selectorIlLb0EEEZNS1_14transform_implILb0ES3_S5_NS0_18transform_iteratorINS0_17counting_iteratorImlEEZNS1_24adjacent_difference_implIS3_Lb1ELb0EPlSB_ZN2at6native12_GLOBAL__N_124unique_dim_cuda_templateIaEESt5tupleIJNSC_6TensorESH_SH_EERKSH_lbbbEUlllE1_EE10hipError_tPvRmT2_T3_mT4_P12ihipStream_tbEUlmE_lEESB_NS0_8identityIvEEEESM_SP_SQ_mSR_ST_bEUlT_E_NS1_11comp_targetILNS1_3genE8ELNS1_11target_archE1030ELNS1_3gpuE2ELNS1_3repE0EEENS1_30default_config_static_selectorELNS0_4arch9wavefront6targetE0EEEvT1_.has_indirect_call, 0
	.section	.AMDGPU.csdata,"",@progbits
; Kernel info:
; codeLenInByte = 0
; TotalNumSgprs: 0
; NumVgprs: 0
; ScratchSize: 0
; MemoryBound: 0
; FloatMode: 240
; IeeeMode: 1
; LDSByteSize: 0 bytes/workgroup (compile time only)
; SGPRBlocks: 0
; VGPRBlocks: 0
; NumSGPRsForWavesPerEU: 1
; NumVGPRsForWavesPerEU: 1
; NamedBarCnt: 0
; Occupancy: 16
; WaveLimiterHint : 0
; COMPUTE_PGM_RSRC2:SCRATCH_EN: 0
; COMPUTE_PGM_RSRC2:USER_SGPR: 2
; COMPUTE_PGM_RSRC2:TRAP_HANDLER: 0
; COMPUTE_PGM_RSRC2:TGID_X_EN: 1
; COMPUTE_PGM_RSRC2:TGID_Y_EN: 0
; COMPUTE_PGM_RSRC2:TGID_Z_EN: 0
; COMPUTE_PGM_RSRC2:TIDIG_COMP_CNT: 0
	.section	.text._ZN7rocprim17ROCPRIM_400000_NS6detail17trampoline_kernelINS0_14default_configENS1_35adjacent_difference_config_selectorILb1ElEEZNS1_24adjacent_difference_implIS3_Lb1ELb0EPlS7_ZN2at6native12_GLOBAL__N_124unique_dim_cuda_templateIaEESt5tupleIJNS8_6TensorESD_SD_EERKSD_lbbbEUlllE1_EE10hipError_tPvRmT2_T3_mT4_P12ihipStream_tbEUlT_E_NS1_11comp_targetILNS1_3genE0ELNS1_11target_archE4294967295ELNS1_3gpuE0ELNS1_3repE0EEENS1_30default_config_static_selectorELNS0_4arch9wavefront6targetE0EEEvT1_,"axG",@progbits,_ZN7rocprim17ROCPRIM_400000_NS6detail17trampoline_kernelINS0_14default_configENS1_35adjacent_difference_config_selectorILb1ElEEZNS1_24adjacent_difference_implIS3_Lb1ELb0EPlS7_ZN2at6native12_GLOBAL__N_124unique_dim_cuda_templateIaEESt5tupleIJNS8_6TensorESD_SD_EERKSD_lbbbEUlllE1_EE10hipError_tPvRmT2_T3_mT4_P12ihipStream_tbEUlT_E_NS1_11comp_targetILNS1_3genE0ELNS1_11target_archE4294967295ELNS1_3gpuE0ELNS1_3repE0EEENS1_30default_config_static_selectorELNS0_4arch9wavefront6targetE0EEEvT1_,comdat
	.globl	_ZN7rocprim17ROCPRIM_400000_NS6detail17trampoline_kernelINS0_14default_configENS1_35adjacent_difference_config_selectorILb1ElEEZNS1_24adjacent_difference_implIS3_Lb1ELb0EPlS7_ZN2at6native12_GLOBAL__N_124unique_dim_cuda_templateIaEESt5tupleIJNS8_6TensorESD_SD_EERKSD_lbbbEUlllE1_EE10hipError_tPvRmT2_T3_mT4_P12ihipStream_tbEUlT_E_NS1_11comp_targetILNS1_3genE0ELNS1_11target_archE4294967295ELNS1_3gpuE0ELNS1_3repE0EEENS1_30default_config_static_selectorELNS0_4arch9wavefront6targetE0EEEvT1_ ; -- Begin function _ZN7rocprim17ROCPRIM_400000_NS6detail17trampoline_kernelINS0_14default_configENS1_35adjacent_difference_config_selectorILb1ElEEZNS1_24adjacent_difference_implIS3_Lb1ELb0EPlS7_ZN2at6native12_GLOBAL__N_124unique_dim_cuda_templateIaEESt5tupleIJNS8_6TensorESD_SD_EERKSD_lbbbEUlllE1_EE10hipError_tPvRmT2_T3_mT4_P12ihipStream_tbEUlT_E_NS1_11comp_targetILNS1_3genE0ELNS1_11target_archE4294967295ELNS1_3gpuE0ELNS1_3repE0EEENS1_30default_config_static_selectorELNS0_4arch9wavefront6targetE0EEEvT1_
	.p2align	8
	.type	_ZN7rocprim17ROCPRIM_400000_NS6detail17trampoline_kernelINS0_14default_configENS1_35adjacent_difference_config_selectorILb1ElEEZNS1_24adjacent_difference_implIS3_Lb1ELb0EPlS7_ZN2at6native12_GLOBAL__N_124unique_dim_cuda_templateIaEESt5tupleIJNS8_6TensorESD_SD_EERKSD_lbbbEUlllE1_EE10hipError_tPvRmT2_T3_mT4_P12ihipStream_tbEUlT_E_NS1_11comp_targetILNS1_3genE0ELNS1_11target_archE4294967295ELNS1_3gpuE0ELNS1_3repE0EEENS1_30default_config_static_selectorELNS0_4arch9wavefront6targetE0EEEvT1_,@function
_ZN7rocprim17ROCPRIM_400000_NS6detail17trampoline_kernelINS0_14default_configENS1_35adjacent_difference_config_selectorILb1ElEEZNS1_24adjacent_difference_implIS3_Lb1ELb0EPlS7_ZN2at6native12_GLOBAL__N_124unique_dim_cuda_templateIaEESt5tupleIJNS8_6TensorESD_SD_EERKSD_lbbbEUlllE1_EE10hipError_tPvRmT2_T3_mT4_P12ihipStream_tbEUlT_E_NS1_11comp_targetILNS1_3genE0ELNS1_11target_archE4294967295ELNS1_3gpuE0ELNS1_3repE0EEENS1_30default_config_static_selectorELNS0_4arch9wavefront6targetE0EEEvT1_: ; @_ZN7rocprim17ROCPRIM_400000_NS6detail17trampoline_kernelINS0_14default_configENS1_35adjacent_difference_config_selectorILb1ElEEZNS1_24adjacent_difference_implIS3_Lb1ELb0EPlS7_ZN2at6native12_GLOBAL__N_124unique_dim_cuda_templateIaEESt5tupleIJNS8_6TensorESD_SD_EERKSD_lbbbEUlllE1_EE10hipError_tPvRmT2_T3_mT4_P12ihipStream_tbEUlT_E_NS1_11comp_targetILNS1_3genE0ELNS1_11target_archE4294967295ELNS1_3gpuE0ELNS1_3repE0EEENS1_30default_config_static_selectorELNS0_4arch9wavefront6targetE0EEEvT1_
; %bb.0:
	s_load_b512 s[4:19], s[0:1], 0x0
	s_wait_xcnt 0x0
	s_bfe_u32 s0, ttmp6, 0x4000c
	s_and_b32 s1, ttmp6, 15
	s_add_co_i32 s0, s0, 1
	s_getreg_b32 s2, hwreg(HW_REG_IB_STS2, 6, 4)
	s_mul_i32 s0, ttmp9, s0
	s_mov_b32 s25, 0
	s_add_co_i32 s1, s1, s0
	s_wait_kmcnt 0x0
	s_lshl_b64 s[20:21], s[6:7], 3
	s_cmp_eq_u32 s2, 0
	s_add_nc_u64 s[4:5], s[4:5], s[20:21]
	s_cselect_b32 s3, ttmp9, s1
	s_and_b64 s[6:7], s[10:11], 0x3ff
	s_lshr_b64 s[0:1], s[10:11], 10
	s_lshl_b32 s2, s3, 10
	s_cmp_lg_u64 s[6:7], 0
	s_cselect_b32 s6, -1, 0
	s_delay_alu instid0(SALU_CYCLE_1) | instskip(NEXT) | instid1(VALU_DEP_1)
	v_cndmask_b32_e64 v1, 0, 1, s6
	v_readfirstlane_b32 s24, v1
	s_add_nc_u64 s[0:1], s[0:1], s[24:25]
	s_mov_b32 s24, s3
	s_add_nc_u64 s[6:7], s[0:1], -1
	s_add_nc_u64 s[22:23], s[18:19], s[24:25]
	s_mov_b32 s3, -1
	v_cmp_ge_u64_e64 s11, s[22:23], s[6:7]
	s_and_b32 vcc_lo, exec_lo, s11
	s_cbranch_vccz .LBB311_6
; %bb.1:
	v_mov_b32_e32 v2, 0
	s_lshl_b32 s3, s6, 10
	s_delay_alu instid0(SALU_CYCLE_1) | instskip(SKIP_1) | instid1(VALU_DEP_1)
	s_sub_co_i32 s28, s10, s3
	s_mov_b32 s3, s25
	v_dual_mov_b32 v3, v2 :: v_dual_mov_b32 v4, v2
	v_mov_b32_e32 v5, v2
	s_lshl_b64 s[26:27], s[2:3], 3
	s_mov_b32 s3, exec_lo
	s_add_nc_u64 s[26:27], s[4:5], s[26:27]
	v_cmpx_gt_u32_e64 s28, v0
	s_cbranch_execz .LBB311_3
; %bb.2:
	global_load_b64 v[4:5], v0, s[26:27] scale_offset
	v_dual_mov_b32 v6, v2 :: v_dual_mov_b32 v7, v2
	s_wait_loadcnt 0x0
	v_mov_b64_e32 v[2:3], v[4:5]
	s_delay_alu instid0(VALU_DEP_2)
	v_mov_b64_e32 v[4:5], v[6:7]
.LBB311_3:
	s_or_b32 exec_lo, exec_lo, s3
	v_or_b32_e32 v1, 0x200, v0
	s_mov_b32 s3, exec_lo
	s_delay_alu instid0(VALU_DEP_1)
	v_cmpx_gt_u32_e64 s28, v1
	s_cbranch_execz .LBB311_5
; %bb.4:
	global_load_b64 v[4:5], v0, s[26:27] offset:4096 scale_offset
.LBB311_5:
	s_wait_xcnt 0x0
	s_or_b32 exec_lo, exec_lo, s3
	v_dual_lshrrev_b32 v6, 2, v0 :: v_dual_lshrrev_b32 v1, 2, v1
	v_lshlrev_b32_e32 v7, 3, v0
	s_mov_b32 s3, 0
	s_delay_alu instid0(VALU_DEP_2) | instskip(NEXT) | instid1(VALU_DEP_3)
	v_and_b32_e32 v6, 0x78, v6
	v_and_b32_e32 v1, 0xf8, v1
	s_delay_alu instid0(VALU_DEP_1)
	v_dual_add_nc_u32 v6, v6, v7 :: v_dual_add_nc_u32 v1, v1, v7
	ds_store_b64 v6, v[2:3]
	s_wait_loadcnt 0x0
	ds_store_b64 v1, v[4:5] offset:4096
	s_wait_dscnt 0x0
	s_barrier_signal -1
	s_barrier_wait -1
.LBB311_6:
	s_and_b32 vcc_lo, exec_lo, s3
	s_cbranch_vccz .LBB311_8
; %bb.7:
	s_mov_b32 s3, 0
	v_or_b32_e32 v1, 0x200, v0
	s_lshl_b64 s[26:27], s[2:3], 3
	v_lshrrev_b32_e32 v6, 2, v0
	s_add_nc_u64 s[4:5], s[4:5], s[26:27]
	v_lshlrev_b32_e32 v7, 3, v0
	s_clause 0x1
	global_load_b64 v[2:3], v0, s[4:5] scale_offset
	global_load_b64 v[4:5], v0, s[4:5] offset:4096 scale_offset
	v_lshrrev_b32_e32 v1, 2, v1
	v_and_b32_e32 v6, 0x78, v6
	s_delay_alu instid0(VALU_DEP_2) | instskip(NEXT) | instid1(VALU_DEP_1)
	v_and_b32_e32 v1, 0xf8, v1
	v_dual_add_nc_u32 v6, v6, v7 :: v_dual_add_nc_u32 v1, v1, v7
	s_wait_loadcnt 0x1
	ds_store_b64 v6, v[2:3]
	s_wait_loadcnt 0x0
	ds_store_b64 v1, v[4:5] offset:4096
	s_wait_dscnt 0x0
	s_barrier_signal -1
	s_barrier_wait -1
.LBB311_8:
	v_lshrrev_b32_e32 v1, 1, v0
	s_cmp_eq_u64 s[22:23], 0
	s_delay_alu instid0(VALU_DEP_1) | instskip(NEXT) | instid1(VALU_DEP_1)
	v_and_b32_e32 v1, 0xf8, v1
	v_lshl_add_u32 v1, v0, 4, v1
	ds_load_2addr_b64 v[2:5], v1 offset1:1
	s_wait_dscnt 0x0
	s_barrier_signal -1
	s_barrier_wait -1
	s_cbranch_scc1 .LBB311_15
; %bb.9:
	s_lshl_b64 s[4:5], s[18:19], 3
	s_delay_alu instid0(SALU_CYCLE_1) | instskip(SKIP_3) | instid1(SALU_CYCLE_1)
	s_add_nc_u64 s[4:5], s[16:17], s[4:5]
	s_lshl_b64 s[16:17], s[24:25], 3
	s_cmp_eq_u64 s[22:23], s[6:7]
	s_add_nc_u64 s[4:5], s[4:5], s[16:17]
	s_add_nc_u64 s[4:5], s[4:5], -8
	s_load_b64 s[4:5], s[4:5], 0x0
	s_cbranch_scc1 .LBB311_16
; %bb.10:
	v_cmp_lt_i64_e64 s7, s[12:13], 1
	v_mov_b64_e32 v[8:9], 0
	v_cmp_gt_i64_e64 s3, s[12:13], 0
	v_lshlrev_b32_e32 v12, 3, v0
	s_and_b32 vcc_lo, exec_lo, s7
	ds_store_b64 v12, v[4:5]
	s_cbranch_vccnz .LBB311_18
; %bb.11:
	v_mad_nc_u64_u32 v[6:7], v4, s12, s[14:15]
	v_mad_nc_u64_u32 v[10:11], v2, s12, s[14:15]
	s_mov_b32 s7, 0
	s_mov_b64 s[16:17], s[12:13]
                                        ; implicit-def: $sgpr18
	s_delay_alu instid0(VALU_DEP_2) | instskip(NEXT) | instid1(VALU_DEP_2)
	v_mad_u32 v7, v5, s12, v7
	v_mad_u32 v8, v3, s12, v11
	s_delay_alu instid0(VALU_DEP_2) | instskip(NEXT) | instid1(VALU_DEP_2)
	v_mad_u32 v7, v4, s13, v7
	v_mad_u32 v11, v2, s13, v8
	s_branch .LBB311_13
.LBB311_12:                             ;   in Loop: Header=BB311_13 Depth=1
	s_or_b32 exec_lo, exec_lo, s19
	s_delay_alu instid0(SALU_CYCLE_1) | instskip(NEXT) | instid1(SALU_CYCLE_1)
	s_and_b32 s19, exec_lo, s18
	s_or_b32 s7, s19, s7
	s_delay_alu instid0(SALU_CYCLE_1)
	s_and_not1_b32 exec_lo, exec_lo, s7
	s_cbranch_execz .LBB311_17
.LBB311_13:                             ; =>This Inner Loop Header: Depth=1
	global_load_u8 v13, v[6:7], off
	global_load_u8 v14, v[10:11], off
	v_mov_b64_e32 v[8:9], 1
	s_or_b32 s18, s18, exec_lo
	s_mov_b32 s19, exec_lo
	s_wait_loadcnt 0x0
	v_cmpx_eq_u16_e64 v13, v14
	s_cbranch_execz .LBB311_12
; %bb.14:                               ;   in Loop: Header=BB311_13 Depth=1
	s_add_nc_u64 s[16:17], s[16:17], -1
	v_add_nc_u64_e32 v[6:7], 1, v[6:7]
	s_cmp_eq_u64 s[16:17], 0
	v_add_nc_u64_e32 v[10:11], 1, v[10:11]
	v_mov_b64_e32 v[8:9], 0
	s_cselect_b32 s23, -1, 0
	s_and_not1_b32 s18, s18, exec_lo
	s_and_b32 s23, s23, exec_lo
	s_delay_alu instid0(SALU_CYCLE_1)
	s_or_b32 s18, s18, s23
	s_branch .LBB311_12
.LBB311_15:
                                        ; implicit-def: $vgpr8_vgpr9
                                        ; implicit-def: $vgpr6_vgpr7
	s_branch .LBB311_47
.LBB311_16:
                                        ; implicit-def: $vgpr8_vgpr9
                                        ; implicit-def: $vgpr6_vgpr7
	s_cbranch_execnz .LBB311_27
	s_branch .LBB311_46
.LBB311_17:
	s_or_b32 exec_lo, exec_lo, s7
.LBB311_18:
	s_wait_kmcnt 0x0
	v_mov_b64_e32 v[6:7], s[4:5]
	s_mov_b32 s7, exec_lo
	s_wait_dscnt 0x0
	s_barrier_signal -1
	s_barrier_wait -1
	v_cmpx_ne_u32_e32 0, v0
; %bb.19:
	v_add_nc_u32_e32 v6, -8, v12
	ds_load_b64 v[6:7], v6
; %bb.20:
	s_or_b32 exec_lo, exec_lo, s7
	s_delay_alu instid0(SALU_CYCLE_1)
	s_and_not1_b32 vcc_lo, exec_lo, s3
	s_cbranch_vccnz .LBB311_26
; %bb.21:
	v_mad_nc_u64_u32 v[10:11], v2, s12, s[14:15]
	s_wait_dscnt 0x0
	v_mad_nc_u64_u32 v[12:13], v6, s12, s[14:15]
	s_mov_b32 s3, 0
	s_mov_b64 s[16:17], s[12:13]
                                        ; implicit-def: $sgpr7
	s_delay_alu instid0(VALU_DEP_2) | instskip(NEXT) | instid1(VALU_DEP_2)
	v_mad_u32 v11, v3, s12, v11
	v_mad_u32 v7, v7, s12, v13
	s_delay_alu instid0(VALU_DEP_2) | instskip(NEXT) | instid1(VALU_DEP_2)
	v_mad_u32 v11, v2, s13, v11
	v_mad_u32 v13, v6, s13, v7
	s_branch .LBB311_23
.LBB311_22:                             ;   in Loop: Header=BB311_23 Depth=1
	s_or_b32 exec_lo, exec_lo, s18
	s_delay_alu instid0(SALU_CYCLE_1) | instskip(NEXT) | instid1(SALU_CYCLE_1)
	s_and_b32 s18, exec_lo, s7
	s_or_b32 s3, s18, s3
	s_delay_alu instid0(SALU_CYCLE_1)
	s_and_not1_b32 exec_lo, exec_lo, s3
	s_cbranch_execz .LBB311_25
.LBB311_23:                             ; =>This Inner Loop Header: Depth=1
	global_load_u8 v14, v[10:11], off
	global_load_u8 v15, v[12:13], off
	v_mov_b64_e32 v[6:7], 1
	s_or_b32 s7, s7, exec_lo
	s_mov_b32 s18, exec_lo
	s_wait_loadcnt 0x0
	v_cmpx_eq_u16_e64 v14, v15
	s_cbranch_execz .LBB311_22
; %bb.24:                               ;   in Loop: Header=BB311_23 Depth=1
	s_add_nc_u64 s[16:17], s[16:17], -1
	v_add_nc_u64_e32 v[10:11], 1, v[10:11]
	s_cmp_eq_u64 s[16:17], 0
	v_add_nc_u64_e32 v[12:13], 1, v[12:13]
	v_mov_b64_e32 v[6:7], 0
	s_cselect_b32 s19, -1, 0
	s_and_not1_b32 s7, s7, exec_lo
	s_and_b32 s19, s19, exec_lo
	s_delay_alu instid0(SALU_CYCLE_1)
	s_or_b32 s7, s7, s19
	s_branch .LBB311_22
.LBB311_25:
	s_or_b32 exec_lo, exec_lo, s3
	s_branch .LBB311_46
.LBB311_26:
	s_wait_dscnt 0x0
	v_mov_b64_e32 v[6:7], 0
	s_branch .LBB311_46
.LBB311_27:
	v_dual_lshlrev_b32 v12, 1, v0 :: v_dual_lshlrev_b32 v13, 3, v0
	v_mov_b64_e32 v[8:9], v[4:5]
	s_lshl_b32 s3, s22, 10
	s_mov_b32 s7, exec_lo
	s_delay_alu instid0(VALU_DEP_2)
	v_or_b32_e32 v10, 1, v12
	s_sub_co_i32 s3, s10, s3
	v_mov_b64_e32 v[6:7], v[2:3]
	ds_store_b64 v13, v[4:5]
	v_cmpx_gt_u32_e64 s3, v10
	s_cbranch_execz .LBB311_35
; %bb.28:
	v_cmp_lt_i64_e64 s16, s[12:13], 1
	s_and_b32 vcc_lo, exec_lo, s16
	s_cbranch_vccnz .LBB311_34
; %bb.29:
	v_mad_nc_u64_u32 v[6:7], v4, s12, s[14:15]
	v_mad_nc_u64_u32 v[10:11], v2, s12, s[14:15]
	s_mov_b32 s18, 0
	s_mov_b64 s[16:17], s[12:13]
                                        ; implicit-def: $sgpr19
	s_delay_alu instid0(VALU_DEP_2) | instskip(NEXT) | instid1(VALU_DEP_2)
	v_mad_u32 v7, v5, s12, v7
	v_mad_u32 v8, v3, s12, v11
	s_delay_alu instid0(VALU_DEP_2) | instskip(NEXT) | instid1(VALU_DEP_2)
	v_mad_u32 v7, v4, s13, v7
	v_mad_u32 v11, v2, s13, v8
	s_branch .LBB311_31
.LBB311_30:                             ;   in Loop: Header=BB311_31 Depth=1
	s_or_b32 exec_lo, exec_lo, s22
	s_delay_alu instid0(SALU_CYCLE_1) | instskip(NEXT) | instid1(SALU_CYCLE_1)
	s_and_b32 s22, exec_lo, s19
	s_or_b32 s18, s22, s18
	s_delay_alu instid0(SALU_CYCLE_1)
	s_and_not1_b32 exec_lo, exec_lo, s18
	s_cbranch_execz .LBB311_33
.LBB311_31:                             ; =>This Inner Loop Header: Depth=1
	global_load_u8 v14, v[6:7], off
	global_load_u8 v15, v[10:11], off
	v_mov_b64_e32 v[8:9], 1
	s_or_b32 s19, s19, exec_lo
	s_mov_b32 s22, exec_lo
	s_wait_loadcnt 0x0
	v_cmpx_eq_u16_e64 v14, v15
	s_cbranch_execz .LBB311_30
; %bb.32:                               ;   in Loop: Header=BB311_31 Depth=1
	s_add_nc_u64 s[16:17], s[16:17], -1
	v_add_nc_u64_e32 v[6:7], 1, v[6:7]
	s_cmp_eq_u64 s[16:17], 0
	v_add_nc_u64_e32 v[10:11], 1, v[10:11]
	s_cselect_b32 s23, -1, 0
	s_and_not1_b32 s19, s19, exec_lo
	s_and_b32 s23, s23, exec_lo
	v_mov_b64_e32 v[8:9], 0
	s_or_b32 s19, s19, s23
	s_branch .LBB311_30
.LBB311_33:
	s_or_b32 exec_lo, exec_lo, s18
	s_branch .LBB311_35
.LBB311_34:
	v_mov_b64_e32 v[8:9], 0
.LBB311_35:
	s_or_b32 exec_lo, exec_lo, s7
	s_wait_kmcnt 0x0
	v_mov_b64_e32 v[14:15], s[4:5]
	s_mov_b32 s4, exec_lo
	s_wait_dscnt 0x0
	s_barrier_signal -1
	s_barrier_wait -1
	v_cmpx_ne_u32_e32 0, v0
; %bb.36:
	v_add_nc_u32_e32 v6, -8, v13
	ds_load_b64 v[14:15], v6
; %bb.37:
	s_or_b32 exec_lo, exec_lo, s4
	v_mov_b64_e32 v[6:7], v[2:3]
	v_cmp_gt_u32_e32 vcc_lo, s3, v12
	s_and_saveexec_b32 s3, vcc_lo
	s_cbranch_execz .LBB311_45
; %bb.38:
	v_cmp_lt_i64_e64 s4, s[12:13], 1
	s_and_b32 vcc_lo, exec_lo, s4
	s_cbranch_vccnz .LBB311_44
; %bb.39:
	v_mad_nc_u64_u32 v[10:11], v2, s12, s[14:15]
	s_wait_dscnt 0x0
	v_mad_nc_u64_u32 v[12:13], v14, s12, s[14:15]
	s_mov_b32 s7, 0
	s_mov_b64 s[4:5], s[12:13]
                                        ; implicit-def: $sgpr16
	s_delay_alu instid0(VALU_DEP_2) | instskip(NEXT) | instid1(VALU_DEP_2)
	v_mad_u32 v6, v3, s12, v11
	v_mad_u32 v7, v15, s12, v13
	s_delay_alu instid0(VALU_DEP_2) | instskip(NEXT) | instid1(VALU_DEP_2)
	v_mad_u32 v11, v2, s13, v6
	v_mad_u32 v13, v14, s13, v7
	s_branch .LBB311_41
.LBB311_40:                             ;   in Loop: Header=BB311_41 Depth=1
	s_or_b32 exec_lo, exec_lo, s17
	s_delay_alu instid0(SALU_CYCLE_1) | instskip(NEXT) | instid1(SALU_CYCLE_1)
	s_and_b32 s17, exec_lo, s16
	s_or_b32 s7, s17, s7
	s_delay_alu instid0(SALU_CYCLE_1)
	s_and_not1_b32 exec_lo, exec_lo, s7
	s_cbranch_execz .LBB311_43
.LBB311_41:                             ; =>This Inner Loop Header: Depth=1
	global_load_u8 v14, v[10:11], off
	global_load_u8 v15, v[12:13], off
	v_mov_b64_e32 v[6:7], 1
	s_or_b32 s16, s16, exec_lo
	s_mov_b32 s17, exec_lo
	s_wait_loadcnt 0x0
	v_cmpx_eq_u16_e64 v14, v15
	s_cbranch_execz .LBB311_40
; %bb.42:                               ;   in Loop: Header=BB311_41 Depth=1
	s_add_nc_u64 s[4:5], s[4:5], -1
	v_add_nc_u64_e32 v[10:11], 1, v[10:11]
	s_cmp_eq_u64 s[4:5], 0
	v_add_nc_u64_e32 v[12:13], 1, v[12:13]
	v_mov_b64_e32 v[6:7], 0
	s_cselect_b32 s18, -1, 0
	s_and_not1_b32 s16, s16, exec_lo
	s_and_b32 s18, s18, exec_lo
	s_delay_alu instid0(SALU_CYCLE_1)
	s_or_b32 s16, s16, s18
	s_branch .LBB311_40
.LBB311_43:
	s_or_b32 exec_lo, exec_lo, s7
	s_branch .LBB311_45
.LBB311_44:
	v_mov_b64_e32 v[6:7], 0
.LBB311_45:
	s_or_b32 exec_lo, exec_lo, s3
.LBB311_46:
	s_cbranch_execnz .LBB311_81
.LBB311_47:
	s_cmp_eq_u64 s[0:1], 1
	s_cbranch_scc1 .LBB311_53
; %bb.48:
	v_cmp_lt_i64_e64 s0, s[12:13], 1
	v_mov_b64_e32 v[8:9], 0
	s_wait_kmcnt 0x0
	v_cmp_gt_i64_e64 s4, s[12:13], 0
	v_lshlrev_b32_e32 v12, 3, v0
	s_and_b32 vcc_lo, exec_lo, s0
	ds_store_b64 v12, v[4:5]
	s_cbranch_vccnz .LBB311_55
; %bb.49:
	v_mad_nc_u64_u32 v[6:7], v4, s12, s[14:15]
	v_mad_nc_u64_u32 v[10:11], v2, s12, s[14:15]
	s_mov_b32 s3, 0
	s_mov_b64 s[0:1], s[12:13]
                                        ; implicit-def: $sgpr5
	s_delay_alu instid0(VALU_DEP_2) | instskip(NEXT) | instid1(VALU_DEP_2)
	v_mad_u32 v7, v5, s12, v7
	v_mad_u32 v8, v3, s12, v11
	s_delay_alu instid0(VALU_DEP_2) | instskip(NEXT) | instid1(VALU_DEP_2)
	v_mad_u32 v7, v4, s13, v7
	v_mad_u32 v11, v2, s13, v8
	s_branch .LBB311_51
.LBB311_50:                             ;   in Loop: Header=BB311_51 Depth=1
	s_or_b32 exec_lo, exec_lo, s7
	s_delay_alu instid0(SALU_CYCLE_1) | instskip(NEXT) | instid1(SALU_CYCLE_1)
	s_and_b32 s7, exec_lo, s5
	s_or_b32 s3, s7, s3
	s_delay_alu instid0(SALU_CYCLE_1)
	s_and_not1_b32 exec_lo, exec_lo, s3
	s_cbranch_execz .LBB311_54
.LBB311_51:                             ; =>This Inner Loop Header: Depth=1
	global_load_u8 v13, v[6:7], off
	s_wait_dscnt 0x1
	global_load_u8 v14, v[10:11], off
	v_mov_b64_e32 v[8:9], 1
	s_or_b32 s5, s5, exec_lo
	s_mov_b32 s7, exec_lo
	s_wait_loadcnt 0x0
	v_cmpx_eq_u16_e64 v13, v14
	s_cbranch_execz .LBB311_50
; %bb.52:                               ;   in Loop: Header=BB311_51 Depth=1
	s_add_nc_u64 s[0:1], s[0:1], -1
	v_add_nc_u64_e32 v[6:7], 1, v[6:7]
	s_cmp_eq_u64 s[0:1], 0
	v_add_nc_u64_e32 v[10:11], 1, v[10:11]
	v_mov_b64_e32 v[8:9], 0
	s_cselect_b32 s16, -1, 0
	s_and_not1_b32 s5, s5, exec_lo
	s_and_b32 s16, s16, exec_lo
	s_delay_alu instid0(SALU_CYCLE_1)
	s_or_b32 s5, s5, s16
	s_branch .LBB311_50
.LBB311_53:
                                        ; implicit-def: $vgpr8_vgpr9
                                        ; implicit-def: $vgpr6_vgpr7
	s_cbranch_execnz .LBB311_63
	s_branch .LBB311_81
.LBB311_54:
	s_or_b32 exec_lo, exec_lo, s3
.LBB311_55:
	v_mov_b64_e32 v[6:7], v[2:3]
	s_mov_b32 s3, 0
	s_mov_b32 s5, exec_lo
	s_wait_dscnt 0x0
	s_barrier_signal -1
	s_barrier_wait -1
	v_cmpx_ne_u32_e32 0, v0
	s_cbranch_execz .LBB311_62
; %bb.56:
	s_and_not1_b32 vcc_lo, exec_lo, s4
	s_cbranch_vccnz .LBB311_70
; %bb.57:
	v_add_nc_u32_e32 v6, -8, v12
	v_mad_nc_u64_u32 v[10:11], v2, s12, s[14:15]
	s_mov_b32 s4, 0
	s_mov_b64 s[0:1], s[12:13]
                                        ; implicit-def: $sgpr7
	ds_load_b64 v[6:7], v6
	v_mad_u32 v11, v3, s12, v11
	s_delay_alu instid0(VALU_DEP_1) | instskip(SKIP_2) | instid1(VALU_DEP_1)
	v_mad_u32 v11, v2, s13, v11
	s_wait_dscnt 0x0
	v_mad_nc_u64_u32 v[12:13], v6, s12, s[14:15]
	v_mad_u32 v7, v7, s12, v13
	s_delay_alu instid0(VALU_DEP_1)
	v_mad_u32 v13, v6, s13, v7
	s_branch .LBB311_59
.LBB311_58:                             ;   in Loop: Header=BB311_59 Depth=1
	s_or_b32 exec_lo, exec_lo, s16
	s_delay_alu instid0(SALU_CYCLE_1) | instskip(NEXT) | instid1(SALU_CYCLE_1)
	s_and_b32 s16, exec_lo, s7
	s_or_b32 s4, s16, s4
	s_delay_alu instid0(SALU_CYCLE_1)
	s_and_not1_b32 exec_lo, exec_lo, s4
	s_cbranch_execz .LBB311_61
.LBB311_59:                             ; =>This Inner Loop Header: Depth=1
	global_load_u8 v14, v[10:11], off
	global_load_u8 v15, v[12:13], off
	v_mov_b64_e32 v[6:7], 1
	s_or_b32 s7, s7, exec_lo
	s_mov_b32 s16, exec_lo
	s_wait_loadcnt 0x0
	v_cmpx_eq_u16_e64 v14, v15
	s_cbranch_execz .LBB311_58
; %bb.60:                               ;   in Loop: Header=BB311_59 Depth=1
	s_add_nc_u64 s[0:1], s[0:1], -1
	v_add_nc_u64_e32 v[10:11], 1, v[10:11]
	s_cmp_eq_u64 s[0:1], 0
	v_add_nc_u64_e32 v[12:13], 1, v[12:13]
	v_mov_b64_e32 v[6:7], 0
	s_cselect_b32 s17, -1, 0
	s_and_not1_b32 s7, s7, exec_lo
	s_and_b32 s17, s17, exec_lo
	s_delay_alu instid0(SALU_CYCLE_1)
	s_or_b32 s7, s7, s17
	s_branch .LBB311_58
.LBB311_61:
	s_or_b32 exec_lo, exec_lo, s4
.LBB311_62:
	s_delay_alu instid0(SALU_CYCLE_1) | instskip(NEXT) | instid1(SALU_CYCLE_1)
	s_or_b32 exec_lo, exec_lo, s5
	s_and_b32 vcc_lo, exec_lo, s3
	s_cbranch_vccz .LBB311_81
.LBB311_63:
	v_dual_lshlrev_b32 v13, 1, v0 :: v_dual_lshlrev_b32 v12, 3, v0
	v_mov_b64_e32 v[8:9], v[4:5]
	s_mov_b32 s3, exec_lo
	v_mov_b64_e32 v[6:7], v[2:3]
	s_delay_alu instid0(VALU_DEP_3)
	v_or_b32_e32 v10, 1, v13
	ds_store_b64 v12, v[4:5]
	v_cmpx_gt_u32_e64 s10, v10
	s_cbranch_execz .LBB311_72
; %bb.64:
	v_cmp_lt_i64_e64 s0, s[12:13], 1
	s_and_b32 vcc_lo, exec_lo, s0
	s_cbranch_vccnz .LBB311_71
; %bb.65:
	v_mad_nc_u64_u32 v[6:7], v4, s12, s[14:15]
	v_mad_nc_u64_u32 v[10:11], v2, s12, s[14:15]
	s_wait_kmcnt 0x0
	s_mov_b32 s4, 0
	s_mov_b64 s[0:1], s[12:13]
                                        ; implicit-def: $sgpr5
	s_delay_alu instid0(VALU_DEP_2) | instskip(NEXT) | instid1(VALU_DEP_2)
	v_mad_u32 v5, v5, s12, v7
	v_mad_u32 v8, v3, s12, v11
	s_delay_alu instid0(VALU_DEP_2) | instskip(NEXT) | instid1(VALU_DEP_2)
	v_mad_u32 v7, v4, s13, v5
	v_mad_u32 v11, v2, s13, v8
	s_branch .LBB311_67
.LBB311_66:                             ;   in Loop: Header=BB311_67 Depth=1
	s_or_b32 exec_lo, exec_lo, s7
	s_delay_alu instid0(SALU_CYCLE_1) | instskip(NEXT) | instid1(SALU_CYCLE_1)
	s_and_b32 s7, exec_lo, s5
	s_or_b32 s4, s7, s4
	s_delay_alu instid0(SALU_CYCLE_1)
	s_and_not1_b32 exec_lo, exec_lo, s4
	s_cbranch_execz .LBB311_69
.LBB311_67:                             ; =>This Inner Loop Header: Depth=1
	global_load_u8 v4, v[6:7], off
	global_load_u8 v5, v[10:11], off
	v_mov_b64_e32 v[8:9], 1
	s_or_b32 s5, s5, exec_lo
	s_mov_b32 s7, exec_lo
	s_wait_loadcnt 0x0
	v_cmpx_eq_u16_e64 v4, v5
	s_cbranch_execz .LBB311_66
; %bb.68:                               ;   in Loop: Header=BB311_67 Depth=1
	s_add_nc_u64 s[0:1], s[0:1], -1
	v_add_nc_u64_e32 v[6:7], 1, v[6:7]
	s_cmp_eq_u64 s[0:1], 0
	v_add_nc_u64_e32 v[10:11], 1, v[10:11]
	s_cselect_b32 s16, -1, 0
	s_and_not1_b32 s5, s5, exec_lo
	s_and_b32 s16, s16, exec_lo
	v_mov_b64_e32 v[8:9], 0
	s_or_b32 s5, s5, s16
	s_branch .LBB311_66
.LBB311_69:
	s_or_b32 exec_lo, exec_lo, s4
	s_branch .LBB311_72
.LBB311_70:
	v_mov_b64_e32 v[6:7], 0
	s_or_b32 exec_lo, exec_lo, s5
	s_delay_alu instid0(SALU_CYCLE_1)
	s_and_b32 vcc_lo, exec_lo, s3
	s_cbranch_vccnz .LBB311_63
	s_branch .LBB311_81
.LBB311_71:
	v_mov_b64_e32 v[8:9], 0
.LBB311_72:
	s_or_b32 exec_lo, exec_lo, s3
	v_cmp_ne_u32_e32 vcc_lo, 0, v0
	v_cmp_gt_u32_e64 s0, s10, v13
	s_wait_dscnt 0x0
	s_barrier_signal -1
	s_barrier_wait -1
	s_and_b32 s1, vcc_lo, s0
	s_delay_alu instid0(SALU_CYCLE_1)
	s_and_saveexec_b32 s0, s1
	s_cbranch_execz .LBB311_80
; %bb.73:
	v_cmp_lt_i64_e64 s1, s[12:13], 1
	s_and_b32 vcc_lo, exec_lo, s1
	s_cbranch_vccnz .LBB311_79
; %bb.74:
	v_add_nc_u32_e32 v4, -8, v12
	s_mov_b32 s1, 0
                                        ; implicit-def: $sgpr3
	ds_load_b64 v[10:11], v4
	v_mad_nc_u64_u32 v[4:5], v2, s12, s[14:15]
	s_delay_alu instid0(VALU_DEP_1) | instskip(SKIP_2) | instid1(VALU_DEP_2)
	v_mad_u32 v3, v3, s12, v5
	s_wait_dscnt 0x0
	v_mad_nc_u64_u32 v[6:7], v10, s12, s[14:15]
	v_mad_u32 v5, v2, s13, v3
	s_delay_alu instid0(VALU_DEP_2) | instskip(NEXT) | instid1(VALU_DEP_1)
	v_mad_u32 v7, v11, s12, v7
	v_mad_u32 v7, v10, s13, v7
	s_branch .LBB311_76
.LBB311_75:                             ;   in Loop: Header=BB311_76 Depth=1
	s_or_b32 exec_lo, exec_lo, s4
	s_delay_alu instid0(SALU_CYCLE_1) | instskip(NEXT) | instid1(SALU_CYCLE_1)
	s_and_b32 s4, exec_lo, s3
	s_or_b32 s1, s4, s1
	s_delay_alu instid0(SALU_CYCLE_1)
	s_and_not1_b32 exec_lo, exec_lo, s1
	s_cbranch_execz .LBB311_78
.LBB311_76:                             ; =>This Inner Loop Header: Depth=1
	global_load_u8 v10, v[4:5], off
	global_load_u8 v11, v[6:7], off
	v_mov_b64_e32 v[2:3], 1
	s_or_b32 s3, s3, exec_lo
	s_wait_kmcnt 0x0
	s_mov_b32 s4, exec_lo
	s_wait_loadcnt 0x0
	v_cmpx_eq_u16_e64 v10, v11
	s_cbranch_execz .LBB311_75
; %bb.77:                               ;   in Loop: Header=BB311_76 Depth=1
	s_add_nc_u64 s[12:13], s[12:13], -1
	v_add_nc_u64_e32 v[4:5], 1, v[4:5]
	s_cmp_eq_u64 s[12:13], 0
	v_add_nc_u64_e32 v[6:7], 1, v[6:7]
	v_mov_b64_e32 v[2:3], 0
	s_cselect_b32 s5, -1, 0
	s_and_not1_b32 s3, s3, exec_lo
	s_and_b32 s5, s5, exec_lo
	s_delay_alu instid0(SALU_CYCLE_1)
	s_or_b32 s3, s3, s5
	s_branch .LBB311_75
.LBB311_78:
	s_or_b32 exec_lo, exec_lo, s1
	s_branch .LBB311_80
.LBB311_79:
	v_mov_b64_e32 v[2:3], 0
.LBB311_80:
	s_or_b32 exec_lo, exec_lo, s0
	s_delay_alu instid0(VALU_DEP_1)
	v_mov_b64_e32 v[6:7], v[2:3]
.LBB311_81:
	s_add_nc_u64 s[0:1], s[8:9], s[20:21]
	s_and_b32 vcc_lo, exec_lo, s11
	s_wait_dscnt 0x0
	s_barrier_signal -1
	s_barrier_wait -1
	s_cbranch_vccz .LBB311_85
; %bb.82:
	v_or_b32_e32 v10, 0x200, v0
	ds_store_2addr_b64 v1, v[6:7], v[8:9] offset1:1
	s_wait_dscnt 0x0
	s_barrier_signal -1
	s_barrier_wait -1
	v_dual_lshrrev_b32 v2, 2, v10 :: v_dual_lshlrev_b32 v4, 3, v0
	s_mov_b32 s3, 0
	s_lshl_b32 s8, s6, 10
	s_delay_alu instid0(VALU_DEP_1)
	v_and_b32_e32 v2, 0xf8, v2
	s_wait_kmcnt 0x0
	s_lshl_b64 s[4:5], s[2:3], 3
	v_mov_b32_e32 v5, 0
	s_add_nc_u64 s[6:7], s[0:1], s[4:5]
	s_sub_co_i32 s4, s10, s8
	v_add_nc_u32_e32 v2, v2, v4
	s_mov_b32 s5, exec_lo
	v_add_nc_u64_e32 v[4:5], s[6:7], v[4:5]
	ds_load_b64 v[2:3], v2 offset:4096
	v_cmpx_gt_u32_e64 s4, v0
	s_cbranch_execz .LBB311_84
; %bb.83:
	v_lshrrev_b32_e32 v11, 2, v0
	s_delay_alu instid0(VALU_DEP_1) | instskip(NEXT) | instid1(VALU_DEP_1)
	v_and_b32_e32 v11, 0x78, v11
	v_lshl_add_u32 v11, v0, 3, v11
	ds_load_b64 v[12:13], v11
	s_wait_dscnt 0x0
	global_store_b64 v[4:5], v[12:13], off
.LBB311_84:
	s_wait_xcnt 0x0
	s_or_b32 exec_lo, exec_lo, s5
	v_cmp_gt_u32_e64 s4, s4, v10
	s_and_b32 vcc_lo, exec_lo, s3
	s_cbranch_vccnz .LBB311_86
	s_branch .LBB311_87
.LBB311_85:
	s_wait_kmcnt 0x0
	s_mov_b32 s4, 0
                                        ; implicit-def: $vgpr2_vgpr3
                                        ; implicit-def: $vgpr4_vgpr5
	s_cbranch_execz .LBB311_87
.LBB311_86:
	s_wait_dscnt 0x0
	v_or_b32_e32 v2, 0x200, v0
	v_dual_lshrrev_b32 v3, 2, v0 :: v_dual_lshlrev_b32 v4, 3, v0
	v_mov_b32_e32 v5, 0
	ds_store_2addr_b64 v1, v[6:7], v[8:9] offset1:1
	v_lshrrev_b32_e32 v2, 2, v2
	v_and_b32_e32 v3, 0x78, v3
	s_wait_storecnt_dscnt 0x0
	s_barrier_signal -1
	s_barrier_wait -1
	v_and_b32_e32 v2, 0xf8, v2
	v_add_nc_u32_e32 v1, v3, v4
	s_mov_b32 s3, 0
	s_or_b32 s4, s4, exec_lo
	s_delay_alu instid0(VALU_DEP_2) | instskip(SKIP_4) | instid1(SALU_CYCLE_1)
	v_add_nc_u32_e32 v2, v2, v4
	s_lshl_b64 s[2:3], s[2:3], 3
	ds_load_b64 v[6:7], v1
	ds_load_b64 v[2:3], v2 offset:4096
	s_add_nc_u64 s[0:1], s[0:1], s[2:3]
	v_add_nc_u64_e32 v[4:5], s[0:1], v[4:5]
	s_wait_dscnt 0x1
	global_store_b64 v0, v[6:7], s[0:1] scale_offset
.LBB311_87:
	s_wait_xcnt 0x0
	s_and_saveexec_b32 s0, s4
	s_cbranch_execnz .LBB311_89
; %bb.88:
	s_endpgm
.LBB311_89:
	s_wait_dscnt 0x0
	global_store_b64 v[4:5], v[2:3], off offset:4096
	s_endpgm
	.section	.rodata,"a",@progbits
	.p2align	6, 0x0
	.amdhsa_kernel _ZN7rocprim17ROCPRIM_400000_NS6detail17trampoline_kernelINS0_14default_configENS1_35adjacent_difference_config_selectorILb1ElEEZNS1_24adjacent_difference_implIS3_Lb1ELb0EPlS7_ZN2at6native12_GLOBAL__N_124unique_dim_cuda_templateIaEESt5tupleIJNS8_6TensorESD_SD_EERKSD_lbbbEUlllE1_EE10hipError_tPvRmT2_T3_mT4_P12ihipStream_tbEUlT_E_NS1_11comp_targetILNS1_3genE0ELNS1_11target_archE4294967295ELNS1_3gpuE0ELNS1_3repE0EEENS1_30default_config_static_selectorELNS0_4arch9wavefront6targetE0EEEvT1_
		.amdhsa_group_segment_fixed_size 8448
		.amdhsa_private_segment_fixed_size 0
		.amdhsa_kernarg_size 64
		.amdhsa_user_sgpr_count 2
		.amdhsa_user_sgpr_dispatch_ptr 0
		.amdhsa_user_sgpr_queue_ptr 0
		.amdhsa_user_sgpr_kernarg_segment_ptr 1
		.amdhsa_user_sgpr_dispatch_id 0
		.amdhsa_user_sgpr_kernarg_preload_length 0
		.amdhsa_user_sgpr_kernarg_preload_offset 0
		.amdhsa_user_sgpr_private_segment_size 0
		.amdhsa_wavefront_size32 1
		.amdhsa_uses_dynamic_stack 0
		.amdhsa_enable_private_segment 0
		.amdhsa_system_sgpr_workgroup_id_x 1
		.amdhsa_system_sgpr_workgroup_id_y 0
		.amdhsa_system_sgpr_workgroup_id_z 0
		.amdhsa_system_sgpr_workgroup_info 0
		.amdhsa_system_vgpr_workitem_id 0
		.amdhsa_next_free_vgpr 16
		.amdhsa_next_free_sgpr 29
		.amdhsa_named_barrier_count 0
		.amdhsa_reserve_vcc 1
		.amdhsa_float_round_mode_32 0
		.amdhsa_float_round_mode_16_64 0
		.amdhsa_float_denorm_mode_32 3
		.amdhsa_float_denorm_mode_16_64 3
		.amdhsa_fp16_overflow 0
		.amdhsa_memory_ordered 1
		.amdhsa_forward_progress 1
		.amdhsa_inst_pref_size 25
		.amdhsa_round_robin_scheduling 0
		.amdhsa_exception_fp_ieee_invalid_op 0
		.amdhsa_exception_fp_denorm_src 0
		.amdhsa_exception_fp_ieee_div_zero 0
		.amdhsa_exception_fp_ieee_overflow 0
		.amdhsa_exception_fp_ieee_underflow 0
		.amdhsa_exception_fp_ieee_inexact 0
		.amdhsa_exception_int_div_zero 0
	.end_amdhsa_kernel
	.section	.text._ZN7rocprim17ROCPRIM_400000_NS6detail17trampoline_kernelINS0_14default_configENS1_35adjacent_difference_config_selectorILb1ElEEZNS1_24adjacent_difference_implIS3_Lb1ELb0EPlS7_ZN2at6native12_GLOBAL__N_124unique_dim_cuda_templateIaEESt5tupleIJNS8_6TensorESD_SD_EERKSD_lbbbEUlllE1_EE10hipError_tPvRmT2_T3_mT4_P12ihipStream_tbEUlT_E_NS1_11comp_targetILNS1_3genE0ELNS1_11target_archE4294967295ELNS1_3gpuE0ELNS1_3repE0EEENS1_30default_config_static_selectorELNS0_4arch9wavefront6targetE0EEEvT1_,"axG",@progbits,_ZN7rocprim17ROCPRIM_400000_NS6detail17trampoline_kernelINS0_14default_configENS1_35adjacent_difference_config_selectorILb1ElEEZNS1_24adjacent_difference_implIS3_Lb1ELb0EPlS7_ZN2at6native12_GLOBAL__N_124unique_dim_cuda_templateIaEESt5tupleIJNS8_6TensorESD_SD_EERKSD_lbbbEUlllE1_EE10hipError_tPvRmT2_T3_mT4_P12ihipStream_tbEUlT_E_NS1_11comp_targetILNS1_3genE0ELNS1_11target_archE4294967295ELNS1_3gpuE0ELNS1_3repE0EEENS1_30default_config_static_selectorELNS0_4arch9wavefront6targetE0EEEvT1_,comdat
.Lfunc_end311:
	.size	_ZN7rocprim17ROCPRIM_400000_NS6detail17trampoline_kernelINS0_14default_configENS1_35adjacent_difference_config_selectorILb1ElEEZNS1_24adjacent_difference_implIS3_Lb1ELb0EPlS7_ZN2at6native12_GLOBAL__N_124unique_dim_cuda_templateIaEESt5tupleIJNS8_6TensorESD_SD_EERKSD_lbbbEUlllE1_EE10hipError_tPvRmT2_T3_mT4_P12ihipStream_tbEUlT_E_NS1_11comp_targetILNS1_3genE0ELNS1_11target_archE4294967295ELNS1_3gpuE0ELNS1_3repE0EEENS1_30default_config_static_selectorELNS0_4arch9wavefront6targetE0EEEvT1_, .Lfunc_end311-_ZN7rocprim17ROCPRIM_400000_NS6detail17trampoline_kernelINS0_14default_configENS1_35adjacent_difference_config_selectorILb1ElEEZNS1_24adjacent_difference_implIS3_Lb1ELb0EPlS7_ZN2at6native12_GLOBAL__N_124unique_dim_cuda_templateIaEESt5tupleIJNS8_6TensorESD_SD_EERKSD_lbbbEUlllE1_EE10hipError_tPvRmT2_T3_mT4_P12ihipStream_tbEUlT_E_NS1_11comp_targetILNS1_3genE0ELNS1_11target_archE4294967295ELNS1_3gpuE0ELNS1_3repE0EEENS1_30default_config_static_selectorELNS0_4arch9wavefront6targetE0EEEvT1_
                                        ; -- End function
	.set _ZN7rocprim17ROCPRIM_400000_NS6detail17trampoline_kernelINS0_14default_configENS1_35adjacent_difference_config_selectorILb1ElEEZNS1_24adjacent_difference_implIS3_Lb1ELb0EPlS7_ZN2at6native12_GLOBAL__N_124unique_dim_cuda_templateIaEESt5tupleIJNS8_6TensorESD_SD_EERKSD_lbbbEUlllE1_EE10hipError_tPvRmT2_T3_mT4_P12ihipStream_tbEUlT_E_NS1_11comp_targetILNS1_3genE0ELNS1_11target_archE4294967295ELNS1_3gpuE0ELNS1_3repE0EEENS1_30default_config_static_selectorELNS0_4arch9wavefront6targetE0EEEvT1_.num_vgpr, 16
	.set _ZN7rocprim17ROCPRIM_400000_NS6detail17trampoline_kernelINS0_14default_configENS1_35adjacent_difference_config_selectorILb1ElEEZNS1_24adjacent_difference_implIS3_Lb1ELb0EPlS7_ZN2at6native12_GLOBAL__N_124unique_dim_cuda_templateIaEESt5tupleIJNS8_6TensorESD_SD_EERKSD_lbbbEUlllE1_EE10hipError_tPvRmT2_T3_mT4_P12ihipStream_tbEUlT_E_NS1_11comp_targetILNS1_3genE0ELNS1_11target_archE4294967295ELNS1_3gpuE0ELNS1_3repE0EEENS1_30default_config_static_selectorELNS0_4arch9wavefront6targetE0EEEvT1_.num_agpr, 0
	.set _ZN7rocprim17ROCPRIM_400000_NS6detail17trampoline_kernelINS0_14default_configENS1_35adjacent_difference_config_selectorILb1ElEEZNS1_24adjacent_difference_implIS3_Lb1ELb0EPlS7_ZN2at6native12_GLOBAL__N_124unique_dim_cuda_templateIaEESt5tupleIJNS8_6TensorESD_SD_EERKSD_lbbbEUlllE1_EE10hipError_tPvRmT2_T3_mT4_P12ihipStream_tbEUlT_E_NS1_11comp_targetILNS1_3genE0ELNS1_11target_archE4294967295ELNS1_3gpuE0ELNS1_3repE0EEENS1_30default_config_static_selectorELNS0_4arch9wavefront6targetE0EEEvT1_.numbered_sgpr, 29
	.set _ZN7rocprim17ROCPRIM_400000_NS6detail17trampoline_kernelINS0_14default_configENS1_35adjacent_difference_config_selectorILb1ElEEZNS1_24adjacent_difference_implIS3_Lb1ELb0EPlS7_ZN2at6native12_GLOBAL__N_124unique_dim_cuda_templateIaEESt5tupleIJNS8_6TensorESD_SD_EERKSD_lbbbEUlllE1_EE10hipError_tPvRmT2_T3_mT4_P12ihipStream_tbEUlT_E_NS1_11comp_targetILNS1_3genE0ELNS1_11target_archE4294967295ELNS1_3gpuE0ELNS1_3repE0EEENS1_30default_config_static_selectorELNS0_4arch9wavefront6targetE0EEEvT1_.num_named_barrier, 0
	.set _ZN7rocprim17ROCPRIM_400000_NS6detail17trampoline_kernelINS0_14default_configENS1_35adjacent_difference_config_selectorILb1ElEEZNS1_24adjacent_difference_implIS3_Lb1ELb0EPlS7_ZN2at6native12_GLOBAL__N_124unique_dim_cuda_templateIaEESt5tupleIJNS8_6TensorESD_SD_EERKSD_lbbbEUlllE1_EE10hipError_tPvRmT2_T3_mT4_P12ihipStream_tbEUlT_E_NS1_11comp_targetILNS1_3genE0ELNS1_11target_archE4294967295ELNS1_3gpuE0ELNS1_3repE0EEENS1_30default_config_static_selectorELNS0_4arch9wavefront6targetE0EEEvT1_.private_seg_size, 0
	.set _ZN7rocprim17ROCPRIM_400000_NS6detail17trampoline_kernelINS0_14default_configENS1_35adjacent_difference_config_selectorILb1ElEEZNS1_24adjacent_difference_implIS3_Lb1ELb0EPlS7_ZN2at6native12_GLOBAL__N_124unique_dim_cuda_templateIaEESt5tupleIJNS8_6TensorESD_SD_EERKSD_lbbbEUlllE1_EE10hipError_tPvRmT2_T3_mT4_P12ihipStream_tbEUlT_E_NS1_11comp_targetILNS1_3genE0ELNS1_11target_archE4294967295ELNS1_3gpuE0ELNS1_3repE0EEENS1_30default_config_static_selectorELNS0_4arch9wavefront6targetE0EEEvT1_.uses_vcc, 1
	.set _ZN7rocprim17ROCPRIM_400000_NS6detail17trampoline_kernelINS0_14default_configENS1_35adjacent_difference_config_selectorILb1ElEEZNS1_24adjacent_difference_implIS3_Lb1ELb0EPlS7_ZN2at6native12_GLOBAL__N_124unique_dim_cuda_templateIaEESt5tupleIJNS8_6TensorESD_SD_EERKSD_lbbbEUlllE1_EE10hipError_tPvRmT2_T3_mT4_P12ihipStream_tbEUlT_E_NS1_11comp_targetILNS1_3genE0ELNS1_11target_archE4294967295ELNS1_3gpuE0ELNS1_3repE0EEENS1_30default_config_static_selectorELNS0_4arch9wavefront6targetE0EEEvT1_.uses_flat_scratch, 0
	.set _ZN7rocprim17ROCPRIM_400000_NS6detail17trampoline_kernelINS0_14default_configENS1_35adjacent_difference_config_selectorILb1ElEEZNS1_24adjacent_difference_implIS3_Lb1ELb0EPlS7_ZN2at6native12_GLOBAL__N_124unique_dim_cuda_templateIaEESt5tupleIJNS8_6TensorESD_SD_EERKSD_lbbbEUlllE1_EE10hipError_tPvRmT2_T3_mT4_P12ihipStream_tbEUlT_E_NS1_11comp_targetILNS1_3genE0ELNS1_11target_archE4294967295ELNS1_3gpuE0ELNS1_3repE0EEENS1_30default_config_static_selectorELNS0_4arch9wavefront6targetE0EEEvT1_.has_dyn_sized_stack, 0
	.set _ZN7rocprim17ROCPRIM_400000_NS6detail17trampoline_kernelINS0_14default_configENS1_35adjacent_difference_config_selectorILb1ElEEZNS1_24adjacent_difference_implIS3_Lb1ELb0EPlS7_ZN2at6native12_GLOBAL__N_124unique_dim_cuda_templateIaEESt5tupleIJNS8_6TensorESD_SD_EERKSD_lbbbEUlllE1_EE10hipError_tPvRmT2_T3_mT4_P12ihipStream_tbEUlT_E_NS1_11comp_targetILNS1_3genE0ELNS1_11target_archE4294967295ELNS1_3gpuE0ELNS1_3repE0EEENS1_30default_config_static_selectorELNS0_4arch9wavefront6targetE0EEEvT1_.has_recursion, 0
	.set _ZN7rocprim17ROCPRIM_400000_NS6detail17trampoline_kernelINS0_14default_configENS1_35adjacent_difference_config_selectorILb1ElEEZNS1_24adjacent_difference_implIS3_Lb1ELb0EPlS7_ZN2at6native12_GLOBAL__N_124unique_dim_cuda_templateIaEESt5tupleIJNS8_6TensorESD_SD_EERKSD_lbbbEUlllE1_EE10hipError_tPvRmT2_T3_mT4_P12ihipStream_tbEUlT_E_NS1_11comp_targetILNS1_3genE0ELNS1_11target_archE4294967295ELNS1_3gpuE0ELNS1_3repE0EEENS1_30default_config_static_selectorELNS0_4arch9wavefront6targetE0EEEvT1_.has_indirect_call, 0
	.section	.AMDGPU.csdata,"",@progbits
; Kernel info:
; codeLenInByte = 3200
; TotalNumSgprs: 31
; NumVgprs: 16
; ScratchSize: 0
; MemoryBound: 0
; FloatMode: 240
; IeeeMode: 1
; LDSByteSize: 8448 bytes/workgroup (compile time only)
; SGPRBlocks: 0
; VGPRBlocks: 0
; NumSGPRsForWavesPerEU: 31
; NumVGPRsForWavesPerEU: 16
; NamedBarCnt: 0
; Occupancy: 16
; WaveLimiterHint : 1
; COMPUTE_PGM_RSRC2:SCRATCH_EN: 0
; COMPUTE_PGM_RSRC2:USER_SGPR: 2
; COMPUTE_PGM_RSRC2:TRAP_HANDLER: 0
; COMPUTE_PGM_RSRC2:TGID_X_EN: 1
; COMPUTE_PGM_RSRC2:TGID_Y_EN: 0
; COMPUTE_PGM_RSRC2:TGID_Z_EN: 0
; COMPUTE_PGM_RSRC2:TIDIG_COMP_CNT: 0
	.section	.text._ZN7rocprim17ROCPRIM_400000_NS6detail17trampoline_kernelINS0_14default_configENS1_35adjacent_difference_config_selectorILb1ElEEZNS1_24adjacent_difference_implIS3_Lb1ELb0EPlS7_ZN2at6native12_GLOBAL__N_124unique_dim_cuda_templateIaEESt5tupleIJNS8_6TensorESD_SD_EERKSD_lbbbEUlllE1_EE10hipError_tPvRmT2_T3_mT4_P12ihipStream_tbEUlT_E_NS1_11comp_targetILNS1_3genE10ELNS1_11target_archE1201ELNS1_3gpuE5ELNS1_3repE0EEENS1_30default_config_static_selectorELNS0_4arch9wavefront6targetE0EEEvT1_,"axG",@progbits,_ZN7rocprim17ROCPRIM_400000_NS6detail17trampoline_kernelINS0_14default_configENS1_35adjacent_difference_config_selectorILb1ElEEZNS1_24adjacent_difference_implIS3_Lb1ELb0EPlS7_ZN2at6native12_GLOBAL__N_124unique_dim_cuda_templateIaEESt5tupleIJNS8_6TensorESD_SD_EERKSD_lbbbEUlllE1_EE10hipError_tPvRmT2_T3_mT4_P12ihipStream_tbEUlT_E_NS1_11comp_targetILNS1_3genE10ELNS1_11target_archE1201ELNS1_3gpuE5ELNS1_3repE0EEENS1_30default_config_static_selectorELNS0_4arch9wavefront6targetE0EEEvT1_,comdat
	.globl	_ZN7rocprim17ROCPRIM_400000_NS6detail17trampoline_kernelINS0_14default_configENS1_35adjacent_difference_config_selectorILb1ElEEZNS1_24adjacent_difference_implIS3_Lb1ELb0EPlS7_ZN2at6native12_GLOBAL__N_124unique_dim_cuda_templateIaEESt5tupleIJNS8_6TensorESD_SD_EERKSD_lbbbEUlllE1_EE10hipError_tPvRmT2_T3_mT4_P12ihipStream_tbEUlT_E_NS1_11comp_targetILNS1_3genE10ELNS1_11target_archE1201ELNS1_3gpuE5ELNS1_3repE0EEENS1_30default_config_static_selectorELNS0_4arch9wavefront6targetE0EEEvT1_ ; -- Begin function _ZN7rocprim17ROCPRIM_400000_NS6detail17trampoline_kernelINS0_14default_configENS1_35adjacent_difference_config_selectorILb1ElEEZNS1_24adjacent_difference_implIS3_Lb1ELb0EPlS7_ZN2at6native12_GLOBAL__N_124unique_dim_cuda_templateIaEESt5tupleIJNS8_6TensorESD_SD_EERKSD_lbbbEUlllE1_EE10hipError_tPvRmT2_T3_mT4_P12ihipStream_tbEUlT_E_NS1_11comp_targetILNS1_3genE10ELNS1_11target_archE1201ELNS1_3gpuE5ELNS1_3repE0EEENS1_30default_config_static_selectorELNS0_4arch9wavefront6targetE0EEEvT1_
	.p2align	8
	.type	_ZN7rocprim17ROCPRIM_400000_NS6detail17trampoline_kernelINS0_14default_configENS1_35adjacent_difference_config_selectorILb1ElEEZNS1_24adjacent_difference_implIS3_Lb1ELb0EPlS7_ZN2at6native12_GLOBAL__N_124unique_dim_cuda_templateIaEESt5tupleIJNS8_6TensorESD_SD_EERKSD_lbbbEUlllE1_EE10hipError_tPvRmT2_T3_mT4_P12ihipStream_tbEUlT_E_NS1_11comp_targetILNS1_3genE10ELNS1_11target_archE1201ELNS1_3gpuE5ELNS1_3repE0EEENS1_30default_config_static_selectorELNS0_4arch9wavefront6targetE0EEEvT1_,@function
_ZN7rocprim17ROCPRIM_400000_NS6detail17trampoline_kernelINS0_14default_configENS1_35adjacent_difference_config_selectorILb1ElEEZNS1_24adjacent_difference_implIS3_Lb1ELb0EPlS7_ZN2at6native12_GLOBAL__N_124unique_dim_cuda_templateIaEESt5tupleIJNS8_6TensorESD_SD_EERKSD_lbbbEUlllE1_EE10hipError_tPvRmT2_T3_mT4_P12ihipStream_tbEUlT_E_NS1_11comp_targetILNS1_3genE10ELNS1_11target_archE1201ELNS1_3gpuE5ELNS1_3repE0EEENS1_30default_config_static_selectorELNS0_4arch9wavefront6targetE0EEEvT1_: ; @_ZN7rocprim17ROCPRIM_400000_NS6detail17trampoline_kernelINS0_14default_configENS1_35adjacent_difference_config_selectorILb1ElEEZNS1_24adjacent_difference_implIS3_Lb1ELb0EPlS7_ZN2at6native12_GLOBAL__N_124unique_dim_cuda_templateIaEESt5tupleIJNS8_6TensorESD_SD_EERKSD_lbbbEUlllE1_EE10hipError_tPvRmT2_T3_mT4_P12ihipStream_tbEUlT_E_NS1_11comp_targetILNS1_3genE10ELNS1_11target_archE1201ELNS1_3gpuE5ELNS1_3repE0EEENS1_30default_config_static_selectorELNS0_4arch9wavefront6targetE0EEEvT1_
; %bb.0:
	.section	.rodata,"a",@progbits
	.p2align	6, 0x0
	.amdhsa_kernel _ZN7rocprim17ROCPRIM_400000_NS6detail17trampoline_kernelINS0_14default_configENS1_35adjacent_difference_config_selectorILb1ElEEZNS1_24adjacent_difference_implIS3_Lb1ELb0EPlS7_ZN2at6native12_GLOBAL__N_124unique_dim_cuda_templateIaEESt5tupleIJNS8_6TensorESD_SD_EERKSD_lbbbEUlllE1_EE10hipError_tPvRmT2_T3_mT4_P12ihipStream_tbEUlT_E_NS1_11comp_targetILNS1_3genE10ELNS1_11target_archE1201ELNS1_3gpuE5ELNS1_3repE0EEENS1_30default_config_static_selectorELNS0_4arch9wavefront6targetE0EEEvT1_
		.amdhsa_group_segment_fixed_size 0
		.amdhsa_private_segment_fixed_size 0
		.amdhsa_kernarg_size 64
		.amdhsa_user_sgpr_count 2
		.amdhsa_user_sgpr_dispatch_ptr 0
		.amdhsa_user_sgpr_queue_ptr 0
		.amdhsa_user_sgpr_kernarg_segment_ptr 1
		.amdhsa_user_sgpr_dispatch_id 0
		.amdhsa_user_sgpr_kernarg_preload_length 0
		.amdhsa_user_sgpr_kernarg_preload_offset 0
		.amdhsa_user_sgpr_private_segment_size 0
		.amdhsa_wavefront_size32 1
		.amdhsa_uses_dynamic_stack 0
		.amdhsa_enable_private_segment 0
		.amdhsa_system_sgpr_workgroup_id_x 1
		.amdhsa_system_sgpr_workgroup_id_y 0
		.amdhsa_system_sgpr_workgroup_id_z 0
		.amdhsa_system_sgpr_workgroup_info 0
		.amdhsa_system_vgpr_workitem_id 0
		.amdhsa_next_free_vgpr 1
		.amdhsa_next_free_sgpr 1
		.amdhsa_named_barrier_count 0
		.amdhsa_reserve_vcc 0
		.amdhsa_float_round_mode_32 0
		.amdhsa_float_round_mode_16_64 0
		.amdhsa_float_denorm_mode_32 3
		.amdhsa_float_denorm_mode_16_64 3
		.amdhsa_fp16_overflow 0
		.amdhsa_memory_ordered 1
		.amdhsa_forward_progress 1
		.amdhsa_inst_pref_size 0
		.amdhsa_round_robin_scheduling 0
		.amdhsa_exception_fp_ieee_invalid_op 0
		.amdhsa_exception_fp_denorm_src 0
		.amdhsa_exception_fp_ieee_div_zero 0
		.amdhsa_exception_fp_ieee_overflow 0
		.amdhsa_exception_fp_ieee_underflow 0
		.amdhsa_exception_fp_ieee_inexact 0
		.amdhsa_exception_int_div_zero 0
	.end_amdhsa_kernel
	.section	.text._ZN7rocprim17ROCPRIM_400000_NS6detail17trampoline_kernelINS0_14default_configENS1_35adjacent_difference_config_selectorILb1ElEEZNS1_24adjacent_difference_implIS3_Lb1ELb0EPlS7_ZN2at6native12_GLOBAL__N_124unique_dim_cuda_templateIaEESt5tupleIJNS8_6TensorESD_SD_EERKSD_lbbbEUlllE1_EE10hipError_tPvRmT2_T3_mT4_P12ihipStream_tbEUlT_E_NS1_11comp_targetILNS1_3genE10ELNS1_11target_archE1201ELNS1_3gpuE5ELNS1_3repE0EEENS1_30default_config_static_selectorELNS0_4arch9wavefront6targetE0EEEvT1_,"axG",@progbits,_ZN7rocprim17ROCPRIM_400000_NS6detail17trampoline_kernelINS0_14default_configENS1_35adjacent_difference_config_selectorILb1ElEEZNS1_24adjacent_difference_implIS3_Lb1ELb0EPlS7_ZN2at6native12_GLOBAL__N_124unique_dim_cuda_templateIaEESt5tupleIJNS8_6TensorESD_SD_EERKSD_lbbbEUlllE1_EE10hipError_tPvRmT2_T3_mT4_P12ihipStream_tbEUlT_E_NS1_11comp_targetILNS1_3genE10ELNS1_11target_archE1201ELNS1_3gpuE5ELNS1_3repE0EEENS1_30default_config_static_selectorELNS0_4arch9wavefront6targetE0EEEvT1_,comdat
.Lfunc_end312:
	.size	_ZN7rocprim17ROCPRIM_400000_NS6detail17trampoline_kernelINS0_14default_configENS1_35adjacent_difference_config_selectorILb1ElEEZNS1_24adjacent_difference_implIS3_Lb1ELb0EPlS7_ZN2at6native12_GLOBAL__N_124unique_dim_cuda_templateIaEESt5tupleIJNS8_6TensorESD_SD_EERKSD_lbbbEUlllE1_EE10hipError_tPvRmT2_T3_mT4_P12ihipStream_tbEUlT_E_NS1_11comp_targetILNS1_3genE10ELNS1_11target_archE1201ELNS1_3gpuE5ELNS1_3repE0EEENS1_30default_config_static_selectorELNS0_4arch9wavefront6targetE0EEEvT1_, .Lfunc_end312-_ZN7rocprim17ROCPRIM_400000_NS6detail17trampoline_kernelINS0_14default_configENS1_35adjacent_difference_config_selectorILb1ElEEZNS1_24adjacent_difference_implIS3_Lb1ELb0EPlS7_ZN2at6native12_GLOBAL__N_124unique_dim_cuda_templateIaEESt5tupleIJNS8_6TensorESD_SD_EERKSD_lbbbEUlllE1_EE10hipError_tPvRmT2_T3_mT4_P12ihipStream_tbEUlT_E_NS1_11comp_targetILNS1_3genE10ELNS1_11target_archE1201ELNS1_3gpuE5ELNS1_3repE0EEENS1_30default_config_static_selectorELNS0_4arch9wavefront6targetE0EEEvT1_
                                        ; -- End function
	.set _ZN7rocprim17ROCPRIM_400000_NS6detail17trampoline_kernelINS0_14default_configENS1_35adjacent_difference_config_selectorILb1ElEEZNS1_24adjacent_difference_implIS3_Lb1ELb0EPlS7_ZN2at6native12_GLOBAL__N_124unique_dim_cuda_templateIaEESt5tupleIJNS8_6TensorESD_SD_EERKSD_lbbbEUlllE1_EE10hipError_tPvRmT2_T3_mT4_P12ihipStream_tbEUlT_E_NS1_11comp_targetILNS1_3genE10ELNS1_11target_archE1201ELNS1_3gpuE5ELNS1_3repE0EEENS1_30default_config_static_selectorELNS0_4arch9wavefront6targetE0EEEvT1_.num_vgpr, 0
	.set _ZN7rocprim17ROCPRIM_400000_NS6detail17trampoline_kernelINS0_14default_configENS1_35adjacent_difference_config_selectorILb1ElEEZNS1_24adjacent_difference_implIS3_Lb1ELb0EPlS7_ZN2at6native12_GLOBAL__N_124unique_dim_cuda_templateIaEESt5tupleIJNS8_6TensorESD_SD_EERKSD_lbbbEUlllE1_EE10hipError_tPvRmT2_T3_mT4_P12ihipStream_tbEUlT_E_NS1_11comp_targetILNS1_3genE10ELNS1_11target_archE1201ELNS1_3gpuE5ELNS1_3repE0EEENS1_30default_config_static_selectorELNS0_4arch9wavefront6targetE0EEEvT1_.num_agpr, 0
	.set _ZN7rocprim17ROCPRIM_400000_NS6detail17trampoline_kernelINS0_14default_configENS1_35adjacent_difference_config_selectorILb1ElEEZNS1_24adjacent_difference_implIS3_Lb1ELb0EPlS7_ZN2at6native12_GLOBAL__N_124unique_dim_cuda_templateIaEESt5tupleIJNS8_6TensorESD_SD_EERKSD_lbbbEUlllE1_EE10hipError_tPvRmT2_T3_mT4_P12ihipStream_tbEUlT_E_NS1_11comp_targetILNS1_3genE10ELNS1_11target_archE1201ELNS1_3gpuE5ELNS1_3repE0EEENS1_30default_config_static_selectorELNS0_4arch9wavefront6targetE0EEEvT1_.numbered_sgpr, 0
	.set _ZN7rocprim17ROCPRIM_400000_NS6detail17trampoline_kernelINS0_14default_configENS1_35adjacent_difference_config_selectorILb1ElEEZNS1_24adjacent_difference_implIS3_Lb1ELb0EPlS7_ZN2at6native12_GLOBAL__N_124unique_dim_cuda_templateIaEESt5tupleIJNS8_6TensorESD_SD_EERKSD_lbbbEUlllE1_EE10hipError_tPvRmT2_T3_mT4_P12ihipStream_tbEUlT_E_NS1_11comp_targetILNS1_3genE10ELNS1_11target_archE1201ELNS1_3gpuE5ELNS1_3repE0EEENS1_30default_config_static_selectorELNS0_4arch9wavefront6targetE0EEEvT1_.num_named_barrier, 0
	.set _ZN7rocprim17ROCPRIM_400000_NS6detail17trampoline_kernelINS0_14default_configENS1_35adjacent_difference_config_selectorILb1ElEEZNS1_24adjacent_difference_implIS3_Lb1ELb0EPlS7_ZN2at6native12_GLOBAL__N_124unique_dim_cuda_templateIaEESt5tupleIJNS8_6TensorESD_SD_EERKSD_lbbbEUlllE1_EE10hipError_tPvRmT2_T3_mT4_P12ihipStream_tbEUlT_E_NS1_11comp_targetILNS1_3genE10ELNS1_11target_archE1201ELNS1_3gpuE5ELNS1_3repE0EEENS1_30default_config_static_selectorELNS0_4arch9wavefront6targetE0EEEvT1_.private_seg_size, 0
	.set _ZN7rocprim17ROCPRIM_400000_NS6detail17trampoline_kernelINS0_14default_configENS1_35adjacent_difference_config_selectorILb1ElEEZNS1_24adjacent_difference_implIS3_Lb1ELb0EPlS7_ZN2at6native12_GLOBAL__N_124unique_dim_cuda_templateIaEESt5tupleIJNS8_6TensorESD_SD_EERKSD_lbbbEUlllE1_EE10hipError_tPvRmT2_T3_mT4_P12ihipStream_tbEUlT_E_NS1_11comp_targetILNS1_3genE10ELNS1_11target_archE1201ELNS1_3gpuE5ELNS1_3repE0EEENS1_30default_config_static_selectorELNS0_4arch9wavefront6targetE0EEEvT1_.uses_vcc, 0
	.set _ZN7rocprim17ROCPRIM_400000_NS6detail17trampoline_kernelINS0_14default_configENS1_35adjacent_difference_config_selectorILb1ElEEZNS1_24adjacent_difference_implIS3_Lb1ELb0EPlS7_ZN2at6native12_GLOBAL__N_124unique_dim_cuda_templateIaEESt5tupleIJNS8_6TensorESD_SD_EERKSD_lbbbEUlllE1_EE10hipError_tPvRmT2_T3_mT4_P12ihipStream_tbEUlT_E_NS1_11comp_targetILNS1_3genE10ELNS1_11target_archE1201ELNS1_3gpuE5ELNS1_3repE0EEENS1_30default_config_static_selectorELNS0_4arch9wavefront6targetE0EEEvT1_.uses_flat_scratch, 0
	.set _ZN7rocprim17ROCPRIM_400000_NS6detail17trampoline_kernelINS0_14default_configENS1_35adjacent_difference_config_selectorILb1ElEEZNS1_24adjacent_difference_implIS3_Lb1ELb0EPlS7_ZN2at6native12_GLOBAL__N_124unique_dim_cuda_templateIaEESt5tupleIJNS8_6TensorESD_SD_EERKSD_lbbbEUlllE1_EE10hipError_tPvRmT2_T3_mT4_P12ihipStream_tbEUlT_E_NS1_11comp_targetILNS1_3genE10ELNS1_11target_archE1201ELNS1_3gpuE5ELNS1_3repE0EEENS1_30default_config_static_selectorELNS0_4arch9wavefront6targetE0EEEvT1_.has_dyn_sized_stack, 0
	.set _ZN7rocprim17ROCPRIM_400000_NS6detail17trampoline_kernelINS0_14default_configENS1_35adjacent_difference_config_selectorILb1ElEEZNS1_24adjacent_difference_implIS3_Lb1ELb0EPlS7_ZN2at6native12_GLOBAL__N_124unique_dim_cuda_templateIaEESt5tupleIJNS8_6TensorESD_SD_EERKSD_lbbbEUlllE1_EE10hipError_tPvRmT2_T3_mT4_P12ihipStream_tbEUlT_E_NS1_11comp_targetILNS1_3genE10ELNS1_11target_archE1201ELNS1_3gpuE5ELNS1_3repE0EEENS1_30default_config_static_selectorELNS0_4arch9wavefront6targetE0EEEvT1_.has_recursion, 0
	.set _ZN7rocprim17ROCPRIM_400000_NS6detail17trampoline_kernelINS0_14default_configENS1_35adjacent_difference_config_selectorILb1ElEEZNS1_24adjacent_difference_implIS3_Lb1ELb0EPlS7_ZN2at6native12_GLOBAL__N_124unique_dim_cuda_templateIaEESt5tupleIJNS8_6TensorESD_SD_EERKSD_lbbbEUlllE1_EE10hipError_tPvRmT2_T3_mT4_P12ihipStream_tbEUlT_E_NS1_11comp_targetILNS1_3genE10ELNS1_11target_archE1201ELNS1_3gpuE5ELNS1_3repE0EEENS1_30default_config_static_selectorELNS0_4arch9wavefront6targetE0EEEvT1_.has_indirect_call, 0
	.section	.AMDGPU.csdata,"",@progbits
; Kernel info:
; codeLenInByte = 0
; TotalNumSgprs: 0
; NumVgprs: 0
; ScratchSize: 0
; MemoryBound: 0
; FloatMode: 240
; IeeeMode: 1
; LDSByteSize: 0 bytes/workgroup (compile time only)
; SGPRBlocks: 0
; VGPRBlocks: 0
; NumSGPRsForWavesPerEU: 1
; NumVGPRsForWavesPerEU: 1
; NamedBarCnt: 0
; Occupancy: 16
; WaveLimiterHint : 0
; COMPUTE_PGM_RSRC2:SCRATCH_EN: 0
; COMPUTE_PGM_RSRC2:USER_SGPR: 2
; COMPUTE_PGM_RSRC2:TRAP_HANDLER: 0
; COMPUTE_PGM_RSRC2:TGID_X_EN: 1
; COMPUTE_PGM_RSRC2:TGID_Y_EN: 0
; COMPUTE_PGM_RSRC2:TGID_Z_EN: 0
; COMPUTE_PGM_RSRC2:TIDIG_COMP_CNT: 0
	.section	.text._ZN7rocprim17ROCPRIM_400000_NS6detail17trampoline_kernelINS0_14default_configENS1_35adjacent_difference_config_selectorILb1ElEEZNS1_24adjacent_difference_implIS3_Lb1ELb0EPlS7_ZN2at6native12_GLOBAL__N_124unique_dim_cuda_templateIaEESt5tupleIJNS8_6TensorESD_SD_EERKSD_lbbbEUlllE1_EE10hipError_tPvRmT2_T3_mT4_P12ihipStream_tbEUlT_E_NS1_11comp_targetILNS1_3genE5ELNS1_11target_archE942ELNS1_3gpuE9ELNS1_3repE0EEENS1_30default_config_static_selectorELNS0_4arch9wavefront6targetE0EEEvT1_,"axG",@progbits,_ZN7rocprim17ROCPRIM_400000_NS6detail17trampoline_kernelINS0_14default_configENS1_35adjacent_difference_config_selectorILb1ElEEZNS1_24adjacent_difference_implIS3_Lb1ELb0EPlS7_ZN2at6native12_GLOBAL__N_124unique_dim_cuda_templateIaEESt5tupleIJNS8_6TensorESD_SD_EERKSD_lbbbEUlllE1_EE10hipError_tPvRmT2_T3_mT4_P12ihipStream_tbEUlT_E_NS1_11comp_targetILNS1_3genE5ELNS1_11target_archE942ELNS1_3gpuE9ELNS1_3repE0EEENS1_30default_config_static_selectorELNS0_4arch9wavefront6targetE0EEEvT1_,comdat
	.globl	_ZN7rocprim17ROCPRIM_400000_NS6detail17trampoline_kernelINS0_14default_configENS1_35adjacent_difference_config_selectorILb1ElEEZNS1_24adjacent_difference_implIS3_Lb1ELb0EPlS7_ZN2at6native12_GLOBAL__N_124unique_dim_cuda_templateIaEESt5tupleIJNS8_6TensorESD_SD_EERKSD_lbbbEUlllE1_EE10hipError_tPvRmT2_T3_mT4_P12ihipStream_tbEUlT_E_NS1_11comp_targetILNS1_3genE5ELNS1_11target_archE942ELNS1_3gpuE9ELNS1_3repE0EEENS1_30default_config_static_selectorELNS0_4arch9wavefront6targetE0EEEvT1_ ; -- Begin function _ZN7rocprim17ROCPRIM_400000_NS6detail17trampoline_kernelINS0_14default_configENS1_35adjacent_difference_config_selectorILb1ElEEZNS1_24adjacent_difference_implIS3_Lb1ELb0EPlS7_ZN2at6native12_GLOBAL__N_124unique_dim_cuda_templateIaEESt5tupleIJNS8_6TensorESD_SD_EERKSD_lbbbEUlllE1_EE10hipError_tPvRmT2_T3_mT4_P12ihipStream_tbEUlT_E_NS1_11comp_targetILNS1_3genE5ELNS1_11target_archE942ELNS1_3gpuE9ELNS1_3repE0EEENS1_30default_config_static_selectorELNS0_4arch9wavefront6targetE0EEEvT1_
	.p2align	8
	.type	_ZN7rocprim17ROCPRIM_400000_NS6detail17trampoline_kernelINS0_14default_configENS1_35adjacent_difference_config_selectorILb1ElEEZNS1_24adjacent_difference_implIS3_Lb1ELb0EPlS7_ZN2at6native12_GLOBAL__N_124unique_dim_cuda_templateIaEESt5tupleIJNS8_6TensorESD_SD_EERKSD_lbbbEUlllE1_EE10hipError_tPvRmT2_T3_mT4_P12ihipStream_tbEUlT_E_NS1_11comp_targetILNS1_3genE5ELNS1_11target_archE942ELNS1_3gpuE9ELNS1_3repE0EEENS1_30default_config_static_selectorELNS0_4arch9wavefront6targetE0EEEvT1_,@function
_ZN7rocprim17ROCPRIM_400000_NS6detail17trampoline_kernelINS0_14default_configENS1_35adjacent_difference_config_selectorILb1ElEEZNS1_24adjacent_difference_implIS3_Lb1ELb0EPlS7_ZN2at6native12_GLOBAL__N_124unique_dim_cuda_templateIaEESt5tupleIJNS8_6TensorESD_SD_EERKSD_lbbbEUlllE1_EE10hipError_tPvRmT2_T3_mT4_P12ihipStream_tbEUlT_E_NS1_11comp_targetILNS1_3genE5ELNS1_11target_archE942ELNS1_3gpuE9ELNS1_3repE0EEENS1_30default_config_static_selectorELNS0_4arch9wavefront6targetE0EEEvT1_: ; @_ZN7rocprim17ROCPRIM_400000_NS6detail17trampoline_kernelINS0_14default_configENS1_35adjacent_difference_config_selectorILb1ElEEZNS1_24adjacent_difference_implIS3_Lb1ELb0EPlS7_ZN2at6native12_GLOBAL__N_124unique_dim_cuda_templateIaEESt5tupleIJNS8_6TensorESD_SD_EERKSD_lbbbEUlllE1_EE10hipError_tPvRmT2_T3_mT4_P12ihipStream_tbEUlT_E_NS1_11comp_targetILNS1_3genE5ELNS1_11target_archE942ELNS1_3gpuE9ELNS1_3repE0EEENS1_30default_config_static_selectorELNS0_4arch9wavefront6targetE0EEEvT1_
; %bb.0:
	.section	.rodata,"a",@progbits
	.p2align	6, 0x0
	.amdhsa_kernel _ZN7rocprim17ROCPRIM_400000_NS6detail17trampoline_kernelINS0_14default_configENS1_35adjacent_difference_config_selectorILb1ElEEZNS1_24adjacent_difference_implIS3_Lb1ELb0EPlS7_ZN2at6native12_GLOBAL__N_124unique_dim_cuda_templateIaEESt5tupleIJNS8_6TensorESD_SD_EERKSD_lbbbEUlllE1_EE10hipError_tPvRmT2_T3_mT4_P12ihipStream_tbEUlT_E_NS1_11comp_targetILNS1_3genE5ELNS1_11target_archE942ELNS1_3gpuE9ELNS1_3repE0EEENS1_30default_config_static_selectorELNS0_4arch9wavefront6targetE0EEEvT1_
		.amdhsa_group_segment_fixed_size 0
		.amdhsa_private_segment_fixed_size 0
		.amdhsa_kernarg_size 64
		.amdhsa_user_sgpr_count 2
		.amdhsa_user_sgpr_dispatch_ptr 0
		.amdhsa_user_sgpr_queue_ptr 0
		.amdhsa_user_sgpr_kernarg_segment_ptr 1
		.amdhsa_user_sgpr_dispatch_id 0
		.amdhsa_user_sgpr_kernarg_preload_length 0
		.amdhsa_user_sgpr_kernarg_preload_offset 0
		.amdhsa_user_sgpr_private_segment_size 0
		.amdhsa_wavefront_size32 1
		.amdhsa_uses_dynamic_stack 0
		.amdhsa_enable_private_segment 0
		.amdhsa_system_sgpr_workgroup_id_x 1
		.amdhsa_system_sgpr_workgroup_id_y 0
		.amdhsa_system_sgpr_workgroup_id_z 0
		.amdhsa_system_sgpr_workgroup_info 0
		.amdhsa_system_vgpr_workitem_id 0
		.amdhsa_next_free_vgpr 1
		.amdhsa_next_free_sgpr 1
		.amdhsa_named_barrier_count 0
		.amdhsa_reserve_vcc 0
		.amdhsa_float_round_mode_32 0
		.amdhsa_float_round_mode_16_64 0
		.amdhsa_float_denorm_mode_32 3
		.amdhsa_float_denorm_mode_16_64 3
		.amdhsa_fp16_overflow 0
		.amdhsa_memory_ordered 1
		.amdhsa_forward_progress 1
		.amdhsa_inst_pref_size 0
		.amdhsa_round_robin_scheduling 0
		.amdhsa_exception_fp_ieee_invalid_op 0
		.amdhsa_exception_fp_denorm_src 0
		.amdhsa_exception_fp_ieee_div_zero 0
		.amdhsa_exception_fp_ieee_overflow 0
		.amdhsa_exception_fp_ieee_underflow 0
		.amdhsa_exception_fp_ieee_inexact 0
		.amdhsa_exception_int_div_zero 0
	.end_amdhsa_kernel
	.section	.text._ZN7rocprim17ROCPRIM_400000_NS6detail17trampoline_kernelINS0_14default_configENS1_35adjacent_difference_config_selectorILb1ElEEZNS1_24adjacent_difference_implIS3_Lb1ELb0EPlS7_ZN2at6native12_GLOBAL__N_124unique_dim_cuda_templateIaEESt5tupleIJNS8_6TensorESD_SD_EERKSD_lbbbEUlllE1_EE10hipError_tPvRmT2_T3_mT4_P12ihipStream_tbEUlT_E_NS1_11comp_targetILNS1_3genE5ELNS1_11target_archE942ELNS1_3gpuE9ELNS1_3repE0EEENS1_30default_config_static_selectorELNS0_4arch9wavefront6targetE0EEEvT1_,"axG",@progbits,_ZN7rocprim17ROCPRIM_400000_NS6detail17trampoline_kernelINS0_14default_configENS1_35adjacent_difference_config_selectorILb1ElEEZNS1_24adjacent_difference_implIS3_Lb1ELb0EPlS7_ZN2at6native12_GLOBAL__N_124unique_dim_cuda_templateIaEESt5tupleIJNS8_6TensorESD_SD_EERKSD_lbbbEUlllE1_EE10hipError_tPvRmT2_T3_mT4_P12ihipStream_tbEUlT_E_NS1_11comp_targetILNS1_3genE5ELNS1_11target_archE942ELNS1_3gpuE9ELNS1_3repE0EEENS1_30default_config_static_selectorELNS0_4arch9wavefront6targetE0EEEvT1_,comdat
.Lfunc_end313:
	.size	_ZN7rocprim17ROCPRIM_400000_NS6detail17trampoline_kernelINS0_14default_configENS1_35adjacent_difference_config_selectorILb1ElEEZNS1_24adjacent_difference_implIS3_Lb1ELb0EPlS7_ZN2at6native12_GLOBAL__N_124unique_dim_cuda_templateIaEESt5tupleIJNS8_6TensorESD_SD_EERKSD_lbbbEUlllE1_EE10hipError_tPvRmT2_T3_mT4_P12ihipStream_tbEUlT_E_NS1_11comp_targetILNS1_3genE5ELNS1_11target_archE942ELNS1_3gpuE9ELNS1_3repE0EEENS1_30default_config_static_selectorELNS0_4arch9wavefront6targetE0EEEvT1_, .Lfunc_end313-_ZN7rocprim17ROCPRIM_400000_NS6detail17trampoline_kernelINS0_14default_configENS1_35adjacent_difference_config_selectorILb1ElEEZNS1_24adjacent_difference_implIS3_Lb1ELb0EPlS7_ZN2at6native12_GLOBAL__N_124unique_dim_cuda_templateIaEESt5tupleIJNS8_6TensorESD_SD_EERKSD_lbbbEUlllE1_EE10hipError_tPvRmT2_T3_mT4_P12ihipStream_tbEUlT_E_NS1_11comp_targetILNS1_3genE5ELNS1_11target_archE942ELNS1_3gpuE9ELNS1_3repE0EEENS1_30default_config_static_selectorELNS0_4arch9wavefront6targetE0EEEvT1_
                                        ; -- End function
	.set _ZN7rocprim17ROCPRIM_400000_NS6detail17trampoline_kernelINS0_14default_configENS1_35adjacent_difference_config_selectorILb1ElEEZNS1_24adjacent_difference_implIS3_Lb1ELb0EPlS7_ZN2at6native12_GLOBAL__N_124unique_dim_cuda_templateIaEESt5tupleIJNS8_6TensorESD_SD_EERKSD_lbbbEUlllE1_EE10hipError_tPvRmT2_T3_mT4_P12ihipStream_tbEUlT_E_NS1_11comp_targetILNS1_3genE5ELNS1_11target_archE942ELNS1_3gpuE9ELNS1_3repE0EEENS1_30default_config_static_selectorELNS0_4arch9wavefront6targetE0EEEvT1_.num_vgpr, 0
	.set _ZN7rocprim17ROCPRIM_400000_NS6detail17trampoline_kernelINS0_14default_configENS1_35adjacent_difference_config_selectorILb1ElEEZNS1_24adjacent_difference_implIS3_Lb1ELb0EPlS7_ZN2at6native12_GLOBAL__N_124unique_dim_cuda_templateIaEESt5tupleIJNS8_6TensorESD_SD_EERKSD_lbbbEUlllE1_EE10hipError_tPvRmT2_T3_mT4_P12ihipStream_tbEUlT_E_NS1_11comp_targetILNS1_3genE5ELNS1_11target_archE942ELNS1_3gpuE9ELNS1_3repE0EEENS1_30default_config_static_selectorELNS0_4arch9wavefront6targetE0EEEvT1_.num_agpr, 0
	.set _ZN7rocprim17ROCPRIM_400000_NS6detail17trampoline_kernelINS0_14default_configENS1_35adjacent_difference_config_selectorILb1ElEEZNS1_24adjacent_difference_implIS3_Lb1ELb0EPlS7_ZN2at6native12_GLOBAL__N_124unique_dim_cuda_templateIaEESt5tupleIJNS8_6TensorESD_SD_EERKSD_lbbbEUlllE1_EE10hipError_tPvRmT2_T3_mT4_P12ihipStream_tbEUlT_E_NS1_11comp_targetILNS1_3genE5ELNS1_11target_archE942ELNS1_3gpuE9ELNS1_3repE0EEENS1_30default_config_static_selectorELNS0_4arch9wavefront6targetE0EEEvT1_.numbered_sgpr, 0
	.set _ZN7rocprim17ROCPRIM_400000_NS6detail17trampoline_kernelINS0_14default_configENS1_35adjacent_difference_config_selectorILb1ElEEZNS1_24adjacent_difference_implIS3_Lb1ELb0EPlS7_ZN2at6native12_GLOBAL__N_124unique_dim_cuda_templateIaEESt5tupleIJNS8_6TensorESD_SD_EERKSD_lbbbEUlllE1_EE10hipError_tPvRmT2_T3_mT4_P12ihipStream_tbEUlT_E_NS1_11comp_targetILNS1_3genE5ELNS1_11target_archE942ELNS1_3gpuE9ELNS1_3repE0EEENS1_30default_config_static_selectorELNS0_4arch9wavefront6targetE0EEEvT1_.num_named_barrier, 0
	.set _ZN7rocprim17ROCPRIM_400000_NS6detail17trampoline_kernelINS0_14default_configENS1_35adjacent_difference_config_selectorILb1ElEEZNS1_24adjacent_difference_implIS3_Lb1ELb0EPlS7_ZN2at6native12_GLOBAL__N_124unique_dim_cuda_templateIaEESt5tupleIJNS8_6TensorESD_SD_EERKSD_lbbbEUlllE1_EE10hipError_tPvRmT2_T3_mT4_P12ihipStream_tbEUlT_E_NS1_11comp_targetILNS1_3genE5ELNS1_11target_archE942ELNS1_3gpuE9ELNS1_3repE0EEENS1_30default_config_static_selectorELNS0_4arch9wavefront6targetE0EEEvT1_.private_seg_size, 0
	.set _ZN7rocprim17ROCPRIM_400000_NS6detail17trampoline_kernelINS0_14default_configENS1_35adjacent_difference_config_selectorILb1ElEEZNS1_24adjacent_difference_implIS3_Lb1ELb0EPlS7_ZN2at6native12_GLOBAL__N_124unique_dim_cuda_templateIaEESt5tupleIJNS8_6TensorESD_SD_EERKSD_lbbbEUlllE1_EE10hipError_tPvRmT2_T3_mT4_P12ihipStream_tbEUlT_E_NS1_11comp_targetILNS1_3genE5ELNS1_11target_archE942ELNS1_3gpuE9ELNS1_3repE0EEENS1_30default_config_static_selectorELNS0_4arch9wavefront6targetE0EEEvT1_.uses_vcc, 0
	.set _ZN7rocprim17ROCPRIM_400000_NS6detail17trampoline_kernelINS0_14default_configENS1_35adjacent_difference_config_selectorILb1ElEEZNS1_24adjacent_difference_implIS3_Lb1ELb0EPlS7_ZN2at6native12_GLOBAL__N_124unique_dim_cuda_templateIaEESt5tupleIJNS8_6TensorESD_SD_EERKSD_lbbbEUlllE1_EE10hipError_tPvRmT2_T3_mT4_P12ihipStream_tbEUlT_E_NS1_11comp_targetILNS1_3genE5ELNS1_11target_archE942ELNS1_3gpuE9ELNS1_3repE0EEENS1_30default_config_static_selectorELNS0_4arch9wavefront6targetE0EEEvT1_.uses_flat_scratch, 0
	.set _ZN7rocprim17ROCPRIM_400000_NS6detail17trampoline_kernelINS0_14default_configENS1_35adjacent_difference_config_selectorILb1ElEEZNS1_24adjacent_difference_implIS3_Lb1ELb0EPlS7_ZN2at6native12_GLOBAL__N_124unique_dim_cuda_templateIaEESt5tupleIJNS8_6TensorESD_SD_EERKSD_lbbbEUlllE1_EE10hipError_tPvRmT2_T3_mT4_P12ihipStream_tbEUlT_E_NS1_11comp_targetILNS1_3genE5ELNS1_11target_archE942ELNS1_3gpuE9ELNS1_3repE0EEENS1_30default_config_static_selectorELNS0_4arch9wavefront6targetE0EEEvT1_.has_dyn_sized_stack, 0
	.set _ZN7rocprim17ROCPRIM_400000_NS6detail17trampoline_kernelINS0_14default_configENS1_35adjacent_difference_config_selectorILb1ElEEZNS1_24adjacent_difference_implIS3_Lb1ELb0EPlS7_ZN2at6native12_GLOBAL__N_124unique_dim_cuda_templateIaEESt5tupleIJNS8_6TensorESD_SD_EERKSD_lbbbEUlllE1_EE10hipError_tPvRmT2_T3_mT4_P12ihipStream_tbEUlT_E_NS1_11comp_targetILNS1_3genE5ELNS1_11target_archE942ELNS1_3gpuE9ELNS1_3repE0EEENS1_30default_config_static_selectorELNS0_4arch9wavefront6targetE0EEEvT1_.has_recursion, 0
	.set _ZN7rocprim17ROCPRIM_400000_NS6detail17trampoline_kernelINS0_14default_configENS1_35adjacent_difference_config_selectorILb1ElEEZNS1_24adjacent_difference_implIS3_Lb1ELb0EPlS7_ZN2at6native12_GLOBAL__N_124unique_dim_cuda_templateIaEESt5tupleIJNS8_6TensorESD_SD_EERKSD_lbbbEUlllE1_EE10hipError_tPvRmT2_T3_mT4_P12ihipStream_tbEUlT_E_NS1_11comp_targetILNS1_3genE5ELNS1_11target_archE942ELNS1_3gpuE9ELNS1_3repE0EEENS1_30default_config_static_selectorELNS0_4arch9wavefront6targetE0EEEvT1_.has_indirect_call, 0
	.section	.AMDGPU.csdata,"",@progbits
; Kernel info:
; codeLenInByte = 0
; TotalNumSgprs: 0
; NumVgprs: 0
; ScratchSize: 0
; MemoryBound: 0
; FloatMode: 240
; IeeeMode: 1
; LDSByteSize: 0 bytes/workgroup (compile time only)
; SGPRBlocks: 0
; VGPRBlocks: 0
; NumSGPRsForWavesPerEU: 1
; NumVGPRsForWavesPerEU: 1
; NamedBarCnt: 0
; Occupancy: 16
; WaveLimiterHint : 0
; COMPUTE_PGM_RSRC2:SCRATCH_EN: 0
; COMPUTE_PGM_RSRC2:USER_SGPR: 2
; COMPUTE_PGM_RSRC2:TRAP_HANDLER: 0
; COMPUTE_PGM_RSRC2:TGID_X_EN: 1
; COMPUTE_PGM_RSRC2:TGID_Y_EN: 0
; COMPUTE_PGM_RSRC2:TGID_Z_EN: 0
; COMPUTE_PGM_RSRC2:TIDIG_COMP_CNT: 0
	.section	.text._ZN7rocprim17ROCPRIM_400000_NS6detail17trampoline_kernelINS0_14default_configENS1_35adjacent_difference_config_selectorILb1ElEEZNS1_24adjacent_difference_implIS3_Lb1ELb0EPlS7_ZN2at6native12_GLOBAL__N_124unique_dim_cuda_templateIaEESt5tupleIJNS8_6TensorESD_SD_EERKSD_lbbbEUlllE1_EE10hipError_tPvRmT2_T3_mT4_P12ihipStream_tbEUlT_E_NS1_11comp_targetILNS1_3genE4ELNS1_11target_archE910ELNS1_3gpuE8ELNS1_3repE0EEENS1_30default_config_static_selectorELNS0_4arch9wavefront6targetE0EEEvT1_,"axG",@progbits,_ZN7rocprim17ROCPRIM_400000_NS6detail17trampoline_kernelINS0_14default_configENS1_35adjacent_difference_config_selectorILb1ElEEZNS1_24adjacent_difference_implIS3_Lb1ELb0EPlS7_ZN2at6native12_GLOBAL__N_124unique_dim_cuda_templateIaEESt5tupleIJNS8_6TensorESD_SD_EERKSD_lbbbEUlllE1_EE10hipError_tPvRmT2_T3_mT4_P12ihipStream_tbEUlT_E_NS1_11comp_targetILNS1_3genE4ELNS1_11target_archE910ELNS1_3gpuE8ELNS1_3repE0EEENS1_30default_config_static_selectorELNS0_4arch9wavefront6targetE0EEEvT1_,comdat
	.globl	_ZN7rocprim17ROCPRIM_400000_NS6detail17trampoline_kernelINS0_14default_configENS1_35adjacent_difference_config_selectorILb1ElEEZNS1_24adjacent_difference_implIS3_Lb1ELb0EPlS7_ZN2at6native12_GLOBAL__N_124unique_dim_cuda_templateIaEESt5tupleIJNS8_6TensorESD_SD_EERKSD_lbbbEUlllE1_EE10hipError_tPvRmT2_T3_mT4_P12ihipStream_tbEUlT_E_NS1_11comp_targetILNS1_3genE4ELNS1_11target_archE910ELNS1_3gpuE8ELNS1_3repE0EEENS1_30default_config_static_selectorELNS0_4arch9wavefront6targetE0EEEvT1_ ; -- Begin function _ZN7rocprim17ROCPRIM_400000_NS6detail17trampoline_kernelINS0_14default_configENS1_35adjacent_difference_config_selectorILb1ElEEZNS1_24adjacent_difference_implIS3_Lb1ELb0EPlS7_ZN2at6native12_GLOBAL__N_124unique_dim_cuda_templateIaEESt5tupleIJNS8_6TensorESD_SD_EERKSD_lbbbEUlllE1_EE10hipError_tPvRmT2_T3_mT4_P12ihipStream_tbEUlT_E_NS1_11comp_targetILNS1_3genE4ELNS1_11target_archE910ELNS1_3gpuE8ELNS1_3repE0EEENS1_30default_config_static_selectorELNS0_4arch9wavefront6targetE0EEEvT1_
	.p2align	8
	.type	_ZN7rocprim17ROCPRIM_400000_NS6detail17trampoline_kernelINS0_14default_configENS1_35adjacent_difference_config_selectorILb1ElEEZNS1_24adjacent_difference_implIS3_Lb1ELb0EPlS7_ZN2at6native12_GLOBAL__N_124unique_dim_cuda_templateIaEESt5tupleIJNS8_6TensorESD_SD_EERKSD_lbbbEUlllE1_EE10hipError_tPvRmT2_T3_mT4_P12ihipStream_tbEUlT_E_NS1_11comp_targetILNS1_3genE4ELNS1_11target_archE910ELNS1_3gpuE8ELNS1_3repE0EEENS1_30default_config_static_selectorELNS0_4arch9wavefront6targetE0EEEvT1_,@function
_ZN7rocprim17ROCPRIM_400000_NS6detail17trampoline_kernelINS0_14default_configENS1_35adjacent_difference_config_selectorILb1ElEEZNS1_24adjacent_difference_implIS3_Lb1ELb0EPlS7_ZN2at6native12_GLOBAL__N_124unique_dim_cuda_templateIaEESt5tupleIJNS8_6TensorESD_SD_EERKSD_lbbbEUlllE1_EE10hipError_tPvRmT2_T3_mT4_P12ihipStream_tbEUlT_E_NS1_11comp_targetILNS1_3genE4ELNS1_11target_archE910ELNS1_3gpuE8ELNS1_3repE0EEENS1_30default_config_static_selectorELNS0_4arch9wavefront6targetE0EEEvT1_: ; @_ZN7rocprim17ROCPRIM_400000_NS6detail17trampoline_kernelINS0_14default_configENS1_35adjacent_difference_config_selectorILb1ElEEZNS1_24adjacent_difference_implIS3_Lb1ELb0EPlS7_ZN2at6native12_GLOBAL__N_124unique_dim_cuda_templateIaEESt5tupleIJNS8_6TensorESD_SD_EERKSD_lbbbEUlllE1_EE10hipError_tPvRmT2_T3_mT4_P12ihipStream_tbEUlT_E_NS1_11comp_targetILNS1_3genE4ELNS1_11target_archE910ELNS1_3gpuE8ELNS1_3repE0EEENS1_30default_config_static_selectorELNS0_4arch9wavefront6targetE0EEEvT1_
; %bb.0:
	.section	.rodata,"a",@progbits
	.p2align	6, 0x0
	.amdhsa_kernel _ZN7rocprim17ROCPRIM_400000_NS6detail17trampoline_kernelINS0_14default_configENS1_35adjacent_difference_config_selectorILb1ElEEZNS1_24adjacent_difference_implIS3_Lb1ELb0EPlS7_ZN2at6native12_GLOBAL__N_124unique_dim_cuda_templateIaEESt5tupleIJNS8_6TensorESD_SD_EERKSD_lbbbEUlllE1_EE10hipError_tPvRmT2_T3_mT4_P12ihipStream_tbEUlT_E_NS1_11comp_targetILNS1_3genE4ELNS1_11target_archE910ELNS1_3gpuE8ELNS1_3repE0EEENS1_30default_config_static_selectorELNS0_4arch9wavefront6targetE0EEEvT1_
		.amdhsa_group_segment_fixed_size 0
		.amdhsa_private_segment_fixed_size 0
		.amdhsa_kernarg_size 64
		.amdhsa_user_sgpr_count 2
		.amdhsa_user_sgpr_dispatch_ptr 0
		.amdhsa_user_sgpr_queue_ptr 0
		.amdhsa_user_sgpr_kernarg_segment_ptr 1
		.amdhsa_user_sgpr_dispatch_id 0
		.amdhsa_user_sgpr_kernarg_preload_length 0
		.amdhsa_user_sgpr_kernarg_preload_offset 0
		.amdhsa_user_sgpr_private_segment_size 0
		.amdhsa_wavefront_size32 1
		.amdhsa_uses_dynamic_stack 0
		.amdhsa_enable_private_segment 0
		.amdhsa_system_sgpr_workgroup_id_x 1
		.amdhsa_system_sgpr_workgroup_id_y 0
		.amdhsa_system_sgpr_workgroup_id_z 0
		.amdhsa_system_sgpr_workgroup_info 0
		.amdhsa_system_vgpr_workitem_id 0
		.amdhsa_next_free_vgpr 1
		.amdhsa_next_free_sgpr 1
		.amdhsa_named_barrier_count 0
		.amdhsa_reserve_vcc 0
		.amdhsa_float_round_mode_32 0
		.amdhsa_float_round_mode_16_64 0
		.amdhsa_float_denorm_mode_32 3
		.amdhsa_float_denorm_mode_16_64 3
		.amdhsa_fp16_overflow 0
		.amdhsa_memory_ordered 1
		.amdhsa_forward_progress 1
		.amdhsa_inst_pref_size 0
		.amdhsa_round_robin_scheduling 0
		.amdhsa_exception_fp_ieee_invalid_op 0
		.amdhsa_exception_fp_denorm_src 0
		.amdhsa_exception_fp_ieee_div_zero 0
		.amdhsa_exception_fp_ieee_overflow 0
		.amdhsa_exception_fp_ieee_underflow 0
		.amdhsa_exception_fp_ieee_inexact 0
		.amdhsa_exception_int_div_zero 0
	.end_amdhsa_kernel
	.section	.text._ZN7rocprim17ROCPRIM_400000_NS6detail17trampoline_kernelINS0_14default_configENS1_35adjacent_difference_config_selectorILb1ElEEZNS1_24adjacent_difference_implIS3_Lb1ELb0EPlS7_ZN2at6native12_GLOBAL__N_124unique_dim_cuda_templateIaEESt5tupleIJNS8_6TensorESD_SD_EERKSD_lbbbEUlllE1_EE10hipError_tPvRmT2_T3_mT4_P12ihipStream_tbEUlT_E_NS1_11comp_targetILNS1_3genE4ELNS1_11target_archE910ELNS1_3gpuE8ELNS1_3repE0EEENS1_30default_config_static_selectorELNS0_4arch9wavefront6targetE0EEEvT1_,"axG",@progbits,_ZN7rocprim17ROCPRIM_400000_NS6detail17trampoline_kernelINS0_14default_configENS1_35adjacent_difference_config_selectorILb1ElEEZNS1_24adjacent_difference_implIS3_Lb1ELb0EPlS7_ZN2at6native12_GLOBAL__N_124unique_dim_cuda_templateIaEESt5tupleIJNS8_6TensorESD_SD_EERKSD_lbbbEUlllE1_EE10hipError_tPvRmT2_T3_mT4_P12ihipStream_tbEUlT_E_NS1_11comp_targetILNS1_3genE4ELNS1_11target_archE910ELNS1_3gpuE8ELNS1_3repE0EEENS1_30default_config_static_selectorELNS0_4arch9wavefront6targetE0EEEvT1_,comdat
.Lfunc_end314:
	.size	_ZN7rocprim17ROCPRIM_400000_NS6detail17trampoline_kernelINS0_14default_configENS1_35adjacent_difference_config_selectorILb1ElEEZNS1_24adjacent_difference_implIS3_Lb1ELb0EPlS7_ZN2at6native12_GLOBAL__N_124unique_dim_cuda_templateIaEESt5tupleIJNS8_6TensorESD_SD_EERKSD_lbbbEUlllE1_EE10hipError_tPvRmT2_T3_mT4_P12ihipStream_tbEUlT_E_NS1_11comp_targetILNS1_3genE4ELNS1_11target_archE910ELNS1_3gpuE8ELNS1_3repE0EEENS1_30default_config_static_selectorELNS0_4arch9wavefront6targetE0EEEvT1_, .Lfunc_end314-_ZN7rocprim17ROCPRIM_400000_NS6detail17trampoline_kernelINS0_14default_configENS1_35adjacent_difference_config_selectorILb1ElEEZNS1_24adjacent_difference_implIS3_Lb1ELb0EPlS7_ZN2at6native12_GLOBAL__N_124unique_dim_cuda_templateIaEESt5tupleIJNS8_6TensorESD_SD_EERKSD_lbbbEUlllE1_EE10hipError_tPvRmT2_T3_mT4_P12ihipStream_tbEUlT_E_NS1_11comp_targetILNS1_3genE4ELNS1_11target_archE910ELNS1_3gpuE8ELNS1_3repE0EEENS1_30default_config_static_selectorELNS0_4arch9wavefront6targetE0EEEvT1_
                                        ; -- End function
	.set _ZN7rocprim17ROCPRIM_400000_NS6detail17trampoline_kernelINS0_14default_configENS1_35adjacent_difference_config_selectorILb1ElEEZNS1_24adjacent_difference_implIS3_Lb1ELb0EPlS7_ZN2at6native12_GLOBAL__N_124unique_dim_cuda_templateIaEESt5tupleIJNS8_6TensorESD_SD_EERKSD_lbbbEUlllE1_EE10hipError_tPvRmT2_T3_mT4_P12ihipStream_tbEUlT_E_NS1_11comp_targetILNS1_3genE4ELNS1_11target_archE910ELNS1_3gpuE8ELNS1_3repE0EEENS1_30default_config_static_selectorELNS0_4arch9wavefront6targetE0EEEvT1_.num_vgpr, 0
	.set _ZN7rocprim17ROCPRIM_400000_NS6detail17trampoline_kernelINS0_14default_configENS1_35adjacent_difference_config_selectorILb1ElEEZNS1_24adjacent_difference_implIS3_Lb1ELb0EPlS7_ZN2at6native12_GLOBAL__N_124unique_dim_cuda_templateIaEESt5tupleIJNS8_6TensorESD_SD_EERKSD_lbbbEUlllE1_EE10hipError_tPvRmT2_T3_mT4_P12ihipStream_tbEUlT_E_NS1_11comp_targetILNS1_3genE4ELNS1_11target_archE910ELNS1_3gpuE8ELNS1_3repE0EEENS1_30default_config_static_selectorELNS0_4arch9wavefront6targetE0EEEvT1_.num_agpr, 0
	.set _ZN7rocprim17ROCPRIM_400000_NS6detail17trampoline_kernelINS0_14default_configENS1_35adjacent_difference_config_selectorILb1ElEEZNS1_24adjacent_difference_implIS3_Lb1ELb0EPlS7_ZN2at6native12_GLOBAL__N_124unique_dim_cuda_templateIaEESt5tupleIJNS8_6TensorESD_SD_EERKSD_lbbbEUlllE1_EE10hipError_tPvRmT2_T3_mT4_P12ihipStream_tbEUlT_E_NS1_11comp_targetILNS1_3genE4ELNS1_11target_archE910ELNS1_3gpuE8ELNS1_3repE0EEENS1_30default_config_static_selectorELNS0_4arch9wavefront6targetE0EEEvT1_.numbered_sgpr, 0
	.set _ZN7rocprim17ROCPRIM_400000_NS6detail17trampoline_kernelINS0_14default_configENS1_35adjacent_difference_config_selectorILb1ElEEZNS1_24adjacent_difference_implIS3_Lb1ELb0EPlS7_ZN2at6native12_GLOBAL__N_124unique_dim_cuda_templateIaEESt5tupleIJNS8_6TensorESD_SD_EERKSD_lbbbEUlllE1_EE10hipError_tPvRmT2_T3_mT4_P12ihipStream_tbEUlT_E_NS1_11comp_targetILNS1_3genE4ELNS1_11target_archE910ELNS1_3gpuE8ELNS1_3repE0EEENS1_30default_config_static_selectorELNS0_4arch9wavefront6targetE0EEEvT1_.num_named_barrier, 0
	.set _ZN7rocprim17ROCPRIM_400000_NS6detail17trampoline_kernelINS0_14default_configENS1_35adjacent_difference_config_selectorILb1ElEEZNS1_24adjacent_difference_implIS3_Lb1ELb0EPlS7_ZN2at6native12_GLOBAL__N_124unique_dim_cuda_templateIaEESt5tupleIJNS8_6TensorESD_SD_EERKSD_lbbbEUlllE1_EE10hipError_tPvRmT2_T3_mT4_P12ihipStream_tbEUlT_E_NS1_11comp_targetILNS1_3genE4ELNS1_11target_archE910ELNS1_3gpuE8ELNS1_3repE0EEENS1_30default_config_static_selectorELNS0_4arch9wavefront6targetE0EEEvT1_.private_seg_size, 0
	.set _ZN7rocprim17ROCPRIM_400000_NS6detail17trampoline_kernelINS0_14default_configENS1_35adjacent_difference_config_selectorILb1ElEEZNS1_24adjacent_difference_implIS3_Lb1ELb0EPlS7_ZN2at6native12_GLOBAL__N_124unique_dim_cuda_templateIaEESt5tupleIJNS8_6TensorESD_SD_EERKSD_lbbbEUlllE1_EE10hipError_tPvRmT2_T3_mT4_P12ihipStream_tbEUlT_E_NS1_11comp_targetILNS1_3genE4ELNS1_11target_archE910ELNS1_3gpuE8ELNS1_3repE0EEENS1_30default_config_static_selectorELNS0_4arch9wavefront6targetE0EEEvT1_.uses_vcc, 0
	.set _ZN7rocprim17ROCPRIM_400000_NS6detail17trampoline_kernelINS0_14default_configENS1_35adjacent_difference_config_selectorILb1ElEEZNS1_24adjacent_difference_implIS3_Lb1ELb0EPlS7_ZN2at6native12_GLOBAL__N_124unique_dim_cuda_templateIaEESt5tupleIJNS8_6TensorESD_SD_EERKSD_lbbbEUlllE1_EE10hipError_tPvRmT2_T3_mT4_P12ihipStream_tbEUlT_E_NS1_11comp_targetILNS1_3genE4ELNS1_11target_archE910ELNS1_3gpuE8ELNS1_3repE0EEENS1_30default_config_static_selectorELNS0_4arch9wavefront6targetE0EEEvT1_.uses_flat_scratch, 0
	.set _ZN7rocprim17ROCPRIM_400000_NS6detail17trampoline_kernelINS0_14default_configENS1_35adjacent_difference_config_selectorILb1ElEEZNS1_24adjacent_difference_implIS3_Lb1ELb0EPlS7_ZN2at6native12_GLOBAL__N_124unique_dim_cuda_templateIaEESt5tupleIJNS8_6TensorESD_SD_EERKSD_lbbbEUlllE1_EE10hipError_tPvRmT2_T3_mT4_P12ihipStream_tbEUlT_E_NS1_11comp_targetILNS1_3genE4ELNS1_11target_archE910ELNS1_3gpuE8ELNS1_3repE0EEENS1_30default_config_static_selectorELNS0_4arch9wavefront6targetE0EEEvT1_.has_dyn_sized_stack, 0
	.set _ZN7rocprim17ROCPRIM_400000_NS6detail17trampoline_kernelINS0_14default_configENS1_35adjacent_difference_config_selectorILb1ElEEZNS1_24adjacent_difference_implIS3_Lb1ELb0EPlS7_ZN2at6native12_GLOBAL__N_124unique_dim_cuda_templateIaEESt5tupleIJNS8_6TensorESD_SD_EERKSD_lbbbEUlllE1_EE10hipError_tPvRmT2_T3_mT4_P12ihipStream_tbEUlT_E_NS1_11comp_targetILNS1_3genE4ELNS1_11target_archE910ELNS1_3gpuE8ELNS1_3repE0EEENS1_30default_config_static_selectorELNS0_4arch9wavefront6targetE0EEEvT1_.has_recursion, 0
	.set _ZN7rocprim17ROCPRIM_400000_NS6detail17trampoline_kernelINS0_14default_configENS1_35adjacent_difference_config_selectorILb1ElEEZNS1_24adjacent_difference_implIS3_Lb1ELb0EPlS7_ZN2at6native12_GLOBAL__N_124unique_dim_cuda_templateIaEESt5tupleIJNS8_6TensorESD_SD_EERKSD_lbbbEUlllE1_EE10hipError_tPvRmT2_T3_mT4_P12ihipStream_tbEUlT_E_NS1_11comp_targetILNS1_3genE4ELNS1_11target_archE910ELNS1_3gpuE8ELNS1_3repE0EEENS1_30default_config_static_selectorELNS0_4arch9wavefront6targetE0EEEvT1_.has_indirect_call, 0
	.section	.AMDGPU.csdata,"",@progbits
; Kernel info:
; codeLenInByte = 0
; TotalNumSgprs: 0
; NumVgprs: 0
; ScratchSize: 0
; MemoryBound: 0
; FloatMode: 240
; IeeeMode: 1
; LDSByteSize: 0 bytes/workgroup (compile time only)
; SGPRBlocks: 0
; VGPRBlocks: 0
; NumSGPRsForWavesPerEU: 1
; NumVGPRsForWavesPerEU: 1
; NamedBarCnt: 0
; Occupancy: 16
; WaveLimiterHint : 0
; COMPUTE_PGM_RSRC2:SCRATCH_EN: 0
; COMPUTE_PGM_RSRC2:USER_SGPR: 2
; COMPUTE_PGM_RSRC2:TRAP_HANDLER: 0
; COMPUTE_PGM_RSRC2:TGID_X_EN: 1
; COMPUTE_PGM_RSRC2:TGID_Y_EN: 0
; COMPUTE_PGM_RSRC2:TGID_Z_EN: 0
; COMPUTE_PGM_RSRC2:TIDIG_COMP_CNT: 0
	.section	.text._ZN7rocprim17ROCPRIM_400000_NS6detail17trampoline_kernelINS0_14default_configENS1_35adjacent_difference_config_selectorILb1ElEEZNS1_24adjacent_difference_implIS3_Lb1ELb0EPlS7_ZN2at6native12_GLOBAL__N_124unique_dim_cuda_templateIaEESt5tupleIJNS8_6TensorESD_SD_EERKSD_lbbbEUlllE1_EE10hipError_tPvRmT2_T3_mT4_P12ihipStream_tbEUlT_E_NS1_11comp_targetILNS1_3genE3ELNS1_11target_archE908ELNS1_3gpuE7ELNS1_3repE0EEENS1_30default_config_static_selectorELNS0_4arch9wavefront6targetE0EEEvT1_,"axG",@progbits,_ZN7rocprim17ROCPRIM_400000_NS6detail17trampoline_kernelINS0_14default_configENS1_35adjacent_difference_config_selectorILb1ElEEZNS1_24adjacent_difference_implIS3_Lb1ELb0EPlS7_ZN2at6native12_GLOBAL__N_124unique_dim_cuda_templateIaEESt5tupleIJNS8_6TensorESD_SD_EERKSD_lbbbEUlllE1_EE10hipError_tPvRmT2_T3_mT4_P12ihipStream_tbEUlT_E_NS1_11comp_targetILNS1_3genE3ELNS1_11target_archE908ELNS1_3gpuE7ELNS1_3repE0EEENS1_30default_config_static_selectorELNS0_4arch9wavefront6targetE0EEEvT1_,comdat
	.globl	_ZN7rocprim17ROCPRIM_400000_NS6detail17trampoline_kernelINS0_14default_configENS1_35adjacent_difference_config_selectorILb1ElEEZNS1_24adjacent_difference_implIS3_Lb1ELb0EPlS7_ZN2at6native12_GLOBAL__N_124unique_dim_cuda_templateIaEESt5tupleIJNS8_6TensorESD_SD_EERKSD_lbbbEUlllE1_EE10hipError_tPvRmT2_T3_mT4_P12ihipStream_tbEUlT_E_NS1_11comp_targetILNS1_3genE3ELNS1_11target_archE908ELNS1_3gpuE7ELNS1_3repE0EEENS1_30default_config_static_selectorELNS0_4arch9wavefront6targetE0EEEvT1_ ; -- Begin function _ZN7rocprim17ROCPRIM_400000_NS6detail17trampoline_kernelINS0_14default_configENS1_35adjacent_difference_config_selectorILb1ElEEZNS1_24adjacent_difference_implIS3_Lb1ELb0EPlS7_ZN2at6native12_GLOBAL__N_124unique_dim_cuda_templateIaEESt5tupleIJNS8_6TensorESD_SD_EERKSD_lbbbEUlllE1_EE10hipError_tPvRmT2_T3_mT4_P12ihipStream_tbEUlT_E_NS1_11comp_targetILNS1_3genE3ELNS1_11target_archE908ELNS1_3gpuE7ELNS1_3repE0EEENS1_30default_config_static_selectorELNS0_4arch9wavefront6targetE0EEEvT1_
	.p2align	8
	.type	_ZN7rocprim17ROCPRIM_400000_NS6detail17trampoline_kernelINS0_14default_configENS1_35adjacent_difference_config_selectorILb1ElEEZNS1_24adjacent_difference_implIS3_Lb1ELb0EPlS7_ZN2at6native12_GLOBAL__N_124unique_dim_cuda_templateIaEESt5tupleIJNS8_6TensorESD_SD_EERKSD_lbbbEUlllE1_EE10hipError_tPvRmT2_T3_mT4_P12ihipStream_tbEUlT_E_NS1_11comp_targetILNS1_3genE3ELNS1_11target_archE908ELNS1_3gpuE7ELNS1_3repE0EEENS1_30default_config_static_selectorELNS0_4arch9wavefront6targetE0EEEvT1_,@function
_ZN7rocprim17ROCPRIM_400000_NS6detail17trampoline_kernelINS0_14default_configENS1_35adjacent_difference_config_selectorILb1ElEEZNS1_24adjacent_difference_implIS3_Lb1ELb0EPlS7_ZN2at6native12_GLOBAL__N_124unique_dim_cuda_templateIaEESt5tupleIJNS8_6TensorESD_SD_EERKSD_lbbbEUlllE1_EE10hipError_tPvRmT2_T3_mT4_P12ihipStream_tbEUlT_E_NS1_11comp_targetILNS1_3genE3ELNS1_11target_archE908ELNS1_3gpuE7ELNS1_3repE0EEENS1_30default_config_static_selectorELNS0_4arch9wavefront6targetE0EEEvT1_: ; @_ZN7rocprim17ROCPRIM_400000_NS6detail17trampoline_kernelINS0_14default_configENS1_35adjacent_difference_config_selectorILb1ElEEZNS1_24adjacent_difference_implIS3_Lb1ELb0EPlS7_ZN2at6native12_GLOBAL__N_124unique_dim_cuda_templateIaEESt5tupleIJNS8_6TensorESD_SD_EERKSD_lbbbEUlllE1_EE10hipError_tPvRmT2_T3_mT4_P12ihipStream_tbEUlT_E_NS1_11comp_targetILNS1_3genE3ELNS1_11target_archE908ELNS1_3gpuE7ELNS1_3repE0EEENS1_30default_config_static_selectorELNS0_4arch9wavefront6targetE0EEEvT1_
; %bb.0:
	.section	.rodata,"a",@progbits
	.p2align	6, 0x0
	.amdhsa_kernel _ZN7rocprim17ROCPRIM_400000_NS6detail17trampoline_kernelINS0_14default_configENS1_35adjacent_difference_config_selectorILb1ElEEZNS1_24adjacent_difference_implIS3_Lb1ELb0EPlS7_ZN2at6native12_GLOBAL__N_124unique_dim_cuda_templateIaEESt5tupleIJNS8_6TensorESD_SD_EERKSD_lbbbEUlllE1_EE10hipError_tPvRmT2_T3_mT4_P12ihipStream_tbEUlT_E_NS1_11comp_targetILNS1_3genE3ELNS1_11target_archE908ELNS1_3gpuE7ELNS1_3repE0EEENS1_30default_config_static_selectorELNS0_4arch9wavefront6targetE0EEEvT1_
		.amdhsa_group_segment_fixed_size 0
		.amdhsa_private_segment_fixed_size 0
		.amdhsa_kernarg_size 64
		.amdhsa_user_sgpr_count 2
		.amdhsa_user_sgpr_dispatch_ptr 0
		.amdhsa_user_sgpr_queue_ptr 0
		.amdhsa_user_sgpr_kernarg_segment_ptr 1
		.amdhsa_user_sgpr_dispatch_id 0
		.amdhsa_user_sgpr_kernarg_preload_length 0
		.amdhsa_user_sgpr_kernarg_preload_offset 0
		.amdhsa_user_sgpr_private_segment_size 0
		.amdhsa_wavefront_size32 1
		.amdhsa_uses_dynamic_stack 0
		.amdhsa_enable_private_segment 0
		.amdhsa_system_sgpr_workgroup_id_x 1
		.amdhsa_system_sgpr_workgroup_id_y 0
		.amdhsa_system_sgpr_workgroup_id_z 0
		.amdhsa_system_sgpr_workgroup_info 0
		.amdhsa_system_vgpr_workitem_id 0
		.amdhsa_next_free_vgpr 1
		.amdhsa_next_free_sgpr 1
		.amdhsa_named_barrier_count 0
		.amdhsa_reserve_vcc 0
		.amdhsa_float_round_mode_32 0
		.amdhsa_float_round_mode_16_64 0
		.amdhsa_float_denorm_mode_32 3
		.amdhsa_float_denorm_mode_16_64 3
		.amdhsa_fp16_overflow 0
		.amdhsa_memory_ordered 1
		.amdhsa_forward_progress 1
		.amdhsa_inst_pref_size 0
		.amdhsa_round_robin_scheduling 0
		.amdhsa_exception_fp_ieee_invalid_op 0
		.amdhsa_exception_fp_denorm_src 0
		.amdhsa_exception_fp_ieee_div_zero 0
		.amdhsa_exception_fp_ieee_overflow 0
		.amdhsa_exception_fp_ieee_underflow 0
		.amdhsa_exception_fp_ieee_inexact 0
		.amdhsa_exception_int_div_zero 0
	.end_amdhsa_kernel
	.section	.text._ZN7rocprim17ROCPRIM_400000_NS6detail17trampoline_kernelINS0_14default_configENS1_35adjacent_difference_config_selectorILb1ElEEZNS1_24adjacent_difference_implIS3_Lb1ELb0EPlS7_ZN2at6native12_GLOBAL__N_124unique_dim_cuda_templateIaEESt5tupleIJNS8_6TensorESD_SD_EERKSD_lbbbEUlllE1_EE10hipError_tPvRmT2_T3_mT4_P12ihipStream_tbEUlT_E_NS1_11comp_targetILNS1_3genE3ELNS1_11target_archE908ELNS1_3gpuE7ELNS1_3repE0EEENS1_30default_config_static_selectorELNS0_4arch9wavefront6targetE0EEEvT1_,"axG",@progbits,_ZN7rocprim17ROCPRIM_400000_NS6detail17trampoline_kernelINS0_14default_configENS1_35adjacent_difference_config_selectorILb1ElEEZNS1_24adjacent_difference_implIS3_Lb1ELb0EPlS7_ZN2at6native12_GLOBAL__N_124unique_dim_cuda_templateIaEESt5tupleIJNS8_6TensorESD_SD_EERKSD_lbbbEUlllE1_EE10hipError_tPvRmT2_T3_mT4_P12ihipStream_tbEUlT_E_NS1_11comp_targetILNS1_3genE3ELNS1_11target_archE908ELNS1_3gpuE7ELNS1_3repE0EEENS1_30default_config_static_selectorELNS0_4arch9wavefront6targetE0EEEvT1_,comdat
.Lfunc_end315:
	.size	_ZN7rocprim17ROCPRIM_400000_NS6detail17trampoline_kernelINS0_14default_configENS1_35adjacent_difference_config_selectorILb1ElEEZNS1_24adjacent_difference_implIS3_Lb1ELb0EPlS7_ZN2at6native12_GLOBAL__N_124unique_dim_cuda_templateIaEESt5tupleIJNS8_6TensorESD_SD_EERKSD_lbbbEUlllE1_EE10hipError_tPvRmT2_T3_mT4_P12ihipStream_tbEUlT_E_NS1_11comp_targetILNS1_3genE3ELNS1_11target_archE908ELNS1_3gpuE7ELNS1_3repE0EEENS1_30default_config_static_selectorELNS0_4arch9wavefront6targetE0EEEvT1_, .Lfunc_end315-_ZN7rocprim17ROCPRIM_400000_NS6detail17trampoline_kernelINS0_14default_configENS1_35adjacent_difference_config_selectorILb1ElEEZNS1_24adjacent_difference_implIS3_Lb1ELb0EPlS7_ZN2at6native12_GLOBAL__N_124unique_dim_cuda_templateIaEESt5tupleIJNS8_6TensorESD_SD_EERKSD_lbbbEUlllE1_EE10hipError_tPvRmT2_T3_mT4_P12ihipStream_tbEUlT_E_NS1_11comp_targetILNS1_3genE3ELNS1_11target_archE908ELNS1_3gpuE7ELNS1_3repE0EEENS1_30default_config_static_selectorELNS0_4arch9wavefront6targetE0EEEvT1_
                                        ; -- End function
	.set _ZN7rocprim17ROCPRIM_400000_NS6detail17trampoline_kernelINS0_14default_configENS1_35adjacent_difference_config_selectorILb1ElEEZNS1_24adjacent_difference_implIS3_Lb1ELb0EPlS7_ZN2at6native12_GLOBAL__N_124unique_dim_cuda_templateIaEESt5tupleIJNS8_6TensorESD_SD_EERKSD_lbbbEUlllE1_EE10hipError_tPvRmT2_T3_mT4_P12ihipStream_tbEUlT_E_NS1_11comp_targetILNS1_3genE3ELNS1_11target_archE908ELNS1_3gpuE7ELNS1_3repE0EEENS1_30default_config_static_selectorELNS0_4arch9wavefront6targetE0EEEvT1_.num_vgpr, 0
	.set _ZN7rocprim17ROCPRIM_400000_NS6detail17trampoline_kernelINS0_14default_configENS1_35adjacent_difference_config_selectorILb1ElEEZNS1_24adjacent_difference_implIS3_Lb1ELb0EPlS7_ZN2at6native12_GLOBAL__N_124unique_dim_cuda_templateIaEESt5tupleIJNS8_6TensorESD_SD_EERKSD_lbbbEUlllE1_EE10hipError_tPvRmT2_T3_mT4_P12ihipStream_tbEUlT_E_NS1_11comp_targetILNS1_3genE3ELNS1_11target_archE908ELNS1_3gpuE7ELNS1_3repE0EEENS1_30default_config_static_selectorELNS0_4arch9wavefront6targetE0EEEvT1_.num_agpr, 0
	.set _ZN7rocprim17ROCPRIM_400000_NS6detail17trampoline_kernelINS0_14default_configENS1_35adjacent_difference_config_selectorILb1ElEEZNS1_24adjacent_difference_implIS3_Lb1ELb0EPlS7_ZN2at6native12_GLOBAL__N_124unique_dim_cuda_templateIaEESt5tupleIJNS8_6TensorESD_SD_EERKSD_lbbbEUlllE1_EE10hipError_tPvRmT2_T3_mT4_P12ihipStream_tbEUlT_E_NS1_11comp_targetILNS1_3genE3ELNS1_11target_archE908ELNS1_3gpuE7ELNS1_3repE0EEENS1_30default_config_static_selectorELNS0_4arch9wavefront6targetE0EEEvT1_.numbered_sgpr, 0
	.set _ZN7rocprim17ROCPRIM_400000_NS6detail17trampoline_kernelINS0_14default_configENS1_35adjacent_difference_config_selectorILb1ElEEZNS1_24adjacent_difference_implIS3_Lb1ELb0EPlS7_ZN2at6native12_GLOBAL__N_124unique_dim_cuda_templateIaEESt5tupleIJNS8_6TensorESD_SD_EERKSD_lbbbEUlllE1_EE10hipError_tPvRmT2_T3_mT4_P12ihipStream_tbEUlT_E_NS1_11comp_targetILNS1_3genE3ELNS1_11target_archE908ELNS1_3gpuE7ELNS1_3repE0EEENS1_30default_config_static_selectorELNS0_4arch9wavefront6targetE0EEEvT1_.num_named_barrier, 0
	.set _ZN7rocprim17ROCPRIM_400000_NS6detail17trampoline_kernelINS0_14default_configENS1_35adjacent_difference_config_selectorILb1ElEEZNS1_24adjacent_difference_implIS3_Lb1ELb0EPlS7_ZN2at6native12_GLOBAL__N_124unique_dim_cuda_templateIaEESt5tupleIJNS8_6TensorESD_SD_EERKSD_lbbbEUlllE1_EE10hipError_tPvRmT2_T3_mT4_P12ihipStream_tbEUlT_E_NS1_11comp_targetILNS1_3genE3ELNS1_11target_archE908ELNS1_3gpuE7ELNS1_3repE0EEENS1_30default_config_static_selectorELNS0_4arch9wavefront6targetE0EEEvT1_.private_seg_size, 0
	.set _ZN7rocprim17ROCPRIM_400000_NS6detail17trampoline_kernelINS0_14default_configENS1_35adjacent_difference_config_selectorILb1ElEEZNS1_24adjacent_difference_implIS3_Lb1ELb0EPlS7_ZN2at6native12_GLOBAL__N_124unique_dim_cuda_templateIaEESt5tupleIJNS8_6TensorESD_SD_EERKSD_lbbbEUlllE1_EE10hipError_tPvRmT2_T3_mT4_P12ihipStream_tbEUlT_E_NS1_11comp_targetILNS1_3genE3ELNS1_11target_archE908ELNS1_3gpuE7ELNS1_3repE0EEENS1_30default_config_static_selectorELNS0_4arch9wavefront6targetE0EEEvT1_.uses_vcc, 0
	.set _ZN7rocprim17ROCPRIM_400000_NS6detail17trampoline_kernelINS0_14default_configENS1_35adjacent_difference_config_selectorILb1ElEEZNS1_24adjacent_difference_implIS3_Lb1ELb0EPlS7_ZN2at6native12_GLOBAL__N_124unique_dim_cuda_templateIaEESt5tupleIJNS8_6TensorESD_SD_EERKSD_lbbbEUlllE1_EE10hipError_tPvRmT2_T3_mT4_P12ihipStream_tbEUlT_E_NS1_11comp_targetILNS1_3genE3ELNS1_11target_archE908ELNS1_3gpuE7ELNS1_3repE0EEENS1_30default_config_static_selectorELNS0_4arch9wavefront6targetE0EEEvT1_.uses_flat_scratch, 0
	.set _ZN7rocprim17ROCPRIM_400000_NS6detail17trampoline_kernelINS0_14default_configENS1_35adjacent_difference_config_selectorILb1ElEEZNS1_24adjacent_difference_implIS3_Lb1ELb0EPlS7_ZN2at6native12_GLOBAL__N_124unique_dim_cuda_templateIaEESt5tupleIJNS8_6TensorESD_SD_EERKSD_lbbbEUlllE1_EE10hipError_tPvRmT2_T3_mT4_P12ihipStream_tbEUlT_E_NS1_11comp_targetILNS1_3genE3ELNS1_11target_archE908ELNS1_3gpuE7ELNS1_3repE0EEENS1_30default_config_static_selectorELNS0_4arch9wavefront6targetE0EEEvT1_.has_dyn_sized_stack, 0
	.set _ZN7rocprim17ROCPRIM_400000_NS6detail17trampoline_kernelINS0_14default_configENS1_35adjacent_difference_config_selectorILb1ElEEZNS1_24adjacent_difference_implIS3_Lb1ELb0EPlS7_ZN2at6native12_GLOBAL__N_124unique_dim_cuda_templateIaEESt5tupleIJNS8_6TensorESD_SD_EERKSD_lbbbEUlllE1_EE10hipError_tPvRmT2_T3_mT4_P12ihipStream_tbEUlT_E_NS1_11comp_targetILNS1_3genE3ELNS1_11target_archE908ELNS1_3gpuE7ELNS1_3repE0EEENS1_30default_config_static_selectorELNS0_4arch9wavefront6targetE0EEEvT1_.has_recursion, 0
	.set _ZN7rocprim17ROCPRIM_400000_NS6detail17trampoline_kernelINS0_14default_configENS1_35adjacent_difference_config_selectorILb1ElEEZNS1_24adjacent_difference_implIS3_Lb1ELb0EPlS7_ZN2at6native12_GLOBAL__N_124unique_dim_cuda_templateIaEESt5tupleIJNS8_6TensorESD_SD_EERKSD_lbbbEUlllE1_EE10hipError_tPvRmT2_T3_mT4_P12ihipStream_tbEUlT_E_NS1_11comp_targetILNS1_3genE3ELNS1_11target_archE908ELNS1_3gpuE7ELNS1_3repE0EEENS1_30default_config_static_selectorELNS0_4arch9wavefront6targetE0EEEvT1_.has_indirect_call, 0
	.section	.AMDGPU.csdata,"",@progbits
; Kernel info:
; codeLenInByte = 0
; TotalNumSgprs: 0
; NumVgprs: 0
; ScratchSize: 0
; MemoryBound: 0
; FloatMode: 240
; IeeeMode: 1
; LDSByteSize: 0 bytes/workgroup (compile time only)
; SGPRBlocks: 0
; VGPRBlocks: 0
; NumSGPRsForWavesPerEU: 1
; NumVGPRsForWavesPerEU: 1
; NamedBarCnt: 0
; Occupancy: 16
; WaveLimiterHint : 0
; COMPUTE_PGM_RSRC2:SCRATCH_EN: 0
; COMPUTE_PGM_RSRC2:USER_SGPR: 2
; COMPUTE_PGM_RSRC2:TRAP_HANDLER: 0
; COMPUTE_PGM_RSRC2:TGID_X_EN: 1
; COMPUTE_PGM_RSRC2:TGID_Y_EN: 0
; COMPUTE_PGM_RSRC2:TGID_Z_EN: 0
; COMPUTE_PGM_RSRC2:TIDIG_COMP_CNT: 0
	.section	.text._ZN7rocprim17ROCPRIM_400000_NS6detail17trampoline_kernelINS0_14default_configENS1_35adjacent_difference_config_selectorILb1ElEEZNS1_24adjacent_difference_implIS3_Lb1ELb0EPlS7_ZN2at6native12_GLOBAL__N_124unique_dim_cuda_templateIaEESt5tupleIJNS8_6TensorESD_SD_EERKSD_lbbbEUlllE1_EE10hipError_tPvRmT2_T3_mT4_P12ihipStream_tbEUlT_E_NS1_11comp_targetILNS1_3genE2ELNS1_11target_archE906ELNS1_3gpuE6ELNS1_3repE0EEENS1_30default_config_static_selectorELNS0_4arch9wavefront6targetE0EEEvT1_,"axG",@progbits,_ZN7rocprim17ROCPRIM_400000_NS6detail17trampoline_kernelINS0_14default_configENS1_35adjacent_difference_config_selectorILb1ElEEZNS1_24adjacent_difference_implIS3_Lb1ELb0EPlS7_ZN2at6native12_GLOBAL__N_124unique_dim_cuda_templateIaEESt5tupleIJNS8_6TensorESD_SD_EERKSD_lbbbEUlllE1_EE10hipError_tPvRmT2_T3_mT4_P12ihipStream_tbEUlT_E_NS1_11comp_targetILNS1_3genE2ELNS1_11target_archE906ELNS1_3gpuE6ELNS1_3repE0EEENS1_30default_config_static_selectorELNS0_4arch9wavefront6targetE0EEEvT1_,comdat
	.globl	_ZN7rocprim17ROCPRIM_400000_NS6detail17trampoline_kernelINS0_14default_configENS1_35adjacent_difference_config_selectorILb1ElEEZNS1_24adjacent_difference_implIS3_Lb1ELb0EPlS7_ZN2at6native12_GLOBAL__N_124unique_dim_cuda_templateIaEESt5tupleIJNS8_6TensorESD_SD_EERKSD_lbbbEUlllE1_EE10hipError_tPvRmT2_T3_mT4_P12ihipStream_tbEUlT_E_NS1_11comp_targetILNS1_3genE2ELNS1_11target_archE906ELNS1_3gpuE6ELNS1_3repE0EEENS1_30default_config_static_selectorELNS0_4arch9wavefront6targetE0EEEvT1_ ; -- Begin function _ZN7rocprim17ROCPRIM_400000_NS6detail17trampoline_kernelINS0_14default_configENS1_35adjacent_difference_config_selectorILb1ElEEZNS1_24adjacent_difference_implIS3_Lb1ELb0EPlS7_ZN2at6native12_GLOBAL__N_124unique_dim_cuda_templateIaEESt5tupleIJNS8_6TensorESD_SD_EERKSD_lbbbEUlllE1_EE10hipError_tPvRmT2_T3_mT4_P12ihipStream_tbEUlT_E_NS1_11comp_targetILNS1_3genE2ELNS1_11target_archE906ELNS1_3gpuE6ELNS1_3repE0EEENS1_30default_config_static_selectorELNS0_4arch9wavefront6targetE0EEEvT1_
	.p2align	8
	.type	_ZN7rocprim17ROCPRIM_400000_NS6detail17trampoline_kernelINS0_14default_configENS1_35adjacent_difference_config_selectorILb1ElEEZNS1_24adjacent_difference_implIS3_Lb1ELb0EPlS7_ZN2at6native12_GLOBAL__N_124unique_dim_cuda_templateIaEESt5tupleIJNS8_6TensorESD_SD_EERKSD_lbbbEUlllE1_EE10hipError_tPvRmT2_T3_mT4_P12ihipStream_tbEUlT_E_NS1_11comp_targetILNS1_3genE2ELNS1_11target_archE906ELNS1_3gpuE6ELNS1_3repE0EEENS1_30default_config_static_selectorELNS0_4arch9wavefront6targetE0EEEvT1_,@function
_ZN7rocprim17ROCPRIM_400000_NS6detail17trampoline_kernelINS0_14default_configENS1_35adjacent_difference_config_selectorILb1ElEEZNS1_24adjacent_difference_implIS3_Lb1ELb0EPlS7_ZN2at6native12_GLOBAL__N_124unique_dim_cuda_templateIaEESt5tupleIJNS8_6TensorESD_SD_EERKSD_lbbbEUlllE1_EE10hipError_tPvRmT2_T3_mT4_P12ihipStream_tbEUlT_E_NS1_11comp_targetILNS1_3genE2ELNS1_11target_archE906ELNS1_3gpuE6ELNS1_3repE0EEENS1_30default_config_static_selectorELNS0_4arch9wavefront6targetE0EEEvT1_: ; @_ZN7rocprim17ROCPRIM_400000_NS6detail17trampoline_kernelINS0_14default_configENS1_35adjacent_difference_config_selectorILb1ElEEZNS1_24adjacent_difference_implIS3_Lb1ELb0EPlS7_ZN2at6native12_GLOBAL__N_124unique_dim_cuda_templateIaEESt5tupleIJNS8_6TensorESD_SD_EERKSD_lbbbEUlllE1_EE10hipError_tPvRmT2_T3_mT4_P12ihipStream_tbEUlT_E_NS1_11comp_targetILNS1_3genE2ELNS1_11target_archE906ELNS1_3gpuE6ELNS1_3repE0EEENS1_30default_config_static_selectorELNS0_4arch9wavefront6targetE0EEEvT1_
; %bb.0:
	.section	.rodata,"a",@progbits
	.p2align	6, 0x0
	.amdhsa_kernel _ZN7rocprim17ROCPRIM_400000_NS6detail17trampoline_kernelINS0_14default_configENS1_35adjacent_difference_config_selectorILb1ElEEZNS1_24adjacent_difference_implIS3_Lb1ELb0EPlS7_ZN2at6native12_GLOBAL__N_124unique_dim_cuda_templateIaEESt5tupleIJNS8_6TensorESD_SD_EERKSD_lbbbEUlllE1_EE10hipError_tPvRmT2_T3_mT4_P12ihipStream_tbEUlT_E_NS1_11comp_targetILNS1_3genE2ELNS1_11target_archE906ELNS1_3gpuE6ELNS1_3repE0EEENS1_30default_config_static_selectorELNS0_4arch9wavefront6targetE0EEEvT1_
		.amdhsa_group_segment_fixed_size 0
		.amdhsa_private_segment_fixed_size 0
		.amdhsa_kernarg_size 64
		.amdhsa_user_sgpr_count 2
		.amdhsa_user_sgpr_dispatch_ptr 0
		.amdhsa_user_sgpr_queue_ptr 0
		.amdhsa_user_sgpr_kernarg_segment_ptr 1
		.amdhsa_user_sgpr_dispatch_id 0
		.amdhsa_user_sgpr_kernarg_preload_length 0
		.amdhsa_user_sgpr_kernarg_preload_offset 0
		.amdhsa_user_sgpr_private_segment_size 0
		.amdhsa_wavefront_size32 1
		.amdhsa_uses_dynamic_stack 0
		.amdhsa_enable_private_segment 0
		.amdhsa_system_sgpr_workgroup_id_x 1
		.amdhsa_system_sgpr_workgroup_id_y 0
		.amdhsa_system_sgpr_workgroup_id_z 0
		.amdhsa_system_sgpr_workgroup_info 0
		.amdhsa_system_vgpr_workitem_id 0
		.amdhsa_next_free_vgpr 1
		.amdhsa_next_free_sgpr 1
		.amdhsa_named_barrier_count 0
		.amdhsa_reserve_vcc 0
		.amdhsa_float_round_mode_32 0
		.amdhsa_float_round_mode_16_64 0
		.amdhsa_float_denorm_mode_32 3
		.amdhsa_float_denorm_mode_16_64 3
		.amdhsa_fp16_overflow 0
		.amdhsa_memory_ordered 1
		.amdhsa_forward_progress 1
		.amdhsa_inst_pref_size 0
		.amdhsa_round_robin_scheduling 0
		.amdhsa_exception_fp_ieee_invalid_op 0
		.amdhsa_exception_fp_denorm_src 0
		.amdhsa_exception_fp_ieee_div_zero 0
		.amdhsa_exception_fp_ieee_overflow 0
		.amdhsa_exception_fp_ieee_underflow 0
		.amdhsa_exception_fp_ieee_inexact 0
		.amdhsa_exception_int_div_zero 0
	.end_amdhsa_kernel
	.section	.text._ZN7rocprim17ROCPRIM_400000_NS6detail17trampoline_kernelINS0_14default_configENS1_35adjacent_difference_config_selectorILb1ElEEZNS1_24adjacent_difference_implIS3_Lb1ELb0EPlS7_ZN2at6native12_GLOBAL__N_124unique_dim_cuda_templateIaEESt5tupleIJNS8_6TensorESD_SD_EERKSD_lbbbEUlllE1_EE10hipError_tPvRmT2_T3_mT4_P12ihipStream_tbEUlT_E_NS1_11comp_targetILNS1_3genE2ELNS1_11target_archE906ELNS1_3gpuE6ELNS1_3repE0EEENS1_30default_config_static_selectorELNS0_4arch9wavefront6targetE0EEEvT1_,"axG",@progbits,_ZN7rocprim17ROCPRIM_400000_NS6detail17trampoline_kernelINS0_14default_configENS1_35adjacent_difference_config_selectorILb1ElEEZNS1_24adjacent_difference_implIS3_Lb1ELb0EPlS7_ZN2at6native12_GLOBAL__N_124unique_dim_cuda_templateIaEESt5tupleIJNS8_6TensorESD_SD_EERKSD_lbbbEUlllE1_EE10hipError_tPvRmT2_T3_mT4_P12ihipStream_tbEUlT_E_NS1_11comp_targetILNS1_3genE2ELNS1_11target_archE906ELNS1_3gpuE6ELNS1_3repE0EEENS1_30default_config_static_selectorELNS0_4arch9wavefront6targetE0EEEvT1_,comdat
.Lfunc_end316:
	.size	_ZN7rocprim17ROCPRIM_400000_NS6detail17trampoline_kernelINS0_14default_configENS1_35adjacent_difference_config_selectorILb1ElEEZNS1_24adjacent_difference_implIS3_Lb1ELb0EPlS7_ZN2at6native12_GLOBAL__N_124unique_dim_cuda_templateIaEESt5tupleIJNS8_6TensorESD_SD_EERKSD_lbbbEUlllE1_EE10hipError_tPvRmT2_T3_mT4_P12ihipStream_tbEUlT_E_NS1_11comp_targetILNS1_3genE2ELNS1_11target_archE906ELNS1_3gpuE6ELNS1_3repE0EEENS1_30default_config_static_selectorELNS0_4arch9wavefront6targetE0EEEvT1_, .Lfunc_end316-_ZN7rocprim17ROCPRIM_400000_NS6detail17trampoline_kernelINS0_14default_configENS1_35adjacent_difference_config_selectorILb1ElEEZNS1_24adjacent_difference_implIS3_Lb1ELb0EPlS7_ZN2at6native12_GLOBAL__N_124unique_dim_cuda_templateIaEESt5tupleIJNS8_6TensorESD_SD_EERKSD_lbbbEUlllE1_EE10hipError_tPvRmT2_T3_mT4_P12ihipStream_tbEUlT_E_NS1_11comp_targetILNS1_3genE2ELNS1_11target_archE906ELNS1_3gpuE6ELNS1_3repE0EEENS1_30default_config_static_selectorELNS0_4arch9wavefront6targetE0EEEvT1_
                                        ; -- End function
	.set _ZN7rocprim17ROCPRIM_400000_NS6detail17trampoline_kernelINS0_14default_configENS1_35adjacent_difference_config_selectorILb1ElEEZNS1_24adjacent_difference_implIS3_Lb1ELb0EPlS7_ZN2at6native12_GLOBAL__N_124unique_dim_cuda_templateIaEESt5tupleIJNS8_6TensorESD_SD_EERKSD_lbbbEUlllE1_EE10hipError_tPvRmT2_T3_mT4_P12ihipStream_tbEUlT_E_NS1_11comp_targetILNS1_3genE2ELNS1_11target_archE906ELNS1_3gpuE6ELNS1_3repE0EEENS1_30default_config_static_selectorELNS0_4arch9wavefront6targetE0EEEvT1_.num_vgpr, 0
	.set _ZN7rocprim17ROCPRIM_400000_NS6detail17trampoline_kernelINS0_14default_configENS1_35adjacent_difference_config_selectorILb1ElEEZNS1_24adjacent_difference_implIS3_Lb1ELb0EPlS7_ZN2at6native12_GLOBAL__N_124unique_dim_cuda_templateIaEESt5tupleIJNS8_6TensorESD_SD_EERKSD_lbbbEUlllE1_EE10hipError_tPvRmT2_T3_mT4_P12ihipStream_tbEUlT_E_NS1_11comp_targetILNS1_3genE2ELNS1_11target_archE906ELNS1_3gpuE6ELNS1_3repE0EEENS1_30default_config_static_selectorELNS0_4arch9wavefront6targetE0EEEvT1_.num_agpr, 0
	.set _ZN7rocprim17ROCPRIM_400000_NS6detail17trampoline_kernelINS0_14default_configENS1_35adjacent_difference_config_selectorILb1ElEEZNS1_24adjacent_difference_implIS3_Lb1ELb0EPlS7_ZN2at6native12_GLOBAL__N_124unique_dim_cuda_templateIaEESt5tupleIJNS8_6TensorESD_SD_EERKSD_lbbbEUlllE1_EE10hipError_tPvRmT2_T3_mT4_P12ihipStream_tbEUlT_E_NS1_11comp_targetILNS1_3genE2ELNS1_11target_archE906ELNS1_3gpuE6ELNS1_3repE0EEENS1_30default_config_static_selectorELNS0_4arch9wavefront6targetE0EEEvT1_.numbered_sgpr, 0
	.set _ZN7rocprim17ROCPRIM_400000_NS6detail17trampoline_kernelINS0_14default_configENS1_35adjacent_difference_config_selectorILb1ElEEZNS1_24adjacent_difference_implIS3_Lb1ELb0EPlS7_ZN2at6native12_GLOBAL__N_124unique_dim_cuda_templateIaEESt5tupleIJNS8_6TensorESD_SD_EERKSD_lbbbEUlllE1_EE10hipError_tPvRmT2_T3_mT4_P12ihipStream_tbEUlT_E_NS1_11comp_targetILNS1_3genE2ELNS1_11target_archE906ELNS1_3gpuE6ELNS1_3repE0EEENS1_30default_config_static_selectorELNS0_4arch9wavefront6targetE0EEEvT1_.num_named_barrier, 0
	.set _ZN7rocprim17ROCPRIM_400000_NS6detail17trampoline_kernelINS0_14default_configENS1_35adjacent_difference_config_selectorILb1ElEEZNS1_24adjacent_difference_implIS3_Lb1ELb0EPlS7_ZN2at6native12_GLOBAL__N_124unique_dim_cuda_templateIaEESt5tupleIJNS8_6TensorESD_SD_EERKSD_lbbbEUlllE1_EE10hipError_tPvRmT2_T3_mT4_P12ihipStream_tbEUlT_E_NS1_11comp_targetILNS1_3genE2ELNS1_11target_archE906ELNS1_3gpuE6ELNS1_3repE0EEENS1_30default_config_static_selectorELNS0_4arch9wavefront6targetE0EEEvT1_.private_seg_size, 0
	.set _ZN7rocprim17ROCPRIM_400000_NS6detail17trampoline_kernelINS0_14default_configENS1_35adjacent_difference_config_selectorILb1ElEEZNS1_24adjacent_difference_implIS3_Lb1ELb0EPlS7_ZN2at6native12_GLOBAL__N_124unique_dim_cuda_templateIaEESt5tupleIJNS8_6TensorESD_SD_EERKSD_lbbbEUlllE1_EE10hipError_tPvRmT2_T3_mT4_P12ihipStream_tbEUlT_E_NS1_11comp_targetILNS1_3genE2ELNS1_11target_archE906ELNS1_3gpuE6ELNS1_3repE0EEENS1_30default_config_static_selectorELNS0_4arch9wavefront6targetE0EEEvT1_.uses_vcc, 0
	.set _ZN7rocprim17ROCPRIM_400000_NS6detail17trampoline_kernelINS0_14default_configENS1_35adjacent_difference_config_selectorILb1ElEEZNS1_24adjacent_difference_implIS3_Lb1ELb0EPlS7_ZN2at6native12_GLOBAL__N_124unique_dim_cuda_templateIaEESt5tupleIJNS8_6TensorESD_SD_EERKSD_lbbbEUlllE1_EE10hipError_tPvRmT2_T3_mT4_P12ihipStream_tbEUlT_E_NS1_11comp_targetILNS1_3genE2ELNS1_11target_archE906ELNS1_3gpuE6ELNS1_3repE0EEENS1_30default_config_static_selectorELNS0_4arch9wavefront6targetE0EEEvT1_.uses_flat_scratch, 0
	.set _ZN7rocprim17ROCPRIM_400000_NS6detail17trampoline_kernelINS0_14default_configENS1_35adjacent_difference_config_selectorILb1ElEEZNS1_24adjacent_difference_implIS3_Lb1ELb0EPlS7_ZN2at6native12_GLOBAL__N_124unique_dim_cuda_templateIaEESt5tupleIJNS8_6TensorESD_SD_EERKSD_lbbbEUlllE1_EE10hipError_tPvRmT2_T3_mT4_P12ihipStream_tbEUlT_E_NS1_11comp_targetILNS1_3genE2ELNS1_11target_archE906ELNS1_3gpuE6ELNS1_3repE0EEENS1_30default_config_static_selectorELNS0_4arch9wavefront6targetE0EEEvT1_.has_dyn_sized_stack, 0
	.set _ZN7rocprim17ROCPRIM_400000_NS6detail17trampoline_kernelINS0_14default_configENS1_35adjacent_difference_config_selectorILb1ElEEZNS1_24adjacent_difference_implIS3_Lb1ELb0EPlS7_ZN2at6native12_GLOBAL__N_124unique_dim_cuda_templateIaEESt5tupleIJNS8_6TensorESD_SD_EERKSD_lbbbEUlllE1_EE10hipError_tPvRmT2_T3_mT4_P12ihipStream_tbEUlT_E_NS1_11comp_targetILNS1_3genE2ELNS1_11target_archE906ELNS1_3gpuE6ELNS1_3repE0EEENS1_30default_config_static_selectorELNS0_4arch9wavefront6targetE0EEEvT1_.has_recursion, 0
	.set _ZN7rocprim17ROCPRIM_400000_NS6detail17trampoline_kernelINS0_14default_configENS1_35adjacent_difference_config_selectorILb1ElEEZNS1_24adjacent_difference_implIS3_Lb1ELb0EPlS7_ZN2at6native12_GLOBAL__N_124unique_dim_cuda_templateIaEESt5tupleIJNS8_6TensorESD_SD_EERKSD_lbbbEUlllE1_EE10hipError_tPvRmT2_T3_mT4_P12ihipStream_tbEUlT_E_NS1_11comp_targetILNS1_3genE2ELNS1_11target_archE906ELNS1_3gpuE6ELNS1_3repE0EEENS1_30default_config_static_selectorELNS0_4arch9wavefront6targetE0EEEvT1_.has_indirect_call, 0
	.section	.AMDGPU.csdata,"",@progbits
; Kernel info:
; codeLenInByte = 0
; TotalNumSgprs: 0
; NumVgprs: 0
; ScratchSize: 0
; MemoryBound: 0
; FloatMode: 240
; IeeeMode: 1
; LDSByteSize: 0 bytes/workgroup (compile time only)
; SGPRBlocks: 0
; VGPRBlocks: 0
; NumSGPRsForWavesPerEU: 1
; NumVGPRsForWavesPerEU: 1
; NamedBarCnt: 0
; Occupancy: 16
; WaveLimiterHint : 0
; COMPUTE_PGM_RSRC2:SCRATCH_EN: 0
; COMPUTE_PGM_RSRC2:USER_SGPR: 2
; COMPUTE_PGM_RSRC2:TRAP_HANDLER: 0
; COMPUTE_PGM_RSRC2:TGID_X_EN: 1
; COMPUTE_PGM_RSRC2:TGID_Y_EN: 0
; COMPUTE_PGM_RSRC2:TGID_Z_EN: 0
; COMPUTE_PGM_RSRC2:TIDIG_COMP_CNT: 0
	.section	.text._ZN7rocprim17ROCPRIM_400000_NS6detail17trampoline_kernelINS0_14default_configENS1_35adjacent_difference_config_selectorILb1ElEEZNS1_24adjacent_difference_implIS3_Lb1ELb0EPlS7_ZN2at6native12_GLOBAL__N_124unique_dim_cuda_templateIaEESt5tupleIJNS8_6TensorESD_SD_EERKSD_lbbbEUlllE1_EE10hipError_tPvRmT2_T3_mT4_P12ihipStream_tbEUlT_E_NS1_11comp_targetILNS1_3genE9ELNS1_11target_archE1100ELNS1_3gpuE3ELNS1_3repE0EEENS1_30default_config_static_selectorELNS0_4arch9wavefront6targetE0EEEvT1_,"axG",@progbits,_ZN7rocprim17ROCPRIM_400000_NS6detail17trampoline_kernelINS0_14default_configENS1_35adjacent_difference_config_selectorILb1ElEEZNS1_24adjacent_difference_implIS3_Lb1ELb0EPlS7_ZN2at6native12_GLOBAL__N_124unique_dim_cuda_templateIaEESt5tupleIJNS8_6TensorESD_SD_EERKSD_lbbbEUlllE1_EE10hipError_tPvRmT2_T3_mT4_P12ihipStream_tbEUlT_E_NS1_11comp_targetILNS1_3genE9ELNS1_11target_archE1100ELNS1_3gpuE3ELNS1_3repE0EEENS1_30default_config_static_selectorELNS0_4arch9wavefront6targetE0EEEvT1_,comdat
	.globl	_ZN7rocprim17ROCPRIM_400000_NS6detail17trampoline_kernelINS0_14default_configENS1_35adjacent_difference_config_selectorILb1ElEEZNS1_24adjacent_difference_implIS3_Lb1ELb0EPlS7_ZN2at6native12_GLOBAL__N_124unique_dim_cuda_templateIaEESt5tupleIJNS8_6TensorESD_SD_EERKSD_lbbbEUlllE1_EE10hipError_tPvRmT2_T3_mT4_P12ihipStream_tbEUlT_E_NS1_11comp_targetILNS1_3genE9ELNS1_11target_archE1100ELNS1_3gpuE3ELNS1_3repE0EEENS1_30default_config_static_selectorELNS0_4arch9wavefront6targetE0EEEvT1_ ; -- Begin function _ZN7rocprim17ROCPRIM_400000_NS6detail17trampoline_kernelINS0_14default_configENS1_35adjacent_difference_config_selectorILb1ElEEZNS1_24adjacent_difference_implIS3_Lb1ELb0EPlS7_ZN2at6native12_GLOBAL__N_124unique_dim_cuda_templateIaEESt5tupleIJNS8_6TensorESD_SD_EERKSD_lbbbEUlllE1_EE10hipError_tPvRmT2_T3_mT4_P12ihipStream_tbEUlT_E_NS1_11comp_targetILNS1_3genE9ELNS1_11target_archE1100ELNS1_3gpuE3ELNS1_3repE0EEENS1_30default_config_static_selectorELNS0_4arch9wavefront6targetE0EEEvT1_
	.p2align	8
	.type	_ZN7rocprim17ROCPRIM_400000_NS6detail17trampoline_kernelINS0_14default_configENS1_35adjacent_difference_config_selectorILb1ElEEZNS1_24adjacent_difference_implIS3_Lb1ELb0EPlS7_ZN2at6native12_GLOBAL__N_124unique_dim_cuda_templateIaEESt5tupleIJNS8_6TensorESD_SD_EERKSD_lbbbEUlllE1_EE10hipError_tPvRmT2_T3_mT4_P12ihipStream_tbEUlT_E_NS1_11comp_targetILNS1_3genE9ELNS1_11target_archE1100ELNS1_3gpuE3ELNS1_3repE0EEENS1_30default_config_static_selectorELNS0_4arch9wavefront6targetE0EEEvT1_,@function
_ZN7rocprim17ROCPRIM_400000_NS6detail17trampoline_kernelINS0_14default_configENS1_35adjacent_difference_config_selectorILb1ElEEZNS1_24adjacent_difference_implIS3_Lb1ELb0EPlS7_ZN2at6native12_GLOBAL__N_124unique_dim_cuda_templateIaEESt5tupleIJNS8_6TensorESD_SD_EERKSD_lbbbEUlllE1_EE10hipError_tPvRmT2_T3_mT4_P12ihipStream_tbEUlT_E_NS1_11comp_targetILNS1_3genE9ELNS1_11target_archE1100ELNS1_3gpuE3ELNS1_3repE0EEENS1_30default_config_static_selectorELNS0_4arch9wavefront6targetE0EEEvT1_: ; @_ZN7rocprim17ROCPRIM_400000_NS6detail17trampoline_kernelINS0_14default_configENS1_35adjacent_difference_config_selectorILb1ElEEZNS1_24adjacent_difference_implIS3_Lb1ELb0EPlS7_ZN2at6native12_GLOBAL__N_124unique_dim_cuda_templateIaEESt5tupleIJNS8_6TensorESD_SD_EERKSD_lbbbEUlllE1_EE10hipError_tPvRmT2_T3_mT4_P12ihipStream_tbEUlT_E_NS1_11comp_targetILNS1_3genE9ELNS1_11target_archE1100ELNS1_3gpuE3ELNS1_3repE0EEENS1_30default_config_static_selectorELNS0_4arch9wavefront6targetE0EEEvT1_
; %bb.0:
	.section	.rodata,"a",@progbits
	.p2align	6, 0x0
	.amdhsa_kernel _ZN7rocprim17ROCPRIM_400000_NS6detail17trampoline_kernelINS0_14default_configENS1_35adjacent_difference_config_selectorILb1ElEEZNS1_24adjacent_difference_implIS3_Lb1ELb0EPlS7_ZN2at6native12_GLOBAL__N_124unique_dim_cuda_templateIaEESt5tupleIJNS8_6TensorESD_SD_EERKSD_lbbbEUlllE1_EE10hipError_tPvRmT2_T3_mT4_P12ihipStream_tbEUlT_E_NS1_11comp_targetILNS1_3genE9ELNS1_11target_archE1100ELNS1_3gpuE3ELNS1_3repE0EEENS1_30default_config_static_selectorELNS0_4arch9wavefront6targetE0EEEvT1_
		.amdhsa_group_segment_fixed_size 0
		.amdhsa_private_segment_fixed_size 0
		.amdhsa_kernarg_size 64
		.amdhsa_user_sgpr_count 2
		.amdhsa_user_sgpr_dispatch_ptr 0
		.amdhsa_user_sgpr_queue_ptr 0
		.amdhsa_user_sgpr_kernarg_segment_ptr 1
		.amdhsa_user_sgpr_dispatch_id 0
		.amdhsa_user_sgpr_kernarg_preload_length 0
		.amdhsa_user_sgpr_kernarg_preload_offset 0
		.amdhsa_user_sgpr_private_segment_size 0
		.amdhsa_wavefront_size32 1
		.amdhsa_uses_dynamic_stack 0
		.amdhsa_enable_private_segment 0
		.amdhsa_system_sgpr_workgroup_id_x 1
		.amdhsa_system_sgpr_workgroup_id_y 0
		.amdhsa_system_sgpr_workgroup_id_z 0
		.amdhsa_system_sgpr_workgroup_info 0
		.amdhsa_system_vgpr_workitem_id 0
		.amdhsa_next_free_vgpr 1
		.amdhsa_next_free_sgpr 1
		.amdhsa_named_barrier_count 0
		.amdhsa_reserve_vcc 0
		.amdhsa_float_round_mode_32 0
		.amdhsa_float_round_mode_16_64 0
		.amdhsa_float_denorm_mode_32 3
		.amdhsa_float_denorm_mode_16_64 3
		.amdhsa_fp16_overflow 0
		.amdhsa_memory_ordered 1
		.amdhsa_forward_progress 1
		.amdhsa_inst_pref_size 0
		.amdhsa_round_robin_scheduling 0
		.amdhsa_exception_fp_ieee_invalid_op 0
		.amdhsa_exception_fp_denorm_src 0
		.amdhsa_exception_fp_ieee_div_zero 0
		.amdhsa_exception_fp_ieee_overflow 0
		.amdhsa_exception_fp_ieee_underflow 0
		.amdhsa_exception_fp_ieee_inexact 0
		.amdhsa_exception_int_div_zero 0
	.end_amdhsa_kernel
	.section	.text._ZN7rocprim17ROCPRIM_400000_NS6detail17trampoline_kernelINS0_14default_configENS1_35adjacent_difference_config_selectorILb1ElEEZNS1_24adjacent_difference_implIS3_Lb1ELb0EPlS7_ZN2at6native12_GLOBAL__N_124unique_dim_cuda_templateIaEESt5tupleIJNS8_6TensorESD_SD_EERKSD_lbbbEUlllE1_EE10hipError_tPvRmT2_T3_mT4_P12ihipStream_tbEUlT_E_NS1_11comp_targetILNS1_3genE9ELNS1_11target_archE1100ELNS1_3gpuE3ELNS1_3repE0EEENS1_30default_config_static_selectorELNS0_4arch9wavefront6targetE0EEEvT1_,"axG",@progbits,_ZN7rocprim17ROCPRIM_400000_NS6detail17trampoline_kernelINS0_14default_configENS1_35adjacent_difference_config_selectorILb1ElEEZNS1_24adjacent_difference_implIS3_Lb1ELb0EPlS7_ZN2at6native12_GLOBAL__N_124unique_dim_cuda_templateIaEESt5tupleIJNS8_6TensorESD_SD_EERKSD_lbbbEUlllE1_EE10hipError_tPvRmT2_T3_mT4_P12ihipStream_tbEUlT_E_NS1_11comp_targetILNS1_3genE9ELNS1_11target_archE1100ELNS1_3gpuE3ELNS1_3repE0EEENS1_30default_config_static_selectorELNS0_4arch9wavefront6targetE0EEEvT1_,comdat
.Lfunc_end317:
	.size	_ZN7rocprim17ROCPRIM_400000_NS6detail17trampoline_kernelINS0_14default_configENS1_35adjacent_difference_config_selectorILb1ElEEZNS1_24adjacent_difference_implIS3_Lb1ELb0EPlS7_ZN2at6native12_GLOBAL__N_124unique_dim_cuda_templateIaEESt5tupleIJNS8_6TensorESD_SD_EERKSD_lbbbEUlllE1_EE10hipError_tPvRmT2_T3_mT4_P12ihipStream_tbEUlT_E_NS1_11comp_targetILNS1_3genE9ELNS1_11target_archE1100ELNS1_3gpuE3ELNS1_3repE0EEENS1_30default_config_static_selectorELNS0_4arch9wavefront6targetE0EEEvT1_, .Lfunc_end317-_ZN7rocprim17ROCPRIM_400000_NS6detail17trampoline_kernelINS0_14default_configENS1_35adjacent_difference_config_selectorILb1ElEEZNS1_24adjacent_difference_implIS3_Lb1ELb0EPlS7_ZN2at6native12_GLOBAL__N_124unique_dim_cuda_templateIaEESt5tupleIJNS8_6TensorESD_SD_EERKSD_lbbbEUlllE1_EE10hipError_tPvRmT2_T3_mT4_P12ihipStream_tbEUlT_E_NS1_11comp_targetILNS1_3genE9ELNS1_11target_archE1100ELNS1_3gpuE3ELNS1_3repE0EEENS1_30default_config_static_selectorELNS0_4arch9wavefront6targetE0EEEvT1_
                                        ; -- End function
	.set _ZN7rocprim17ROCPRIM_400000_NS6detail17trampoline_kernelINS0_14default_configENS1_35adjacent_difference_config_selectorILb1ElEEZNS1_24adjacent_difference_implIS3_Lb1ELb0EPlS7_ZN2at6native12_GLOBAL__N_124unique_dim_cuda_templateIaEESt5tupleIJNS8_6TensorESD_SD_EERKSD_lbbbEUlllE1_EE10hipError_tPvRmT2_T3_mT4_P12ihipStream_tbEUlT_E_NS1_11comp_targetILNS1_3genE9ELNS1_11target_archE1100ELNS1_3gpuE3ELNS1_3repE0EEENS1_30default_config_static_selectorELNS0_4arch9wavefront6targetE0EEEvT1_.num_vgpr, 0
	.set _ZN7rocprim17ROCPRIM_400000_NS6detail17trampoline_kernelINS0_14default_configENS1_35adjacent_difference_config_selectorILb1ElEEZNS1_24adjacent_difference_implIS3_Lb1ELb0EPlS7_ZN2at6native12_GLOBAL__N_124unique_dim_cuda_templateIaEESt5tupleIJNS8_6TensorESD_SD_EERKSD_lbbbEUlllE1_EE10hipError_tPvRmT2_T3_mT4_P12ihipStream_tbEUlT_E_NS1_11comp_targetILNS1_3genE9ELNS1_11target_archE1100ELNS1_3gpuE3ELNS1_3repE0EEENS1_30default_config_static_selectorELNS0_4arch9wavefront6targetE0EEEvT1_.num_agpr, 0
	.set _ZN7rocprim17ROCPRIM_400000_NS6detail17trampoline_kernelINS0_14default_configENS1_35adjacent_difference_config_selectorILb1ElEEZNS1_24adjacent_difference_implIS3_Lb1ELb0EPlS7_ZN2at6native12_GLOBAL__N_124unique_dim_cuda_templateIaEESt5tupleIJNS8_6TensorESD_SD_EERKSD_lbbbEUlllE1_EE10hipError_tPvRmT2_T3_mT4_P12ihipStream_tbEUlT_E_NS1_11comp_targetILNS1_3genE9ELNS1_11target_archE1100ELNS1_3gpuE3ELNS1_3repE0EEENS1_30default_config_static_selectorELNS0_4arch9wavefront6targetE0EEEvT1_.numbered_sgpr, 0
	.set _ZN7rocprim17ROCPRIM_400000_NS6detail17trampoline_kernelINS0_14default_configENS1_35adjacent_difference_config_selectorILb1ElEEZNS1_24adjacent_difference_implIS3_Lb1ELb0EPlS7_ZN2at6native12_GLOBAL__N_124unique_dim_cuda_templateIaEESt5tupleIJNS8_6TensorESD_SD_EERKSD_lbbbEUlllE1_EE10hipError_tPvRmT2_T3_mT4_P12ihipStream_tbEUlT_E_NS1_11comp_targetILNS1_3genE9ELNS1_11target_archE1100ELNS1_3gpuE3ELNS1_3repE0EEENS1_30default_config_static_selectorELNS0_4arch9wavefront6targetE0EEEvT1_.num_named_barrier, 0
	.set _ZN7rocprim17ROCPRIM_400000_NS6detail17trampoline_kernelINS0_14default_configENS1_35adjacent_difference_config_selectorILb1ElEEZNS1_24adjacent_difference_implIS3_Lb1ELb0EPlS7_ZN2at6native12_GLOBAL__N_124unique_dim_cuda_templateIaEESt5tupleIJNS8_6TensorESD_SD_EERKSD_lbbbEUlllE1_EE10hipError_tPvRmT2_T3_mT4_P12ihipStream_tbEUlT_E_NS1_11comp_targetILNS1_3genE9ELNS1_11target_archE1100ELNS1_3gpuE3ELNS1_3repE0EEENS1_30default_config_static_selectorELNS0_4arch9wavefront6targetE0EEEvT1_.private_seg_size, 0
	.set _ZN7rocprim17ROCPRIM_400000_NS6detail17trampoline_kernelINS0_14default_configENS1_35adjacent_difference_config_selectorILb1ElEEZNS1_24adjacent_difference_implIS3_Lb1ELb0EPlS7_ZN2at6native12_GLOBAL__N_124unique_dim_cuda_templateIaEESt5tupleIJNS8_6TensorESD_SD_EERKSD_lbbbEUlllE1_EE10hipError_tPvRmT2_T3_mT4_P12ihipStream_tbEUlT_E_NS1_11comp_targetILNS1_3genE9ELNS1_11target_archE1100ELNS1_3gpuE3ELNS1_3repE0EEENS1_30default_config_static_selectorELNS0_4arch9wavefront6targetE0EEEvT1_.uses_vcc, 0
	.set _ZN7rocprim17ROCPRIM_400000_NS6detail17trampoline_kernelINS0_14default_configENS1_35adjacent_difference_config_selectorILb1ElEEZNS1_24adjacent_difference_implIS3_Lb1ELb0EPlS7_ZN2at6native12_GLOBAL__N_124unique_dim_cuda_templateIaEESt5tupleIJNS8_6TensorESD_SD_EERKSD_lbbbEUlllE1_EE10hipError_tPvRmT2_T3_mT4_P12ihipStream_tbEUlT_E_NS1_11comp_targetILNS1_3genE9ELNS1_11target_archE1100ELNS1_3gpuE3ELNS1_3repE0EEENS1_30default_config_static_selectorELNS0_4arch9wavefront6targetE0EEEvT1_.uses_flat_scratch, 0
	.set _ZN7rocprim17ROCPRIM_400000_NS6detail17trampoline_kernelINS0_14default_configENS1_35adjacent_difference_config_selectorILb1ElEEZNS1_24adjacent_difference_implIS3_Lb1ELb0EPlS7_ZN2at6native12_GLOBAL__N_124unique_dim_cuda_templateIaEESt5tupleIJNS8_6TensorESD_SD_EERKSD_lbbbEUlllE1_EE10hipError_tPvRmT2_T3_mT4_P12ihipStream_tbEUlT_E_NS1_11comp_targetILNS1_3genE9ELNS1_11target_archE1100ELNS1_3gpuE3ELNS1_3repE0EEENS1_30default_config_static_selectorELNS0_4arch9wavefront6targetE0EEEvT1_.has_dyn_sized_stack, 0
	.set _ZN7rocprim17ROCPRIM_400000_NS6detail17trampoline_kernelINS0_14default_configENS1_35adjacent_difference_config_selectorILb1ElEEZNS1_24adjacent_difference_implIS3_Lb1ELb0EPlS7_ZN2at6native12_GLOBAL__N_124unique_dim_cuda_templateIaEESt5tupleIJNS8_6TensorESD_SD_EERKSD_lbbbEUlllE1_EE10hipError_tPvRmT2_T3_mT4_P12ihipStream_tbEUlT_E_NS1_11comp_targetILNS1_3genE9ELNS1_11target_archE1100ELNS1_3gpuE3ELNS1_3repE0EEENS1_30default_config_static_selectorELNS0_4arch9wavefront6targetE0EEEvT1_.has_recursion, 0
	.set _ZN7rocprim17ROCPRIM_400000_NS6detail17trampoline_kernelINS0_14default_configENS1_35adjacent_difference_config_selectorILb1ElEEZNS1_24adjacent_difference_implIS3_Lb1ELb0EPlS7_ZN2at6native12_GLOBAL__N_124unique_dim_cuda_templateIaEESt5tupleIJNS8_6TensorESD_SD_EERKSD_lbbbEUlllE1_EE10hipError_tPvRmT2_T3_mT4_P12ihipStream_tbEUlT_E_NS1_11comp_targetILNS1_3genE9ELNS1_11target_archE1100ELNS1_3gpuE3ELNS1_3repE0EEENS1_30default_config_static_selectorELNS0_4arch9wavefront6targetE0EEEvT1_.has_indirect_call, 0
	.section	.AMDGPU.csdata,"",@progbits
; Kernel info:
; codeLenInByte = 0
; TotalNumSgprs: 0
; NumVgprs: 0
; ScratchSize: 0
; MemoryBound: 0
; FloatMode: 240
; IeeeMode: 1
; LDSByteSize: 0 bytes/workgroup (compile time only)
; SGPRBlocks: 0
; VGPRBlocks: 0
; NumSGPRsForWavesPerEU: 1
; NumVGPRsForWavesPerEU: 1
; NamedBarCnt: 0
; Occupancy: 16
; WaveLimiterHint : 0
; COMPUTE_PGM_RSRC2:SCRATCH_EN: 0
; COMPUTE_PGM_RSRC2:USER_SGPR: 2
; COMPUTE_PGM_RSRC2:TRAP_HANDLER: 0
; COMPUTE_PGM_RSRC2:TGID_X_EN: 1
; COMPUTE_PGM_RSRC2:TGID_Y_EN: 0
; COMPUTE_PGM_RSRC2:TGID_Z_EN: 0
; COMPUTE_PGM_RSRC2:TIDIG_COMP_CNT: 0
	.section	.text._ZN7rocprim17ROCPRIM_400000_NS6detail17trampoline_kernelINS0_14default_configENS1_35adjacent_difference_config_selectorILb1ElEEZNS1_24adjacent_difference_implIS3_Lb1ELb0EPlS7_ZN2at6native12_GLOBAL__N_124unique_dim_cuda_templateIaEESt5tupleIJNS8_6TensorESD_SD_EERKSD_lbbbEUlllE1_EE10hipError_tPvRmT2_T3_mT4_P12ihipStream_tbEUlT_E_NS1_11comp_targetILNS1_3genE8ELNS1_11target_archE1030ELNS1_3gpuE2ELNS1_3repE0EEENS1_30default_config_static_selectorELNS0_4arch9wavefront6targetE0EEEvT1_,"axG",@progbits,_ZN7rocprim17ROCPRIM_400000_NS6detail17trampoline_kernelINS0_14default_configENS1_35adjacent_difference_config_selectorILb1ElEEZNS1_24adjacent_difference_implIS3_Lb1ELb0EPlS7_ZN2at6native12_GLOBAL__N_124unique_dim_cuda_templateIaEESt5tupleIJNS8_6TensorESD_SD_EERKSD_lbbbEUlllE1_EE10hipError_tPvRmT2_T3_mT4_P12ihipStream_tbEUlT_E_NS1_11comp_targetILNS1_3genE8ELNS1_11target_archE1030ELNS1_3gpuE2ELNS1_3repE0EEENS1_30default_config_static_selectorELNS0_4arch9wavefront6targetE0EEEvT1_,comdat
	.globl	_ZN7rocprim17ROCPRIM_400000_NS6detail17trampoline_kernelINS0_14default_configENS1_35adjacent_difference_config_selectorILb1ElEEZNS1_24adjacent_difference_implIS3_Lb1ELb0EPlS7_ZN2at6native12_GLOBAL__N_124unique_dim_cuda_templateIaEESt5tupleIJNS8_6TensorESD_SD_EERKSD_lbbbEUlllE1_EE10hipError_tPvRmT2_T3_mT4_P12ihipStream_tbEUlT_E_NS1_11comp_targetILNS1_3genE8ELNS1_11target_archE1030ELNS1_3gpuE2ELNS1_3repE0EEENS1_30default_config_static_selectorELNS0_4arch9wavefront6targetE0EEEvT1_ ; -- Begin function _ZN7rocprim17ROCPRIM_400000_NS6detail17trampoline_kernelINS0_14default_configENS1_35adjacent_difference_config_selectorILb1ElEEZNS1_24adjacent_difference_implIS3_Lb1ELb0EPlS7_ZN2at6native12_GLOBAL__N_124unique_dim_cuda_templateIaEESt5tupleIJNS8_6TensorESD_SD_EERKSD_lbbbEUlllE1_EE10hipError_tPvRmT2_T3_mT4_P12ihipStream_tbEUlT_E_NS1_11comp_targetILNS1_3genE8ELNS1_11target_archE1030ELNS1_3gpuE2ELNS1_3repE0EEENS1_30default_config_static_selectorELNS0_4arch9wavefront6targetE0EEEvT1_
	.p2align	8
	.type	_ZN7rocprim17ROCPRIM_400000_NS6detail17trampoline_kernelINS0_14default_configENS1_35adjacent_difference_config_selectorILb1ElEEZNS1_24adjacent_difference_implIS3_Lb1ELb0EPlS7_ZN2at6native12_GLOBAL__N_124unique_dim_cuda_templateIaEESt5tupleIJNS8_6TensorESD_SD_EERKSD_lbbbEUlllE1_EE10hipError_tPvRmT2_T3_mT4_P12ihipStream_tbEUlT_E_NS1_11comp_targetILNS1_3genE8ELNS1_11target_archE1030ELNS1_3gpuE2ELNS1_3repE0EEENS1_30default_config_static_selectorELNS0_4arch9wavefront6targetE0EEEvT1_,@function
_ZN7rocprim17ROCPRIM_400000_NS6detail17trampoline_kernelINS0_14default_configENS1_35adjacent_difference_config_selectorILb1ElEEZNS1_24adjacent_difference_implIS3_Lb1ELb0EPlS7_ZN2at6native12_GLOBAL__N_124unique_dim_cuda_templateIaEESt5tupleIJNS8_6TensorESD_SD_EERKSD_lbbbEUlllE1_EE10hipError_tPvRmT2_T3_mT4_P12ihipStream_tbEUlT_E_NS1_11comp_targetILNS1_3genE8ELNS1_11target_archE1030ELNS1_3gpuE2ELNS1_3repE0EEENS1_30default_config_static_selectorELNS0_4arch9wavefront6targetE0EEEvT1_: ; @_ZN7rocprim17ROCPRIM_400000_NS6detail17trampoline_kernelINS0_14default_configENS1_35adjacent_difference_config_selectorILb1ElEEZNS1_24adjacent_difference_implIS3_Lb1ELb0EPlS7_ZN2at6native12_GLOBAL__N_124unique_dim_cuda_templateIaEESt5tupleIJNS8_6TensorESD_SD_EERKSD_lbbbEUlllE1_EE10hipError_tPvRmT2_T3_mT4_P12ihipStream_tbEUlT_E_NS1_11comp_targetILNS1_3genE8ELNS1_11target_archE1030ELNS1_3gpuE2ELNS1_3repE0EEENS1_30default_config_static_selectorELNS0_4arch9wavefront6targetE0EEEvT1_
; %bb.0:
	.section	.rodata,"a",@progbits
	.p2align	6, 0x0
	.amdhsa_kernel _ZN7rocprim17ROCPRIM_400000_NS6detail17trampoline_kernelINS0_14default_configENS1_35adjacent_difference_config_selectorILb1ElEEZNS1_24adjacent_difference_implIS3_Lb1ELb0EPlS7_ZN2at6native12_GLOBAL__N_124unique_dim_cuda_templateIaEESt5tupleIJNS8_6TensorESD_SD_EERKSD_lbbbEUlllE1_EE10hipError_tPvRmT2_T3_mT4_P12ihipStream_tbEUlT_E_NS1_11comp_targetILNS1_3genE8ELNS1_11target_archE1030ELNS1_3gpuE2ELNS1_3repE0EEENS1_30default_config_static_selectorELNS0_4arch9wavefront6targetE0EEEvT1_
		.amdhsa_group_segment_fixed_size 0
		.amdhsa_private_segment_fixed_size 0
		.amdhsa_kernarg_size 64
		.amdhsa_user_sgpr_count 2
		.amdhsa_user_sgpr_dispatch_ptr 0
		.amdhsa_user_sgpr_queue_ptr 0
		.amdhsa_user_sgpr_kernarg_segment_ptr 1
		.amdhsa_user_sgpr_dispatch_id 0
		.amdhsa_user_sgpr_kernarg_preload_length 0
		.amdhsa_user_sgpr_kernarg_preload_offset 0
		.amdhsa_user_sgpr_private_segment_size 0
		.amdhsa_wavefront_size32 1
		.amdhsa_uses_dynamic_stack 0
		.amdhsa_enable_private_segment 0
		.amdhsa_system_sgpr_workgroup_id_x 1
		.amdhsa_system_sgpr_workgroup_id_y 0
		.amdhsa_system_sgpr_workgroup_id_z 0
		.amdhsa_system_sgpr_workgroup_info 0
		.amdhsa_system_vgpr_workitem_id 0
		.amdhsa_next_free_vgpr 1
		.amdhsa_next_free_sgpr 1
		.amdhsa_named_barrier_count 0
		.amdhsa_reserve_vcc 0
		.amdhsa_float_round_mode_32 0
		.amdhsa_float_round_mode_16_64 0
		.amdhsa_float_denorm_mode_32 3
		.amdhsa_float_denorm_mode_16_64 3
		.amdhsa_fp16_overflow 0
		.amdhsa_memory_ordered 1
		.amdhsa_forward_progress 1
		.amdhsa_inst_pref_size 0
		.amdhsa_round_robin_scheduling 0
		.amdhsa_exception_fp_ieee_invalid_op 0
		.amdhsa_exception_fp_denorm_src 0
		.amdhsa_exception_fp_ieee_div_zero 0
		.amdhsa_exception_fp_ieee_overflow 0
		.amdhsa_exception_fp_ieee_underflow 0
		.amdhsa_exception_fp_ieee_inexact 0
		.amdhsa_exception_int_div_zero 0
	.end_amdhsa_kernel
	.section	.text._ZN7rocprim17ROCPRIM_400000_NS6detail17trampoline_kernelINS0_14default_configENS1_35adjacent_difference_config_selectorILb1ElEEZNS1_24adjacent_difference_implIS3_Lb1ELb0EPlS7_ZN2at6native12_GLOBAL__N_124unique_dim_cuda_templateIaEESt5tupleIJNS8_6TensorESD_SD_EERKSD_lbbbEUlllE1_EE10hipError_tPvRmT2_T3_mT4_P12ihipStream_tbEUlT_E_NS1_11comp_targetILNS1_3genE8ELNS1_11target_archE1030ELNS1_3gpuE2ELNS1_3repE0EEENS1_30default_config_static_selectorELNS0_4arch9wavefront6targetE0EEEvT1_,"axG",@progbits,_ZN7rocprim17ROCPRIM_400000_NS6detail17trampoline_kernelINS0_14default_configENS1_35adjacent_difference_config_selectorILb1ElEEZNS1_24adjacent_difference_implIS3_Lb1ELb0EPlS7_ZN2at6native12_GLOBAL__N_124unique_dim_cuda_templateIaEESt5tupleIJNS8_6TensorESD_SD_EERKSD_lbbbEUlllE1_EE10hipError_tPvRmT2_T3_mT4_P12ihipStream_tbEUlT_E_NS1_11comp_targetILNS1_3genE8ELNS1_11target_archE1030ELNS1_3gpuE2ELNS1_3repE0EEENS1_30default_config_static_selectorELNS0_4arch9wavefront6targetE0EEEvT1_,comdat
.Lfunc_end318:
	.size	_ZN7rocprim17ROCPRIM_400000_NS6detail17trampoline_kernelINS0_14default_configENS1_35adjacent_difference_config_selectorILb1ElEEZNS1_24adjacent_difference_implIS3_Lb1ELb0EPlS7_ZN2at6native12_GLOBAL__N_124unique_dim_cuda_templateIaEESt5tupleIJNS8_6TensorESD_SD_EERKSD_lbbbEUlllE1_EE10hipError_tPvRmT2_T3_mT4_P12ihipStream_tbEUlT_E_NS1_11comp_targetILNS1_3genE8ELNS1_11target_archE1030ELNS1_3gpuE2ELNS1_3repE0EEENS1_30default_config_static_selectorELNS0_4arch9wavefront6targetE0EEEvT1_, .Lfunc_end318-_ZN7rocprim17ROCPRIM_400000_NS6detail17trampoline_kernelINS0_14default_configENS1_35adjacent_difference_config_selectorILb1ElEEZNS1_24adjacent_difference_implIS3_Lb1ELb0EPlS7_ZN2at6native12_GLOBAL__N_124unique_dim_cuda_templateIaEESt5tupleIJNS8_6TensorESD_SD_EERKSD_lbbbEUlllE1_EE10hipError_tPvRmT2_T3_mT4_P12ihipStream_tbEUlT_E_NS1_11comp_targetILNS1_3genE8ELNS1_11target_archE1030ELNS1_3gpuE2ELNS1_3repE0EEENS1_30default_config_static_selectorELNS0_4arch9wavefront6targetE0EEEvT1_
                                        ; -- End function
	.set _ZN7rocprim17ROCPRIM_400000_NS6detail17trampoline_kernelINS0_14default_configENS1_35adjacent_difference_config_selectorILb1ElEEZNS1_24adjacent_difference_implIS3_Lb1ELb0EPlS7_ZN2at6native12_GLOBAL__N_124unique_dim_cuda_templateIaEESt5tupleIJNS8_6TensorESD_SD_EERKSD_lbbbEUlllE1_EE10hipError_tPvRmT2_T3_mT4_P12ihipStream_tbEUlT_E_NS1_11comp_targetILNS1_3genE8ELNS1_11target_archE1030ELNS1_3gpuE2ELNS1_3repE0EEENS1_30default_config_static_selectorELNS0_4arch9wavefront6targetE0EEEvT1_.num_vgpr, 0
	.set _ZN7rocprim17ROCPRIM_400000_NS6detail17trampoline_kernelINS0_14default_configENS1_35adjacent_difference_config_selectorILb1ElEEZNS1_24adjacent_difference_implIS3_Lb1ELb0EPlS7_ZN2at6native12_GLOBAL__N_124unique_dim_cuda_templateIaEESt5tupleIJNS8_6TensorESD_SD_EERKSD_lbbbEUlllE1_EE10hipError_tPvRmT2_T3_mT4_P12ihipStream_tbEUlT_E_NS1_11comp_targetILNS1_3genE8ELNS1_11target_archE1030ELNS1_3gpuE2ELNS1_3repE0EEENS1_30default_config_static_selectorELNS0_4arch9wavefront6targetE0EEEvT1_.num_agpr, 0
	.set _ZN7rocprim17ROCPRIM_400000_NS6detail17trampoline_kernelINS0_14default_configENS1_35adjacent_difference_config_selectorILb1ElEEZNS1_24adjacent_difference_implIS3_Lb1ELb0EPlS7_ZN2at6native12_GLOBAL__N_124unique_dim_cuda_templateIaEESt5tupleIJNS8_6TensorESD_SD_EERKSD_lbbbEUlllE1_EE10hipError_tPvRmT2_T3_mT4_P12ihipStream_tbEUlT_E_NS1_11comp_targetILNS1_3genE8ELNS1_11target_archE1030ELNS1_3gpuE2ELNS1_3repE0EEENS1_30default_config_static_selectorELNS0_4arch9wavefront6targetE0EEEvT1_.numbered_sgpr, 0
	.set _ZN7rocprim17ROCPRIM_400000_NS6detail17trampoline_kernelINS0_14default_configENS1_35adjacent_difference_config_selectorILb1ElEEZNS1_24adjacent_difference_implIS3_Lb1ELb0EPlS7_ZN2at6native12_GLOBAL__N_124unique_dim_cuda_templateIaEESt5tupleIJNS8_6TensorESD_SD_EERKSD_lbbbEUlllE1_EE10hipError_tPvRmT2_T3_mT4_P12ihipStream_tbEUlT_E_NS1_11comp_targetILNS1_3genE8ELNS1_11target_archE1030ELNS1_3gpuE2ELNS1_3repE0EEENS1_30default_config_static_selectorELNS0_4arch9wavefront6targetE0EEEvT1_.num_named_barrier, 0
	.set _ZN7rocprim17ROCPRIM_400000_NS6detail17trampoline_kernelINS0_14default_configENS1_35adjacent_difference_config_selectorILb1ElEEZNS1_24adjacent_difference_implIS3_Lb1ELb0EPlS7_ZN2at6native12_GLOBAL__N_124unique_dim_cuda_templateIaEESt5tupleIJNS8_6TensorESD_SD_EERKSD_lbbbEUlllE1_EE10hipError_tPvRmT2_T3_mT4_P12ihipStream_tbEUlT_E_NS1_11comp_targetILNS1_3genE8ELNS1_11target_archE1030ELNS1_3gpuE2ELNS1_3repE0EEENS1_30default_config_static_selectorELNS0_4arch9wavefront6targetE0EEEvT1_.private_seg_size, 0
	.set _ZN7rocprim17ROCPRIM_400000_NS6detail17trampoline_kernelINS0_14default_configENS1_35adjacent_difference_config_selectorILb1ElEEZNS1_24adjacent_difference_implIS3_Lb1ELb0EPlS7_ZN2at6native12_GLOBAL__N_124unique_dim_cuda_templateIaEESt5tupleIJNS8_6TensorESD_SD_EERKSD_lbbbEUlllE1_EE10hipError_tPvRmT2_T3_mT4_P12ihipStream_tbEUlT_E_NS1_11comp_targetILNS1_3genE8ELNS1_11target_archE1030ELNS1_3gpuE2ELNS1_3repE0EEENS1_30default_config_static_selectorELNS0_4arch9wavefront6targetE0EEEvT1_.uses_vcc, 0
	.set _ZN7rocprim17ROCPRIM_400000_NS6detail17trampoline_kernelINS0_14default_configENS1_35adjacent_difference_config_selectorILb1ElEEZNS1_24adjacent_difference_implIS3_Lb1ELb0EPlS7_ZN2at6native12_GLOBAL__N_124unique_dim_cuda_templateIaEESt5tupleIJNS8_6TensorESD_SD_EERKSD_lbbbEUlllE1_EE10hipError_tPvRmT2_T3_mT4_P12ihipStream_tbEUlT_E_NS1_11comp_targetILNS1_3genE8ELNS1_11target_archE1030ELNS1_3gpuE2ELNS1_3repE0EEENS1_30default_config_static_selectorELNS0_4arch9wavefront6targetE0EEEvT1_.uses_flat_scratch, 0
	.set _ZN7rocprim17ROCPRIM_400000_NS6detail17trampoline_kernelINS0_14default_configENS1_35adjacent_difference_config_selectorILb1ElEEZNS1_24adjacent_difference_implIS3_Lb1ELb0EPlS7_ZN2at6native12_GLOBAL__N_124unique_dim_cuda_templateIaEESt5tupleIJNS8_6TensorESD_SD_EERKSD_lbbbEUlllE1_EE10hipError_tPvRmT2_T3_mT4_P12ihipStream_tbEUlT_E_NS1_11comp_targetILNS1_3genE8ELNS1_11target_archE1030ELNS1_3gpuE2ELNS1_3repE0EEENS1_30default_config_static_selectorELNS0_4arch9wavefront6targetE0EEEvT1_.has_dyn_sized_stack, 0
	.set _ZN7rocprim17ROCPRIM_400000_NS6detail17trampoline_kernelINS0_14default_configENS1_35adjacent_difference_config_selectorILb1ElEEZNS1_24adjacent_difference_implIS3_Lb1ELb0EPlS7_ZN2at6native12_GLOBAL__N_124unique_dim_cuda_templateIaEESt5tupleIJNS8_6TensorESD_SD_EERKSD_lbbbEUlllE1_EE10hipError_tPvRmT2_T3_mT4_P12ihipStream_tbEUlT_E_NS1_11comp_targetILNS1_3genE8ELNS1_11target_archE1030ELNS1_3gpuE2ELNS1_3repE0EEENS1_30default_config_static_selectorELNS0_4arch9wavefront6targetE0EEEvT1_.has_recursion, 0
	.set _ZN7rocprim17ROCPRIM_400000_NS6detail17trampoline_kernelINS0_14default_configENS1_35adjacent_difference_config_selectorILb1ElEEZNS1_24adjacent_difference_implIS3_Lb1ELb0EPlS7_ZN2at6native12_GLOBAL__N_124unique_dim_cuda_templateIaEESt5tupleIJNS8_6TensorESD_SD_EERKSD_lbbbEUlllE1_EE10hipError_tPvRmT2_T3_mT4_P12ihipStream_tbEUlT_E_NS1_11comp_targetILNS1_3genE8ELNS1_11target_archE1030ELNS1_3gpuE2ELNS1_3repE0EEENS1_30default_config_static_selectorELNS0_4arch9wavefront6targetE0EEEvT1_.has_indirect_call, 0
	.section	.AMDGPU.csdata,"",@progbits
; Kernel info:
; codeLenInByte = 0
; TotalNumSgprs: 0
; NumVgprs: 0
; ScratchSize: 0
; MemoryBound: 0
; FloatMode: 240
; IeeeMode: 1
; LDSByteSize: 0 bytes/workgroup (compile time only)
; SGPRBlocks: 0
; VGPRBlocks: 0
; NumSGPRsForWavesPerEU: 1
; NumVGPRsForWavesPerEU: 1
; NamedBarCnt: 0
; Occupancy: 16
; WaveLimiterHint : 0
; COMPUTE_PGM_RSRC2:SCRATCH_EN: 0
; COMPUTE_PGM_RSRC2:USER_SGPR: 2
; COMPUTE_PGM_RSRC2:TRAP_HANDLER: 0
; COMPUTE_PGM_RSRC2:TGID_X_EN: 1
; COMPUTE_PGM_RSRC2:TGID_Y_EN: 0
; COMPUTE_PGM_RSRC2:TGID_Z_EN: 0
; COMPUTE_PGM_RSRC2:TIDIG_COMP_CNT: 0
	.section	.text._ZN7rocprim17ROCPRIM_400000_NS6detail17trampoline_kernelINS0_14default_configENS1_25partition_config_selectorILNS1_17partition_subalgoE8ElNS0_10empty_typeEbEEZZNS1_14partition_implILS5_8ELb0ES3_jPlPS6_PKS6_NS0_5tupleIJS9_S6_EEENSD_IJSA_SA_EEENS0_18inequality_wrapperIZN2at6native12_GLOBAL__N_124unique_dim_cuda_templateIaEESt5tupleIJNSH_6TensorESM_SM_EERKSM_lbbbEUlllE0_EEPmJS6_EEE10hipError_tPvRmT3_T4_T5_T6_T7_T9_mT8_P12ihipStream_tbDpT10_ENKUlT_T0_E_clISt17integral_constantIbLb0EES1C_EEDaS17_S18_EUlS17_E_NS1_11comp_targetILNS1_3genE0ELNS1_11target_archE4294967295ELNS1_3gpuE0ELNS1_3repE0EEENS1_30default_config_static_selectorELNS0_4arch9wavefront6targetE0EEEvT1_,"axG",@progbits,_ZN7rocprim17ROCPRIM_400000_NS6detail17trampoline_kernelINS0_14default_configENS1_25partition_config_selectorILNS1_17partition_subalgoE8ElNS0_10empty_typeEbEEZZNS1_14partition_implILS5_8ELb0ES3_jPlPS6_PKS6_NS0_5tupleIJS9_S6_EEENSD_IJSA_SA_EEENS0_18inequality_wrapperIZN2at6native12_GLOBAL__N_124unique_dim_cuda_templateIaEESt5tupleIJNSH_6TensorESM_SM_EERKSM_lbbbEUlllE0_EEPmJS6_EEE10hipError_tPvRmT3_T4_T5_T6_T7_T9_mT8_P12ihipStream_tbDpT10_ENKUlT_T0_E_clISt17integral_constantIbLb0EES1C_EEDaS17_S18_EUlS17_E_NS1_11comp_targetILNS1_3genE0ELNS1_11target_archE4294967295ELNS1_3gpuE0ELNS1_3repE0EEENS1_30default_config_static_selectorELNS0_4arch9wavefront6targetE0EEEvT1_,comdat
	.globl	_ZN7rocprim17ROCPRIM_400000_NS6detail17trampoline_kernelINS0_14default_configENS1_25partition_config_selectorILNS1_17partition_subalgoE8ElNS0_10empty_typeEbEEZZNS1_14partition_implILS5_8ELb0ES3_jPlPS6_PKS6_NS0_5tupleIJS9_S6_EEENSD_IJSA_SA_EEENS0_18inequality_wrapperIZN2at6native12_GLOBAL__N_124unique_dim_cuda_templateIaEESt5tupleIJNSH_6TensorESM_SM_EERKSM_lbbbEUlllE0_EEPmJS6_EEE10hipError_tPvRmT3_T4_T5_T6_T7_T9_mT8_P12ihipStream_tbDpT10_ENKUlT_T0_E_clISt17integral_constantIbLb0EES1C_EEDaS17_S18_EUlS17_E_NS1_11comp_targetILNS1_3genE0ELNS1_11target_archE4294967295ELNS1_3gpuE0ELNS1_3repE0EEENS1_30default_config_static_selectorELNS0_4arch9wavefront6targetE0EEEvT1_ ; -- Begin function _ZN7rocprim17ROCPRIM_400000_NS6detail17trampoline_kernelINS0_14default_configENS1_25partition_config_selectorILNS1_17partition_subalgoE8ElNS0_10empty_typeEbEEZZNS1_14partition_implILS5_8ELb0ES3_jPlPS6_PKS6_NS0_5tupleIJS9_S6_EEENSD_IJSA_SA_EEENS0_18inequality_wrapperIZN2at6native12_GLOBAL__N_124unique_dim_cuda_templateIaEESt5tupleIJNSH_6TensorESM_SM_EERKSM_lbbbEUlllE0_EEPmJS6_EEE10hipError_tPvRmT3_T4_T5_T6_T7_T9_mT8_P12ihipStream_tbDpT10_ENKUlT_T0_E_clISt17integral_constantIbLb0EES1C_EEDaS17_S18_EUlS17_E_NS1_11comp_targetILNS1_3genE0ELNS1_11target_archE4294967295ELNS1_3gpuE0ELNS1_3repE0EEENS1_30default_config_static_selectorELNS0_4arch9wavefront6targetE0EEEvT1_
	.p2align	8
	.type	_ZN7rocprim17ROCPRIM_400000_NS6detail17trampoline_kernelINS0_14default_configENS1_25partition_config_selectorILNS1_17partition_subalgoE8ElNS0_10empty_typeEbEEZZNS1_14partition_implILS5_8ELb0ES3_jPlPS6_PKS6_NS0_5tupleIJS9_S6_EEENSD_IJSA_SA_EEENS0_18inequality_wrapperIZN2at6native12_GLOBAL__N_124unique_dim_cuda_templateIaEESt5tupleIJNSH_6TensorESM_SM_EERKSM_lbbbEUlllE0_EEPmJS6_EEE10hipError_tPvRmT3_T4_T5_T6_T7_T9_mT8_P12ihipStream_tbDpT10_ENKUlT_T0_E_clISt17integral_constantIbLb0EES1C_EEDaS17_S18_EUlS17_E_NS1_11comp_targetILNS1_3genE0ELNS1_11target_archE4294967295ELNS1_3gpuE0ELNS1_3repE0EEENS1_30default_config_static_selectorELNS0_4arch9wavefront6targetE0EEEvT1_,@function
_ZN7rocprim17ROCPRIM_400000_NS6detail17trampoline_kernelINS0_14default_configENS1_25partition_config_selectorILNS1_17partition_subalgoE8ElNS0_10empty_typeEbEEZZNS1_14partition_implILS5_8ELb0ES3_jPlPS6_PKS6_NS0_5tupleIJS9_S6_EEENSD_IJSA_SA_EEENS0_18inequality_wrapperIZN2at6native12_GLOBAL__N_124unique_dim_cuda_templateIaEESt5tupleIJNSH_6TensorESM_SM_EERKSM_lbbbEUlllE0_EEPmJS6_EEE10hipError_tPvRmT3_T4_T5_T6_T7_T9_mT8_P12ihipStream_tbDpT10_ENKUlT_T0_E_clISt17integral_constantIbLb0EES1C_EEDaS17_S18_EUlS17_E_NS1_11comp_targetILNS1_3genE0ELNS1_11target_archE4294967295ELNS1_3gpuE0ELNS1_3repE0EEENS1_30default_config_static_selectorELNS0_4arch9wavefront6targetE0EEEvT1_: ; @_ZN7rocprim17ROCPRIM_400000_NS6detail17trampoline_kernelINS0_14default_configENS1_25partition_config_selectorILNS1_17partition_subalgoE8ElNS0_10empty_typeEbEEZZNS1_14partition_implILS5_8ELb0ES3_jPlPS6_PKS6_NS0_5tupleIJS9_S6_EEENSD_IJSA_SA_EEENS0_18inequality_wrapperIZN2at6native12_GLOBAL__N_124unique_dim_cuda_templateIaEESt5tupleIJNSH_6TensorESM_SM_EERKSM_lbbbEUlllE0_EEPmJS6_EEE10hipError_tPvRmT3_T4_T5_T6_T7_T9_mT8_P12ihipStream_tbDpT10_ENKUlT_T0_E_clISt17integral_constantIbLb0EES1C_EEDaS17_S18_EUlS17_E_NS1_11comp_targetILNS1_3genE0ELNS1_11target_archE4294967295ELNS1_3gpuE0ELNS1_3repE0EEENS1_30default_config_static_selectorELNS0_4arch9wavefront6targetE0EEEvT1_
; %bb.0:
	s_clause 0x3
	s_load_b128 s[4:7], s[0:1], 0x8
	s_load_b256 s[12:19], s[0:1], 0x40
	s_load_b32 s24, s[0:1], 0x70
	s_load_b128 s[8:11], s[0:1], 0x60
	s_bfe_u32 s20, ttmp6, 0x4000c
	s_and_b32 s2, ttmp6, 15
	s_add_co_i32 s20, s20, 1
	s_mov_b32 s3, 0
	s_mul_i32 s20, ttmp9, s20
	s_getreg_b32 s22, hwreg(HW_REG_IB_STS2, 6, 4)
	s_add_co_i32 s20, s2, s20
	s_mov_b32 s25, s3
	v_dual_mov_b32 v1, v0 :: v_dual_lshlrev_b32 v18, 3, v0
	s_mov_b32 s21, -1
	s_wait_kmcnt 0x0
	s_lshl_b64 s[26:27], s[6:7], 3
	s_load_b64 s[14:15], s[14:15], 0x0
	s_mul_i32 s2, s24, 0xe00
	s_cmp_eq_u32 s22, 0
	s_add_nc_u64 s[22:23], s[6:7], s[2:3]
	s_cselect_b32 s20, ttmp9, s20
	s_add_co_i32 s2, s2, s6
	v_cmp_le_u64_e64 s17, s[16:17], s[22:23]
	s_add_co_i32 s24, s24, -1
	s_sub_co_i32 s23, s16, s2
	s_cmp_eq_u32 s20, s24
	s_mul_i32 s24, s20, 0xe00
	s_cselect_b32 s16, -1, 0
	s_add_nc_u64 s[2:3], s[4:5], s[26:27]
	s_and_b32 s22, s16, s17
	s_lshl_b64 s[4:5], s[24:25], 3
	s_xor_b32 s17, s22, -1
	s_add_nc_u64 s[2:3], s[2:3], s[4:5]
	s_and_b32 vcc_lo, exec_lo, s17
	s_cbranch_vccz .LBB319_2
; %bb.1:
	s_clause 0x6
	global_load_b64 v[2:3], v0, s[2:3] scale_offset
	global_load_b64 v[4:5], v0, s[2:3] offset:4096 scale_offset
	global_load_b64 v[6:7], v0, s[2:3] offset:8192 scale_offset
	global_load_b64 v[8:9], v0, s[2:3] offset:12288 scale_offset
	global_load_b64 v[10:11], v0, s[2:3] offset:16384 scale_offset
	global_load_b64 v[12:13], v0, s[2:3] offset:20480 scale_offset
	global_load_b64 v[14:15], v0, s[2:3] offset:24576 scale_offset
	v_lshlrev_b32_e32 v16, 3, v0
	s_mov_b32 s21, 0
	s_wait_loadcnt 0x5
	ds_store_2addr_stride64_b64 v16, v[2:3], v[4:5] offset1:8
	s_wait_loadcnt 0x3
	ds_store_2addr_stride64_b64 v16, v[6:7], v[8:9] offset0:16 offset1:24
	s_wait_loadcnt 0x1
	ds_store_2addr_stride64_b64 v16, v[10:11], v[12:13] offset0:32 offset1:40
	s_wait_loadcnt 0x0
	ds_store_b64 v16, v[14:15] offset:24576
	s_wait_dscnt 0x0
	s_barrier_signal -1
	s_barrier_wait -1
.LBB319_2:
	s_and_not1_b32 vcc_lo, exec_lo, s21
	s_add_co_i32 s21, s23, 0xe00
	s_cbranch_vccnz .LBB319_18
; %bb.3:
	v_mov_b32_e32 v2, 0
	s_mov_b32 s4, exec_lo
	s_delay_alu instid0(VALU_DEP_1)
	v_dual_mov_b32 v3, v2 :: v_dual_mov_b32 v4, v2
	v_dual_mov_b32 v5, v2 :: v_dual_mov_b32 v6, v2
	;; [unrolled: 1-line block ×6, first 2 shown]
	v_mov_b32_e32 v15, v2
	v_cmpx_gt_u32_e64 s21, v0
	s_cbranch_execz .LBB319_5
; %bb.4:
	global_load_b64 v[4:5], v0, s[2:3] scale_offset
	v_dual_mov_b32 v6, v2 :: v_dual_mov_b32 v7, v2
	v_dual_mov_b32 v8, v2 :: v_dual_mov_b32 v9, v2
	;; [unrolled: 1-line block ×6, first 2 shown]
	s_wait_loadcnt 0x0
	v_mov_b64_e32 v[2:3], v[4:5]
	v_mov_b64_e32 v[4:5], v[6:7]
	v_mov_b64_e32 v[6:7], v[8:9]
	v_mov_b64_e32 v[8:9], v[10:11]
	v_mov_b64_e32 v[10:11], v[12:13]
	v_mov_b64_e32 v[12:13], v[14:15]
	v_mov_b64_e32 v[14:15], v[16:17]
	v_mov_b64_e32 v[16:17], v[18:19]
.LBB319_5:
	s_or_b32 exec_lo, exec_lo, s4
	v_or_b32_e32 v16, 0x200, v0
	s_mov_b32 s4, exec_lo
	s_delay_alu instid0(VALU_DEP_1)
	v_cmpx_gt_u32_e64 s21, v16
	s_cbranch_execz .LBB319_7
; %bb.6:
	global_load_b64 v[4:5], v0, s[2:3] offset:4096 scale_offset
.LBB319_7:
	s_wait_xcnt 0x0
	s_or_b32 exec_lo, exec_lo, s4
	v_or_b32_e32 v16, 0x400, v0
	s_mov_b32 s4, exec_lo
	s_delay_alu instid0(VALU_DEP_1)
	v_cmpx_gt_u32_e64 s21, v16
	s_cbranch_execz .LBB319_9
; %bb.8:
	global_load_b64 v[6:7], v0, s[2:3] offset:8192 scale_offset
.LBB319_9:
	s_wait_xcnt 0x0
	;; [unrolled: 10-line block ×6, first 2 shown]
	s_or_b32 exec_lo, exec_lo, s4
	v_lshlrev_b32_e32 v16, 3, v0
	s_wait_loadcnt 0x0
	ds_store_2addr_stride64_b64 v16, v[2:3], v[4:5] offset1:8
	ds_store_2addr_stride64_b64 v16, v[6:7], v[8:9] offset0:16 offset1:24
	ds_store_2addr_stride64_b64 v16, v[10:11], v[12:13] offset0:32 offset1:40
	ds_store_b64 v16, v[14:15] offset:24576
	s_wait_dscnt 0x0
	s_barrier_signal -1
	s_barrier_wait -1
.LBB319_18:
	v_mul_u32_u24_e32 v19, 7, v0
	s_cmp_lg_u32 s20, 0
	v_cmp_gt_i64_e64 s24, s[18:19], 0
	s_cselect_b32 s23, -1, 0
	v_lshlrev_b32_e32 v26, 3, v19
	s_cmp_lg_u64 s[6:7], 0
	s_mov_b32 s6, 0
	s_cselect_b32 s4, -1, 0
	ds_load_2addr_b64 v[10:13], v26 offset1:1
	ds_load_2addr_b64 v[6:9], v26 offset0:2 offset1:3
	ds_load_2addr_b64 v[2:5], v26 offset0:4 offset1:5
	ds_load_b64 v[14:15], v26 offset:48
	s_or_b32 s4, s23, s4
	s_wait_dscnt 0x0
	s_and_b32 vcc_lo, exec_lo, s4
	s_barrier_signal -1
	s_barrier_wait -1
	s_cbranch_vccz .LBB319_34
; %bb.19:
	s_add_nc_u64 s[2:3], s[2:3], -8
	v_cndmask_b32_e64 v27, 0, 1, s24
	s_load_b64 s[4:5], s[2:3], 0x0
	v_lshlrev_b32_e32 v28, 3, v0
	s_and_b32 vcc_lo, exec_lo, s17
	s_wait_xcnt 0x0
	v_cmp_ne_u32_e64 s2, 1, v27
	ds_store_b64 v28, v[14:15]
	s_cbranch_vccz .LBB319_36
; %bb.20:
	s_and_b32 vcc_lo, exec_lo, s2
	s_cbranch_vccnz .LBB319_37
; %bb.21:
	v_mad_nc_u64_u32 v[16:17], v4, s18, s[8:9]
	v_mad_nc_u64_u32 v[20:21], v14, s18, s[8:9]
	s_add_nc_u64 s[6:7], s[18:19], -1
	s_mov_b32 s26, 0
	s_mov_b64 s[2:3], s[6:7]
                                        ; implicit-def: $sgpr25
	s_delay_alu instid0(VALU_DEP_2) | instskip(NEXT) | instid1(VALU_DEP_2)
	v_mad_u32 v17, v5, s18, v17
	v_mad_u32 v21, v15, s18, v21
	s_delay_alu instid0(VALU_DEP_2) | instskip(NEXT) | instid1(VALU_DEP_2)
	v_mad_u32 v17, v4, s19, v17
	v_mad_u32 v21, v14, s19, v21
	s_delay_alu instid0(VALU_DEP_2)
	v_mov_b64_e32 v[22:23], v[16:17]
.LBB319_22:                             ; =>This Inner Loop Header: Depth=1
	global_load_u8 v24, v[22:23], off
	global_load_u8 v25, v[20:21], off
	s_cmp_eq_u64 s[2:3], 0
	s_add_nc_u64 s[28:29], s[2:3], -1
	s_cselect_b32 s3, -1, 0
	s_wait_xcnt 0x1
	v_add_nc_u64_e32 v[22:23], 1, v[22:23]
	s_wait_xcnt 0x0
	v_add_nc_u64_e32 v[20:21], 1, v[20:21]
	s_wait_loadcnt 0x0
	v_cmp_ne_u16_e32 vcc_lo, v24, v25
	v_cmp_eq_u16_e64 s2, v24, v25
	s_or_b32 s3, vcc_lo, s3
	s_delay_alu instid0(SALU_CYCLE_1) | instskip(NEXT) | instid1(SALU_CYCLE_1)
	s_and_b32 s3, exec_lo, s3
	s_or_b32 s26, s3, s26
	s_and_not1_b32 s25, s25, exec_lo
	s_and_b32 s27, s2, exec_lo
	s_mov_b64 s[2:3], s[28:29]
	s_or_b32 s25, s25, s27
	s_and_not1_b32 exec_lo, exec_lo, s26
	s_cbranch_execnz .LBB319_22
; %bb.23:
	s_or_b32 exec_lo, exec_lo, s26
	v_mad_nc_u64_u32 v[20:21], v2, s18, s[8:9]
	s_mov_b32 s27, 0
	s_mov_b64 s[2:3], s[6:7]
                                        ; implicit-def: $sgpr26
	s_delay_alu instid0(VALU_DEP_1) | instskip(NEXT) | instid1(VALU_DEP_1)
	v_mad_u32 v21, v3, s18, v21
	v_mad_u32 v21, v2, s19, v21
	s_delay_alu instid0(VALU_DEP_1)
	v_mov_b64_e32 v[22:23], v[20:21]
.LBB319_24:                             ; =>This Inner Loop Header: Depth=1
	global_load_u8 v24, v[22:23], off
	global_load_u8 v25, v[16:17], off
	s_cmp_eq_u64 s[2:3], 0
	s_add_nc_u64 s[28:29], s[2:3], -1
	s_cselect_b32 s3, -1, 0
	s_wait_xcnt 0x1
	v_add_nc_u64_e32 v[22:23], 1, v[22:23]
	s_wait_xcnt 0x0
	v_add_nc_u64_e32 v[16:17], 1, v[16:17]
	s_wait_loadcnt 0x0
	v_cmp_ne_u16_e32 vcc_lo, v24, v25
	v_cmp_eq_u16_e64 s2, v24, v25
	s_or_b32 s3, vcc_lo, s3
	s_delay_alu instid0(SALU_CYCLE_1) | instskip(NEXT) | instid1(SALU_CYCLE_1)
	s_and_b32 s3, exec_lo, s3
	s_or_b32 s27, s3, s27
	s_and_not1_b32 s26, s26, exec_lo
	s_and_b32 s30, s2, exec_lo
	s_mov_b64 s[2:3], s[28:29]
	s_or_b32 s26, s26, s30
	s_and_not1_b32 exec_lo, exec_lo, s27
	s_cbranch_execnz .LBB319_24
; %bb.25:
	s_or_b32 exec_lo, exec_lo, s27
	v_mad_nc_u64_u32 v[16:17], v8, s18, s[8:9]
	s_mov_b32 s28, 0
	s_mov_b64 s[2:3], s[6:7]
                                        ; implicit-def: $sgpr27
	s_delay_alu instid0(VALU_DEP_1) | instskip(NEXT) | instid1(VALU_DEP_1)
	v_mad_u32 v17, v9, s18, v17
	v_mad_u32 v17, v8, s19, v17
	s_delay_alu instid0(VALU_DEP_1)
	v_mov_b64_e32 v[22:23], v[16:17]
.LBB319_26:                             ; =>This Inner Loop Header: Depth=1
	global_load_u8 v24, v[22:23], off
	global_load_u8 v25, v[20:21], off
	s_cmp_eq_u64 s[2:3], 0
	s_add_nc_u64 s[30:31], s[2:3], -1
	s_cselect_b32 s3, -1, 0
	s_wait_xcnt 0x1
	v_add_nc_u64_e32 v[22:23], 1, v[22:23]
	s_wait_xcnt 0x0
	v_add_nc_u64_e32 v[20:21], 1, v[20:21]
	s_wait_loadcnt 0x0
	v_cmp_ne_u16_e32 vcc_lo, v24, v25
	v_cmp_eq_u16_e64 s2, v24, v25
	s_or_b32 s3, vcc_lo, s3
	s_delay_alu instid0(SALU_CYCLE_1) | instskip(NEXT) | instid1(SALU_CYCLE_1)
	s_and_b32 s3, exec_lo, s3
	s_or_b32 s28, s3, s28
	s_and_not1_b32 s27, s27, exec_lo
	s_and_b32 s29, s2, exec_lo
	s_mov_b64 s[2:3], s[30:31]
	s_or_b32 s27, s27, s29
	s_and_not1_b32 exec_lo, exec_lo, s28
	s_cbranch_execnz .LBB319_26
; %bb.27:
	s_or_b32 exec_lo, exec_lo, s28
	v_mad_nc_u64_u32 v[20:21], v6, s18, s[8:9]
	s_mov_b32 s29, 0
	s_mov_b64 s[2:3], s[6:7]
                                        ; implicit-def: $sgpr28
	s_delay_alu instid0(VALU_DEP_1) | instskip(NEXT) | instid1(VALU_DEP_1)
	v_mad_u32 v21, v7, s18, v21
	v_mad_u32 v21, v6, s19, v21
	s_delay_alu instid0(VALU_DEP_1)
	v_mov_b64_e32 v[22:23], v[20:21]
.LBB319_28:                             ; =>This Inner Loop Header: Depth=1
	global_load_u8 v24, v[22:23], off
	global_load_u8 v25, v[16:17], off
	s_cmp_eq_u64 s[2:3], 0
	s_add_nc_u64 s[30:31], s[2:3], -1
	s_cselect_b32 s3, -1, 0
	s_wait_xcnt 0x1
	v_add_nc_u64_e32 v[22:23], 1, v[22:23]
	s_wait_xcnt 0x0
	v_add_nc_u64_e32 v[16:17], 1, v[16:17]
	s_wait_loadcnt 0x0
	v_cmp_ne_u16_e32 vcc_lo, v24, v25
	v_cmp_eq_u16_e64 s2, v24, v25
	s_or_b32 s3, vcc_lo, s3
	s_delay_alu instid0(SALU_CYCLE_1) | instskip(NEXT) | instid1(SALU_CYCLE_1)
	s_and_b32 s3, exec_lo, s3
	s_or_b32 s29, s3, s29
	s_and_not1_b32 s28, s28, exec_lo
	s_and_b32 s33, s2, exec_lo
	s_mov_b64 s[2:3], s[30:31]
	s_or_b32 s28, s28, s33
	s_and_not1_b32 exec_lo, exec_lo, s29
	s_cbranch_execnz .LBB319_28
; %bb.29:
	s_or_b32 exec_lo, exec_lo, s29
	v_mad_nc_u64_u32 v[16:17], v12, s18, s[8:9]
	s_mov_b32 s30, 0
	s_mov_b64 s[2:3], s[6:7]
                                        ; implicit-def: $sgpr29
	s_delay_alu instid0(VALU_DEP_1) | instskip(NEXT) | instid1(VALU_DEP_1)
	v_mad_u32 v17, v13, s18, v17
	v_mad_u32 v17, v12, s19, v17
	s_delay_alu instid0(VALU_DEP_1)
	v_mov_b64_e32 v[22:23], v[16:17]
.LBB319_30:                             ; =>This Inner Loop Header: Depth=1
	global_load_u8 v24, v[22:23], off
	global_load_u8 v25, v[20:21], off
	s_cmp_eq_u64 s[2:3], 0
	s_add_nc_u64 s[34:35], s[2:3], -1
	s_cselect_b32 s3, -1, 0
	s_wait_xcnt 0x1
	v_add_nc_u64_e32 v[22:23], 1, v[22:23]
	s_wait_xcnt 0x0
	v_add_nc_u64_e32 v[20:21], 1, v[20:21]
	s_wait_loadcnt 0x0
	v_cmp_ne_u16_e32 vcc_lo, v24, v25
	v_cmp_eq_u16_e64 s2, v24, v25
	s_or_b32 s3, vcc_lo, s3
	s_delay_alu instid0(SALU_CYCLE_1) | instskip(NEXT) | instid1(SALU_CYCLE_1)
	s_and_b32 s3, exec_lo, s3
	s_or_b32 s30, s3, s30
	s_and_not1_b32 s29, s29, exec_lo
	s_and_b32 s31, s2, exec_lo
	s_mov_b64 s[2:3], s[34:35]
	s_or_b32 s29, s29, s31
	s_and_not1_b32 exec_lo, exec_lo, s30
	s_cbranch_execnz .LBB319_30
; %bb.31:
	s_or_b32 exec_lo, exec_lo, s30
	v_mad_nc_u64_u32 v[20:21], v10, s18, s[8:9]
	s_mov_b32 s30, 0
                                        ; implicit-def: $sgpr3
	s_delay_alu instid0(VALU_DEP_1) | instskip(NEXT) | instid1(VALU_DEP_1)
	v_mad_u32 v21, v11, s18, v21
	v_mad_u32 v21, v10, s19, v21
.LBB319_32:                             ; =>This Inner Loop Header: Depth=1
	global_load_u8 v22, v[20:21], off
	global_load_u8 v23, v[16:17], off
	s_cmp_eq_u64 s[6:7], 0
	s_add_nc_u64 s[34:35], s[6:7], -1
	s_cselect_b32 s6, -1, 0
	s_wait_xcnt 0x1
	v_add_nc_u64_e32 v[20:21], 1, v[20:21]
	s_wait_xcnt 0x0
	v_add_nc_u64_e32 v[16:17], 1, v[16:17]
	s_wait_loadcnt 0x0
	v_cmp_ne_u16_e32 vcc_lo, v22, v23
	v_cmp_eq_u16_e64 s2, v22, v23
	s_or_b32 s6, vcc_lo, s6
	s_delay_alu instid0(SALU_CYCLE_1) | instskip(NEXT) | instid1(SALU_CYCLE_1)
	s_and_b32 s6, exec_lo, s6
	s_or_b32 s30, s6, s30
	s_and_not1_b32 s3, s3, exec_lo
	s_and_b32 s2, s2, exec_lo
	s_mov_b64 s[6:7], s[34:35]
	s_or_b32 s3, s3, s2
	s_and_not1_b32 exec_lo, exec_lo, s30
	s_cbranch_execnz .LBB319_32
; %bb.33:
	s_or_b32 exec_lo, exec_lo, s30
	s_xor_b32 s2, s28, -1
	s_xor_b32 s3, s3, -1
	v_cndmask_b32_e64 v16, 0, 1, s2
	s_xor_b32 s2, s29, -1
	s_delay_alu instid0(SALU_CYCLE_1) | instskip(SKIP_1) | instid1(VALU_DEP_2)
	v_cndmask_b32_e64 v17, 0, 1, s2
	s_xor_b32 s2, s26, -1
	v_lshlrev_b16 v16, 8, v16
	v_cndmask_b32_e64 v31, 0, 1, s2
	s_xor_b32 s2, s25, -1
	s_delay_alu instid0(SALU_CYCLE_1) | instskip(NEXT) | instid1(VALU_DEP_3)
	v_cndmask_b32_e64 v30, 0, 1, s2
	v_lshrrev_b32_e32 v16, 8, v16
	s_xor_b32 s2, s27, -1
	s_delay_alu instid0(VALU_DEP_1) | instskip(NEXT) | instid1(VALU_DEP_1)
	v_and_b32_e32 v16, 1, v16
	v_lshlrev_b16 v16, 8, v16
	s_delay_alu instid0(VALU_DEP_1) | instskip(SKIP_1) | instid1(VALU_DEP_2)
	v_or_b32_e32 v16, v17, v16
	v_cndmask_b32_e64 v17, 0, 1, s2
	v_lshlrev_b32_e32 v16, 16, v16
	s_branch .LBB319_38
.LBB319_34:
                                        ; implicit-def: $sgpr2
                                        ; implicit-def: $vgpr30
                                        ; implicit-def: $vgpr31
                                        ; implicit-def: $vgpr17
                                        ; implicit-def: $vgpr21
	s_branch .LBB319_91
.LBB319_35:
                                        ; implicit-def: $vgpr33
                                        ; implicit-def: $vgpr32
                                        ; implicit-def: $vgpr20
	s_branch .LBB319_160
.LBB319_36:
                                        ; implicit-def: $sgpr2
                                        ; implicit-def: $vgpr30
                                        ; implicit-def: $vgpr31
                                        ; implicit-def: $vgpr17
                                        ; implicit-def: $vgpr21
	s_cbranch_execnz .LBB319_45
	s_branch .LBB319_90
.LBB319_37:
	v_dual_mov_b32 v16, 0 :: v_dual_mov_b32 v30, 0
	v_dual_mov_b32 v31, 0 :: v_dual_mov_b32 v17, 0
	s_mov_b32 s3, 0
.LBB319_38:
	s_wait_kmcnt 0x0
	v_mov_b64_e32 v[24:25], s[4:5]
	s_mov_b32 s2, 0
	s_mov_b32 s6, exec_lo
	s_wait_dscnt 0x0
	s_barrier_signal -1
	s_barrier_wait -1
	v_cmpx_ne_u32_e32 0, v0
; %bb.39:
	v_add_nc_u32_e32 v20, -8, v28
	ds_load_b64 v[24:25], v20
; %bb.40:
	s_or_b32 exec_lo, exec_lo, s6
	v_cndmask_b32_e64 v20, 0, 1, s3
	v_lshrrev_b32_e32 v21, 16, v16
	s_and_not1_b32 vcc_lo, exec_lo, s24
	s_delay_alu instid0(VALU_DEP_2) | instskip(NEXT) | instid1(VALU_DEP_1)
	v_lshlrev_b16 v20, 8, v20
	v_bitop3_b16 v20, v16, v20, 0xff bitop3:0xec
	s_delay_alu instid0(VALU_DEP_3) | instskip(NEXT) | instid1(VALU_DEP_2)
	v_perm_b32 v16, v21, v16, 0xc0c0304
	v_and_b32_e32 v29, 0xffff, v20
	s_cbranch_vccnz .LBB319_44
; %bb.41:
	s_wait_dscnt 0x0
	v_mad_nc_u64_u32 v[20:21], v24, s18, s[8:9]
	v_mad_nc_u64_u32 v[22:23], v10, s18, s[8:9]
	s_add_nc_u64 s[2:3], s[18:19], -1
	s_mov_b32 s6, 0
                                        ; implicit-def: $sgpr7
	s_delay_alu instid0(VALU_DEP_2) | instskip(NEXT) | instid1(VALU_DEP_2)
	v_mad_u32 v21, v25, s18, v21
	v_mad_u32 v23, v11, s18, v23
	s_delay_alu instid0(VALU_DEP_2) | instskip(NEXT) | instid1(VALU_DEP_2)
	v_mad_u32 v21, v24, s19, v21
	v_mad_u32 v23, v10, s19, v23
.LBB319_42:                             ; =>This Inner Loop Header: Depth=1
	global_load_u8 v24, v[20:21], off
	global_load_u8 v25, v[22:23], off
	s_cmp_eq_u64 s[2:3], 0
	s_add_nc_u64 s[26:27], s[2:3], -1
	s_cselect_b32 s3, -1, 0
	s_wait_xcnt 0x1
	v_add_nc_u64_e32 v[20:21], 1, v[20:21]
	s_wait_xcnt 0x0
	v_add_nc_u64_e32 v[22:23], 1, v[22:23]
	s_wait_loadcnt 0x0
	v_cmp_ne_u16_e32 vcc_lo, v24, v25
	v_cmp_eq_u16_e64 s2, v24, v25
	s_or_b32 s3, vcc_lo, s3
	s_delay_alu instid0(SALU_CYCLE_1) | instskip(NEXT) | instid1(SALU_CYCLE_1)
	s_and_b32 s3, exec_lo, s3
	s_or_b32 s6, s3, s6
	s_and_not1_b32 s7, s7, exec_lo
	s_and_b32 s25, s2, exec_lo
	s_mov_b64 s[2:3], s[26:27]
	s_or_b32 s7, s7, s25
	s_and_not1_b32 exec_lo, exec_lo, s6
	s_cbranch_execnz .LBB319_42
; %bb.43:
	s_or_b32 exec_lo, exec_lo, s6
	s_xor_b32 s2, s7, -1
.LBB319_44:
	s_delay_alu instid0(VALU_DEP_1)
	v_lshl_or_b32 v21, v16, 16, v29
	s_branch .LBB319_90
.LBB319_45:
	v_add_nc_u32_e32 v16, 6, v19
	s_mov_b32 s7, 0
	s_mov_b32 s6, 0
	s_mov_b32 s25, exec_lo
	s_delay_alu instid0(VALU_DEP_1)
	v_cmpx_gt_u32_e64 s21, v16
	s_cbranch_execz .LBB319_51
; %bb.46:
	s_and_not1_b32 vcc_lo, exec_lo, s24
	s_mov_b32 s2, 0
	s_cbranch_vccnz .LBB319_50
; %bb.47:
	v_mad_nc_u64_u32 v[16:17], v4, s18, s[8:9]
	v_mad_nc_u64_u32 v[20:21], v14, s18, s[8:9]
	s_add_nc_u64 s[2:3], s[18:19], -1
                                        ; implicit-def: $sgpr24
	s_delay_alu instid0(VALU_DEP_2) | instskip(NEXT) | instid1(VALU_DEP_2)
	v_mad_u32 v17, v5, s18, v17
	v_mad_u32 v21, v15, s18, v21
	s_delay_alu instid0(VALU_DEP_2) | instskip(NEXT) | instid1(VALU_DEP_2)
	v_mad_u32 v17, v4, s19, v17
	v_mad_u32 v21, v14, s19, v21
.LBB319_48:                             ; =>This Inner Loop Header: Depth=1
	global_load_u8 v22, v[16:17], off
	global_load_u8 v23, v[20:21], off
	s_cmp_eq_u64 s[2:3], 0
	s_add_nc_u64 s[26:27], s[2:3], -1
	s_cselect_b32 s3, -1, 0
	s_wait_xcnt 0x1
	v_add_nc_u64_e32 v[16:17], 1, v[16:17]
	s_wait_xcnt 0x0
	v_add_nc_u64_e32 v[20:21], 1, v[20:21]
	s_wait_loadcnt 0x0
	v_cmp_ne_u16_e32 vcc_lo, v22, v23
	v_cmp_eq_u16_e64 s2, v22, v23
	s_or_b32 s3, vcc_lo, s3
	s_delay_alu instid0(SALU_CYCLE_1) | instskip(NEXT) | instid1(SALU_CYCLE_1)
	s_and_b32 s3, exec_lo, s3
	s_or_b32 s6, s3, s6
	s_and_not1_b32 s24, s24, exec_lo
	s_and_b32 s28, s2, exec_lo
	s_mov_b64 s[2:3], s[26:27]
	s_or_b32 s24, s24, s28
	s_and_not1_b32 exec_lo, exec_lo, s6
	s_cbranch_execnz .LBB319_48
; %bb.49:
	s_or_b32 exec_lo, exec_lo, s6
	s_xor_b32 s2, s24, -1
.LBB319_50:
	s_delay_alu instid0(SALU_CYCLE_1)
	s_and_b32 s6, s2, exec_lo
.LBB319_51:
	s_or_b32 exec_lo, exec_lo, s25
	v_add_nc_u32_e32 v16, 5, v19
	s_mov_b32 s24, exec_lo
	s_delay_alu instid0(VALU_DEP_1)
	v_cmpx_gt_u32_e64 s21, v16
	s_cbranch_execz .LBB319_57
; %bb.52:
	v_cmp_ne_u32_e32 vcc_lo, 1, v27
	s_mov_b32 s2, 0
	s_cbranch_vccnz .LBB319_56
; %bb.53:
	v_mad_nc_u64_u32 v[16:17], v2, s18, s[8:9]
	v_mad_nc_u64_u32 v[20:21], v4, s18, s[8:9]
	s_add_nc_u64 s[2:3], s[18:19], -1
	s_mov_b32 s7, 0
                                        ; implicit-def: $sgpr25
	s_delay_alu instid0(VALU_DEP_2) | instskip(NEXT) | instid1(VALU_DEP_2)
	v_mad_u32 v17, v3, s18, v17
	v_mad_u32 v21, v5, s18, v21
	s_delay_alu instid0(VALU_DEP_2) | instskip(NEXT) | instid1(VALU_DEP_2)
	v_mad_u32 v17, v2, s19, v17
	v_mad_u32 v21, v4, s19, v21
.LBB319_54:                             ; =>This Inner Loop Header: Depth=1
	global_load_u8 v22, v[16:17], off
	global_load_u8 v23, v[20:21], off
	s_cmp_eq_u64 s[2:3], 0
	s_add_nc_u64 s[26:27], s[2:3], -1
	s_cselect_b32 s3, -1, 0
	s_wait_xcnt 0x1
	v_add_nc_u64_e32 v[16:17], 1, v[16:17]
	s_wait_xcnt 0x0
	v_add_nc_u64_e32 v[20:21], 1, v[20:21]
	s_wait_loadcnt 0x0
	v_cmp_ne_u16_e32 vcc_lo, v22, v23
	v_cmp_eq_u16_e64 s2, v22, v23
	s_or_b32 s3, vcc_lo, s3
	s_delay_alu instid0(SALU_CYCLE_1) | instskip(NEXT) | instid1(SALU_CYCLE_1)
	s_and_b32 s3, exec_lo, s3
	s_or_b32 s7, s3, s7
	s_and_not1_b32 s25, s25, exec_lo
	s_and_b32 s28, s2, exec_lo
	s_mov_b64 s[2:3], s[26:27]
	s_or_b32 s25, s25, s28
	s_and_not1_b32 exec_lo, exec_lo, s7
	s_cbranch_execnz .LBB319_54
; %bb.55:
	s_or_b32 exec_lo, exec_lo, s7
	s_xor_b32 s2, s25, -1
.LBB319_56:
	s_delay_alu instid0(SALU_CYCLE_1)
	s_and_b32 s7, s2, exec_lo
.LBB319_57:
	s_or_b32 exec_lo, exec_lo, s24
	v_add_nc_u32_e32 v16, 4, v19
	s_mov_b32 s25, 0
	s_mov_b32 s24, 0
	s_mov_b32 s26, exec_lo
	s_delay_alu instid0(VALU_DEP_1)
	v_cmpx_gt_u32_e64 s21, v16
	s_cbranch_execz .LBB319_63
; %bb.58:
	v_cmp_ne_u32_e32 vcc_lo, 1, v27
	s_mov_b32 s2, 0
	s_cbranch_vccnz .LBB319_62
; %bb.59:
	v_mad_nc_u64_u32 v[16:17], v8, s18, s[8:9]
	v_mad_nc_u64_u32 v[20:21], v2, s18, s[8:9]
	s_add_nc_u64 s[2:3], s[18:19], -1
                                        ; implicit-def: $sgpr27
	s_delay_alu instid0(VALU_DEP_2) | instskip(NEXT) | instid1(VALU_DEP_2)
	v_mad_u32 v17, v9, s18, v17
	v_mad_u32 v21, v3, s18, v21
	s_delay_alu instid0(VALU_DEP_2) | instskip(NEXT) | instid1(VALU_DEP_2)
	v_mad_u32 v17, v8, s19, v17
	v_mad_u32 v21, v2, s19, v21
.LBB319_60:                             ; =>This Inner Loop Header: Depth=1
	global_load_u8 v22, v[16:17], off
	global_load_u8 v23, v[20:21], off
	s_cmp_eq_u64 s[2:3], 0
	s_add_nc_u64 s[28:29], s[2:3], -1
	s_cselect_b32 s3, -1, 0
	s_wait_xcnt 0x1
	v_add_nc_u64_e32 v[16:17], 1, v[16:17]
	s_wait_xcnt 0x0
	v_add_nc_u64_e32 v[20:21], 1, v[20:21]
	s_wait_loadcnt 0x0
	v_cmp_ne_u16_e32 vcc_lo, v22, v23
	v_cmp_eq_u16_e64 s2, v22, v23
	s_or_b32 s3, vcc_lo, s3
	s_delay_alu instid0(SALU_CYCLE_1) | instskip(NEXT) | instid1(SALU_CYCLE_1)
	s_and_b32 s3, exec_lo, s3
	s_or_b32 s24, s3, s24
	s_and_not1_b32 s27, s27, exec_lo
	s_and_b32 s30, s2, exec_lo
	s_mov_b64 s[2:3], s[28:29]
	s_or_b32 s27, s27, s30
	s_and_not1_b32 exec_lo, exec_lo, s24
	s_cbranch_execnz .LBB319_60
; %bb.61:
	s_or_b32 exec_lo, exec_lo, s24
	s_xor_b32 s2, s27, -1
.LBB319_62:
	s_delay_alu instid0(SALU_CYCLE_1)
	s_and_b32 s24, s2, exec_lo
.LBB319_63:
	s_or_b32 exec_lo, exec_lo, s26
	v_add_nc_u32_e32 v16, 3, v19
	s_mov_b32 s26, exec_lo
	s_delay_alu instid0(VALU_DEP_1)
	v_cmpx_gt_u32_e64 s21, v16
	s_cbranch_execz .LBB319_69
; %bb.64:
	v_cmp_ne_u32_e32 vcc_lo, 1, v27
	s_mov_b32 s2, 0
	s_cbranch_vccnz .LBB319_68
; %bb.65:
	v_mad_nc_u64_u32 v[16:17], v6, s18, s[8:9]
	v_mad_nc_u64_u32 v[20:21], v8, s18, s[8:9]
	s_add_nc_u64 s[2:3], s[18:19], -1
	s_mov_b32 s25, 0
                                        ; implicit-def: $sgpr27
	s_delay_alu instid0(VALU_DEP_2) | instskip(NEXT) | instid1(VALU_DEP_2)
	v_mad_u32 v17, v7, s18, v17
	v_mad_u32 v21, v9, s18, v21
	s_delay_alu instid0(VALU_DEP_2) | instskip(NEXT) | instid1(VALU_DEP_2)
	v_mad_u32 v17, v6, s19, v17
	v_mad_u32 v21, v8, s19, v21
.LBB319_66:                             ; =>This Inner Loop Header: Depth=1
	global_load_u8 v22, v[16:17], off
	global_load_u8 v23, v[20:21], off
	s_cmp_eq_u64 s[2:3], 0
	s_add_nc_u64 s[28:29], s[2:3], -1
	s_cselect_b32 s3, -1, 0
	s_wait_xcnt 0x1
	v_add_nc_u64_e32 v[16:17], 1, v[16:17]
	s_wait_xcnt 0x0
	v_add_nc_u64_e32 v[20:21], 1, v[20:21]
	s_wait_loadcnt 0x0
	v_cmp_ne_u16_e32 vcc_lo, v22, v23
	v_cmp_eq_u16_e64 s2, v22, v23
	s_or_b32 s3, vcc_lo, s3
	s_delay_alu instid0(SALU_CYCLE_1) | instskip(NEXT) | instid1(SALU_CYCLE_1)
	s_and_b32 s3, exec_lo, s3
	s_or_b32 s25, s3, s25
	s_and_not1_b32 s27, s27, exec_lo
	s_and_b32 s30, s2, exec_lo
	s_mov_b64 s[2:3], s[28:29]
	s_or_b32 s27, s27, s30
	s_and_not1_b32 exec_lo, exec_lo, s25
	s_cbranch_execnz .LBB319_66
; %bb.67:
	s_or_b32 exec_lo, exec_lo, s25
	s_xor_b32 s2, s27, -1
.LBB319_68:
	s_delay_alu instid0(SALU_CYCLE_1)
	s_and_b32 s25, s2, exec_lo
.LBB319_69:
	s_or_b32 exec_lo, exec_lo, s26
	v_add_nc_u32_e32 v16, 2, v19
	s_mov_b32 s26, 0
	s_mov_b32 s27, 0
	s_mov_b32 s28, exec_lo
	s_delay_alu instid0(VALU_DEP_1)
	v_cmpx_gt_u32_e64 s21, v16
	s_cbranch_execz .LBB319_75
; %bb.70:
	v_cmp_ne_u32_e32 vcc_lo, 1, v27
	s_mov_b32 s2, 0
	s_cbranch_vccnz .LBB319_74
; %bb.71:
	v_mad_nc_u64_u32 v[16:17], v12, s18, s[8:9]
	v_mad_nc_u64_u32 v[20:21], v6, s18, s[8:9]
	s_add_nc_u64 s[2:3], s[18:19], -1
                                        ; implicit-def: $sgpr29
	s_delay_alu instid0(VALU_DEP_2) | instskip(NEXT) | instid1(VALU_DEP_2)
	v_mad_u32 v17, v13, s18, v17
	v_mad_u32 v21, v7, s18, v21
	s_delay_alu instid0(VALU_DEP_2) | instskip(NEXT) | instid1(VALU_DEP_2)
	v_mad_u32 v17, v12, s19, v17
	v_mad_u32 v21, v6, s19, v21
.LBB319_72:                             ; =>This Inner Loop Header: Depth=1
	global_load_u8 v22, v[16:17], off
	global_load_u8 v23, v[20:21], off
	s_cmp_eq_u64 s[2:3], 0
	s_add_nc_u64 s[30:31], s[2:3], -1
	s_cselect_b32 s3, -1, 0
	s_wait_xcnt 0x1
	v_add_nc_u64_e32 v[16:17], 1, v[16:17]
	s_wait_xcnt 0x0
	v_add_nc_u64_e32 v[20:21], 1, v[20:21]
	s_wait_loadcnt 0x0
	v_cmp_ne_u16_e32 vcc_lo, v22, v23
	v_cmp_eq_u16_e64 s2, v22, v23
	s_or_b32 s3, vcc_lo, s3
	s_delay_alu instid0(SALU_CYCLE_1) | instskip(NEXT) | instid1(SALU_CYCLE_1)
	s_and_b32 s3, exec_lo, s3
	s_or_b32 s27, s3, s27
	s_and_not1_b32 s29, s29, exec_lo
	s_and_b32 s33, s2, exec_lo
	s_mov_b64 s[2:3], s[30:31]
	s_or_b32 s29, s29, s33
	s_and_not1_b32 exec_lo, exec_lo, s27
	s_cbranch_execnz .LBB319_72
; %bb.73:
	s_or_b32 exec_lo, exec_lo, s27
	s_xor_b32 s2, s29, -1
.LBB319_74:
	s_delay_alu instid0(SALU_CYCLE_1)
	s_and_b32 s27, s2, exec_lo
.LBB319_75:
	s_or_b32 exec_lo, exec_lo, s28
	v_add_nc_u32_e32 v16, 1, v19
	s_mov_b32 s28, exec_lo
	s_delay_alu instid0(VALU_DEP_1)
	v_cmpx_gt_u32_e64 s21, v16
	s_cbranch_execz .LBB319_81
; %bb.76:
	v_cmp_ne_u32_e32 vcc_lo, 1, v27
	s_mov_b32 s2, 0
	s_cbranch_vccnz .LBB319_80
; %bb.77:
	v_mad_nc_u64_u32 v[16:17], v10, s18, s[8:9]
	v_mad_nc_u64_u32 v[20:21], v12, s18, s[8:9]
	s_add_nc_u64 s[2:3], s[18:19], -1
	s_mov_b32 s26, 0
                                        ; implicit-def: $sgpr29
	s_delay_alu instid0(VALU_DEP_2) | instskip(NEXT) | instid1(VALU_DEP_2)
	v_mad_u32 v17, v11, s18, v17
	v_mad_u32 v21, v13, s18, v21
	s_delay_alu instid0(VALU_DEP_2) | instskip(NEXT) | instid1(VALU_DEP_2)
	v_mad_u32 v17, v10, s19, v17
	v_mad_u32 v21, v12, s19, v21
.LBB319_78:                             ; =>This Inner Loop Header: Depth=1
	global_load_u8 v22, v[16:17], off
	global_load_u8 v23, v[20:21], off
	s_cmp_eq_u64 s[2:3], 0
	s_add_nc_u64 s[30:31], s[2:3], -1
	s_cselect_b32 s3, -1, 0
	s_wait_xcnt 0x1
	v_add_nc_u64_e32 v[16:17], 1, v[16:17]
	s_wait_xcnt 0x0
	v_add_nc_u64_e32 v[20:21], 1, v[20:21]
	s_wait_loadcnt 0x0
	v_cmp_ne_u16_e32 vcc_lo, v22, v23
	v_cmp_eq_u16_e64 s2, v22, v23
	s_or_b32 s3, vcc_lo, s3
	s_delay_alu instid0(SALU_CYCLE_1) | instskip(NEXT) | instid1(SALU_CYCLE_1)
	s_and_b32 s3, exec_lo, s3
	s_or_b32 s26, s3, s26
	s_and_not1_b32 s29, s29, exec_lo
	s_and_b32 s33, s2, exec_lo
	s_mov_b64 s[2:3], s[30:31]
	s_or_b32 s29, s29, s33
	s_and_not1_b32 exec_lo, exec_lo, s26
	s_cbranch_execnz .LBB319_78
; %bb.79:
	s_or_b32 exec_lo, exec_lo, s26
	s_xor_b32 s2, s29, -1
.LBB319_80:
	s_delay_alu instid0(SALU_CYCLE_1)
	s_and_b32 s26, s2, exec_lo
.LBB319_81:
	s_or_b32 exec_lo, exec_lo, s28
	s_wait_kmcnt 0x0
	v_mov_b64_e32 v[20:21], s[4:5]
	s_mov_b32 s2, 0
	s_mov_b32 s3, exec_lo
	s_wait_dscnt 0x0
	s_barrier_signal -1
	s_barrier_wait -1
	v_cmpx_ne_u32_e32 0, v0
; %bb.82:
	v_add_nc_u32_e32 v16, -8, v28
	ds_load_b64 v[20:21], v16
; %bb.83:
	s_or_b32 exec_lo, exec_lo, s3
	v_cndmask_b32_e64 v16, 0, 1, s25
	v_cndmask_b32_e64 v17, 0, 1, s27
	;; [unrolled: 1-line block ×3, first 2 shown]
	s_mov_b32 s4, exec_lo
	s_delay_alu instid0(VALU_DEP_3) | instskip(NEXT) | instid1(VALU_DEP_2)
	v_lshlrev_b16 v16, 8, v16
	v_lshlrev_b16 v22, 8, v22
	s_delay_alu instid0(VALU_DEP_2) | instskip(NEXT) | instid1(VALU_DEP_2)
	v_or_b32_e32 v16, v17, v16
	v_and_b32_e32 v24, 0xffff, v22
	s_delay_alu instid0(VALU_DEP_2)
	v_lshlrev_b32_e32 v25, 16, v16
	v_cmpx_gt_u32_e64 s21, v19
	s_cbranch_execz .LBB319_89
; %bb.84:
	v_cmp_ne_u32_e32 vcc_lo, 1, v27
	s_cbranch_vccnz .LBB319_88
; %bb.85:
	s_wait_dscnt 0x0
	v_mad_nc_u64_u32 v[16:17], v20, s18, s[8:9]
	v_mad_nc_u64_u32 v[22:23], v10, s18, s[8:9]
	s_add_nc_u64 s[2:3], s[18:19], -1
	s_mov_b32 s5, 0
                                        ; implicit-def: $sgpr25
	s_delay_alu instid0(VALU_DEP_2) | instskip(NEXT) | instid1(VALU_DEP_2)
	v_mad_u32 v17, v21, s18, v17
	v_mad_u32 v21, v11, s18, v23
	s_delay_alu instid0(VALU_DEP_2) | instskip(NEXT) | instid1(VALU_DEP_2)
	v_mad_u32 v17, v20, s19, v17
	v_mad_u32 v23, v10, s19, v21
.LBB319_86:                             ; =>This Inner Loop Header: Depth=1
	global_load_u8 v20, v[16:17], off
	global_load_u8 v21, v[22:23], off
	s_cmp_eq_u64 s[2:3], 0
	s_add_nc_u64 s[26:27], s[2:3], -1
	s_cselect_b32 s3, -1, 0
	s_wait_xcnt 0x1
	v_add_nc_u64_e32 v[16:17], 1, v[16:17]
	s_wait_xcnt 0x0
	v_add_nc_u64_e32 v[22:23], 1, v[22:23]
	s_wait_loadcnt 0x0
	v_cmp_ne_u16_e32 vcc_lo, v20, v21
	v_cmp_eq_u16_e64 s2, v20, v21
	s_or_b32 s3, vcc_lo, s3
	s_delay_alu instid0(SALU_CYCLE_1) | instskip(NEXT) | instid1(SALU_CYCLE_1)
	s_and_b32 s3, exec_lo, s3
	s_or_b32 s5, s3, s5
	s_and_not1_b32 s25, s25, exec_lo
	s_and_b32 s28, s2, exec_lo
	s_mov_b64 s[2:3], s[26:27]
	s_or_b32 s25, s25, s28
	s_and_not1_b32 exec_lo, exec_lo, s5
	s_cbranch_execnz .LBB319_86
; %bb.87:
	s_or_b32 exec_lo, exec_lo, s5
	s_xor_b32 s2, s25, -1
.LBB319_88:
	s_delay_alu instid0(SALU_CYCLE_1)
	s_and_b32 s2, s2, exec_lo
.LBB319_89:
	s_or_b32 exec_lo, exec_lo, s4
	v_cndmask_b32_e64 v17, 0, 1, s24
	v_cndmask_b32_e64 v31, 0, 1, s7
	;; [unrolled: 1-line block ×3, first 2 shown]
	s_wait_dscnt 0x0
	v_or_b32_e32 v21, v24, v25
.LBB319_90:
	s_mov_b32 s6, -1
	s_cbranch_execnz .LBB319_35
.LBB319_91:
	v_cmp_gt_i64_e64 s7, s[18:19], 0
	v_mad_i32_i24 v26, 0xffffffd0, v0, v26
	s_and_b32 vcc_lo, exec_lo, s17
	ds_store_b64 v26, v[14:15]
	s_cbranch_vccz .LBB319_106
; %bb.92:
	s_and_not1_b32 vcc_lo, exec_lo, s7
	s_cbranch_vccnz .LBB319_107
; %bb.93:
	v_mad_nc_u64_u32 v[16:17], v4, s18, s[8:9]
	v_mad_nc_u64_u32 v[20:21], v14, s18, s[8:9]
	s_wait_kmcnt 0x0
	s_add_nc_u64 s[4:5], s[18:19], -1
	s_mov_b32 s25, 0
	s_mov_b64 s[2:3], s[4:5]
                                        ; implicit-def: $sgpr24
	s_delay_alu instid0(VALU_DEP_2) | instskip(NEXT) | instid1(VALU_DEP_2)
	v_mad_u32 v17, v5, s18, v17
	v_mad_u32 v21, v15, s18, v21
	s_delay_alu instid0(VALU_DEP_2) | instskip(NEXT) | instid1(VALU_DEP_2)
	v_mad_u32 v17, v4, s19, v17
	v_mad_u32 v21, v14, s19, v21
	s_delay_alu instid0(VALU_DEP_2)
	v_mov_b64_e32 v[22:23], v[16:17]
.LBB319_94:                             ; =>This Inner Loop Header: Depth=1
	s_wait_dscnt 0x1
	global_load_u8 v24, v[22:23], off
	global_load_u8 v25, v[20:21], off
	s_cmp_eq_u64 s[2:3], 0
	s_add_nc_u64 s[26:27], s[2:3], -1
	s_cselect_b32 s3, -1, 0
	s_wait_xcnt 0x1
	v_add_nc_u64_e32 v[22:23], 1, v[22:23]
	s_wait_xcnt 0x0
	v_add_nc_u64_e32 v[20:21], 1, v[20:21]
	s_wait_loadcnt 0x0
	v_cmp_ne_u16_e32 vcc_lo, v24, v25
	v_cmp_eq_u16_e64 s2, v24, v25
	s_or_b32 s3, vcc_lo, s3
	s_delay_alu instid0(SALU_CYCLE_1) | instskip(NEXT) | instid1(SALU_CYCLE_1)
	s_and_b32 s3, exec_lo, s3
	s_or_b32 s25, s3, s25
	s_and_not1_b32 s24, s24, exec_lo
	s_and_b32 s28, s2, exec_lo
	s_mov_b64 s[2:3], s[26:27]
	s_or_b32 s24, s24, s28
	s_and_not1_b32 exec_lo, exec_lo, s25
	s_cbranch_execnz .LBB319_94
; %bb.95:
	s_or_b32 exec_lo, exec_lo, s25
	v_mad_nc_u64_u32 v[20:21], v2, s18, s[8:9]
	s_mov_b32 s26, 0
	s_mov_b64 s[2:3], s[4:5]
                                        ; implicit-def: $sgpr25
	s_delay_alu instid0(VALU_DEP_1) | instskip(NEXT) | instid1(VALU_DEP_1)
	v_mad_u32 v21, v3, s18, v21
	v_mad_u32 v21, v2, s19, v21
	s_delay_alu instid0(VALU_DEP_1)
	v_mov_b64_e32 v[22:23], v[20:21]
.LBB319_96:                             ; =>This Inner Loop Header: Depth=1
	global_load_u8 v24, v[22:23], off
	global_load_u8 v25, v[16:17], off
	s_cmp_eq_u64 s[2:3], 0
	s_add_nc_u64 s[28:29], s[2:3], -1
	s_cselect_b32 s3, -1, 0
	s_wait_xcnt 0x1
	v_add_nc_u64_e32 v[22:23], 1, v[22:23]
	s_wait_xcnt 0x0
	v_add_nc_u64_e32 v[16:17], 1, v[16:17]
	s_wait_loadcnt 0x0
	v_cmp_ne_u16_e32 vcc_lo, v24, v25
	v_cmp_eq_u16_e64 s2, v24, v25
	s_or_b32 s3, vcc_lo, s3
	s_delay_alu instid0(SALU_CYCLE_1) | instskip(NEXT) | instid1(SALU_CYCLE_1)
	s_and_b32 s3, exec_lo, s3
	s_or_b32 s26, s3, s26
	s_and_not1_b32 s25, s25, exec_lo
	s_and_b32 s27, s2, exec_lo
	s_mov_b64 s[2:3], s[28:29]
	s_or_b32 s25, s25, s27
	s_and_not1_b32 exec_lo, exec_lo, s26
	s_cbranch_execnz .LBB319_96
; %bb.97:
	s_or_b32 exec_lo, exec_lo, s26
	v_mad_nc_u64_u32 v[16:17], v8, s18, s[8:9]
	s_mov_b32 s27, 0
	s_mov_b64 s[2:3], s[4:5]
                                        ; implicit-def: $sgpr26
	s_delay_alu instid0(VALU_DEP_1) | instskip(NEXT) | instid1(VALU_DEP_1)
	v_mad_u32 v17, v9, s18, v17
	v_mad_u32 v17, v8, s19, v17
	s_delay_alu instid0(VALU_DEP_1)
	v_mov_b64_e32 v[22:23], v[16:17]
.LBB319_98:                             ; =>This Inner Loop Header: Depth=1
	global_load_u8 v24, v[22:23], off
	global_load_u8 v25, v[20:21], off
	s_cmp_eq_u64 s[2:3], 0
	s_add_nc_u64 s[28:29], s[2:3], -1
	s_cselect_b32 s3, -1, 0
	s_wait_xcnt 0x1
	v_add_nc_u64_e32 v[22:23], 1, v[22:23]
	s_wait_xcnt 0x0
	v_add_nc_u64_e32 v[20:21], 1, v[20:21]
	s_wait_loadcnt 0x0
	v_cmp_ne_u16_e32 vcc_lo, v24, v25
	v_cmp_eq_u16_e64 s2, v24, v25
	s_or_b32 s3, vcc_lo, s3
	s_delay_alu instid0(SALU_CYCLE_1) | instskip(NEXT) | instid1(SALU_CYCLE_1)
	s_and_b32 s3, exec_lo, s3
	s_or_b32 s27, s3, s27
	s_and_not1_b32 s26, s26, exec_lo
	s_and_b32 s30, s2, exec_lo
	s_mov_b64 s[2:3], s[28:29]
	s_or_b32 s26, s26, s30
	s_and_not1_b32 exec_lo, exec_lo, s27
	s_cbranch_execnz .LBB319_98
; %bb.99:
	s_or_b32 exec_lo, exec_lo, s27
	v_mad_nc_u64_u32 v[20:21], v6, s18, s[8:9]
	s_mov_b32 s28, 0
	s_mov_b64 s[2:3], s[4:5]
                                        ; implicit-def: $sgpr27
	s_delay_alu instid0(VALU_DEP_1) | instskip(NEXT) | instid1(VALU_DEP_1)
	v_mad_u32 v21, v7, s18, v21
	v_mad_u32 v21, v6, s19, v21
	s_delay_alu instid0(VALU_DEP_1)
	v_mov_b64_e32 v[22:23], v[20:21]
.LBB319_100:                            ; =>This Inner Loop Header: Depth=1
	global_load_u8 v24, v[22:23], off
	global_load_u8 v25, v[16:17], off
	s_cmp_eq_u64 s[2:3], 0
	s_add_nc_u64 s[30:31], s[2:3], -1
	s_cselect_b32 s3, -1, 0
	s_wait_xcnt 0x1
	v_add_nc_u64_e32 v[22:23], 1, v[22:23]
	s_wait_xcnt 0x0
	v_add_nc_u64_e32 v[16:17], 1, v[16:17]
	s_wait_loadcnt 0x0
	v_cmp_ne_u16_e32 vcc_lo, v24, v25
	v_cmp_eq_u16_e64 s2, v24, v25
	s_or_b32 s3, vcc_lo, s3
	s_delay_alu instid0(SALU_CYCLE_1) | instskip(NEXT) | instid1(SALU_CYCLE_1)
	s_and_b32 s3, exec_lo, s3
	s_or_b32 s28, s3, s28
	s_and_not1_b32 s27, s27, exec_lo
	s_and_b32 s29, s2, exec_lo
	s_mov_b64 s[2:3], s[30:31]
	s_or_b32 s27, s27, s29
	s_and_not1_b32 exec_lo, exec_lo, s28
	s_cbranch_execnz .LBB319_100
; %bb.101:
	s_or_b32 exec_lo, exec_lo, s28
	v_mad_nc_u64_u32 v[16:17], v12, s18, s[8:9]
	s_mov_b32 s29, 0
	s_mov_b64 s[2:3], s[4:5]
                                        ; implicit-def: $sgpr28
	s_delay_alu instid0(VALU_DEP_1) | instskip(NEXT) | instid1(VALU_DEP_1)
	v_mad_u32 v17, v13, s18, v17
	v_mad_u32 v17, v12, s19, v17
	s_delay_alu instid0(VALU_DEP_1)
	v_mov_b64_e32 v[22:23], v[16:17]
.LBB319_102:                            ; =>This Inner Loop Header: Depth=1
	global_load_u8 v24, v[22:23], off
	global_load_u8 v25, v[20:21], off
	s_cmp_eq_u64 s[2:3], 0
	s_add_nc_u64 s[30:31], s[2:3], -1
	s_cselect_b32 s3, -1, 0
	s_wait_xcnt 0x1
	v_add_nc_u64_e32 v[22:23], 1, v[22:23]
	s_wait_xcnt 0x0
	v_add_nc_u64_e32 v[20:21], 1, v[20:21]
	s_wait_loadcnt 0x0
	v_cmp_ne_u16_e32 vcc_lo, v24, v25
	v_cmp_eq_u16_e64 s2, v24, v25
	s_or_b32 s3, vcc_lo, s3
	s_delay_alu instid0(SALU_CYCLE_1) | instskip(NEXT) | instid1(SALU_CYCLE_1)
	s_and_b32 s3, exec_lo, s3
	s_or_b32 s29, s3, s29
	s_and_not1_b32 s28, s28, exec_lo
	s_and_b32 s33, s2, exec_lo
	s_mov_b64 s[2:3], s[30:31]
	s_or_b32 s28, s28, s33
	s_and_not1_b32 exec_lo, exec_lo, s29
	s_cbranch_execnz .LBB319_102
; %bb.103:
	s_or_b32 exec_lo, exec_lo, s29
	v_mad_nc_u64_u32 v[20:21], v10, s18, s[8:9]
	s_mov_b32 s29, 0
                                        ; implicit-def: $sgpr3
	s_delay_alu instid0(VALU_DEP_1) | instskip(NEXT) | instid1(VALU_DEP_1)
	v_mad_u32 v21, v11, s18, v21
	v_mad_u32 v21, v10, s19, v21
.LBB319_104:                            ; =>This Inner Loop Header: Depth=1
	global_load_u8 v22, v[20:21], off
	global_load_u8 v23, v[16:17], off
	s_cmp_eq_u64 s[4:5], 0
	s_add_nc_u64 s[30:31], s[4:5], -1
	s_cselect_b32 s4, -1, 0
	s_wait_xcnt 0x1
	v_add_nc_u64_e32 v[20:21], 1, v[20:21]
	s_wait_xcnt 0x0
	v_add_nc_u64_e32 v[16:17], 1, v[16:17]
	s_wait_loadcnt 0x0
	v_cmp_ne_u16_e32 vcc_lo, v22, v23
	v_cmp_eq_u16_e64 s2, v22, v23
	s_or_b32 s4, vcc_lo, s4
	s_delay_alu instid0(SALU_CYCLE_1) | instskip(NEXT) | instid1(SALU_CYCLE_1)
	s_and_b32 s4, exec_lo, s4
	s_or_b32 s29, s4, s29
	s_and_not1_b32 s3, s3, exec_lo
	s_and_b32 s2, s2, exec_lo
	s_mov_b64 s[4:5], s[30:31]
	s_or_b32 s3, s3, s2
	s_and_not1_b32 exec_lo, exec_lo, s29
	s_cbranch_execnz .LBB319_104
; %bb.105:
	s_or_b32 exec_lo, exec_lo, s29
	s_xor_b32 s2, s27, -1
	s_delay_alu instid0(SALU_CYCLE_1) | instskip(SKIP_1) | instid1(SALU_CYCLE_1)
	v_cndmask_b32_e64 v16, 0, 1, s2
	s_xor_b32 s2, s28, -1
	v_cndmask_b32_e64 v17, 0, 1, s2
	s_xor_b32 s2, s25, -1
	s_delay_alu instid0(VALU_DEP_2) | instskip(SKIP_2) | instid1(SALU_CYCLE_1)
	v_lshlrev_b16 v16, 8, v16
	v_cndmask_b32_e64 v31, 0, 1, s2
	s_xor_b32 s2, s24, -1
	v_cndmask_b32_e64 v30, 0, 1, s2
	s_delay_alu instid0(VALU_DEP_3) | instskip(SKIP_1) | instid1(VALU_DEP_1)
	v_lshrrev_b32_e32 v16, 8, v16
	s_xor_b32 s2, s26, -1
	v_and_b32_e32 v16, 1, v16
	s_delay_alu instid0(VALU_DEP_1) | instskip(NEXT) | instid1(VALU_DEP_1)
	v_lshlrev_b16 v16, 8, v16
	v_or_b32_e32 v16, v17, v16
	v_cndmask_b32_e64 v17, 0, 1, s2
	s_xor_b32 s2, s3, -1
	s_delay_alu instid0(VALU_DEP_2)
	v_lshlrev_b32_e32 v16, 16, v16
	s_branch .LBB319_108
.LBB319_106:
	s_wait_kmcnt 0x0
                                        ; implicit-def: $sgpr2
                                        ; implicit-def: $vgpr30
                                        ; implicit-def: $vgpr31
                                        ; implicit-def: $vgpr17
                                        ; implicit-def: $vgpr21
                                        ; implicit-def: $vgpr33
                                        ; implicit-def: $vgpr32
                                        ; implicit-def: $vgpr20
	s_cbranch_execnz .LBB319_115
	s_branch .LBB319_160
.LBB319_107:
	v_dual_mov_b32 v16, 0 :: v_dual_mov_b32 v30, 0
	v_dual_mov_b32 v31, 0 :: v_dual_mov_b32 v17, 0
	s_mov_b32 s2, 0
.LBB319_108:
	s_delay_alu instid0(VALU_DEP_1)
	v_dual_lshrrev_b32 v32, 16, v16 :: v_dual_lshrrev_b32 v20, 24, v16
	v_cndmask_b32_e64 v33, 0, 1, s2
	v_mov_b32_e32 v16, 1
	s_wait_kmcnt 0x0
	s_mov_b32 s4, 0
	s_wait_dscnt 0x0
	s_barrier_signal -1
	s_barrier_wait -1
                                        ; implicit-def: $sgpr2
                                        ; implicit-def: $vgpr21
	s_mov_b32 s3, exec_lo
	v_cmpx_ne_u32_e32 0, v0
	s_xor_b32 s5, exec_lo, s3
	s_cbranch_execz .LBB319_114
; %bb.109:
	v_lshlrev_b16 v21, 8, v20
	v_lshlrev_b16 v22, 8, v33
	s_and_not1_b32 vcc_lo, exec_lo, s7
	s_mov_b32 s2, 0
	s_delay_alu instid0(VALU_DEP_2) | instskip(NEXT) | instid1(VALU_DEP_1)
	v_bitop3_b16 v21, v32, v21, 0xff bitop3:0xec
	v_dual_lshlrev_b32 v21, 16, v21 :: v_dual_bitop2_b32 v22, 1, v22 bitop3:0x54
	s_delay_alu instid0(VALU_DEP_1) | instskip(NEXT) | instid1(VALU_DEP_1)
	v_and_b32_e32 v22, 0xffff, v22
	v_or_b32_e32 v21, v22, v21
	s_cbranch_vccnz .LBB319_113
; %bb.110:
	v_add_nc_u32_e32 v22, -8, v26
	v_mad_nc_u64_u32 v[24:25], v10, s18, s[8:9]
	s_add_nc_u64 s[2:3], s[18:19], -1
	s_mov_b32 s24, 0
                                        ; implicit-def: $sgpr25
	ds_load_b64 v[28:29], v22
	v_mad_u32 v25, v11, s18, v25
	s_delay_alu instid0(VALU_DEP_1) | instskip(SKIP_2) | instid1(VALU_DEP_1)
	v_mad_u32 v25, v10, s19, v25
	s_wait_dscnt 0x0
	v_mad_nc_u64_u32 v[22:23], v28, s18, s[8:9]
	v_mad_u32 v23, v29, s18, v23
	s_delay_alu instid0(VALU_DEP_1)
	v_mad_u32 v23, v28, s19, v23
.LBB319_111:                            ; =>This Inner Loop Header: Depth=1
	global_load_u8 v27, v[22:23], off
	global_load_u8 v28, v[24:25], off
	s_cmp_eq_u64 s[2:3], 0
	s_add_nc_u64 s[26:27], s[2:3], -1
	s_cselect_b32 s3, -1, 0
	s_wait_xcnt 0x1
	v_add_nc_u64_e32 v[22:23], 1, v[22:23]
	s_wait_xcnt 0x0
	v_add_nc_u64_e32 v[24:25], 1, v[24:25]
	s_wait_loadcnt 0x0
	v_cmp_ne_u16_e32 vcc_lo, v27, v28
	v_cmp_eq_u16_e64 s2, v27, v28
	s_or_b32 s3, vcc_lo, s3
	s_delay_alu instid0(SALU_CYCLE_1) | instskip(NEXT) | instid1(SALU_CYCLE_1)
	s_and_b32 s3, exec_lo, s3
	s_or_b32 s24, s3, s24
	s_and_not1_b32 s25, s25, exec_lo
	s_and_b32 s28, s2, exec_lo
	s_mov_b64 s[2:3], s[26:27]
	s_or_b32 s25, s25, s28
	s_and_not1_b32 exec_lo, exec_lo, s24
	s_cbranch_execnz .LBB319_111
; %bb.112:
	s_or_b32 exec_lo, exec_lo, s24
	s_xor_b32 s2, s25, -1
.LBB319_113:
	s_delay_alu instid0(VALU_DEP_1)
	v_perm_b32 v21, v21, v21, 0x3020104
	s_or_b32 s6, s6, exec_lo
.LBB319_114:
	s_or_b32 exec_lo, exec_lo, s5
	s_delay_alu instid0(SALU_CYCLE_1)
	s_and_b32 vcc_lo, exec_lo, s4
	s_cbranch_vccz .LBB319_160
.LBB319_115:
	v_add_nc_u32_e32 v16, 6, v19
	s_mov_b32 s5, 0
	s_mov_b32 s4, 0
	s_mov_b32 s24, exec_lo
	s_delay_alu instid0(VALU_DEP_1)
	v_cmpx_gt_u32_e64 s21, v16
	s_cbranch_execz .LBB319_121
; %bb.116:
	s_and_not1_b32 vcc_lo, exec_lo, s7
	s_mov_b32 s2, 0
	s_cbranch_vccnz .LBB319_120
; %bb.117:
	v_mad_nc_u64_u32 v[16:17], v4, s18, s[8:9]
	v_mad_nc_u64_u32 v[20:21], v14, s18, s[8:9]
	s_add_nc_u64 s[2:3], s[18:19], -1
                                        ; implicit-def: $sgpr25
	s_delay_alu instid0(VALU_DEP_2) | instskip(NEXT) | instid1(VALU_DEP_2)
	v_mad_u32 v17, v5, s18, v17
	v_mad_u32 v21, v15, s18, v21
	s_delay_alu instid0(VALU_DEP_2) | instskip(NEXT) | instid1(VALU_DEP_2)
	v_mad_u32 v17, v4, s19, v17
	v_mad_u32 v21, v14, s19, v21
.LBB319_118:                            ; =>This Inner Loop Header: Depth=1
	global_load_u8 v22, v[16:17], off
	global_load_u8 v23, v[20:21], off
	s_cmp_eq_u64 s[2:3], 0
	s_add_nc_u64 s[26:27], s[2:3], -1
	s_cselect_b32 s3, -1, 0
	s_wait_xcnt 0x1
	v_add_nc_u64_e32 v[16:17], 1, v[16:17]
	s_wait_xcnt 0x0
	v_add_nc_u64_e32 v[20:21], 1, v[20:21]
	s_wait_loadcnt 0x0
	v_cmp_ne_u16_e32 vcc_lo, v22, v23
	v_cmp_eq_u16_e64 s2, v22, v23
	s_or_b32 s3, vcc_lo, s3
	s_delay_alu instid0(SALU_CYCLE_1) | instskip(NEXT) | instid1(SALU_CYCLE_1)
	s_and_b32 s3, exec_lo, s3
	s_or_b32 s4, s3, s4
	s_and_not1_b32 s25, s25, exec_lo
	s_and_b32 s28, s2, exec_lo
	s_mov_b64 s[2:3], s[26:27]
	s_or_b32 s25, s25, s28
	s_and_not1_b32 exec_lo, exec_lo, s4
	s_cbranch_execnz .LBB319_118
; %bb.119:
	s_or_b32 exec_lo, exec_lo, s4
	s_xor_b32 s2, s25, -1
.LBB319_120:
	s_delay_alu instid0(SALU_CYCLE_1)
	s_and_b32 s4, s2, exec_lo
.LBB319_121:
	s_or_b32 exec_lo, exec_lo, s24
	v_add_nc_u32_e32 v16, 5, v19
	s_mov_b32 s24, exec_lo
	s_delay_alu instid0(VALU_DEP_1)
	v_cmpx_gt_u32_e64 s21, v16
	s_cbranch_execz .LBB319_127
; %bb.122:
	s_and_not1_b32 vcc_lo, exec_lo, s7
	s_mov_b32 s2, 0
	s_cbranch_vccnz .LBB319_126
; %bb.123:
	v_mad_nc_u64_u32 v[16:17], v2, s18, s[8:9]
	v_mad_nc_u64_u32 v[20:21], v4, s18, s[8:9]
	s_add_nc_u64 s[2:3], s[18:19], -1
	s_mov_b32 s5, 0
                                        ; implicit-def: $sgpr25
	s_delay_alu instid0(VALU_DEP_2) | instskip(NEXT) | instid1(VALU_DEP_2)
	v_mad_u32 v17, v3, s18, v17
	v_mad_u32 v21, v5, s18, v21
	s_delay_alu instid0(VALU_DEP_2) | instskip(NEXT) | instid1(VALU_DEP_2)
	v_mad_u32 v17, v2, s19, v17
	v_mad_u32 v21, v4, s19, v21
.LBB319_124:                            ; =>This Inner Loop Header: Depth=1
	global_load_u8 v22, v[16:17], off
	global_load_u8 v23, v[20:21], off
	s_cmp_eq_u64 s[2:3], 0
	s_add_nc_u64 s[26:27], s[2:3], -1
	s_cselect_b32 s3, -1, 0
	s_wait_xcnt 0x1
	v_add_nc_u64_e32 v[16:17], 1, v[16:17]
	s_wait_xcnt 0x0
	v_add_nc_u64_e32 v[20:21], 1, v[20:21]
	s_wait_loadcnt 0x0
	v_cmp_ne_u16_e32 vcc_lo, v22, v23
	v_cmp_eq_u16_e64 s2, v22, v23
	s_or_b32 s3, vcc_lo, s3
	s_delay_alu instid0(SALU_CYCLE_1) | instskip(NEXT) | instid1(SALU_CYCLE_1)
	s_and_b32 s3, exec_lo, s3
	s_or_b32 s5, s3, s5
	s_and_not1_b32 s25, s25, exec_lo
	s_and_b32 s28, s2, exec_lo
	s_mov_b64 s[2:3], s[26:27]
	s_or_b32 s25, s25, s28
	s_and_not1_b32 exec_lo, exec_lo, s5
	s_cbranch_execnz .LBB319_124
; %bb.125:
	s_or_b32 exec_lo, exec_lo, s5
	s_xor_b32 s2, s25, -1
.LBB319_126:
	s_delay_alu instid0(SALU_CYCLE_1)
	s_and_b32 s5, s2, exec_lo
.LBB319_127:
	s_or_b32 exec_lo, exec_lo, s24
	v_add_nc_u32_e32 v16, 4, v19
	s_mov_b32 s24, 0
	s_mov_b32 s25, 0
	s_mov_b32 s26, exec_lo
	s_delay_alu instid0(VALU_DEP_1)
	v_cmpx_gt_u32_e64 s21, v16
	s_cbranch_execz .LBB319_133
; %bb.128:
	s_and_not1_b32 vcc_lo, exec_lo, s7
	s_mov_b32 s2, 0
	s_cbranch_vccnz .LBB319_132
; %bb.129:
	v_mad_nc_u64_u32 v[16:17], v8, s18, s[8:9]
	v_mad_nc_u64_u32 v[20:21], v2, s18, s[8:9]
	s_add_nc_u64 s[2:3], s[18:19], -1
                                        ; implicit-def: $sgpr27
	s_delay_alu instid0(VALU_DEP_2) | instskip(NEXT) | instid1(VALU_DEP_2)
	v_mad_u32 v17, v9, s18, v17
	v_mad_u32 v21, v3, s18, v21
	s_delay_alu instid0(VALU_DEP_2) | instskip(NEXT) | instid1(VALU_DEP_2)
	v_mad_u32 v17, v8, s19, v17
	v_mad_u32 v21, v2, s19, v21
.LBB319_130:                            ; =>This Inner Loop Header: Depth=1
	global_load_u8 v22, v[16:17], off
	global_load_u8 v23, v[20:21], off
	s_cmp_eq_u64 s[2:3], 0
	s_add_nc_u64 s[28:29], s[2:3], -1
	s_cselect_b32 s3, -1, 0
	s_wait_xcnt 0x1
	v_add_nc_u64_e32 v[16:17], 1, v[16:17]
	s_wait_xcnt 0x0
	v_add_nc_u64_e32 v[20:21], 1, v[20:21]
	s_wait_loadcnt 0x0
	v_cmp_ne_u16_e32 vcc_lo, v22, v23
	v_cmp_eq_u16_e64 s2, v22, v23
	s_or_b32 s3, vcc_lo, s3
	s_delay_alu instid0(SALU_CYCLE_1) | instskip(NEXT) | instid1(SALU_CYCLE_1)
	s_and_b32 s3, exec_lo, s3
	s_or_b32 s25, s3, s25
	s_and_not1_b32 s27, s27, exec_lo
	s_and_b32 s30, s2, exec_lo
	s_mov_b64 s[2:3], s[28:29]
	s_or_b32 s27, s27, s30
	s_and_not1_b32 exec_lo, exec_lo, s25
	s_cbranch_execnz .LBB319_130
; %bb.131:
	s_or_b32 exec_lo, exec_lo, s25
	s_xor_b32 s2, s27, -1
.LBB319_132:
	s_delay_alu instid0(SALU_CYCLE_1)
	s_and_b32 s25, s2, exec_lo
.LBB319_133:
	s_or_b32 exec_lo, exec_lo, s26
	v_add_nc_u32_e32 v16, 3, v19
	s_mov_b32 s26, exec_lo
	s_delay_alu instid0(VALU_DEP_1)
	v_cmpx_gt_u32_e64 s21, v16
	s_cbranch_execz .LBB319_139
; %bb.134:
	s_and_not1_b32 vcc_lo, exec_lo, s7
	s_mov_b32 s2, 0
	s_cbranch_vccnz .LBB319_138
; %bb.135:
	v_mad_nc_u64_u32 v[16:17], v6, s18, s[8:9]
	v_mad_nc_u64_u32 v[20:21], v8, s18, s[8:9]
	s_add_nc_u64 s[2:3], s[18:19], -1
	s_mov_b32 s24, 0
                                        ; implicit-def: $sgpr27
	s_delay_alu instid0(VALU_DEP_2) | instskip(NEXT) | instid1(VALU_DEP_2)
	v_mad_u32 v17, v7, s18, v17
	v_mad_u32 v21, v9, s18, v21
	s_delay_alu instid0(VALU_DEP_2) | instskip(NEXT) | instid1(VALU_DEP_2)
	v_mad_u32 v17, v6, s19, v17
	v_mad_u32 v21, v8, s19, v21
.LBB319_136:                            ; =>This Inner Loop Header: Depth=1
	global_load_u8 v22, v[16:17], off
	global_load_u8 v23, v[20:21], off
	s_cmp_eq_u64 s[2:3], 0
	s_add_nc_u64 s[28:29], s[2:3], -1
	s_cselect_b32 s3, -1, 0
	s_wait_xcnt 0x1
	v_add_nc_u64_e32 v[16:17], 1, v[16:17]
	s_wait_xcnt 0x0
	v_add_nc_u64_e32 v[20:21], 1, v[20:21]
	s_wait_loadcnt 0x0
	v_cmp_ne_u16_e32 vcc_lo, v22, v23
	v_cmp_eq_u16_e64 s2, v22, v23
	s_or_b32 s3, vcc_lo, s3
	s_delay_alu instid0(SALU_CYCLE_1) | instskip(NEXT) | instid1(SALU_CYCLE_1)
	s_and_b32 s3, exec_lo, s3
	s_or_b32 s24, s3, s24
	s_and_not1_b32 s27, s27, exec_lo
	s_and_b32 s30, s2, exec_lo
	s_mov_b64 s[2:3], s[28:29]
	s_or_b32 s27, s27, s30
	s_and_not1_b32 exec_lo, exec_lo, s24
	s_cbranch_execnz .LBB319_136
; %bb.137:
	s_or_b32 exec_lo, exec_lo, s24
	s_xor_b32 s2, s27, -1
.LBB319_138:
	s_delay_alu instid0(SALU_CYCLE_1)
	s_and_b32 s24, s2, exec_lo
.LBB319_139:
	s_or_b32 exec_lo, exec_lo, s26
	v_add_nc_u32_e32 v16, 2, v19
	s_mov_b32 s26, 0
	s_mov_b32 s27, 0
	s_mov_b32 s28, exec_lo
	s_delay_alu instid0(VALU_DEP_1)
	v_cmpx_gt_u32_e64 s21, v16
	s_cbranch_execz .LBB319_145
; %bb.140:
	s_and_not1_b32 vcc_lo, exec_lo, s7
	s_mov_b32 s2, 0
	s_cbranch_vccnz .LBB319_144
; %bb.141:
	v_mad_nc_u64_u32 v[16:17], v12, s18, s[8:9]
	v_mad_nc_u64_u32 v[20:21], v6, s18, s[8:9]
	s_add_nc_u64 s[2:3], s[18:19], -1
                                        ; implicit-def: $sgpr29
	s_delay_alu instid0(VALU_DEP_2) | instskip(NEXT) | instid1(VALU_DEP_2)
	v_mad_u32 v17, v13, s18, v17
	v_mad_u32 v21, v7, s18, v21
	s_delay_alu instid0(VALU_DEP_2) | instskip(NEXT) | instid1(VALU_DEP_2)
	v_mad_u32 v17, v12, s19, v17
	v_mad_u32 v21, v6, s19, v21
.LBB319_142:                            ; =>This Inner Loop Header: Depth=1
	global_load_u8 v22, v[16:17], off
	global_load_u8 v23, v[20:21], off
	s_cmp_eq_u64 s[2:3], 0
	s_add_nc_u64 s[30:31], s[2:3], -1
	s_cselect_b32 s3, -1, 0
	s_wait_xcnt 0x1
	v_add_nc_u64_e32 v[16:17], 1, v[16:17]
	s_wait_xcnt 0x0
	v_add_nc_u64_e32 v[20:21], 1, v[20:21]
	s_wait_loadcnt 0x0
	v_cmp_ne_u16_e32 vcc_lo, v22, v23
	v_cmp_eq_u16_e64 s2, v22, v23
	s_or_b32 s3, vcc_lo, s3
	s_delay_alu instid0(SALU_CYCLE_1) | instskip(NEXT) | instid1(SALU_CYCLE_1)
	s_and_b32 s3, exec_lo, s3
	s_or_b32 s27, s3, s27
	s_and_not1_b32 s29, s29, exec_lo
	s_and_b32 s33, s2, exec_lo
	s_mov_b64 s[2:3], s[30:31]
	s_or_b32 s29, s29, s33
	s_and_not1_b32 exec_lo, exec_lo, s27
	s_cbranch_execnz .LBB319_142
; %bb.143:
	s_or_b32 exec_lo, exec_lo, s27
	s_xor_b32 s2, s29, -1
.LBB319_144:
	s_delay_alu instid0(SALU_CYCLE_1)
	s_and_b32 s27, s2, exec_lo
.LBB319_145:
	s_or_b32 exec_lo, exec_lo, s28
	v_add_nc_u32_e32 v16, 1, v19
	s_mov_b32 s28, exec_lo
	s_delay_alu instid0(VALU_DEP_1)
	v_cmpx_gt_u32_e64 s21, v16
	s_cbranch_execz .LBB319_151
; %bb.146:
	s_and_not1_b32 vcc_lo, exec_lo, s7
	s_mov_b32 s2, 0
	s_cbranch_vccnz .LBB319_150
; %bb.147:
	v_mad_nc_u64_u32 v[16:17], v10, s18, s[8:9]
	v_mad_nc_u64_u32 v[20:21], v12, s18, s[8:9]
	s_add_nc_u64 s[2:3], s[18:19], -1
	s_mov_b32 s26, 0
                                        ; implicit-def: $sgpr29
	s_delay_alu instid0(VALU_DEP_2) | instskip(NEXT) | instid1(VALU_DEP_2)
	v_mad_u32 v17, v11, s18, v17
	v_mad_u32 v21, v13, s18, v21
	s_delay_alu instid0(VALU_DEP_2) | instskip(NEXT) | instid1(VALU_DEP_2)
	v_mad_u32 v17, v10, s19, v17
	v_mad_u32 v21, v12, s19, v21
.LBB319_148:                            ; =>This Inner Loop Header: Depth=1
	global_load_u8 v22, v[16:17], off
	global_load_u8 v23, v[20:21], off
	s_cmp_eq_u64 s[2:3], 0
	s_add_nc_u64 s[30:31], s[2:3], -1
	s_cselect_b32 s3, -1, 0
	s_wait_xcnt 0x1
	v_add_nc_u64_e32 v[16:17], 1, v[16:17]
	s_wait_xcnt 0x0
	v_add_nc_u64_e32 v[20:21], 1, v[20:21]
	s_wait_loadcnt 0x0
	v_cmp_ne_u16_e32 vcc_lo, v22, v23
	v_cmp_eq_u16_e64 s2, v22, v23
	s_or_b32 s3, vcc_lo, s3
	s_delay_alu instid0(SALU_CYCLE_1) | instskip(NEXT) | instid1(SALU_CYCLE_1)
	s_and_b32 s3, exec_lo, s3
	s_or_b32 s26, s3, s26
	s_and_not1_b32 s29, s29, exec_lo
	s_and_b32 s33, s2, exec_lo
	s_mov_b64 s[2:3], s[30:31]
	s_or_b32 s29, s29, s33
	s_and_not1_b32 exec_lo, exec_lo, s26
	s_cbranch_execnz .LBB319_148
; %bb.149:
	s_or_b32 exec_lo, exec_lo, s26
	s_xor_b32 s2, s29, -1
.LBB319_150:
	s_delay_alu instid0(SALU_CYCLE_1)
	s_and_b32 s26, s2, exec_lo
.LBB319_151:
	s_or_b32 exec_lo, exec_lo, s28
	v_cndmask_b32_e64 v17, 0, 1, s25
	v_cndmask_b32_e64 v31, 0, 1, s5
	v_cndmask_b32_e64 v30, 0, 1, s4
	v_cndmask_b32_e64 v32, 0, 1, s27
	v_cndmask_b32_e64 v20, 0, 1, s24
	v_cndmask_b32_e64 v33, 0, 1, s26
	v_mov_b32_e32 v16, 1
	s_mov_b32 s2, 0
	s_mov_b32 s4, exec_lo
	s_wait_dscnt 0x0
	s_barrier_signal -1
	s_barrier_wait -1
                                        ; implicit-def: $vgpr21
	v_cmpx_ne_u32_e32 0, v0
	s_cbranch_execz .LBB319_159
; %bb.152:
	v_lshlrev_b16 v21, 8, v33
	v_lshlrev_b16 v22, 8, v20
	s_mov_b32 s5, exec_lo
	s_delay_alu instid0(VALU_DEP_1) | instskip(NEXT) | instid1(VALU_DEP_1)
	v_or_b32_e32 v22, v32, v22
	v_dual_lshlrev_b32 v22, 16, v22 :: v_dual_bitop2_b32 v21, 1, v21 bitop3:0x54
	s_delay_alu instid0(VALU_DEP_1) | instskip(NEXT) | instid1(VALU_DEP_1)
	v_and_b32_e32 v21, 0xffff, v21
	v_or_b32_e32 v21, v21, v22
	v_cmpx_gt_u32_e64 s21, v19
	s_cbranch_execz .LBB319_158
; %bb.153:
	s_and_not1_b32 vcc_lo, exec_lo, s7
	s_cbranch_vccnz .LBB319_157
; %bb.154:
	v_add_nc_u32_e32 v22, -8, v26
	v_mad_nc_u64_u32 v[24:25], v10, s18, s[8:9]
	s_add_nc_u64 s[2:3], s[18:19], -1
	s_mov_b32 s7, 0
	ds_load_b64 v[26:27], v22
	v_mad_u32 v25, v11, s18, v25
	s_delay_alu instid0(VALU_DEP_1) | instskip(SKIP_2) | instid1(VALU_DEP_1)
	v_mad_u32 v25, v10, s19, v25
	s_wait_dscnt 0x0
	v_mad_nc_u64_u32 v[22:23], v26, s18, s[8:9]
                                        ; implicit-def: $sgpr8
	v_mad_u32 v23, v27, s18, v23
	s_delay_alu instid0(VALU_DEP_1)
	v_mad_u32 v23, v26, s19, v23
.LBB319_155:                            ; =>This Inner Loop Header: Depth=1
	global_load_u8 v26, v[22:23], off
	global_load_u8 v27, v[24:25], off
	s_cmp_eq_u64 s[2:3], 0
	s_add_nc_u64 s[18:19], s[2:3], -1
	s_cselect_b32 s3, -1, 0
	s_wait_xcnt 0x1
	v_add_nc_u64_e32 v[22:23], 1, v[22:23]
	s_wait_xcnt 0x0
	v_add_nc_u64_e32 v[24:25], 1, v[24:25]
	s_wait_loadcnt 0x0
	v_cmp_ne_u16_e32 vcc_lo, v26, v27
	v_cmp_eq_u16_e64 s2, v26, v27
	s_or_b32 s3, vcc_lo, s3
	s_delay_alu instid0(SALU_CYCLE_1) | instskip(NEXT) | instid1(SALU_CYCLE_1)
	s_and_b32 s3, exec_lo, s3
	s_or_b32 s7, s3, s7
	s_and_not1_b32 s8, s8, exec_lo
	s_and_b32 s9, s2, exec_lo
	s_mov_b64 s[2:3], s[18:19]
	s_or_b32 s8, s8, s9
	s_and_not1_b32 exec_lo, exec_lo, s7
	s_cbranch_execnz .LBB319_155
; %bb.156:
	s_or_b32 exec_lo, exec_lo, s7
	s_xor_b32 s2, s8, -1
.LBB319_157:
	s_delay_alu instid0(SALU_CYCLE_1)
	s_and_b32 s2, s2, exec_lo
.LBB319_158:
	s_or_b32 exec_lo, exec_lo, s5
	s_delay_alu instid0(VALU_DEP_2)
	v_perm_b32 v21, v21, v21, 0x3020104
	s_or_b32 s6, s6, exec_lo
.LBB319_159:
	s_or_b32 exec_lo, exec_lo, s4
.LBB319_160:
	s_and_saveexec_b32 s3, s6
; %bb.161:
	s_delay_alu instid0(VALU_DEP_1)
	v_dual_lshrrev_b32 v20, 24, v21 :: v_dual_lshrrev_b32 v32, 16, v21
	v_lshrrev_b32_e32 v33, 8, v21
	v_cndmask_b32_e64 v16, 0, 1, s2
; %bb.162:
	s_or_b32 exec_lo, exec_lo, s3
	s_delay_alu instid0(SALU_CYCLE_1)
	s_and_not1_b32 vcc_lo, exec_lo, s22
	s_cbranch_vccnz .LBB319_166
; %bb.163:
	s_delay_alu instid0(VALU_DEP_1)
	v_perm_b32 v16, v16, v33, 0xc0c0004
	v_perm_b32 v20, v32, v20, 0xc0c0004
	v_cmp_gt_u32_e32 vcc_lo, s21, v19
	v_and_b32_e32 v22, 0xff, v30
	v_perm_b32 v17, v17, v31, 0xc0c0004
	v_add_nc_u32_e32 v21, 1, v19
	v_lshl_or_b32 v16, v20, 16, v16
	s_delay_alu instid0(VALU_DEP_1) | instskip(NEXT) | instid1(VALU_DEP_3)
	v_dual_cndmask_b32 v20, 0, v16 :: v_dual_add_nc_u32 v23, 4, v19
	v_cmp_gt_u32_e32 vcc_lo, s21, v21
	v_dual_lshlrev_b32 v21, 16, v22 :: v_dual_add_nc_u32 v22, 2, v19
	s_delay_alu instid0(VALU_DEP_3) | instskip(NEXT) | instid1(VALU_DEP_1)
	v_and_b32_e32 v20, 0xff, v20
	v_cndmask_b32_e32 v20, v20, v16, vcc_lo
	s_delay_alu instid0(VALU_DEP_3) | instskip(NEXT) | instid1(VALU_DEP_2)
	v_cmp_gt_u32_e32 vcc_lo, s21, v22
	v_and_b32_e32 v20, 0xffff, v20
	s_wait_dscnt 0x0
	v_or_b32_e32 v24, v17, v21
	v_bitop3_b32 v17, v17, 0xffff00, v21 bitop3:0xc8
	s_delay_alu instid0(VALU_DEP_3) | instskip(SKIP_1) | instid1(VALU_DEP_2)
	v_dual_cndmask_b32 v20, v20, v16 :: v_dual_add_nc_u32 v21, 5, v19
	v_cmp_gt_u32_e32 vcc_lo, s21, v23
	v_cmp_gt_u32_e64 s2, s21, v21
	s_delay_alu instid0(VALU_DEP_3) | instskip(SKIP_3) | instid1(VALU_DEP_2)
	v_and_b32_e32 v20, 0xffffff, v20
	v_dual_cndmask_b32 v17, v17, v24 :: v_dual_add_nc_u32 v22, 3, v19
	s_or_b32 vcc_lo, s2, vcc_lo
	v_add_nc_u32_e32 v19, 6, v19
	v_cmp_gt_u32_e64 s3, s21, v22
	s_delay_alu instid0(VALU_DEP_3) | instskip(NEXT) | instid1(VALU_DEP_2)
	v_and_b32_e32 v17, 0xffff00ff, v17
	v_cndmask_b32_e64 v20, v20, v16, s3
	s_delay_alu instid0(VALU_DEP_2) | instskip(SKIP_1) | instid1(VALU_DEP_1)
	v_cndmask_b32_e64 v17, v17, v24, s2
	s_mov_b32 s2, exec_lo
	v_dual_cndmask_b32 v16, v20, v16, vcc_lo :: v_dual_lshrrev_b32 v30, 16, v17
	v_lshrrev_b32_e32 v31, 8, v17
	s_delay_alu instid0(VALU_DEP_2)
	v_lshrrev_b64 v[20:21], 24, v[16:17]
	v_dual_lshrrev_b32 v32, 16, v16 :: v_dual_lshrrev_b32 v33, 8, v16
	v_cmpx_le_u32_e64 s21, v19
; %bb.164:
	v_mov_b32_e32 v30, 0
; %bb.165:
	s_or_b32 exec_lo, exec_lo, s2
.LBB319_166:
	s_delay_alu instid0(VALU_DEP_1)
	v_and_b32_e32 v19, 0xff, v16
	v_and_b32_e32 v21, 0xff, v33
	;; [unrolled: 1-line block ×5, first 2 shown]
	v_mbcnt_lo_u32_b32 v38, -1, 0
	v_and_b32_e32 v37, 0xff, v31
	v_add3_u32 v22, v21, v19, v34
	v_and_b32_e32 v23, 0xff, v30
	s_wait_dscnt 0x0
	v_dual_lshrrev_b32 v39, 5, v0 :: v_dual_bitop2_b32 v24, 15, v38 bitop3:0x40
	s_and_b32 vcc_lo, exec_lo, s23
	v_add3_u32 v22, v22, v35, v36
	s_mov_b32 s8, -1
	s_delay_alu instid0(VALU_DEP_2)
	v_cmp_eq_u32_e64 s2, 0, v24
	s_wait_kmcnt 0x0
	v_cmp_lt_u32_e64 s4, 1, v24
	v_add3_u32 v40, v22, v37, v23
	v_and_b32_e32 v22, 16, v38
	v_or_b32_e32 v23, 31, v0
	v_cmp_lt_u32_e64 s5, 3, v24
	v_cmp_lt_u32_e64 s3, 7, v24
	s_barrier_signal -1
	v_cmp_eq_u32_e64 s7, 0, v22
	v_cmp_eq_u32_e64 s6, v0, v23
	s_barrier_wait -1
                                        ; implicit-def: $vgpr25
                                        ; implicit-def: $vgpr26
                                        ; implicit-def: $vgpr27
                                        ; implicit-def: $vgpr28
                                        ; implicit-def: $vgpr29
                                        ; implicit-def: $vgpr41
                                        ; implicit-def: $vgpr42
                                        ; implicit-def: $vgpr24
                                        ; implicit-def: $vgpr22
	s_cbranch_vccz .LBB319_193
; %bb.167:
	v_mov_b32_dpp v22, v40 row_shr:1 row_mask:0xf bank_mask:0xf
	s_delay_alu instid0(VALU_DEP_1) | instskip(NEXT) | instid1(VALU_DEP_1)
	v_cndmask_b32_e64 v22, v22, 0, s2
	v_add_nc_u32_e32 v22, v22, v40
	s_delay_alu instid0(VALU_DEP_1) | instskip(NEXT) | instid1(VALU_DEP_1)
	v_mov_b32_dpp v23, v22 row_shr:2 row_mask:0xf bank_mask:0xf
	v_cndmask_b32_e64 v23, 0, v23, s4
	s_delay_alu instid0(VALU_DEP_1) | instskip(NEXT) | instid1(VALU_DEP_1)
	v_add_nc_u32_e32 v22, v22, v23
	v_mov_b32_dpp v23, v22 row_shr:4 row_mask:0xf bank_mask:0xf
	s_delay_alu instid0(VALU_DEP_1) | instskip(NEXT) | instid1(VALU_DEP_1)
	v_cndmask_b32_e64 v23, 0, v23, s5
	v_add_nc_u32_e32 v22, v22, v23
	s_delay_alu instid0(VALU_DEP_1) | instskip(NEXT) | instid1(VALU_DEP_1)
	v_mov_b32_dpp v23, v22 row_shr:8 row_mask:0xf bank_mask:0xf
	v_cndmask_b32_e64 v23, 0, v23, s3
	s_delay_alu instid0(VALU_DEP_1) | instskip(SKIP_3) | instid1(VALU_DEP_1)
	v_add_nc_u32_e32 v22, v22, v23
	ds_swizzle_b32 v23, v22 offset:swizzle(BROADCAST,32,15)
	s_wait_dscnt 0x0
	v_cndmask_b32_e64 v23, v23, 0, s7
	v_add_nc_u32_e32 v22, v22, v23
	s_and_saveexec_b32 s8, s6
; %bb.168:
	v_lshlrev_b32_e32 v23, 2, v39
	ds_store_b32 v23, v22
; %bb.169:
	s_or_b32 exec_lo, exec_lo, s8
	s_delay_alu instid0(SALU_CYCLE_1)
	s_mov_b32 s8, exec_lo
	s_wait_dscnt 0x0
	s_barrier_signal -1
	s_barrier_wait -1
	v_cmpx_gt_u32_e32 16, v0
	s_cbranch_execz .LBB319_171
; %bb.170:
	v_lshlrev_b32_e32 v23, 2, v0
	ds_load_b32 v24, v23
	s_wait_dscnt 0x0
	v_mov_b32_dpp v25, v24 row_shr:1 row_mask:0xf bank_mask:0xf
	s_delay_alu instid0(VALU_DEP_1) | instskip(NEXT) | instid1(VALU_DEP_1)
	v_cndmask_b32_e64 v25, v25, 0, s2
	v_add_nc_u32_e32 v24, v25, v24
	s_delay_alu instid0(VALU_DEP_1) | instskip(NEXT) | instid1(VALU_DEP_1)
	v_mov_b32_dpp v25, v24 row_shr:2 row_mask:0xf bank_mask:0xf
	v_cndmask_b32_e64 v25, 0, v25, s4
	s_delay_alu instid0(VALU_DEP_1) | instskip(NEXT) | instid1(VALU_DEP_1)
	v_add_nc_u32_e32 v24, v24, v25
	v_mov_b32_dpp v25, v24 row_shr:4 row_mask:0xf bank_mask:0xf
	s_delay_alu instid0(VALU_DEP_1) | instskip(NEXT) | instid1(VALU_DEP_1)
	v_cndmask_b32_e64 v25, 0, v25, s5
	v_add_nc_u32_e32 v24, v24, v25
	s_delay_alu instid0(VALU_DEP_1) | instskip(NEXT) | instid1(VALU_DEP_1)
	v_mov_b32_dpp v25, v24 row_shr:8 row_mask:0xf bank_mask:0xf
	v_cndmask_b32_e64 v25, 0, v25, s3
	s_delay_alu instid0(VALU_DEP_1)
	v_add_nc_u32_e32 v24, v24, v25
	ds_store_b32 v23, v24
.LBB319_171:
	s_or_b32 exec_lo, exec_lo, s8
	s_delay_alu instid0(SALU_CYCLE_1)
	s_mov_b32 s9, exec_lo
	v_cmp_gt_u32_e32 vcc_lo, 32, v0
	s_wait_dscnt 0x0
	s_barrier_signal -1
	s_barrier_wait -1
                                        ; implicit-def: $vgpr41
	v_cmpx_lt_u32_e32 31, v0
	s_cbranch_execz .LBB319_173
; %bb.172:
	v_lshl_add_u32 v23, v39, 2, -4
	ds_load_b32 v41, v23
	s_wait_dscnt 0x0
	v_add_nc_u32_e32 v22, v41, v22
.LBB319_173:
	s_or_b32 exec_lo, exec_lo, s9
	v_sub_co_u32 v23, s8, v38, 1
	s_delay_alu instid0(VALU_DEP_1) | instskip(NEXT) | instid1(VALU_DEP_1)
	v_cmp_gt_i32_e64 s9, 0, v23
	v_cndmask_b32_e64 v23, v23, v38, s9
	s_delay_alu instid0(VALU_DEP_1)
	v_lshlrev_b32_e32 v23, 2, v23
	ds_bpermute_b32 v42, v23, v22
	s_and_saveexec_b32 s9, vcc_lo
	s_cbranch_execz .LBB319_192
; %bb.174:
	v_mov_b32_e32 v29, 0
	ds_load_b32 v22, v29 offset:60
	s_and_saveexec_b32 s18, s8
	s_cbranch_execz .LBB319_176
; %bb.175:
	s_add_co_i32 s19, s20, 32
	s_delay_alu instid0(SALU_CYCLE_1)
	v_dual_mov_b32 v23, 1 :: v_dual_mov_b32 v24, s19
	s_wait_dscnt 0x0
	global_store_b64 v24, v[22:23], s[10:11] scale_offset scope:SCOPE_DEV
.LBB319_176:
	s_wait_xcnt 0x0
	s_or_b32 exec_lo, exec_lo, s18
	v_xad_u32 v24, v38, -1, s20
	s_mov_b32 s19, 0
	s_mov_b32 s18, exec_lo
	s_delay_alu instid0(VALU_DEP_1) | instskip(SKIP_4) | instid1(VALU_DEP_1)
	v_add_nc_u32_e32 v28, 32, v24
	global_load_b64 v[26:27], v28, s[10:11] scale_offset scope:SCOPE_DEV
	s_wait_loadcnt 0x0
	v_and_b32_e32 v23, 0xff, v27
	s_wait_xcnt 0x0
	v_cmpx_eq_u16_e32 0, v23
	s_cbranch_execz .LBB319_180
; %bb.177:
	v_lshl_add_u64 v[28:29], v[28:29], 3, s[10:11]
.LBB319_178:                            ; =>This Inner Loop Header: Depth=1
	global_load_b64 v[26:27], v[28:29], off scope:SCOPE_DEV
	s_wait_loadcnt 0x0
	v_and_b32_e32 v23, 0xff, v27
	s_delay_alu instid0(VALU_DEP_1)
	v_cmp_ne_u16_e32 vcc_lo, 0, v23
	s_or_b32 s19, vcc_lo, s19
	s_wait_xcnt 0x0
	s_and_not1_b32 exec_lo, exec_lo, s19
	s_cbranch_execnz .LBB319_178
; %bb.179:
	s_or_b32 exec_lo, exec_lo, s19
.LBB319_180:
	s_delay_alu instid0(SALU_CYCLE_1)
	s_or_b32 exec_lo, exec_lo, s18
	v_cmp_ne_u32_e32 vcc_lo, 31, v38
	v_lshlrev_b32_e64 v44, v38, -1
	v_dual_add_nc_u32 v46, 2, v38 :: v_dual_add_nc_u32 v48, 4, v38
	v_dual_add_nc_u32 v50, 8, v38 :: v_dual_add_nc_u32 v52, 16, v38
	v_add_co_ci_u32_e64 v23, null, 0, v38, vcc_lo
	v_lshl_or_b32 v51, v38, 2, 64
	s_delay_alu instid0(VALU_DEP_2)
	v_lshlrev_b32_e32 v43, 2, v23
	v_and_b32_e32 v23, 0xff, v27
	ds_bpermute_b32 v25, v43, v26
	v_cmp_eq_u16_e32 vcc_lo, 2, v23
	v_and_or_b32 v23, vcc_lo, v44, 0x80000000
	v_cmp_gt_u32_e32 vcc_lo, 30, v38
	s_delay_alu instid0(VALU_DEP_2) | instskip(SKIP_1) | instid1(VALU_DEP_2)
	v_ctz_i32_b32_e32 v23, v23
	v_cndmask_b32_e64 v28, 0, 2, vcc_lo
	v_cmp_lt_u32_e32 vcc_lo, v38, v23
	s_delay_alu instid0(VALU_DEP_2)
	v_add_lshl_u32 v45, v28, v38, 2
	s_wait_dscnt 0x0
	v_cndmask_b32_e32 v25, 0, v25, vcc_lo
	v_cmp_gt_u32_e32 vcc_lo, 28, v38
	v_cndmask_b32_e64 v28, 0, 4, vcc_lo
	v_cmp_le_u32_e32 vcc_lo, v46, v23
	s_delay_alu instid0(VALU_DEP_4) | instskip(NEXT) | instid1(VALU_DEP_3)
	v_add_nc_u32_e32 v25, v25, v26
	v_add_lshl_u32 v47, v28, v38, 2
	ds_bpermute_b32 v26, v45, v25
	s_wait_dscnt 0x0
	v_cndmask_b32_e32 v26, 0, v26, vcc_lo
	v_cmp_gt_u32_e32 vcc_lo, 24, v38
	v_cndmask_b32_e64 v28, 0, 8, vcc_lo
	v_cmp_le_u32_e32 vcc_lo, v48, v23
	s_delay_alu instid0(VALU_DEP_4) | instskip(NEXT) | instid1(VALU_DEP_3)
	v_add_nc_u32_e32 v25, v25, v26
	v_add_lshl_u32 v49, v28, v38, 2
	ds_bpermute_b32 v26, v47, v25
	s_wait_dscnt 0x0
	v_cndmask_b32_e32 v26, 0, v26, vcc_lo
	v_cmp_le_u32_e32 vcc_lo, v50, v23
	s_delay_alu instid0(VALU_DEP_2) | instskip(SKIP_4) | instid1(VALU_DEP_2)
	v_add_nc_u32_e32 v25, v25, v26
	ds_bpermute_b32 v26, v49, v25
	s_wait_dscnt 0x0
	v_cndmask_b32_e32 v26, 0, v26, vcc_lo
	v_cmp_le_u32_e32 vcc_lo, v52, v23
	v_add_nc_u32_e32 v25, v25, v26
	ds_bpermute_b32 v26, v51, v25
	s_wait_dscnt 0x0
	v_cndmask_b32_e32 v23, 0, v26, vcc_lo
	s_delay_alu instid0(VALU_DEP_1)
	v_dual_mov_b32 v25, 0 :: v_dual_add_nc_u32 v26, v25, v23
	s_branch .LBB319_183
.LBB319_181:                            ;   in Loop: Header=BB319_183 Depth=1
	s_or_b32 exec_lo, exec_lo, s18
	v_and_b32_e32 v28, 0xff, v27
	ds_bpermute_b32 v29, v43, v26
	v_subrev_nc_u32_e32 v24, 32, v24
	s_mov_b32 s18, 0
	v_cmp_eq_u16_e32 vcc_lo, 2, v28
	v_and_or_b32 v28, vcc_lo, v44, 0x80000000
	s_delay_alu instid0(VALU_DEP_1) | instskip(NEXT) | instid1(VALU_DEP_1)
	v_ctz_i32_b32_e32 v28, v28
	v_cmp_lt_u32_e32 vcc_lo, v38, v28
	s_wait_dscnt 0x0
	v_cndmask_b32_e32 v29, 0, v29, vcc_lo
	v_cmp_le_u32_e32 vcc_lo, v46, v28
	s_delay_alu instid0(VALU_DEP_2) | instskip(SKIP_4) | instid1(VALU_DEP_2)
	v_add_nc_u32_e32 v26, v29, v26
	ds_bpermute_b32 v29, v45, v26
	s_wait_dscnt 0x0
	v_cndmask_b32_e32 v29, 0, v29, vcc_lo
	v_cmp_le_u32_e32 vcc_lo, v48, v28
	v_add_nc_u32_e32 v26, v26, v29
	ds_bpermute_b32 v29, v47, v26
	s_wait_dscnt 0x0
	v_cndmask_b32_e32 v29, 0, v29, vcc_lo
	v_cmp_le_u32_e32 vcc_lo, v50, v28
	s_delay_alu instid0(VALU_DEP_2) | instskip(SKIP_4) | instid1(VALU_DEP_2)
	v_add_nc_u32_e32 v26, v26, v29
	ds_bpermute_b32 v29, v49, v26
	s_wait_dscnt 0x0
	v_cndmask_b32_e32 v29, 0, v29, vcc_lo
	v_cmp_le_u32_e32 vcc_lo, v52, v28
	v_add_nc_u32_e32 v26, v26, v29
	ds_bpermute_b32 v29, v51, v26
	s_wait_dscnt 0x0
	v_cndmask_b32_e32 v28, 0, v29, vcc_lo
	s_delay_alu instid0(VALU_DEP_1)
	v_add3_u32 v26, v28, v23, v26
.LBB319_182:                            ;   in Loop: Header=BB319_183 Depth=1
	s_and_b32 vcc_lo, exec_lo, s18
	s_cbranch_vccnz .LBB319_188
.LBB319_183:                            ; =>This Loop Header: Depth=1
                                        ;     Child Loop BB319_186 Depth 2
	v_and_b32_e32 v23, 0xff, v27
	s_mov_b32 s18, -1
                                        ; implicit-def: $vgpr27
	s_delay_alu instid0(VALU_DEP_1)
	v_cmp_ne_u16_e32 vcc_lo, 2, v23
	v_mov_b32_e32 v23, v26
                                        ; implicit-def: $vgpr26
	s_cmp_lg_u32 vcc_lo, exec_lo
	s_cbranch_scc1 .LBB319_182
; %bb.184:                              ;   in Loop: Header=BB319_183 Depth=1
	global_load_b64 v[26:27], v24, s[10:11] scale_offset scope:SCOPE_DEV
	s_mov_b32 s18, exec_lo
	s_wait_loadcnt 0x0
	v_and_b32_e32 v28, 0xff, v27
	s_wait_xcnt 0x0
	s_delay_alu instid0(VALU_DEP_1)
	v_cmpx_eq_u16_e32 0, v28
	s_cbranch_execz .LBB319_181
; %bb.185:                              ;   in Loop: Header=BB319_183 Depth=1
	v_lshl_add_u64 v[28:29], v[24:25], 3, s[10:11]
	s_mov_b32 s19, 0
.LBB319_186:                            ;   Parent Loop BB319_183 Depth=1
                                        ; =>  This Inner Loop Header: Depth=2
	global_load_b64 v[26:27], v[28:29], off scope:SCOPE_DEV
	s_wait_loadcnt 0x0
	v_and_b32_e32 v53, 0xff, v27
	s_delay_alu instid0(VALU_DEP_1)
	v_cmp_ne_u16_e32 vcc_lo, 0, v53
	s_or_b32 s19, vcc_lo, s19
	s_wait_xcnt 0x0
	s_and_not1_b32 exec_lo, exec_lo, s19
	s_cbranch_execnz .LBB319_186
; %bb.187:                              ;   in Loop: Header=BB319_183 Depth=1
	s_or_b32 exec_lo, exec_lo, s19
	s_branch .LBB319_181
.LBB319_188:
	s_and_saveexec_b32 s18, s8
	s_cbranch_execz .LBB319_190
; %bb.189:
	s_add_co_i32 s19, s20, 32
	v_dual_mov_b32 v25, 2 :: v_dual_add_nc_u32 v24, v23, v22
	v_dual_mov_b32 v26, s19 :: v_dual_mov_b32 v27, 0
	global_store_b64 v26, v[24:25], s[10:11] scale_offset scope:SCOPE_DEV
	ds_store_b64 v27, v[22:23] offset:28672
.LBB319_190:
	s_wait_xcnt 0x0
	s_or_b32 exec_lo, exec_lo, s18
	v_cmp_eq_u32_e32 vcc_lo, 0, v0
	s_and_b32 exec_lo, exec_lo, vcc_lo
; %bb.191:
	v_mov_b32_e32 v22, 0
	ds_store_b32 v22, v23 offset:60
.LBB319_192:
	s_or_b32 exec_lo, exec_lo, s9
	s_wait_dscnt 0x0
	v_dual_mov_b32 v22, 0 :: v_dual_cndmask_b32 v24, v42, v41, s8
	s_wait_storecnt 0x0
	s_barrier_signal -1
	s_barrier_wait -1
	ds_load_b32 v23, v22 offset:60
	v_cmp_ne_u32_e32 vcc_lo, 0, v0
	s_wait_dscnt 0x0
	s_barrier_signal -1
	s_barrier_wait -1
	v_cndmask_b32_e32 v24, 0, v24, vcc_lo
	s_mov_b32 s8, 0
	s_delay_alu instid0(VALU_DEP_1) | instskip(SKIP_2) | instid1(VALU_DEP_1)
	v_add_nc_u32_e32 v42, v23, v24
	ds_load_b64 v[22:23], v22 offset:28672
	v_add_nc_u32_e32 v41, v42, v19
	v_add_nc_u32_e32 v29, v41, v21
	s_delay_alu instid0(VALU_DEP_1) | instskip(SKIP_1) | instid1(VALU_DEP_1)
	v_add_nc_u32_e32 v28, v29, v34
	s_wait_dscnt 0x0
	v_dual_mov_b32 v24, v23 :: v_dual_add_nc_u32 v27, v28, v35
	s_delay_alu instid0(VALU_DEP_1) | instskip(NEXT) | instid1(VALU_DEP_1)
	v_add_nc_u32_e32 v26, v27, v36
	v_add_nc_u32_e32 v25, v26, v37
.LBB319_193:
	s_and_b32 vcc_lo, exec_lo, s8
	s_cbranch_vccz .LBB319_203
; %bb.194:
	v_mov_b32_dpp v22, v40 row_shr:1 row_mask:0xf bank_mask:0xf
	s_delay_alu instid0(VALU_DEP_1) | instskip(NEXT) | instid1(VALU_DEP_1)
	v_cndmask_b32_e64 v22, v22, 0, s2
	v_add_nc_u32_e32 v22, v22, v40
	s_delay_alu instid0(VALU_DEP_1) | instskip(NEXT) | instid1(VALU_DEP_1)
	v_mov_b32_dpp v23, v22 row_shr:2 row_mask:0xf bank_mask:0xf
	v_cndmask_b32_e64 v23, 0, v23, s4
	s_delay_alu instid0(VALU_DEP_1) | instskip(NEXT) | instid1(VALU_DEP_1)
	v_add_nc_u32_e32 v22, v22, v23
	v_mov_b32_dpp v23, v22 row_shr:4 row_mask:0xf bank_mask:0xf
	s_delay_alu instid0(VALU_DEP_1) | instskip(NEXT) | instid1(VALU_DEP_1)
	v_cndmask_b32_e64 v23, 0, v23, s5
	v_add_nc_u32_e32 v22, v22, v23
	s_delay_alu instid0(VALU_DEP_1) | instskip(NEXT) | instid1(VALU_DEP_1)
	v_mov_b32_dpp v23, v22 row_shr:8 row_mask:0xf bank_mask:0xf
	v_cndmask_b32_e64 v23, 0, v23, s3
	s_delay_alu instid0(VALU_DEP_1) | instskip(SKIP_3) | instid1(VALU_DEP_1)
	v_add_nc_u32_e32 v22, v22, v23
	ds_swizzle_b32 v23, v22 offset:swizzle(BROADCAST,32,15)
	s_wait_dscnt 0x0
	v_cndmask_b32_e64 v23, v23, 0, s7
	v_add_nc_u32_e32 v22, v22, v23
	s_and_saveexec_b32 s7, s6
; %bb.195:
	v_lshlrev_b32_e32 v23, 2, v39
	ds_store_b32 v23, v22
; %bb.196:
	s_or_b32 exec_lo, exec_lo, s7
	s_delay_alu instid0(SALU_CYCLE_1)
	s_mov_b32 s6, exec_lo
	s_wait_dscnt 0x0
	s_barrier_signal -1
	s_barrier_wait -1
	v_cmpx_gt_u32_e32 16, v0
	s_cbranch_execz .LBB319_198
; %bb.197:
	v_lshlrev_b32_e32 v23, 2, v0
	ds_load_b32 v24, v23
	s_wait_dscnt 0x0
	v_mov_b32_dpp v25, v24 row_shr:1 row_mask:0xf bank_mask:0xf
	s_delay_alu instid0(VALU_DEP_1) | instskip(NEXT) | instid1(VALU_DEP_1)
	v_cndmask_b32_e64 v25, v25, 0, s2
	v_add_nc_u32_e32 v24, v25, v24
	s_delay_alu instid0(VALU_DEP_1) | instskip(NEXT) | instid1(VALU_DEP_1)
	v_mov_b32_dpp v25, v24 row_shr:2 row_mask:0xf bank_mask:0xf
	v_cndmask_b32_e64 v25, 0, v25, s4
	s_delay_alu instid0(VALU_DEP_1) | instskip(NEXT) | instid1(VALU_DEP_1)
	v_add_nc_u32_e32 v24, v24, v25
	v_mov_b32_dpp v25, v24 row_shr:4 row_mask:0xf bank_mask:0xf
	s_delay_alu instid0(VALU_DEP_1) | instskip(NEXT) | instid1(VALU_DEP_1)
	v_cndmask_b32_e64 v25, 0, v25, s5
	v_add_nc_u32_e32 v24, v24, v25
	s_delay_alu instid0(VALU_DEP_1) | instskip(NEXT) | instid1(VALU_DEP_1)
	v_mov_b32_dpp v25, v24 row_shr:8 row_mask:0xf bank_mask:0xf
	v_cndmask_b32_e64 v25, 0, v25, s3
	s_delay_alu instid0(VALU_DEP_1)
	v_add_nc_u32_e32 v24, v24, v25
	ds_store_b32 v23, v24
.LBB319_198:
	s_or_b32 exec_lo, exec_lo, s6
	v_dual_mov_b32 v23, 0 :: v_dual_mov_b32 v24, 0
	s_mov_b32 s2, exec_lo
	s_wait_dscnt 0x0
	s_barrier_signal -1
	s_barrier_wait -1
	v_cmpx_lt_u32_e32 31, v0
; %bb.199:
	v_lshl_add_u32 v24, v39, 2, -4
	ds_load_b32 v24, v24
; %bb.200:
	s_or_b32 exec_lo, exec_lo, s2
	v_sub_co_u32 v25, vcc_lo, v38, 1
	s_delay_alu instid0(VALU_DEP_1) | instskip(NEXT) | instid1(VALU_DEP_1)
	v_cmp_gt_i32_e64 s2, 0, v25
	v_cndmask_b32_e64 v25, v25, v38, s2
	s_wait_dscnt 0x0
	v_add_nc_u32_e32 v22, v24, v22
	v_cmp_eq_u32_e64 s2, 0, v0
	s_delay_alu instid0(VALU_DEP_3)
	v_lshlrev_b32_e32 v25, 2, v25
	ds_bpermute_b32 v25, v25, v22
	ds_load_b32 v22, v23 offset:60
	s_and_saveexec_b32 s3, s2
	s_cbranch_execz .LBB319_202
; %bb.201:
	v_dual_mov_b32 v26, 0 :: v_dual_mov_b32 v23, 2
	s_wait_dscnt 0x0
	global_store_b64 v26, v[22:23], s[10:11] offset:256 scope:SCOPE_DEV
.LBB319_202:
	s_wait_xcnt 0x0
	s_or_b32 exec_lo, exec_lo, s3
	s_wait_dscnt 0x1
	v_cndmask_b32_e32 v23, v25, v24, vcc_lo
	s_wait_storecnt_dscnt 0x0
	s_barrier_signal -1
	s_barrier_wait -1
	s_delay_alu instid0(VALU_DEP_1) | instskip(NEXT) | instid1(VALU_DEP_1)
	v_cndmask_b32_e64 v42, v23, 0, s2
	v_dual_mov_b32 v24, 0 :: v_dual_add_nc_u32 v41, v42, v19
	s_delay_alu instid0(VALU_DEP_1) | instskip(NEXT) | instid1(VALU_DEP_1)
	v_add_nc_u32_e32 v29, v41, v21
	v_add_nc_u32_e32 v28, v29, v34
	s_delay_alu instid0(VALU_DEP_1) | instskip(NEXT) | instid1(VALU_DEP_1)
	v_add_nc_u32_e32 v27, v28, v35
	v_add_nc_u32_e32 v26, v27, v36
	s_delay_alu instid0(VALU_DEP_1)
	v_add_nc_u32_e32 v25, v26, v37
.LBB319_203:
	s_load_b64 s[2:3], s[0:1], 0x28
	v_and_b32_e32 v16, 1, v16
	v_cmp_gt_u32_e32 vcc_lo, 0x201, v22
	s_wait_xcnt 0x0
	s_mov_b32 s1, -1
	s_delay_alu instid0(VALU_DEP_2)
	v_cmp_eq_u32_e64 s0, 1, v16
	s_cbranch_vccnz .LBB319_207
; %bb.204:
	s_and_b32 vcc_lo, exec_lo, s1
	s_cbranch_vccnz .LBB319_222
.LBB319_205:
	v_cmp_eq_u32_e32 vcc_lo, 0, v0
	s_and_b32 s0, vcc_lo, s16
	s_delay_alu instid0(SALU_CYCLE_1)
	s_and_saveexec_b32 s1, s0
	s_cbranch_execnz .LBB319_239
.LBB319_206:
	s_endpgm
.LBB319_207:
	v_add_nc_u32_e32 v19, v24, v22
	s_delay_alu instid0(VALU_DEP_1) | instskip(SKIP_1) | instid1(SALU_CYCLE_1)
	v_cmp_lt_u32_e32 vcc_lo, v42, v19
	s_or_b32 s1, s17, vcc_lo
	s_and_b32 s1, s1, s0
	s_delay_alu instid0(SALU_CYCLE_1)
	s_and_saveexec_b32 s0, s1
	s_cbranch_execz .LBB319_209
; %bb.208:
	s_lshl_b64 s[4:5], s[14:15], 3
	s_wait_kmcnt 0x0
	s_add_nc_u64 s[4:5], s[2:3], s[4:5]
	global_store_b64 v42, v[10:11], s[4:5] scale_offset
.LBB319_209:
	s_wait_xcnt 0x0
	s_or_b32 exec_lo, exec_lo, s0
	v_and_b32_e32 v21, 1, v33
	v_cmp_lt_u32_e32 vcc_lo, v41, v19
	s_delay_alu instid0(VALU_DEP_2) | instskip(SKIP_1) | instid1(SALU_CYCLE_1)
	v_cmp_eq_u32_e64 s0, 1, v21
	s_or_b32 s1, s17, vcc_lo
	s_and_b32 s1, s1, s0
	s_delay_alu instid0(SALU_CYCLE_1)
	s_and_saveexec_b32 s0, s1
	s_cbranch_execz .LBB319_211
; %bb.210:
	s_lshl_b64 s[4:5], s[14:15], 3
	s_wait_kmcnt 0x0
	s_add_nc_u64 s[4:5], s[2:3], s[4:5]
	global_store_b64 v41, v[12:13], s[4:5] scale_offset
.LBB319_211:
	s_wait_xcnt 0x0
	s_or_b32 exec_lo, exec_lo, s0
	v_and_b32_e32 v21, 1, v32
	v_cmp_lt_u32_e32 vcc_lo, v29, v19
	s_delay_alu instid0(VALU_DEP_2) | instskip(SKIP_1) | instid1(SALU_CYCLE_1)
	v_cmp_eq_u32_e64 s0, 1, v21
	s_or_b32 s1, s17, vcc_lo
	s_and_b32 s1, s1, s0
	s_delay_alu instid0(SALU_CYCLE_1)
	s_and_saveexec_b32 s0, s1
	s_cbranch_execz .LBB319_213
; %bb.212:
	s_lshl_b64 s[4:5], s[14:15], 3
	s_wait_kmcnt 0x0
	s_add_nc_u64 s[4:5], s[2:3], s[4:5]
	global_store_b64 v29, v[6:7], s[4:5] scale_offset
.LBB319_213:
	s_wait_xcnt 0x0
	s_or_b32 exec_lo, exec_lo, s0
	v_and_b32_e32 v21, 1, v20
	v_cmp_lt_u32_e32 vcc_lo, v28, v19
	s_delay_alu instid0(VALU_DEP_2) | instskip(SKIP_1) | instid1(SALU_CYCLE_1)
	v_cmp_eq_u32_e64 s0, 1, v21
	s_or_b32 s1, s17, vcc_lo
	s_and_b32 s1, s1, s0
	s_delay_alu instid0(SALU_CYCLE_1)
	s_and_saveexec_b32 s0, s1
	s_cbranch_execz .LBB319_215
; %bb.214:
	s_lshl_b64 s[4:5], s[14:15], 3
	s_wait_kmcnt 0x0
	s_add_nc_u64 s[4:5], s[2:3], s[4:5]
	global_store_b64 v28, v[8:9], s[4:5] scale_offset
.LBB319_215:
	s_wait_xcnt 0x0
	s_or_b32 exec_lo, exec_lo, s0
	v_and_b32_e32 v21, 1, v17
	v_cmp_lt_u32_e32 vcc_lo, v27, v19
	s_delay_alu instid0(VALU_DEP_2) | instskip(SKIP_1) | instid1(SALU_CYCLE_1)
	v_cmp_eq_u32_e64 s0, 1, v21
	s_or_b32 s1, s17, vcc_lo
	s_and_b32 s1, s1, s0
	s_delay_alu instid0(SALU_CYCLE_1)
	s_and_saveexec_b32 s0, s1
	s_cbranch_execz .LBB319_217
; %bb.216:
	s_lshl_b64 s[4:5], s[14:15], 3
	s_wait_kmcnt 0x0
	s_add_nc_u64 s[4:5], s[2:3], s[4:5]
	global_store_b64 v27, v[2:3], s[4:5] scale_offset
.LBB319_217:
	s_wait_xcnt 0x0
	s_or_b32 exec_lo, exec_lo, s0
	v_and_b32_e32 v21, 1, v31
	v_cmp_lt_u32_e32 vcc_lo, v26, v19
	s_delay_alu instid0(VALU_DEP_2) | instskip(SKIP_1) | instid1(SALU_CYCLE_1)
	v_cmp_eq_u32_e64 s0, 1, v21
	s_or_b32 s1, s17, vcc_lo
	s_and_b32 s1, s1, s0
	s_delay_alu instid0(SALU_CYCLE_1)
	s_and_saveexec_b32 s0, s1
	s_cbranch_execz .LBB319_219
; %bb.218:
	s_lshl_b64 s[4:5], s[14:15], 3
	s_wait_kmcnt 0x0
	s_add_nc_u64 s[4:5], s[2:3], s[4:5]
	global_store_b64 v26, v[4:5], s[4:5] scale_offset
.LBB319_219:
	s_wait_xcnt 0x0
	s_or_b32 exec_lo, exec_lo, s0
	v_and_b32_e32 v21, 1, v30
	v_cmp_lt_u32_e32 vcc_lo, v25, v19
	s_delay_alu instid0(VALU_DEP_2) | instskip(SKIP_1) | instid1(SALU_CYCLE_1)
	v_cmp_eq_u32_e64 s0, 1, v21
	s_or_b32 s1, s17, vcc_lo
	s_and_b32 s1, s1, s0
	s_delay_alu instid0(SALU_CYCLE_1)
	s_and_saveexec_b32 s0, s1
	s_cbranch_execz .LBB319_221
; %bb.220:
	s_lshl_b64 s[4:5], s[14:15], 3
	s_wait_kmcnt 0x0
	s_add_nc_u64 s[4:5], s[2:3], s[4:5]
	global_store_b64 v25, v[14:15], s[4:5] scale_offset
.LBB319_221:
	s_wait_xcnt 0x0
	s_or_b32 exec_lo, exec_lo, s0
	s_branch .LBB319_205
.LBB319_222:
	s_mov_b32 s0, exec_lo
	v_cmpx_eq_u32_e32 1, v16
; %bb.223:
	v_sub_nc_u32_e32 v16, v42, v24
	s_delay_alu instid0(VALU_DEP_1)
	v_lshlrev_b32_e32 v16, 3, v16
	ds_store_b64 v16, v[10:11]
; %bb.224:
	s_or_b32 exec_lo, exec_lo, s0
	v_and_b32_e32 v10, 1, v33
	s_mov_b32 s0, exec_lo
	s_delay_alu instid0(VALU_DEP_1)
	v_cmpx_eq_u32_e32 1, v10
; %bb.225:
	v_sub_nc_u32_e32 v10, v41, v24
	s_delay_alu instid0(VALU_DEP_1)
	v_lshlrev_b32_e32 v10, 3, v10
	ds_store_b64 v10, v[12:13]
; %bb.226:
	s_or_b32 exec_lo, exec_lo, s0
	v_and_b32_e32 v10, 1, v32
	s_mov_b32 s0, exec_lo
	s_delay_alu instid0(VALU_DEP_1)
	;; [unrolled: 11-line block ×6, first 2 shown]
	v_cmpx_eq_u32_e32 1, v2
; %bb.235:
	v_sub_nc_u32_e32 v2, v25, v24
	s_delay_alu instid0(VALU_DEP_1)
	v_lshlrev_b32_e32 v2, 3, v2
	ds_store_b64 v2, v[14:15]
; %bb.236:
	s_or_b32 exec_lo, exec_lo, s0
	v_mov_b32_e32 v25, 0
	s_lshl_b64 s[0:1], s[14:15], 3
	s_wait_storecnt_dscnt 0x0
	s_barrier_signal -1
	s_barrier_wait -1
	v_lshlrev_b64_e32 v[2:3], 3, v[24:25]
	v_mov_b32_e32 v19, v25
	s_delay_alu instid0(VALU_DEP_2) | instskip(SKIP_2) | instid1(VALU_DEP_1)
	v_add_nc_u64_e32 v[2:3], s[0:1], v[2:3]
	s_mov_b32 s0, 0
	s_wait_kmcnt 0x0
	v_add_nc_u64_e32 v[2:3], s[2:3], v[2:3]
	s_delay_alu instid0(VALU_DEP_1)
	v_add_nc_u64_e32 v[2:3], v[2:3], v[18:19]
.LBB319_237:                            ; =>This Inner Loop Header: Depth=1
	ds_load_b64 v[4:5], v18
	v_add_nc_u32_e32 v1, 0x200, v1
	v_add_nc_u32_e32 v18, 0x1000, v18
	s_delay_alu instid0(VALU_DEP_2)
	v_cmp_ge_u32_e32 vcc_lo, v1, v22
	s_or_b32 s0, vcc_lo, s0
	s_wait_dscnt 0x0
	global_store_b64 v[2:3], v[4:5], off
	s_wait_xcnt 0x0
	v_add_nc_u64_e32 v[2:3], 0x1000, v[2:3]
	s_and_not1_b32 exec_lo, exec_lo, s0
	s_cbranch_execnz .LBB319_237
; %bb.238:
	s_or_b32 exec_lo, exec_lo, s0
	v_cmp_eq_u32_e32 vcc_lo, 0, v0
	s_and_b32 s0, vcc_lo, s16
	s_delay_alu instid0(SALU_CYCLE_1)
	s_and_saveexec_b32 s1, s0
	s_cbranch_execz .LBB319_206
.LBB319_239:
	v_mov_b32_e32 v23, 0
	s_delay_alu instid0(VALU_DEP_1) | instskip(SKIP_1) | instid1(VALU_DEP_1)
	v_add_nc_u64_e32 v[0:1], s[14:15], v[22:23]
	v_mov_b32_e32 v25, v23
	v_add_nc_u64_e32 v[0:1], v[0:1], v[24:25]
	global_store_b64 v23, v[0:1], s[12:13]
	s_endpgm
	.section	.rodata,"a",@progbits
	.p2align	6, 0x0
	.amdhsa_kernel _ZN7rocprim17ROCPRIM_400000_NS6detail17trampoline_kernelINS0_14default_configENS1_25partition_config_selectorILNS1_17partition_subalgoE8ElNS0_10empty_typeEbEEZZNS1_14partition_implILS5_8ELb0ES3_jPlPS6_PKS6_NS0_5tupleIJS9_S6_EEENSD_IJSA_SA_EEENS0_18inequality_wrapperIZN2at6native12_GLOBAL__N_124unique_dim_cuda_templateIaEESt5tupleIJNSH_6TensorESM_SM_EERKSM_lbbbEUlllE0_EEPmJS6_EEE10hipError_tPvRmT3_T4_T5_T6_T7_T9_mT8_P12ihipStream_tbDpT10_ENKUlT_T0_E_clISt17integral_constantIbLb0EES1C_EEDaS17_S18_EUlS17_E_NS1_11comp_targetILNS1_3genE0ELNS1_11target_archE4294967295ELNS1_3gpuE0ELNS1_3repE0EEENS1_30default_config_static_selectorELNS0_4arch9wavefront6targetE0EEEvT1_
		.amdhsa_group_segment_fixed_size 28680
		.amdhsa_private_segment_fixed_size 0
		.amdhsa_kernarg_size 120
		.amdhsa_user_sgpr_count 2
		.amdhsa_user_sgpr_dispatch_ptr 0
		.amdhsa_user_sgpr_queue_ptr 0
		.amdhsa_user_sgpr_kernarg_segment_ptr 1
		.amdhsa_user_sgpr_dispatch_id 0
		.amdhsa_user_sgpr_kernarg_preload_length 0
		.amdhsa_user_sgpr_kernarg_preload_offset 0
		.amdhsa_user_sgpr_private_segment_size 0
		.amdhsa_wavefront_size32 1
		.amdhsa_uses_dynamic_stack 0
		.amdhsa_enable_private_segment 0
		.amdhsa_system_sgpr_workgroup_id_x 1
		.amdhsa_system_sgpr_workgroup_id_y 0
		.amdhsa_system_sgpr_workgroup_id_z 0
		.amdhsa_system_sgpr_workgroup_info 0
		.amdhsa_system_vgpr_workitem_id 0
		.amdhsa_next_free_vgpr 54
		.amdhsa_next_free_sgpr 36
		.amdhsa_named_barrier_count 0
		.amdhsa_reserve_vcc 1
		.amdhsa_float_round_mode_32 0
		.amdhsa_float_round_mode_16_64 0
		.amdhsa_float_denorm_mode_32 3
		.amdhsa_float_denorm_mode_16_64 3
		.amdhsa_fp16_overflow 0
		.amdhsa_memory_ordered 1
		.amdhsa_forward_progress 1
		.amdhsa_inst_pref_size 87
		.amdhsa_round_robin_scheduling 0
		.amdhsa_exception_fp_ieee_invalid_op 0
		.amdhsa_exception_fp_denorm_src 0
		.amdhsa_exception_fp_ieee_div_zero 0
		.amdhsa_exception_fp_ieee_overflow 0
		.amdhsa_exception_fp_ieee_underflow 0
		.amdhsa_exception_fp_ieee_inexact 0
		.amdhsa_exception_int_div_zero 0
	.end_amdhsa_kernel
	.section	.text._ZN7rocprim17ROCPRIM_400000_NS6detail17trampoline_kernelINS0_14default_configENS1_25partition_config_selectorILNS1_17partition_subalgoE8ElNS0_10empty_typeEbEEZZNS1_14partition_implILS5_8ELb0ES3_jPlPS6_PKS6_NS0_5tupleIJS9_S6_EEENSD_IJSA_SA_EEENS0_18inequality_wrapperIZN2at6native12_GLOBAL__N_124unique_dim_cuda_templateIaEESt5tupleIJNSH_6TensorESM_SM_EERKSM_lbbbEUlllE0_EEPmJS6_EEE10hipError_tPvRmT3_T4_T5_T6_T7_T9_mT8_P12ihipStream_tbDpT10_ENKUlT_T0_E_clISt17integral_constantIbLb0EES1C_EEDaS17_S18_EUlS17_E_NS1_11comp_targetILNS1_3genE0ELNS1_11target_archE4294967295ELNS1_3gpuE0ELNS1_3repE0EEENS1_30default_config_static_selectorELNS0_4arch9wavefront6targetE0EEEvT1_,"axG",@progbits,_ZN7rocprim17ROCPRIM_400000_NS6detail17trampoline_kernelINS0_14default_configENS1_25partition_config_selectorILNS1_17partition_subalgoE8ElNS0_10empty_typeEbEEZZNS1_14partition_implILS5_8ELb0ES3_jPlPS6_PKS6_NS0_5tupleIJS9_S6_EEENSD_IJSA_SA_EEENS0_18inequality_wrapperIZN2at6native12_GLOBAL__N_124unique_dim_cuda_templateIaEESt5tupleIJNSH_6TensorESM_SM_EERKSM_lbbbEUlllE0_EEPmJS6_EEE10hipError_tPvRmT3_T4_T5_T6_T7_T9_mT8_P12ihipStream_tbDpT10_ENKUlT_T0_E_clISt17integral_constantIbLb0EES1C_EEDaS17_S18_EUlS17_E_NS1_11comp_targetILNS1_3genE0ELNS1_11target_archE4294967295ELNS1_3gpuE0ELNS1_3repE0EEENS1_30default_config_static_selectorELNS0_4arch9wavefront6targetE0EEEvT1_,comdat
.Lfunc_end319:
	.size	_ZN7rocprim17ROCPRIM_400000_NS6detail17trampoline_kernelINS0_14default_configENS1_25partition_config_selectorILNS1_17partition_subalgoE8ElNS0_10empty_typeEbEEZZNS1_14partition_implILS5_8ELb0ES3_jPlPS6_PKS6_NS0_5tupleIJS9_S6_EEENSD_IJSA_SA_EEENS0_18inequality_wrapperIZN2at6native12_GLOBAL__N_124unique_dim_cuda_templateIaEESt5tupleIJNSH_6TensorESM_SM_EERKSM_lbbbEUlllE0_EEPmJS6_EEE10hipError_tPvRmT3_T4_T5_T6_T7_T9_mT8_P12ihipStream_tbDpT10_ENKUlT_T0_E_clISt17integral_constantIbLb0EES1C_EEDaS17_S18_EUlS17_E_NS1_11comp_targetILNS1_3genE0ELNS1_11target_archE4294967295ELNS1_3gpuE0ELNS1_3repE0EEENS1_30default_config_static_selectorELNS0_4arch9wavefront6targetE0EEEvT1_, .Lfunc_end319-_ZN7rocprim17ROCPRIM_400000_NS6detail17trampoline_kernelINS0_14default_configENS1_25partition_config_selectorILNS1_17partition_subalgoE8ElNS0_10empty_typeEbEEZZNS1_14partition_implILS5_8ELb0ES3_jPlPS6_PKS6_NS0_5tupleIJS9_S6_EEENSD_IJSA_SA_EEENS0_18inequality_wrapperIZN2at6native12_GLOBAL__N_124unique_dim_cuda_templateIaEESt5tupleIJNSH_6TensorESM_SM_EERKSM_lbbbEUlllE0_EEPmJS6_EEE10hipError_tPvRmT3_T4_T5_T6_T7_T9_mT8_P12ihipStream_tbDpT10_ENKUlT_T0_E_clISt17integral_constantIbLb0EES1C_EEDaS17_S18_EUlS17_E_NS1_11comp_targetILNS1_3genE0ELNS1_11target_archE4294967295ELNS1_3gpuE0ELNS1_3repE0EEENS1_30default_config_static_selectorELNS0_4arch9wavefront6targetE0EEEvT1_
                                        ; -- End function
	.set _ZN7rocprim17ROCPRIM_400000_NS6detail17trampoline_kernelINS0_14default_configENS1_25partition_config_selectorILNS1_17partition_subalgoE8ElNS0_10empty_typeEbEEZZNS1_14partition_implILS5_8ELb0ES3_jPlPS6_PKS6_NS0_5tupleIJS9_S6_EEENSD_IJSA_SA_EEENS0_18inequality_wrapperIZN2at6native12_GLOBAL__N_124unique_dim_cuda_templateIaEESt5tupleIJNSH_6TensorESM_SM_EERKSM_lbbbEUlllE0_EEPmJS6_EEE10hipError_tPvRmT3_T4_T5_T6_T7_T9_mT8_P12ihipStream_tbDpT10_ENKUlT_T0_E_clISt17integral_constantIbLb0EES1C_EEDaS17_S18_EUlS17_E_NS1_11comp_targetILNS1_3genE0ELNS1_11target_archE4294967295ELNS1_3gpuE0ELNS1_3repE0EEENS1_30default_config_static_selectorELNS0_4arch9wavefront6targetE0EEEvT1_.num_vgpr, 54
	.set _ZN7rocprim17ROCPRIM_400000_NS6detail17trampoline_kernelINS0_14default_configENS1_25partition_config_selectorILNS1_17partition_subalgoE8ElNS0_10empty_typeEbEEZZNS1_14partition_implILS5_8ELb0ES3_jPlPS6_PKS6_NS0_5tupleIJS9_S6_EEENSD_IJSA_SA_EEENS0_18inequality_wrapperIZN2at6native12_GLOBAL__N_124unique_dim_cuda_templateIaEESt5tupleIJNSH_6TensorESM_SM_EERKSM_lbbbEUlllE0_EEPmJS6_EEE10hipError_tPvRmT3_T4_T5_T6_T7_T9_mT8_P12ihipStream_tbDpT10_ENKUlT_T0_E_clISt17integral_constantIbLb0EES1C_EEDaS17_S18_EUlS17_E_NS1_11comp_targetILNS1_3genE0ELNS1_11target_archE4294967295ELNS1_3gpuE0ELNS1_3repE0EEENS1_30default_config_static_selectorELNS0_4arch9wavefront6targetE0EEEvT1_.num_agpr, 0
	.set _ZN7rocprim17ROCPRIM_400000_NS6detail17trampoline_kernelINS0_14default_configENS1_25partition_config_selectorILNS1_17partition_subalgoE8ElNS0_10empty_typeEbEEZZNS1_14partition_implILS5_8ELb0ES3_jPlPS6_PKS6_NS0_5tupleIJS9_S6_EEENSD_IJSA_SA_EEENS0_18inequality_wrapperIZN2at6native12_GLOBAL__N_124unique_dim_cuda_templateIaEESt5tupleIJNSH_6TensorESM_SM_EERKSM_lbbbEUlllE0_EEPmJS6_EEE10hipError_tPvRmT3_T4_T5_T6_T7_T9_mT8_P12ihipStream_tbDpT10_ENKUlT_T0_E_clISt17integral_constantIbLb0EES1C_EEDaS17_S18_EUlS17_E_NS1_11comp_targetILNS1_3genE0ELNS1_11target_archE4294967295ELNS1_3gpuE0ELNS1_3repE0EEENS1_30default_config_static_selectorELNS0_4arch9wavefront6targetE0EEEvT1_.numbered_sgpr, 36
	.set _ZN7rocprim17ROCPRIM_400000_NS6detail17trampoline_kernelINS0_14default_configENS1_25partition_config_selectorILNS1_17partition_subalgoE8ElNS0_10empty_typeEbEEZZNS1_14partition_implILS5_8ELb0ES3_jPlPS6_PKS6_NS0_5tupleIJS9_S6_EEENSD_IJSA_SA_EEENS0_18inequality_wrapperIZN2at6native12_GLOBAL__N_124unique_dim_cuda_templateIaEESt5tupleIJNSH_6TensorESM_SM_EERKSM_lbbbEUlllE0_EEPmJS6_EEE10hipError_tPvRmT3_T4_T5_T6_T7_T9_mT8_P12ihipStream_tbDpT10_ENKUlT_T0_E_clISt17integral_constantIbLb0EES1C_EEDaS17_S18_EUlS17_E_NS1_11comp_targetILNS1_3genE0ELNS1_11target_archE4294967295ELNS1_3gpuE0ELNS1_3repE0EEENS1_30default_config_static_selectorELNS0_4arch9wavefront6targetE0EEEvT1_.num_named_barrier, 0
	.set _ZN7rocprim17ROCPRIM_400000_NS6detail17trampoline_kernelINS0_14default_configENS1_25partition_config_selectorILNS1_17partition_subalgoE8ElNS0_10empty_typeEbEEZZNS1_14partition_implILS5_8ELb0ES3_jPlPS6_PKS6_NS0_5tupleIJS9_S6_EEENSD_IJSA_SA_EEENS0_18inequality_wrapperIZN2at6native12_GLOBAL__N_124unique_dim_cuda_templateIaEESt5tupleIJNSH_6TensorESM_SM_EERKSM_lbbbEUlllE0_EEPmJS6_EEE10hipError_tPvRmT3_T4_T5_T6_T7_T9_mT8_P12ihipStream_tbDpT10_ENKUlT_T0_E_clISt17integral_constantIbLb0EES1C_EEDaS17_S18_EUlS17_E_NS1_11comp_targetILNS1_3genE0ELNS1_11target_archE4294967295ELNS1_3gpuE0ELNS1_3repE0EEENS1_30default_config_static_selectorELNS0_4arch9wavefront6targetE0EEEvT1_.private_seg_size, 0
	.set _ZN7rocprim17ROCPRIM_400000_NS6detail17trampoline_kernelINS0_14default_configENS1_25partition_config_selectorILNS1_17partition_subalgoE8ElNS0_10empty_typeEbEEZZNS1_14partition_implILS5_8ELb0ES3_jPlPS6_PKS6_NS0_5tupleIJS9_S6_EEENSD_IJSA_SA_EEENS0_18inequality_wrapperIZN2at6native12_GLOBAL__N_124unique_dim_cuda_templateIaEESt5tupleIJNSH_6TensorESM_SM_EERKSM_lbbbEUlllE0_EEPmJS6_EEE10hipError_tPvRmT3_T4_T5_T6_T7_T9_mT8_P12ihipStream_tbDpT10_ENKUlT_T0_E_clISt17integral_constantIbLb0EES1C_EEDaS17_S18_EUlS17_E_NS1_11comp_targetILNS1_3genE0ELNS1_11target_archE4294967295ELNS1_3gpuE0ELNS1_3repE0EEENS1_30default_config_static_selectorELNS0_4arch9wavefront6targetE0EEEvT1_.uses_vcc, 1
	.set _ZN7rocprim17ROCPRIM_400000_NS6detail17trampoline_kernelINS0_14default_configENS1_25partition_config_selectorILNS1_17partition_subalgoE8ElNS0_10empty_typeEbEEZZNS1_14partition_implILS5_8ELb0ES3_jPlPS6_PKS6_NS0_5tupleIJS9_S6_EEENSD_IJSA_SA_EEENS0_18inequality_wrapperIZN2at6native12_GLOBAL__N_124unique_dim_cuda_templateIaEESt5tupleIJNSH_6TensorESM_SM_EERKSM_lbbbEUlllE0_EEPmJS6_EEE10hipError_tPvRmT3_T4_T5_T6_T7_T9_mT8_P12ihipStream_tbDpT10_ENKUlT_T0_E_clISt17integral_constantIbLb0EES1C_EEDaS17_S18_EUlS17_E_NS1_11comp_targetILNS1_3genE0ELNS1_11target_archE4294967295ELNS1_3gpuE0ELNS1_3repE0EEENS1_30default_config_static_selectorELNS0_4arch9wavefront6targetE0EEEvT1_.uses_flat_scratch, 0
	.set _ZN7rocprim17ROCPRIM_400000_NS6detail17trampoline_kernelINS0_14default_configENS1_25partition_config_selectorILNS1_17partition_subalgoE8ElNS0_10empty_typeEbEEZZNS1_14partition_implILS5_8ELb0ES3_jPlPS6_PKS6_NS0_5tupleIJS9_S6_EEENSD_IJSA_SA_EEENS0_18inequality_wrapperIZN2at6native12_GLOBAL__N_124unique_dim_cuda_templateIaEESt5tupleIJNSH_6TensorESM_SM_EERKSM_lbbbEUlllE0_EEPmJS6_EEE10hipError_tPvRmT3_T4_T5_T6_T7_T9_mT8_P12ihipStream_tbDpT10_ENKUlT_T0_E_clISt17integral_constantIbLb0EES1C_EEDaS17_S18_EUlS17_E_NS1_11comp_targetILNS1_3genE0ELNS1_11target_archE4294967295ELNS1_3gpuE0ELNS1_3repE0EEENS1_30default_config_static_selectorELNS0_4arch9wavefront6targetE0EEEvT1_.has_dyn_sized_stack, 0
	.set _ZN7rocprim17ROCPRIM_400000_NS6detail17trampoline_kernelINS0_14default_configENS1_25partition_config_selectorILNS1_17partition_subalgoE8ElNS0_10empty_typeEbEEZZNS1_14partition_implILS5_8ELb0ES3_jPlPS6_PKS6_NS0_5tupleIJS9_S6_EEENSD_IJSA_SA_EEENS0_18inequality_wrapperIZN2at6native12_GLOBAL__N_124unique_dim_cuda_templateIaEESt5tupleIJNSH_6TensorESM_SM_EERKSM_lbbbEUlllE0_EEPmJS6_EEE10hipError_tPvRmT3_T4_T5_T6_T7_T9_mT8_P12ihipStream_tbDpT10_ENKUlT_T0_E_clISt17integral_constantIbLb0EES1C_EEDaS17_S18_EUlS17_E_NS1_11comp_targetILNS1_3genE0ELNS1_11target_archE4294967295ELNS1_3gpuE0ELNS1_3repE0EEENS1_30default_config_static_selectorELNS0_4arch9wavefront6targetE0EEEvT1_.has_recursion, 0
	.set _ZN7rocprim17ROCPRIM_400000_NS6detail17trampoline_kernelINS0_14default_configENS1_25partition_config_selectorILNS1_17partition_subalgoE8ElNS0_10empty_typeEbEEZZNS1_14partition_implILS5_8ELb0ES3_jPlPS6_PKS6_NS0_5tupleIJS9_S6_EEENSD_IJSA_SA_EEENS0_18inequality_wrapperIZN2at6native12_GLOBAL__N_124unique_dim_cuda_templateIaEESt5tupleIJNSH_6TensorESM_SM_EERKSM_lbbbEUlllE0_EEPmJS6_EEE10hipError_tPvRmT3_T4_T5_T6_T7_T9_mT8_P12ihipStream_tbDpT10_ENKUlT_T0_E_clISt17integral_constantIbLb0EES1C_EEDaS17_S18_EUlS17_E_NS1_11comp_targetILNS1_3genE0ELNS1_11target_archE4294967295ELNS1_3gpuE0ELNS1_3repE0EEENS1_30default_config_static_selectorELNS0_4arch9wavefront6targetE0EEEvT1_.has_indirect_call, 0
	.section	.AMDGPU.csdata,"",@progbits
; Kernel info:
; codeLenInByte = 11068
; TotalNumSgprs: 38
; NumVgprs: 54
; ScratchSize: 0
; MemoryBound: 0
; FloatMode: 240
; IeeeMode: 1
; LDSByteSize: 28680 bytes/workgroup (compile time only)
; SGPRBlocks: 0
; VGPRBlocks: 3
; NumSGPRsForWavesPerEU: 38
; NumVGPRsForWavesPerEU: 54
; NamedBarCnt: 0
; Occupancy: 16
; WaveLimiterHint : 1
; COMPUTE_PGM_RSRC2:SCRATCH_EN: 0
; COMPUTE_PGM_RSRC2:USER_SGPR: 2
; COMPUTE_PGM_RSRC2:TRAP_HANDLER: 0
; COMPUTE_PGM_RSRC2:TGID_X_EN: 1
; COMPUTE_PGM_RSRC2:TGID_Y_EN: 0
; COMPUTE_PGM_RSRC2:TGID_Z_EN: 0
; COMPUTE_PGM_RSRC2:TIDIG_COMP_CNT: 0
	.section	.text._ZN7rocprim17ROCPRIM_400000_NS6detail17trampoline_kernelINS0_14default_configENS1_25partition_config_selectorILNS1_17partition_subalgoE8ElNS0_10empty_typeEbEEZZNS1_14partition_implILS5_8ELb0ES3_jPlPS6_PKS6_NS0_5tupleIJS9_S6_EEENSD_IJSA_SA_EEENS0_18inequality_wrapperIZN2at6native12_GLOBAL__N_124unique_dim_cuda_templateIaEESt5tupleIJNSH_6TensorESM_SM_EERKSM_lbbbEUlllE0_EEPmJS6_EEE10hipError_tPvRmT3_T4_T5_T6_T7_T9_mT8_P12ihipStream_tbDpT10_ENKUlT_T0_E_clISt17integral_constantIbLb0EES1C_EEDaS17_S18_EUlS17_E_NS1_11comp_targetILNS1_3genE5ELNS1_11target_archE942ELNS1_3gpuE9ELNS1_3repE0EEENS1_30default_config_static_selectorELNS0_4arch9wavefront6targetE0EEEvT1_,"axG",@progbits,_ZN7rocprim17ROCPRIM_400000_NS6detail17trampoline_kernelINS0_14default_configENS1_25partition_config_selectorILNS1_17partition_subalgoE8ElNS0_10empty_typeEbEEZZNS1_14partition_implILS5_8ELb0ES3_jPlPS6_PKS6_NS0_5tupleIJS9_S6_EEENSD_IJSA_SA_EEENS0_18inequality_wrapperIZN2at6native12_GLOBAL__N_124unique_dim_cuda_templateIaEESt5tupleIJNSH_6TensorESM_SM_EERKSM_lbbbEUlllE0_EEPmJS6_EEE10hipError_tPvRmT3_T4_T5_T6_T7_T9_mT8_P12ihipStream_tbDpT10_ENKUlT_T0_E_clISt17integral_constantIbLb0EES1C_EEDaS17_S18_EUlS17_E_NS1_11comp_targetILNS1_3genE5ELNS1_11target_archE942ELNS1_3gpuE9ELNS1_3repE0EEENS1_30default_config_static_selectorELNS0_4arch9wavefront6targetE0EEEvT1_,comdat
	.globl	_ZN7rocprim17ROCPRIM_400000_NS6detail17trampoline_kernelINS0_14default_configENS1_25partition_config_selectorILNS1_17partition_subalgoE8ElNS0_10empty_typeEbEEZZNS1_14partition_implILS5_8ELb0ES3_jPlPS6_PKS6_NS0_5tupleIJS9_S6_EEENSD_IJSA_SA_EEENS0_18inequality_wrapperIZN2at6native12_GLOBAL__N_124unique_dim_cuda_templateIaEESt5tupleIJNSH_6TensorESM_SM_EERKSM_lbbbEUlllE0_EEPmJS6_EEE10hipError_tPvRmT3_T4_T5_T6_T7_T9_mT8_P12ihipStream_tbDpT10_ENKUlT_T0_E_clISt17integral_constantIbLb0EES1C_EEDaS17_S18_EUlS17_E_NS1_11comp_targetILNS1_3genE5ELNS1_11target_archE942ELNS1_3gpuE9ELNS1_3repE0EEENS1_30default_config_static_selectorELNS0_4arch9wavefront6targetE0EEEvT1_ ; -- Begin function _ZN7rocprim17ROCPRIM_400000_NS6detail17trampoline_kernelINS0_14default_configENS1_25partition_config_selectorILNS1_17partition_subalgoE8ElNS0_10empty_typeEbEEZZNS1_14partition_implILS5_8ELb0ES3_jPlPS6_PKS6_NS0_5tupleIJS9_S6_EEENSD_IJSA_SA_EEENS0_18inequality_wrapperIZN2at6native12_GLOBAL__N_124unique_dim_cuda_templateIaEESt5tupleIJNSH_6TensorESM_SM_EERKSM_lbbbEUlllE0_EEPmJS6_EEE10hipError_tPvRmT3_T4_T5_T6_T7_T9_mT8_P12ihipStream_tbDpT10_ENKUlT_T0_E_clISt17integral_constantIbLb0EES1C_EEDaS17_S18_EUlS17_E_NS1_11comp_targetILNS1_3genE5ELNS1_11target_archE942ELNS1_3gpuE9ELNS1_3repE0EEENS1_30default_config_static_selectorELNS0_4arch9wavefront6targetE0EEEvT1_
	.p2align	8
	.type	_ZN7rocprim17ROCPRIM_400000_NS6detail17trampoline_kernelINS0_14default_configENS1_25partition_config_selectorILNS1_17partition_subalgoE8ElNS0_10empty_typeEbEEZZNS1_14partition_implILS5_8ELb0ES3_jPlPS6_PKS6_NS0_5tupleIJS9_S6_EEENSD_IJSA_SA_EEENS0_18inequality_wrapperIZN2at6native12_GLOBAL__N_124unique_dim_cuda_templateIaEESt5tupleIJNSH_6TensorESM_SM_EERKSM_lbbbEUlllE0_EEPmJS6_EEE10hipError_tPvRmT3_T4_T5_T6_T7_T9_mT8_P12ihipStream_tbDpT10_ENKUlT_T0_E_clISt17integral_constantIbLb0EES1C_EEDaS17_S18_EUlS17_E_NS1_11comp_targetILNS1_3genE5ELNS1_11target_archE942ELNS1_3gpuE9ELNS1_3repE0EEENS1_30default_config_static_selectorELNS0_4arch9wavefront6targetE0EEEvT1_,@function
_ZN7rocprim17ROCPRIM_400000_NS6detail17trampoline_kernelINS0_14default_configENS1_25partition_config_selectorILNS1_17partition_subalgoE8ElNS0_10empty_typeEbEEZZNS1_14partition_implILS5_8ELb0ES3_jPlPS6_PKS6_NS0_5tupleIJS9_S6_EEENSD_IJSA_SA_EEENS0_18inequality_wrapperIZN2at6native12_GLOBAL__N_124unique_dim_cuda_templateIaEESt5tupleIJNSH_6TensorESM_SM_EERKSM_lbbbEUlllE0_EEPmJS6_EEE10hipError_tPvRmT3_T4_T5_T6_T7_T9_mT8_P12ihipStream_tbDpT10_ENKUlT_T0_E_clISt17integral_constantIbLb0EES1C_EEDaS17_S18_EUlS17_E_NS1_11comp_targetILNS1_3genE5ELNS1_11target_archE942ELNS1_3gpuE9ELNS1_3repE0EEENS1_30default_config_static_selectorELNS0_4arch9wavefront6targetE0EEEvT1_: ; @_ZN7rocprim17ROCPRIM_400000_NS6detail17trampoline_kernelINS0_14default_configENS1_25partition_config_selectorILNS1_17partition_subalgoE8ElNS0_10empty_typeEbEEZZNS1_14partition_implILS5_8ELb0ES3_jPlPS6_PKS6_NS0_5tupleIJS9_S6_EEENSD_IJSA_SA_EEENS0_18inequality_wrapperIZN2at6native12_GLOBAL__N_124unique_dim_cuda_templateIaEESt5tupleIJNSH_6TensorESM_SM_EERKSM_lbbbEUlllE0_EEPmJS6_EEE10hipError_tPvRmT3_T4_T5_T6_T7_T9_mT8_P12ihipStream_tbDpT10_ENKUlT_T0_E_clISt17integral_constantIbLb0EES1C_EEDaS17_S18_EUlS17_E_NS1_11comp_targetILNS1_3genE5ELNS1_11target_archE942ELNS1_3gpuE9ELNS1_3repE0EEENS1_30default_config_static_selectorELNS0_4arch9wavefront6targetE0EEEvT1_
; %bb.0:
	.section	.rodata,"a",@progbits
	.p2align	6, 0x0
	.amdhsa_kernel _ZN7rocprim17ROCPRIM_400000_NS6detail17trampoline_kernelINS0_14default_configENS1_25partition_config_selectorILNS1_17partition_subalgoE8ElNS0_10empty_typeEbEEZZNS1_14partition_implILS5_8ELb0ES3_jPlPS6_PKS6_NS0_5tupleIJS9_S6_EEENSD_IJSA_SA_EEENS0_18inequality_wrapperIZN2at6native12_GLOBAL__N_124unique_dim_cuda_templateIaEESt5tupleIJNSH_6TensorESM_SM_EERKSM_lbbbEUlllE0_EEPmJS6_EEE10hipError_tPvRmT3_T4_T5_T6_T7_T9_mT8_P12ihipStream_tbDpT10_ENKUlT_T0_E_clISt17integral_constantIbLb0EES1C_EEDaS17_S18_EUlS17_E_NS1_11comp_targetILNS1_3genE5ELNS1_11target_archE942ELNS1_3gpuE9ELNS1_3repE0EEENS1_30default_config_static_selectorELNS0_4arch9wavefront6targetE0EEEvT1_
		.amdhsa_group_segment_fixed_size 0
		.amdhsa_private_segment_fixed_size 0
		.amdhsa_kernarg_size 120
		.amdhsa_user_sgpr_count 2
		.amdhsa_user_sgpr_dispatch_ptr 0
		.amdhsa_user_sgpr_queue_ptr 0
		.amdhsa_user_sgpr_kernarg_segment_ptr 1
		.amdhsa_user_sgpr_dispatch_id 0
		.amdhsa_user_sgpr_kernarg_preload_length 0
		.amdhsa_user_sgpr_kernarg_preload_offset 0
		.amdhsa_user_sgpr_private_segment_size 0
		.amdhsa_wavefront_size32 1
		.amdhsa_uses_dynamic_stack 0
		.amdhsa_enable_private_segment 0
		.amdhsa_system_sgpr_workgroup_id_x 1
		.amdhsa_system_sgpr_workgroup_id_y 0
		.amdhsa_system_sgpr_workgroup_id_z 0
		.amdhsa_system_sgpr_workgroup_info 0
		.amdhsa_system_vgpr_workitem_id 0
		.amdhsa_next_free_vgpr 1
		.amdhsa_next_free_sgpr 1
		.amdhsa_named_barrier_count 0
		.amdhsa_reserve_vcc 0
		.amdhsa_float_round_mode_32 0
		.amdhsa_float_round_mode_16_64 0
		.amdhsa_float_denorm_mode_32 3
		.amdhsa_float_denorm_mode_16_64 3
		.amdhsa_fp16_overflow 0
		.amdhsa_memory_ordered 1
		.amdhsa_forward_progress 1
		.amdhsa_inst_pref_size 0
		.amdhsa_round_robin_scheduling 0
		.amdhsa_exception_fp_ieee_invalid_op 0
		.amdhsa_exception_fp_denorm_src 0
		.amdhsa_exception_fp_ieee_div_zero 0
		.amdhsa_exception_fp_ieee_overflow 0
		.amdhsa_exception_fp_ieee_underflow 0
		.amdhsa_exception_fp_ieee_inexact 0
		.amdhsa_exception_int_div_zero 0
	.end_amdhsa_kernel
	.section	.text._ZN7rocprim17ROCPRIM_400000_NS6detail17trampoline_kernelINS0_14default_configENS1_25partition_config_selectorILNS1_17partition_subalgoE8ElNS0_10empty_typeEbEEZZNS1_14partition_implILS5_8ELb0ES3_jPlPS6_PKS6_NS0_5tupleIJS9_S6_EEENSD_IJSA_SA_EEENS0_18inequality_wrapperIZN2at6native12_GLOBAL__N_124unique_dim_cuda_templateIaEESt5tupleIJNSH_6TensorESM_SM_EERKSM_lbbbEUlllE0_EEPmJS6_EEE10hipError_tPvRmT3_T4_T5_T6_T7_T9_mT8_P12ihipStream_tbDpT10_ENKUlT_T0_E_clISt17integral_constantIbLb0EES1C_EEDaS17_S18_EUlS17_E_NS1_11comp_targetILNS1_3genE5ELNS1_11target_archE942ELNS1_3gpuE9ELNS1_3repE0EEENS1_30default_config_static_selectorELNS0_4arch9wavefront6targetE0EEEvT1_,"axG",@progbits,_ZN7rocprim17ROCPRIM_400000_NS6detail17trampoline_kernelINS0_14default_configENS1_25partition_config_selectorILNS1_17partition_subalgoE8ElNS0_10empty_typeEbEEZZNS1_14partition_implILS5_8ELb0ES3_jPlPS6_PKS6_NS0_5tupleIJS9_S6_EEENSD_IJSA_SA_EEENS0_18inequality_wrapperIZN2at6native12_GLOBAL__N_124unique_dim_cuda_templateIaEESt5tupleIJNSH_6TensorESM_SM_EERKSM_lbbbEUlllE0_EEPmJS6_EEE10hipError_tPvRmT3_T4_T5_T6_T7_T9_mT8_P12ihipStream_tbDpT10_ENKUlT_T0_E_clISt17integral_constantIbLb0EES1C_EEDaS17_S18_EUlS17_E_NS1_11comp_targetILNS1_3genE5ELNS1_11target_archE942ELNS1_3gpuE9ELNS1_3repE0EEENS1_30default_config_static_selectorELNS0_4arch9wavefront6targetE0EEEvT1_,comdat
.Lfunc_end320:
	.size	_ZN7rocprim17ROCPRIM_400000_NS6detail17trampoline_kernelINS0_14default_configENS1_25partition_config_selectorILNS1_17partition_subalgoE8ElNS0_10empty_typeEbEEZZNS1_14partition_implILS5_8ELb0ES3_jPlPS6_PKS6_NS0_5tupleIJS9_S6_EEENSD_IJSA_SA_EEENS0_18inequality_wrapperIZN2at6native12_GLOBAL__N_124unique_dim_cuda_templateIaEESt5tupleIJNSH_6TensorESM_SM_EERKSM_lbbbEUlllE0_EEPmJS6_EEE10hipError_tPvRmT3_T4_T5_T6_T7_T9_mT8_P12ihipStream_tbDpT10_ENKUlT_T0_E_clISt17integral_constantIbLb0EES1C_EEDaS17_S18_EUlS17_E_NS1_11comp_targetILNS1_3genE5ELNS1_11target_archE942ELNS1_3gpuE9ELNS1_3repE0EEENS1_30default_config_static_selectorELNS0_4arch9wavefront6targetE0EEEvT1_, .Lfunc_end320-_ZN7rocprim17ROCPRIM_400000_NS6detail17trampoline_kernelINS0_14default_configENS1_25partition_config_selectorILNS1_17partition_subalgoE8ElNS0_10empty_typeEbEEZZNS1_14partition_implILS5_8ELb0ES3_jPlPS6_PKS6_NS0_5tupleIJS9_S6_EEENSD_IJSA_SA_EEENS0_18inequality_wrapperIZN2at6native12_GLOBAL__N_124unique_dim_cuda_templateIaEESt5tupleIJNSH_6TensorESM_SM_EERKSM_lbbbEUlllE0_EEPmJS6_EEE10hipError_tPvRmT3_T4_T5_T6_T7_T9_mT8_P12ihipStream_tbDpT10_ENKUlT_T0_E_clISt17integral_constantIbLb0EES1C_EEDaS17_S18_EUlS17_E_NS1_11comp_targetILNS1_3genE5ELNS1_11target_archE942ELNS1_3gpuE9ELNS1_3repE0EEENS1_30default_config_static_selectorELNS0_4arch9wavefront6targetE0EEEvT1_
                                        ; -- End function
	.set _ZN7rocprim17ROCPRIM_400000_NS6detail17trampoline_kernelINS0_14default_configENS1_25partition_config_selectorILNS1_17partition_subalgoE8ElNS0_10empty_typeEbEEZZNS1_14partition_implILS5_8ELb0ES3_jPlPS6_PKS6_NS0_5tupleIJS9_S6_EEENSD_IJSA_SA_EEENS0_18inequality_wrapperIZN2at6native12_GLOBAL__N_124unique_dim_cuda_templateIaEESt5tupleIJNSH_6TensorESM_SM_EERKSM_lbbbEUlllE0_EEPmJS6_EEE10hipError_tPvRmT3_T4_T5_T6_T7_T9_mT8_P12ihipStream_tbDpT10_ENKUlT_T0_E_clISt17integral_constantIbLb0EES1C_EEDaS17_S18_EUlS17_E_NS1_11comp_targetILNS1_3genE5ELNS1_11target_archE942ELNS1_3gpuE9ELNS1_3repE0EEENS1_30default_config_static_selectorELNS0_4arch9wavefront6targetE0EEEvT1_.num_vgpr, 0
	.set _ZN7rocprim17ROCPRIM_400000_NS6detail17trampoline_kernelINS0_14default_configENS1_25partition_config_selectorILNS1_17partition_subalgoE8ElNS0_10empty_typeEbEEZZNS1_14partition_implILS5_8ELb0ES3_jPlPS6_PKS6_NS0_5tupleIJS9_S6_EEENSD_IJSA_SA_EEENS0_18inequality_wrapperIZN2at6native12_GLOBAL__N_124unique_dim_cuda_templateIaEESt5tupleIJNSH_6TensorESM_SM_EERKSM_lbbbEUlllE0_EEPmJS6_EEE10hipError_tPvRmT3_T4_T5_T6_T7_T9_mT8_P12ihipStream_tbDpT10_ENKUlT_T0_E_clISt17integral_constantIbLb0EES1C_EEDaS17_S18_EUlS17_E_NS1_11comp_targetILNS1_3genE5ELNS1_11target_archE942ELNS1_3gpuE9ELNS1_3repE0EEENS1_30default_config_static_selectorELNS0_4arch9wavefront6targetE0EEEvT1_.num_agpr, 0
	.set _ZN7rocprim17ROCPRIM_400000_NS6detail17trampoline_kernelINS0_14default_configENS1_25partition_config_selectorILNS1_17partition_subalgoE8ElNS0_10empty_typeEbEEZZNS1_14partition_implILS5_8ELb0ES3_jPlPS6_PKS6_NS0_5tupleIJS9_S6_EEENSD_IJSA_SA_EEENS0_18inequality_wrapperIZN2at6native12_GLOBAL__N_124unique_dim_cuda_templateIaEESt5tupleIJNSH_6TensorESM_SM_EERKSM_lbbbEUlllE0_EEPmJS6_EEE10hipError_tPvRmT3_T4_T5_T6_T7_T9_mT8_P12ihipStream_tbDpT10_ENKUlT_T0_E_clISt17integral_constantIbLb0EES1C_EEDaS17_S18_EUlS17_E_NS1_11comp_targetILNS1_3genE5ELNS1_11target_archE942ELNS1_3gpuE9ELNS1_3repE0EEENS1_30default_config_static_selectorELNS0_4arch9wavefront6targetE0EEEvT1_.numbered_sgpr, 0
	.set _ZN7rocprim17ROCPRIM_400000_NS6detail17trampoline_kernelINS0_14default_configENS1_25partition_config_selectorILNS1_17partition_subalgoE8ElNS0_10empty_typeEbEEZZNS1_14partition_implILS5_8ELb0ES3_jPlPS6_PKS6_NS0_5tupleIJS9_S6_EEENSD_IJSA_SA_EEENS0_18inequality_wrapperIZN2at6native12_GLOBAL__N_124unique_dim_cuda_templateIaEESt5tupleIJNSH_6TensorESM_SM_EERKSM_lbbbEUlllE0_EEPmJS6_EEE10hipError_tPvRmT3_T4_T5_T6_T7_T9_mT8_P12ihipStream_tbDpT10_ENKUlT_T0_E_clISt17integral_constantIbLb0EES1C_EEDaS17_S18_EUlS17_E_NS1_11comp_targetILNS1_3genE5ELNS1_11target_archE942ELNS1_3gpuE9ELNS1_3repE0EEENS1_30default_config_static_selectorELNS0_4arch9wavefront6targetE0EEEvT1_.num_named_barrier, 0
	.set _ZN7rocprim17ROCPRIM_400000_NS6detail17trampoline_kernelINS0_14default_configENS1_25partition_config_selectorILNS1_17partition_subalgoE8ElNS0_10empty_typeEbEEZZNS1_14partition_implILS5_8ELb0ES3_jPlPS6_PKS6_NS0_5tupleIJS9_S6_EEENSD_IJSA_SA_EEENS0_18inequality_wrapperIZN2at6native12_GLOBAL__N_124unique_dim_cuda_templateIaEESt5tupleIJNSH_6TensorESM_SM_EERKSM_lbbbEUlllE0_EEPmJS6_EEE10hipError_tPvRmT3_T4_T5_T6_T7_T9_mT8_P12ihipStream_tbDpT10_ENKUlT_T0_E_clISt17integral_constantIbLb0EES1C_EEDaS17_S18_EUlS17_E_NS1_11comp_targetILNS1_3genE5ELNS1_11target_archE942ELNS1_3gpuE9ELNS1_3repE0EEENS1_30default_config_static_selectorELNS0_4arch9wavefront6targetE0EEEvT1_.private_seg_size, 0
	.set _ZN7rocprim17ROCPRIM_400000_NS6detail17trampoline_kernelINS0_14default_configENS1_25partition_config_selectorILNS1_17partition_subalgoE8ElNS0_10empty_typeEbEEZZNS1_14partition_implILS5_8ELb0ES3_jPlPS6_PKS6_NS0_5tupleIJS9_S6_EEENSD_IJSA_SA_EEENS0_18inequality_wrapperIZN2at6native12_GLOBAL__N_124unique_dim_cuda_templateIaEESt5tupleIJNSH_6TensorESM_SM_EERKSM_lbbbEUlllE0_EEPmJS6_EEE10hipError_tPvRmT3_T4_T5_T6_T7_T9_mT8_P12ihipStream_tbDpT10_ENKUlT_T0_E_clISt17integral_constantIbLb0EES1C_EEDaS17_S18_EUlS17_E_NS1_11comp_targetILNS1_3genE5ELNS1_11target_archE942ELNS1_3gpuE9ELNS1_3repE0EEENS1_30default_config_static_selectorELNS0_4arch9wavefront6targetE0EEEvT1_.uses_vcc, 0
	.set _ZN7rocprim17ROCPRIM_400000_NS6detail17trampoline_kernelINS0_14default_configENS1_25partition_config_selectorILNS1_17partition_subalgoE8ElNS0_10empty_typeEbEEZZNS1_14partition_implILS5_8ELb0ES3_jPlPS6_PKS6_NS0_5tupleIJS9_S6_EEENSD_IJSA_SA_EEENS0_18inequality_wrapperIZN2at6native12_GLOBAL__N_124unique_dim_cuda_templateIaEESt5tupleIJNSH_6TensorESM_SM_EERKSM_lbbbEUlllE0_EEPmJS6_EEE10hipError_tPvRmT3_T4_T5_T6_T7_T9_mT8_P12ihipStream_tbDpT10_ENKUlT_T0_E_clISt17integral_constantIbLb0EES1C_EEDaS17_S18_EUlS17_E_NS1_11comp_targetILNS1_3genE5ELNS1_11target_archE942ELNS1_3gpuE9ELNS1_3repE0EEENS1_30default_config_static_selectorELNS0_4arch9wavefront6targetE0EEEvT1_.uses_flat_scratch, 0
	.set _ZN7rocprim17ROCPRIM_400000_NS6detail17trampoline_kernelINS0_14default_configENS1_25partition_config_selectorILNS1_17partition_subalgoE8ElNS0_10empty_typeEbEEZZNS1_14partition_implILS5_8ELb0ES3_jPlPS6_PKS6_NS0_5tupleIJS9_S6_EEENSD_IJSA_SA_EEENS0_18inequality_wrapperIZN2at6native12_GLOBAL__N_124unique_dim_cuda_templateIaEESt5tupleIJNSH_6TensorESM_SM_EERKSM_lbbbEUlllE0_EEPmJS6_EEE10hipError_tPvRmT3_T4_T5_T6_T7_T9_mT8_P12ihipStream_tbDpT10_ENKUlT_T0_E_clISt17integral_constantIbLb0EES1C_EEDaS17_S18_EUlS17_E_NS1_11comp_targetILNS1_3genE5ELNS1_11target_archE942ELNS1_3gpuE9ELNS1_3repE0EEENS1_30default_config_static_selectorELNS0_4arch9wavefront6targetE0EEEvT1_.has_dyn_sized_stack, 0
	.set _ZN7rocprim17ROCPRIM_400000_NS6detail17trampoline_kernelINS0_14default_configENS1_25partition_config_selectorILNS1_17partition_subalgoE8ElNS0_10empty_typeEbEEZZNS1_14partition_implILS5_8ELb0ES3_jPlPS6_PKS6_NS0_5tupleIJS9_S6_EEENSD_IJSA_SA_EEENS0_18inequality_wrapperIZN2at6native12_GLOBAL__N_124unique_dim_cuda_templateIaEESt5tupleIJNSH_6TensorESM_SM_EERKSM_lbbbEUlllE0_EEPmJS6_EEE10hipError_tPvRmT3_T4_T5_T6_T7_T9_mT8_P12ihipStream_tbDpT10_ENKUlT_T0_E_clISt17integral_constantIbLb0EES1C_EEDaS17_S18_EUlS17_E_NS1_11comp_targetILNS1_3genE5ELNS1_11target_archE942ELNS1_3gpuE9ELNS1_3repE0EEENS1_30default_config_static_selectorELNS0_4arch9wavefront6targetE0EEEvT1_.has_recursion, 0
	.set _ZN7rocprim17ROCPRIM_400000_NS6detail17trampoline_kernelINS0_14default_configENS1_25partition_config_selectorILNS1_17partition_subalgoE8ElNS0_10empty_typeEbEEZZNS1_14partition_implILS5_8ELb0ES3_jPlPS6_PKS6_NS0_5tupleIJS9_S6_EEENSD_IJSA_SA_EEENS0_18inequality_wrapperIZN2at6native12_GLOBAL__N_124unique_dim_cuda_templateIaEESt5tupleIJNSH_6TensorESM_SM_EERKSM_lbbbEUlllE0_EEPmJS6_EEE10hipError_tPvRmT3_T4_T5_T6_T7_T9_mT8_P12ihipStream_tbDpT10_ENKUlT_T0_E_clISt17integral_constantIbLb0EES1C_EEDaS17_S18_EUlS17_E_NS1_11comp_targetILNS1_3genE5ELNS1_11target_archE942ELNS1_3gpuE9ELNS1_3repE0EEENS1_30default_config_static_selectorELNS0_4arch9wavefront6targetE0EEEvT1_.has_indirect_call, 0
	.section	.AMDGPU.csdata,"",@progbits
; Kernel info:
; codeLenInByte = 0
; TotalNumSgprs: 0
; NumVgprs: 0
; ScratchSize: 0
; MemoryBound: 0
; FloatMode: 240
; IeeeMode: 1
; LDSByteSize: 0 bytes/workgroup (compile time only)
; SGPRBlocks: 0
; VGPRBlocks: 0
; NumSGPRsForWavesPerEU: 1
; NumVGPRsForWavesPerEU: 1
; NamedBarCnt: 0
; Occupancy: 16
; WaveLimiterHint : 0
; COMPUTE_PGM_RSRC2:SCRATCH_EN: 0
; COMPUTE_PGM_RSRC2:USER_SGPR: 2
; COMPUTE_PGM_RSRC2:TRAP_HANDLER: 0
; COMPUTE_PGM_RSRC2:TGID_X_EN: 1
; COMPUTE_PGM_RSRC2:TGID_Y_EN: 0
; COMPUTE_PGM_RSRC2:TGID_Z_EN: 0
; COMPUTE_PGM_RSRC2:TIDIG_COMP_CNT: 0
	.section	.text._ZN7rocprim17ROCPRIM_400000_NS6detail17trampoline_kernelINS0_14default_configENS1_25partition_config_selectorILNS1_17partition_subalgoE8ElNS0_10empty_typeEbEEZZNS1_14partition_implILS5_8ELb0ES3_jPlPS6_PKS6_NS0_5tupleIJS9_S6_EEENSD_IJSA_SA_EEENS0_18inequality_wrapperIZN2at6native12_GLOBAL__N_124unique_dim_cuda_templateIaEESt5tupleIJNSH_6TensorESM_SM_EERKSM_lbbbEUlllE0_EEPmJS6_EEE10hipError_tPvRmT3_T4_T5_T6_T7_T9_mT8_P12ihipStream_tbDpT10_ENKUlT_T0_E_clISt17integral_constantIbLb0EES1C_EEDaS17_S18_EUlS17_E_NS1_11comp_targetILNS1_3genE4ELNS1_11target_archE910ELNS1_3gpuE8ELNS1_3repE0EEENS1_30default_config_static_selectorELNS0_4arch9wavefront6targetE0EEEvT1_,"axG",@progbits,_ZN7rocprim17ROCPRIM_400000_NS6detail17trampoline_kernelINS0_14default_configENS1_25partition_config_selectorILNS1_17partition_subalgoE8ElNS0_10empty_typeEbEEZZNS1_14partition_implILS5_8ELb0ES3_jPlPS6_PKS6_NS0_5tupleIJS9_S6_EEENSD_IJSA_SA_EEENS0_18inequality_wrapperIZN2at6native12_GLOBAL__N_124unique_dim_cuda_templateIaEESt5tupleIJNSH_6TensorESM_SM_EERKSM_lbbbEUlllE0_EEPmJS6_EEE10hipError_tPvRmT3_T4_T5_T6_T7_T9_mT8_P12ihipStream_tbDpT10_ENKUlT_T0_E_clISt17integral_constantIbLb0EES1C_EEDaS17_S18_EUlS17_E_NS1_11comp_targetILNS1_3genE4ELNS1_11target_archE910ELNS1_3gpuE8ELNS1_3repE0EEENS1_30default_config_static_selectorELNS0_4arch9wavefront6targetE0EEEvT1_,comdat
	.globl	_ZN7rocprim17ROCPRIM_400000_NS6detail17trampoline_kernelINS0_14default_configENS1_25partition_config_selectorILNS1_17partition_subalgoE8ElNS0_10empty_typeEbEEZZNS1_14partition_implILS5_8ELb0ES3_jPlPS6_PKS6_NS0_5tupleIJS9_S6_EEENSD_IJSA_SA_EEENS0_18inequality_wrapperIZN2at6native12_GLOBAL__N_124unique_dim_cuda_templateIaEESt5tupleIJNSH_6TensorESM_SM_EERKSM_lbbbEUlllE0_EEPmJS6_EEE10hipError_tPvRmT3_T4_T5_T6_T7_T9_mT8_P12ihipStream_tbDpT10_ENKUlT_T0_E_clISt17integral_constantIbLb0EES1C_EEDaS17_S18_EUlS17_E_NS1_11comp_targetILNS1_3genE4ELNS1_11target_archE910ELNS1_3gpuE8ELNS1_3repE0EEENS1_30default_config_static_selectorELNS0_4arch9wavefront6targetE0EEEvT1_ ; -- Begin function _ZN7rocprim17ROCPRIM_400000_NS6detail17trampoline_kernelINS0_14default_configENS1_25partition_config_selectorILNS1_17partition_subalgoE8ElNS0_10empty_typeEbEEZZNS1_14partition_implILS5_8ELb0ES3_jPlPS6_PKS6_NS0_5tupleIJS9_S6_EEENSD_IJSA_SA_EEENS0_18inequality_wrapperIZN2at6native12_GLOBAL__N_124unique_dim_cuda_templateIaEESt5tupleIJNSH_6TensorESM_SM_EERKSM_lbbbEUlllE0_EEPmJS6_EEE10hipError_tPvRmT3_T4_T5_T6_T7_T9_mT8_P12ihipStream_tbDpT10_ENKUlT_T0_E_clISt17integral_constantIbLb0EES1C_EEDaS17_S18_EUlS17_E_NS1_11comp_targetILNS1_3genE4ELNS1_11target_archE910ELNS1_3gpuE8ELNS1_3repE0EEENS1_30default_config_static_selectorELNS0_4arch9wavefront6targetE0EEEvT1_
	.p2align	8
	.type	_ZN7rocprim17ROCPRIM_400000_NS6detail17trampoline_kernelINS0_14default_configENS1_25partition_config_selectorILNS1_17partition_subalgoE8ElNS0_10empty_typeEbEEZZNS1_14partition_implILS5_8ELb0ES3_jPlPS6_PKS6_NS0_5tupleIJS9_S6_EEENSD_IJSA_SA_EEENS0_18inequality_wrapperIZN2at6native12_GLOBAL__N_124unique_dim_cuda_templateIaEESt5tupleIJNSH_6TensorESM_SM_EERKSM_lbbbEUlllE0_EEPmJS6_EEE10hipError_tPvRmT3_T4_T5_T6_T7_T9_mT8_P12ihipStream_tbDpT10_ENKUlT_T0_E_clISt17integral_constantIbLb0EES1C_EEDaS17_S18_EUlS17_E_NS1_11comp_targetILNS1_3genE4ELNS1_11target_archE910ELNS1_3gpuE8ELNS1_3repE0EEENS1_30default_config_static_selectorELNS0_4arch9wavefront6targetE0EEEvT1_,@function
_ZN7rocprim17ROCPRIM_400000_NS6detail17trampoline_kernelINS0_14default_configENS1_25partition_config_selectorILNS1_17partition_subalgoE8ElNS0_10empty_typeEbEEZZNS1_14partition_implILS5_8ELb0ES3_jPlPS6_PKS6_NS0_5tupleIJS9_S6_EEENSD_IJSA_SA_EEENS0_18inequality_wrapperIZN2at6native12_GLOBAL__N_124unique_dim_cuda_templateIaEESt5tupleIJNSH_6TensorESM_SM_EERKSM_lbbbEUlllE0_EEPmJS6_EEE10hipError_tPvRmT3_T4_T5_T6_T7_T9_mT8_P12ihipStream_tbDpT10_ENKUlT_T0_E_clISt17integral_constantIbLb0EES1C_EEDaS17_S18_EUlS17_E_NS1_11comp_targetILNS1_3genE4ELNS1_11target_archE910ELNS1_3gpuE8ELNS1_3repE0EEENS1_30default_config_static_selectorELNS0_4arch9wavefront6targetE0EEEvT1_: ; @_ZN7rocprim17ROCPRIM_400000_NS6detail17trampoline_kernelINS0_14default_configENS1_25partition_config_selectorILNS1_17partition_subalgoE8ElNS0_10empty_typeEbEEZZNS1_14partition_implILS5_8ELb0ES3_jPlPS6_PKS6_NS0_5tupleIJS9_S6_EEENSD_IJSA_SA_EEENS0_18inequality_wrapperIZN2at6native12_GLOBAL__N_124unique_dim_cuda_templateIaEESt5tupleIJNSH_6TensorESM_SM_EERKSM_lbbbEUlllE0_EEPmJS6_EEE10hipError_tPvRmT3_T4_T5_T6_T7_T9_mT8_P12ihipStream_tbDpT10_ENKUlT_T0_E_clISt17integral_constantIbLb0EES1C_EEDaS17_S18_EUlS17_E_NS1_11comp_targetILNS1_3genE4ELNS1_11target_archE910ELNS1_3gpuE8ELNS1_3repE0EEENS1_30default_config_static_selectorELNS0_4arch9wavefront6targetE0EEEvT1_
; %bb.0:
	.section	.rodata,"a",@progbits
	.p2align	6, 0x0
	.amdhsa_kernel _ZN7rocprim17ROCPRIM_400000_NS6detail17trampoline_kernelINS0_14default_configENS1_25partition_config_selectorILNS1_17partition_subalgoE8ElNS0_10empty_typeEbEEZZNS1_14partition_implILS5_8ELb0ES3_jPlPS6_PKS6_NS0_5tupleIJS9_S6_EEENSD_IJSA_SA_EEENS0_18inequality_wrapperIZN2at6native12_GLOBAL__N_124unique_dim_cuda_templateIaEESt5tupleIJNSH_6TensorESM_SM_EERKSM_lbbbEUlllE0_EEPmJS6_EEE10hipError_tPvRmT3_T4_T5_T6_T7_T9_mT8_P12ihipStream_tbDpT10_ENKUlT_T0_E_clISt17integral_constantIbLb0EES1C_EEDaS17_S18_EUlS17_E_NS1_11comp_targetILNS1_3genE4ELNS1_11target_archE910ELNS1_3gpuE8ELNS1_3repE0EEENS1_30default_config_static_selectorELNS0_4arch9wavefront6targetE0EEEvT1_
		.amdhsa_group_segment_fixed_size 0
		.amdhsa_private_segment_fixed_size 0
		.amdhsa_kernarg_size 120
		.amdhsa_user_sgpr_count 2
		.amdhsa_user_sgpr_dispatch_ptr 0
		.amdhsa_user_sgpr_queue_ptr 0
		.amdhsa_user_sgpr_kernarg_segment_ptr 1
		.amdhsa_user_sgpr_dispatch_id 0
		.amdhsa_user_sgpr_kernarg_preload_length 0
		.amdhsa_user_sgpr_kernarg_preload_offset 0
		.amdhsa_user_sgpr_private_segment_size 0
		.amdhsa_wavefront_size32 1
		.amdhsa_uses_dynamic_stack 0
		.amdhsa_enable_private_segment 0
		.amdhsa_system_sgpr_workgroup_id_x 1
		.amdhsa_system_sgpr_workgroup_id_y 0
		.amdhsa_system_sgpr_workgroup_id_z 0
		.amdhsa_system_sgpr_workgroup_info 0
		.amdhsa_system_vgpr_workitem_id 0
		.amdhsa_next_free_vgpr 1
		.amdhsa_next_free_sgpr 1
		.amdhsa_named_barrier_count 0
		.amdhsa_reserve_vcc 0
		.amdhsa_float_round_mode_32 0
		.amdhsa_float_round_mode_16_64 0
		.amdhsa_float_denorm_mode_32 3
		.amdhsa_float_denorm_mode_16_64 3
		.amdhsa_fp16_overflow 0
		.amdhsa_memory_ordered 1
		.amdhsa_forward_progress 1
		.amdhsa_inst_pref_size 0
		.amdhsa_round_robin_scheduling 0
		.amdhsa_exception_fp_ieee_invalid_op 0
		.amdhsa_exception_fp_denorm_src 0
		.amdhsa_exception_fp_ieee_div_zero 0
		.amdhsa_exception_fp_ieee_overflow 0
		.amdhsa_exception_fp_ieee_underflow 0
		.amdhsa_exception_fp_ieee_inexact 0
		.amdhsa_exception_int_div_zero 0
	.end_amdhsa_kernel
	.section	.text._ZN7rocprim17ROCPRIM_400000_NS6detail17trampoline_kernelINS0_14default_configENS1_25partition_config_selectorILNS1_17partition_subalgoE8ElNS0_10empty_typeEbEEZZNS1_14partition_implILS5_8ELb0ES3_jPlPS6_PKS6_NS0_5tupleIJS9_S6_EEENSD_IJSA_SA_EEENS0_18inequality_wrapperIZN2at6native12_GLOBAL__N_124unique_dim_cuda_templateIaEESt5tupleIJNSH_6TensorESM_SM_EERKSM_lbbbEUlllE0_EEPmJS6_EEE10hipError_tPvRmT3_T4_T5_T6_T7_T9_mT8_P12ihipStream_tbDpT10_ENKUlT_T0_E_clISt17integral_constantIbLb0EES1C_EEDaS17_S18_EUlS17_E_NS1_11comp_targetILNS1_3genE4ELNS1_11target_archE910ELNS1_3gpuE8ELNS1_3repE0EEENS1_30default_config_static_selectorELNS0_4arch9wavefront6targetE0EEEvT1_,"axG",@progbits,_ZN7rocprim17ROCPRIM_400000_NS6detail17trampoline_kernelINS0_14default_configENS1_25partition_config_selectorILNS1_17partition_subalgoE8ElNS0_10empty_typeEbEEZZNS1_14partition_implILS5_8ELb0ES3_jPlPS6_PKS6_NS0_5tupleIJS9_S6_EEENSD_IJSA_SA_EEENS0_18inequality_wrapperIZN2at6native12_GLOBAL__N_124unique_dim_cuda_templateIaEESt5tupleIJNSH_6TensorESM_SM_EERKSM_lbbbEUlllE0_EEPmJS6_EEE10hipError_tPvRmT3_T4_T5_T6_T7_T9_mT8_P12ihipStream_tbDpT10_ENKUlT_T0_E_clISt17integral_constantIbLb0EES1C_EEDaS17_S18_EUlS17_E_NS1_11comp_targetILNS1_3genE4ELNS1_11target_archE910ELNS1_3gpuE8ELNS1_3repE0EEENS1_30default_config_static_selectorELNS0_4arch9wavefront6targetE0EEEvT1_,comdat
.Lfunc_end321:
	.size	_ZN7rocprim17ROCPRIM_400000_NS6detail17trampoline_kernelINS0_14default_configENS1_25partition_config_selectorILNS1_17partition_subalgoE8ElNS0_10empty_typeEbEEZZNS1_14partition_implILS5_8ELb0ES3_jPlPS6_PKS6_NS0_5tupleIJS9_S6_EEENSD_IJSA_SA_EEENS0_18inequality_wrapperIZN2at6native12_GLOBAL__N_124unique_dim_cuda_templateIaEESt5tupleIJNSH_6TensorESM_SM_EERKSM_lbbbEUlllE0_EEPmJS6_EEE10hipError_tPvRmT3_T4_T5_T6_T7_T9_mT8_P12ihipStream_tbDpT10_ENKUlT_T0_E_clISt17integral_constantIbLb0EES1C_EEDaS17_S18_EUlS17_E_NS1_11comp_targetILNS1_3genE4ELNS1_11target_archE910ELNS1_3gpuE8ELNS1_3repE0EEENS1_30default_config_static_selectorELNS0_4arch9wavefront6targetE0EEEvT1_, .Lfunc_end321-_ZN7rocprim17ROCPRIM_400000_NS6detail17trampoline_kernelINS0_14default_configENS1_25partition_config_selectorILNS1_17partition_subalgoE8ElNS0_10empty_typeEbEEZZNS1_14partition_implILS5_8ELb0ES3_jPlPS6_PKS6_NS0_5tupleIJS9_S6_EEENSD_IJSA_SA_EEENS0_18inequality_wrapperIZN2at6native12_GLOBAL__N_124unique_dim_cuda_templateIaEESt5tupleIJNSH_6TensorESM_SM_EERKSM_lbbbEUlllE0_EEPmJS6_EEE10hipError_tPvRmT3_T4_T5_T6_T7_T9_mT8_P12ihipStream_tbDpT10_ENKUlT_T0_E_clISt17integral_constantIbLb0EES1C_EEDaS17_S18_EUlS17_E_NS1_11comp_targetILNS1_3genE4ELNS1_11target_archE910ELNS1_3gpuE8ELNS1_3repE0EEENS1_30default_config_static_selectorELNS0_4arch9wavefront6targetE0EEEvT1_
                                        ; -- End function
	.set _ZN7rocprim17ROCPRIM_400000_NS6detail17trampoline_kernelINS0_14default_configENS1_25partition_config_selectorILNS1_17partition_subalgoE8ElNS0_10empty_typeEbEEZZNS1_14partition_implILS5_8ELb0ES3_jPlPS6_PKS6_NS0_5tupleIJS9_S6_EEENSD_IJSA_SA_EEENS0_18inequality_wrapperIZN2at6native12_GLOBAL__N_124unique_dim_cuda_templateIaEESt5tupleIJNSH_6TensorESM_SM_EERKSM_lbbbEUlllE0_EEPmJS6_EEE10hipError_tPvRmT3_T4_T5_T6_T7_T9_mT8_P12ihipStream_tbDpT10_ENKUlT_T0_E_clISt17integral_constantIbLb0EES1C_EEDaS17_S18_EUlS17_E_NS1_11comp_targetILNS1_3genE4ELNS1_11target_archE910ELNS1_3gpuE8ELNS1_3repE0EEENS1_30default_config_static_selectorELNS0_4arch9wavefront6targetE0EEEvT1_.num_vgpr, 0
	.set _ZN7rocprim17ROCPRIM_400000_NS6detail17trampoline_kernelINS0_14default_configENS1_25partition_config_selectorILNS1_17partition_subalgoE8ElNS0_10empty_typeEbEEZZNS1_14partition_implILS5_8ELb0ES3_jPlPS6_PKS6_NS0_5tupleIJS9_S6_EEENSD_IJSA_SA_EEENS0_18inequality_wrapperIZN2at6native12_GLOBAL__N_124unique_dim_cuda_templateIaEESt5tupleIJNSH_6TensorESM_SM_EERKSM_lbbbEUlllE0_EEPmJS6_EEE10hipError_tPvRmT3_T4_T5_T6_T7_T9_mT8_P12ihipStream_tbDpT10_ENKUlT_T0_E_clISt17integral_constantIbLb0EES1C_EEDaS17_S18_EUlS17_E_NS1_11comp_targetILNS1_3genE4ELNS1_11target_archE910ELNS1_3gpuE8ELNS1_3repE0EEENS1_30default_config_static_selectorELNS0_4arch9wavefront6targetE0EEEvT1_.num_agpr, 0
	.set _ZN7rocprim17ROCPRIM_400000_NS6detail17trampoline_kernelINS0_14default_configENS1_25partition_config_selectorILNS1_17partition_subalgoE8ElNS0_10empty_typeEbEEZZNS1_14partition_implILS5_8ELb0ES3_jPlPS6_PKS6_NS0_5tupleIJS9_S6_EEENSD_IJSA_SA_EEENS0_18inequality_wrapperIZN2at6native12_GLOBAL__N_124unique_dim_cuda_templateIaEESt5tupleIJNSH_6TensorESM_SM_EERKSM_lbbbEUlllE0_EEPmJS6_EEE10hipError_tPvRmT3_T4_T5_T6_T7_T9_mT8_P12ihipStream_tbDpT10_ENKUlT_T0_E_clISt17integral_constantIbLb0EES1C_EEDaS17_S18_EUlS17_E_NS1_11comp_targetILNS1_3genE4ELNS1_11target_archE910ELNS1_3gpuE8ELNS1_3repE0EEENS1_30default_config_static_selectorELNS0_4arch9wavefront6targetE0EEEvT1_.numbered_sgpr, 0
	.set _ZN7rocprim17ROCPRIM_400000_NS6detail17trampoline_kernelINS0_14default_configENS1_25partition_config_selectorILNS1_17partition_subalgoE8ElNS0_10empty_typeEbEEZZNS1_14partition_implILS5_8ELb0ES3_jPlPS6_PKS6_NS0_5tupleIJS9_S6_EEENSD_IJSA_SA_EEENS0_18inequality_wrapperIZN2at6native12_GLOBAL__N_124unique_dim_cuda_templateIaEESt5tupleIJNSH_6TensorESM_SM_EERKSM_lbbbEUlllE0_EEPmJS6_EEE10hipError_tPvRmT3_T4_T5_T6_T7_T9_mT8_P12ihipStream_tbDpT10_ENKUlT_T0_E_clISt17integral_constantIbLb0EES1C_EEDaS17_S18_EUlS17_E_NS1_11comp_targetILNS1_3genE4ELNS1_11target_archE910ELNS1_3gpuE8ELNS1_3repE0EEENS1_30default_config_static_selectorELNS0_4arch9wavefront6targetE0EEEvT1_.num_named_barrier, 0
	.set _ZN7rocprim17ROCPRIM_400000_NS6detail17trampoline_kernelINS0_14default_configENS1_25partition_config_selectorILNS1_17partition_subalgoE8ElNS0_10empty_typeEbEEZZNS1_14partition_implILS5_8ELb0ES3_jPlPS6_PKS6_NS0_5tupleIJS9_S6_EEENSD_IJSA_SA_EEENS0_18inequality_wrapperIZN2at6native12_GLOBAL__N_124unique_dim_cuda_templateIaEESt5tupleIJNSH_6TensorESM_SM_EERKSM_lbbbEUlllE0_EEPmJS6_EEE10hipError_tPvRmT3_T4_T5_T6_T7_T9_mT8_P12ihipStream_tbDpT10_ENKUlT_T0_E_clISt17integral_constantIbLb0EES1C_EEDaS17_S18_EUlS17_E_NS1_11comp_targetILNS1_3genE4ELNS1_11target_archE910ELNS1_3gpuE8ELNS1_3repE0EEENS1_30default_config_static_selectorELNS0_4arch9wavefront6targetE0EEEvT1_.private_seg_size, 0
	.set _ZN7rocprim17ROCPRIM_400000_NS6detail17trampoline_kernelINS0_14default_configENS1_25partition_config_selectorILNS1_17partition_subalgoE8ElNS0_10empty_typeEbEEZZNS1_14partition_implILS5_8ELb0ES3_jPlPS6_PKS6_NS0_5tupleIJS9_S6_EEENSD_IJSA_SA_EEENS0_18inequality_wrapperIZN2at6native12_GLOBAL__N_124unique_dim_cuda_templateIaEESt5tupleIJNSH_6TensorESM_SM_EERKSM_lbbbEUlllE0_EEPmJS6_EEE10hipError_tPvRmT3_T4_T5_T6_T7_T9_mT8_P12ihipStream_tbDpT10_ENKUlT_T0_E_clISt17integral_constantIbLb0EES1C_EEDaS17_S18_EUlS17_E_NS1_11comp_targetILNS1_3genE4ELNS1_11target_archE910ELNS1_3gpuE8ELNS1_3repE0EEENS1_30default_config_static_selectorELNS0_4arch9wavefront6targetE0EEEvT1_.uses_vcc, 0
	.set _ZN7rocprim17ROCPRIM_400000_NS6detail17trampoline_kernelINS0_14default_configENS1_25partition_config_selectorILNS1_17partition_subalgoE8ElNS0_10empty_typeEbEEZZNS1_14partition_implILS5_8ELb0ES3_jPlPS6_PKS6_NS0_5tupleIJS9_S6_EEENSD_IJSA_SA_EEENS0_18inequality_wrapperIZN2at6native12_GLOBAL__N_124unique_dim_cuda_templateIaEESt5tupleIJNSH_6TensorESM_SM_EERKSM_lbbbEUlllE0_EEPmJS6_EEE10hipError_tPvRmT3_T4_T5_T6_T7_T9_mT8_P12ihipStream_tbDpT10_ENKUlT_T0_E_clISt17integral_constantIbLb0EES1C_EEDaS17_S18_EUlS17_E_NS1_11comp_targetILNS1_3genE4ELNS1_11target_archE910ELNS1_3gpuE8ELNS1_3repE0EEENS1_30default_config_static_selectorELNS0_4arch9wavefront6targetE0EEEvT1_.uses_flat_scratch, 0
	.set _ZN7rocprim17ROCPRIM_400000_NS6detail17trampoline_kernelINS0_14default_configENS1_25partition_config_selectorILNS1_17partition_subalgoE8ElNS0_10empty_typeEbEEZZNS1_14partition_implILS5_8ELb0ES3_jPlPS6_PKS6_NS0_5tupleIJS9_S6_EEENSD_IJSA_SA_EEENS0_18inequality_wrapperIZN2at6native12_GLOBAL__N_124unique_dim_cuda_templateIaEESt5tupleIJNSH_6TensorESM_SM_EERKSM_lbbbEUlllE0_EEPmJS6_EEE10hipError_tPvRmT3_T4_T5_T6_T7_T9_mT8_P12ihipStream_tbDpT10_ENKUlT_T0_E_clISt17integral_constantIbLb0EES1C_EEDaS17_S18_EUlS17_E_NS1_11comp_targetILNS1_3genE4ELNS1_11target_archE910ELNS1_3gpuE8ELNS1_3repE0EEENS1_30default_config_static_selectorELNS0_4arch9wavefront6targetE0EEEvT1_.has_dyn_sized_stack, 0
	.set _ZN7rocprim17ROCPRIM_400000_NS6detail17trampoline_kernelINS0_14default_configENS1_25partition_config_selectorILNS1_17partition_subalgoE8ElNS0_10empty_typeEbEEZZNS1_14partition_implILS5_8ELb0ES3_jPlPS6_PKS6_NS0_5tupleIJS9_S6_EEENSD_IJSA_SA_EEENS0_18inequality_wrapperIZN2at6native12_GLOBAL__N_124unique_dim_cuda_templateIaEESt5tupleIJNSH_6TensorESM_SM_EERKSM_lbbbEUlllE0_EEPmJS6_EEE10hipError_tPvRmT3_T4_T5_T6_T7_T9_mT8_P12ihipStream_tbDpT10_ENKUlT_T0_E_clISt17integral_constantIbLb0EES1C_EEDaS17_S18_EUlS17_E_NS1_11comp_targetILNS1_3genE4ELNS1_11target_archE910ELNS1_3gpuE8ELNS1_3repE0EEENS1_30default_config_static_selectorELNS0_4arch9wavefront6targetE0EEEvT1_.has_recursion, 0
	.set _ZN7rocprim17ROCPRIM_400000_NS6detail17trampoline_kernelINS0_14default_configENS1_25partition_config_selectorILNS1_17partition_subalgoE8ElNS0_10empty_typeEbEEZZNS1_14partition_implILS5_8ELb0ES3_jPlPS6_PKS6_NS0_5tupleIJS9_S6_EEENSD_IJSA_SA_EEENS0_18inequality_wrapperIZN2at6native12_GLOBAL__N_124unique_dim_cuda_templateIaEESt5tupleIJNSH_6TensorESM_SM_EERKSM_lbbbEUlllE0_EEPmJS6_EEE10hipError_tPvRmT3_T4_T5_T6_T7_T9_mT8_P12ihipStream_tbDpT10_ENKUlT_T0_E_clISt17integral_constantIbLb0EES1C_EEDaS17_S18_EUlS17_E_NS1_11comp_targetILNS1_3genE4ELNS1_11target_archE910ELNS1_3gpuE8ELNS1_3repE0EEENS1_30default_config_static_selectorELNS0_4arch9wavefront6targetE0EEEvT1_.has_indirect_call, 0
	.section	.AMDGPU.csdata,"",@progbits
; Kernel info:
; codeLenInByte = 0
; TotalNumSgprs: 0
; NumVgprs: 0
; ScratchSize: 0
; MemoryBound: 0
; FloatMode: 240
; IeeeMode: 1
; LDSByteSize: 0 bytes/workgroup (compile time only)
; SGPRBlocks: 0
; VGPRBlocks: 0
; NumSGPRsForWavesPerEU: 1
; NumVGPRsForWavesPerEU: 1
; NamedBarCnt: 0
; Occupancy: 16
; WaveLimiterHint : 0
; COMPUTE_PGM_RSRC2:SCRATCH_EN: 0
; COMPUTE_PGM_RSRC2:USER_SGPR: 2
; COMPUTE_PGM_RSRC2:TRAP_HANDLER: 0
; COMPUTE_PGM_RSRC2:TGID_X_EN: 1
; COMPUTE_PGM_RSRC2:TGID_Y_EN: 0
; COMPUTE_PGM_RSRC2:TGID_Z_EN: 0
; COMPUTE_PGM_RSRC2:TIDIG_COMP_CNT: 0
	.section	.text._ZN7rocprim17ROCPRIM_400000_NS6detail17trampoline_kernelINS0_14default_configENS1_25partition_config_selectorILNS1_17partition_subalgoE8ElNS0_10empty_typeEbEEZZNS1_14partition_implILS5_8ELb0ES3_jPlPS6_PKS6_NS0_5tupleIJS9_S6_EEENSD_IJSA_SA_EEENS0_18inequality_wrapperIZN2at6native12_GLOBAL__N_124unique_dim_cuda_templateIaEESt5tupleIJNSH_6TensorESM_SM_EERKSM_lbbbEUlllE0_EEPmJS6_EEE10hipError_tPvRmT3_T4_T5_T6_T7_T9_mT8_P12ihipStream_tbDpT10_ENKUlT_T0_E_clISt17integral_constantIbLb0EES1C_EEDaS17_S18_EUlS17_E_NS1_11comp_targetILNS1_3genE3ELNS1_11target_archE908ELNS1_3gpuE7ELNS1_3repE0EEENS1_30default_config_static_selectorELNS0_4arch9wavefront6targetE0EEEvT1_,"axG",@progbits,_ZN7rocprim17ROCPRIM_400000_NS6detail17trampoline_kernelINS0_14default_configENS1_25partition_config_selectorILNS1_17partition_subalgoE8ElNS0_10empty_typeEbEEZZNS1_14partition_implILS5_8ELb0ES3_jPlPS6_PKS6_NS0_5tupleIJS9_S6_EEENSD_IJSA_SA_EEENS0_18inequality_wrapperIZN2at6native12_GLOBAL__N_124unique_dim_cuda_templateIaEESt5tupleIJNSH_6TensorESM_SM_EERKSM_lbbbEUlllE0_EEPmJS6_EEE10hipError_tPvRmT3_T4_T5_T6_T7_T9_mT8_P12ihipStream_tbDpT10_ENKUlT_T0_E_clISt17integral_constantIbLb0EES1C_EEDaS17_S18_EUlS17_E_NS1_11comp_targetILNS1_3genE3ELNS1_11target_archE908ELNS1_3gpuE7ELNS1_3repE0EEENS1_30default_config_static_selectorELNS0_4arch9wavefront6targetE0EEEvT1_,comdat
	.globl	_ZN7rocprim17ROCPRIM_400000_NS6detail17trampoline_kernelINS0_14default_configENS1_25partition_config_selectorILNS1_17partition_subalgoE8ElNS0_10empty_typeEbEEZZNS1_14partition_implILS5_8ELb0ES3_jPlPS6_PKS6_NS0_5tupleIJS9_S6_EEENSD_IJSA_SA_EEENS0_18inequality_wrapperIZN2at6native12_GLOBAL__N_124unique_dim_cuda_templateIaEESt5tupleIJNSH_6TensorESM_SM_EERKSM_lbbbEUlllE0_EEPmJS6_EEE10hipError_tPvRmT3_T4_T5_T6_T7_T9_mT8_P12ihipStream_tbDpT10_ENKUlT_T0_E_clISt17integral_constantIbLb0EES1C_EEDaS17_S18_EUlS17_E_NS1_11comp_targetILNS1_3genE3ELNS1_11target_archE908ELNS1_3gpuE7ELNS1_3repE0EEENS1_30default_config_static_selectorELNS0_4arch9wavefront6targetE0EEEvT1_ ; -- Begin function _ZN7rocprim17ROCPRIM_400000_NS6detail17trampoline_kernelINS0_14default_configENS1_25partition_config_selectorILNS1_17partition_subalgoE8ElNS0_10empty_typeEbEEZZNS1_14partition_implILS5_8ELb0ES3_jPlPS6_PKS6_NS0_5tupleIJS9_S6_EEENSD_IJSA_SA_EEENS0_18inequality_wrapperIZN2at6native12_GLOBAL__N_124unique_dim_cuda_templateIaEESt5tupleIJNSH_6TensorESM_SM_EERKSM_lbbbEUlllE0_EEPmJS6_EEE10hipError_tPvRmT3_T4_T5_T6_T7_T9_mT8_P12ihipStream_tbDpT10_ENKUlT_T0_E_clISt17integral_constantIbLb0EES1C_EEDaS17_S18_EUlS17_E_NS1_11comp_targetILNS1_3genE3ELNS1_11target_archE908ELNS1_3gpuE7ELNS1_3repE0EEENS1_30default_config_static_selectorELNS0_4arch9wavefront6targetE0EEEvT1_
	.p2align	8
	.type	_ZN7rocprim17ROCPRIM_400000_NS6detail17trampoline_kernelINS0_14default_configENS1_25partition_config_selectorILNS1_17partition_subalgoE8ElNS0_10empty_typeEbEEZZNS1_14partition_implILS5_8ELb0ES3_jPlPS6_PKS6_NS0_5tupleIJS9_S6_EEENSD_IJSA_SA_EEENS0_18inequality_wrapperIZN2at6native12_GLOBAL__N_124unique_dim_cuda_templateIaEESt5tupleIJNSH_6TensorESM_SM_EERKSM_lbbbEUlllE0_EEPmJS6_EEE10hipError_tPvRmT3_T4_T5_T6_T7_T9_mT8_P12ihipStream_tbDpT10_ENKUlT_T0_E_clISt17integral_constantIbLb0EES1C_EEDaS17_S18_EUlS17_E_NS1_11comp_targetILNS1_3genE3ELNS1_11target_archE908ELNS1_3gpuE7ELNS1_3repE0EEENS1_30default_config_static_selectorELNS0_4arch9wavefront6targetE0EEEvT1_,@function
_ZN7rocprim17ROCPRIM_400000_NS6detail17trampoline_kernelINS0_14default_configENS1_25partition_config_selectorILNS1_17partition_subalgoE8ElNS0_10empty_typeEbEEZZNS1_14partition_implILS5_8ELb0ES3_jPlPS6_PKS6_NS0_5tupleIJS9_S6_EEENSD_IJSA_SA_EEENS0_18inequality_wrapperIZN2at6native12_GLOBAL__N_124unique_dim_cuda_templateIaEESt5tupleIJNSH_6TensorESM_SM_EERKSM_lbbbEUlllE0_EEPmJS6_EEE10hipError_tPvRmT3_T4_T5_T6_T7_T9_mT8_P12ihipStream_tbDpT10_ENKUlT_T0_E_clISt17integral_constantIbLb0EES1C_EEDaS17_S18_EUlS17_E_NS1_11comp_targetILNS1_3genE3ELNS1_11target_archE908ELNS1_3gpuE7ELNS1_3repE0EEENS1_30default_config_static_selectorELNS0_4arch9wavefront6targetE0EEEvT1_: ; @_ZN7rocprim17ROCPRIM_400000_NS6detail17trampoline_kernelINS0_14default_configENS1_25partition_config_selectorILNS1_17partition_subalgoE8ElNS0_10empty_typeEbEEZZNS1_14partition_implILS5_8ELb0ES3_jPlPS6_PKS6_NS0_5tupleIJS9_S6_EEENSD_IJSA_SA_EEENS0_18inequality_wrapperIZN2at6native12_GLOBAL__N_124unique_dim_cuda_templateIaEESt5tupleIJNSH_6TensorESM_SM_EERKSM_lbbbEUlllE0_EEPmJS6_EEE10hipError_tPvRmT3_T4_T5_T6_T7_T9_mT8_P12ihipStream_tbDpT10_ENKUlT_T0_E_clISt17integral_constantIbLb0EES1C_EEDaS17_S18_EUlS17_E_NS1_11comp_targetILNS1_3genE3ELNS1_11target_archE908ELNS1_3gpuE7ELNS1_3repE0EEENS1_30default_config_static_selectorELNS0_4arch9wavefront6targetE0EEEvT1_
; %bb.0:
	.section	.rodata,"a",@progbits
	.p2align	6, 0x0
	.amdhsa_kernel _ZN7rocprim17ROCPRIM_400000_NS6detail17trampoline_kernelINS0_14default_configENS1_25partition_config_selectorILNS1_17partition_subalgoE8ElNS0_10empty_typeEbEEZZNS1_14partition_implILS5_8ELb0ES3_jPlPS6_PKS6_NS0_5tupleIJS9_S6_EEENSD_IJSA_SA_EEENS0_18inequality_wrapperIZN2at6native12_GLOBAL__N_124unique_dim_cuda_templateIaEESt5tupleIJNSH_6TensorESM_SM_EERKSM_lbbbEUlllE0_EEPmJS6_EEE10hipError_tPvRmT3_T4_T5_T6_T7_T9_mT8_P12ihipStream_tbDpT10_ENKUlT_T0_E_clISt17integral_constantIbLb0EES1C_EEDaS17_S18_EUlS17_E_NS1_11comp_targetILNS1_3genE3ELNS1_11target_archE908ELNS1_3gpuE7ELNS1_3repE0EEENS1_30default_config_static_selectorELNS0_4arch9wavefront6targetE0EEEvT1_
		.amdhsa_group_segment_fixed_size 0
		.amdhsa_private_segment_fixed_size 0
		.amdhsa_kernarg_size 120
		.amdhsa_user_sgpr_count 2
		.amdhsa_user_sgpr_dispatch_ptr 0
		.amdhsa_user_sgpr_queue_ptr 0
		.amdhsa_user_sgpr_kernarg_segment_ptr 1
		.amdhsa_user_sgpr_dispatch_id 0
		.amdhsa_user_sgpr_kernarg_preload_length 0
		.amdhsa_user_sgpr_kernarg_preload_offset 0
		.amdhsa_user_sgpr_private_segment_size 0
		.amdhsa_wavefront_size32 1
		.amdhsa_uses_dynamic_stack 0
		.amdhsa_enable_private_segment 0
		.amdhsa_system_sgpr_workgroup_id_x 1
		.amdhsa_system_sgpr_workgroup_id_y 0
		.amdhsa_system_sgpr_workgroup_id_z 0
		.amdhsa_system_sgpr_workgroup_info 0
		.amdhsa_system_vgpr_workitem_id 0
		.amdhsa_next_free_vgpr 1
		.amdhsa_next_free_sgpr 1
		.amdhsa_named_barrier_count 0
		.amdhsa_reserve_vcc 0
		.amdhsa_float_round_mode_32 0
		.amdhsa_float_round_mode_16_64 0
		.amdhsa_float_denorm_mode_32 3
		.amdhsa_float_denorm_mode_16_64 3
		.amdhsa_fp16_overflow 0
		.amdhsa_memory_ordered 1
		.amdhsa_forward_progress 1
		.amdhsa_inst_pref_size 0
		.amdhsa_round_robin_scheduling 0
		.amdhsa_exception_fp_ieee_invalid_op 0
		.amdhsa_exception_fp_denorm_src 0
		.amdhsa_exception_fp_ieee_div_zero 0
		.amdhsa_exception_fp_ieee_overflow 0
		.amdhsa_exception_fp_ieee_underflow 0
		.amdhsa_exception_fp_ieee_inexact 0
		.amdhsa_exception_int_div_zero 0
	.end_amdhsa_kernel
	.section	.text._ZN7rocprim17ROCPRIM_400000_NS6detail17trampoline_kernelINS0_14default_configENS1_25partition_config_selectorILNS1_17partition_subalgoE8ElNS0_10empty_typeEbEEZZNS1_14partition_implILS5_8ELb0ES3_jPlPS6_PKS6_NS0_5tupleIJS9_S6_EEENSD_IJSA_SA_EEENS0_18inequality_wrapperIZN2at6native12_GLOBAL__N_124unique_dim_cuda_templateIaEESt5tupleIJNSH_6TensorESM_SM_EERKSM_lbbbEUlllE0_EEPmJS6_EEE10hipError_tPvRmT3_T4_T5_T6_T7_T9_mT8_P12ihipStream_tbDpT10_ENKUlT_T0_E_clISt17integral_constantIbLb0EES1C_EEDaS17_S18_EUlS17_E_NS1_11comp_targetILNS1_3genE3ELNS1_11target_archE908ELNS1_3gpuE7ELNS1_3repE0EEENS1_30default_config_static_selectorELNS0_4arch9wavefront6targetE0EEEvT1_,"axG",@progbits,_ZN7rocprim17ROCPRIM_400000_NS6detail17trampoline_kernelINS0_14default_configENS1_25partition_config_selectorILNS1_17partition_subalgoE8ElNS0_10empty_typeEbEEZZNS1_14partition_implILS5_8ELb0ES3_jPlPS6_PKS6_NS0_5tupleIJS9_S6_EEENSD_IJSA_SA_EEENS0_18inequality_wrapperIZN2at6native12_GLOBAL__N_124unique_dim_cuda_templateIaEESt5tupleIJNSH_6TensorESM_SM_EERKSM_lbbbEUlllE0_EEPmJS6_EEE10hipError_tPvRmT3_T4_T5_T6_T7_T9_mT8_P12ihipStream_tbDpT10_ENKUlT_T0_E_clISt17integral_constantIbLb0EES1C_EEDaS17_S18_EUlS17_E_NS1_11comp_targetILNS1_3genE3ELNS1_11target_archE908ELNS1_3gpuE7ELNS1_3repE0EEENS1_30default_config_static_selectorELNS0_4arch9wavefront6targetE0EEEvT1_,comdat
.Lfunc_end322:
	.size	_ZN7rocprim17ROCPRIM_400000_NS6detail17trampoline_kernelINS0_14default_configENS1_25partition_config_selectorILNS1_17partition_subalgoE8ElNS0_10empty_typeEbEEZZNS1_14partition_implILS5_8ELb0ES3_jPlPS6_PKS6_NS0_5tupleIJS9_S6_EEENSD_IJSA_SA_EEENS0_18inequality_wrapperIZN2at6native12_GLOBAL__N_124unique_dim_cuda_templateIaEESt5tupleIJNSH_6TensorESM_SM_EERKSM_lbbbEUlllE0_EEPmJS6_EEE10hipError_tPvRmT3_T4_T5_T6_T7_T9_mT8_P12ihipStream_tbDpT10_ENKUlT_T0_E_clISt17integral_constantIbLb0EES1C_EEDaS17_S18_EUlS17_E_NS1_11comp_targetILNS1_3genE3ELNS1_11target_archE908ELNS1_3gpuE7ELNS1_3repE0EEENS1_30default_config_static_selectorELNS0_4arch9wavefront6targetE0EEEvT1_, .Lfunc_end322-_ZN7rocprim17ROCPRIM_400000_NS6detail17trampoline_kernelINS0_14default_configENS1_25partition_config_selectorILNS1_17partition_subalgoE8ElNS0_10empty_typeEbEEZZNS1_14partition_implILS5_8ELb0ES3_jPlPS6_PKS6_NS0_5tupleIJS9_S6_EEENSD_IJSA_SA_EEENS0_18inequality_wrapperIZN2at6native12_GLOBAL__N_124unique_dim_cuda_templateIaEESt5tupleIJNSH_6TensorESM_SM_EERKSM_lbbbEUlllE0_EEPmJS6_EEE10hipError_tPvRmT3_T4_T5_T6_T7_T9_mT8_P12ihipStream_tbDpT10_ENKUlT_T0_E_clISt17integral_constantIbLb0EES1C_EEDaS17_S18_EUlS17_E_NS1_11comp_targetILNS1_3genE3ELNS1_11target_archE908ELNS1_3gpuE7ELNS1_3repE0EEENS1_30default_config_static_selectorELNS0_4arch9wavefront6targetE0EEEvT1_
                                        ; -- End function
	.set _ZN7rocprim17ROCPRIM_400000_NS6detail17trampoline_kernelINS0_14default_configENS1_25partition_config_selectorILNS1_17partition_subalgoE8ElNS0_10empty_typeEbEEZZNS1_14partition_implILS5_8ELb0ES3_jPlPS6_PKS6_NS0_5tupleIJS9_S6_EEENSD_IJSA_SA_EEENS0_18inequality_wrapperIZN2at6native12_GLOBAL__N_124unique_dim_cuda_templateIaEESt5tupleIJNSH_6TensorESM_SM_EERKSM_lbbbEUlllE0_EEPmJS6_EEE10hipError_tPvRmT3_T4_T5_T6_T7_T9_mT8_P12ihipStream_tbDpT10_ENKUlT_T0_E_clISt17integral_constantIbLb0EES1C_EEDaS17_S18_EUlS17_E_NS1_11comp_targetILNS1_3genE3ELNS1_11target_archE908ELNS1_3gpuE7ELNS1_3repE0EEENS1_30default_config_static_selectorELNS0_4arch9wavefront6targetE0EEEvT1_.num_vgpr, 0
	.set _ZN7rocprim17ROCPRIM_400000_NS6detail17trampoline_kernelINS0_14default_configENS1_25partition_config_selectorILNS1_17partition_subalgoE8ElNS0_10empty_typeEbEEZZNS1_14partition_implILS5_8ELb0ES3_jPlPS6_PKS6_NS0_5tupleIJS9_S6_EEENSD_IJSA_SA_EEENS0_18inequality_wrapperIZN2at6native12_GLOBAL__N_124unique_dim_cuda_templateIaEESt5tupleIJNSH_6TensorESM_SM_EERKSM_lbbbEUlllE0_EEPmJS6_EEE10hipError_tPvRmT3_T4_T5_T6_T7_T9_mT8_P12ihipStream_tbDpT10_ENKUlT_T0_E_clISt17integral_constantIbLb0EES1C_EEDaS17_S18_EUlS17_E_NS1_11comp_targetILNS1_3genE3ELNS1_11target_archE908ELNS1_3gpuE7ELNS1_3repE0EEENS1_30default_config_static_selectorELNS0_4arch9wavefront6targetE0EEEvT1_.num_agpr, 0
	.set _ZN7rocprim17ROCPRIM_400000_NS6detail17trampoline_kernelINS0_14default_configENS1_25partition_config_selectorILNS1_17partition_subalgoE8ElNS0_10empty_typeEbEEZZNS1_14partition_implILS5_8ELb0ES3_jPlPS6_PKS6_NS0_5tupleIJS9_S6_EEENSD_IJSA_SA_EEENS0_18inequality_wrapperIZN2at6native12_GLOBAL__N_124unique_dim_cuda_templateIaEESt5tupleIJNSH_6TensorESM_SM_EERKSM_lbbbEUlllE0_EEPmJS6_EEE10hipError_tPvRmT3_T4_T5_T6_T7_T9_mT8_P12ihipStream_tbDpT10_ENKUlT_T0_E_clISt17integral_constantIbLb0EES1C_EEDaS17_S18_EUlS17_E_NS1_11comp_targetILNS1_3genE3ELNS1_11target_archE908ELNS1_3gpuE7ELNS1_3repE0EEENS1_30default_config_static_selectorELNS0_4arch9wavefront6targetE0EEEvT1_.numbered_sgpr, 0
	.set _ZN7rocprim17ROCPRIM_400000_NS6detail17trampoline_kernelINS0_14default_configENS1_25partition_config_selectorILNS1_17partition_subalgoE8ElNS0_10empty_typeEbEEZZNS1_14partition_implILS5_8ELb0ES3_jPlPS6_PKS6_NS0_5tupleIJS9_S6_EEENSD_IJSA_SA_EEENS0_18inequality_wrapperIZN2at6native12_GLOBAL__N_124unique_dim_cuda_templateIaEESt5tupleIJNSH_6TensorESM_SM_EERKSM_lbbbEUlllE0_EEPmJS6_EEE10hipError_tPvRmT3_T4_T5_T6_T7_T9_mT8_P12ihipStream_tbDpT10_ENKUlT_T0_E_clISt17integral_constantIbLb0EES1C_EEDaS17_S18_EUlS17_E_NS1_11comp_targetILNS1_3genE3ELNS1_11target_archE908ELNS1_3gpuE7ELNS1_3repE0EEENS1_30default_config_static_selectorELNS0_4arch9wavefront6targetE0EEEvT1_.num_named_barrier, 0
	.set _ZN7rocprim17ROCPRIM_400000_NS6detail17trampoline_kernelINS0_14default_configENS1_25partition_config_selectorILNS1_17partition_subalgoE8ElNS0_10empty_typeEbEEZZNS1_14partition_implILS5_8ELb0ES3_jPlPS6_PKS6_NS0_5tupleIJS9_S6_EEENSD_IJSA_SA_EEENS0_18inequality_wrapperIZN2at6native12_GLOBAL__N_124unique_dim_cuda_templateIaEESt5tupleIJNSH_6TensorESM_SM_EERKSM_lbbbEUlllE0_EEPmJS6_EEE10hipError_tPvRmT3_T4_T5_T6_T7_T9_mT8_P12ihipStream_tbDpT10_ENKUlT_T0_E_clISt17integral_constantIbLb0EES1C_EEDaS17_S18_EUlS17_E_NS1_11comp_targetILNS1_3genE3ELNS1_11target_archE908ELNS1_3gpuE7ELNS1_3repE0EEENS1_30default_config_static_selectorELNS0_4arch9wavefront6targetE0EEEvT1_.private_seg_size, 0
	.set _ZN7rocprim17ROCPRIM_400000_NS6detail17trampoline_kernelINS0_14default_configENS1_25partition_config_selectorILNS1_17partition_subalgoE8ElNS0_10empty_typeEbEEZZNS1_14partition_implILS5_8ELb0ES3_jPlPS6_PKS6_NS0_5tupleIJS9_S6_EEENSD_IJSA_SA_EEENS0_18inequality_wrapperIZN2at6native12_GLOBAL__N_124unique_dim_cuda_templateIaEESt5tupleIJNSH_6TensorESM_SM_EERKSM_lbbbEUlllE0_EEPmJS6_EEE10hipError_tPvRmT3_T4_T5_T6_T7_T9_mT8_P12ihipStream_tbDpT10_ENKUlT_T0_E_clISt17integral_constantIbLb0EES1C_EEDaS17_S18_EUlS17_E_NS1_11comp_targetILNS1_3genE3ELNS1_11target_archE908ELNS1_3gpuE7ELNS1_3repE0EEENS1_30default_config_static_selectorELNS0_4arch9wavefront6targetE0EEEvT1_.uses_vcc, 0
	.set _ZN7rocprim17ROCPRIM_400000_NS6detail17trampoline_kernelINS0_14default_configENS1_25partition_config_selectorILNS1_17partition_subalgoE8ElNS0_10empty_typeEbEEZZNS1_14partition_implILS5_8ELb0ES3_jPlPS6_PKS6_NS0_5tupleIJS9_S6_EEENSD_IJSA_SA_EEENS0_18inequality_wrapperIZN2at6native12_GLOBAL__N_124unique_dim_cuda_templateIaEESt5tupleIJNSH_6TensorESM_SM_EERKSM_lbbbEUlllE0_EEPmJS6_EEE10hipError_tPvRmT3_T4_T5_T6_T7_T9_mT8_P12ihipStream_tbDpT10_ENKUlT_T0_E_clISt17integral_constantIbLb0EES1C_EEDaS17_S18_EUlS17_E_NS1_11comp_targetILNS1_3genE3ELNS1_11target_archE908ELNS1_3gpuE7ELNS1_3repE0EEENS1_30default_config_static_selectorELNS0_4arch9wavefront6targetE0EEEvT1_.uses_flat_scratch, 0
	.set _ZN7rocprim17ROCPRIM_400000_NS6detail17trampoline_kernelINS0_14default_configENS1_25partition_config_selectorILNS1_17partition_subalgoE8ElNS0_10empty_typeEbEEZZNS1_14partition_implILS5_8ELb0ES3_jPlPS6_PKS6_NS0_5tupleIJS9_S6_EEENSD_IJSA_SA_EEENS0_18inequality_wrapperIZN2at6native12_GLOBAL__N_124unique_dim_cuda_templateIaEESt5tupleIJNSH_6TensorESM_SM_EERKSM_lbbbEUlllE0_EEPmJS6_EEE10hipError_tPvRmT3_T4_T5_T6_T7_T9_mT8_P12ihipStream_tbDpT10_ENKUlT_T0_E_clISt17integral_constantIbLb0EES1C_EEDaS17_S18_EUlS17_E_NS1_11comp_targetILNS1_3genE3ELNS1_11target_archE908ELNS1_3gpuE7ELNS1_3repE0EEENS1_30default_config_static_selectorELNS0_4arch9wavefront6targetE0EEEvT1_.has_dyn_sized_stack, 0
	.set _ZN7rocprim17ROCPRIM_400000_NS6detail17trampoline_kernelINS0_14default_configENS1_25partition_config_selectorILNS1_17partition_subalgoE8ElNS0_10empty_typeEbEEZZNS1_14partition_implILS5_8ELb0ES3_jPlPS6_PKS6_NS0_5tupleIJS9_S6_EEENSD_IJSA_SA_EEENS0_18inequality_wrapperIZN2at6native12_GLOBAL__N_124unique_dim_cuda_templateIaEESt5tupleIJNSH_6TensorESM_SM_EERKSM_lbbbEUlllE0_EEPmJS6_EEE10hipError_tPvRmT3_T4_T5_T6_T7_T9_mT8_P12ihipStream_tbDpT10_ENKUlT_T0_E_clISt17integral_constantIbLb0EES1C_EEDaS17_S18_EUlS17_E_NS1_11comp_targetILNS1_3genE3ELNS1_11target_archE908ELNS1_3gpuE7ELNS1_3repE0EEENS1_30default_config_static_selectorELNS0_4arch9wavefront6targetE0EEEvT1_.has_recursion, 0
	.set _ZN7rocprim17ROCPRIM_400000_NS6detail17trampoline_kernelINS0_14default_configENS1_25partition_config_selectorILNS1_17partition_subalgoE8ElNS0_10empty_typeEbEEZZNS1_14partition_implILS5_8ELb0ES3_jPlPS6_PKS6_NS0_5tupleIJS9_S6_EEENSD_IJSA_SA_EEENS0_18inequality_wrapperIZN2at6native12_GLOBAL__N_124unique_dim_cuda_templateIaEESt5tupleIJNSH_6TensorESM_SM_EERKSM_lbbbEUlllE0_EEPmJS6_EEE10hipError_tPvRmT3_T4_T5_T6_T7_T9_mT8_P12ihipStream_tbDpT10_ENKUlT_T0_E_clISt17integral_constantIbLb0EES1C_EEDaS17_S18_EUlS17_E_NS1_11comp_targetILNS1_3genE3ELNS1_11target_archE908ELNS1_3gpuE7ELNS1_3repE0EEENS1_30default_config_static_selectorELNS0_4arch9wavefront6targetE0EEEvT1_.has_indirect_call, 0
	.section	.AMDGPU.csdata,"",@progbits
; Kernel info:
; codeLenInByte = 0
; TotalNumSgprs: 0
; NumVgprs: 0
; ScratchSize: 0
; MemoryBound: 0
; FloatMode: 240
; IeeeMode: 1
; LDSByteSize: 0 bytes/workgroup (compile time only)
; SGPRBlocks: 0
; VGPRBlocks: 0
; NumSGPRsForWavesPerEU: 1
; NumVGPRsForWavesPerEU: 1
; NamedBarCnt: 0
; Occupancy: 16
; WaveLimiterHint : 0
; COMPUTE_PGM_RSRC2:SCRATCH_EN: 0
; COMPUTE_PGM_RSRC2:USER_SGPR: 2
; COMPUTE_PGM_RSRC2:TRAP_HANDLER: 0
; COMPUTE_PGM_RSRC2:TGID_X_EN: 1
; COMPUTE_PGM_RSRC2:TGID_Y_EN: 0
; COMPUTE_PGM_RSRC2:TGID_Z_EN: 0
; COMPUTE_PGM_RSRC2:TIDIG_COMP_CNT: 0
	.section	.text._ZN7rocprim17ROCPRIM_400000_NS6detail17trampoline_kernelINS0_14default_configENS1_25partition_config_selectorILNS1_17partition_subalgoE8ElNS0_10empty_typeEbEEZZNS1_14partition_implILS5_8ELb0ES3_jPlPS6_PKS6_NS0_5tupleIJS9_S6_EEENSD_IJSA_SA_EEENS0_18inequality_wrapperIZN2at6native12_GLOBAL__N_124unique_dim_cuda_templateIaEESt5tupleIJNSH_6TensorESM_SM_EERKSM_lbbbEUlllE0_EEPmJS6_EEE10hipError_tPvRmT3_T4_T5_T6_T7_T9_mT8_P12ihipStream_tbDpT10_ENKUlT_T0_E_clISt17integral_constantIbLb0EES1C_EEDaS17_S18_EUlS17_E_NS1_11comp_targetILNS1_3genE2ELNS1_11target_archE906ELNS1_3gpuE6ELNS1_3repE0EEENS1_30default_config_static_selectorELNS0_4arch9wavefront6targetE0EEEvT1_,"axG",@progbits,_ZN7rocprim17ROCPRIM_400000_NS6detail17trampoline_kernelINS0_14default_configENS1_25partition_config_selectorILNS1_17partition_subalgoE8ElNS0_10empty_typeEbEEZZNS1_14partition_implILS5_8ELb0ES3_jPlPS6_PKS6_NS0_5tupleIJS9_S6_EEENSD_IJSA_SA_EEENS0_18inequality_wrapperIZN2at6native12_GLOBAL__N_124unique_dim_cuda_templateIaEESt5tupleIJNSH_6TensorESM_SM_EERKSM_lbbbEUlllE0_EEPmJS6_EEE10hipError_tPvRmT3_T4_T5_T6_T7_T9_mT8_P12ihipStream_tbDpT10_ENKUlT_T0_E_clISt17integral_constantIbLb0EES1C_EEDaS17_S18_EUlS17_E_NS1_11comp_targetILNS1_3genE2ELNS1_11target_archE906ELNS1_3gpuE6ELNS1_3repE0EEENS1_30default_config_static_selectorELNS0_4arch9wavefront6targetE0EEEvT1_,comdat
	.globl	_ZN7rocprim17ROCPRIM_400000_NS6detail17trampoline_kernelINS0_14default_configENS1_25partition_config_selectorILNS1_17partition_subalgoE8ElNS0_10empty_typeEbEEZZNS1_14partition_implILS5_8ELb0ES3_jPlPS6_PKS6_NS0_5tupleIJS9_S6_EEENSD_IJSA_SA_EEENS0_18inequality_wrapperIZN2at6native12_GLOBAL__N_124unique_dim_cuda_templateIaEESt5tupleIJNSH_6TensorESM_SM_EERKSM_lbbbEUlllE0_EEPmJS6_EEE10hipError_tPvRmT3_T4_T5_T6_T7_T9_mT8_P12ihipStream_tbDpT10_ENKUlT_T0_E_clISt17integral_constantIbLb0EES1C_EEDaS17_S18_EUlS17_E_NS1_11comp_targetILNS1_3genE2ELNS1_11target_archE906ELNS1_3gpuE6ELNS1_3repE0EEENS1_30default_config_static_selectorELNS0_4arch9wavefront6targetE0EEEvT1_ ; -- Begin function _ZN7rocprim17ROCPRIM_400000_NS6detail17trampoline_kernelINS0_14default_configENS1_25partition_config_selectorILNS1_17partition_subalgoE8ElNS0_10empty_typeEbEEZZNS1_14partition_implILS5_8ELb0ES3_jPlPS6_PKS6_NS0_5tupleIJS9_S6_EEENSD_IJSA_SA_EEENS0_18inequality_wrapperIZN2at6native12_GLOBAL__N_124unique_dim_cuda_templateIaEESt5tupleIJNSH_6TensorESM_SM_EERKSM_lbbbEUlllE0_EEPmJS6_EEE10hipError_tPvRmT3_T4_T5_T6_T7_T9_mT8_P12ihipStream_tbDpT10_ENKUlT_T0_E_clISt17integral_constantIbLb0EES1C_EEDaS17_S18_EUlS17_E_NS1_11comp_targetILNS1_3genE2ELNS1_11target_archE906ELNS1_3gpuE6ELNS1_3repE0EEENS1_30default_config_static_selectorELNS0_4arch9wavefront6targetE0EEEvT1_
	.p2align	8
	.type	_ZN7rocprim17ROCPRIM_400000_NS6detail17trampoline_kernelINS0_14default_configENS1_25partition_config_selectorILNS1_17partition_subalgoE8ElNS0_10empty_typeEbEEZZNS1_14partition_implILS5_8ELb0ES3_jPlPS6_PKS6_NS0_5tupleIJS9_S6_EEENSD_IJSA_SA_EEENS0_18inequality_wrapperIZN2at6native12_GLOBAL__N_124unique_dim_cuda_templateIaEESt5tupleIJNSH_6TensorESM_SM_EERKSM_lbbbEUlllE0_EEPmJS6_EEE10hipError_tPvRmT3_T4_T5_T6_T7_T9_mT8_P12ihipStream_tbDpT10_ENKUlT_T0_E_clISt17integral_constantIbLb0EES1C_EEDaS17_S18_EUlS17_E_NS1_11comp_targetILNS1_3genE2ELNS1_11target_archE906ELNS1_3gpuE6ELNS1_3repE0EEENS1_30default_config_static_selectorELNS0_4arch9wavefront6targetE0EEEvT1_,@function
_ZN7rocprim17ROCPRIM_400000_NS6detail17trampoline_kernelINS0_14default_configENS1_25partition_config_selectorILNS1_17partition_subalgoE8ElNS0_10empty_typeEbEEZZNS1_14partition_implILS5_8ELb0ES3_jPlPS6_PKS6_NS0_5tupleIJS9_S6_EEENSD_IJSA_SA_EEENS0_18inequality_wrapperIZN2at6native12_GLOBAL__N_124unique_dim_cuda_templateIaEESt5tupleIJNSH_6TensorESM_SM_EERKSM_lbbbEUlllE0_EEPmJS6_EEE10hipError_tPvRmT3_T4_T5_T6_T7_T9_mT8_P12ihipStream_tbDpT10_ENKUlT_T0_E_clISt17integral_constantIbLb0EES1C_EEDaS17_S18_EUlS17_E_NS1_11comp_targetILNS1_3genE2ELNS1_11target_archE906ELNS1_3gpuE6ELNS1_3repE0EEENS1_30default_config_static_selectorELNS0_4arch9wavefront6targetE0EEEvT1_: ; @_ZN7rocprim17ROCPRIM_400000_NS6detail17trampoline_kernelINS0_14default_configENS1_25partition_config_selectorILNS1_17partition_subalgoE8ElNS0_10empty_typeEbEEZZNS1_14partition_implILS5_8ELb0ES3_jPlPS6_PKS6_NS0_5tupleIJS9_S6_EEENSD_IJSA_SA_EEENS0_18inequality_wrapperIZN2at6native12_GLOBAL__N_124unique_dim_cuda_templateIaEESt5tupleIJNSH_6TensorESM_SM_EERKSM_lbbbEUlllE0_EEPmJS6_EEE10hipError_tPvRmT3_T4_T5_T6_T7_T9_mT8_P12ihipStream_tbDpT10_ENKUlT_T0_E_clISt17integral_constantIbLb0EES1C_EEDaS17_S18_EUlS17_E_NS1_11comp_targetILNS1_3genE2ELNS1_11target_archE906ELNS1_3gpuE6ELNS1_3repE0EEENS1_30default_config_static_selectorELNS0_4arch9wavefront6targetE0EEEvT1_
; %bb.0:
	.section	.rodata,"a",@progbits
	.p2align	6, 0x0
	.amdhsa_kernel _ZN7rocprim17ROCPRIM_400000_NS6detail17trampoline_kernelINS0_14default_configENS1_25partition_config_selectorILNS1_17partition_subalgoE8ElNS0_10empty_typeEbEEZZNS1_14partition_implILS5_8ELb0ES3_jPlPS6_PKS6_NS0_5tupleIJS9_S6_EEENSD_IJSA_SA_EEENS0_18inequality_wrapperIZN2at6native12_GLOBAL__N_124unique_dim_cuda_templateIaEESt5tupleIJNSH_6TensorESM_SM_EERKSM_lbbbEUlllE0_EEPmJS6_EEE10hipError_tPvRmT3_T4_T5_T6_T7_T9_mT8_P12ihipStream_tbDpT10_ENKUlT_T0_E_clISt17integral_constantIbLb0EES1C_EEDaS17_S18_EUlS17_E_NS1_11comp_targetILNS1_3genE2ELNS1_11target_archE906ELNS1_3gpuE6ELNS1_3repE0EEENS1_30default_config_static_selectorELNS0_4arch9wavefront6targetE0EEEvT1_
		.amdhsa_group_segment_fixed_size 0
		.amdhsa_private_segment_fixed_size 0
		.amdhsa_kernarg_size 120
		.amdhsa_user_sgpr_count 2
		.amdhsa_user_sgpr_dispatch_ptr 0
		.amdhsa_user_sgpr_queue_ptr 0
		.amdhsa_user_sgpr_kernarg_segment_ptr 1
		.amdhsa_user_sgpr_dispatch_id 0
		.amdhsa_user_sgpr_kernarg_preload_length 0
		.amdhsa_user_sgpr_kernarg_preload_offset 0
		.amdhsa_user_sgpr_private_segment_size 0
		.amdhsa_wavefront_size32 1
		.amdhsa_uses_dynamic_stack 0
		.amdhsa_enable_private_segment 0
		.amdhsa_system_sgpr_workgroup_id_x 1
		.amdhsa_system_sgpr_workgroup_id_y 0
		.amdhsa_system_sgpr_workgroup_id_z 0
		.amdhsa_system_sgpr_workgroup_info 0
		.amdhsa_system_vgpr_workitem_id 0
		.amdhsa_next_free_vgpr 1
		.amdhsa_next_free_sgpr 1
		.amdhsa_named_barrier_count 0
		.amdhsa_reserve_vcc 0
		.amdhsa_float_round_mode_32 0
		.amdhsa_float_round_mode_16_64 0
		.amdhsa_float_denorm_mode_32 3
		.amdhsa_float_denorm_mode_16_64 3
		.amdhsa_fp16_overflow 0
		.amdhsa_memory_ordered 1
		.amdhsa_forward_progress 1
		.amdhsa_inst_pref_size 0
		.amdhsa_round_robin_scheduling 0
		.amdhsa_exception_fp_ieee_invalid_op 0
		.amdhsa_exception_fp_denorm_src 0
		.amdhsa_exception_fp_ieee_div_zero 0
		.amdhsa_exception_fp_ieee_overflow 0
		.amdhsa_exception_fp_ieee_underflow 0
		.amdhsa_exception_fp_ieee_inexact 0
		.amdhsa_exception_int_div_zero 0
	.end_amdhsa_kernel
	.section	.text._ZN7rocprim17ROCPRIM_400000_NS6detail17trampoline_kernelINS0_14default_configENS1_25partition_config_selectorILNS1_17partition_subalgoE8ElNS0_10empty_typeEbEEZZNS1_14partition_implILS5_8ELb0ES3_jPlPS6_PKS6_NS0_5tupleIJS9_S6_EEENSD_IJSA_SA_EEENS0_18inequality_wrapperIZN2at6native12_GLOBAL__N_124unique_dim_cuda_templateIaEESt5tupleIJNSH_6TensorESM_SM_EERKSM_lbbbEUlllE0_EEPmJS6_EEE10hipError_tPvRmT3_T4_T5_T6_T7_T9_mT8_P12ihipStream_tbDpT10_ENKUlT_T0_E_clISt17integral_constantIbLb0EES1C_EEDaS17_S18_EUlS17_E_NS1_11comp_targetILNS1_3genE2ELNS1_11target_archE906ELNS1_3gpuE6ELNS1_3repE0EEENS1_30default_config_static_selectorELNS0_4arch9wavefront6targetE0EEEvT1_,"axG",@progbits,_ZN7rocprim17ROCPRIM_400000_NS6detail17trampoline_kernelINS0_14default_configENS1_25partition_config_selectorILNS1_17partition_subalgoE8ElNS0_10empty_typeEbEEZZNS1_14partition_implILS5_8ELb0ES3_jPlPS6_PKS6_NS0_5tupleIJS9_S6_EEENSD_IJSA_SA_EEENS0_18inequality_wrapperIZN2at6native12_GLOBAL__N_124unique_dim_cuda_templateIaEESt5tupleIJNSH_6TensorESM_SM_EERKSM_lbbbEUlllE0_EEPmJS6_EEE10hipError_tPvRmT3_T4_T5_T6_T7_T9_mT8_P12ihipStream_tbDpT10_ENKUlT_T0_E_clISt17integral_constantIbLb0EES1C_EEDaS17_S18_EUlS17_E_NS1_11comp_targetILNS1_3genE2ELNS1_11target_archE906ELNS1_3gpuE6ELNS1_3repE0EEENS1_30default_config_static_selectorELNS0_4arch9wavefront6targetE0EEEvT1_,comdat
.Lfunc_end323:
	.size	_ZN7rocprim17ROCPRIM_400000_NS6detail17trampoline_kernelINS0_14default_configENS1_25partition_config_selectorILNS1_17partition_subalgoE8ElNS0_10empty_typeEbEEZZNS1_14partition_implILS5_8ELb0ES3_jPlPS6_PKS6_NS0_5tupleIJS9_S6_EEENSD_IJSA_SA_EEENS0_18inequality_wrapperIZN2at6native12_GLOBAL__N_124unique_dim_cuda_templateIaEESt5tupleIJNSH_6TensorESM_SM_EERKSM_lbbbEUlllE0_EEPmJS6_EEE10hipError_tPvRmT3_T4_T5_T6_T7_T9_mT8_P12ihipStream_tbDpT10_ENKUlT_T0_E_clISt17integral_constantIbLb0EES1C_EEDaS17_S18_EUlS17_E_NS1_11comp_targetILNS1_3genE2ELNS1_11target_archE906ELNS1_3gpuE6ELNS1_3repE0EEENS1_30default_config_static_selectorELNS0_4arch9wavefront6targetE0EEEvT1_, .Lfunc_end323-_ZN7rocprim17ROCPRIM_400000_NS6detail17trampoline_kernelINS0_14default_configENS1_25partition_config_selectorILNS1_17partition_subalgoE8ElNS0_10empty_typeEbEEZZNS1_14partition_implILS5_8ELb0ES3_jPlPS6_PKS6_NS0_5tupleIJS9_S6_EEENSD_IJSA_SA_EEENS0_18inequality_wrapperIZN2at6native12_GLOBAL__N_124unique_dim_cuda_templateIaEESt5tupleIJNSH_6TensorESM_SM_EERKSM_lbbbEUlllE0_EEPmJS6_EEE10hipError_tPvRmT3_T4_T5_T6_T7_T9_mT8_P12ihipStream_tbDpT10_ENKUlT_T0_E_clISt17integral_constantIbLb0EES1C_EEDaS17_S18_EUlS17_E_NS1_11comp_targetILNS1_3genE2ELNS1_11target_archE906ELNS1_3gpuE6ELNS1_3repE0EEENS1_30default_config_static_selectorELNS0_4arch9wavefront6targetE0EEEvT1_
                                        ; -- End function
	.set _ZN7rocprim17ROCPRIM_400000_NS6detail17trampoline_kernelINS0_14default_configENS1_25partition_config_selectorILNS1_17partition_subalgoE8ElNS0_10empty_typeEbEEZZNS1_14partition_implILS5_8ELb0ES3_jPlPS6_PKS6_NS0_5tupleIJS9_S6_EEENSD_IJSA_SA_EEENS0_18inequality_wrapperIZN2at6native12_GLOBAL__N_124unique_dim_cuda_templateIaEESt5tupleIJNSH_6TensorESM_SM_EERKSM_lbbbEUlllE0_EEPmJS6_EEE10hipError_tPvRmT3_T4_T5_T6_T7_T9_mT8_P12ihipStream_tbDpT10_ENKUlT_T0_E_clISt17integral_constantIbLb0EES1C_EEDaS17_S18_EUlS17_E_NS1_11comp_targetILNS1_3genE2ELNS1_11target_archE906ELNS1_3gpuE6ELNS1_3repE0EEENS1_30default_config_static_selectorELNS0_4arch9wavefront6targetE0EEEvT1_.num_vgpr, 0
	.set _ZN7rocprim17ROCPRIM_400000_NS6detail17trampoline_kernelINS0_14default_configENS1_25partition_config_selectorILNS1_17partition_subalgoE8ElNS0_10empty_typeEbEEZZNS1_14partition_implILS5_8ELb0ES3_jPlPS6_PKS6_NS0_5tupleIJS9_S6_EEENSD_IJSA_SA_EEENS0_18inequality_wrapperIZN2at6native12_GLOBAL__N_124unique_dim_cuda_templateIaEESt5tupleIJNSH_6TensorESM_SM_EERKSM_lbbbEUlllE0_EEPmJS6_EEE10hipError_tPvRmT3_T4_T5_T6_T7_T9_mT8_P12ihipStream_tbDpT10_ENKUlT_T0_E_clISt17integral_constantIbLb0EES1C_EEDaS17_S18_EUlS17_E_NS1_11comp_targetILNS1_3genE2ELNS1_11target_archE906ELNS1_3gpuE6ELNS1_3repE0EEENS1_30default_config_static_selectorELNS0_4arch9wavefront6targetE0EEEvT1_.num_agpr, 0
	.set _ZN7rocprim17ROCPRIM_400000_NS6detail17trampoline_kernelINS0_14default_configENS1_25partition_config_selectorILNS1_17partition_subalgoE8ElNS0_10empty_typeEbEEZZNS1_14partition_implILS5_8ELb0ES3_jPlPS6_PKS6_NS0_5tupleIJS9_S6_EEENSD_IJSA_SA_EEENS0_18inequality_wrapperIZN2at6native12_GLOBAL__N_124unique_dim_cuda_templateIaEESt5tupleIJNSH_6TensorESM_SM_EERKSM_lbbbEUlllE0_EEPmJS6_EEE10hipError_tPvRmT3_T4_T5_T6_T7_T9_mT8_P12ihipStream_tbDpT10_ENKUlT_T0_E_clISt17integral_constantIbLb0EES1C_EEDaS17_S18_EUlS17_E_NS1_11comp_targetILNS1_3genE2ELNS1_11target_archE906ELNS1_3gpuE6ELNS1_3repE0EEENS1_30default_config_static_selectorELNS0_4arch9wavefront6targetE0EEEvT1_.numbered_sgpr, 0
	.set _ZN7rocprim17ROCPRIM_400000_NS6detail17trampoline_kernelINS0_14default_configENS1_25partition_config_selectorILNS1_17partition_subalgoE8ElNS0_10empty_typeEbEEZZNS1_14partition_implILS5_8ELb0ES3_jPlPS6_PKS6_NS0_5tupleIJS9_S6_EEENSD_IJSA_SA_EEENS0_18inequality_wrapperIZN2at6native12_GLOBAL__N_124unique_dim_cuda_templateIaEESt5tupleIJNSH_6TensorESM_SM_EERKSM_lbbbEUlllE0_EEPmJS6_EEE10hipError_tPvRmT3_T4_T5_T6_T7_T9_mT8_P12ihipStream_tbDpT10_ENKUlT_T0_E_clISt17integral_constantIbLb0EES1C_EEDaS17_S18_EUlS17_E_NS1_11comp_targetILNS1_3genE2ELNS1_11target_archE906ELNS1_3gpuE6ELNS1_3repE0EEENS1_30default_config_static_selectorELNS0_4arch9wavefront6targetE0EEEvT1_.num_named_barrier, 0
	.set _ZN7rocprim17ROCPRIM_400000_NS6detail17trampoline_kernelINS0_14default_configENS1_25partition_config_selectorILNS1_17partition_subalgoE8ElNS0_10empty_typeEbEEZZNS1_14partition_implILS5_8ELb0ES3_jPlPS6_PKS6_NS0_5tupleIJS9_S6_EEENSD_IJSA_SA_EEENS0_18inequality_wrapperIZN2at6native12_GLOBAL__N_124unique_dim_cuda_templateIaEESt5tupleIJNSH_6TensorESM_SM_EERKSM_lbbbEUlllE0_EEPmJS6_EEE10hipError_tPvRmT3_T4_T5_T6_T7_T9_mT8_P12ihipStream_tbDpT10_ENKUlT_T0_E_clISt17integral_constantIbLb0EES1C_EEDaS17_S18_EUlS17_E_NS1_11comp_targetILNS1_3genE2ELNS1_11target_archE906ELNS1_3gpuE6ELNS1_3repE0EEENS1_30default_config_static_selectorELNS0_4arch9wavefront6targetE0EEEvT1_.private_seg_size, 0
	.set _ZN7rocprim17ROCPRIM_400000_NS6detail17trampoline_kernelINS0_14default_configENS1_25partition_config_selectorILNS1_17partition_subalgoE8ElNS0_10empty_typeEbEEZZNS1_14partition_implILS5_8ELb0ES3_jPlPS6_PKS6_NS0_5tupleIJS9_S6_EEENSD_IJSA_SA_EEENS0_18inequality_wrapperIZN2at6native12_GLOBAL__N_124unique_dim_cuda_templateIaEESt5tupleIJNSH_6TensorESM_SM_EERKSM_lbbbEUlllE0_EEPmJS6_EEE10hipError_tPvRmT3_T4_T5_T6_T7_T9_mT8_P12ihipStream_tbDpT10_ENKUlT_T0_E_clISt17integral_constantIbLb0EES1C_EEDaS17_S18_EUlS17_E_NS1_11comp_targetILNS1_3genE2ELNS1_11target_archE906ELNS1_3gpuE6ELNS1_3repE0EEENS1_30default_config_static_selectorELNS0_4arch9wavefront6targetE0EEEvT1_.uses_vcc, 0
	.set _ZN7rocprim17ROCPRIM_400000_NS6detail17trampoline_kernelINS0_14default_configENS1_25partition_config_selectorILNS1_17partition_subalgoE8ElNS0_10empty_typeEbEEZZNS1_14partition_implILS5_8ELb0ES3_jPlPS6_PKS6_NS0_5tupleIJS9_S6_EEENSD_IJSA_SA_EEENS0_18inequality_wrapperIZN2at6native12_GLOBAL__N_124unique_dim_cuda_templateIaEESt5tupleIJNSH_6TensorESM_SM_EERKSM_lbbbEUlllE0_EEPmJS6_EEE10hipError_tPvRmT3_T4_T5_T6_T7_T9_mT8_P12ihipStream_tbDpT10_ENKUlT_T0_E_clISt17integral_constantIbLb0EES1C_EEDaS17_S18_EUlS17_E_NS1_11comp_targetILNS1_3genE2ELNS1_11target_archE906ELNS1_3gpuE6ELNS1_3repE0EEENS1_30default_config_static_selectorELNS0_4arch9wavefront6targetE0EEEvT1_.uses_flat_scratch, 0
	.set _ZN7rocprim17ROCPRIM_400000_NS6detail17trampoline_kernelINS0_14default_configENS1_25partition_config_selectorILNS1_17partition_subalgoE8ElNS0_10empty_typeEbEEZZNS1_14partition_implILS5_8ELb0ES3_jPlPS6_PKS6_NS0_5tupleIJS9_S6_EEENSD_IJSA_SA_EEENS0_18inequality_wrapperIZN2at6native12_GLOBAL__N_124unique_dim_cuda_templateIaEESt5tupleIJNSH_6TensorESM_SM_EERKSM_lbbbEUlllE0_EEPmJS6_EEE10hipError_tPvRmT3_T4_T5_T6_T7_T9_mT8_P12ihipStream_tbDpT10_ENKUlT_T0_E_clISt17integral_constantIbLb0EES1C_EEDaS17_S18_EUlS17_E_NS1_11comp_targetILNS1_3genE2ELNS1_11target_archE906ELNS1_3gpuE6ELNS1_3repE0EEENS1_30default_config_static_selectorELNS0_4arch9wavefront6targetE0EEEvT1_.has_dyn_sized_stack, 0
	.set _ZN7rocprim17ROCPRIM_400000_NS6detail17trampoline_kernelINS0_14default_configENS1_25partition_config_selectorILNS1_17partition_subalgoE8ElNS0_10empty_typeEbEEZZNS1_14partition_implILS5_8ELb0ES3_jPlPS6_PKS6_NS0_5tupleIJS9_S6_EEENSD_IJSA_SA_EEENS0_18inequality_wrapperIZN2at6native12_GLOBAL__N_124unique_dim_cuda_templateIaEESt5tupleIJNSH_6TensorESM_SM_EERKSM_lbbbEUlllE0_EEPmJS6_EEE10hipError_tPvRmT3_T4_T5_T6_T7_T9_mT8_P12ihipStream_tbDpT10_ENKUlT_T0_E_clISt17integral_constantIbLb0EES1C_EEDaS17_S18_EUlS17_E_NS1_11comp_targetILNS1_3genE2ELNS1_11target_archE906ELNS1_3gpuE6ELNS1_3repE0EEENS1_30default_config_static_selectorELNS0_4arch9wavefront6targetE0EEEvT1_.has_recursion, 0
	.set _ZN7rocprim17ROCPRIM_400000_NS6detail17trampoline_kernelINS0_14default_configENS1_25partition_config_selectorILNS1_17partition_subalgoE8ElNS0_10empty_typeEbEEZZNS1_14partition_implILS5_8ELb0ES3_jPlPS6_PKS6_NS0_5tupleIJS9_S6_EEENSD_IJSA_SA_EEENS0_18inequality_wrapperIZN2at6native12_GLOBAL__N_124unique_dim_cuda_templateIaEESt5tupleIJNSH_6TensorESM_SM_EERKSM_lbbbEUlllE0_EEPmJS6_EEE10hipError_tPvRmT3_T4_T5_T6_T7_T9_mT8_P12ihipStream_tbDpT10_ENKUlT_T0_E_clISt17integral_constantIbLb0EES1C_EEDaS17_S18_EUlS17_E_NS1_11comp_targetILNS1_3genE2ELNS1_11target_archE906ELNS1_3gpuE6ELNS1_3repE0EEENS1_30default_config_static_selectorELNS0_4arch9wavefront6targetE0EEEvT1_.has_indirect_call, 0
	.section	.AMDGPU.csdata,"",@progbits
; Kernel info:
; codeLenInByte = 0
; TotalNumSgprs: 0
; NumVgprs: 0
; ScratchSize: 0
; MemoryBound: 0
; FloatMode: 240
; IeeeMode: 1
; LDSByteSize: 0 bytes/workgroup (compile time only)
; SGPRBlocks: 0
; VGPRBlocks: 0
; NumSGPRsForWavesPerEU: 1
; NumVGPRsForWavesPerEU: 1
; NamedBarCnt: 0
; Occupancy: 16
; WaveLimiterHint : 0
; COMPUTE_PGM_RSRC2:SCRATCH_EN: 0
; COMPUTE_PGM_RSRC2:USER_SGPR: 2
; COMPUTE_PGM_RSRC2:TRAP_HANDLER: 0
; COMPUTE_PGM_RSRC2:TGID_X_EN: 1
; COMPUTE_PGM_RSRC2:TGID_Y_EN: 0
; COMPUTE_PGM_RSRC2:TGID_Z_EN: 0
; COMPUTE_PGM_RSRC2:TIDIG_COMP_CNT: 0
	.section	.text._ZN7rocprim17ROCPRIM_400000_NS6detail17trampoline_kernelINS0_14default_configENS1_25partition_config_selectorILNS1_17partition_subalgoE8ElNS0_10empty_typeEbEEZZNS1_14partition_implILS5_8ELb0ES3_jPlPS6_PKS6_NS0_5tupleIJS9_S6_EEENSD_IJSA_SA_EEENS0_18inequality_wrapperIZN2at6native12_GLOBAL__N_124unique_dim_cuda_templateIaEESt5tupleIJNSH_6TensorESM_SM_EERKSM_lbbbEUlllE0_EEPmJS6_EEE10hipError_tPvRmT3_T4_T5_T6_T7_T9_mT8_P12ihipStream_tbDpT10_ENKUlT_T0_E_clISt17integral_constantIbLb0EES1C_EEDaS17_S18_EUlS17_E_NS1_11comp_targetILNS1_3genE10ELNS1_11target_archE1200ELNS1_3gpuE4ELNS1_3repE0EEENS1_30default_config_static_selectorELNS0_4arch9wavefront6targetE0EEEvT1_,"axG",@progbits,_ZN7rocprim17ROCPRIM_400000_NS6detail17trampoline_kernelINS0_14default_configENS1_25partition_config_selectorILNS1_17partition_subalgoE8ElNS0_10empty_typeEbEEZZNS1_14partition_implILS5_8ELb0ES3_jPlPS6_PKS6_NS0_5tupleIJS9_S6_EEENSD_IJSA_SA_EEENS0_18inequality_wrapperIZN2at6native12_GLOBAL__N_124unique_dim_cuda_templateIaEESt5tupleIJNSH_6TensorESM_SM_EERKSM_lbbbEUlllE0_EEPmJS6_EEE10hipError_tPvRmT3_T4_T5_T6_T7_T9_mT8_P12ihipStream_tbDpT10_ENKUlT_T0_E_clISt17integral_constantIbLb0EES1C_EEDaS17_S18_EUlS17_E_NS1_11comp_targetILNS1_3genE10ELNS1_11target_archE1200ELNS1_3gpuE4ELNS1_3repE0EEENS1_30default_config_static_selectorELNS0_4arch9wavefront6targetE0EEEvT1_,comdat
	.globl	_ZN7rocprim17ROCPRIM_400000_NS6detail17trampoline_kernelINS0_14default_configENS1_25partition_config_selectorILNS1_17partition_subalgoE8ElNS0_10empty_typeEbEEZZNS1_14partition_implILS5_8ELb0ES3_jPlPS6_PKS6_NS0_5tupleIJS9_S6_EEENSD_IJSA_SA_EEENS0_18inequality_wrapperIZN2at6native12_GLOBAL__N_124unique_dim_cuda_templateIaEESt5tupleIJNSH_6TensorESM_SM_EERKSM_lbbbEUlllE0_EEPmJS6_EEE10hipError_tPvRmT3_T4_T5_T6_T7_T9_mT8_P12ihipStream_tbDpT10_ENKUlT_T0_E_clISt17integral_constantIbLb0EES1C_EEDaS17_S18_EUlS17_E_NS1_11comp_targetILNS1_3genE10ELNS1_11target_archE1200ELNS1_3gpuE4ELNS1_3repE0EEENS1_30default_config_static_selectorELNS0_4arch9wavefront6targetE0EEEvT1_ ; -- Begin function _ZN7rocprim17ROCPRIM_400000_NS6detail17trampoline_kernelINS0_14default_configENS1_25partition_config_selectorILNS1_17partition_subalgoE8ElNS0_10empty_typeEbEEZZNS1_14partition_implILS5_8ELb0ES3_jPlPS6_PKS6_NS0_5tupleIJS9_S6_EEENSD_IJSA_SA_EEENS0_18inequality_wrapperIZN2at6native12_GLOBAL__N_124unique_dim_cuda_templateIaEESt5tupleIJNSH_6TensorESM_SM_EERKSM_lbbbEUlllE0_EEPmJS6_EEE10hipError_tPvRmT3_T4_T5_T6_T7_T9_mT8_P12ihipStream_tbDpT10_ENKUlT_T0_E_clISt17integral_constantIbLb0EES1C_EEDaS17_S18_EUlS17_E_NS1_11comp_targetILNS1_3genE10ELNS1_11target_archE1200ELNS1_3gpuE4ELNS1_3repE0EEENS1_30default_config_static_selectorELNS0_4arch9wavefront6targetE0EEEvT1_
	.p2align	8
	.type	_ZN7rocprim17ROCPRIM_400000_NS6detail17trampoline_kernelINS0_14default_configENS1_25partition_config_selectorILNS1_17partition_subalgoE8ElNS0_10empty_typeEbEEZZNS1_14partition_implILS5_8ELb0ES3_jPlPS6_PKS6_NS0_5tupleIJS9_S6_EEENSD_IJSA_SA_EEENS0_18inequality_wrapperIZN2at6native12_GLOBAL__N_124unique_dim_cuda_templateIaEESt5tupleIJNSH_6TensorESM_SM_EERKSM_lbbbEUlllE0_EEPmJS6_EEE10hipError_tPvRmT3_T4_T5_T6_T7_T9_mT8_P12ihipStream_tbDpT10_ENKUlT_T0_E_clISt17integral_constantIbLb0EES1C_EEDaS17_S18_EUlS17_E_NS1_11comp_targetILNS1_3genE10ELNS1_11target_archE1200ELNS1_3gpuE4ELNS1_3repE0EEENS1_30default_config_static_selectorELNS0_4arch9wavefront6targetE0EEEvT1_,@function
_ZN7rocprim17ROCPRIM_400000_NS6detail17trampoline_kernelINS0_14default_configENS1_25partition_config_selectorILNS1_17partition_subalgoE8ElNS0_10empty_typeEbEEZZNS1_14partition_implILS5_8ELb0ES3_jPlPS6_PKS6_NS0_5tupleIJS9_S6_EEENSD_IJSA_SA_EEENS0_18inequality_wrapperIZN2at6native12_GLOBAL__N_124unique_dim_cuda_templateIaEESt5tupleIJNSH_6TensorESM_SM_EERKSM_lbbbEUlllE0_EEPmJS6_EEE10hipError_tPvRmT3_T4_T5_T6_T7_T9_mT8_P12ihipStream_tbDpT10_ENKUlT_T0_E_clISt17integral_constantIbLb0EES1C_EEDaS17_S18_EUlS17_E_NS1_11comp_targetILNS1_3genE10ELNS1_11target_archE1200ELNS1_3gpuE4ELNS1_3repE0EEENS1_30default_config_static_selectorELNS0_4arch9wavefront6targetE0EEEvT1_: ; @_ZN7rocprim17ROCPRIM_400000_NS6detail17trampoline_kernelINS0_14default_configENS1_25partition_config_selectorILNS1_17partition_subalgoE8ElNS0_10empty_typeEbEEZZNS1_14partition_implILS5_8ELb0ES3_jPlPS6_PKS6_NS0_5tupleIJS9_S6_EEENSD_IJSA_SA_EEENS0_18inequality_wrapperIZN2at6native12_GLOBAL__N_124unique_dim_cuda_templateIaEESt5tupleIJNSH_6TensorESM_SM_EERKSM_lbbbEUlllE0_EEPmJS6_EEE10hipError_tPvRmT3_T4_T5_T6_T7_T9_mT8_P12ihipStream_tbDpT10_ENKUlT_T0_E_clISt17integral_constantIbLb0EES1C_EEDaS17_S18_EUlS17_E_NS1_11comp_targetILNS1_3genE10ELNS1_11target_archE1200ELNS1_3gpuE4ELNS1_3repE0EEENS1_30default_config_static_selectorELNS0_4arch9wavefront6targetE0EEEvT1_
; %bb.0:
	.section	.rodata,"a",@progbits
	.p2align	6, 0x0
	.amdhsa_kernel _ZN7rocprim17ROCPRIM_400000_NS6detail17trampoline_kernelINS0_14default_configENS1_25partition_config_selectorILNS1_17partition_subalgoE8ElNS0_10empty_typeEbEEZZNS1_14partition_implILS5_8ELb0ES3_jPlPS6_PKS6_NS0_5tupleIJS9_S6_EEENSD_IJSA_SA_EEENS0_18inequality_wrapperIZN2at6native12_GLOBAL__N_124unique_dim_cuda_templateIaEESt5tupleIJNSH_6TensorESM_SM_EERKSM_lbbbEUlllE0_EEPmJS6_EEE10hipError_tPvRmT3_T4_T5_T6_T7_T9_mT8_P12ihipStream_tbDpT10_ENKUlT_T0_E_clISt17integral_constantIbLb0EES1C_EEDaS17_S18_EUlS17_E_NS1_11comp_targetILNS1_3genE10ELNS1_11target_archE1200ELNS1_3gpuE4ELNS1_3repE0EEENS1_30default_config_static_selectorELNS0_4arch9wavefront6targetE0EEEvT1_
		.amdhsa_group_segment_fixed_size 0
		.amdhsa_private_segment_fixed_size 0
		.amdhsa_kernarg_size 120
		.amdhsa_user_sgpr_count 2
		.amdhsa_user_sgpr_dispatch_ptr 0
		.amdhsa_user_sgpr_queue_ptr 0
		.amdhsa_user_sgpr_kernarg_segment_ptr 1
		.amdhsa_user_sgpr_dispatch_id 0
		.amdhsa_user_sgpr_kernarg_preload_length 0
		.amdhsa_user_sgpr_kernarg_preload_offset 0
		.amdhsa_user_sgpr_private_segment_size 0
		.amdhsa_wavefront_size32 1
		.amdhsa_uses_dynamic_stack 0
		.amdhsa_enable_private_segment 0
		.amdhsa_system_sgpr_workgroup_id_x 1
		.amdhsa_system_sgpr_workgroup_id_y 0
		.amdhsa_system_sgpr_workgroup_id_z 0
		.amdhsa_system_sgpr_workgroup_info 0
		.amdhsa_system_vgpr_workitem_id 0
		.amdhsa_next_free_vgpr 1
		.amdhsa_next_free_sgpr 1
		.amdhsa_named_barrier_count 0
		.amdhsa_reserve_vcc 0
		.amdhsa_float_round_mode_32 0
		.amdhsa_float_round_mode_16_64 0
		.amdhsa_float_denorm_mode_32 3
		.amdhsa_float_denorm_mode_16_64 3
		.amdhsa_fp16_overflow 0
		.amdhsa_memory_ordered 1
		.amdhsa_forward_progress 1
		.amdhsa_inst_pref_size 0
		.amdhsa_round_robin_scheduling 0
		.amdhsa_exception_fp_ieee_invalid_op 0
		.amdhsa_exception_fp_denorm_src 0
		.amdhsa_exception_fp_ieee_div_zero 0
		.amdhsa_exception_fp_ieee_overflow 0
		.amdhsa_exception_fp_ieee_underflow 0
		.amdhsa_exception_fp_ieee_inexact 0
		.amdhsa_exception_int_div_zero 0
	.end_amdhsa_kernel
	.section	.text._ZN7rocprim17ROCPRIM_400000_NS6detail17trampoline_kernelINS0_14default_configENS1_25partition_config_selectorILNS1_17partition_subalgoE8ElNS0_10empty_typeEbEEZZNS1_14partition_implILS5_8ELb0ES3_jPlPS6_PKS6_NS0_5tupleIJS9_S6_EEENSD_IJSA_SA_EEENS0_18inequality_wrapperIZN2at6native12_GLOBAL__N_124unique_dim_cuda_templateIaEESt5tupleIJNSH_6TensorESM_SM_EERKSM_lbbbEUlllE0_EEPmJS6_EEE10hipError_tPvRmT3_T4_T5_T6_T7_T9_mT8_P12ihipStream_tbDpT10_ENKUlT_T0_E_clISt17integral_constantIbLb0EES1C_EEDaS17_S18_EUlS17_E_NS1_11comp_targetILNS1_3genE10ELNS1_11target_archE1200ELNS1_3gpuE4ELNS1_3repE0EEENS1_30default_config_static_selectorELNS0_4arch9wavefront6targetE0EEEvT1_,"axG",@progbits,_ZN7rocprim17ROCPRIM_400000_NS6detail17trampoline_kernelINS0_14default_configENS1_25partition_config_selectorILNS1_17partition_subalgoE8ElNS0_10empty_typeEbEEZZNS1_14partition_implILS5_8ELb0ES3_jPlPS6_PKS6_NS0_5tupleIJS9_S6_EEENSD_IJSA_SA_EEENS0_18inequality_wrapperIZN2at6native12_GLOBAL__N_124unique_dim_cuda_templateIaEESt5tupleIJNSH_6TensorESM_SM_EERKSM_lbbbEUlllE0_EEPmJS6_EEE10hipError_tPvRmT3_T4_T5_T6_T7_T9_mT8_P12ihipStream_tbDpT10_ENKUlT_T0_E_clISt17integral_constantIbLb0EES1C_EEDaS17_S18_EUlS17_E_NS1_11comp_targetILNS1_3genE10ELNS1_11target_archE1200ELNS1_3gpuE4ELNS1_3repE0EEENS1_30default_config_static_selectorELNS0_4arch9wavefront6targetE0EEEvT1_,comdat
.Lfunc_end324:
	.size	_ZN7rocprim17ROCPRIM_400000_NS6detail17trampoline_kernelINS0_14default_configENS1_25partition_config_selectorILNS1_17partition_subalgoE8ElNS0_10empty_typeEbEEZZNS1_14partition_implILS5_8ELb0ES3_jPlPS6_PKS6_NS0_5tupleIJS9_S6_EEENSD_IJSA_SA_EEENS0_18inequality_wrapperIZN2at6native12_GLOBAL__N_124unique_dim_cuda_templateIaEESt5tupleIJNSH_6TensorESM_SM_EERKSM_lbbbEUlllE0_EEPmJS6_EEE10hipError_tPvRmT3_T4_T5_T6_T7_T9_mT8_P12ihipStream_tbDpT10_ENKUlT_T0_E_clISt17integral_constantIbLb0EES1C_EEDaS17_S18_EUlS17_E_NS1_11comp_targetILNS1_3genE10ELNS1_11target_archE1200ELNS1_3gpuE4ELNS1_3repE0EEENS1_30default_config_static_selectorELNS0_4arch9wavefront6targetE0EEEvT1_, .Lfunc_end324-_ZN7rocprim17ROCPRIM_400000_NS6detail17trampoline_kernelINS0_14default_configENS1_25partition_config_selectorILNS1_17partition_subalgoE8ElNS0_10empty_typeEbEEZZNS1_14partition_implILS5_8ELb0ES3_jPlPS6_PKS6_NS0_5tupleIJS9_S6_EEENSD_IJSA_SA_EEENS0_18inequality_wrapperIZN2at6native12_GLOBAL__N_124unique_dim_cuda_templateIaEESt5tupleIJNSH_6TensorESM_SM_EERKSM_lbbbEUlllE0_EEPmJS6_EEE10hipError_tPvRmT3_T4_T5_T6_T7_T9_mT8_P12ihipStream_tbDpT10_ENKUlT_T0_E_clISt17integral_constantIbLb0EES1C_EEDaS17_S18_EUlS17_E_NS1_11comp_targetILNS1_3genE10ELNS1_11target_archE1200ELNS1_3gpuE4ELNS1_3repE0EEENS1_30default_config_static_selectorELNS0_4arch9wavefront6targetE0EEEvT1_
                                        ; -- End function
	.set _ZN7rocprim17ROCPRIM_400000_NS6detail17trampoline_kernelINS0_14default_configENS1_25partition_config_selectorILNS1_17partition_subalgoE8ElNS0_10empty_typeEbEEZZNS1_14partition_implILS5_8ELb0ES3_jPlPS6_PKS6_NS0_5tupleIJS9_S6_EEENSD_IJSA_SA_EEENS0_18inequality_wrapperIZN2at6native12_GLOBAL__N_124unique_dim_cuda_templateIaEESt5tupleIJNSH_6TensorESM_SM_EERKSM_lbbbEUlllE0_EEPmJS6_EEE10hipError_tPvRmT3_T4_T5_T6_T7_T9_mT8_P12ihipStream_tbDpT10_ENKUlT_T0_E_clISt17integral_constantIbLb0EES1C_EEDaS17_S18_EUlS17_E_NS1_11comp_targetILNS1_3genE10ELNS1_11target_archE1200ELNS1_3gpuE4ELNS1_3repE0EEENS1_30default_config_static_selectorELNS0_4arch9wavefront6targetE0EEEvT1_.num_vgpr, 0
	.set _ZN7rocprim17ROCPRIM_400000_NS6detail17trampoline_kernelINS0_14default_configENS1_25partition_config_selectorILNS1_17partition_subalgoE8ElNS0_10empty_typeEbEEZZNS1_14partition_implILS5_8ELb0ES3_jPlPS6_PKS6_NS0_5tupleIJS9_S6_EEENSD_IJSA_SA_EEENS0_18inequality_wrapperIZN2at6native12_GLOBAL__N_124unique_dim_cuda_templateIaEESt5tupleIJNSH_6TensorESM_SM_EERKSM_lbbbEUlllE0_EEPmJS6_EEE10hipError_tPvRmT3_T4_T5_T6_T7_T9_mT8_P12ihipStream_tbDpT10_ENKUlT_T0_E_clISt17integral_constantIbLb0EES1C_EEDaS17_S18_EUlS17_E_NS1_11comp_targetILNS1_3genE10ELNS1_11target_archE1200ELNS1_3gpuE4ELNS1_3repE0EEENS1_30default_config_static_selectorELNS0_4arch9wavefront6targetE0EEEvT1_.num_agpr, 0
	.set _ZN7rocprim17ROCPRIM_400000_NS6detail17trampoline_kernelINS0_14default_configENS1_25partition_config_selectorILNS1_17partition_subalgoE8ElNS0_10empty_typeEbEEZZNS1_14partition_implILS5_8ELb0ES3_jPlPS6_PKS6_NS0_5tupleIJS9_S6_EEENSD_IJSA_SA_EEENS0_18inequality_wrapperIZN2at6native12_GLOBAL__N_124unique_dim_cuda_templateIaEESt5tupleIJNSH_6TensorESM_SM_EERKSM_lbbbEUlllE0_EEPmJS6_EEE10hipError_tPvRmT3_T4_T5_T6_T7_T9_mT8_P12ihipStream_tbDpT10_ENKUlT_T0_E_clISt17integral_constantIbLb0EES1C_EEDaS17_S18_EUlS17_E_NS1_11comp_targetILNS1_3genE10ELNS1_11target_archE1200ELNS1_3gpuE4ELNS1_3repE0EEENS1_30default_config_static_selectorELNS0_4arch9wavefront6targetE0EEEvT1_.numbered_sgpr, 0
	.set _ZN7rocprim17ROCPRIM_400000_NS6detail17trampoline_kernelINS0_14default_configENS1_25partition_config_selectorILNS1_17partition_subalgoE8ElNS0_10empty_typeEbEEZZNS1_14partition_implILS5_8ELb0ES3_jPlPS6_PKS6_NS0_5tupleIJS9_S6_EEENSD_IJSA_SA_EEENS0_18inequality_wrapperIZN2at6native12_GLOBAL__N_124unique_dim_cuda_templateIaEESt5tupleIJNSH_6TensorESM_SM_EERKSM_lbbbEUlllE0_EEPmJS6_EEE10hipError_tPvRmT3_T4_T5_T6_T7_T9_mT8_P12ihipStream_tbDpT10_ENKUlT_T0_E_clISt17integral_constantIbLb0EES1C_EEDaS17_S18_EUlS17_E_NS1_11comp_targetILNS1_3genE10ELNS1_11target_archE1200ELNS1_3gpuE4ELNS1_3repE0EEENS1_30default_config_static_selectorELNS0_4arch9wavefront6targetE0EEEvT1_.num_named_barrier, 0
	.set _ZN7rocprim17ROCPRIM_400000_NS6detail17trampoline_kernelINS0_14default_configENS1_25partition_config_selectorILNS1_17partition_subalgoE8ElNS0_10empty_typeEbEEZZNS1_14partition_implILS5_8ELb0ES3_jPlPS6_PKS6_NS0_5tupleIJS9_S6_EEENSD_IJSA_SA_EEENS0_18inequality_wrapperIZN2at6native12_GLOBAL__N_124unique_dim_cuda_templateIaEESt5tupleIJNSH_6TensorESM_SM_EERKSM_lbbbEUlllE0_EEPmJS6_EEE10hipError_tPvRmT3_T4_T5_T6_T7_T9_mT8_P12ihipStream_tbDpT10_ENKUlT_T0_E_clISt17integral_constantIbLb0EES1C_EEDaS17_S18_EUlS17_E_NS1_11comp_targetILNS1_3genE10ELNS1_11target_archE1200ELNS1_3gpuE4ELNS1_3repE0EEENS1_30default_config_static_selectorELNS0_4arch9wavefront6targetE0EEEvT1_.private_seg_size, 0
	.set _ZN7rocprim17ROCPRIM_400000_NS6detail17trampoline_kernelINS0_14default_configENS1_25partition_config_selectorILNS1_17partition_subalgoE8ElNS0_10empty_typeEbEEZZNS1_14partition_implILS5_8ELb0ES3_jPlPS6_PKS6_NS0_5tupleIJS9_S6_EEENSD_IJSA_SA_EEENS0_18inequality_wrapperIZN2at6native12_GLOBAL__N_124unique_dim_cuda_templateIaEESt5tupleIJNSH_6TensorESM_SM_EERKSM_lbbbEUlllE0_EEPmJS6_EEE10hipError_tPvRmT3_T4_T5_T6_T7_T9_mT8_P12ihipStream_tbDpT10_ENKUlT_T0_E_clISt17integral_constantIbLb0EES1C_EEDaS17_S18_EUlS17_E_NS1_11comp_targetILNS1_3genE10ELNS1_11target_archE1200ELNS1_3gpuE4ELNS1_3repE0EEENS1_30default_config_static_selectorELNS0_4arch9wavefront6targetE0EEEvT1_.uses_vcc, 0
	.set _ZN7rocprim17ROCPRIM_400000_NS6detail17trampoline_kernelINS0_14default_configENS1_25partition_config_selectorILNS1_17partition_subalgoE8ElNS0_10empty_typeEbEEZZNS1_14partition_implILS5_8ELb0ES3_jPlPS6_PKS6_NS0_5tupleIJS9_S6_EEENSD_IJSA_SA_EEENS0_18inequality_wrapperIZN2at6native12_GLOBAL__N_124unique_dim_cuda_templateIaEESt5tupleIJNSH_6TensorESM_SM_EERKSM_lbbbEUlllE0_EEPmJS6_EEE10hipError_tPvRmT3_T4_T5_T6_T7_T9_mT8_P12ihipStream_tbDpT10_ENKUlT_T0_E_clISt17integral_constantIbLb0EES1C_EEDaS17_S18_EUlS17_E_NS1_11comp_targetILNS1_3genE10ELNS1_11target_archE1200ELNS1_3gpuE4ELNS1_3repE0EEENS1_30default_config_static_selectorELNS0_4arch9wavefront6targetE0EEEvT1_.uses_flat_scratch, 0
	.set _ZN7rocprim17ROCPRIM_400000_NS6detail17trampoline_kernelINS0_14default_configENS1_25partition_config_selectorILNS1_17partition_subalgoE8ElNS0_10empty_typeEbEEZZNS1_14partition_implILS5_8ELb0ES3_jPlPS6_PKS6_NS0_5tupleIJS9_S6_EEENSD_IJSA_SA_EEENS0_18inequality_wrapperIZN2at6native12_GLOBAL__N_124unique_dim_cuda_templateIaEESt5tupleIJNSH_6TensorESM_SM_EERKSM_lbbbEUlllE0_EEPmJS6_EEE10hipError_tPvRmT3_T4_T5_T6_T7_T9_mT8_P12ihipStream_tbDpT10_ENKUlT_T0_E_clISt17integral_constantIbLb0EES1C_EEDaS17_S18_EUlS17_E_NS1_11comp_targetILNS1_3genE10ELNS1_11target_archE1200ELNS1_3gpuE4ELNS1_3repE0EEENS1_30default_config_static_selectorELNS0_4arch9wavefront6targetE0EEEvT1_.has_dyn_sized_stack, 0
	.set _ZN7rocprim17ROCPRIM_400000_NS6detail17trampoline_kernelINS0_14default_configENS1_25partition_config_selectorILNS1_17partition_subalgoE8ElNS0_10empty_typeEbEEZZNS1_14partition_implILS5_8ELb0ES3_jPlPS6_PKS6_NS0_5tupleIJS9_S6_EEENSD_IJSA_SA_EEENS0_18inequality_wrapperIZN2at6native12_GLOBAL__N_124unique_dim_cuda_templateIaEESt5tupleIJNSH_6TensorESM_SM_EERKSM_lbbbEUlllE0_EEPmJS6_EEE10hipError_tPvRmT3_T4_T5_T6_T7_T9_mT8_P12ihipStream_tbDpT10_ENKUlT_T0_E_clISt17integral_constantIbLb0EES1C_EEDaS17_S18_EUlS17_E_NS1_11comp_targetILNS1_3genE10ELNS1_11target_archE1200ELNS1_3gpuE4ELNS1_3repE0EEENS1_30default_config_static_selectorELNS0_4arch9wavefront6targetE0EEEvT1_.has_recursion, 0
	.set _ZN7rocprim17ROCPRIM_400000_NS6detail17trampoline_kernelINS0_14default_configENS1_25partition_config_selectorILNS1_17partition_subalgoE8ElNS0_10empty_typeEbEEZZNS1_14partition_implILS5_8ELb0ES3_jPlPS6_PKS6_NS0_5tupleIJS9_S6_EEENSD_IJSA_SA_EEENS0_18inequality_wrapperIZN2at6native12_GLOBAL__N_124unique_dim_cuda_templateIaEESt5tupleIJNSH_6TensorESM_SM_EERKSM_lbbbEUlllE0_EEPmJS6_EEE10hipError_tPvRmT3_T4_T5_T6_T7_T9_mT8_P12ihipStream_tbDpT10_ENKUlT_T0_E_clISt17integral_constantIbLb0EES1C_EEDaS17_S18_EUlS17_E_NS1_11comp_targetILNS1_3genE10ELNS1_11target_archE1200ELNS1_3gpuE4ELNS1_3repE0EEENS1_30default_config_static_selectorELNS0_4arch9wavefront6targetE0EEEvT1_.has_indirect_call, 0
	.section	.AMDGPU.csdata,"",@progbits
; Kernel info:
; codeLenInByte = 0
; TotalNumSgprs: 0
; NumVgprs: 0
; ScratchSize: 0
; MemoryBound: 0
; FloatMode: 240
; IeeeMode: 1
; LDSByteSize: 0 bytes/workgroup (compile time only)
; SGPRBlocks: 0
; VGPRBlocks: 0
; NumSGPRsForWavesPerEU: 1
; NumVGPRsForWavesPerEU: 1
; NamedBarCnt: 0
; Occupancy: 16
; WaveLimiterHint : 0
; COMPUTE_PGM_RSRC2:SCRATCH_EN: 0
; COMPUTE_PGM_RSRC2:USER_SGPR: 2
; COMPUTE_PGM_RSRC2:TRAP_HANDLER: 0
; COMPUTE_PGM_RSRC2:TGID_X_EN: 1
; COMPUTE_PGM_RSRC2:TGID_Y_EN: 0
; COMPUTE_PGM_RSRC2:TGID_Z_EN: 0
; COMPUTE_PGM_RSRC2:TIDIG_COMP_CNT: 0
	.section	.text._ZN7rocprim17ROCPRIM_400000_NS6detail17trampoline_kernelINS0_14default_configENS1_25partition_config_selectorILNS1_17partition_subalgoE8ElNS0_10empty_typeEbEEZZNS1_14partition_implILS5_8ELb0ES3_jPlPS6_PKS6_NS0_5tupleIJS9_S6_EEENSD_IJSA_SA_EEENS0_18inequality_wrapperIZN2at6native12_GLOBAL__N_124unique_dim_cuda_templateIaEESt5tupleIJNSH_6TensorESM_SM_EERKSM_lbbbEUlllE0_EEPmJS6_EEE10hipError_tPvRmT3_T4_T5_T6_T7_T9_mT8_P12ihipStream_tbDpT10_ENKUlT_T0_E_clISt17integral_constantIbLb0EES1C_EEDaS17_S18_EUlS17_E_NS1_11comp_targetILNS1_3genE9ELNS1_11target_archE1100ELNS1_3gpuE3ELNS1_3repE0EEENS1_30default_config_static_selectorELNS0_4arch9wavefront6targetE0EEEvT1_,"axG",@progbits,_ZN7rocprim17ROCPRIM_400000_NS6detail17trampoline_kernelINS0_14default_configENS1_25partition_config_selectorILNS1_17partition_subalgoE8ElNS0_10empty_typeEbEEZZNS1_14partition_implILS5_8ELb0ES3_jPlPS6_PKS6_NS0_5tupleIJS9_S6_EEENSD_IJSA_SA_EEENS0_18inequality_wrapperIZN2at6native12_GLOBAL__N_124unique_dim_cuda_templateIaEESt5tupleIJNSH_6TensorESM_SM_EERKSM_lbbbEUlllE0_EEPmJS6_EEE10hipError_tPvRmT3_T4_T5_T6_T7_T9_mT8_P12ihipStream_tbDpT10_ENKUlT_T0_E_clISt17integral_constantIbLb0EES1C_EEDaS17_S18_EUlS17_E_NS1_11comp_targetILNS1_3genE9ELNS1_11target_archE1100ELNS1_3gpuE3ELNS1_3repE0EEENS1_30default_config_static_selectorELNS0_4arch9wavefront6targetE0EEEvT1_,comdat
	.globl	_ZN7rocprim17ROCPRIM_400000_NS6detail17trampoline_kernelINS0_14default_configENS1_25partition_config_selectorILNS1_17partition_subalgoE8ElNS0_10empty_typeEbEEZZNS1_14partition_implILS5_8ELb0ES3_jPlPS6_PKS6_NS0_5tupleIJS9_S6_EEENSD_IJSA_SA_EEENS0_18inequality_wrapperIZN2at6native12_GLOBAL__N_124unique_dim_cuda_templateIaEESt5tupleIJNSH_6TensorESM_SM_EERKSM_lbbbEUlllE0_EEPmJS6_EEE10hipError_tPvRmT3_T4_T5_T6_T7_T9_mT8_P12ihipStream_tbDpT10_ENKUlT_T0_E_clISt17integral_constantIbLb0EES1C_EEDaS17_S18_EUlS17_E_NS1_11comp_targetILNS1_3genE9ELNS1_11target_archE1100ELNS1_3gpuE3ELNS1_3repE0EEENS1_30default_config_static_selectorELNS0_4arch9wavefront6targetE0EEEvT1_ ; -- Begin function _ZN7rocprim17ROCPRIM_400000_NS6detail17trampoline_kernelINS0_14default_configENS1_25partition_config_selectorILNS1_17partition_subalgoE8ElNS0_10empty_typeEbEEZZNS1_14partition_implILS5_8ELb0ES3_jPlPS6_PKS6_NS0_5tupleIJS9_S6_EEENSD_IJSA_SA_EEENS0_18inequality_wrapperIZN2at6native12_GLOBAL__N_124unique_dim_cuda_templateIaEESt5tupleIJNSH_6TensorESM_SM_EERKSM_lbbbEUlllE0_EEPmJS6_EEE10hipError_tPvRmT3_T4_T5_T6_T7_T9_mT8_P12ihipStream_tbDpT10_ENKUlT_T0_E_clISt17integral_constantIbLb0EES1C_EEDaS17_S18_EUlS17_E_NS1_11comp_targetILNS1_3genE9ELNS1_11target_archE1100ELNS1_3gpuE3ELNS1_3repE0EEENS1_30default_config_static_selectorELNS0_4arch9wavefront6targetE0EEEvT1_
	.p2align	8
	.type	_ZN7rocprim17ROCPRIM_400000_NS6detail17trampoline_kernelINS0_14default_configENS1_25partition_config_selectorILNS1_17partition_subalgoE8ElNS0_10empty_typeEbEEZZNS1_14partition_implILS5_8ELb0ES3_jPlPS6_PKS6_NS0_5tupleIJS9_S6_EEENSD_IJSA_SA_EEENS0_18inequality_wrapperIZN2at6native12_GLOBAL__N_124unique_dim_cuda_templateIaEESt5tupleIJNSH_6TensorESM_SM_EERKSM_lbbbEUlllE0_EEPmJS6_EEE10hipError_tPvRmT3_T4_T5_T6_T7_T9_mT8_P12ihipStream_tbDpT10_ENKUlT_T0_E_clISt17integral_constantIbLb0EES1C_EEDaS17_S18_EUlS17_E_NS1_11comp_targetILNS1_3genE9ELNS1_11target_archE1100ELNS1_3gpuE3ELNS1_3repE0EEENS1_30default_config_static_selectorELNS0_4arch9wavefront6targetE0EEEvT1_,@function
_ZN7rocprim17ROCPRIM_400000_NS6detail17trampoline_kernelINS0_14default_configENS1_25partition_config_selectorILNS1_17partition_subalgoE8ElNS0_10empty_typeEbEEZZNS1_14partition_implILS5_8ELb0ES3_jPlPS6_PKS6_NS0_5tupleIJS9_S6_EEENSD_IJSA_SA_EEENS0_18inequality_wrapperIZN2at6native12_GLOBAL__N_124unique_dim_cuda_templateIaEESt5tupleIJNSH_6TensorESM_SM_EERKSM_lbbbEUlllE0_EEPmJS6_EEE10hipError_tPvRmT3_T4_T5_T6_T7_T9_mT8_P12ihipStream_tbDpT10_ENKUlT_T0_E_clISt17integral_constantIbLb0EES1C_EEDaS17_S18_EUlS17_E_NS1_11comp_targetILNS1_3genE9ELNS1_11target_archE1100ELNS1_3gpuE3ELNS1_3repE0EEENS1_30default_config_static_selectorELNS0_4arch9wavefront6targetE0EEEvT1_: ; @_ZN7rocprim17ROCPRIM_400000_NS6detail17trampoline_kernelINS0_14default_configENS1_25partition_config_selectorILNS1_17partition_subalgoE8ElNS0_10empty_typeEbEEZZNS1_14partition_implILS5_8ELb0ES3_jPlPS6_PKS6_NS0_5tupleIJS9_S6_EEENSD_IJSA_SA_EEENS0_18inequality_wrapperIZN2at6native12_GLOBAL__N_124unique_dim_cuda_templateIaEESt5tupleIJNSH_6TensorESM_SM_EERKSM_lbbbEUlllE0_EEPmJS6_EEE10hipError_tPvRmT3_T4_T5_T6_T7_T9_mT8_P12ihipStream_tbDpT10_ENKUlT_T0_E_clISt17integral_constantIbLb0EES1C_EEDaS17_S18_EUlS17_E_NS1_11comp_targetILNS1_3genE9ELNS1_11target_archE1100ELNS1_3gpuE3ELNS1_3repE0EEENS1_30default_config_static_selectorELNS0_4arch9wavefront6targetE0EEEvT1_
; %bb.0:
	.section	.rodata,"a",@progbits
	.p2align	6, 0x0
	.amdhsa_kernel _ZN7rocprim17ROCPRIM_400000_NS6detail17trampoline_kernelINS0_14default_configENS1_25partition_config_selectorILNS1_17partition_subalgoE8ElNS0_10empty_typeEbEEZZNS1_14partition_implILS5_8ELb0ES3_jPlPS6_PKS6_NS0_5tupleIJS9_S6_EEENSD_IJSA_SA_EEENS0_18inequality_wrapperIZN2at6native12_GLOBAL__N_124unique_dim_cuda_templateIaEESt5tupleIJNSH_6TensorESM_SM_EERKSM_lbbbEUlllE0_EEPmJS6_EEE10hipError_tPvRmT3_T4_T5_T6_T7_T9_mT8_P12ihipStream_tbDpT10_ENKUlT_T0_E_clISt17integral_constantIbLb0EES1C_EEDaS17_S18_EUlS17_E_NS1_11comp_targetILNS1_3genE9ELNS1_11target_archE1100ELNS1_3gpuE3ELNS1_3repE0EEENS1_30default_config_static_selectorELNS0_4arch9wavefront6targetE0EEEvT1_
		.amdhsa_group_segment_fixed_size 0
		.amdhsa_private_segment_fixed_size 0
		.amdhsa_kernarg_size 120
		.amdhsa_user_sgpr_count 2
		.amdhsa_user_sgpr_dispatch_ptr 0
		.amdhsa_user_sgpr_queue_ptr 0
		.amdhsa_user_sgpr_kernarg_segment_ptr 1
		.amdhsa_user_sgpr_dispatch_id 0
		.amdhsa_user_sgpr_kernarg_preload_length 0
		.amdhsa_user_sgpr_kernarg_preload_offset 0
		.amdhsa_user_sgpr_private_segment_size 0
		.amdhsa_wavefront_size32 1
		.amdhsa_uses_dynamic_stack 0
		.amdhsa_enable_private_segment 0
		.amdhsa_system_sgpr_workgroup_id_x 1
		.amdhsa_system_sgpr_workgroup_id_y 0
		.amdhsa_system_sgpr_workgroup_id_z 0
		.amdhsa_system_sgpr_workgroup_info 0
		.amdhsa_system_vgpr_workitem_id 0
		.amdhsa_next_free_vgpr 1
		.amdhsa_next_free_sgpr 1
		.amdhsa_named_barrier_count 0
		.amdhsa_reserve_vcc 0
		.amdhsa_float_round_mode_32 0
		.amdhsa_float_round_mode_16_64 0
		.amdhsa_float_denorm_mode_32 3
		.amdhsa_float_denorm_mode_16_64 3
		.amdhsa_fp16_overflow 0
		.amdhsa_memory_ordered 1
		.amdhsa_forward_progress 1
		.amdhsa_inst_pref_size 0
		.amdhsa_round_robin_scheduling 0
		.amdhsa_exception_fp_ieee_invalid_op 0
		.amdhsa_exception_fp_denorm_src 0
		.amdhsa_exception_fp_ieee_div_zero 0
		.amdhsa_exception_fp_ieee_overflow 0
		.amdhsa_exception_fp_ieee_underflow 0
		.amdhsa_exception_fp_ieee_inexact 0
		.amdhsa_exception_int_div_zero 0
	.end_amdhsa_kernel
	.section	.text._ZN7rocprim17ROCPRIM_400000_NS6detail17trampoline_kernelINS0_14default_configENS1_25partition_config_selectorILNS1_17partition_subalgoE8ElNS0_10empty_typeEbEEZZNS1_14partition_implILS5_8ELb0ES3_jPlPS6_PKS6_NS0_5tupleIJS9_S6_EEENSD_IJSA_SA_EEENS0_18inequality_wrapperIZN2at6native12_GLOBAL__N_124unique_dim_cuda_templateIaEESt5tupleIJNSH_6TensorESM_SM_EERKSM_lbbbEUlllE0_EEPmJS6_EEE10hipError_tPvRmT3_T4_T5_T6_T7_T9_mT8_P12ihipStream_tbDpT10_ENKUlT_T0_E_clISt17integral_constantIbLb0EES1C_EEDaS17_S18_EUlS17_E_NS1_11comp_targetILNS1_3genE9ELNS1_11target_archE1100ELNS1_3gpuE3ELNS1_3repE0EEENS1_30default_config_static_selectorELNS0_4arch9wavefront6targetE0EEEvT1_,"axG",@progbits,_ZN7rocprim17ROCPRIM_400000_NS6detail17trampoline_kernelINS0_14default_configENS1_25partition_config_selectorILNS1_17partition_subalgoE8ElNS0_10empty_typeEbEEZZNS1_14partition_implILS5_8ELb0ES3_jPlPS6_PKS6_NS0_5tupleIJS9_S6_EEENSD_IJSA_SA_EEENS0_18inequality_wrapperIZN2at6native12_GLOBAL__N_124unique_dim_cuda_templateIaEESt5tupleIJNSH_6TensorESM_SM_EERKSM_lbbbEUlllE0_EEPmJS6_EEE10hipError_tPvRmT3_T4_T5_T6_T7_T9_mT8_P12ihipStream_tbDpT10_ENKUlT_T0_E_clISt17integral_constantIbLb0EES1C_EEDaS17_S18_EUlS17_E_NS1_11comp_targetILNS1_3genE9ELNS1_11target_archE1100ELNS1_3gpuE3ELNS1_3repE0EEENS1_30default_config_static_selectorELNS0_4arch9wavefront6targetE0EEEvT1_,comdat
.Lfunc_end325:
	.size	_ZN7rocprim17ROCPRIM_400000_NS6detail17trampoline_kernelINS0_14default_configENS1_25partition_config_selectorILNS1_17partition_subalgoE8ElNS0_10empty_typeEbEEZZNS1_14partition_implILS5_8ELb0ES3_jPlPS6_PKS6_NS0_5tupleIJS9_S6_EEENSD_IJSA_SA_EEENS0_18inequality_wrapperIZN2at6native12_GLOBAL__N_124unique_dim_cuda_templateIaEESt5tupleIJNSH_6TensorESM_SM_EERKSM_lbbbEUlllE0_EEPmJS6_EEE10hipError_tPvRmT3_T4_T5_T6_T7_T9_mT8_P12ihipStream_tbDpT10_ENKUlT_T0_E_clISt17integral_constantIbLb0EES1C_EEDaS17_S18_EUlS17_E_NS1_11comp_targetILNS1_3genE9ELNS1_11target_archE1100ELNS1_3gpuE3ELNS1_3repE0EEENS1_30default_config_static_selectorELNS0_4arch9wavefront6targetE0EEEvT1_, .Lfunc_end325-_ZN7rocprim17ROCPRIM_400000_NS6detail17trampoline_kernelINS0_14default_configENS1_25partition_config_selectorILNS1_17partition_subalgoE8ElNS0_10empty_typeEbEEZZNS1_14partition_implILS5_8ELb0ES3_jPlPS6_PKS6_NS0_5tupleIJS9_S6_EEENSD_IJSA_SA_EEENS0_18inequality_wrapperIZN2at6native12_GLOBAL__N_124unique_dim_cuda_templateIaEESt5tupleIJNSH_6TensorESM_SM_EERKSM_lbbbEUlllE0_EEPmJS6_EEE10hipError_tPvRmT3_T4_T5_T6_T7_T9_mT8_P12ihipStream_tbDpT10_ENKUlT_T0_E_clISt17integral_constantIbLb0EES1C_EEDaS17_S18_EUlS17_E_NS1_11comp_targetILNS1_3genE9ELNS1_11target_archE1100ELNS1_3gpuE3ELNS1_3repE0EEENS1_30default_config_static_selectorELNS0_4arch9wavefront6targetE0EEEvT1_
                                        ; -- End function
	.set _ZN7rocprim17ROCPRIM_400000_NS6detail17trampoline_kernelINS0_14default_configENS1_25partition_config_selectorILNS1_17partition_subalgoE8ElNS0_10empty_typeEbEEZZNS1_14partition_implILS5_8ELb0ES3_jPlPS6_PKS6_NS0_5tupleIJS9_S6_EEENSD_IJSA_SA_EEENS0_18inequality_wrapperIZN2at6native12_GLOBAL__N_124unique_dim_cuda_templateIaEESt5tupleIJNSH_6TensorESM_SM_EERKSM_lbbbEUlllE0_EEPmJS6_EEE10hipError_tPvRmT3_T4_T5_T6_T7_T9_mT8_P12ihipStream_tbDpT10_ENKUlT_T0_E_clISt17integral_constantIbLb0EES1C_EEDaS17_S18_EUlS17_E_NS1_11comp_targetILNS1_3genE9ELNS1_11target_archE1100ELNS1_3gpuE3ELNS1_3repE0EEENS1_30default_config_static_selectorELNS0_4arch9wavefront6targetE0EEEvT1_.num_vgpr, 0
	.set _ZN7rocprim17ROCPRIM_400000_NS6detail17trampoline_kernelINS0_14default_configENS1_25partition_config_selectorILNS1_17partition_subalgoE8ElNS0_10empty_typeEbEEZZNS1_14partition_implILS5_8ELb0ES3_jPlPS6_PKS6_NS0_5tupleIJS9_S6_EEENSD_IJSA_SA_EEENS0_18inequality_wrapperIZN2at6native12_GLOBAL__N_124unique_dim_cuda_templateIaEESt5tupleIJNSH_6TensorESM_SM_EERKSM_lbbbEUlllE0_EEPmJS6_EEE10hipError_tPvRmT3_T4_T5_T6_T7_T9_mT8_P12ihipStream_tbDpT10_ENKUlT_T0_E_clISt17integral_constantIbLb0EES1C_EEDaS17_S18_EUlS17_E_NS1_11comp_targetILNS1_3genE9ELNS1_11target_archE1100ELNS1_3gpuE3ELNS1_3repE0EEENS1_30default_config_static_selectorELNS0_4arch9wavefront6targetE0EEEvT1_.num_agpr, 0
	.set _ZN7rocprim17ROCPRIM_400000_NS6detail17trampoline_kernelINS0_14default_configENS1_25partition_config_selectorILNS1_17partition_subalgoE8ElNS0_10empty_typeEbEEZZNS1_14partition_implILS5_8ELb0ES3_jPlPS6_PKS6_NS0_5tupleIJS9_S6_EEENSD_IJSA_SA_EEENS0_18inequality_wrapperIZN2at6native12_GLOBAL__N_124unique_dim_cuda_templateIaEESt5tupleIJNSH_6TensorESM_SM_EERKSM_lbbbEUlllE0_EEPmJS6_EEE10hipError_tPvRmT3_T4_T5_T6_T7_T9_mT8_P12ihipStream_tbDpT10_ENKUlT_T0_E_clISt17integral_constantIbLb0EES1C_EEDaS17_S18_EUlS17_E_NS1_11comp_targetILNS1_3genE9ELNS1_11target_archE1100ELNS1_3gpuE3ELNS1_3repE0EEENS1_30default_config_static_selectorELNS0_4arch9wavefront6targetE0EEEvT1_.numbered_sgpr, 0
	.set _ZN7rocprim17ROCPRIM_400000_NS6detail17trampoline_kernelINS0_14default_configENS1_25partition_config_selectorILNS1_17partition_subalgoE8ElNS0_10empty_typeEbEEZZNS1_14partition_implILS5_8ELb0ES3_jPlPS6_PKS6_NS0_5tupleIJS9_S6_EEENSD_IJSA_SA_EEENS0_18inequality_wrapperIZN2at6native12_GLOBAL__N_124unique_dim_cuda_templateIaEESt5tupleIJNSH_6TensorESM_SM_EERKSM_lbbbEUlllE0_EEPmJS6_EEE10hipError_tPvRmT3_T4_T5_T6_T7_T9_mT8_P12ihipStream_tbDpT10_ENKUlT_T0_E_clISt17integral_constantIbLb0EES1C_EEDaS17_S18_EUlS17_E_NS1_11comp_targetILNS1_3genE9ELNS1_11target_archE1100ELNS1_3gpuE3ELNS1_3repE0EEENS1_30default_config_static_selectorELNS0_4arch9wavefront6targetE0EEEvT1_.num_named_barrier, 0
	.set _ZN7rocprim17ROCPRIM_400000_NS6detail17trampoline_kernelINS0_14default_configENS1_25partition_config_selectorILNS1_17partition_subalgoE8ElNS0_10empty_typeEbEEZZNS1_14partition_implILS5_8ELb0ES3_jPlPS6_PKS6_NS0_5tupleIJS9_S6_EEENSD_IJSA_SA_EEENS0_18inequality_wrapperIZN2at6native12_GLOBAL__N_124unique_dim_cuda_templateIaEESt5tupleIJNSH_6TensorESM_SM_EERKSM_lbbbEUlllE0_EEPmJS6_EEE10hipError_tPvRmT3_T4_T5_T6_T7_T9_mT8_P12ihipStream_tbDpT10_ENKUlT_T0_E_clISt17integral_constantIbLb0EES1C_EEDaS17_S18_EUlS17_E_NS1_11comp_targetILNS1_3genE9ELNS1_11target_archE1100ELNS1_3gpuE3ELNS1_3repE0EEENS1_30default_config_static_selectorELNS0_4arch9wavefront6targetE0EEEvT1_.private_seg_size, 0
	.set _ZN7rocprim17ROCPRIM_400000_NS6detail17trampoline_kernelINS0_14default_configENS1_25partition_config_selectorILNS1_17partition_subalgoE8ElNS0_10empty_typeEbEEZZNS1_14partition_implILS5_8ELb0ES3_jPlPS6_PKS6_NS0_5tupleIJS9_S6_EEENSD_IJSA_SA_EEENS0_18inequality_wrapperIZN2at6native12_GLOBAL__N_124unique_dim_cuda_templateIaEESt5tupleIJNSH_6TensorESM_SM_EERKSM_lbbbEUlllE0_EEPmJS6_EEE10hipError_tPvRmT3_T4_T5_T6_T7_T9_mT8_P12ihipStream_tbDpT10_ENKUlT_T0_E_clISt17integral_constantIbLb0EES1C_EEDaS17_S18_EUlS17_E_NS1_11comp_targetILNS1_3genE9ELNS1_11target_archE1100ELNS1_3gpuE3ELNS1_3repE0EEENS1_30default_config_static_selectorELNS0_4arch9wavefront6targetE0EEEvT1_.uses_vcc, 0
	.set _ZN7rocprim17ROCPRIM_400000_NS6detail17trampoline_kernelINS0_14default_configENS1_25partition_config_selectorILNS1_17partition_subalgoE8ElNS0_10empty_typeEbEEZZNS1_14partition_implILS5_8ELb0ES3_jPlPS6_PKS6_NS0_5tupleIJS9_S6_EEENSD_IJSA_SA_EEENS0_18inequality_wrapperIZN2at6native12_GLOBAL__N_124unique_dim_cuda_templateIaEESt5tupleIJNSH_6TensorESM_SM_EERKSM_lbbbEUlllE0_EEPmJS6_EEE10hipError_tPvRmT3_T4_T5_T6_T7_T9_mT8_P12ihipStream_tbDpT10_ENKUlT_T0_E_clISt17integral_constantIbLb0EES1C_EEDaS17_S18_EUlS17_E_NS1_11comp_targetILNS1_3genE9ELNS1_11target_archE1100ELNS1_3gpuE3ELNS1_3repE0EEENS1_30default_config_static_selectorELNS0_4arch9wavefront6targetE0EEEvT1_.uses_flat_scratch, 0
	.set _ZN7rocprim17ROCPRIM_400000_NS6detail17trampoline_kernelINS0_14default_configENS1_25partition_config_selectorILNS1_17partition_subalgoE8ElNS0_10empty_typeEbEEZZNS1_14partition_implILS5_8ELb0ES3_jPlPS6_PKS6_NS0_5tupleIJS9_S6_EEENSD_IJSA_SA_EEENS0_18inequality_wrapperIZN2at6native12_GLOBAL__N_124unique_dim_cuda_templateIaEESt5tupleIJNSH_6TensorESM_SM_EERKSM_lbbbEUlllE0_EEPmJS6_EEE10hipError_tPvRmT3_T4_T5_T6_T7_T9_mT8_P12ihipStream_tbDpT10_ENKUlT_T0_E_clISt17integral_constantIbLb0EES1C_EEDaS17_S18_EUlS17_E_NS1_11comp_targetILNS1_3genE9ELNS1_11target_archE1100ELNS1_3gpuE3ELNS1_3repE0EEENS1_30default_config_static_selectorELNS0_4arch9wavefront6targetE0EEEvT1_.has_dyn_sized_stack, 0
	.set _ZN7rocprim17ROCPRIM_400000_NS6detail17trampoline_kernelINS0_14default_configENS1_25partition_config_selectorILNS1_17partition_subalgoE8ElNS0_10empty_typeEbEEZZNS1_14partition_implILS5_8ELb0ES3_jPlPS6_PKS6_NS0_5tupleIJS9_S6_EEENSD_IJSA_SA_EEENS0_18inequality_wrapperIZN2at6native12_GLOBAL__N_124unique_dim_cuda_templateIaEESt5tupleIJNSH_6TensorESM_SM_EERKSM_lbbbEUlllE0_EEPmJS6_EEE10hipError_tPvRmT3_T4_T5_T6_T7_T9_mT8_P12ihipStream_tbDpT10_ENKUlT_T0_E_clISt17integral_constantIbLb0EES1C_EEDaS17_S18_EUlS17_E_NS1_11comp_targetILNS1_3genE9ELNS1_11target_archE1100ELNS1_3gpuE3ELNS1_3repE0EEENS1_30default_config_static_selectorELNS0_4arch9wavefront6targetE0EEEvT1_.has_recursion, 0
	.set _ZN7rocprim17ROCPRIM_400000_NS6detail17trampoline_kernelINS0_14default_configENS1_25partition_config_selectorILNS1_17partition_subalgoE8ElNS0_10empty_typeEbEEZZNS1_14partition_implILS5_8ELb0ES3_jPlPS6_PKS6_NS0_5tupleIJS9_S6_EEENSD_IJSA_SA_EEENS0_18inequality_wrapperIZN2at6native12_GLOBAL__N_124unique_dim_cuda_templateIaEESt5tupleIJNSH_6TensorESM_SM_EERKSM_lbbbEUlllE0_EEPmJS6_EEE10hipError_tPvRmT3_T4_T5_T6_T7_T9_mT8_P12ihipStream_tbDpT10_ENKUlT_T0_E_clISt17integral_constantIbLb0EES1C_EEDaS17_S18_EUlS17_E_NS1_11comp_targetILNS1_3genE9ELNS1_11target_archE1100ELNS1_3gpuE3ELNS1_3repE0EEENS1_30default_config_static_selectorELNS0_4arch9wavefront6targetE0EEEvT1_.has_indirect_call, 0
	.section	.AMDGPU.csdata,"",@progbits
; Kernel info:
; codeLenInByte = 0
; TotalNumSgprs: 0
; NumVgprs: 0
; ScratchSize: 0
; MemoryBound: 0
; FloatMode: 240
; IeeeMode: 1
; LDSByteSize: 0 bytes/workgroup (compile time only)
; SGPRBlocks: 0
; VGPRBlocks: 0
; NumSGPRsForWavesPerEU: 1
; NumVGPRsForWavesPerEU: 1
; NamedBarCnt: 0
; Occupancy: 16
; WaveLimiterHint : 0
; COMPUTE_PGM_RSRC2:SCRATCH_EN: 0
; COMPUTE_PGM_RSRC2:USER_SGPR: 2
; COMPUTE_PGM_RSRC2:TRAP_HANDLER: 0
; COMPUTE_PGM_RSRC2:TGID_X_EN: 1
; COMPUTE_PGM_RSRC2:TGID_Y_EN: 0
; COMPUTE_PGM_RSRC2:TGID_Z_EN: 0
; COMPUTE_PGM_RSRC2:TIDIG_COMP_CNT: 0
	.section	.text._ZN7rocprim17ROCPRIM_400000_NS6detail17trampoline_kernelINS0_14default_configENS1_25partition_config_selectorILNS1_17partition_subalgoE8ElNS0_10empty_typeEbEEZZNS1_14partition_implILS5_8ELb0ES3_jPlPS6_PKS6_NS0_5tupleIJS9_S6_EEENSD_IJSA_SA_EEENS0_18inequality_wrapperIZN2at6native12_GLOBAL__N_124unique_dim_cuda_templateIaEESt5tupleIJNSH_6TensorESM_SM_EERKSM_lbbbEUlllE0_EEPmJS6_EEE10hipError_tPvRmT3_T4_T5_T6_T7_T9_mT8_P12ihipStream_tbDpT10_ENKUlT_T0_E_clISt17integral_constantIbLb0EES1C_EEDaS17_S18_EUlS17_E_NS1_11comp_targetILNS1_3genE8ELNS1_11target_archE1030ELNS1_3gpuE2ELNS1_3repE0EEENS1_30default_config_static_selectorELNS0_4arch9wavefront6targetE0EEEvT1_,"axG",@progbits,_ZN7rocprim17ROCPRIM_400000_NS6detail17trampoline_kernelINS0_14default_configENS1_25partition_config_selectorILNS1_17partition_subalgoE8ElNS0_10empty_typeEbEEZZNS1_14partition_implILS5_8ELb0ES3_jPlPS6_PKS6_NS0_5tupleIJS9_S6_EEENSD_IJSA_SA_EEENS0_18inequality_wrapperIZN2at6native12_GLOBAL__N_124unique_dim_cuda_templateIaEESt5tupleIJNSH_6TensorESM_SM_EERKSM_lbbbEUlllE0_EEPmJS6_EEE10hipError_tPvRmT3_T4_T5_T6_T7_T9_mT8_P12ihipStream_tbDpT10_ENKUlT_T0_E_clISt17integral_constantIbLb0EES1C_EEDaS17_S18_EUlS17_E_NS1_11comp_targetILNS1_3genE8ELNS1_11target_archE1030ELNS1_3gpuE2ELNS1_3repE0EEENS1_30default_config_static_selectorELNS0_4arch9wavefront6targetE0EEEvT1_,comdat
	.globl	_ZN7rocprim17ROCPRIM_400000_NS6detail17trampoline_kernelINS0_14default_configENS1_25partition_config_selectorILNS1_17partition_subalgoE8ElNS0_10empty_typeEbEEZZNS1_14partition_implILS5_8ELb0ES3_jPlPS6_PKS6_NS0_5tupleIJS9_S6_EEENSD_IJSA_SA_EEENS0_18inequality_wrapperIZN2at6native12_GLOBAL__N_124unique_dim_cuda_templateIaEESt5tupleIJNSH_6TensorESM_SM_EERKSM_lbbbEUlllE0_EEPmJS6_EEE10hipError_tPvRmT3_T4_T5_T6_T7_T9_mT8_P12ihipStream_tbDpT10_ENKUlT_T0_E_clISt17integral_constantIbLb0EES1C_EEDaS17_S18_EUlS17_E_NS1_11comp_targetILNS1_3genE8ELNS1_11target_archE1030ELNS1_3gpuE2ELNS1_3repE0EEENS1_30default_config_static_selectorELNS0_4arch9wavefront6targetE0EEEvT1_ ; -- Begin function _ZN7rocprim17ROCPRIM_400000_NS6detail17trampoline_kernelINS0_14default_configENS1_25partition_config_selectorILNS1_17partition_subalgoE8ElNS0_10empty_typeEbEEZZNS1_14partition_implILS5_8ELb0ES3_jPlPS6_PKS6_NS0_5tupleIJS9_S6_EEENSD_IJSA_SA_EEENS0_18inequality_wrapperIZN2at6native12_GLOBAL__N_124unique_dim_cuda_templateIaEESt5tupleIJNSH_6TensorESM_SM_EERKSM_lbbbEUlllE0_EEPmJS6_EEE10hipError_tPvRmT3_T4_T5_T6_T7_T9_mT8_P12ihipStream_tbDpT10_ENKUlT_T0_E_clISt17integral_constantIbLb0EES1C_EEDaS17_S18_EUlS17_E_NS1_11comp_targetILNS1_3genE8ELNS1_11target_archE1030ELNS1_3gpuE2ELNS1_3repE0EEENS1_30default_config_static_selectorELNS0_4arch9wavefront6targetE0EEEvT1_
	.p2align	8
	.type	_ZN7rocprim17ROCPRIM_400000_NS6detail17trampoline_kernelINS0_14default_configENS1_25partition_config_selectorILNS1_17partition_subalgoE8ElNS0_10empty_typeEbEEZZNS1_14partition_implILS5_8ELb0ES3_jPlPS6_PKS6_NS0_5tupleIJS9_S6_EEENSD_IJSA_SA_EEENS0_18inequality_wrapperIZN2at6native12_GLOBAL__N_124unique_dim_cuda_templateIaEESt5tupleIJNSH_6TensorESM_SM_EERKSM_lbbbEUlllE0_EEPmJS6_EEE10hipError_tPvRmT3_T4_T5_T6_T7_T9_mT8_P12ihipStream_tbDpT10_ENKUlT_T0_E_clISt17integral_constantIbLb0EES1C_EEDaS17_S18_EUlS17_E_NS1_11comp_targetILNS1_3genE8ELNS1_11target_archE1030ELNS1_3gpuE2ELNS1_3repE0EEENS1_30default_config_static_selectorELNS0_4arch9wavefront6targetE0EEEvT1_,@function
_ZN7rocprim17ROCPRIM_400000_NS6detail17trampoline_kernelINS0_14default_configENS1_25partition_config_selectorILNS1_17partition_subalgoE8ElNS0_10empty_typeEbEEZZNS1_14partition_implILS5_8ELb0ES3_jPlPS6_PKS6_NS0_5tupleIJS9_S6_EEENSD_IJSA_SA_EEENS0_18inequality_wrapperIZN2at6native12_GLOBAL__N_124unique_dim_cuda_templateIaEESt5tupleIJNSH_6TensorESM_SM_EERKSM_lbbbEUlllE0_EEPmJS6_EEE10hipError_tPvRmT3_T4_T5_T6_T7_T9_mT8_P12ihipStream_tbDpT10_ENKUlT_T0_E_clISt17integral_constantIbLb0EES1C_EEDaS17_S18_EUlS17_E_NS1_11comp_targetILNS1_3genE8ELNS1_11target_archE1030ELNS1_3gpuE2ELNS1_3repE0EEENS1_30default_config_static_selectorELNS0_4arch9wavefront6targetE0EEEvT1_: ; @_ZN7rocprim17ROCPRIM_400000_NS6detail17trampoline_kernelINS0_14default_configENS1_25partition_config_selectorILNS1_17partition_subalgoE8ElNS0_10empty_typeEbEEZZNS1_14partition_implILS5_8ELb0ES3_jPlPS6_PKS6_NS0_5tupleIJS9_S6_EEENSD_IJSA_SA_EEENS0_18inequality_wrapperIZN2at6native12_GLOBAL__N_124unique_dim_cuda_templateIaEESt5tupleIJNSH_6TensorESM_SM_EERKSM_lbbbEUlllE0_EEPmJS6_EEE10hipError_tPvRmT3_T4_T5_T6_T7_T9_mT8_P12ihipStream_tbDpT10_ENKUlT_T0_E_clISt17integral_constantIbLb0EES1C_EEDaS17_S18_EUlS17_E_NS1_11comp_targetILNS1_3genE8ELNS1_11target_archE1030ELNS1_3gpuE2ELNS1_3repE0EEENS1_30default_config_static_selectorELNS0_4arch9wavefront6targetE0EEEvT1_
; %bb.0:
	.section	.rodata,"a",@progbits
	.p2align	6, 0x0
	.amdhsa_kernel _ZN7rocprim17ROCPRIM_400000_NS6detail17trampoline_kernelINS0_14default_configENS1_25partition_config_selectorILNS1_17partition_subalgoE8ElNS0_10empty_typeEbEEZZNS1_14partition_implILS5_8ELb0ES3_jPlPS6_PKS6_NS0_5tupleIJS9_S6_EEENSD_IJSA_SA_EEENS0_18inequality_wrapperIZN2at6native12_GLOBAL__N_124unique_dim_cuda_templateIaEESt5tupleIJNSH_6TensorESM_SM_EERKSM_lbbbEUlllE0_EEPmJS6_EEE10hipError_tPvRmT3_T4_T5_T6_T7_T9_mT8_P12ihipStream_tbDpT10_ENKUlT_T0_E_clISt17integral_constantIbLb0EES1C_EEDaS17_S18_EUlS17_E_NS1_11comp_targetILNS1_3genE8ELNS1_11target_archE1030ELNS1_3gpuE2ELNS1_3repE0EEENS1_30default_config_static_selectorELNS0_4arch9wavefront6targetE0EEEvT1_
		.amdhsa_group_segment_fixed_size 0
		.amdhsa_private_segment_fixed_size 0
		.amdhsa_kernarg_size 120
		.amdhsa_user_sgpr_count 2
		.amdhsa_user_sgpr_dispatch_ptr 0
		.amdhsa_user_sgpr_queue_ptr 0
		.amdhsa_user_sgpr_kernarg_segment_ptr 1
		.amdhsa_user_sgpr_dispatch_id 0
		.amdhsa_user_sgpr_kernarg_preload_length 0
		.amdhsa_user_sgpr_kernarg_preload_offset 0
		.amdhsa_user_sgpr_private_segment_size 0
		.amdhsa_wavefront_size32 1
		.amdhsa_uses_dynamic_stack 0
		.amdhsa_enable_private_segment 0
		.amdhsa_system_sgpr_workgroup_id_x 1
		.amdhsa_system_sgpr_workgroup_id_y 0
		.amdhsa_system_sgpr_workgroup_id_z 0
		.amdhsa_system_sgpr_workgroup_info 0
		.amdhsa_system_vgpr_workitem_id 0
		.amdhsa_next_free_vgpr 1
		.amdhsa_next_free_sgpr 1
		.amdhsa_named_barrier_count 0
		.amdhsa_reserve_vcc 0
		.amdhsa_float_round_mode_32 0
		.amdhsa_float_round_mode_16_64 0
		.amdhsa_float_denorm_mode_32 3
		.amdhsa_float_denorm_mode_16_64 3
		.amdhsa_fp16_overflow 0
		.amdhsa_memory_ordered 1
		.amdhsa_forward_progress 1
		.amdhsa_inst_pref_size 0
		.amdhsa_round_robin_scheduling 0
		.amdhsa_exception_fp_ieee_invalid_op 0
		.amdhsa_exception_fp_denorm_src 0
		.amdhsa_exception_fp_ieee_div_zero 0
		.amdhsa_exception_fp_ieee_overflow 0
		.amdhsa_exception_fp_ieee_underflow 0
		.amdhsa_exception_fp_ieee_inexact 0
		.amdhsa_exception_int_div_zero 0
	.end_amdhsa_kernel
	.section	.text._ZN7rocprim17ROCPRIM_400000_NS6detail17trampoline_kernelINS0_14default_configENS1_25partition_config_selectorILNS1_17partition_subalgoE8ElNS0_10empty_typeEbEEZZNS1_14partition_implILS5_8ELb0ES3_jPlPS6_PKS6_NS0_5tupleIJS9_S6_EEENSD_IJSA_SA_EEENS0_18inequality_wrapperIZN2at6native12_GLOBAL__N_124unique_dim_cuda_templateIaEESt5tupleIJNSH_6TensorESM_SM_EERKSM_lbbbEUlllE0_EEPmJS6_EEE10hipError_tPvRmT3_T4_T5_T6_T7_T9_mT8_P12ihipStream_tbDpT10_ENKUlT_T0_E_clISt17integral_constantIbLb0EES1C_EEDaS17_S18_EUlS17_E_NS1_11comp_targetILNS1_3genE8ELNS1_11target_archE1030ELNS1_3gpuE2ELNS1_3repE0EEENS1_30default_config_static_selectorELNS0_4arch9wavefront6targetE0EEEvT1_,"axG",@progbits,_ZN7rocprim17ROCPRIM_400000_NS6detail17trampoline_kernelINS0_14default_configENS1_25partition_config_selectorILNS1_17partition_subalgoE8ElNS0_10empty_typeEbEEZZNS1_14partition_implILS5_8ELb0ES3_jPlPS6_PKS6_NS0_5tupleIJS9_S6_EEENSD_IJSA_SA_EEENS0_18inequality_wrapperIZN2at6native12_GLOBAL__N_124unique_dim_cuda_templateIaEESt5tupleIJNSH_6TensorESM_SM_EERKSM_lbbbEUlllE0_EEPmJS6_EEE10hipError_tPvRmT3_T4_T5_T6_T7_T9_mT8_P12ihipStream_tbDpT10_ENKUlT_T0_E_clISt17integral_constantIbLb0EES1C_EEDaS17_S18_EUlS17_E_NS1_11comp_targetILNS1_3genE8ELNS1_11target_archE1030ELNS1_3gpuE2ELNS1_3repE0EEENS1_30default_config_static_selectorELNS0_4arch9wavefront6targetE0EEEvT1_,comdat
.Lfunc_end326:
	.size	_ZN7rocprim17ROCPRIM_400000_NS6detail17trampoline_kernelINS0_14default_configENS1_25partition_config_selectorILNS1_17partition_subalgoE8ElNS0_10empty_typeEbEEZZNS1_14partition_implILS5_8ELb0ES3_jPlPS6_PKS6_NS0_5tupleIJS9_S6_EEENSD_IJSA_SA_EEENS0_18inequality_wrapperIZN2at6native12_GLOBAL__N_124unique_dim_cuda_templateIaEESt5tupleIJNSH_6TensorESM_SM_EERKSM_lbbbEUlllE0_EEPmJS6_EEE10hipError_tPvRmT3_T4_T5_T6_T7_T9_mT8_P12ihipStream_tbDpT10_ENKUlT_T0_E_clISt17integral_constantIbLb0EES1C_EEDaS17_S18_EUlS17_E_NS1_11comp_targetILNS1_3genE8ELNS1_11target_archE1030ELNS1_3gpuE2ELNS1_3repE0EEENS1_30default_config_static_selectorELNS0_4arch9wavefront6targetE0EEEvT1_, .Lfunc_end326-_ZN7rocprim17ROCPRIM_400000_NS6detail17trampoline_kernelINS0_14default_configENS1_25partition_config_selectorILNS1_17partition_subalgoE8ElNS0_10empty_typeEbEEZZNS1_14partition_implILS5_8ELb0ES3_jPlPS6_PKS6_NS0_5tupleIJS9_S6_EEENSD_IJSA_SA_EEENS0_18inequality_wrapperIZN2at6native12_GLOBAL__N_124unique_dim_cuda_templateIaEESt5tupleIJNSH_6TensorESM_SM_EERKSM_lbbbEUlllE0_EEPmJS6_EEE10hipError_tPvRmT3_T4_T5_T6_T7_T9_mT8_P12ihipStream_tbDpT10_ENKUlT_T0_E_clISt17integral_constantIbLb0EES1C_EEDaS17_S18_EUlS17_E_NS1_11comp_targetILNS1_3genE8ELNS1_11target_archE1030ELNS1_3gpuE2ELNS1_3repE0EEENS1_30default_config_static_selectorELNS0_4arch9wavefront6targetE0EEEvT1_
                                        ; -- End function
	.set _ZN7rocprim17ROCPRIM_400000_NS6detail17trampoline_kernelINS0_14default_configENS1_25partition_config_selectorILNS1_17partition_subalgoE8ElNS0_10empty_typeEbEEZZNS1_14partition_implILS5_8ELb0ES3_jPlPS6_PKS6_NS0_5tupleIJS9_S6_EEENSD_IJSA_SA_EEENS0_18inequality_wrapperIZN2at6native12_GLOBAL__N_124unique_dim_cuda_templateIaEESt5tupleIJNSH_6TensorESM_SM_EERKSM_lbbbEUlllE0_EEPmJS6_EEE10hipError_tPvRmT3_T4_T5_T6_T7_T9_mT8_P12ihipStream_tbDpT10_ENKUlT_T0_E_clISt17integral_constantIbLb0EES1C_EEDaS17_S18_EUlS17_E_NS1_11comp_targetILNS1_3genE8ELNS1_11target_archE1030ELNS1_3gpuE2ELNS1_3repE0EEENS1_30default_config_static_selectorELNS0_4arch9wavefront6targetE0EEEvT1_.num_vgpr, 0
	.set _ZN7rocprim17ROCPRIM_400000_NS6detail17trampoline_kernelINS0_14default_configENS1_25partition_config_selectorILNS1_17partition_subalgoE8ElNS0_10empty_typeEbEEZZNS1_14partition_implILS5_8ELb0ES3_jPlPS6_PKS6_NS0_5tupleIJS9_S6_EEENSD_IJSA_SA_EEENS0_18inequality_wrapperIZN2at6native12_GLOBAL__N_124unique_dim_cuda_templateIaEESt5tupleIJNSH_6TensorESM_SM_EERKSM_lbbbEUlllE0_EEPmJS6_EEE10hipError_tPvRmT3_T4_T5_T6_T7_T9_mT8_P12ihipStream_tbDpT10_ENKUlT_T0_E_clISt17integral_constantIbLb0EES1C_EEDaS17_S18_EUlS17_E_NS1_11comp_targetILNS1_3genE8ELNS1_11target_archE1030ELNS1_3gpuE2ELNS1_3repE0EEENS1_30default_config_static_selectorELNS0_4arch9wavefront6targetE0EEEvT1_.num_agpr, 0
	.set _ZN7rocprim17ROCPRIM_400000_NS6detail17trampoline_kernelINS0_14default_configENS1_25partition_config_selectorILNS1_17partition_subalgoE8ElNS0_10empty_typeEbEEZZNS1_14partition_implILS5_8ELb0ES3_jPlPS6_PKS6_NS0_5tupleIJS9_S6_EEENSD_IJSA_SA_EEENS0_18inequality_wrapperIZN2at6native12_GLOBAL__N_124unique_dim_cuda_templateIaEESt5tupleIJNSH_6TensorESM_SM_EERKSM_lbbbEUlllE0_EEPmJS6_EEE10hipError_tPvRmT3_T4_T5_T6_T7_T9_mT8_P12ihipStream_tbDpT10_ENKUlT_T0_E_clISt17integral_constantIbLb0EES1C_EEDaS17_S18_EUlS17_E_NS1_11comp_targetILNS1_3genE8ELNS1_11target_archE1030ELNS1_3gpuE2ELNS1_3repE0EEENS1_30default_config_static_selectorELNS0_4arch9wavefront6targetE0EEEvT1_.numbered_sgpr, 0
	.set _ZN7rocprim17ROCPRIM_400000_NS6detail17trampoline_kernelINS0_14default_configENS1_25partition_config_selectorILNS1_17partition_subalgoE8ElNS0_10empty_typeEbEEZZNS1_14partition_implILS5_8ELb0ES3_jPlPS6_PKS6_NS0_5tupleIJS9_S6_EEENSD_IJSA_SA_EEENS0_18inequality_wrapperIZN2at6native12_GLOBAL__N_124unique_dim_cuda_templateIaEESt5tupleIJNSH_6TensorESM_SM_EERKSM_lbbbEUlllE0_EEPmJS6_EEE10hipError_tPvRmT3_T4_T5_T6_T7_T9_mT8_P12ihipStream_tbDpT10_ENKUlT_T0_E_clISt17integral_constantIbLb0EES1C_EEDaS17_S18_EUlS17_E_NS1_11comp_targetILNS1_3genE8ELNS1_11target_archE1030ELNS1_3gpuE2ELNS1_3repE0EEENS1_30default_config_static_selectorELNS0_4arch9wavefront6targetE0EEEvT1_.num_named_barrier, 0
	.set _ZN7rocprim17ROCPRIM_400000_NS6detail17trampoline_kernelINS0_14default_configENS1_25partition_config_selectorILNS1_17partition_subalgoE8ElNS0_10empty_typeEbEEZZNS1_14partition_implILS5_8ELb0ES3_jPlPS6_PKS6_NS0_5tupleIJS9_S6_EEENSD_IJSA_SA_EEENS0_18inequality_wrapperIZN2at6native12_GLOBAL__N_124unique_dim_cuda_templateIaEESt5tupleIJNSH_6TensorESM_SM_EERKSM_lbbbEUlllE0_EEPmJS6_EEE10hipError_tPvRmT3_T4_T5_T6_T7_T9_mT8_P12ihipStream_tbDpT10_ENKUlT_T0_E_clISt17integral_constantIbLb0EES1C_EEDaS17_S18_EUlS17_E_NS1_11comp_targetILNS1_3genE8ELNS1_11target_archE1030ELNS1_3gpuE2ELNS1_3repE0EEENS1_30default_config_static_selectorELNS0_4arch9wavefront6targetE0EEEvT1_.private_seg_size, 0
	.set _ZN7rocprim17ROCPRIM_400000_NS6detail17trampoline_kernelINS0_14default_configENS1_25partition_config_selectorILNS1_17partition_subalgoE8ElNS0_10empty_typeEbEEZZNS1_14partition_implILS5_8ELb0ES3_jPlPS6_PKS6_NS0_5tupleIJS9_S6_EEENSD_IJSA_SA_EEENS0_18inequality_wrapperIZN2at6native12_GLOBAL__N_124unique_dim_cuda_templateIaEESt5tupleIJNSH_6TensorESM_SM_EERKSM_lbbbEUlllE0_EEPmJS6_EEE10hipError_tPvRmT3_T4_T5_T6_T7_T9_mT8_P12ihipStream_tbDpT10_ENKUlT_T0_E_clISt17integral_constantIbLb0EES1C_EEDaS17_S18_EUlS17_E_NS1_11comp_targetILNS1_3genE8ELNS1_11target_archE1030ELNS1_3gpuE2ELNS1_3repE0EEENS1_30default_config_static_selectorELNS0_4arch9wavefront6targetE0EEEvT1_.uses_vcc, 0
	.set _ZN7rocprim17ROCPRIM_400000_NS6detail17trampoline_kernelINS0_14default_configENS1_25partition_config_selectorILNS1_17partition_subalgoE8ElNS0_10empty_typeEbEEZZNS1_14partition_implILS5_8ELb0ES3_jPlPS6_PKS6_NS0_5tupleIJS9_S6_EEENSD_IJSA_SA_EEENS0_18inequality_wrapperIZN2at6native12_GLOBAL__N_124unique_dim_cuda_templateIaEESt5tupleIJNSH_6TensorESM_SM_EERKSM_lbbbEUlllE0_EEPmJS6_EEE10hipError_tPvRmT3_T4_T5_T6_T7_T9_mT8_P12ihipStream_tbDpT10_ENKUlT_T0_E_clISt17integral_constantIbLb0EES1C_EEDaS17_S18_EUlS17_E_NS1_11comp_targetILNS1_3genE8ELNS1_11target_archE1030ELNS1_3gpuE2ELNS1_3repE0EEENS1_30default_config_static_selectorELNS0_4arch9wavefront6targetE0EEEvT1_.uses_flat_scratch, 0
	.set _ZN7rocprim17ROCPRIM_400000_NS6detail17trampoline_kernelINS0_14default_configENS1_25partition_config_selectorILNS1_17partition_subalgoE8ElNS0_10empty_typeEbEEZZNS1_14partition_implILS5_8ELb0ES3_jPlPS6_PKS6_NS0_5tupleIJS9_S6_EEENSD_IJSA_SA_EEENS0_18inequality_wrapperIZN2at6native12_GLOBAL__N_124unique_dim_cuda_templateIaEESt5tupleIJNSH_6TensorESM_SM_EERKSM_lbbbEUlllE0_EEPmJS6_EEE10hipError_tPvRmT3_T4_T5_T6_T7_T9_mT8_P12ihipStream_tbDpT10_ENKUlT_T0_E_clISt17integral_constantIbLb0EES1C_EEDaS17_S18_EUlS17_E_NS1_11comp_targetILNS1_3genE8ELNS1_11target_archE1030ELNS1_3gpuE2ELNS1_3repE0EEENS1_30default_config_static_selectorELNS0_4arch9wavefront6targetE0EEEvT1_.has_dyn_sized_stack, 0
	.set _ZN7rocprim17ROCPRIM_400000_NS6detail17trampoline_kernelINS0_14default_configENS1_25partition_config_selectorILNS1_17partition_subalgoE8ElNS0_10empty_typeEbEEZZNS1_14partition_implILS5_8ELb0ES3_jPlPS6_PKS6_NS0_5tupleIJS9_S6_EEENSD_IJSA_SA_EEENS0_18inequality_wrapperIZN2at6native12_GLOBAL__N_124unique_dim_cuda_templateIaEESt5tupleIJNSH_6TensorESM_SM_EERKSM_lbbbEUlllE0_EEPmJS6_EEE10hipError_tPvRmT3_T4_T5_T6_T7_T9_mT8_P12ihipStream_tbDpT10_ENKUlT_T0_E_clISt17integral_constantIbLb0EES1C_EEDaS17_S18_EUlS17_E_NS1_11comp_targetILNS1_3genE8ELNS1_11target_archE1030ELNS1_3gpuE2ELNS1_3repE0EEENS1_30default_config_static_selectorELNS0_4arch9wavefront6targetE0EEEvT1_.has_recursion, 0
	.set _ZN7rocprim17ROCPRIM_400000_NS6detail17trampoline_kernelINS0_14default_configENS1_25partition_config_selectorILNS1_17partition_subalgoE8ElNS0_10empty_typeEbEEZZNS1_14partition_implILS5_8ELb0ES3_jPlPS6_PKS6_NS0_5tupleIJS9_S6_EEENSD_IJSA_SA_EEENS0_18inequality_wrapperIZN2at6native12_GLOBAL__N_124unique_dim_cuda_templateIaEESt5tupleIJNSH_6TensorESM_SM_EERKSM_lbbbEUlllE0_EEPmJS6_EEE10hipError_tPvRmT3_T4_T5_T6_T7_T9_mT8_P12ihipStream_tbDpT10_ENKUlT_T0_E_clISt17integral_constantIbLb0EES1C_EEDaS17_S18_EUlS17_E_NS1_11comp_targetILNS1_3genE8ELNS1_11target_archE1030ELNS1_3gpuE2ELNS1_3repE0EEENS1_30default_config_static_selectorELNS0_4arch9wavefront6targetE0EEEvT1_.has_indirect_call, 0
	.section	.AMDGPU.csdata,"",@progbits
; Kernel info:
; codeLenInByte = 0
; TotalNumSgprs: 0
; NumVgprs: 0
; ScratchSize: 0
; MemoryBound: 0
; FloatMode: 240
; IeeeMode: 1
; LDSByteSize: 0 bytes/workgroup (compile time only)
; SGPRBlocks: 0
; VGPRBlocks: 0
; NumSGPRsForWavesPerEU: 1
; NumVGPRsForWavesPerEU: 1
; NamedBarCnt: 0
; Occupancy: 16
; WaveLimiterHint : 0
; COMPUTE_PGM_RSRC2:SCRATCH_EN: 0
; COMPUTE_PGM_RSRC2:USER_SGPR: 2
; COMPUTE_PGM_RSRC2:TRAP_HANDLER: 0
; COMPUTE_PGM_RSRC2:TGID_X_EN: 1
; COMPUTE_PGM_RSRC2:TGID_Y_EN: 0
; COMPUTE_PGM_RSRC2:TGID_Z_EN: 0
; COMPUTE_PGM_RSRC2:TIDIG_COMP_CNT: 0
	.section	.text._ZN7rocprim17ROCPRIM_400000_NS6detail17trampoline_kernelINS0_14default_configENS1_25partition_config_selectorILNS1_17partition_subalgoE8ElNS0_10empty_typeEbEEZZNS1_14partition_implILS5_8ELb0ES3_jPlPS6_PKS6_NS0_5tupleIJS9_S6_EEENSD_IJSA_SA_EEENS0_18inequality_wrapperIZN2at6native12_GLOBAL__N_124unique_dim_cuda_templateIaEESt5tupleIJNSH_6TensorESM_SM_EERKSM_lbbbEUlllE0_EEPmJS6_EEE10hipError_tPvRmT3_T4_T5_T6_T7_T9_mT8_P12ihipStream_tbDpT10_ENKUlT_T0_E_clISt17integral_constantIbLb1EES1C_EEDaS17_S18_EUlS17_E_NS1_11comp_targetILNS1_3genE0ELNS1_11target_archE4294967295ELNS1_3gpuE0ELNS1_3repE0EEENS1_30default_config_static_selectorELNS0_4arch9wavefront6targetE0EEEvT1_,"axG",@progbits,_ZN7rocprim17ROCPRIM_400000_NS6detail17trampoline_kernelINS0_14default_configENS1_25partition_config_selectorILNS1_17partition_subalgoE8ElNS0_10empty_typeEbEEZZNS1_14partition_implILS5_8ELb0ES3_jPlPS6_PKS6_NS0_5tupleIJS9_S6_EEENSD_IJSA_SA_EEENS0_18inequality_wrapperIZN2at6native12_GLOBAL__N_124unique_dim_cuda_templateIaEESt5tupleIJNSH_6TensorESM_SM_EERKSM_lbbbEUlllE0_EEPmJS6_EEE10hipError_tPvRmT3_T4_T5_T6_T7_T9_mT8_P12ihipStream_tbDpT10_ENKUlT_T0_E_clISt17integral_constantIbLb1EES1C_EEDaS17_S18_EUlS17_E_NS1_11comp_targetILNS1_3genE0ELNS1_11target_archE4294967295ELNS1_3gpuE0ELNS1_3repE0EEENS1_30default_config_static_selectorELNS0_4arch9wavefront6targetE0EEEvT1_,comdat
	.globl	_ZN7rocprim17ROCPRIM_400000_NS6detail17trampoline_kernelINS0_14default_configENS1_25partition_config_selectorILNS1_17partition_subalgoE8ElNS0_10empty_typeEbEEZZNS1_14partition_implILS5_8ELb0ES3_jPlPS6_PKS6_NS0_5tupleIJS9_S6_EEENSD_IJSA_SA_EEENS0_18inequality_wrapperIZN2at6native12_GLOBAL__N_124unique_dim_cuda_templateIaEESt5tupleIJNSH_6TensorESM_SM_EERKSM_lbbbEUlllE0_EEPmJS6_EEE10hipError_tPvRmT3_T4_T5_T6_T7_T9_mT8_P12ihipStream_tbDpT10_ENKUlT_T0_E_clISt17integral_constantIbLb1EES1C_EEDaS17_S18_EUlS17_E_NS1_11comp_targetILNS1_3genE0ELNS1_11target_archE4294967295ELNS1_3gpuE0ELNS1_3repE0EEENS1_30default_config_static_selectorELNS0_4arch9wavefront6targetE0EEEvT1_ ; -- Begin function _ZN7rocprim17ROCPRIM_400000_NS6detail17trampoline_kernelINS0_14default_configENS1_25partition_config_selectorILNS1_17partition_subalgoE8ElNS0_10empty_typeEbEEZZNS1_14partition_implILS5_8ELb0ES3_jPlPS6_PKS6_NS0_5tupleIJS9_S6_EEENSD_IJSA_SA_EEENS0_18inequality_wrapperIZN2at6native12_GLOBAL__N_124unique_dim_cuda_templateIaEESt5tupleIJNSH_6TensorESM_SM_EERKSM_lbbbEUlllE0_EEPmJS6_EEE10hipError_tPvRmT3_T4_T5_T6_T7_T9_mT8_P12ihipStream_tbDpT10_ENKUlT_T0_E_clISt17integral_constantIbLb1EES1C_EEDaS17_S18_EUlS17_E_NS1_11comp_targetILNS1_3genE0ELNS1_11target_archE4294967295ELNS1_3gpuE0ELNS1_3repE0EEENS1_30default_config_static_selectorELNS0_4arch9wavefront6targetE0EEEvT1_
	.p2align	8
	.type	_ZN7rocprim17ROCPRIM_400000_NS6detail17trampoline_kernelINS0_14default_configENS1_25partition_config_selectorILNS1_17partition_subalgoE8ElNS0_10empty_typeEbEEZZNS1_14partition_implILS5_8ELb0ES3_jPlPS6_PKS6_NS0_5tupleIJS9_S6_EEENSD_IJSA_SA_EEENS0_18inequality_wrapperIZN2at6native12_GLOBAL__N_124unique_dim_cuda_templateIaEESt5tupleIJNSH_6TensorESM_SM_EERKSM_lbbbEUlllE0_EEPmJS6_EEE10hipError_tPvRmT3_T4_T5_T6_T7_T9_mT8_P12ihipStream_tbDpT10_ENKUlT_T0_E_clISt17integral_constantIbLb1EES1C_EEDaS17_S18_EUlS17_E_NS1_11comp_targetILNS1_3genE0ELNS1_11target_archE4294967295ELNS1_3gpuE0ELNS1_3repE0EEENS1_30default_config_static_selectorELNS0_4arch9wavefront6targetE0EEEvT1_,@function
_ZN7rocprim17ROCPRIM_400000_NS6detail17trampoline_kernelINS0_14default_configENS1_25partition_config_selectorILNS1_17partition_subalgoE8ElNS0_10empty_typeEbEEZZNS1_14partition_implILS5_8ELb0ES3_jPlPS6_PKS6_NS0_5tupleIJS9_S6_EEENSD_IJSA_SA_EEENS0_18inequality_wrapperIZN2at6native12_GLOBAL__N_124unique_dim_cuda_templateIaEESt5tupleIJNSH_6TensorESM_SM_EERKSM_lbbbEUlllE0_EEPmJS6_EEE10hipError_tPvRmT3_T4_T5_T6_T7_T9_mT8_P12ihipStream_tbDpT10_ENKUlT_T0_E_clISt17integral_constantIbLb1EES1C_EEDaS17_S18_EUlS17_E_NS1_11comp_targetILNS1_3genE0ELNS1_11target_archE4294967295ELNS1_3gpuE0ELNS1_3repE0EEENS1_30default_config_static_selectorELNS0_4arch9wavefront6targetE0EEEvT1_: ; @_ZN7rocprim17ROCPRIM_400000_NS6detail17trampoline_kernelINS0_14default_configENS1_25partition_config_selectorILNS1_17partition_subalgoE8ElNS0_10empty_typeEbEEZZNS1_14partition_implILS5_8ELb0ES3_jPlPS6_PKS6_NS0_5tupleIJS9_S6_EEENSD_IJSA_SA_EEENS0_18inequality_wrapperIZN2at6native12_GLOBAL__N_124unique_dim_cuda_templateIaEESt5tupleIJNSH_6TensorESM_SM_EERKSM_lbbbEUlllE0_EEPmJS6_EEE10hipError_tPvRmT3_T4_T5_T6_T7_T9_mT8_P12ihipStream_tbDpT10_ENKUlT_T0_E_clISt17integral_constantIbLb1EES1C_EEDaS17_S18_EUlS17_E_NS1_11comp_targetILNS1_3genE0ELNS1_11target_archE4294967295ELNS1_3gpuE0ELNS1_3repE0EEENS1_30default_config_static_selectorELNS0_4arch9wavefront6targetE0EEEvT1_
; %bb.0:
	s_endpgm
	.section	.rodata,"a",@progbits
	.p2align	6, 0x0
	.amdhsa_kernel _ZN7rocprim17ROCPRIM_400000_NS6detail17trampoline_kernelINS0_14default_configENS1_25partition_config_selectorILNS1_17partition_subalgoE8ElNS0_10empty_typeEbEEZZNS1_14partition_implILS5_8ELb0ES3_jPlPS6_PKS6_NS0_5tupleIJS9_S6_EEENSD_IJSA_SA_EEENS0_18inequality_wrapperIZN2at6native12_GLOBAL__N_124unique_dim_cuda_templateIaEESt5tupleIJNSH_6TensorESM_SM_EERKSM_lbbbEUlllE0_EEPmJS6_EEE10hipError_tPvRmT3_T4_T5_T6_T7_T9_mT8_P12ihipStream_tbDpT10_ENKUlT_T0_E_clISt17integral_constantIbLb1EES1C_EEDaS17_S18_EUlS17_E_NS1_11comp_targetILNS1_3genE0ELNS1_11target_archE4294967295ELNS1_3gpuE0ELNS1_3repE0EEENS1_30default_config_static_selectorELNS0_4arch9wavefront6targetE0EEEvT1_
		.amdhsa_group_segment_fixed_size 0
		.amdhsa_private_segment_fixed_size 0
		.amdhsa_kernarg_size 136
		.amdhsa_user_sgpr_count 2
		.amdhsa_user_sgpr_dispatch_ptr 0
		.amdhsa_user_sgpr_queue_ptr 0
		.amdhsa_user_sgpr_kernarg_segment_ptr 1
		.amdhsa_user_sgpr_dispatch_id 0
		.amdhsa_user_sgpr_kernarg_preload_length 0
		.amdhsa_user_sgpr_kernarg_preload_offset 0
		.amdhsa_user_sgpr_private_segment_size 0
		.amdhsa_wavefront_size32 1
		.amdhsa_uses_dynamic_stack 0
		.amdhsa_enable_private_segment 0
		.amdhsa_system_sgpr_workgroup_id_x 1
		.amdhsa_system_sgpr_workgroup_id_y 0
		.amdhsa_system_sgpr_workgroup_id_z 0
		.amdhsa_system_sgpr_workgroup_info 0
		.amdhsa_system_vgpr_workitem_id 0
		.amdhsa_next_free_vgpr 1
		.amdhsa_next_free_sgpr 1
		.amdhsa_named_barrier_count 0
		.amdhsa_reserve_vcc 0
		.amdhsa_float_round_mode_32 0
		.amdhsa_float_round_mode_16_64 0
		.amdhsa_float_denorm_mode_32 3
		.amdhsa_float_denorm_mode_16_64 3
		.amdhsa_fp16_overflow 0
		.amdhsa_memory_ordered 1
		.amdhsa_forward_progress 1
		.amdhsa_inst_pref_size 1
		.amdhsa_round_robin_scheduling 0
		.amdhsa_exception_fp_ieee_invalid_op 0
		.amdhsa_exception_fp_denorm_src 0
		.amdhsa_exception_fp_ieee_div_zero 0
		.amdhsa_exception_fp_ieee_overflow 0
		.amdhsa_exception_fp_ieee_underflow 0
		.amdhsa_exception_fp_ieee_inexact 0
		.amdhsa_exception_int_div_zero 0
	.end_amdhsa_kernel
	.section	.text._ZN7rocprim17ROCPRIM_400000_NS6detail17trampoline_kernelINS0_14default_configENS1_25partition_config_selectorILNS1_17partition_subalgoE8ElNS0_10empty_typeEbEEZZNS1_14partition_implILS5_8ELb0ES3_jPlPS6_PKS6_NS0_5tupleIJS9_S6_EEENSD_IJSA_SA_EEENS0_18inequality_wrapperIZN2at6native12_GLOBAL__N_124unique_dim_cuda_templateIaEESt5tupleIJNSH_6TensorESM_SM_EERKSM_lbbbEUlllE0_EEPmJS6_EEE10hipError_tPvRmT3_T4_T5_T6_T7_T9_mT8_P12ihipStream_tbDpT10_ENKUlT_T0_E_clISt17integral_constantIbLb1EES1C_EEDaS17_S18_EUlS17_E_NS1_11comp_targetILNS1_3genE0ELNS1_11target_archE4294967295ELNS1_3gpuE0ELNS1_3repE0EEENS1_30default_config_static_selectorELNS0_4arch9wavefront6targetE0EEEvT1_,"axG",@progbits,_ZN7rocprim17ROCPRIM_400000_NS6detail17trampoline_kernelINS0_14default_configENS1_25partition_config_selectorILNS1_17partition_subalgoE8ElNS0_10empty_typeEbEEZZNS1_14partition_implILS5_8ELb0ES3_jPlPS6_PKS6_NS0_5tupleIJS9_S6_EEENSD_IJSA_SA_EEENS0_18inequality_wrapperIZN2at6native12_GLOBAL__N_124unique_dim_cuda_templateIaEESt5tupleIJNSH_6TensorESM_SM_EERKSM_lbbbEUlllE0_EEPmJS6_EEE10hipError_tPvRmT3_T4_T5_T6_T7_T9_mT8_P12ihipStream_tbDpT10_ENKUlT_T0_E_clISt17integral_constantIbLb1EES1C_EEDaS17_S18_EUlS17_E_NS1_11comp_targetILNS1_3genE0ELNS1_11target_archE4294967295ELNS1_3gpuE0ELNS1_3repE0EEENS1_30default_config_static_selectorELNS0_4arch9wavefront6targetE0EEEvT1_,comdat
.Lfunc_end327:
	.size	_ZN7rocprim17ROCPRIM_400000_NS6detail17trampoline_kernelINS0_14default_configENS1_25partition_config_selectorILNS1_17partition_subalgoE8ElNS0_10empty_typeEbEEZZNS1_14partition_implILS5_8ELb0ES3_jPlPS6_PKS6_NS0_5tupleIJS9_S6_EEENSD_IJSA_SA_EEENS0_18inequality_wrapperIZN2at6native12_GLOBAL__N_124unique_dim_cuda_templateIaEESt5tupleIJNSH_6TensorESM_SM_EERKSM_lbbbEUlllE0_EEPmJS6_EEE10hipError_tPvRmT3_T4_T5_T6_T7_T9_mT8_P12ihipStream_tbDpT10_ENKUlT_T0_E_clISt17integral_constantIbLb1EES1C_EEDaS17_S18_EUlS17_E_NS1_11comp_targetILNS1_3genE0ELNS1_11target_archE4294967295ELNS1_3gpuE0ELNS1_3repE0EEENS1_30default_config_static_selectorELNS0_4arch9wavefront6targetE0EEEvT1_, .Lfunc_end327-_ZN7rocprim17ROCPRIM_400000_NS6detail17trampoline_kernelINS0_14default_configENS1_25partition_config_selectorILNS1_17partition_subalgoE8ElNS0_10empty_typeEbEEZZNS1_14partition_implILS5_8ELb0ES3_jPlPS6_PKS6_NS0_5tupleIJS9_S6_EEENSD_IJSA_SA_EEENS0_18inequality_wrapperIZN2at6native12_GLOBAL__N_124unique_dim_cuda_templateIaEESt5tupleIJNSH_6TensorESM_SM_EERKSM_lbbbEUlllE0_EEPmJS6_EEE10hipError_tPvRmT3_T4_T5_T6_T7_T9_mT8_P12ihipStream_tbDpT10_ENKUlT_T0_E_clISt17integral_constantIbLb1EES1C_EEDaS17_S18_EUlS17_E_NS1_11comp_targetILNS1_3genE0ELNS1_11target_archE4294967295ELNS1_3gpuE0ELNS1_3repE0EEENS1_30default_config_static_selectorELNS0_4arch9wavefront6targetE0EEEvT1_
                                        ; -- End function
	.set _ZN7rocprim17ROCPRIM_400000_NS6detail17trampoline_kernelINS0_14default_configENS1_25partition_config_selectorILNS1_17partition_subalgoE8ElNS0_10empty_typeEbEEZZNS1_14partition_implILS5_8ELb0ES3_jPlPS6_PKS6_NS0_5tupleIJS9_S6_EEENSD_IJSA_SA_EEENS0_18inequality_wrapperIZN2at6native12_GLOBAL__N_124unique_dim_cuda_templateIaEESt5tupleIJNSH_6TensorESM_SM_EERKSM_lbbbEUlllE0_EEPmJS6_EEE10hipError_tPvRmT3_T4_T5_T6_T7_T9_mT8_P12ihipStream_tbDpT10_ENKUlT_T0_E_clISt17integral_constantIbLb1EES1C_EEDaS17_S18_EUlS17_E_NS1_11comp_targetILNS1_3genE0ELNS1_11target_archE4294967295ELNS1_3gpuE0ELNS1_3repE0EEENS1_30default_config_static_selectorELNS0_4arch9wavefront6targetE0EEEvT1_.num_vgpr, 0
	.set _ZN7rocprim17ROCPRIM_400000_NS6detail17trampoline_kernelINS0_14default_configENS1_25partition_config_selectorILNS1_17partition_subalgoE8ElNS0_10empty_typeEbEEZZNS1_14partition_implILS5_8ELb0ES3_jPlPS6_PKS6_NS0_5tupleIJS9_S6_EEENSD_IJSA_SA_EEENS0_18inequality_wrapperIZN2at6native12_GLOBAL__N_124unique_dim_cuda_templateIaEESt5tupleIJNSH_6TensorESM_SM_EERKSM_lbbbEUlllE0_EEPmJS6_EEE10hipError_tPvRmT3_T4_T5_T6_T7_T9_mT8_P12ihipStream_tbDpT10_ENKUlT_T0_E_clISt17integral_constantIbLb1EES1C_EEDaS17_S18_EUlS17_E_NS1_11comp_targetILNS1_3genE0ELNS1_11target_archE4294967295ELNS1_3gpuE0ELNS1_3repE0EEENS1_30default_config_static_selectorELNS0_4arch9wavefront6targetE0EEEvT1_.num_agpr, 0
	.set _ZN7rocprim17ROCPRIM_400000_NS6detail17trampoline_kernelINS0_14default_configENS1_25partition_config_selectorILNS1_17partition_subalgoE8ElNS0_10empty_typeEbEEZZNS1_14partition_implILS5_8ELb0ES3_jPlPS6_PKS6_NS0_5tupleIJS9_S6_EEENSD_IJSA_SA_EEENS0_18inequality_wrapperIZN2at6native12_GLOBAL__N_124unique_dim_cuda_templateIaEESt5tupleIJNSH_6TensorESM_SM_EERKSM_lbbbEUlllE0_EEPmJS6_EEE10hipError_tPvRmT3_T4_T5_T6_T7_T9_mT8_P12ihipStream_tbDpT10_ENKUlT_T0_E_clISt17integral_constantIbLb1EES1C_EEDaS17_S18_EUlS17_E_NS1_11comp_targetILNS1_3genE0ELNS1_11target_archE4294967295ELNS1_3gpuE0ELNS1_3repE0EEENS1_30default_config_static_selectorELNS0_4arch9wavefront6targetE0EEEvT1_.numbered_sgpr, 0
	.set _ZN7rocprim17ROCPRIM_400000_NS6detail17trampoline_kernelINS0_14default_configENS1_25partition_config_selectorILNS1_17partition_subalgoE8ElNS0_10empty_typeEbEEZZNS1_14partition_implILS5_8ELb0ES3_jPlPS6_PKS6_NS0_5tupleIJS9_S6_EEENSD_IJSA_SA_EEENS0_18inequality_wrapperIZN2at6native12_GLOBAL__N_124unique_dim_cuda_templateIaEESt5tupleIJNSH_6TensorESM_SM_EERKSM_lbbbEUlllE0_EEPmJS6_EEE10hipError_tPvRmT3_T4_T5_T6_T7_T9_mT8_P12ihipStream_tbDpT10_ENKUlT_T0_E_clISt17integral_constantIbLb1EES1C_EEDaS17_S18_EUlS17_E_NS1_11comp_targetILNS1_3genE0ELNS1_11target_archE4294967295ELNS1_3gpuE0ELNS1_3repE0EEENS1_30default_config_static_selectorELNS0_4arch9wavefront6targetE0EEEvT1_.num_named_barrier, 0
	.set _ZN7rocprim17ROCPRIM_400000_NS6detail17trampoline_kernelINS0_14default_configENS1_25partition_config_selectorILNS1_17partition_subalgoE8ElNS0_10empty_typeEbEEZZNS1_14partition_implILS5_8ELb0ES3_jPlPS6_PKS6_NS0_5tupleIJS9_S6_EEENSD_IJSA_SA_EEENS0_18inequality_wrapperIZN2at6native12_GLOBAL__N_124unique_dim_cuda_templateIaEESt5tupleIJNSH_6TensorESM_SM_EERKSM_lbbbEUlllE0_EEPmJS6_EEE10hipError_tPvRmT3_T4_T5_T6_T7_T9_mT8_P12ihipStream_tbDpT10_ENKUlT_T0_E_clISt17integral_constantIbLb1EES1C_EEDaS17_S18_EUlS17_E_NS1_11comp_targetILNS1_3genE0ELNS1_11target_archE4294967295ELNS1_3gpuE0ELNS1_3repE0EEENS1_30default_config_static_selectorELNS0_4arch9wavefront6targetE0EEEvT1_.private_seg_size, 0
	.set _ZN7rocprim17ROCPRIM_400000_NS6detail17trampoline_kernelINS0_14default_configENS1_25partition_config_selectorILNS1_17partition_subalgoE8ElNS0_10empty_typeEbEEZZNS1_14partition_implILS5_8ELb0ES3_jPlPS6_PKS6_NS0_5tupleIJS9_S6_EEENSD_IJSA_SA_EEENS0_18inequality_wrapperIZN2at6native12_GLOBAL__N_124unique_dim_cuda_templateIaEESt5tupleIJNSH_6TensorESM_SM_EERKSM_lbbbEUlllE0_EEPmJS6_EEE10hipError_tPvRmT3_T4_T5_T6_T7_T9_mT8_P12ihipStream_tbDpT10_ENKUlT_T0_E_clISt17integral_constantIbLb1EES1C_EEDaS17_S18_EUlS17_E_NS1_11comp_targetILNS1_3genE0ELNS1_11target_archE4294967295ELNS1_3gpuE0ELNS1_3repE0EEENS1_30default_config_static_selectorELNS0_4arch9wavefront6targetE0EEEvT1_.uses_vcc, 0
	.set _ZN7rocprim17ROCPRIM_400000_NS6detail17trampoline_kernelINS0_14default_configENS1_25partition_config_selectorILNS1_17partition_subalgoE8ElNS0_10empty_typeEbEEZZNS1_14partition_implILS5_8ELb0ES3_jPlPS6_PKS6_NS0_5tupleIJS9_S6_EEENSD_IJSA_SA_EEENS0_18inequality_wrapperIZN2at6native12_GLOBAL__N_124unique_dim_cuda_templateIaEESt5tupleIJNSH_6TensorESM_SM_EERKSM_lbbbEUlllE0_EEPmJS6_EEE10hipError_tPvRmT3_T4_T5_T6_T7_T9_mT8_P12ihipStream_tbDpT10_ENKUlT_T0_E_clISt17integral_constantIbLb1EES1C_EEDaS17_S18_EUlS17_E_NS1_11comp_targetILNS1_3genE0ELNS1_11target_archE4294967295ELNS1_3gpuE0ELNS1_3repE0EEENS1_30default_config_static_selectorELNS0_4arch9wavefront6targetE0EEEvT1_.uses_flat_scratch, 0
	.set _ZN7rocprim17ROCPRIM_400000_NS6detail17trampoline_kernelINS0_14default_configENS1_25partition_config_selectorILNS1_17partition_subalgoE8ElNS0_10empty_typeEbEEZZNS1_14partition_implILS5_8ELb0ES3_jPlPS6_PKS6_NS0_5tupleIJS9_S6_EEENSD_IJSA_SA_EEENS0_18inequality_wrapperIZN2at6native12_GLOBAL__N_124unique_dim_cuda_templateIaEESt5tupleIJNSH_6TensorESM_SM_EERKSM_lbbbEUlllE0_EEPmJS6_EEE10hipError_tPvRmT3_T4_T5_T6_T7_T9_mT8_P12ihipStream_tbDpT10_ENKUlT_T0_E_clISt17integral_constantIbLb1EES1C_EEDaS17_S18_EUlS17_E_NS1_11comp_targetILNS1_3genE0ELNS1_11target_archE4294967295ELNS1_3gpuE0ELNS1_3repE0EEENS1_30default_config_static_selectorELNS0_4arch9wavefront6targetE0EEEvT1_.has_dyn_sized_stack, 0
	.set _ZN7rocprim17ROCPRIM_400000_NS6detail17trampoline_kernelINS0_14default_configENS1_25partition_config_selectorILNS1_17partition_subalgoE8ElNS0_10empty_typeEbEEZZNS1_14partition_implILS5_8ELb0ES3_jPlPS6_PKS6_NS0_5tupleIJS9_S6_EEENSD_IJSA_SA_EEENS0_18inequality_wrapperIZN2at6native12_GLOBAL__N_124unique_dim_cuda_templateIaEESt5tupleIJNSH_6TensorESM_SM_EERKSM_lbbbEUlllE0_EEPmJS6_EEE10hipError_tPvRmT3_T4_T5_T6_T7_T9_mT8_P12ihipStream_tbDpT10_ENKUlT_T0_E_clISt17integral_constantIbLb1EES1C_EEDaS17_S18_EUlS17_E_NS1_11comp_targetILNS1_3genE0ELNS1_11target_archE4294967295ELNS1_3gpuE0ELNS1_3repE0EEENS1_30default_config_static_selectorELNS0_4arch9wavefront6targetE0EEEvT1_.has_recursion, 0
	.set _ZN7rocprim17ROCPRIM_400000_NS6detail17trampoline_kernelINS0_14default_configENS1_25partition_config_selectorILNS1_17partition_subalgoE8ElNS0_10empty_typeEbEEZZNS1_14partition_implILS5_8ELb0ES3_jPlPS6_PKS6_NS0_5tupleIJS9_S6_EEENSD_IJSA_SA_EEENS0_18inequality_wrapperIZN2at6native12_GLOBAL__N_124unique_dim_cuda_templateIaEESt5tupleIJNSH_6TensorESM_SM_EERKSM_lbbbEUlllE0_EEPmJS6_EEE10hipError_tPvRmT3_T4_T5_T6_T7_T9_mT8_P12ihipStream_tbDpT10_ENKUlT_T0_E_clISt17integral_constantIbLb1EES1C_EEDaS17_S18_EUlS17_E_NS1_11comp_targetILNS1_3genE0ELNS1_11target_archE4294967295ELNS1_3gpuE0ELNS1_3repE0EEENS1_30default_config_static_selectorELNS0_4arch9wavefront6targetE0EEEvT1_.has_indirect_call, 0
	.section	.AMDGPU.csdata,"",@progbits
; Kernel info:
; codeLenInByte = 4
; TotalNumSgprs: 0
; NumVgprs: 0
; ScratchSize: 0
; MemoryBound: 0
; FloatMode: 240
; IeeeMode: 1
; LDSByteSize: 0 bytes/workgroup (compile time only)
; SGPRBlocks: 0
; VGPRBlocks: 0
; NumSGPRsForWavesPerEU: 1
; NumVGPRsForWavesPerEU: 1
; NamedBarCnt: 0
; Occupancy: 16
; WaveLimiterHint : 0
; COMPUTE_PGM_RSRC2:SCRATCH_EN: 0
; COMPUTE_PGM_RSRC2:USER_SGPR: 2
; COMPUTE_PGM_RSRC2:TRAP_HANDLER: 0
; COMPUTE_PGM_RSRC2:TGID_X_EN: 1
; COMPUTE_PGM_RSRC2:TGID_Y_EN: 0
; COMPUTE_PGM_RSRC2:TGID_Z_EN: 0
; COMPUTE_PGM_RSRC2:TIDIG_COMP_CNT: 0
	.section	.text._ZN7rocprim17ROCPRIM_400000_NS6detail17trampoline_kernelINS0_14default_configENS1_25partition_config_selectorILNS1_17partition_subalgoE8ElNS0_10empty_typeEbEEZZNS1_14partition_implILS5_8ELb0ES3_jPlPS6_PKS6_NS0_5tupleIJS9_S6_EEENSD_IJSA_SA_EEENS0_18inequality_wrapperIZN2at6native12_GLOBAL__N_124unique_dim_cuda_templateIaEESt5tupleIJNSH_6TensorESM_SM_EERKSM_lbbbEUlllE0_EEPmJS6_EEE10hipError_tPvRmT3_T4_T5_T6_T7_T9_mT8_P12ihipStream_tbDpT10_ENKUlT_T0_E_clISt17integral_constantIbLb1EES1C_EEDaS17_S18_EUlS17_E_NS1_11comp_targetILNS1_3genE5ELNS1_11target_archE942ELNS1_3gpuE9ELNS1_3repE0EEENS1_30default_config_static_selectorELNS0_4arch9wavefront6targetE0EEEvT1_,"axG",@progbits,_ZN7rocprim17ROCPRIM_400000_NS6detail17trampoline_kernelINS0_14default_configENS1_25partition_config_selectorILNS1_17partition_subalgoE8ElNS0_10empty_typeEbEEZZNS1_14partition_implILS5_8ELb0ES3_jPlPS6_PKS6_NS0_5tupleIJS9_S6_EEENSD_IJSA_SA_EEENS0_18inequality_wrapperIZN2at6native12_GLOBAL__N_124unique_dim_cuda_templateIaEESt5tupleIJNSH_6TensorESM_SM_EERKSM_lbbbEUlllE0_EEPmJS6_EEE10hipError_tPvRmT3_T4_T5_T6_T7_T9_mT8_P12ihipStream_tbDpT10_ENKUlT_T0_E_clISt17integral_constantIbLb1EES1C_EEDaS17_S18_EUlS17_E_NS1_11comp_targetILNS1_3genE5ELNS1_11target_archE942ELNS1_3gpuE9ELNS1_3repE0EEENS1_30default_config_static_selectorELNS0_4arch9wavefront6targetE0EEEvT1_,comdat
	.globl	_ZN7rocprim17ROCPRIM_400000_NS6detail17trampoline_kernelINS0_14default_configENS1_25partition_config_selectorILNS1_17partition_subalgoE8ElNS0_10empty_typeEbEEZZNS1_14partition_implILS5_8ELb0ES3_jPlPS6_PKS6_NS0_5tupleIJS9_S6_EEENSD_IJSA_SA_EEENS0_18inequality_wrapperIZN2at6native12_GLOBAL__N_124unique_dim_cuda_templateIaEESt5tupleIJNSH_6TensorESM_SM_EERKSM_lbbbEUlllE0_EEPmJS6_EEE10hipError_tPvRmT3_T4_T5_T6_T7_T9_mT8_P12ihipStream_tbDpT10_ENKUlT_T0_E_clISt17integral_constantIbLb1EES1C_EEDaS17_S18_EUlS17_E_NS1_11comp_targetILNS1_3genE5ELNS1_11target_archE942ELNS1_3gpuE9ELNS1_3repE0EEENS1_30default_config_static_selectorELNS0_4arch9wavefront6targetE0EEEvT1_ ; -- Begin function _ZN7rocprim17ROCPRIM_400000_NS6detail17trampoline_kernelINS0_14default_configENS1_25partition_config_selectorILNS1_17partition_subalgoE8ElNS0_10empty_typeEbEEZZNS1_14partition_implILS5_8ELb0ES3_jPlPS6_PKS6_NS0_5tupleIJS9_S6_EEENSD_IJSA_SA_EEENS0_18inequality_wrapperIZN2at6native12_GLOBAL__N_124unique_dim_cuda_templateIaEESt5tupleIJNSH_6TensorESM_SM_EERKSM_lbbbEUlllE0_EEPmJS6_EEE10hipError_tPvRmT3_T4_T5_T6_T7_T9_mT8_P12ihipStream_tbDpT10_ENKUlT_T0_E_clISt17integral_constantIbLb1EES1C_EEDaS17_S18_EUlS17_E_NS1_11comp_targetILNS1_3genE5ELNS1_11target_archE942ELNS1_3gpuE9ELNS1_3repE0EEENS1_30default_config_static_selectorELNS0_4arch9wavefront6targetE0EEEvT1_
	.p2align	8
	.type	_ZN7rocprim17ROCPRIM_400000_NS6detail17trampoline_kernelINS0_14default_configENS1_25partition_config_selectorILNS1_17partition_subalgoE8ElNS0_10empty_typeEbEEZZNS1_14partition_implILS5_8ELb0ES3_jPlPS6_PKS6_NS0_5tupleIJS9_S6_EEENSD_IJSA_SA_EEENS0_18inequality_wrapperIZN2at6native12_GLOBAL__N_124unique_dim_cuda_templateIaEESt5tupleIJNSH_6TensorESM_SM_EERKSM_lbbbEUlllE0_EEPmJS6_EEE10hipError_tPvRmT3_T4_T5_T6_T7_T9_mT8_P12ihipStream_tbDpT10_ENKUlT_T0_E_clISt17integral_constantIbLb1EES1C_EEDaS17_S18_EUlS17_E_NS1_11comp_targetILNS1_3genE5ELNS1_11target_archE942ELNS1_3gpuE9ELNS1_3repE0EEENS1_30default_config_static_selectorELNS0_4arch9wavefront6targetE0EEEvT1_,@function
_ZN7rocprim17ROCPRIM_400000_NS6detail17trampoline_kernelINS0_14default_configENS1_25partition_config_selectorILNS1_17partition_subalgoE8ElNS0_10empty_typeEbEEZZNS1_14partition_implILS5_8ELb0ES3_jPlPS6_PKS6_NS0_5tupleIJS9_S6_EEENSD_IJSA_SA_EEENS0_18inequality_wrapperIZN2at6native12_GLOBAL__N_124unique_dim_cuda_templateIaEESt5tupleIJNSH_6TensorESM_SM_EERKSM_lbbbEUlllE0_EEPmJS6_EEE10hipError_tPvRmT3_T4_T5_T6_T7_T9_mT8_P12ihipStream_tbDpT10_ENKUlT_T0_E_clISt17integral_constantIbLb1EES1C_EEDaS17_S18_EUlS17_E_NS1_11comp_targetILNS1_3genE5ELNS1_11target_archE942ELNS1_3gpuE9ELNS1_3repE0EEENS1_30default_config_static_selectorELNS0_4arch9wavefront6targetE0EEEvT1_: ; @_ZN7rocprim17ROCPRIM_400000_NS6detail17trampoline_kernelINS0_14default_configENS1_25partition_config_selectorILNS1_17partition_subalgoE8ElNS0_10empty_typeEbEEZZNS1_14partition_implILS5_8ELb0ES3_jPlPS6_PKS6_NS0_5tupleIJS9_S6_EEENSD_IJSA_SA_EEENS0_18inequality_wrapperIZN2at6native12_GLOBAL__N_124unique_dim_cuda_templateIaEESt5tupleIJNSH_6TensorESM_SM_EERKSM_lbbbEUlllE0_EEPmJS6_EEE10hipError_tPvRmT3_T4_T5_T6_T7_T9_mT8_P12ihipStream_tbDpT10_ENKUlT_T0_E_clISt17integral_constantIbLb1EES1C_EEDaS17_S18_EUlS17_E_NS1_11comp_targetILNS1_3genE5ELNS1_11target_archE942ELNS1_3gpuE9ELNS1_3repE0EEENS1_30default_config_static_selectorELNS0_4arch9wavefront6targetE0EEEvT1_
; %bb.0:
	.section	.rodata,"a",@progbits
	.p2align	6, 0x0
	.amdhsa_kernel _ZN7rocprim17ROCPRIM_400000_NS6detail17trampoline_kernelINS0_14default_configENS1_25partition_config_selectorILNS1_17partition_subalgoE8ElNS0_10empty_typeEbEEZZNS1_14partition_implILS5_8ELb0ES3_jPlPS6_PKS6_NS0_5tupleIJS9_S6_EEENSD_IJSA_SA_EEENS0_18inequality_wrapperIZN2at6native12_GLOBAL__N_124unique_dim_cuda_templateIaEESt5tupleIJNSH_6TensorESM_SM_EERKSM_lbbbEUlllE0_EEPmJS6_EEE10hipError_tPvRmT3_T4_T5_T6_T7_T9_mT8_P12ihipStream_tbDpT10_ENKUlT_T0_E_clISt17integral_constantIbLb1EES1C_EEDaS17_S18_EUlS17_E_NS1_11comp_targetILNS1_3genE5ELNS1_11target_archE942ELNS1_3gpuE9ELNS1_3repE0EEENS1_30default_config_static_selectorELNS0_4arch9wavefront6targetE0EEEvT1_
		.amdhsa_group_segment_fixed_size 0
		.amdhsa_private_segment_fixed_size 0
		.amdhsa_kernarg_size 136
		.amdhsa_user_sgpr_count 2
		.amdhsa_user_sgpr_dispatch_ptr 0
		.amdhsa_user_sgpr_queue_ptr 0
		.amdhsa_user_sgpr_kernarg_segment_ptr 1
		.amdhsa_user_sgpr_dispatch_id 0
		.amdhsa_user_sgpr_kernarg_preload_length 0
		.amdhsa_user_sgpr_kernarg_preload_offset 0
		.amdhsa_user_sgpr_private_segment_size 0
		.amdhsa_wavefront_size32 1
		.amdhsa_uses_dynamic_stack 0
		.amdhsa_enable_private_segment 0
		.amdhsa_system_sgpr_workgroup_id_x 1
		.amdhsa_system_sgpr_workgroup_id_y 0
		.amdhsa_system_sgpr_workgroup_id_z 0
		.amdhsa_system_sgpr_workgroup_info 0
		.amdhsa_system_vgpr_workitem_id 0
		.amdhsa_next_free_vgpr 1
		.amdhsa_next_free_sgpr 1
		.amdhsa_named_barrier_count 0
		.amdhsa_reserve_vcc 0
		.amdhsa_float_round_mode_32 0
		.amdhsa_float_round_mode_16_64 0
		.amdhsa_float_denorm_mode_32 3
		.amdhsa_float_denorm_mode_16_64 3
		.amdhsa_fp16_overflow 0
		.amdhsa_memory_ordered 1
		.amdhsa_forward_progress 1
		.amdhsa_inst_pref_size 0
		.amdhsa_round_robin_scheduling 0
		.amdhsa_exception_fp_ieee_invalid_op 0
		.amdhsa_exception_fp_denorm_src 0
		.amdhsa_exception_fp_ieee_div_zero 0
		.amdhsa_exception_fp_ieee_overflow 0
		.amdhsa_exception_fp_ieee_underflow 0
		.amdhsa_exception_fp_ieee_inexact 0
		.amdhsa_exception_int_div_zero 0
	.end_amdhsa_kernel
	.section	.text._ZN7rocprim17ROCPRIM_400000_NS6detail17trampoline_kernelINS0_14default_configENS1_25partition_config_selectorILNS1_17partition_subalgoE8ElNS0_10empty_typeEbEEZZNS1_14partition_implILS5_8ELb0ES3_jPlPS6_PKS6_NS0_5tupleIJS9_S6_EEENSD_IJSA_SA_EEENS0_18inequality_wrapperIZN2at6native12_GLOBAL__N_124unique_dim_cuda_templateIaEESt5tupleIJNSH_6TensorESM_SM_EERKSM_lbbbEUlllE0_EEPmJS6_EEE10hipError_tPvRmT3_T4_T5_T6_T7_T9_mT8_P12ihipStream_tbDpT10_ENKUlT_T0_E_clISt17integral_constantIbLb1EES1C_EEDaS17_S18_EUlS17_E_NS1_11comp_targetILNS1_3genE5ELNS1_11target_archE942ELNS1_3gpuE9ELNS1_3repE0EEENS1_30default_config_static_selectorELNS0_4arch9wavefront6targetE0EEEvT1_,"axG",@progbits,_ZN7rocprim17ROCPRIM_400000_NS6detail17trampoline_kernelINS0_14default_configENS1_25partition_config_selectorILNS1_17partition_subalgoE8ElNS0_10empty_typeEbEEZZNS1_14partition_implILS5_8ELb0ES3_jPlPS6_PKS6_NS0_5tupleIJS9_S6_EEENSD_IJSA_SA_EEENS0_18inequality_wrapperIZN2at6native12_GLOBAL__N_124unique_dim_cuda_templateIaEESt5tupleIJNSH_6TensorESM_SM_EERKSM_lbbbEUlllE0_EEPmJS6_EEE10hipError_tPvRmT3_T4_T5_T6_T7_T9_mT8_P12ihipStream_tbDpT10_ENKUlT_T0_E_clISt17integral_constantIbLb1EES1C_EEDaS17_S18_EUlS17_E_NS1_11comp_targetILNS1_3genE5ELNS1_11target_archE942ELNS1_3gpuE9ELNS1_3repE0EEENS1_30default_config_static_selectorELNS0_4arch9wavefront6targetE0EEEvT1_,comdat
.Lfunc_end328:
	.size	_ZN7rocprim17ROCPRIM_400000_NS6detail17trampoline_kernelINS0_14default_configENS1_25partition_config_selectorILNS1_17partition_subalgoE8ElNS0_10empty_typeEbEEZZNS1_14partition_implILS5_8ELb0ES3_jPlPS6_PKS6_NS0_5tupleIJS9_S6_EEENSD_IJSA_SA_EEENS0_18inequality_wrapperIZN2at6native12_GLOBAL__N_124unique_dim_cuda_templateIaEESt5tupleIJNSH_6TensorESM_SM_EERKSM_lbbbEUlllE0_EEPmJS6_EEE10hipError_tPvRmT3_T4_T5_T6_T7_T9_mT8_P12ihipStream_tbDpT10_ENKUlT_T0_E_clISt17integral_constantIbLb1EES1C_EEDaS17_S18_EUlS17_E_NS1_11comp_targetILNS1_3genE5ELNS1_11target_archE942ELNS1_3gpuE9ELNS1_3repE0EEENS1_30default_config_static_selectorELNS0_4arch9wavefront6targetE0EEEvT1_, .Lfunc_end328-_ZN7rocprim17ROCPRIM_400000_NS6detail17trampoline_kernelINS0_14default_configENS1_25partition_config_selectorILNS1_17partition_subalgoE8ElNS0_10empty_typeEbEEZZNS1_14partition_implILS5_8ELb0ES3_jPlPS6_PKS6_NS0_5tupleIJS9_S6_EEENSD_IJSA_SA_EEENS0_18inequality_wrapperIZN2at6native12_GLOBAL__N_124unique_dim_cuda_templateIaEESt5tupleIJNSH_6TensorESM_SM_EERKSM_lbbbEUlllE0_EEPmJS6_EEE10hipError_tPvRmT3_T4_T5_T6_T7_T9_mT8_P12ihipStream_tbDpT10_ENKUlT_T0_E_clISt17integral_constantIbLb1EES1C_EEDaS17_S18_EUlS17_E_NS1_11comp_targetILNS1_3genE5ELNS1_11target_archE942ELNS1_3gpuE9ELNS1_3repE0EEENS1_30default_config_static_selectorELNS0_4arch9wavefront6targetE0EEEvT1_
                                        ; -- End function
	.set _ZN7rocprim17ROCPRIM_400000_NS6detail17trampoline_kernelINS0_14default_configENS1_25partition_config_selectorILNS1_17partition_subalgoE8ElNS0_10empty_typeEbEEZZNS1_14partition_implILS5_8ELb0ES3_jPlPS6_PKS6_NS0_5tupleIJS9_S6_EEENSD_IJSA_SA_EEENS0_18inequality_wrapperIZN2at6native12_GLOBAL__N_124unique_dim_cuda_templateIaEESt5tupleIJNSH_6TensorESM_SM_EERKSM_lbbbEUlllE0_EEPmJS6_EEE10hipError_tPvRmT3_T4_T5_T6_T7_T9_mT8_P12ihipStream_tbDpT10_ENKUlT_T0_E_clISt17integral_constantIbLb1EES1C_EEDaS17_S18_EUlS17_E_NS1_11comp_targetILNS1_3genE5ELNS1_11target_archE942ELNS1_3gpuE9ELNS1_3repE0EEENS1_30default_config_static_selectorELNS0_4arch9wavefront6targetE0EEEvT1_.num_vgpr, 0
	.set _ZN7rocprim17ROCPRIM_400000_NS6detail17trampoline_kernelINS0_14default_configENS1_25partition_config_selectorILNS1_17partition_subalgoE8ElNS0_10empty_typeEbEEZZNS1_14partition_implILS5_8ELb0ES3_jPlPS6_PKS6_NS0_5tupleIJS9_S6_EEENSD_IJSA_SA_EEENS0_18inequality_wrapperIZN2at6native12_GLOBAL__N_124unique_dim_cuda_templateIaEESt5tupleIJNSH_6TensorESM_SM_EERKSM_lbbbEUlllE0_EEPmJS6_EEE10hipError_tPvRmT3_T4_T5_T6_T7_T9_mT8_P12ihipStream_tbDpT10_ENKUlT_T0_E_clISt17integral_constantIbLb1EES1C_EEDaS17_S18_EUlS17_E_NS1_11comp_targetILNS1_3genE5ELNS1_11target_archE942ELNS1_3gpuE9ELNS1_3repE0EEENS1_30default_config_static_selectorELNS0_4arch9wavefront6targetE0EEEvT1_.num_agpr, 0
	.set _ZN7rocprim17ROCPRIM_400000_NS6detail17trampoline_kernelINS0_14default_configENS1_25partition_config_selectorILNS1_17partition_subalgoE8ElNS0_10empty_typeEbEEZZNS1_14partition_implILS5_8ELb0ES3_jPlPS6_PKS6_NS0_5tupleIJS9_S6_EEENSD_IJSA_SA_EEENS0_18inequality_wrapperIZN2at6native12_GLOBAL__N_124unique_dim_cuda_templateIaEESt5tupleIJNSH_6TensorESM_SM_EERKSM_lbbbEUlllE0_EEPmJS6_EEE10hipError_tPvRmT3_T4_T5_T6_T7_T9_mT8_P12ihipStream_tbDpT10_ENKUlT_T0_E_clISt17integral_constantIbLb1EES1C_EEDaS17_S18_EUlS17_E_NS1_11comp_targetILNS1_3genE5ELNS1_11target_archE942ELNS1_3gpuE9ELNS1_3repE0EEENS1_30default_config_static_selectorELNS0_4arch9wavefront6targetE0EEEvT1_.numbered_sgpr, 0
	.set _ZN7rocprim17ROCPRIM_400000_NS6detail17trampoline_kernelINS0_14default_configENS1_25partition_config_selectorILNS1_17partition_subalgoE8ElNS0_10empty_typeEbEEZZNS1_14partition_implILS5_8ELb0ES3_jPlPS6_PKS6_NS0_5tupleIJS9_S6_EEENSD_IJSA_SA_EEENS0_18inequality_wrapperIZN2at6native12_GLOBAL__N_124unique_dim_cuda_templateIaEESt5tupleIJNSH_6TensorESM_SM_EERKSM_lbbbEUlllE0_EEPmJS6_EEE10hipError_tPvRmT3_T4_T5_T6_T7_T9_mT8_P12ihipStream_tbDpT10_ENKUlT_T0_E_clISt17integral_constantIbLb1EES1C_EEDaS17_S18_EUlS17_E_NS1_11comp_targetILNS1_3genE5ELNS1_11target_archE942ELNS1_3gpuE9ELNS1_3repE0EEENS1_30default_config_static_selectorELNS0_4arch9wavefront6targetE0EEEvT1_.num_named_barrier, 0
	.set _ZN7rocprim17ROCPRIM_400000_NS6detail17trampoline_kernelINS0_14default_configENS1_25partition_config_selectorILNS1_17partition_subalgoE8ElNS0_10empty_typeEbEEZZNS1_14partition_implILS5_8ELb0ES3_jPlPS6_PKS6_NS0_5tupleIJS9_S6_EEENSD_IJSA_SA_EEENS0_18inequality_wrapperIZN2at6native12_GLOBAL__N_124unique_dim_cuda_templateIaEESt5tupleIJNSH_6TensorESM_SM_EERKSM_lbbbEUlllE0_EEPmJS6_EEE10hipError_tPvRmT3_T4_T5_T6_T7_T9_mT8_P12ihipStream_tbDpT10_ENKUlT_T0_E_clISt17integral_constantIbLb1EES1C_EEDaS17_S18_EUlS17_E_NS1_11comp_targetILNS1_3genE5ELNS1_11target_archE942ELNS1_3gpuE9ELNS1_3repE0EEENS1_30default_config_static_selectorELNS0_4arch9wavefront6targetE0EEEvT1_.private_seg_size, 0
	.set _ZN7rocprim17ROCPRIM_400000_NS6detail17trampoline_kernelINS0_14default_configENS1_25partition_config_selectorILNS1_17partition_subalgoE8ElNS0_10empty_typeEbEEZZNS1_14partition_implILS5_8ELb0ES3_jPlPS6_PKS6_NS0_5tupleIJS9_S6_EEENSD_IJSA_SA_EEENS0_18inequality_wrapperIZN2at6native12_GLOBAL__N_124unique_dim_cuda_templateIaEESt5tupleIJNSH_6TensorESM_SM_EERKSM_lbbbEUlllE0_EEPmJS6_EEE10hipError_tPvRmT3_T4_T5_T6_T7_T9_mT8_P12ihipStream_tbDpT10_ENKUlT_T0_E_clISt17integral_constantIbLb1EES1C_EEDaS17_S18_EUlS17_E_NS1_11comp_targetILNS1_3genE5ELNS1_11target_archE942ELNS1_3gpuE9ELNS1_3repE0EEENS1_30default_config_static_selectorELNS0_4arch9wavefront6targetE0EEEvT1_.uses_vcc, 0
	.set _ZN7rocprim17ROCPRIM_400000_NS6detail17trampoline_kernelINS0_14default_configENS1_25partition_config_selectorILNS1_17partition_subalgoE8ElNS0_10empty_typeEbEEZZNS1_14partition_implILS5_8ELb0ES3_jPlPS6_PKS6_NS0_5tupleIJS9_S6_EEENSD_IJSA_SA_EEENS0_18inequality_wrapperIZN2at6native12_GLOBAL__N_124unique_dim_cuda_templateIaEESt5tupleIJNSH_6TensorESM_SM_EERKSM_lbbbEUlllE0_EEPmJS6_EEE10hipError_tPvRmT3_T4_T5_T6_T7_T9_mT8_P12ihipStream_tbDpT10_ENKUlT_T0_E_clISt17integral_constantIbLb1EES1C_EEDaS17_S18_EUlS17_E_NS1_11comp_targetILNS1_3genE5ELNS1_11target_archE942ELNS1_3gpuE9ELNS1_3repE0EEENS1_30default_config_static_selectorELNS0_4arch9wavefront6targetE0EEEvT1_.uses_flat_scratch, 0
	.set _ZN7rocprim17ROCPRIM_400000_NS6detail17trampoline_kernelINS0_14default_configENS1_25partition_config_selectorILNS1_17partition_subalgoE8ElNS0_10empty_typeEbEEZZNS1_14partition_implILS5_8ELb0ES3_jPlPS6_PKS6_NS0_5tupleIJS9_S6_EEENSD_IJSA_SA_EEENS0_18inequality_wrapperIZN2at6native12_GLOBAL__N_124unique_dim_cuda_templateIaEESt5tupleIJNSH_6TensorESM_SM_EERKSM_lbbbEUlllE0_EEPmJS6_EEE10hipError_tPvRmT3_T4_T5_T6_T7_T9_mT8_P12ihipStream_tbDpT10_ENKUlT_T0_E_clISt17integral_constantIbLb1EES1C_EEDaS17_S18_EUlS17_E_NS1_11comp_targetILNS1_3genE5ELNS1_11target_archE942ELNS1_3gpuE9ELNS1_3repE0EEENS1_30default_config_static_selectorELNS0_4arch9wavefront6targetE0EEEvT1_.has_dyn_sized_stack, 0
	.set _ZN7rocprim17ROCPRIM_400000_NS6detail17trampoline_kernelINS0_14default_configENS1_25partition_config_selectorILNS1_17partition_subalgoE8ElNS0_10empty_typeEbEEZZNS1_14partition_implILS5_8ELb0ES3_jPlPS6_PKS6_NS0_5tupleIJS9_S6_EEENSD_IJSA_SA_EEENS0_18inequality_wrapperIZN2at6native12_GLOBAL__N_124unique_dim_cuda_templateIaEESt5tupleIJNSH_6TensorESM_SM_EERKSM_lbbbEUlllE0_EEPmJS6_EEE10hipError_tPvRmT3_T4_T5_T6_T7_T9_mT8_P12ihipStream_tbDpT10_ENKUlT_T0_E_clISt17integral_constantIbLb1EES1C_EEDaS17_S18_EUlS17_E_NS1_11comp_targetILNS1_3genE5ELNS1_11target_archE942ELNS1_3gpuE9ELNS1_3repE0EEENS1_30default_config_static_selectorELNS0_4arch9wavefront6targetE0EEEvT1_.has_recursion, 0
	.set _ZN7rocprim17ROCPRIM_400000_NS6detail17trampoline_kernelINS0_14default_configENS1_25partition_config_selectorILNS1_17partition_subalgoE8ElNS0_10empty_typeEbEEZZNS1_14partition_implILS5_8ELb0ES3_jPlPS6_PKS6_NS0_5tupleIJS9_S6_EEENSD_IJSA_SA_EEENS0_18inequality_wrapperIZN2at6native12_GLOBAL__N_124unique_dim_cuda_templateIaEESt5tupleIJNSH_6TensorESM_SM_EERKSM_lbbbEUlllE0_EEPmJS6_EEE10hipError_tPvRmT3_T4_T5_T6_T7_T9_mT8_P12ihipStream_tbDpT10_ENKUlT_T0_E_clISt17integral_constantIbLb1EES1C_EEDaS17_S18_EUlS17_E_NS1_11comp_targetILNS1_3genE5ELNS1_11target_archE942ELNS1_3gpuE9ELNS1_3repE0EEENS1_30default_config_static_selectorELNS0_4arch9wavefront6targetE0EEEvT1_.has_indirect_call, 0
	.section	.AMDGPU.csdata,"",@progbits
; Kernel info:
; codeLenInByte = 0
; TotalNumSgprs: 0
; NumVgprs: 0
; ScratchSize: 0
; MemoryBound: 0
; FloatMode: 240
; IeeeMode: 1
; LDSByteSize: 0 bytes/workgroup (compile time only)
; SGPRBlocks: 0
; VGPRBlocks: 0
; NumSGPRsForWavesPerEU: 1
; NumVGPRsForWavesPerEU: 1
; NamedBarCnt: 0
; Occupancy: 16
; WaveLimiterHint : 0
; COMPUTE_PGM_RSRC2:SCRATCH_EN: 0
; COMPUTE_PGM_RSRC2:USER_SGPR: 2
; COMPUTE_PGM_RSRC2:TRAP_HANDLER: 0
; COMPUTE_PGM_RSRC2:TGID_X_EN: 1
; COMPUTE_PGM_RSRC2:TGID_Y_EN: 0
; COMPUTE_PGM_RSRC2:TGID_Z_EN: 0
; COMPUTE_PGM_RSRC2:TIDIG_COMP_CNT: 0
	.section	.text._ZN7rocprim17ROCPRIM_400000_NS6detail17trampoline_kernelINS0_14default_configENS1_25partition_config_selectorILNS1_17partition_subalgoE8ElNS0_10empty_typeEbEEZZNS1_14partition_implILS5_8ELb0ES3_jPlPS6_PKS6_NS0_5tupleIJS9_S6_EEENSD_IJSA_SA_EEENS0_18inequality_wrapperIZN2at6native12_GLOBAL__N_124unique_dim_cuda_templateIaEESt5tupleIJNSH_6TensorESM_SM_EERKSM_lbbbEUlllE0_EEPmJS6_EEE10hipError_tPvRmT3_T4_T5_T6_T7_T9_mT8_P12ihipStream_tbDpT10_ENKUlT_T0_E_clISt17integral_constantIbLb1EES1C_EEDaS17_S18_EUlS17_E_NS1_11comp_targetILNS1_3genE4ELNS1_11target_archE910ELNS1_3gpuE8ELNS1_3repE0EEENS1_30default_config_static_selectorELNS0_4arch9wavefront6targetE0EEEvT1_,"axG",@progbits,_ZN7rocprim17ROCPRIM_400000_NS6detail17trampoline_kernelINS0_14default_configENS1_25partition_config_selectorILNS1_17partition_subalgoE8ElNS0_10empty_typeEbEEZZNS1_14partition_implILS5_8ELb0ES3_jPlPS6_PKS6_NS0_5tupleIJS9_S6_EEENSD_IJSA_SA_EEENS0_18inequality_wrapperIZN2at6native12_GLOBAL__N_124unique_dim_cuda_templateIaEESt5tupleIJNSH_6TensorESM_SM_EERKSM_lbbbEUlllE0_EEPmJS6_EEE10hipError_tPvRmT3_T4_T5_T6_T7_T9_mT8_P12ihipStream_tbDpT10_ENKUlT_T0_E_clISt17integral_constantIbLb1EES1C_EEDaS17_S18_EUlS17_E_NS1_11comp_targetILNS1_3genE4ELNS1_11target_archE910ELNS1_3gpuE8ELNS1_3repE0EEENS1_30default_config_static_selectorELNS0_4arch9wavefront6targetE0EEEvT1_,comdat
	.globl	_ZN7rocprim17ROCPRIM_400000_NS6detail17trampoline_kernelINS0_14default_configENS1_25partition_config_selectorILNS1_17partition_subalgoE8ElNS0_10empty_typeEbEEZZNS1_14partition_implILS5_8ELb0ES3_jPlPS6_PKS6_NS0_5tupleIJS9_S6_EEENSD_IJSA_SA_EEENS0_18inequality_wrapperIZN2at6native12_GLOBAL__N_124unique_dim_cuda_templateIaEESt5tupleIJNSH_6TensorESM_SM_EERKSM_lbbbEUlllE0_EEPmJS6_EEE10hipError_tPvRmT3_T4_T5_T6_T7_T9_mT8_P12ihipStream_tbDpT10_ENKUlT_T0_E_clISt17integral_constantIbLb1EES1C_EEDaS17_S18_EUlS17_E_NS1_11comp_targetILNS1_3genE4ELNS1_11target_archE910ELNS1_3gpuE8ELNS1_3repE0EEENS1_30default_config_static_selectorELNS0_4arch9wavefront6targetE0EEEvT1_ ; -- Begin function _ZN7rocprim17ROCPRIM_400000_NS6detail17trampoline_kernelINS0_14default_configENS1_25partition_config_selectorILNS1_17partition_subalgoE8ElNS0_10empty_typeEbEEZZNS1_14partition_implILS5_8ELb0ES3_jPlPS6_PKS6_NS0_5tupleIJS9_S6_EEENSD_IJSA_SA_EEENS0_18inequality_wrapperIZN2at6native12_GLOBAL__N_124unique_dim_cuda_templateIaEESt5tupleIJNSH_6TensorESM_SM_EERKSM_lbbbEUlllE0_EEPmJS6_EEE10hipError_tPvRmT3_T4_T5_T6_T7_T9_mT8_P12ihipStream_tbDpT10_ENKUlT_T0_E_clISt17integral_constantIbLb1EES1C_EEDaS17_S18_EUlS17_E_NS1_11comp_targetILNS1_3genE4ELNS1_11target_archE910ELNS1_3gpuE8ELNS1_3repE0EEENS1_30default_config_static_selectorELNS0_4arch9wavefront6targetE0EEEvT1_
	.p2align	8
	.type	_ZN7rocprim17ROCPRIM_400000_NS6detail17trampoline_kernelINS0_14default_configENS1_25partition_config_selectorILNS1_17partition_subalgoE8ElNS0_10empty_typeEbEEZZNS1_14partition_implILS5_8ELb0ES3_jPlPS6_PKS6_NS0_5tupleIJS9_S6_EEENSD_IJSA_SA_EEENS0_18inequality_wrapperIZN2at6native12_GLOBAL__N_124unique_dim_cuda_templateIaEESt5tupleIJNSH_6TensorESM_SM_EERKSM_lbbbEUlllE0_EEPmJS6_EEE10hipError_tPvRmT3_T4_T5_T6_T7_T9_mT8_P12ihipStream_tbDpT10_ENKUlT_T0_E_clISt17integral_constantIbLb1EES1C_EEDaS17_S18_EUlS17_E_NS1_11comp_targetILNS1_3genE4ELNS1_11target_archE910ELNS1_3gpuE8ELNS1_3repE0EEENS1_30default_config_static_selectorELNS0_4arch9wavefront6targetE0EEEvT1_,@function
_ZN7rocprim17ROCPRIM_400000_NS6detail17trampoline_kernelINS0_14default_configENS1_25partition_config_selectorILNS1_17partition_subalgoE8ElNS0_10empty_typeEbEEZZNS1_14partition_implILS5_8ELb0ES3_jPlPS6_PKS6_NS0_5tupleIJS9_S6_EEENSD_IJSA_SA_EEENS0_18inequality_wrapperIZN2at6native12_GLOBAL__N_124unique_dim_cuda_templateIaEESt5tupleIJNSH_6TensorESM_SM_EERKSM_lbbbEUlllE0_EEPmJS6_EEE10hipError_tPvRmT3_T4_T5_T6_T7_T9_mT8_P12ihipStream_tbDpT10_ENKUlT_T0_E_clISt17integral_constantIbLb1EES1C_EEDaS17_S18_EUlS17_E_NS1_11comp_targetILNS1_3genE4ELNS1_11target_archE910ELNS1_3gpuE8ELNS1_3repE0EEENS1_30default_config_static_selectorELNS0_4arch9wavefront6targetE0EEEvT1_: ; @_ZN7rocprim17ROCPRIM_400000_NS6detail17trampoline_kernelINS0_14default_configENS1_25partition_config_selectorILNS1_17partition_subalgoE8ElNS0_10empty_typeEbEEZZNS1_14partition_implILS5_8ELb0ES3_jPlPS6_PKS6_NS0_5tupleIJS9_S6_EEENSD_IJSA_SA_EEENS0_18inequality_wrapperIZN2at6native12_GLOBAL__N_124unique_dim_cuda_templateIaEESt5tupleIJNSH_6TensorESM_SM_EERKSM_lbbbEUlllE0_EEPmJS6_EEE10hipError_tPvRmT3_T4_T5_T6_T7_T9_mT8_P12ihipStream_tbDpT10_ENKUlT_T0_E_clISt17integral_constantIbLb1EES1C_EEDaS17_S18_EUlS17_E_NS1_11comp_targetILNS1_3genE4ELNS1_11target_archE910ELNS1_3gpuE8ELNS1_3repE0EEENS1_30default_config_static_selectorELNS0_4arch9wavefront6targetE0EEEvT1_
; %bb.0:
	.section	.rodata,"a",@progbits
	.p2align	6, 0x0
	.amdhsa_kernel _ZN7rocprim17ROCPRIM_400000_NS6detail17trampoline_kernelINS0_14default_configENS1_25partition_config_selectorILNS1_17partition_subalgoE8ElNS0_10empty_typeEbEEZZNS1_14partition_implILS5_8ELb0ES3_jPlPS6_PKS6_NS0_5tupleIJS9_S6_EEENSD_IJSA_SA_EEENS0_18inequality_wrapperIZN2at6native12_GLOBAL__N_124unique_dim_cuda_templateIaEESt5tupleIJNSH_6TensorESM_SM_EERKSM_lbbbEUlllE0_EEPmJS6_EEE10hipError_tPvRmT3_T4_T5_T6_T7_T9_mT8_P12ihipStream_tbDpT10_ENKUlT_T0_E_clISt17integral_constantIbLb1EES1C_EEDaS17_S18_EUlS17_E_NS1_11comp_targetILNS1_3genE4ELNS1_11target_archE910ELNS1_3gpuE8ELNS1_3repE0EEENS1_30default_config_static_selectorELNS0_4arch9wavefront6targetE0EEEvT1_
		.amdhsa_group_segment_fixed_size 0
		.amdhsa_private_segment_fixed_size 0
		.amdhsa_kernarg_size 136
		.amdhsa_user_sgpr_count 2
		.amdhsa_user_sgpr_dispatch_ptr 0
		.amdhsa_user_sgpr_queue_ptr 0
		.amdhsa_user_sgpr_kernarg_segment_ptr 1
		.amdhsa_user_sgpr_dispatch_id 0
		.amdhsa_user_sgpr_kernarg_preload_length 0
		.amdhsa_user_sgpr_kernarg_preload_offset 0
		.amdhsa_user_sgpr_private_segment_size 0
		.amdhsa_wavefront_size32 1
		.amdhsa_uses_dynamic_stack 0
		.amdhsa_enable_private_segment 0
		.amdhsa_system_sgpr_workgroup_id_x 1
		.amdhsa_system_sgpr_workgroup_id_y 0
		.amdhsa_system_sgpr_workgroup_id_z 0
		.amdhsa_system_sgpr_workgroup_info 0
		.amdhsa_system_vgpr_workitem_id 0
		.amdhsa_next_free_vgpr 1
		.amdhsa_next_free_sgpr 1
		.amdhsa_named_barrier_count 0
		.amdhsa_reserve_vcc 0
		.amdhsa_float_round_mode_32 0
		.amdhsa_float_round_mode_16_64 0
		.amdhsa_float_denorm_mode_32 3
		.amdhsa_float_denorm_mode_16_64 3
		.amdhsa_fp16_overflow 0
		.amdhsa_memory_ordered 1
		.amdhsa_forward_progress 1
		.amdhsa_inst_pref_size 0
		.amdhsa_round_robin_scheduling 0
		.amdhsa_exception_fp_ieee_invalid_op 0
		.amdhsa_exception_fp_denorm_src 0
		.amdhsa_exception_fp_ieee_div_zero 0
		.amdhsa_exception_fp_ieee_overflow 0
		.amdhsa_exception_fp_ieee_underflow 0
		.amdhsa_exception_fp_ieee_inexact 0
		.amdhsa_exception_int_div_zero 0
	.end_amdhsa_kernel
	.section	.text._ZN7rocprim17ROCPRIM_400000_NS6detail17trampoline_kernelINS0_14default_configENS1_25partition_config_selectorILNS1_17partition_subalgoE8ElNS0_10empty_typeEbEEZZNS1_14partition_implILS5_8ELb0ES3_jPlPS6_PKS6_NS0_5tupleIJS9_S6_EEENSD_IJSA_SA_EEENS0_18inequality_wrapperIZN2at6native12_GLOBAL__N_124unique_dim_cuda_templateIaEESt5tupleIJNSH_6TensorESM_SM_EERKSM_lbbbEUlllE0_EEPmJS6_EEE10hipError_tPvRmT3_T4_T5_T6_T7_T9_mT8_P12ihipStream_tbDpT10_ENKUlT_T0_E_clISt17integral_constantIbLb1EES1C_EEDaS17_S18_EUlS17_E_NS1_11comp_targetILNS1_3genE4ELNS1_11target_archE910ELNS1_3gpuE8ELNS1_3repE0EEENS1_30default_config_static_selectorELNS0_4arch9wavefront6targetE0EEEvT1_,"axG",@progbits,_ZN7rocprim17ROCPRIM_400000_NS6detail17trampoline_kernelINS0_14default_configENS1_25partition_config_selectorILNS1_17partition_subalgoE8ElNS0_10empty_typeEbEEZZNS1_14partition_implILS5_8ELb0ES3_jPlPS6_PKS6_NS0_5tupleIJS9_S6_EEENSD_IJSA_SA_EEENS0_18inequality_wrapperIZN2at6native12_GLOBAL__N_124unique_dim_cuda_templateIaEESt5tupleIJNSH_6TensorESM_SM_EERKSM_lbbbEUlllE0_EEPmJS6_EEE10hipError_tPvRmT3_T4_T5_T6_T7_T9_mT8_P12ihipStream_tbDpT10_ENKUlT_T0_E_clISt17integral_constantIbLb1EES1C_EEDaS17_S18_EUlS17_E_NS1_11comp_targetILNS1_3genE4ELNS1_11target_archE910ELNS1_3gpuE8ELNS1_3repE0EEENS1_30default_config_static_selectorELNS0_4arch9wavefront6targetE0EEEvT1_,comdat
.Lfunc_end329:
	.size	_ZN7rocprim17ROCPRIM_400000_NS6detail17trampoline_kernelINS0_14default_configENS1_25partition_config_selectorILNS1_17partition_subalgoE8ElNS0_10empty_typeEbEEZZNS1_14partition_implILS5_8ELb0ES3_jPlPS6_PKS6_NS0_5tupleIJS9_S6_EEENSD_IJSA_SA_EEENS0_18inequality_wrapperIZN2at6native12_GLOBAL__N_124unique_dim_cuda_templateIaEESt5tupleIJNSH_6TensorESM_SM_EERKSM_lbbbEUlllE0_EEPmJS6_EEE10hipError_tPvRmT3_T4_T5_T6_T7_T9_mT8_P12ihipStream_tbDpT10_ENKUlT_T0_E_clISt17integral_constantIbLb1EES1C_EEDaS17_S18_EUlS17_E_NS1_11comp_targetILNS1_3genE4ELNS1_11target_archE910ELNS1_3gpuE8ELNS1_3repE0EEENS1_30default_config_static_selectorELNS0_4arch9wavefront6targetE0EEEvT1_, .Lfunc_end329-_ZN7rocprim17ROCPRIM_400000_NS6detail17trampoline_kernelINS0_14default_configENS1_25partition_config_selectorILNS1_17partition_subalgoE8ElNS0_10empty_typeEbEEZZNS1_14partition_implILS5_8ELb0ES3_jPlPS6_PKS6_NS0_5tupleIJS9_S6_EEENSD_IJSA_SA_EEENS0_18inequality_wrapperIZN2at6native12_GLOBAL__N_124unique_dim_cuda_templateIaEESt5tupleIJNSH_6TensorESM_SM_EERKSM_lbbbEUlllE0_EEPmJS6_EEE10hipError_tPvRmT3_T4_T5_T6_T7_T9_mT8_P12ihipStream_tbDpT10_ENKUlT_T0_E_clISt17integral_constantIbLb1EES1C_EEDaS17_S18_EUlS17_E_NS1_11comp_targetILNS1_3genE4ELNS1_11target_archE910ELNS1_3gpuE8ELNS1_3repE0EEENS1_30default_config_static_selectorELNS0_4arch9wavefront6targetE0EEEvT1_
                                        ; -- End function
	.set _ZN7rocprim17ROCPRIM_400000_NS6detail17trampoline_kernelINS0_14default_configENS1_25partition_config_selectorILNS1_17partition_subalgoE8ElNS0_10empty_typeEbEEZZNS1_14partition_implILS5_8ELb0ES3_jPlPS6_PKS6_NS0_5tupleIJS9_S6_EEENSD_IJSA_SA_EEENS0_18inequality_wrapperIZN2at6native12_GLOBAL__N_124unique_dim_cuda_templateIaEESt5tupleIJNSH_6TensorESM_SM_EERKSM_lbbbEUlllE0_EEPmJS6_EEE10hipError_tPvRmT3_T4_T5_T6_T7_T9_mT8_P12ihipStream_tbDpT10_ENKUlT_T0_E_clISt17integral_constantIbLb1EES1C_EEDaS17_S18_EUlS17_E_NS1_11comp_targetILNS1_3genE4ELNS1_11target_archE910ELNS1_3gpuE8ELNS1_3repE0EEENS1_30default_config_static_selectorELNS0_4arch9wavefront6targetE0EEEvT1_.num_vgpr, 0
	.set _ZN7rocprim17ROCPRIM_400000_NS6detail17trampoline_kernelINS0_14default_configENS1_25partition_config_selectorILNS1_17partition_subalgoE8ElNS0_10empty_typeEbEEZZNS1_14partition_implILS5_8ELb0ES3_jPlPS6_PKS6_NS0_5tupleIJS9_S6_EEENSD_IJSA_SA_EEENS0_18inequality_wrapperIZN2at6native12_GLOBAL__N_124unique_dim_cuda_templateIaEESt5tupleIJNSH_6TensorESM_SM_EERKSM_lbbbEUlllE0_EEPmJS6_EEE10hipError_tPvRmT3_T4_T5_T6_T7_T9_mT8_P12ihipStream_tbDpT10_ENKUlT_T0_E_clISt17integral_constantIbLb1EES1C_EEDaS17_S18_EUlS17_E_NS1_11comp_targetILNS1_3genE4ELNS1_11target_archE910ELNS1_3gpuE8ELNS1_3repE0EEENS1_30default_config_static_selectorELNS0_4arch9wavefront6targetE0EEEvT1_.num_agpr, 0
	.set _ZN7rocprim17ROCPRIM_400000_NS6detail17trampoline_kernelINS0_14default_configENS1_25partition_config_selectorILNS1_17partition_subalgoE8ElNS0_10empty_typeEbEEZZNS1_14partition_implILS5_8ELb0ES3_jPlPS6_PKS6_NS0_5tupleIJS9_S6_EEENSD_IJSA_SA_EEENS0_18inequality_wrapperIZN2at6native12_GLOBAL__N_124unique_dim_cuda_templateIaEESt5tupleIJNSH_6TensorESM_SM_EERKSM_lbbbEUlllE0_EEPmJS6_EEE10hipError_tPvRmT3_T4_T5_T6_T7_T9_mT8_P12ihipStream_tbDpT10_ENKUlT_T0_E_clISt17integral_constantIbLb1EES1C_EEDaS17_S18_EUlS17_E_NS1_11comp_targetILNS1_3genE4ELNS1_11target_archE910ELNS1_3gpuE8ELNS1_3repE0EEENS1_30default_config_static_selectorELNS0_4arch9wavefront6targetE0EEEvT1_.numbered_sgpr, 0
	.set _ZN7rocprim17ROCPRIM_400000_NS6detail17trampoline_kernelINS0_14default_configENS1_25partition_config_selectorILNS1_17partition_subalgoE8ElNS0_10empty_typeEbEEZZNS1_14partition_implILS5_8ELb0ES3_jPlPS6_PKS6_NS0_5tupleIJS9_S6_EEENSD_IJSA_SA_EEENS0_18inequality_wrapperIZN2at6native12_GLOBAL__N_124unique_dim_cuda_templateIaEESt5tupleIJNSH_6TensorESM_SM_EERKSM_lbbbEUlllE0_EEPmJS6_EEE10hipError_tPvRmT3_T4_T5_T6_T7_T9_mT8_P12ihipStream_tbDpT10_ENKUlT_T0_E_clISt17integral_constantIbLb1EES1C_EEDaS17_S18_EUlS17_E_NS1_11comp_targetILNS1_3genE4ELNS1_11target_archE910ELNS1_3gpuE8ELNS1_3repE0EEENS1_30default_config_static_selectorELNS0_4arch9wavefront6targetE0EEEvT1_.num_named_barrier, 0
	.set _ZN7rocprim17ROCPRIM_400000_NS6detail17trampoline_kernelINS0_14default_configENS1_25partition_config_selectorILNS1_17partition_subalgoE8ElNS0_10empty_typeEbEEZZNS1_14partition_implILS5_8ELb0ES3_jPlPS6_PKS6_NS0_5tupleIJS9_S6_EEENSD_IJSA_SA_EEENS0_18inequality_wrapperIZN2at6native12_GLOBAL__N_124unique_dim_cuda_templateIaEESt5tupleIJNSH_6TensorESM_SM_EERKSM_lbbbEUlllE0_EEPmJS6_EEE10hipError_tPvRmT3_T4_T5_T6_T7_T9_mT8_P12ihipStream_tbDpT10_ENKUlT_T0_E_clISt17integral_constantIbLb1EES1C_EEDaS17_S18_EUlS17_E_NS1_11comp_targetILNS1_3genE4ELNS1_11target_archE910ELNS1_3gpuE8ELNS1_3repE0EEENS1_30default_config_static_selectorELNS0_4arch9wavefront6targetE0EEEvT1_.private_seg_size, 0
	.set _ZN7rocprim17ROCPRIM_400000_NS6detail17trampoline_kernelINS0_14default_configENS1_25partition_config_selectorILNS1_17partition_subalgoE8ElNS0_10empty_typeEbEEZZNS1_14partition_implILS5_8ELb0ES3_jPlPS6_PKS6_NS0_5tupleIJS9_S6_EEENSD_IJSA_SA_EEENS0_18inequality_wrapperIZN2at6native12_GLOBAL__N_124unique_dim_cuda_templateIaEESt5tupleIJNSH_6TensorESM_SM_EERKSM_lbbbEUlllE0_EEPmJS6_EEE10hipError_tPvRmT3_T4_T5_T6_T7_T9_mT8_P12ihipStream_tbDpT10_ENKUlT_T0_E_clISt17integral_constantIbLb1EES1C_EEDaS17_S18_EUlS17_E_NS1_11comp_targetILNS1_3genE4ELNS1_11target_archE910ELNS1_3gpuE8ELNS1_3repE0EEENS1_30default_config_static_selectorELNS0_4arch9wavefront6targetE0EEEvT1_.uses_vcc, 0
	.set _ZN7rocprim17ROCPRIM_400000_NS6detail17trampoline_kernelINS0_14default_configENS1_25partition_config_selectorILNS1_17partition_subalgoE8ElNS0_10empty_typeEbEEZZNS1_14partition_implILS5_8ELb0ES3_jPlPS6_PKS6_NS0_5tupleIJS9_S6_EEENSD_IJSA_SA_EEENS0_18inequality_wrapperIZN2at6native12_GLOBAL__N_124unique_dim_cuda_templateIaEESt5tupleIJNSH_6TensorESM_SM_EERKSM_lbbbEUlllE0_EEPmJS6_EEE10hipError_tPvRmT3_T4_T5_T6_T7_T9_mT8_P12ihipStream_tbDpT10_ENKUlT_T0_E_clISt17integral_constantIbLb1EES1C_EEDaS17_S18_EUlS17_E_NS1_11comp_targetILNS1_3genE4ELNS1_11target_archE910ELNS1_3gpuE8ELNS1_3repE0EEENS1_30default_config_static_selectorELNS0_4arch9wavefront6targetE0EEEvT1_.uses_flat_scratch, 0
	.set _ZN7rocprim17ROCPRIM_400000_NS6detail17trampoline_kernelINS0_14default_configENS1_25partition_config_selectorILNS1_17partition_subalgoE8ElNS0_10empty_typeEbEEZZNS1_14partition_implILS5_8ELb0ES3_jPlPS6_PKS6_NS0_5tupleIJS9_S6_EEENSD_IJSA_SA_EEENS0_18inequality_wrapperIZN2at6native12_GLOBAL__N_124unique_dim_cuda_templateIaEESt5tupleIJNSH_6TensorESM_SM_EERKSM_lbbbEUlllE0_EEPmJS6_EEE10hipError_tPvRmT3_T4_T5_T6_T7_T9_mT8_P12ihipStream_tbDpT10_ENKUlT_T0_E_clISt17integral_constantIbLb1EES1C_EEDaS17_S18_EUlS17_E_NS1_11comp_targetILNS1_3genE4ELNS1_11target_archE910ELNS1_3gpuE8ELNS1_3repE0EEENS1_30default_config_static_selectorELNS0_4arch9wavefront6targetE0EEEvT1_.has_dyn_sized_stack, 0
	.set _ZN7rocprim17ROCPRIM_400000_NS6detail17trampoline_kernelINS0_14default_configENS1_25partition_config_selectorILNS1_17partition_subalgoE8ElNS0_10empty_typeEbEEZZNS1_14partition_implILS5_8ELb0ES3_jPlPS6_PKS6_NS0_5tupleIJS9_S6_EEENSD_IJSA_SA_EEENS0_18inequality_wrapperIZN2at6native12_GLOBAL__N_124unique_dim_cuda_templateIaEESt5tupleIJNSH_6TensorESM_SM_EERKSM_lbbbEUlllE0_EEPmJS6_EEE10hipError_tPvRmT3_T4_T5_T6_T7_T9_mT8_P12ihipStream_tbDpT10_ENKUlT_T0_E_clISt17integral_constantIbLb1EES1C_EEDaS17_S18_EUlS17_E_NS1_11comp_targetILNS1_3genE4ELNS1_11target_archE910ELNS1_3gpuE8ELNS1_3repE0EEENS1_30default_config_static_selectorELNS0_4arch9wavefront6targetE0EEEvT1_.has_recursion, 0
	.set _ZN7rocprim17ROCPRIM_400000_NS6detail17trampoline_kernelINS0_14default_configENS1_25partition_config_selectorILNS1_17partition_subalgoE8ElNS0_10empty_typeEbEEZZNS1_14partition_implILS5_8ELb0ES3_jPlPS6_PKS6_NS0_5tupleIJS9_S6_EEENSD_IJSA_SA_EEENS0_18inequality_wrapperIZN2at6native12_GLOBAL__N_124unique_dim_cuda_templateIaEESt5tupleIJNSH_6TensorESM_SM_EERKSM_lbbbEUlllE0_EEPmJS6_EEE10hipError_tPvRmT3_T4_T5_T6_T7_T9_mT8_P12ihipStream_tbDpT10_ENKUlT_T0_E_clISt17integral_constantIbLb1EES1C_EEDaS17_S18_EUlS17_E_NS1_11comp_targetILNS1_3genE4ELNS1_11target_archE910ELNS1_3gpuE8ELNS1_3repE0EEENS1_30default_config_static_selectorELNS0_4arch9wavefront6targetE0EEEvT1_.has_indirect_call, 0
	.section	.AMDGPU.csdata,"",@progbits
; Kernel info:
; codeLenInByte = 0
; TotalNumSgprs: 0
; NumVgprs: 0
; ScratchSize: 0
; MemoryBound: 0
; FloatMode: 240
; IeeeMode: 1
; LDSByteSize: 0 bytes/workgroup (compile time only)
; SGPRBlocks: 0
; VGPRBlocks: 0
; NumSGPRsForWavesPerEU: 1
; NumVGPRsForWavesPerEU: 1
; NamedBarCnt: 0
; Occupancy: 16
; WaveLimiterHint : 0
; COMPUTE_PGM_RSRC2:SCRATCH_EN: 0
; COMPUTE_PGM_RSRC2:USER_SGPR: 2
; COMPUTE_PGM_RSRC2:TRAP_HANDLER: 0
; COMPUTE_PGM_RSRC2:TGID_X_EN: 1
; COMPUTE_PGM_RSRC2:TGID_Y_EN: 0
; COMPUTE_PGM_RSRC2:TGID_Z_EN: 0
; COMPUTE_PGM_RSRC2:TIDIG_COMP_CNT: 0
	.section	.text._ZN7rocprim17ROCPRIM_400000_NS6detail17trampoline_kernelINS0_14default_configENS1_25partition_config_selectorILNS1_17partition_subalgoE8ElNS0_10empty_typeEbEEZZNS1_14partition_implILS5_8ELb0ES3_jPlPS6_PKS6_NS0_5tupleIJS9_S6_EEENSD_IJSA_SA_EEENS0_18inequality_wrapperIZN2at6native12_GLOBAL__N_124unique_dim_cuda_templateIaEESt5tupleIJNSH_6TensorESM_SM_EERKSM_lbbbEUlllE0_EEPmJS6_EEE10hipError_tPvRmT3_T4_T5_T6_T7_T9_mT8_P12ihipStream_tbDpT10_ENKUlT_T0_E_clISt17integral_constantIbLb1EES1C_EEDaS17_S18_EUlS17_E_NS1_11comp_targetILNS1_3genE3ELNS1_11target_archE908ELNS1_3gpuE7ELNS1_3repE0EEENS1_30default_config_static_selectorELNS0_4arch9wavefront6targetE0EEEvT1_,"axG",@progbits,_ZN7rocprim17ROCPRIM_400000_NS6detail17trampoline_kernelINS0_14default_configENS1_25partition_config_selectorILNS1_17partition_subalgoE8ElNS0_10empty_typeEbEEZZNS1_14partition_implILS5_8ELb0ES3_jPlPS6_PKS6_NS0_5tupleIJS9_S6_EEENSD_IJSA_SA_EEENS0_18inequality_wrapperIZN2at6native12_GLOBAL__N_124unique_dim_cuda_templateIaEESt5tupleIJNSH_6TensorESM_SM_EERKSM_lbbbEUlllE0_EEPmJS6_EEE10hipError_tPvRmT3_T4_T5_T6_T7_T9_mT8_P12ihipStream_tbDpT10_ENKUlT_T0_E_clISt17integral_constantIbLb1EES1C_EEDaS17_S18_EUlS17_E_NS1_11comp_targetILNS1_3genE3ELNS1_11target_archE908ELNS1_3gpuE7ELNS1_3repE0EEENS1_30default_config_static_selectorELNS0_4arch9wavefront6targetE0EEEvT1_,comdat
	.globl	_ZN7rocprim17ROCPRIM_400000_NS6detail17trampoline_kernelINS0_14default_configENS1_25partition_config_selectorILNS1_17partition_subalgoE8ElNS0_10empty_typeEbEEZZNS1_14partition_implILS5_8ELb0ES3_jPlPS6_PKS6_NS0_5tupleIJS9_S6_EEENSD_IJSA_SA_EEENS0_18inequality_wrapperIZN2at6native12_GLOBAL__N_124unique_dim_cuda_templateIaEESt5tupleIJNSH_6TensorESM_SM_EERKSM_lbbbEUlllE0_EEPmJS6_EEE10hipError_tPvRmT3_T4_T5_T6_T7_T9_mT8_P12ihipStream_tbDpT10_ENKUlT_T0_E_clISt17integral_constantIbLb1EES1C_EEDaS17_S18_EUlS17_E_NS1_11comp_targetILNS1_3genE3ELNS1_11target_archE908ELNS1_3gpuE7ELNS1_3repE0EEENS1_30default_config_static_selectorELNS0_4arch9wavefront6targetE0EEEvT1_ ; -- Begin function _ZN7rocprim17ROCPRIM_400000_NS6detail17trampoline_kernelINS0_14default_configENS1_25partition_config_selectorILNS1_17partition_subalgoE8ElNS0_10empty_typeEbEEZZNS1_14partition_implILS5_8ELb0ES3_jPlPS6_PKS6_NS0_5tupleIJS9_S6_EEENSD_IJSA_SA_EEENS0_18inequality_wrapperIZN2at6native12_GLOBAL__N_124unique_dim_cuda_templateIaEESt5tupleIJNSH_6TensorESM_SM_EERKSM_lbbbEUlllE0_EEPmJS6_EEE10hipError_tPvRmT3_T4_T5_T6_T7_T9_mT8_P12ihipStream_tbDpT10_ENKUlT_T0_E_clISt17integral_constantIbLb1EES1C_EEDaS17_S18_EUlS17_E_NS1_11comp_targetILNS1_3genE3ELNS1_11target_archE908ELNS1_3gpuE7ELNS1_3repE0EEENS1_30default_config_static_selectorELNS0_4arch9wavefront6targetE0EEEvT1_
	.p2align	8
	.type	_ZN7rocprim17ROCPRIM_400000_NS6detail17trampoline_kernelINS0_14default_configENS1_25partition_config_selectorILNS1_17partition_subalgoE8ElNS0_10empty_typeEbEEZZNS1_14partition_implILS5_8ELb0ES3_jPlPS6_PKS6_NS0_5tupleIJS9_S6_EEENSD_IJSA_SA_EEENS0_18inequality_wrapperIZN2at6native12_GLOBAL__N_124unique_dim_cuda_templateIaEESt5tupleIJNSH_6TensorESM_SM_EERKSM_lbbbEUlllE0_EEPmJS6_EEE10hipError_tPvRmT3_T4_T5_T6_T7_T9_mT8_P12ihipStream_tbDpT10_ENKUlT_T0_E_clISt17integral_constantIbLb1EES1C_EEDaS17_S18_EUlS17_E_NS1_11comp_targetILNS1_3genE3ELNS1_11target_archE908ELNS1_3gpuE7ELNS1_3repE0EEENS1_30default_config_static_selectorELNS0_4arch9wavefront6targetE0EEEvT1_,@function
_ZN7rocprim17ROCPRIM_400000_NS6detail17trampoline_kernelINS0_14default_configENS1_25partition_config_selectorILNS1_17partition_subalgoE8ElNS0_10empty_typeEbEEZZNS1_14partition_implILS5_8ELb0ES3_jPlPS6_PKS6_NS0_5tupleIJS9_S6_EEENSD_IJSA_SA_EEENS0_18inequality_wrapperIZN2at6native12_GLOBAL__N_124unique_dim_cuda_templateIaEESt5tupleIJNSH_6TensorESM_SM_EERKSM_lbbbEUlllE0_EEPmJS6_EEE10hipError_tPvRmT3_T4_T5_T6_T7_T9_mT8_P12ihipStream_tbDpT10_ENKUlT_T0_E_clISt17integral_constantIbLb1EES1C_EEDaS17_S18_EUlS17_E_NS1_11comp_targetILNS1_3genE3ELNS1_11target_archE908ELNS1_3gpuE7ELNS1_3repE0EEENS1_30default_config_static_selectorELNS0_4arch9wavefront6targetE0EEEvT1_: ; @_ZN7rocprim17ROCPRIM_400000_NS6detail17trampoline_kernelINS0_14default_configENS1_25partition_config_selectorILNS1_17partition_subalgoE8ElNS0_10empty_typeEbEEZZNS1_14partition_implILS5_8ELb0ES3_jPlPS6_PKS6_NS0_5tupleIJS9_S6_EEENSD_IJSA_SA_EEENS0_18inequality_wrapperIZN2at6native12_GLOBAL__N_124unique_dim_cuda_templateIaEESt5tupleIJNSH_6TensorESM_SM_EERKSM_lbbbEUlllE0_EEPmJS6_EEE10hipError_tPvRmT3_T4_T5_T6_T7_T9_mT8_P12ihipStream_tbDpT10_ENKUlT_T0_E_clISt17integral_constantIbLb1EES1C_EEDaS17_S18_EUlS17_E_NS1_11comp_targetILNS1_3genE3ELNS1_11target_archE908ELNS1_3gpuE7ELNS1_3repE0EEENS1_30default_config_static_selectorELNS0_4arch9wavefront6targetE0EEEvT1_
; %bb.0:
	.section	.rodata,"a",@progbits
	.p2align	6, 0x0
	.amdhsa_kernel _ZN7rocprim17ROCPRIM_400000_NS6detail17trampoline_kernelINS0_14default_configENS1_25partition_config_selectorILNS1_17partition_subalgoE8ElNS0_10empty_typeEbEEZZNS1_14partition_implILS5_8ELb0ES3_jPlPS6_PKS6_NS0_5tupleIJS9_S6_EEENSD_IJSA_SA_EEENS0_18inequality_wrapperIZN2at6native12_GLOBAL__N_124unique_dim_cuda_templateIaEESt5tupleIJNSH_6TensorESM_SM_EERKSM_lbbbEUlllE0_EEPmJS6_EEE10hipError_tPvRmT3_T4_T5_T6_T7_T9_mT8_P12ihipStream_tbDpT10_ENKUlT_T0_E_clISt17integral_constantIbLb1EES1C_EEDaS17_S18_EUlS17_E_NS1_11comp_targetILNS1_3genE3ELNS1_11target_archE908ELNS1_3gpuE7ELNS1_3repE0EEENS1_30default_config_static_selectorELNS0_4arch9wavefront6targetE0EEEvT1_
		.amdhsa_group_segment_fixed_size 0
		.amdhsa_private_segment_fixed_size 0
		.amdhsa_kernarg_size 136
		.amdhsa_user_sgpr_count 2
		.amdhsa_user_sgpr_dispatch_ptr 0
		.amdhsa_user_sgpr_queue_ptr 0
		.amdhsa_user_sgpr_kernarg_segment_ptr 1
		.amdhsa_user_sgpr_dispatch_id 0
		.amdhsa_user_sgpr_kernarg_preload_length 0
		.amdhsa_user_sgpr_kernarg_preload_offset 0
		.amdhsa_user_sgpr_private_segment_size 0
		.amdhsa_wavefront_size32 1
		.amdhsa_uses_dynamic_stack 0
		.amdhsa_enable_private_segment 0
		.amdhsa_system_sgpr_workgroup_id_x 1
		.amdhsa_system_sgpr_workgroup_id_y 0
		.amdhsa_system_sgpr_workgroup_id_z 0
		.amdhsa_system_sgpr_workgroup_info 0
		.amdhsa_system_vgpr_workitem_id 0
		.amdhsa_next_free_vgpr 1
		.amdhsa_next_free_sgpr 1
		.amdhsa_named_barrier_count 0
		.amdhsa_reserve_vcc 0
		.amdhsa_float_round_mode_32 0
		.amdhsa_float_round_mode_16_64 0
		.amdhsa_float_denorm_mode_32 3
		.amdhsa_float_denorm_mode_16_64 3
		.amdhsa_fp16_overflow 0
		.amdhsa_memory_ordered 1
		.amdhsa_forward_progress 1
		.amdhsa_inst_pref_size 0
		.amdhsa_round_robin_scheduling 0
		.amdhsa_exception_fp_ieee_invalid_op 0
		.amdhsa_exception_fp_denorm_src 0
		.amdhsa_exception_fp_ieee_div_zero 0
		.amdhsa_exception_fp_ieee_overflow 0
		.amdhsa_exception_fp_ieee_underflow 0
		.amdhsa_exception_fp_ieee_inexact 0
		.amdhsa_exception_int_div_zero 0
	.end_amdhsa_kernel
	.section	.text._ZN7rocprim17ROCPRIM_400000_NS6detail17trampoline_kernelINS0_14default_configENS1_25partition_config_selectorILNS1_17partition_subalgoE8ElNS0_10empty_typeEbEEZZNS1_14partition_implILS5_8ELb0ES3_jPlPS6_PKS6_NS0_5tupleIJS9_S6_EEENSD_IJSA_SA_EEENS0_18inequality_wrapperIZN2at6native12_GLOBAL__N_124unique_dim_cuda_templateIaEESt5tupleIJNSH_6TensorESM_SM_EERKSM_lbbbEUlllE0_EEPmJS6_EEE10hipError_tPvRmT3_T4_T5_T6_T7_T9_mT8_P12ihipStream_tbDpT10_ENKUlT_T0_E_clISt17integral_constantIbLb1EES1C_EEDaS17_S18_EUlS17_E_NS1_11comp_targetILNS1_3genE3ELNS1_11target_archE908ELNS1_3gpuE7ELNS1_3repE0EEENS1_30default_config_static_selectorELNS0_4arch9wavefront6targetE0EEEvT1_,"axG",@progbits,_ZN7rocprim17ROCPRIM_400000_NS6detail17trampoline_kernelINS0_14default_configENS1_25partition_config_selectorILNS1_17partition_subalgoE8ElNS0_10empty_typeEbEEZZNS1_14partition_implILS5_8ELb0ES3_jPlPS6_PKS6_NS0_5tupleIJS9_S6_EEENSD_IJSA_SA_EEENS0_18inequality_wrapperIZN2at6native12_GLOBAL__N_124unique_dim_cuda_templateIaEESt5tupleIJNSH_6TensorESM_SM_EERKSM_lbbbEUlllE0_EEPmJS6_EEE10hipError_tPvRmT3_T4_T5_T6_T7_T9_mT8_P12ihipStream_tbDpT10_ENKUlT_T0_E_clISt17integral_constantIbLb1EES1C_EEDaS17_S18_EUlS17_E_NS1_11comp_targetILNS1_3genE3ELNS1_11target_archE908ELNS1_3gpuE7ELNS1_3repE0EEENS1_30default_config_static_selectorELNS0_4arch9wavefront6targetE0EEEvT1_,comdat
.Lfunc_end330:
	.size	_ZN7rocprim17ROCPRIM_400000_NS6detail17trampoline_kernelINS0_14default_configENS1_25partition_config_selectorILNS1_17partition_subalgoE8ElNS0_10empty_typeEbEEZZNS1_14partition_implILS5_8ELb0ES3_jPlPS6_PKS6_NS0_5tupleIJS9_S6_EEENSD_IJSA_SA_EEENS0_18inequality_wrapperIZN2at6native12_GLOBAL__N_124unique_dim_cuda_templateIaEESt5tupleIJNSH_6TensorESM_SM_EERKSM_lbbbEUlllE0_EEPmJS6_EEE10hipError_tPvRmT3_T4_T5_T6_T7_T9_mT8_P12ihipStream_tbDpT10_ENKUlT_T0_E_clISt17integral_constantIbLb1EES1C_EEDaS17_S18_EUlS17_E_NS1_11comp_targetILNS1_3genE3ELNS1_11target_archE908ELNS1_3gpuE7ELNS1_3repE0EEENS1_30default_config_static_selectorELNS0_4arch9wavefront6targetE0EEEvT1_, .Lfunc_end330-_ZN7rocprim17ROCPRIM_400000_NS6detail17trampoline_kernelINS0_14default_configENS1_25partition_config_selectorILNS1_17partition_subalgoE8ElNS0_10empty_typeEbEEZZNS1_14partition_implILS5_8ELb0ES3_jPlPS6_PKS6_NS0_5tupleIJS9_S6_EEENSD_IJSA_SA_EEENS0_18inequality_wrapperIZN2at6native12_GLOBAL__N_124unique_dim_cuda_templateIaEESt5tupleIJNSH_6TensorESM_SM_EERKSM_lbbbEUlllE0_EEPmJS6_EEE10hipError_tPvRmT3_T4_T5_T6_T7_T9_mT8_P12ihipStream_tbDpT10_ENKUlT_T0_E_clISt17integral_constantIbLb1EES1C_EEDaS17_S18_EUlS17_E_NS1_11comp_targetILNS1_3genE3ELNS1_11target_archE908ELNS1_3gpuE7ELNS1_3repE0EEENS1_30default_config_static_selectorELNS0_4arch9wavefront6targetE0EEEvT1_
                                        ; -- End function
	.set _ZN7rocprim17ROCPRIM_400000_NS6detail17trampoline_kernelINS0_14default_configENS1_25partition_config_selectorILNS1_17partition_subalgoE8ElNS0_10empty_typeEbEEZZNS1_14partition_implILS5_8ELb0ES3_jPlPS6_PKS6_NS0_5tupleIJS9_S6_EEENSD_IJSA_SA_EEENS0_18inequality_wrapperIZN2at6native12_GLOBAL__N_124unique_dim_cuda_templateIaEESt5tupleIJNSH_6TensorESM_SM_EERKSM_lbbbEUlllE0_EEPmJS6_EEE10hipError_tPvRmT3_T4_T5_T6_T7_T9_mT8_P12ihipStream_tbDpT10_ENKUlT_T0_E_clISt17integral_constantIbLb1EES1C_EEDaS17_S18_EUlS17_E_NS1_11comp_targetILNS1_3genE3ELNS1_11target_archE908ELNS1_3gpuE7ELNS1_3repE0EEENS1_30default_config_static_selectorELNS0_4arch9wavefront6targetE0EEEvT1_.num_vgpr, 0
	.set _ZN7rocprim17ROCPRIM_400000_NS6detail17trampoline_kernelINS0_14default_configENS1_25partition_config_selectorILNS1_17partition_subalgoE8ElNS0_10empty_typeEbEEZZNS1_14partition_implILS5_8ELb0ES3_jPlPS6_PKS6_NS0_5tupleIJS9_S6_EEENSD_IJSA_SA_EEENS0_18inequality_wrapperIZN2at6native12_GLOBAL__N_124unique_dim_cuda_templateIaEESt5tupleIJNSH_6TensorESM_SM_EERKSM_lbbbEUlllE0_EEPmJS6_EEE10hipError_tPvRmT3_T4_T5_T6_T7_T9_mT8_P12ihipStream_tbDpT10_ENKUlT_T0_E_clISt17integral_constantIbLb1EES1C_EEDaS17_S18_EUlS17_E_NS1_11comp_targetILNS1_3genE3ELNS1_11target_archE908ELNS1_3gpuE7ELNS1_3repE0EEENS1_30default_config_static_selectorELNS0_4arch9wavefront6targetE0EEEvT1_.num_agpr, 0
	.set _ZN7rocprim17ROCPRIM_400000_NS6detail17trampoline_kernelINS0_14default_configENS1_25partition_config_selectorILNS1_17partition_subalgoE8ElNS0_10empty_typeEbEEZZNS1_14partition_implILS5_8ELb0ES3_jPlPS6_PKS6_NS0_5tupleIJS9_S6_EEENSD_IJSA_SA_EEENS0_18inequality_wrapperIZN2at6native12_GLOBAL__N_124unique_dim_cuda_templateIaEESt5tupleIJNSH_6TensorESM_SM_EERKSM_lbbbEUlllE0_EEPmJS6_EEE10hipError_tPvRmT3_T4_T5_T6_T7_T9_mT8_P12ihipStream_tbDpT10_ENKUlT_T0_E_clISt17integral_constantIbLb1EES1C_EEDaS17_S18_EUlS17_E_NS1_11comp_targetILNS1_3genE3ELNS1_11target_archE908ELNS1_3gpuE7ELNS1_3repE0EEENS1_30default_config_static_selectorELNS0_4arch9wavefront6targetE0EEEvT1_.numbered_sgpr, 0
	.set _ZN7rocprim17ROCPRIM_400000_NS6detail17trampoline_kernelINS0_14default_configENS1_25partition_config_selectorILNS1_17partition_subalgoE8ElNS0_10empty_typeEbEEZZNS1_14partition_implILS5_8ELb0ES3_jPlPS6_PKS6_NS0_5tupleIJS9_S6_EEENSD_IJSA_SA_EEENS0_18inequality_wrapperIZN2at6native12_GLOBAL__N_124unique_dim_cuda_templateIaEESt5tupleIJNSH_6TensorESM_SM_EERKSM_lbbbEUlllE0_EEPmJS6_EEE10hipError_tPvRmT3_T4_T5_T6_T7_T9_mT8_P12ihipStream_tbDpT10_ENKUlT_T0_E_clISt17integral_constantIbLb1EES1C_EEDaS17_S18_EUlS17_E_NS1_11comp_targetILNS1_3genE3ELNS1_11target_archE908ELNS1_3gpuE7ELNS1_3repE0EEENS1_30default_config_static_selectorELNS0_4arch9wavefront6targetE0EEEvT1_.num_named_barrier, 0
	.set _ZN7rocprim17ROCPRIM_400000_NS6detail17trampoline_kernelINS0_14default_configENS1_25partition_config_selectorILNS1_17partition_subalgoE8ElNS0_10empty_typeEbEEZZNS1_14partition_implILS5_8ELb0ES3_jPlPS6_PKS6_NS0_5tupleIJS9_S6_EEENSD_IJSA_SA_EEENS0_18inequality_wrapperIZN2at6native12_GLOBAL__N_124unique_dim_cuda_templateIaEESt5tupleIJNSH_6TensorESM_SM_EERKSM_lbbbEUlllE0_EEPmJS6_EEE10hipError_tPvRmT3_T4_T5_T6_T7_T9_mT8_P12ihipStream_tbDpT10_ENKUlT_T0_E_clISt17integral_constantIbLb1EES1C_EEDaS17_S18_EUlS17_E_NS1_11comp_targetILNS1_3genE3ELNS1_11target_archE908ELNS1_3gpuE7ELNS1_3repE0EEENS1_30default_config_static_selectorELNS0_4arch9wavefront6targetE0EEEvT1_.private_seg_size, 0
	.set _ZN7rocprim17ROCPRIM_400000_NS6detail17trampoline_kernelINS0_14default_configENS1_25partition_config_selectorILNS1_17partition_subalgoE8ElNS0_10empty_typeEbEEZZNS1_14partition_implILS5_8ELb0ES3_jPlPS6_PKS6_NS0_5tupleIJS9_S6_EEENSD_IJSA_SA_EEENS0_18inequality_wrapperIZN2at6native12_GLOBAL__N_124unique_dim_cuda_templateIaEESt5tupleIJNSH_6TensorESM_SM_EERKSM_lbbbEUlllE0_EEPmJS6_EEE10hipError_tPvRmT3_T4_T5_T6_T7_T9_mT8_P12ihipStream_tbDpT10_ENKUlT_T0_E_clISt17integral_constantIbLb1EES1C_EEDaS17_S18_EUlS17_E_NS1_11comp_targetILNS1_3genE3ELNS1_11target_archE908ELNS1_3gpuE7ELNS1_3repE0EEENS1_30default_config_static_selectorELNS0_4arch9wavefront6targetE0EEEvT1_.uses_vcc, 0
	.set _ZN7rocprim17ROCPRIM_400000_NS6detail17trampoline_kernelINS0_14default_configENS1_25partition_config_selectorILNS1_17partition_subalgoE8ElNS0_10empty_typeEbEEZZNS1_14partition_implILS5_8ELb0ES3_jPlPS6_PKS6_NS0_5tupleIJS9_S6_EEENSD_IJSA_SA_EEENS0_18inequality_wrapperIZN2at6native12_GLOBAL__N_124unique_dim_cuda_templateIaEESt5tupleIJNSH_6TensorESM_SM_EERKSM_lbbbEUlllE0_EEPmJS6_EEE10hipError_tPvRmT3_T4_T5_T6_T7_T9_mT8_P12ihipStream_tbDpT10_ENKUlT_T0_E_clISt17integral_constantIbLb1EES1C_EEDaS17_S18_EUlS17_E_NS1_11comp_targetILNS1_3genE3ELNS1_11target_archE908ELNS1_3gpuE7ELNS1_3repE0EEENS1_30default_config_static_selectorELNS0_4arch9wavefront6targetE0EEEvT1_.uses_flat_scratch, 0
	.set _ZN7rocprim17ROCPRIM_400000_NS6detail17trampoline_kernelINS0_14default_configENS1_25partition_config_selectorILNS1_17partition_subalgoE8ElNS0_10empty_typeEbEEZZNS1_14partition_implILS5_8ELb0ES3_jPlPS6_PKS6_NS0_5tupleIJS9_S6_EEENSD_IJSA_SA_EEENS0_18inequality_wrapperIZN2at6native12_GLOBAL__N_124unique_dim_cuda_templateIaEESt5tupleIJNSH_6TensorESM_SM_EERKSM_lbbbEUlllE0_EEPmJS6_EEE10hipError_tPvRmT3_T4_T5_T6_T7_T9_mT8_P12ihipStream_tbDpT10_ENKUlT_T0_E_clISt17integral_constantIbLb1EES1C_EEDaS17_S18_EUlS17_E_NS1_11comp_targetILNS1_3genE3ELNS1_11target_archE908ELNS1_3gpuE7ELNS1_3repE0EEENS1_30default_config_static_selectorELNS0_4arch9wavefront6targetE0EEEvT1_.has_dyn_sized_stack, 0
	.set _ZN7rocprim17ROCPRIM_400000_NS6detail17trampoline_kernelINS0_14default_configENS1_25partition_config_selectorILNS1_17partition_subalgoE8ElNS0_10empty_typeEbEEZZNS1_14partition_implILS5_8ELb0ES3_jPlPS6_PKS6_NS0_5tupleIJS9_S6_EEENSD_IJSA_SA_EEENS0_18inequality_wrapperIZN2at6native12_GLOBAL__N_124unique_dim_cuda_templateIaEESt5tupleIJNSH_6TensorESM_SM_EERKSM_lbbbEUlllE0_EEPmJS6_EEE10hipError_tPvRmT3_T4_T5_T6_T7_T9_mT8_P12ihipStream_tbDpT10_ENKUlT_T0_E_clISt17integral_constantIbLb1EES1C_EEDaS17_S18_EUlS17_E_NS1_11comp_targetILNS1_3genE3ELNS1_11target_archE908ELNS1_3gpuE7ELNS1_3repE0EEENS1_30default_config_static_selectorELNS0_4arch9wavefront6targetE0EEEvT1_.has_recursion, 0
	.set _ZN7rocprim17ROCPRIM_400000_NS6detail17trampoline_kernelINS0_14default_configENS1_25partition_config_selectorILNS1_17partition_subalgoE8ElNS0_10empty_typeEbEEZZNS1_14partition_implILS5_8ELb0ES3_jPlPS6_PKS6_NS0_5tupleIJS9_S6_EEENSD_IJSA_SA_EEENS0_18inequality_wrapperIZN2at6native12_GLOBAL__N_124unique_dim_cuda_templateIaEESt5tupleIJNSH_6TensorESM_SM_EERKSM_lbbbEUlllE0_EEPmJS6_EEE10hipError_tPvRmT3_T4_T5_T6_T7_T9_mT8_P12ihipStream_tbDpT10_ENKUlT_T0_E_clISt17integral_constantIbLb1EES1C_EEDaS17_S18_EUlS17_E_NS1_11comp_targetILNS1_3genE3ELNS1_11target_archE908ELNS1_3gpuE7ELNS1_3repE0EEENS1_30default_config_static_selectorELNS0_4arch9wavefront6targetE0EEEvT1_.has_indirect_call, 0
	.section	.AMDGPU.csdata,"",@progbits
; Kernel info:
; codeLenInByte = 0
; TotalNumSgprs: 0
; NumVgprs: 0
; ScratchSize: 0
; MemoryBound: 0
; FloatMode: 240
; IeeeMode: 1
; LDSByteSize: 0 bytes/workgroup (compile time only)
; SGPRBlocks: 0
; VGPRBlocks: 0
; NumSGPRsForWavesPerEU: 1
; NumVGPRsForWavesPerEU: 1
; NamedBarCnt: 0
; Occupancy: 16
; WaveLimiterHint : 0
; COMPUTE_PGM_RSRC2:SCRATCH_EN: 0
; COMPUTE_PGM_RSRC2:USER_SGPR: 2
; COMPUTE_PGM_RSRC2:TRAP_HANDLER: 0
; COMPUTE_PGM_RSRC2:TGID_X_EN: 1
; COMPUTE_PGM_RSRC2:TGID_Y_EN: 0
; COMPUTE_PGM_RSRC2:TGID_Z_EN: 0
; COMPUTE_PGM_RSRC2:TIDIG_COMP_CNT: 0
	.section	.text._ZN7rocprim17ROCPRIM_400000_NS6detail17trampoline_kernelINS0_14default_configENS1_25partition_config_selectorILNS1_17partition_subalgoE8ElNS0_10empty_typeEbEEZZNS1_14partition_implILS5_8ELb0ES3_jPlPS6_PKS6_NS0_5tupleIJS9_S6_EEENSD_IJSA_SA_EEENS0_18inequality_wrapperIZN2at6native12_GLOBAL__N_124unique_dim_cuda_templateIaEESt5tupleIJNSH_6TensorESM_SM_EERKSM_lbbbEUlllE0_EEPmJS6_EEE10hipError_tPvRmT3_T4_T5_T6_T7_T9_mT8_P12ihipStream_tbDpT10_ENKUlT_T0_E_clISt17integral_constantIbLb1EES1C_EEDaS17_S18_EUlS17_E_NS1_11comp_targetILNS1_3genE2ELNS1_11target_archE906ELNS1_3gpuE6ELNS1_3repE0EEENS1_30default_config_static_selectorELNS0_4arch9wavefront6targetE0EEEvT1_,"axG",@progbits,_ZN7rocprim17ROCPRIM_400000_NS6detail17trampoline_kernelINS0_14default_configENS1_25partition_config_selectorILNS1_17partition_subalgoE8ElNS0_10empty_typeEbEEZZNS1_14partition_implILS5_8ELb0ES3_jPlPS6_PKS6_NS0_5tupleIJS9_S6_EEENSD_IJSA_SA_EEENS0_18inequality_wrapperIZN2at6native12_GLOBAL__N_124unique_dim_cuda_templateIaEESt5tupleIJNSH_6TensorESM_SM_EERKSM_lbbbEUlllE0_EEPmJS6_EEE10hipError_tPvRmT3_T4_T5_T6_T7_T9_mT8_P12ihipStream_tbDpT10_ENKUlT_T0_E_clISt17integral_constantIbLb1EES1C_EEDaS17_S18_EUlS17_E_NS1_11comp_targetILNS1_3genE2ELNS1_11target_archE906ELNS1_3gpuE6ELNS1_3repE0EEENS1_30default_config_static_selectorELNS0_4arch9wavefront6targetE0EEEvT1_,comdat
	.globl	_ZN7rocprim17ROCPRIM_400000_NS6detail17trampoline_kernelINS0_14default_configENS1_25partition_config_selectorILNS1_17partition_subalgoE8ElNS0_10empty_typeEbEEZZNS1_14partition_implILS5_8ELb0ES3_jPlPS6_PKS6_NS0_5tupleIJS9_S6_EEENSD_IJSA_SA_EEENS0_18inequality_wrapperIZN2at6native12_GLOBAL__N_124unique_dim_cuda_templateIaEESt5tupleIJNSH_6TensorESM_SM_EERKSM_lbbbEUlllE0_EEPmJS6_EEE10hipError_tPvRmT3_T4_T5_T6_T7_T9_mT8_P12ihipStream_tbDpT10_ENKUlT_T0_E_clISt17integral_constantIbLb1EES1C_EEDaS17_S18_EUlS17_E_NS1_11comp_targetILNS1_3genE2ELNS1_11target_archE906ELNS1_3gpuE6ELNS1_3repE0EEENS1_30default_config_static_selectorELNS0_4arch9wavefront6targetE0EEEvT1_ ; -- Begin function _ZN7rocprim17ROCPRIM_400000_NS6detail17trampoline_kernelINS0_14default_configENS1_25partition_config_selectorILNS1_17partition_subalgoE8ElNS0_10empty_typeEbEEZZNS1_14partition_implILS5_8ELb0ES3_jPlPS6_PKS6_NS0_5tupleIJS9_S6_EEENSD_IJSA_SA_EEENS0_18inequality_wrapperIZN2at6native12_GLOBAL__N_124unique_dim_cuda_templateIaEESt5tupleIJNSH_6TensorESM_SM_EERKSM_lbbbEUlllE0_EEPmJS6_EEE10hipError_tPvRmT3_T4_T5_T6_T7_T9_mT8_P12ihipStream_tbDpT10_ENKUlT_T0_E_clISt17integral_constantIbLb1EES1C_EEDaS17_S18_EUlS17_E_NS1_11comp_targetILNS1_3genE2ELNS1_11target_archE906ELNS1_3gpuE6ELNS1_3repE0EEENS1_30default_config_static_selectorELNS0_4arch9wavefront6targetE0EEEvT1_
	.p2align	8
	.type	_ZN7rocprim17ROCPRIM_400000_NS6detail17trampoline_kernelINS0_14default_configENS1_25partition_config_selectorILNS1_17partition_subalgoE8ElNS0_10empty_typeEbEEZZNS1_14partition_implILS5_8ELb0ES3_jPlPS6_PKS6_NS0_5tupleIJS9_S6_EEENSD_IJSA_SA_EEENS0_18inequality_wrapperIZN2at6native12_GLOBAL__N_124unique_dim_cuda_templateIaEESt5tupleIJNSH_6TensorESM_SM_EERKSM_lbbbEUlllE0_EEPmJS6_EEE10hipError_tPvRmT3_T4_T5_T6_T7_T9_mT8_P12ihipStream_tbDpT10_ENKUlT_T0_E_clISt17integral_constantIbLb1EES1C_EEDaS17_S18_EUlS17_E_NS1_11comp_targetILNS1_3genE2ELNS1_11target_archE906ELNS1_3gpuE6ELNS1_3repE0EEENS1_30default_config_static_selectorELNS0_4arch9wavefront6targetE0EEEvT1_,@function
_ZN7rocprim17ROCPRIM_400000_NS6detail17trampoline_kernelINS0_14default_configENS1_25partition_config_selectorILNS1_17partition_subalgoE8ElNS0_10empty_typeEbEEZZNS1_14partition_implILS5_8ELb0ES3_jPlPS6_PKS6_NS0_5tupleIJS9_S6_EEENSD_IJSA_SA_EEENS0_18inequality_wrapperIZN2at6native12_GLOBAL__N_124unique_dim_cuda_templateIaEESt5tupleIJNSH_6TensorESM_SM_EERKSM_lbbbEUlllE0_EEPmJS6_EEE10hipError_tPvRmT3_T4_T5_T6_T7_T9_mT8_P12ihipStream_tbDpT10_ENKUlT_T0_E_clISt17integral_constantIbLb1EES1C_EEDaS17_S18_EUlS17_E_NS1_11comp_targetILNS1_3genE2ELNS1_11target_archE906ELNS1_3gpuE6ELNS1_3repE0EEENS1_30default_config_static_selectorELNS0_4arch9wavefront6targetE0EEEvT1_: ; @_ZN7rocprim17ROCPRIM_400000_NS6detail17trampoline_kernelINS0_14default_configENS1_25partition_config_selectorILNS1_17partition_subalgoE8ElNS0_10empty_typeEbEEZZNS1_14partition_implILS5_8ELb0ES3_jPlPS6_PKS6_NS0_5tupleIJS9_S6_EEENSD_IJSA_SA_EEENS0_18inequality_wrapperIZN2at6native12_GLOBAL__N_124unique_dim_cuda_templateIaEESt5tupleIJNSH_6TensorESM_SM_EERKSM_lbbbEUlllE0_EEPmJS6_EEE10hipError_tPvRmT3_T4_T5_T6_T7_T9_mT8_P12ihipStream_tbDpT10_ENKUlT_T0_E_clISt17integral_constantIbLb1EES1C_EEDaS17_S18_EUlS17_E_NS1_11comp_targetILNS1_3genE2ELNS1_11target_archE906ELNS1_3gpuE6ELNS1_3repE0EEENS1_30default_config_static_selectorELNS0_4arch9wavefront6targetE0EEEvT1_
; %bb.0:
	.section	.rodata,"a",@progbits
	.p2align	6, 0x0
	.amdhsa_kernel _ZN7rocprim17ROCPRIM_400000_NS6detail17trampoline_kernelINS0_14default_configENS1_25partition_config_selectorILNS1_17partition_subalgoE8ElNS0_10empty_typeEbEEZZNS1_14partition_implILS5_8ELb0ES3_jPlPS6_PKS6_NS0_5tupleIJS9_S6_EEENSD_IJSA_SA_EEENS0_18inequality_wrapperIZN2at6native12_GLOBAL__N_124unique_dim_cuda_templateIaEESt5tupleIJNSH_6TensorESM_SM_EERKSM_lbbbEUlllE0_EEPmJS6_EEE10hipError_tPvRmT3_T4_T5_T6_T7_T9_mT8_P12ihipStream_tbDpT10_ENKUlT_T0_E_clISt17integral_constantIbLb1EES1C_EEDaS17_S18_EUlS17_E_NS1_11comp_targetILNS1_3genE2ELNS1_11target_archE906ELNS1_3gpuE6ELNS1_3repE0EEENS1_30default_config_static_selectorELNS0_4arch9wavefront6targetE0EEEvT1_
		.amdhsa_group_segment_fixed_size 0
		.amdhsa_private_segment_fixed_size 0
		.amdhsa_kernarg_size 136
		.amdhsa_user_sgpr_count 2
		.amdhsa_user_sgpr_dispatch_ptr 0
		.amdhsa_user_sgpr_queue_ptr 0
		.amdhsa_user_sgpr_kernarg_segment_ptr 1
		.amdhsa_user_sgpr_dispatch_id 0
		.amdhsa_user_sgpr_kernarg_preload_length 0
		.amdhsa_user_sgpr_kernarg_preload_offset 0
		.amdhsa_user_sgpr_private_segment_size 0
		.amdhsa_wavefront_size32 1
		.amdhsa_uses_dynamic_stack 0
		.amdhsa_enable_private_segment 0
		.amdhsa_system_sgpr_workgroup_id_x 1
		.amdhsa_system_sgpr_workgroup_id_y 0
		.amdhsa_system_sgpr_workgroup_id_z 0
		.amdhsa_system_sgpr_workgroup_info 0
		.amdhsa_system_vgpr_workitem_id 0
		.amdhsa_next_free_vgpr 1
		.amdhsa_next_free_sgpr 1
		.amdhsa_named_barrier_count 0
		.amdhsa_reserve_vcc 0
		.amdhsa_float_round_mode_32 0
		.amdhsa_float_round_mode_16_64 0
		.amdhsa_float_denorm_mode_32 3
		.amdhsa_float_denorm_mode_16_64 3
		.amdhsa_fp16_overflow 0
		.amdhsa_memory_ordered 1
		.amdhsa_forward_progress 1
		.amdhsa_inst_pref_size 0
		.amdhsa_round_robin_scheduling 0
		.amdhsa_exception_fp_ieee_invalid_op 0
		.amdhsa_exception_fp_denorm_src 0
		.amdhsa_exception_fp_ieee_div_zero 0
		.amdhsa_exception_fp_ieee_overflow 0
		.amdhsa_exception_fp_ieee_underflow 0
		.amdhsa_exception_fp_ieee_inexact 0
		.amdhsa_exception_int_div_zero 0
	.end_amdhsa_kernel
	.section	.text._ZN7rocprim17ROCPRIM_400000_NS6detail17trampoline_kernelINS0_14default_configENS1_25partition_config_selectorILNS1_17partition_subalgoE8ElNS0_10empty_typeEbEEZZNS1_14partition_implILS5_8ELb0ES3_jPlPS6_PKS6_NS0_5tupleIJS9_S6_EEENSD_IJSA_SA_EEENS0_18inequality_wrapperIZN2at6native12_GLOBAL__N_124unique_dim_cuda_templateIaEESt5tupleIJNSH_6TensorESM_SM_EERKSM_lbbbEUlllE0_EEPmJS6_EEE10hipError_tPvRmT3_T4_T5_T6_T7_T9_mT8_P12ihipStream_tbDpT10_ENKUlT_T0_E_clISt17integral_constantIbLb1EES1C_EEDaS17_S18_EUlS17_E_NS1_11comp_targetILNS1_3genE2ELNS1_11target_archE906ELNS1_3gpuE6ELNS1_3repE0EEENS1_30default_config_static_selectorELNS0_4arch9wavefront6targetE0EEEvT1_,"axG",@progbits,_ZN7rocprim17ROCPRIM_400000_NS6detail17trampoline_kernelINS0_14default_configENS1_25partition_config_selectorILNS1_17partition_subalgoE8ElNS0_10empty_typeEbEEZZNS1_14partition_implILS5_8ELb0ES3_jPlPS6_PKS6_NS0_5tupleIJS9_S6_EEENSD_IJSA_SA_EEENS0_18inequality_wrapperIZN2at6native12_GLOBAL__N_124unique_dim_cuda_templateIaEESt5tupleIJNSH_6TensorESM_SM_EERKSM_lbbbEUlllE0_EEPmJS6_EEE10hipError_tPvRmT3_T4_T5_T6_T7_T9_mT8_P12ihipStream_tbDpT10_ENKUlT_T0_E_clISt17integral_constantIbLb1EES1C_EEDaS17_S18_EUlS17_E_NS1_11comp_targetILNS1_3genE2ELNS1_11target_archE906ELNS1_3gpuE6ELNS1_3repE0EEENS1_30default_config_static_selectorELNS0_4arch9wavefront6targetE0EEEvT1_,comdat
.Lfunc_end331:
	.size	_ZN7rocprim17ROCPRIM_400000_NS6detail17trampoline_kernelINS0_14default_configENS1_25partition_config_selectorILNS1_17partition_subalgoE8ElNS0_10empty_typeEbEEZZNS1_14partition_implILS5_8ELb0ES3_jPlPS6_PKS6_NS0_5tupleIJS9_S6_EEENSD_IJSA_SA_EEENS0_18inequality_wrapperIZN2at6native12_GLOBAL__N_124unique_dim_cuda_templateIaEESt5tupleIJNSH_6TensorESM_SM_EERKSM_lbbbEUlllE0_EEPmJS6_EEE10hipError_tPvRmT3_T4_T5_T6_T7_T9_mT8_P12ihipStream_tbDpT10_ENKUlT_T0_E_clISt17integral_constantIbLb1EES1C_EEDaS17_S18_EUlS17_E_NS1_11comp_targetILNS1_3genE2ELNS1_11target_archE906ELNS1_3gpuE6ELNS1_3repE0EEENS1_30default_config_static_selectorELNS0_4arch9wavefront6targetE0EEEvT1_, .Lfunc_end331-_ZN7rocprim17ROCPRIM_400000_NS6detail17trampoline_kernelINS0_14default_configENS1_25partition_config_selectorILNS1_17partition_subalgoE8ElNS0_10empty_typeEbEEZZNS1_14partition_implILS5_8ELb0ES3_jPlPS6_PKS6_NS0_5tupleIJS9_S6_EEENSD_IJSA_SA_EEENS0_18inequality_wrapperIZN2at6native12_GLOBAL__N_124unique_dim_cuda_templateIaEESt5tupleIJNSH_6TensorESM_SM_EERKSM_lbbbEUlllE0_EEPmJS6_EEE10hipError_tPvRmT3_T4_T5_T6_T7_T9_mT8_P12ihipStream_tbDpT10_ENKUlT_T0_E_clISt17integral_constantIbLb1EES1C_EEDaS17_S18_EUlS17_E_NS1_11comp_targetILNS1_3genE2ELNS1_11target_archE906ELNS1_3gpuE6ELNS1_3repE0EEENS1_30default_config_static_selectorELNS0_4arch9wavefront6targetE0EEEvT1_
                                        ; -- End function
	.set _ZN7rocprim17ROCPRIM_400000_NS6detail17trampoline_kernelINS0_14default_configENS1_25partition_config_selectorILNS1_17partition_subalgoE8ElNS0_10empty_typeEbEEZZNS1_14partition_implILS5_8ELb0ES3_jPlPS6_PKS6_NS0_5tupleIJS9_S6_EEENSD_IJSA_SA_EEENS0_18inequality_wrapperIZN2at6native12_GLOBAL__N_124unique_dim_cuda_templateIaEESt5tupleIJNSH_6TensorESM_SM_EERKSM_lbbbEUlllE0_EEPmJS6_EEE10hipError_tPvRmT3_T4_T5_T6_T7_T9_mT8_P12ihipStream_tbDpT10_ENKUlT_T0_E_clISt17integral_constantIbLb1EES1C_EEDaS17_S18_EUlS17_E_NS1_11comp_targetILNS1_3genE2ELNS1_11target_archE906ELNS1_3gpuE6ELNS1_3repE0EEENS1_30default_config_static_selectorELNS0_4arch9wavefront6targetE0EEEvT1_.num_vgpr, 0
	.set _ZN7rocprim17ROCPRIM_400000_NS6detail17trampoline_kernelINS0_14default_configENS1_25partition_config_selectorILNS1_17partition_subalgoE8ElNS0_10empty_typeEbEEZZNS1_14partition_implILS5_8ELb0ES3_jPlPS6_PKS6_NS0_5tupleIJS9_S6_EEENSD_IJSA_SA_EEENS0_18inequality_wrapperIZN2at6native12_GLOBAL__N_124unique_dim_cuda_templateIaEESt5tupleIJNSH_6TensorESM_SM_EERKSM_lbbbEUlllE0_EEPmJS6_EEE10hipError_tPvRmT3_T4_T5_T6_T7_T9_mT8_P12ihipStream_tbDpT10_ENKUlT_T0_E_clISt17integral_constantIbLb1EES1C_EEDaS17_S18_EUlS17_E_NS1_11comp_targetILNS1_3genE2ELNS1_11target_archE906ELNS1_3gpuE6ELNS1_3repE0EEENS1_30default_config_static_selectorELNS0_4arch9wavefront6targetE0EEEvT1_.num_agpr, 0
	.set _ZN7rocprim17ROCPRIM_400000_NS6detail17trampoline_kernelINS0_14default_configENS1_25partition_config_selectorILNS1_17partition_subalgoE8ElNS0_10empty_typeEbEEZZNS1_14partition_implILS5_8ELb0ES3_jPlPS6_PKS6_NS0_5tupleIJS9_S6_EEENSD_IJSA_SA_EEENS0_18inequality_wrapperIZN2at6native12_GLOBAL__N_124unique_dim_cuda_templateIaEESt5tupleIJNSH_6TensorESM_SM_EERKSM_lbbbEUlllE0_EEPmJS6_EEE10hipError_tPvRmT3_T4_T5_T6_T7_T9_mT8_P12ihipStream_tbDpT10_ENKUlT_T0_E_clISt17integral_constantIbLb1EES1C_EEDaS17_S18_EUlS17_E_NS1_11comp_targetILNS1_3genE2ELNS1_11target_archE906ELNS1_3gpuE6ELNS1_3repE0EEENS1_30default_config_static_selectorELNS0_4arch9wavefront6targetE0EEEvT1_.numbered_sgpr, 0
	.set _ZN7rocprim17ROCPRIM_400000_NS6detail17trampoline_kernelINS0_14default_configENS1_25partition_config_selectorILNS1_17partition_subalgoE8ElNS0_10empty_typeEbEEZZNS1_14partition_implILS5_8ELb0ES3_jPlPS6_PKS6_NS0_5tupleIJS9_S6_EEENSD_IJSA_SA_EEENS0_18inequality_wrapperIZN2at6native12_GLOBAL__N_124unique_dim_cuda_templateIaEESt5tupleIJNSH_6TensorESM_SM_EERKSM_lbbbEUlllE0_EEPmJS6_EEE10hipError_tPvRmT3_T4_T5_T6_T7_T9_mT8_P12ihipStream_tbDpT10_ENKUlT_T0_E_clISt17integral_constantIbLb1EES1C_EEDaS17_S18_EUlS17_E_NS1_11comp_targetILNS1_3genE2ELNS1_11target_archE906ELNS1_3gpuE6ELNS1_3repE0EEENS1_30default_config_static_selectorELNS0_4arch9wavefront6targetE0EEEvT1_.num_named_barrier, 0
	.set _ZN7rocprim17ROCPRIM_400000_NS6detail17trampoline_kernelINS0_14default_configENS1_25partition_config_selectorILNS1_17partition_subalgoE8ElNS0_10empty_typeEbEEZZNS1_14partition_implILS5_8ELb0ES3_jPlPS6_PKS6_NS0_5tupleIJS9_S6_EEENSD_IJSA_SA_EEENS0_18inequality_wrapperIZN2at6native12_GLOBAL__N_124unique_dim_cuda_templateIaEESt5tupleIJNSH_6TensorESM_SM_EERKSM_lbbbEUlllE0_EEPmJS6_EEE10hipError_tPvRmT3_T4_T5_T6_T7_T9_mT8_P12ihipStream_tbDpT10_ENKUlT_T0_E_clISt17integral_constantIbLb1EES1C_EEDaS17_S18_EUlS17_E_NS1_11comp_targetILNS1_3genE2ELNS1_11target_archE906ELNS1_3gpuE6ELNS1_3repE0EEENS1_30default_config_static_selectorELNS0_4arch9wavefront6targetE0EEEvT1_.private_seg_size, 0
	.set _ZN7rocprim17ROCPRIM_400000_NS6detail17trampoline_kernelINS0_14default_configENS1_25partition_config_selectorILNS1_17partition_subalgoE8ElNS0_10empty_typeEbEEZZNS1_14partition_implILS5_8ELb0ES3_jPlPS6_PKS6_NS0_5tupleIJS9_S6_EEENSD_IJSA_SA_EEENS0_18inequality_wrapperIZN2at6native12_GLOBAL__N_124unique_dim_cuda_templateIaEESt5tupleIJNSH_6TensorESM_SM_EERKSM_lbbbEUlllE0_EEPmJS6_EEE10hipError_tPvRmT3_T4_T5_T6_T7_T9_mT8_P12ihipStream_tbDpT10_ENKUlT_T0_E_clISt17integral_constantIbLb1EES1C_EEDaS17_S18_EUlS17_E_NS1_11comp_targetILNS1_3genE2ELNS1_11target_archE906ELNS1_3gpuE6ELNS1_3repE0EEENS1_30default_config_static_selectorELNS0_4arch9wavefront6targetE0EEEvT1_.uses_vcc, 0
	.set _ZN7rocprim17ROCPRIM_400000_NS6detail17trampoline_kernelINS0_14default_configENS1_25partition_config_selectorILNS1_17partition_subalgoE8ElNS0_10empty_typeEbEEZZNS1_14partition_implILS5_8ELb0ES3_jPlPS6_PKS6_NS0_5tupleIJS9_S6_EEENSD_IJSA_SA_EEENS0_18inequality_wrapperIZN2at6native12_GLOBAL__N_124unique_dim_cuda_templateIaEESt5tupleIJNSH_6TensorESM_SM_EERKSM_lbbbEUlllE0_EEPmJS6_EEE10hipError_tPvRmT3_T4_T5_T6_T7_T9_mT8_P12ihipStream_tbDpT10_ENKUlT_T0_E_clISt17integral_constantIbLb1EES1C_EEDaS17_S18_EUlS17_E_NS1_11comp_targetILNS1_3genE2ELNS1_11target_archE906ELNS1_3gpuE6ELNS1_3repE0EEENS1_30default_config_static_selectorELNS0_4arch9wavefront6targetE0EEEvT1_.uses_flat_scratch, 0
	.set _ZN7rocprim17ROCPRIM_400000_NS6detail17trampoline_kernelINS0_14default_configENS1_25partition_config_selectorILNS1_17partition_subalgoE8ElNS0_10empty_typeEbEEZZNS1_14partition_implILS5_8ELb0ES3_jPlPS6_PKS6_NS0_5tupleIJS9_S6_EEENSD_IJSA_SA_EEENS0_18inequality_wrapperIZN2at6native12_GLOBAL__N_124unique_dim_cuda_templateIaEESt5tupleIJNSH_6TensorESM_SM_EERKSM_lbbbEUlllE0_EEPmJS6_EEE10hipError_tPvRmT3_T4_T5_T6_T7_T9_mT8_P12ihipStream_tbDpT10_ENKUlT_T0_E_clISt17integral_constantIbLb1EES1C_EEDaS17_S18_EUlS17_E_NS1_11comp_targetILNS1_3genE2ELNS1_11target_archE906ELNS1_3gpuE6ELNS1_3repE0EEENS1_30default_config_static_selectorELNS0_4arch9wavefront6targetE0EEEvT1_.has_dyn_sized_stack, 0
	.set _ZN7rocprim17ROCPRIM_400000_NS6detail17trampoline_kernelINS0_14default_configENS1_25partition_config_selectorILNS1_17partition_subalgoE8ElNS0_10empty_typeEbEEZZNS1_14partition_implILS5_8ELb0ES3_jPlPS6_PKS6_NS0_5tupleIJS9_S6_EEENSD_IJSA_SA_EEENS0_18inequality_wrapperIZN2at6native12_GLOBAL__N_124unique_dim_cuda_templateIaEESt5tupleIJNSH_6TensorESM_SM_EERKSM_lbbbEUlllE0_EEPmJS6_EEE10hipError_tPvRmT3_T4_T5_T6_T7_T9_mT8_P12ihipStream_tbDpT10_ENKUlT_T0_E_clISt17integral_constantIbLb1EES1C_EEDaS17_S18_EUlS17_E_NS1_11comp_targetILNS1_3genE2ELNS1_11target_archE906ELNS1_3gpuE6ELNS1_3repE0EEENS1_30default_config_static_selectorELNS0_4arch9wavefront6targetE0EEEvT1_.has_recursion, 0
	.set _ZN7rocprim17ROCPRIM_400000_NS6detail17trampoline_kernelINS0_14default_configENS1_25partition_config_selectorILNS1_17partition_subalgoE8ElNS0_10empty_typeEbEEZZNS1_14partition_implILS5_8ELb0ES3_jPlPS6_PKS6_NS0_5tupleIJS9_S6_EEENSD_IJSA_SA_EEENS0_18inequality_wrapperIZN2at6native12_GLOBAL__N_124unique_dim_cuda_templateIaEESt5tupleIJNSH_6TensorESM_SM_EERKSM_lbbbEUlllE0_EEPmJS6_EEE10hipError_tPvRmT3_T4_T5_T6_T7_T9_mT8_P12ihipStream_tbDpT10_ENKUlT_T0_E_clISt17integral_constantIbLb1EES1C_EEDaS17_S18_EUlS17_E_NS1_11comp_targetILNS1_3genE2ELNS1_11target_archE906ELNS1_3gpuE6ELNS1_3repE0EEENS1_30default_config_static_selectorELNS0_4arch9wavefront6targetE0EEEvT1_.has_indirect_call, 0
	.section	.AMDGPU.csdata,"",@progbits
; Kernel info:
; codeLenInByte = 0
; TotalNumSgprs: 0
; NumVgprs: 0
; ScratchSize: 0
; MemoryBound: 0
; FloatMode: 240
; IeeeMode: 1
; LDSByteSize: 0 bytes/workgroup (compile time only)
; SGPRBlocks: 0
; VGPRBlocks: 0
; NumSGPRsForWavesPerEU: 1
; NumVGPRsForWavesPerEU: 1
; NamedBarCnt: 0
; Occupancy: 16
; WaveLimiterHint : 0
; COMPUTE_PGM_RSRC2:SCRATCH_EN: 0
; COMPUTE_PGM_RSRC2:USER_SGPR: 2
; COMPUTE_PGM_RSRC2:TRAP_HANDLER: 0
; COMPUTE_PGM_RSRC2:TGID_X_EN: 1
; COMPUTE_PGM_RSRC2:TGID_Y_EN: 0
; COMPUTE_PGM_RSRC2:TGID_Z_EN: 0
; COMPUTE_PGM_RSRC2:TIDIG_COMP_CNT: 0
	.section	.text._ZN7rocprim17ROCPRIM_400000_NS6detail17trampoline_kernelINS0_14default_configENS1_25partition_config_selectorILNS1_17partition_subalgoE8ElNS0_10empty_typeEbEEZZNS1_14partition_implILS5_8ELb0ES3_jPlPS6_PKS6_NS0_5tupleIJS9_S6_EEENSD_IJSA_SA_EEENS0_18inequality_wrapperIZN2at6native12_GLOBAL__N_124unique_dim_cuda_templateIaEESt5tupleIJNSH_6TensorESM_SM_EERKSM_lbbbEUlllE0_EEPmJS6_EEE10hipError_tPvRmT3_T4_T5_T6_T7_T9_mT8_P12ihipStream_tbDpT10_ENKUlT_T0_E_clISt17integral_constantIbLb1EES1C_EEDaS17_S18_EUlS17_E_NS1_11comp_targetILNS1_3genE10ELNS1_11target_archE1200ELNS1_3gpuE4ELNS1_3repE0EEENS1_30default_config_static_selectorELNS0_4arch9wavefront6targetE0EEEvT1_,"axG",@progbits,_ZN7rocprim17ROCPRIM_400000_NS6detail17trampoline_kernelINS0_14default_configENS1_25partition_config_selectorILNS1_17partition_subalgoE8ElNS0_10empty_typeEbEEZZNS1_14partition_implILS5_8ELb0ES3_jPlPS6_PKS6_NS0_5tupleIJS9_S6_EEENSD_IJSA_SA_EEENS0_18inequality_wrapperIZN2at6native12_GLOBAL__N_124unique_dim_cuda_templateIaEESt5tupleIJNSH_6TensorESM_SM_EERKSM_lbbbEUlllE0_EEPmJS6_EEE10hipError_tPvRmT3_T4_T5_T6_T7_T9_mT8_P12ihipStream_tbDpT10_ENKUlT_T0_E_clISt17integral_constantIbLb1EES1C_EEDaS17_S18_EUlS17_E_NS1_11comp_targetILNS1_3genE10ELNS1_11target_archE1200ELNS1_3gpuE4ELNS1_3repE0EEENS1_30default_config_static_selectorELNS0_4arch9wavefront6targetE0EEEvT1_,comdat
	.globl	_ZN7rocprim17ROCPRIM_400000_NS6detail17trampoline_kernelINS0_14default_configENS1_25partition_config_selectorILNS1_17partition_subalgoE8ElNS0_10empty_typeEbEEZZNS1_14partition_implILS5_8ELb0ES3_jPlPS6_PKS6_NS0_5tupleIJS9_S6_EEENSD_IJSA_SA_EEENS0_18inequality_wrapperIZN2at6native12_GLOBAL__N_124unique_dim_cuda_templateIaEESt5tupleIJNSH_6TensorESM_SM_EERKSM_lbbbEUlllE0_EEPmJS6_EEE10hipError_tPvRmT3_T4_T5_T6_T7_T9_mT8_P12ihipStream_tbDpT10_ENKUlT_T0_E_clISt17integral_constantIbLb1EES1C_EEDaS17_S18_EUlS17_E_NS1_11comp_targetILNS1_3genE10ELNS1_11target_archE1200ELNS1_3gpuE4ELNS1_3repE0EEENS1_30default_config_static_selectorELNS0_4arch9wavefront6targetE0EEEvT1_ ; -- Begin function _ZN7rocprim17ROCPRIM_400000_NS6detail17trampoline_kernelINS0_14default_configENS1_25partition_config_selectorILNS1_17partition_subalgoE8ElNS0_10empty_typeEbEEZZNS1_14partition_implILS5_8ELb0ES3_jPlPS6_PKS6_NS0_5tupleIJS9_S6_EEENSD_IJSA_SA_EEENS0_18inequality_wrapperIZN2at6native12_GLOBAL__N_124unique_dim_cuda_templateIaEESt5tupleIJNSH_6TensorESM_SM_EERKSM_lbbbEUlllE0_EEPmJS6_EEE10hipError_tPvRmT3_T4_T5_T6_T7_T9_mT8_P12ihipStream_tbDpT10_ENKUlT_T0_E_clISt17integral_constantIbLb1EES1C_EEDaS17_S18_EUlS17_E_NS1_11comp_targetILNS1_3genE10ELNS1_11target_archE1200ELNS1_3gpuE4ELNS1_3repE0EEENS1_30default_config_static_selectorELNS0_4arch9wavefront6targetE0EEEvT1_
	.p2align	8
	.type	_ZN7rocprim17ROCPRIM_400000_NS6detail17trampoline_kernelINS0_14default_configENS1_25partition_config_selectorILNS1_17partition_subalgoE8ElNS0_10empty_typeEbEEZZNS1_14partition_implILS5_8ELb0ES3_jPlPS6_PKS6_NS0_5tupleIJS9_S6_EEENSD_IJSA_SA_EEENS0_18inequality_wrapperIZN2at6native12_GLOBAL__N_124unique_dim_cuda_templateIaEESt5tupleIJNSH_6TensorESM_SM_EERKSM_lbbbEUlllE0_EEPmJS6_EEE10hipError_tPvRmT3_T4_T5_T6_T7_T9_mT8_P12ihipStream_tbDpT10_ENKUlT_T0_E_clISt17integral_constantIbLb1EES1C_EEDaS17_S18_EUlS17_E_NS1_11comp_targetILNS1_3genE10ELNS1_11target_archE1200ELNS1_3gpuE4ELNS1_3repE0EEENS1_30default_config_static_selectorELNS0_4arch9wavefront6targetE0EEEvT1_,@function
_ZN7rocprim17ROCPRIM_400000_NS6detail17trampoline_kernelINS0_14default_configENS1_25partition_config_selectorILNS1_17partition_subalgoE8ElNS0_10empty_typeEbEEZZNS1_14partition_implILS5_8ELb0ES3_jPlPS6_PKS6_NS0_5tupleIJS9_S6_EEENSD_IJSA_SA_EEENS0_18inequality_wrapperIZN2at6native12_GLOBAL__N_124unique_dim_cuda_templateIaEESt5tupleIJNSH_6TensorESM_SM_EERKSM_lbbbEUlllE0_EEPmJS6_EEE10hipError_tPvRmT3_T4_T5_T6_T7_T9_mT8_P12ihipStream_tbDpT10_ENKUlT_T0_E_clISt17integral_constantIbLb1EES1C_EEDaS17_S18_EUlS17_E_NS1_11comp_targetILNS1_3genE10ELNS1_11target_archE1200ELNS1_3gpuE4ELNS1_3repE0EEENS1_30default_config_static_selectorELNS0_4arch9wavefront6targetE0EEEvT1_: ; @_ZN7rocprim17ROCPRIM_400000_NS6detail17trampoline_kernelINS0_14default_configENS1_25partition_config_selectorILNS1_17partition_subalgoE8ElNS0_10empty_typeEbEEZZNS1_14partition_implILS5_8ELb0ES3_jPlPS6_PKS6_NS0_5tupleIJS9_S6_EEENSD_IJSA_SA_EEENS0_18inequality_wrapperIZN2at6native12_GLOBAL__N_124unique_dim_cuda_templateIaEESt5tupleIJNSH_6TensorESM_SM_EERKSM_lbbbEUlllE0_EEPmJS6_EEE10hipError_tPvRmT3_T4_T5_T6_T7_T9_mT8_P12ihipStream_tbDpT10_ENKUlT_T0_E_clISt17integral_constantIbLb1EES1C_EEDaS17_S18_EUlS17_E_NS1_11comp_targetILNS1_3genE10ELNS1_11target_archE1200ELNS1_3gpuE4ELNS1_3repE0EEENS1_30default_config_static_selectorELNS0_4arch9wavefront6targetE0EEEvT1_
; %bb.0:
	.section	.rodata,"a",@progbits
	.p2align	6, 0x0
	.amdhsa_kernel _ZN7rocprim17ROCPRIM_400000_NS6detail17trampoline_kernelINS0_14default_configENS1_25partition_config_selectorILNS1_17partition_subalgoE8ElNS0_10empty_typeEbEEZZNS1_14partition_implILS5_8ELb0ES3_jPlPS6_PKS6_NS0_5tupleIJS9_S6_EEENSD_IJSA_SA_EEENS0_18inequality_wrapperIZN2at6native12_GLOBAL__N_124unique_dim_cuda_templateIaEESt5tupleIJNSH_6TensorESM_SM_EERKSM_lbbbEUlllE0_EEPmJS6_EEE10hipError_tPvRmT3_T4_T5_T6_T7_T9_mT8_P12ihipStream_tbDpT10_ENKUlT_T0_E_clISt17integral_constantIbLb1EES1C_EEDaS17_S18_EUlS17_E_NS1_11comp_targetILNS1_3genE10ELNS1_11target_archE1200ELNS1_3gpuE4ELNS1_3repE0EEENS1_30default_config_static_selectorELNS0_4arch9wavefront6targetE0EEEvT1_
		.amdhsa_group_segment_fixed_size 0
		.amdhsa_private_segment_fixed_size 0
		.amdhsa_kernarg_size 136
		.amdhsa_user_sgpr_count 2
		.amdhsa_user_sgpr_dispatch_ptr 0
		.amdhsa_user_sgpr_queue_ptr 0
		.amdhsa_user_sgpr_kernarg_segment_ptr 1
		.amdhsa_user_sgpr_dispatch_id 0
		.amdhsa_user_sgpr_kernarg_preload_length 0
		.amdhsa_user_sgpr_kernarg_preload_offset 0
		.amdhsa_user_sgpr_private_segment_size 0
		.amdhsa_wavefront_size32 1
		.amdhsa_uses_dynamic_stack 0
		.amdhsa_enable_private_segment 0
		.amdhsa_system_sgpr_workgroup_id_x 1
		.amdhsa_system_sgpr_workgroup_id_y 0
		.amdhsa_system_sgpr_workgroup_id_z 0
		.amdhsa_system_sgpr_workgroup_info 0
		.amdhsa_system_vgpr_workitem_id 0
		.amdhsa_next_free_vgpr 1
		.amdhsa_next_free_sgpr 1
		.amdhsa_named_barrier_count 0
		.amdhsa_reserve_vcc 0
		.amdhsa_float_round_mode_32 0
		.amdhsa_float_round_mode_16_64 0
		.amdhsa_float_denorm_mode_32 3
		.amdhsa_float_denorm_mode_16_64 3
		.amdhsa_fp16_overflow 0
		.amdhsa_memory_ordered 1
		.amdhsa_forward_progress 1
		.amdhsa_inst_pref_size 0
		.amdhsa_round_robin_scheduling 0
		.amdhsa_exception_fp_ieee_invalid_op 0
		.amdhsa_exception_fp_denorm_src 0
		.amdhsa_exception_fp_ieee_div_zero 0
		.amdhsa_exception_fp_ieee_overflow 0
		.amdhsa_exception_fp_ieee_underflow 0
		.amdhsa_exception_fp_ieee_inexact 0
		.amdhsa_exception_int_div_zero 0
	.end_amdhsa_kernel
	.section	.text._ZN7rocprim17ROCPRIM_400000_NS6detail17trampoline_kernelINS0_14default_configENS1_25partition_config_selectorILNS1_17partition_subalgoE8ElNS0_10empty_typeEbEEZZNS1_14partition_implILS5_8ELb0ES3_jPlPS6_PKS6_NS0_5tupleIJS9_S6_EEENSD_IJSA_SA_EEENS0_18inequality_wrapperIZN2at6native12_GLOBAL__N_124unique_dim_cuda_templateIaEESt5tupleIJNSH_6TensorESM_SM_EERKSM_lbbbEUlllE0_EEPmJS6_EEE10hipError_tPvRmT3_T4_T5_T6_T7_T9_mT8_P12ihipStream_tbDpT10_ENKUlT_T0_E_clISt17integral_constantIbLb1EES1C_EEDaS17_S18_EUlS17_E_NS1_11comp_targetILNS1_3genE10ELNS1_11target_archE1200ELNS1_3gpuE4ELNS1_3repE0EEENS1_30default_config_static_selectorELNS0_4arch9wavefront6targetE0EEEvT1_,"axG",@progbits,_ZN7rocprim17ROCPRIM_400000_NS6detail17trampoline_kernelINS0_14default_configENS1_25partition_config_selectorILNS1_17partition_subalgoE8ElNS0_10empty_typeEbEEZZNS1_14partition_implILS5_8ELb0ES3_jPlPS6_PKS6_NS0_5tupleIJS9_S6_EEENSD_IJSA_SA_EEENS0_18inequality_wrapperIZN2at6native12_GLOBAL__N_124unique_dim_cuda_templateIaEESt5tupleIJNSH_6TensorESM_SM_EERKSM_lbbbEUlllE0_EEPmJS6_EEE10hipError_tPvRmT3_T4_T5_T6_T7_T9_mT8_P12ihipStream_tbDpT10_ENKUlT_T0_E_clISt17integral_constantIbLb1EES1C_EEDaS17_S18_EUlS17_E_NS1_11comp_targetILNS1_3genE10ELNS1_11target_archE1200ELNS1_3gpuE4ELNS1_3repE0EEENS1_30default_config_static_selectorELNS0_4arch9wavefront6targetE0EEEvT1_,comdat
.Lfunc_end332:
	.size	_ZN7rocprim17ROCPRIM_400000_NS6detail17trampoline_kernelINS0_14default_configENS1_25partition_config_selectorILNS1_17partition_subalgoE8ElNS0_10empty_typeEbEEZZNS1_14partition_implILS5_8ELb0ES3_jPlPS6_PKS6_NS0_5tupleIJS9_S6_EEENSD_IJSA_SA_EEENS0_18inequality_wrapperIZN2at6native12_GLOBAL__N_124unique_dim_cuda_templateIaEESt5tupleIJNSH_6TensorESM_SM_EERKSM_lbbbEUlllE0_EEPmJS6_EEE10hipError_tPvRmT3_T4_T5_T6_T7_T9_mT8_P12ihipStream_tbDpT10_ENKUlT_T0_E_clISt17integral_constantIbLb1EES1C_EEDaS17_S18_EUlS17_E_NS1_11comp_targetILNS1_3genE10ELNS1_11target_archE1200ELNS1_3gpuE4ELNS1_3repE0EEENS1_30default_config_static_selectorELNS0_4arch9wavefront6targetE0EEEvT1_, .Lfunc_end332-_ZN7rocprim17ROCPRIM_400000_NS6detail17trampoline_kernelINS0_14default_configENS1_25partition_config_selectorILNS1_17partition_subalgoE8ElNS0_10empty_typeEbEEZZNS1_14partition_implILS5_8ELb0ES3_jPlPS6_PKS6_NS0_5tupleIJS9_S6_EEENSD_IJSA_SA_EEENS0_18inequality_wrapperIZN2at6native12_GLOBAL__N_124unique_dim_cuda_templateIaEESt5tupleIJNSH_6TensorESM_SM_EERKSM_lbbbEUlllE0_EEPmJS6_EEE10hipError_tPvRmT3_T4_T5_T6_T7_T9_mT8_P12ihipStream_tbDpT10_ENKUlT_T0_E_clISt17integral_constantIbLb1EES1C_EEDaS17_S18_EUlS17_E_NS1_11comp_targetILNS1_3genE10ELNS1_11target_archE1200ELNS1_3gpuE4ELNS1_3repE0EEENS1_30default_config_static_selectorELNS0_4arch9wavefront6targetE0EEEvT1_
                                        ; -- End function
	.set _ZN7rocprim17ROCPRIM_400000_NS6detail17trampoline_kernelINS0_14default_configENS1_25partition_config_selectorILNS1_17partition_subalgoE8ElNS0_10empty_typeEbEEZZNS1_14partition_implILS5_8ELb0ES3_jPlPS6_PKS6_NS0_5tupleIJS9_S6_EEENSD_IJSA_SA_EEENS0_18inequality_wrapperIZN2at6native12_GLOBAL__N_124unique_dim_cuda_templateIaEESt5tupleIJNSH_6TensorESM_SM_EERKSM_lbbbEUlllE0_EEPmJS6_EEE10hipError_tPvRmT3_T4_T5_T6_T7_T9_mT8_P12ihipStream_tbDpT10_ENKUlT_T0_E_clISt17integral_constantIbLb1EES1C_EEDaS17_S18_EUlS17_E_NS1_11comp_targetILNS1_3genE10ELNS1_11target_archE1200ELNS1_3gpuE4ELNS1_3repE0EEENS1_30default_config_static_selectorELNS0_4arch9wavefront6targetE0EEEvT1_.num_vgpr, 0
	.set _ZN7rocprim17ROCPRIM_400000_NS6detail17trampoline_kernelINS0_14default_configENS1_25partition_config_selectorILNS1_17partition_subalgoE8ElNS0_10empty_typeEbEEZZNS1_14partition_implILS5_8ELb0ES3_jPlPS6_PKS6_NS0_5tupleIJS9_S6_EEENSD_IJSA_SA_EEENS0_18inequality_wrapperIZN2at6native12_GLOBAL__N_124unique_dim_cuda_templateIaEESt5tupleIJNSH_6TensorESM_SM_EERKSM_lbbbEUlllE0_EEPmJS6_EEE10hipError_tPvRmT3_T4_T5_T6_T7_T9_mT8_P12ihipStream_tbDpT10_ENKUlT_T0_E_clISt17integral_constantIbLb1EES1C_EEDaS17_S18_EUlS17_E_NS1_11comp_targetILNS1_3genE10ELNS1_11target_archE1200ELNS1_3gpuE4ELNS1_3repE0EEENS1_30default_config_static_selectorELNS0_4arch9wavefront6targetE0EEEvT1_.num_agpr, 0
	.set _ZN7rocprim17ROCPRIM_400000_NS6detail17trampoline_kernelINS0_14default_configENS1_25partition_config_selectorILNS1_17partition_subalgoE8ElNS0_10empty_typeEbEEZZNS1_14partition_implILS5_8ELb0ES3_jPlPS6_PKS6_NS0_5tupleIJS9_S6_EEENSD_IJSA_SA_EEENS0_18inequality_wrapperIZN2at6native12_GLOBAL__N_124unique_dim_cuda_templateIaEESt5tupleIJNSH_6TensorESM_SM_EERKSM_lbbbEUlllE0_EEPmJS6_EEE10hipError_tPvRmT3_T4_T5_T6_T7_T9_mT8_P12ihipStream_tbDpT10_ENKUlT_T0_E_clISt17integral_constantIbLb1EES1C_EEDaS17_S18_EUlS17_E_NS1_11comp_targetILNS1_3genE10ELNS1_11target_archE1200ELNS1_3gpuE4ELNS1_3repE0EEENS1_30default_config_static_selectorELNS0_4arch9wavefront6targetE0EEEvT1_.numbered_sgpr, 0
	.set _ZN7rocprim17ROCPRIM_400000_NS6detail17trampoline_kernelINS0_14default_configENS1_25partition_config_selectorILNS1_17partition_subalgoE8ElNS0_10empty_typeEbEEZZNS1_14partition_implILS5_8ELb0ES3_jPlPS6_PKS6_NS0_5tupleIJS9_S6_EEENSD_IJSA_SA_EEENS0_18inequality_wrapperIZN2at6native12_GLOBAL__N_124unique_dim_cuda_templateIaEESt5tupleIJNSH_6TensorESM_SM_EERKSM_lbbbEUlllE0_EEPmJS6_EEE10hipError_tPvRmT3_T4_T5_T6_T7_T9_mT8_P12ihipStream_tbDpT10_ENKUlT_T0_E_clISt17integral_constantIbLb1EES1C_EEDaS17_S18_EUlS17_E_NS1_11comp_targetILNS1_3genE10ELNS1_11target_archE1200ELNS1_3gpuE4ELNS1_3repE0EEENS1_30default_config_static_selectorELNS0_4arch9wavefront6targetE0EEEvT1_.num_named_barrier, 0
	.set _ZN7rocprim17ROCPRIM_400000_NS6detail17trampoline_kernelINS0_14default_configENS1_25partition_config_selectorILNS1_17partition_subalgoE8ElNS0_10empty_typeEbEEZZNS1_14partition_implILS5_8ELb0ES3_jPlPS6_PKS6_NS0_5tupleIJS9_S6_EEENSD_IJSA_SA_EEENS0_18inequality_wrapperIZN2at6native12_GLOBAL__N_124unique_dim_cuda_templateIaEESt5tupleIJNSH_6TensorESM_SM_EERKSM_lbbbEUlllE0_EEPmJS6_EEE10hipError_tPvRmT3_T4_T5_T6_T7_T9_mT8_P12ihipStream_tbDpT10_ENKUlT_T0_E_clISt17integral_constantIbLb1EES1C_EEDaS17_S18_EUlS17_E_NS1_11comp_targetILNS1_3genE10ELNS1_11target_archE1200ELNS1_3gpuE4ELNS1_3repE0EEENS1_30default_config_static_selectorELNS0_4arch9wavefront6targetE0EEEvT1_.private_seg_size, 0
	.set _ZN7rocprim17ROCPRIM_400000_NS6detail17trampoline_kernelINS0_14default_configENS1_25partition_config_selectorILNS1_17partition_subalgoE8ElNS0_10empty_typeEbEEZZNS1_14partition_implILS5_8ELb0ES3_jPlPS6_PKS6_NS0_5tupleIJS9_S6_EEENSD_IJSA_SA_EEENS0_18inequality_wrapperIZN2at6native12_GLOBAL__N_124unique_dim_cuda_templateIaEESt5tupleIJNSH_6TensorESM_SM_EERKSM_lbbbEUlllE0_EEPmJS6_EEE10hipError_tPvRmT3_T4_T5_T6_T7_T9_mT8_P12ihipStream_tbDpT10_ENKUlT_T0_E_clISt17integral_constantIbLb1EES1C_EEDaS17_S18_EUlS17_E_NS1_11comp_targetILNS1_3genE10ELNS1_11target_archE1200ELNS1_3gpuE4ELNS1_3repE0EEENS1_30default_config_static_selectorELNS0_4arch9wavefront6targetE0EEEvT1_.uses_vcc, 0
	.set _ZN7rocprim17ROCPRIM_400000_NS6detail17trampoline_kernelINS0_14default_configENS1_25partition_config_selectorILNS1_17partition_subalgoE8ElNS0_10empty_typeEbEEZZNS1_14partition_implILS5_8ELb0ES3_jPlPS6_PKS6_NS0_5tupleIJS9_S6_EEENSD_IJSA_SA_EEENS0_18inequality_wrapperIZN2at6native12_GLOBAL__N_124unique_dim_cuda_templateIaEESt5tupleIJNSH_6TensorESM_SM_EERKSM_lbbbEUlllE0_EEPmJS6_EEE10hipError_tPvRmT3_T4_T5_T6_T7_T9_mT8_P12ihipStream_tbDpT10_ENKUlT_T0_E_clISt17integral_constantIbLb1EES1C_EEDaS17_S18_EUlS17_E_NS1_11comp_targetILNS1_3genE10ELNS1_11target_archE1200ELNS1_3gpuE4ELNS1_3repE0EEENS1_30default_config_static_selectorELNS0_4arch9wavefront6targetE0EEEvT1_.uses_flat_scratch, 0
	.set _ZN7rocprim17ROCPRIM_400000_NS6detail17trampoline_kernelINS0_14default_configENS1_25partition_config_selectorILNS1_17partition_subalgoE8ElNS0_10empty_typeEbEEZZNS1_14partition_implILS5_8ELb0ES3_jPlPS6_PKS6_NS0_5tupleIJS9_S6_EEENSD_IJSA_SA_EEENS0_18inequality_wrapperIZN2at6native12_GLOBAL__N_124unique_dim_cuda_templateIaEESt5tupleIJNSH_6TensorESM_SM_EERKSM_lbbbEUlllE0_EEPmJS6_EEE10hipError_tPvRmT3_T4_T5_T6_T7_T9_mT8_P12ihipStream_tbDpT10_ENKUlT_T0_E_clISt17integral_constantIbLb1EES1C_EEDaS17_S18_EUlS17_E_NS1_11comp_targetILNS1_3genE10ELNS1_11target_archE1200ELNS1_3gpuE4ELNS1_3repE0EEENS1_30default_config_static_selectorELNS0_4arch9wavefront6targetE0EEEvT1_.has_dyn_sized_stack, 0
	.set _ZN7rocprim17ROCPRIM_400000_NS6detail17trampoline_kernelINS0_14default_configENS1_25partition_config_selectorILNS1_17partition_subalgoE8ElNS0_10empty_typeEbEEZZNS1_14partition_implILS5_8ELb0ES3_jPlPS6_PKS6_NS0_5tupleIJS9_S6_EEENSD_IJSA_SA_EEENS0_18inequality_wrapperIZN2at6native12_GLOBAL__N_124unique_dim_cuda_templateIaEESt5tupleIJNSH_6TensorESM_SM_EERKSM_lbbbEUlllE0_EEPmJS6_EEE10hipError_tPvRmT3_T4_T5_T6_T7_T9_mT8_P12ihipStream_tbDpT10_ENKUlT_T0_E_clISt17integral_constantIbLb1EES1C_EEDaS17_S18_EUlS17_E_NS1_11comp_targetILNS1_3genE10ELNS1_11target_archE1200ELNS1_3gpuE4ELNS1_3repE0EEENS1_30default_config_static_selectorELNS0_4arch9wavefront6targetE0EEEvT1_.has_recursion, 0
	.set _ZN7rocprim17ROCPRIM_400000_NS6detail17trampoline_kernelINS0_14default_configENS1_25partition_config_selectorILNS1_17partition_subalgoE8ElNS0_10empty_typeEbEEZZNS1_14partition_implILS5_8ELb0ES3_jPlPS6_PKS6_NS0_5tupleIJS9_S6_EEENSD_IJSA_SA_EEENS0_18inequality_wrapperIZN2at6native12_GLOBAL__N_124unique_dim_cuda_templateIaEESt5tupleIJNSH_6TensorESM_SM_EERKSM_lbbbEUlllE0_EEPmJS6_EEE10hipError_tPvRmT3_T4_T5_T6_T7_T9_mT8_P12ihipStream_tbDpT10_ENKUlT_T0_E_clISt17integral_constantIbLb1EES1C_EEDaS17_S18_EUlS17_E_NS1_11comp_targetILNS1_3genE10ELNS1_11target_archE1200ELNS1_3gpuE4ELNS1_3repE0EEENS1_30default_config_static_selectorELNS0_4arch9wavefront6targetE0EEEvT1_.has_indirect_call, 0
	.section	.AMDGPU.csdata,"",@progbits
; Kernel info:
; codeLenInByte = 0
; TotalNumSgprs: 0
; NumVgprs: 0
; ScratchSize: 0
; MemoryBound: 0
; FloatMode: 240
; IeeeMode: 1
; LDSByteSize: 0 bytes/workgroup (compile time only)
; SGPRBlocks: 0
; VGPRBlocks: 0
; NumSGPRsForWavesPerEU: 1
; NumVGPRsForWavesPerEU: 1
; NamedBarCnt: 0
; Occupancy: 16
; WaveLimiterHint : 0
; COMPUTE_PGM_RSRC2:SCRATCH_EN: 0
; COMPUTE_PGM_RSRC2:USER_SGPR: 2
; COMPUTE_PGM_RSRC2:TRAP_HANDLER: 0
; COMPUTE_PGM_RSRC2:TGID_X_EN: 1
; COMPUTE_PGM_RSRC2:TGID_Y_EN: 0
; COMPUTE_PGM_RSRC2:TGID_Z_EN: 0
; COMPUTE_PGM_RSRC2:TIDIG_COMP_CNT: 0
	.section	.text._ZN7rocprim17ROCPRIM_400000_NS6detail17trampoline_kernelINS0_14default_configENS1_25partition_config_selectorILNS1_17partition_subalgoE8ElNS0_10empty_typeEbEEZZNS1_14partition_implILS5_8ELb0ES3_jPlPS6_PKS6_NS0_5tupleIJS9_S6_EEENSD_IJSA_SA_EEENS0_18inequality_wrapperIZN2at6native12_GLOBAL__N_124unique_dim_cuda_templateIaEESt5tupleIJNSH_6TensorESM_SM_EERKSM_lbbbEUlllE0_EEPmJS6_EEE10hipError_tPvRmT3_T4_T5_T6_T7_T9_mT8_P12ihipStream_tbDpT10_ENKUlT_T0_E_clISt17integral_constantIbLb1EES1C_EEDaS17_S18_EUlS17_E_NS1_11comp_targetILNS1_3genE9ELNS1_11target_archE1100ELNS1_3gpuE3ELNS1_3repE0EEENS1_30default_config_static_selectorELNS0_4arch9wavefront6targetE0EEEvT1_,"axG",@progbits,_ZN7rocprim17ROCPRIM_400000_NS6detail17trampoline_kernelINS0_14default_configENS1_25partition_config_selectorILNS1_17partition_subalgoE8ElNS0_10empty_typeEbEEZZNS1_14partition_implILS5_8ELb0ES3_jPlPS6_PKS6_NS0_5tupleIJS9_S6_EEENSD_IJSA_SA_EEENS0_18inequality_wrapperIZN2at6native12_GLOBAL__N_124unique_dim_cuda_templateIaEESt5tupleIJNSH_6TensorESM_SM_EERKSM_lbbbEUlllE0_EEPmJS6_EEE10hipError_tPvRmT3_T4_T5_T6_T7_T9_mT8_P12ihipStream_tbDpT10_ENKUlT_T0_E_clISt17integral_constantIbLb1EES1C_EEDaS17_S18_EUlS17_E_NS1_11comp_targetILNS1_3genE9ELNS1_11target_archE1100ELNS1_3gpuE3ELNS1_3repE0EEENS1_30default_config_static_selectorELNS0_4arch9wavefront6targetE0EEEvT1_,comdat
	.globl	_ZN7rocprim17ROCPRIM_400000_NS6detail17trampoline_kernelINS0_14default_configENS1_25partition_config_selectorILNS1_17partition_subalgoE8ElNS0_10empty_typeEbEEZZNS1_14partition_implILS5_8ELb0ES3_jPlPS6_PKS6_NS0_5tupleIJS9_S6_EEENSD_IJSA_SA_EEENS0_18inequality_wrapperIZN2at6native12_GLOBAL__N_124unique_dim_cuda_templateIaEESt5tupleIJNSH_6TensorESM_SM_EERKSM_lbbbEUlllE0_EEPmJS6_EEE10hipError_tPvRmT3_T4_T5_T6_T7_T9_mT8_P12ihipStream_tbDpT10_ENKUlT_T0_E_clISt17integral_constantIbLb1EES1C_EEDaS17_S18_EUlS17_E_NS1_11comp_targetILNS1_3genE9ELNS1_11target_archE1100ELNS1_3gpuE3ELNS1_3repE0EEENS1_30default_config_static_selectorELNS0_4arch9wavefront6targetE0EEEvT1_ ; -- Begin function _ZN7rocprim17ROCPRIM_400000_NS6detail17trampoline_kernelINS0_14default_configENS1_25partition_config_selectorILNS1_17partition_subalgoE8ElNS0_10empty_typeEbEEZZNS1_14partition_implILS5_8ELb0ES3_jPlPS6_PKS6_NS0_5tupleIJS9_S6_EEENSD_IJSA_SA_EEENS0_18inequality_wrapperIZN2at6native12_GLOBAL__N_124unique_dim_cuda_templateIaEESt5tupleIJNSH_6TensorESM_SM_EERKSM_lbbbEUlllE0_EEPmJS6_EEE10hipError_tPvRmT3_T4_T5_T6_T7_T9_mT8_P12ihipStream_tbDpT10_ENKUlT_T0_E_clISt17integral_constantIbLb1EES1C_EEDaS17_S18_EUlS17_E_NS1_11comp_targetILNS1_3genE9ELNS1_11target_archE1100ELNS1_3gpuE3ELNS1_3repE0EEENS1_30default_config_static_selectorELNS0_4arch9wavefront6targetE0EEEvT1_
	.p2align	8
	.type	_ZN7rocprim17ROCPRIM_400000_NS6detail17trampoline_kernelINS0_14default_configENS1_25partition_config_selectorILNS1_17partition_subalgoE8ElNS0_10empty_typeEbEEZZNS1_14partition_implILS5_8ELb0ES3_jPlPS6_PKS6_NS0_5tupleIJS9_S6_EEENSD_IJSA_SA_EEENS0_18inequality_wrapperIZN2at6native12_GLOBAL__N_124unique_dim_cuda_templateIaEESt5tupleIJNSH_6TensorESM_SM_EERKSM_lbbbEUlllE0_EEPmJS6_EEE10hipError_tPvRmT3_T4_T5_T6_T7_T9_mT8_P12ihipStream_tbDpT10_ENKUlT_T0_E_clISt17integral_constantIbLb1EES1C_EEDaS17_S18_EUlS17_E_NS1_11comp_targetILNS1_3genE9ELNS1_11target_archE1100ELNS1_3gpuE3ELNS1_3repE0EEENS1_30default_config_static_selectorELNS0_4arch9wavefront6targetE0EEEvT1_,@function
_ZN7rocprim17ROCPRIM_400000_NS6detail17trampoline_kernelINS0_14default_configENS1_25partition_config_selectorILNS1_17partition_subalgoE8ElNS0_10empty_typeEbEEZZNS1_14partition_implILS5_8ELb0ES3_jPlPS6_PKS6_NS0_5tupleIJS9_S6_EEENSD_IJSA_SA_EEENS0_18inequality_wrapperIZN2at6native12_GLOBAL__N_124unique_dim_cuda_templateIaEESt5tupleIJNSH_6TensorESM_SM_EERKSM_lbbbEUlllE0_EEPmJS6_EEE10hipError_tPvRmT3_T4_T5_T6_T7_T9_mT8_P12ihipStream_tbDpT10_ENKUlT_T0_E_clISt17integral_constantIbLb1EES1C_EEDaS17_S18_EUlS17_E_NS1_11comp_targetILNS1_3genE9ELNS1_11target_archE1100ELNS1_3gpuE3ELNS1_3repE0EEENS1_30default_config_static_selectorELNS0_4arch9wavefront6targetE0EEEvT1_: ; @_ZN7rocprim17ROCPRIM_400000_NS6detail17trampoline_kernelINS0_14default_configENS1_25partition_config_selectorILNS1_17partition_subalgoE8ElNS0_10empty_typeEbEEZZNS1_14partition_implILS5_8ELb0ES3_jPlPS6_PKS6_NS0_5tupleIJS9_S6_EEENSD_IJSA_SA_EEENS0_18inequality_wrapperIZN2at6native12_GLOBAL__N_124unique_dim_cuda_templateIaEESt5tupleIJNSH_6TensorESM_SM_EERKSM_lbbbEUlllE0_EEPmJS6_EEE10hipError_tPvRmT3_T4_T5_T6_T7_T9_mT8_P12ihipStream_tbDpT10_ENKUlT_T0_E_clISt17integral_constantIbLb1EES1C_EEDaS17_S18_EUlS17_E_NS1_11comp_targetILNS1_3genE9ELNS1_11target_archE1100ELNS1_3gpuE3ELNS1_3repE0EEENS1_30default_config_static_selectorELNS0_4arch9wavefront6targetE0EEEvT1_
; %bb.0:
	.section	.rodata,"a",@progbits
	.p2align	6, 0x0
	.amdhsa_kernel _ZN7rocprim17ROCPRIM_400000_NS6detail17trampoline_kernelINS0_14default_configENS1_25partition_config_selectorILNS1_17partition_subalgoE8ElNS0_10empty_typeEbEEZZNS1_14partition_implILS5_8ELb0ES3_jPlPS6_PKS6_NS0_5tupleIJS9_S6_EEENSD_IJSA_SA_EEENS0_18inequality_wrapperIZN2at6native12_GLOBAL__N_124unique_dim_cuda_templateIaEESt5tupleIJNSH_6TensorESM_SM_EERKSM_lbbbEUlllE0_EEPmJS6_EEE10hipError_tPvRmT3_T4_T5_T6_T7_T9_mT8_P12ihipStream_tbDpT10_ENKUlT_T0_E_clISt17integral_constantIbLb1EES1C_EEDaS17_S18_EUlS17_E_NS1_11comp_targetILNS1_3genE9ELNS1_11target_archE1100ELNS1_3gpuE3ELNS1_3repE0EEENS1_30default_config_static_selectorELNS0_4arch9wavefront6targetE0EEEvT1_
		.amdhsa_group_segment_fixed_size 0
		.amdhsa_private_segment_fixed_size 0
		.amdhsa_kernarg_size 136
		.amdhsa_user_sgpr_count 2
		.amdhsa_user_sgpr_dispatch_ptr 0
		.amdhsa_user_sgpr_queue_ptr 0
		.amdhsa_user_sgpr_kernarg_segment_ptr 1
		.amdhsa_user_sgpr_dispatch_id 0
		.amdhsa_user_sgpr_kernarg_preload_length 0
		.amdhsa_user_sgpr_kernarg_preload_offset 0
		.amdhsa_user_sgpr_private_segment_size 0
		.amdhsa_wavefront_size32 1
		.amdhsa_uses_dynamic_stack 0
		.amdhsa_enable_private_segment 0
		.amdhsa_system_sgpr_workgroup_id_x 1
		.amdhsa_system_sgpr_workgroup_id_y 0
		.amdhsa_system_sgpr_workgroup_id_z 0
		.amdhsa_system_sgpr_workgroup_info 0
		.amdhsa_system_vgpr_workitem_id 0
		.amdhsa_next_free_vgpr 1
		.amdhsa_next_free_sgpr 1
		.amdhsa_named_barrier_count 0
		.amdhsa_reserve_vcc 0
		.amdhsa_float_round_mode_32 0
		.amdhsa_float_round_mode_16_64 0
		.amdhsa_float_denorm_mode_32 3
		.amdhsa_float_denorm_mode_16_64 3
		.amdhsa_fp16_overflow 0
		.amdhsa_memory_ordered 1
		.amdhsa_forward_progress 1
		.amdhsa_inst_pref_size 0
		.amdhsa_round_robin_scheduling 0
		.amdhsa_exception_fp_ieee_invalid_op 0
		.amdhsa_exception_fp_denorm_src 0
		.amdhsa_exception_fp_ieee_div_zero 0
		.amdhsa_exception_fp_ieee_overflow 0
		.amdhsa_exception_fp_ieee_underflow 0
		.amdhsa_exception_fp_ieee_inexact 0
		.amdhsa_exception_int_div_zero 0
	.end_amdhsa_kernel
	.section	.text._ZN7rocprim17ROCPRIM_400000_NS6detail17trampoline_kernelINS0_14default_configENS1_25partition_config_selectorILNS1_17partition_subalgoE8ElNS0_10empty_typeEbEEZZNS1_14partition_implILS5_8ELb0ES3_jPlPS6_PKS6_NS0_5tupleIJS9_S6_EEENSD_IJSA_SA_EEENS0_18inequality_wrapperIZN2at6native12_GLOBAL__N_124unique_dim_cuda_templateIaEESt5tupleIJNSH_6TensorESM_SM_EERKSM_lbbbEUlllE0_EEPmJS6_EEE10hipError_tPvRmT3_T4_T5_T6_T7_T9_mT8_P12ihipStream_tbDpT10_ENKUlT_T0_E_clISt17integral_constantIbLb1EES1C_EEDaS17_S18_EUlS17_E_NS1_11comp_targetILNS1_3genE9ELNS1_11target_archE1100ELNS1_3gpuE3ELNS1_3repE0EEENS1_30default_config_static_selectorELNS0_4arch9wavefront6targetE0EEEvT1_,"axG",@progbits,_ZN7rocprim17ROCPRIM_400000_NS6detail17trampoline_kernelINS0_14default_configENS1_25partition_config_selectorILNS1_17partition_subalgoE8ElNS0_10empty_typeEbEEZZNS1_14partition_implILS5_8ELb0ES3_jPlPS6_PKS6_NS0_5tupleIJS9_S6_EEENSD_IJSA_SA_EEENS0_18inequality_wrapperIZN2at6native12_GLOBAL__N_124unique_dim_cuda_templateIaEESt5tupleIJNSH_6TensorESM_SM_EERKSM_lbbbEUlllE0_EEPmJS6_EEE10hipError_tPvRmT3_T4_T5_T6_T7_T9_mT8_P12ihipStream_tbDpT10_ENKUlT_T0_E_clISt17integral_constantIbLb1EES1C_EEDaS17_S18_EUlS17_E_NS1_11comp_targetILNS1_3genE9ELNS1_11target_archE1100ELNS1_3gpuE3ELNS1_3repE0EEENS1_30default_config_static_selectorELNS0_4arch9wavefront6targetE0EEEvT1_,comdat
.Lfunc_end333:
	.size	_ZN7rocprim17ROCPRIM_400000_NS6detail17trampoline_kernelINS0_14default_configENS1_25partition_config_selectorILNS1_17partition_subalgoE8ElNS0_10empty_typeEbEEZZNS1_14partition_implILS5_8ELb0ES3_jPlPS6_PKS6_NS0_5tupleIJS9_S6_EEENSD_IJSA_SA_EEENS0_18inequality_wrapperIZN2at6native12_GLOBAL__N_124unique_dim_cuda_templateIaEESt5tupleIJNSH_6TensorESM_SM_EERKSM_lbbbEUlllE0_EEPmJS6_EEE10hipError_tPvRmT3_T4_T5_T6_T7_T9_mT8_P12ihipStream_tbDpT10_ENKUlT_T0_E_clISt17integral_constantIbLb1EES1C_EEDaS17_S18_EUlS17_E_NS1_11comp_targetILNS1_3genE9ELNS1_11target_archE1100ELNS1_3gpuE3ELNS1_3repE0EEENS1_30default_config_static_selectorELNS0_4arch9wavefront6targetE0EEEvT1_, .Lfunc_end333-_ZN7rocprim17ROCPRIM_400000_NS6detail17trampoline_kernelINS0_14default_configENS1_25partition_config_selectorILNS1_17partition_subalgoE8ElNS0_10empty_typeEbEEZZNS1_14partition_implILS5_8ELb0ES3_jPlPS6_PKS6_NS0_5tupleIJS9_S6_EEENSD_IJSA_SA_EEENS0_18inequality_wrapperIZN2at6native12_GLOBAL__N_124unique_dim_cuda_templateIaEESt5tupleIJNSH_6TensorESM_SM_EERKSM_lbbbEUlllE0_EEPmJS6_EEE10hipError_tPvRmT3_T4_T5_T6_T7_T9_mT8_P12ihipStream_tbDpT10_ENKUlT_T0_E_clISt17integral_constantIbLb1EES1C_EEDaS17_S18_EUlS17_E_NS1_11comp_targetILNS1_3genE9ELNS1_11target_archE1100ELNS1_3gpuE3ELNS1_3repE0EEENS1_30default_config_static_selectorELNS0_4arch9wavefront6targetE0EEEvT1_
                                        ; -- End function
	.set _ZN7rocprim17ROCPRIM_400000_NS6detail17trampoline_kernelINS0_14default_configENS1_25partition_config_selectorILNS1_17partition_subalgoE8ElNS0_10empty_typeEbEEZZNS1_14partition_implILS5_8ELb0ES3_jPlPS6_PKS6_NS0_5tupleIJS9_S6_EEENSD_IJSA_SA_EEENS0_18inequality_wrapperIZN2at6native12_GLOBAL__N_124unique_dim_cuda_templateIaEESt5tupleIJNSH_6TensorESM_SM_EERKSM_lbbbEUlllE0_EEPmJS6_EEE10hipError_tPvRmT3_T4_T5_T6_T7_T9_mT8_P12ihipStream_tbDpT10_ENKUlT_T0_E_clISt17integral_constantIbLb1EES1C_EEDaS17_S18_EUlS17_E_NS1_11comp_targetILNS1_3genE9ELNS1_11target_archE1100ELNS1_3gpuE3ELNS1_3repE0EEENS1_30default_config_static_selectorELNS0_4arch9wavefront6targetE0EEEvT1_.num_vgpr, 0
	.set _ZN7rocprim17ROCPRIM_400000_NS6detail17trampoline_kernelINS0_14default_configENS1_25partition_config_selectorILNS1_17partition_subalgoE8ElNS0_10empty_typeEbEEZZNS1_14partition_implILS5_8ELb0ES3_jPlPS6_PKS6_NS0_5tupleIJS9_S6_EEENSD_IJSA_SA_EEENS0_18inequality_wrapperIZN2at6native12_GLOBAL__N_124unique_dim_cuda_templateIaEESt5tupleIJNSH_6TensorESM_SM_EERKSM_lbbbEUlllE0_EEPmJS6_EEE10hipError_tPvRmT3_T4_T5_T6_T7_T9_mT8_P12ihipStream_tbDpT10_ENKUlT_T0_E_clISt17integral_constantIbLb1EES1C_EEDaS17_S18_EUlS17_E_NS1_11comp_targetILNS1_3genE9ELNS1_11target_archE1100ELNS1_3gpuE3ELNS1_3repE0EEENS1_30default_config_static_selectorELNS0_4arch9wavefront6targetE0EEEvT1_.num_agpr, 0
	.set _ZN7rocprim17ROCPRIM_400000_NS6detail17trampoline_kernelINS0_14default_configENS1_25partition_config_selectorILNS1_17partition_subalgoE8ElNS0_10empty_typeEbEEZZNS1_14partition_implILS5_8ELb0ES3_jPlPS6_PKS6_NS0_5tupleIJS9_S6_EEENSD_IJSA_SA_EEENS0_18inequality_wrapperIZN2at6native12_GLOBAL__N_124unique_dim_cuda_templateIaEESt5tupleIJNSH_6TensorESM_SM_EERKSM_lbbbEUlllE0_EEPmJS6_EEE10hipError_tPvRmT3_T4_T5_T6_T7_T9_mT8_P12ihipStream_tbDpT10_ENKUlT_T0_E_clISt17integral_constantIbLb1EES1C_EEDaS17_S18_EUlS17_E_NS1_11comp_targetILNS1_3genE9ELNS1_11target_archE1100ELNS1_3gpuE3ELNS1_3repE0EEENS1_30default_config_static_selectorELNS0_4arch9wavefront6targetE0EEEvT1_.numbered_sgpr, 0
	.set _ZN7rocprim17ROCPRIM_400000_NS6detail17trampoline_kernelINS0_14default_configENS1_25partition_config_selectorILNS1_17partition_subalgoE8ElNS0_10empty_typeEbEEZZNS1_14partition_implILS5_8ELb0ES3_jPlPS6_PKS6_NS0_5tupleIJS9_S6_EEENSD_IJSA_SA_EEENS0_18inequality_wrapperIZN2at6native12_GLOBAL__N_124unique_dim_cuda_templateIaEESt5tupleIJNSH_6TensorESM_SM_EERKSM_lbbbEUlllE0_EEPmJS6_EEE10hipError_tPvRmT3_T4_T5_T6_T7_T9_mT8_P12ihipStream_tbDpT10_ENKUlT_T0_E_clISt17integral_constantIbLb1EES1C_EEDaS17_S18_EUlS17_E_NS1_11comp_targetILNS1_3genE9ELNS1_11target_archE1100ELNS1_3gpuE3ELNS1_3repE0EEENS1_30default_config_static_selectorELNS0_4arch9wavefront6targetE0EEEvT1_.num_named_barrier, 0
	.set _ZN7rocprim17ROCPRIM_400000_NS6detail17trampoline_kernelINS0_14default_configENS1_25partition_config_selectorILNS1_17partition_subalgoE8ElNS0_10empty_typeEbEEZZNS1_14partition_implILS5_8ELb0ES3_jPlPS6_PKS6_NS0_5tupleIJS9_S6_EEENSD_IJSA_SA_EEENS0_18inequality_wrapperIZN2at6native12_GLOBAL__N_124unique_dim_cuda_templateIaEESt5tupleIJNSH_6TensorESM_SM_EERKSM_lbbbEUlllE0_EEPmJS6_EEE10hipError_tPvRmT3_T4_T5_T6_T7_T9_mT8_P12ihipStream_tbDpT10_ENKUlT_T0_E_clISt17integral_constantIbLb1EES1C_EEDaS17_S18_EUlS17_E_NS1_11comp_targetILNS1_3genE9ELNS1_11target_archE1100ELNS1_3gpuE3ELNS1_3repE0EEENS1_30default_config_static_selectorELNS0_4arch9wavefront6targetE0EEEvT1_.private_seg_size, 0
	.set _ZN7rocprim17ROCPRIM_400000_NS6detail17trampoline_kernelINS0_14default_configENS1_25partition_config_selectorILNS1_17partition_subalgoE8ElNS0_10empty_typeEbEEZZNS1_14partition_implILS5_8ELb0ES3_jPlPS6_PKS6_NS0_5tupleIJS9_S6_EEENSD_IJSA_SA_EEENS0_18inequality_wrapperIZN2at6native12_GLOBAL__N_124unique_dim_cuda_templateIaEESt5tupleIJNSH_6TensorESM_SM_EERKSM_lbbbEUlllE0_EEPmJS6_EEE10hipError_tPvRmT3_T4_T5_T6_T7_T9_mT8_P12ihipStream_tbDpT10_ENKUlT_T0_E_clISt17integral_constantIbLb1EES1C_EEDaS17_S18_EUlS17_E_NS1_11comp_targetILNS1_3genE9ELNS1_11target_archE1100ELNS1_3gpuE3ELNS1_3repE0EEENS1_30default_config_static_selectorELNS0_4arch9wavefront6targetE0EEEvT1_.uses_vcc, 0
	.set _ZN7rocprim17ROCPRIM_400000_NS6detail17trampoline_kernelINS0_14default_configENS1_25partition_config_selectorILNS1_17partition_subalgoE8ElNS0_10empty_typeEbEEZZNS1_14partition_implILS5_8ELb0ES3_jPlPS6_PKS6_NS0_5tupleIJS9_S6_EEENSD_IJSA_SA_EEENS0_18inequality_wrapperIZN2at6native12_GLOBAL__N_124unique_dim_cuda_templateIaEESt5tupleIJNSH_6TensorESM_SM_EERKSM_lbbbEUlllE0_EEPmJS6_EEE10hipError_tPvRmT3_T4_T5_T6_T7_T9_mT8_P12ihipStream_tbDpT10_ENKUlT_T0_E_clISt17integral_constantIbLb1EES1C_EEDaS17_S18_EUlS17_E_NS1_11comp_targetILNS1_3genE9ELNS1_11target_archE1100ELNS1_3gpuE3ELNS1_3repE0EEENS1_30default_config_static_selectorELNS0_4arch9wavefront6targetE0EEEvT1_.uses_flat_scratch, 0
	.set _ZN7rocprim17ROCPRIM_400000_NS6detail17trampoline_kernelINS0_14default_configENS1_25partition_config_selectorILNS1_17partition_subalgoE8ElNS0_10empty_typeEbEEZZNS1_14partition_implILS5_8ELb0ES3_jPlPS6_PKS6_NS0_5tupleIJS9_S6_EEENSD_IJSA_SA_EEENS0_18inequality_wrapperIZN2at6native12_GLOBAL__N_124unique_dim_cuda_templateIaEESt5tupleIJNSH_6TensorESM_SM_EERKSM_lbbbEUlllE0_EEPmJS6_EEE10hipError_tPvRmT3_T4_T5_T6_T7_T9_mT8_P12ihipStream_tbDpT10_ENKUlT_T0_E_clISt17integral_constantIbLb1EES1C_EEDaS17_S18_EUlS17_E_NS1_11comp_targetILNS1_3genE9ELNS1_11target_archE1100ELNS1_3gpuE3ELNS1_3repE0EEENS1_30default_config_static_selectorELNS0_4arch9wavefront6targetE0EEEvT1_.has_dyn_sized_stack, 0
	.set _ZN7rocprim17ROCPRIM_400000_NS6detail17trampoline_kernelINS0_14default_configENS1_25partition_config_selectorILNS1_17partition_subalgoE8ElNS0_10empty_typeEbEEZZNS1_14partition_implILS5_8ELb0ES3_jPlPS6_PKS6_NS0_5tupleIJS9_S6_EEENSD_IJSA_SA_EEENS0_18inequality_wrapperIZN2at6native12_GLOBAL__N_124unique_dim_cuda_templateIaEESt5tupleIJNSH_6TensorESM_SM_EERKSM_lbbbEUlllE0_EEPmJS6_EEE10hipError_tPvRmT3_T4_T5_T6_T7_T9_mT8_P12ihipStream_tbDpT10_ENKUlT_T0_E_clISt17integral_constantIbLb1EES1C_EEDaS17_S18_EUlS17_E_NS1_11comp_targetILNS1_3genE9ELNS1_11target_archE1100ELNS1_3gpuE3ELNS1_3repE0EEENS1_30default_config_static_selectorELNS0_4arch9wavefront6targetE0EEEvT1_.has_recursion, 0
	.set _ZN7rocprim17ROCPRIM_400000_NS6detail17trampoline_kernelINS0_14default_configENS1_25partition_config_selectorILNS1_17partition_subalgoE8ElNS0_10empty_typeEbEEZZNS1_14partition_implILS5_8ELb0ES3_jPlPS6_PKS6_NS0_5tupleIJS9_S6_EEENSD_IJSA_SA_EEENS0_18inequality_wrapperIZN2at6native12_GLOBAL__N_124unique_dim_cuda_templateIaEESt5tupleIJNSH_6TensorESM_SM_EERKSM_lbbbEUlllE0_EEPmJS6_EEE10hipError_tPvRmT3_T4_T5_T6_T7_T9_mT8_P12ihipStream_tbDpT10_ENKUlT_T0_E_clISt17integral_constantIbLb1EES1C_EEDaS17_S18_EUlS17_E_NS1_11comp_targetILNS1_3genE9ELNS1_11target_archE1100ELNS1_3gpuE3ELNS1_3repE0EEENS1_30default_config_static_selectorELNS0_4arch9wavefront6targetE0EEEvT1_.has_indirect_call, 0
	.section	.AMDGPU.csdata,"",@progbits
; Kernel info:
; codeLenInByte = 0
; TotalNumSgprs: 0
; NumVgprs: 0
; ScratchSize: 0
; MemoryBound: 0
; FloatMode: 240
; IeeeMode: 1
; LDSByteSize: 0 bytes/workgroup (compile time only)
; SGPRBlocks: 0
; VGPRBlocks: 0
; NumSGPRsForWavesPerEU: 1
; NumVGPRsForWavesPerEU: 1
; NamedBarCnt: 0
; Occupancy: 16
; WaveLimiterHint : 0
; COMPUTE_PGM_RSRC2:SCRATCH_EN: 0
; COMPUTE_PGM_RSRC2:USER_SGPR: 2
; COMPUTE_PGM_RSRC2:TRAP_HANDLER: 0
; COMPUTE_PGM_RSRC2:TGID_X_EN: 1
; COMPUTE_PGM_RSRC2:TGID_Y_EN: 0
; COMPUTE_PGM_RSRC2:TGID_Z_EN: 0
; COMPUTE_PGM_RSRC2:TIDIG_COMP_CNT: 0
	.section	.text._ZN7rocprim17ROCPRIM_400000_NS6detail17trampoline_kernelINS0_14default_configENS1_25partition_config_selectorILNS1_17partition_subalgoE8ElNS0_10empty_typeEbEEZZNS1_14partition_implILS5_8ELb0ES3_jPlPS6_PKS6_NS0_5tupleIJS9_S6_EEENSD_IJSA_SA_EEENS0_18inequality_wrapperIZN2at6native12_GLOBAL__N_124unique_dim_cuda_templateIaEESt5tupleIJNSH_6TensorESM_SM_EERKSM_lbbbEUlllE0_EEPmJS6_EEE10hipError_tPvRmT3_T4_T5_T6_T7_T9_mT8_P12ihipStream_tbDpT10_ENKUlT_T0_E_clISt17integral_constantIbLb1EES1C_EEDaS17_S18_EUlS17_E_NS1_11comp_targetILNS1_3genE8ELNS1_11target_archE1030ELNS1_3gpuE2ELNS1_3repE0EEENS1_30default_config_static_selectorELNS0_4arch9wavefront6targetE0EEEvT1_,"axG",@progbits,_ZN7rocprim17ROCPRIM_400000_NS6detail17trampoline_kernelINS0_14default_configENS1_25partition_config_selectorILNS1_17partition_subalgoE8ElNS0_10empty_typeEbEEZZNS1_14partition_implILS5_8ELb0ES3_jPlPS6_PKS6_NS0_5tupleIJS9_S6_EEENSD_IJSA_SA_EEENS0_18inequality_wrapperIZN2at6native12_GLOBAL__N_124unique_dim_cuda_templateIaEESt5tupleIJNSH_6TensorESM_SM_EERKSM_lbbbEUlllE0_EEPmJS6_EEE10hipError_tPvRmT3_T4_T5_T6_T7_T9_mT8_P12ihipStream_tbDpT10_ENKUlT_T0_E_clISt17integral_constantIbLb1EES1C_EEDaS17_S18_EUlS17_E_NS1_11comp_targetILNS1_3genE8ELNS1_11target_archE1030ELNS1_3gpuE2ELNS1_3repE0EEENS1_30default_config_static_selectorELNS0_4arch9wavefront6targetE0EEEvT1_,comdat
	.globl	_ZN7rocprim17ROCPRIM_400000_NS6detail17trampoline_kernelINS0_14default_configENS1_25partition_config_selectorILNS1_17partition_subalgoE8ElNS0_10empty_typeEbEEZZNS1_14partition_implILS5_8ELb0ES3_jPlPS6_PKS6_NS0_5tupleIJS9_S6_EEENSD_IJSA_SA_EEENS0_18inequality_wrapperIZN2at6native12_GLOBAL__N_124unique_dim_cuda_templateIaEESt5tupleIJNSH_6TensorESM_SM_EERKSM_lbbbEUlllE0_EEPmJS6_EEE10hipError_tPvRmT3_T4_T5_T6_T7_T9_mT8_P12ihipStream_tbDpT10_ENKUlT_T0_E_clISt17integral_constantIbLb1EES1C_EEDaS17_S18_EUlS17_E_NS1_11comp_targetILNS1_3genE8ELNS1_11target_archE1030ELNS1_3gpuE2ELNS1_3repE0EEENS1_30default_config_static_selectorELNS0_4arch9wavefront6targetE0EEEvT1_ ; -- Begin function _ZN7rocprim17ROCPRIM_400000_NS6detail17trampoline_kernelINS0_14default_configENS1_25partition_config_selectorILNS1_17partition_subalgoE8ElNS0_10empty_typeEbEEZZNS1_14partition_implILS5_8ELb0ES3_jPlPS6_PKS6_NS0_5tupleIJS9_S6_EEENSD_IJSA_SA_EEENS0_18inequality_wrapperIZN2at6native12_GLOBAL__N_124unique_dim_cuda_templateIaEESt5tupleIJNSH_6TensorESM_SM_EERKSM_lbbbEUlllE0_EEPmJS6_EEE10hipError_tPvRmT3_T4_T5_T6_T7_T9_mT8_P12ihipStream_tbDpT10_ENKUlT_T0_E_clISt17integral_constantIbLb1EES1C_EEDaS17_S18_EUlS17_E_NS1_11comp_targetILNS1_3genE8ELNS1_11target_archE1030ELNS1_3gpuE2ELNS1_3repE0EEENS1_30default_config_static_selectorELNS0_4arch9wavefront6targetE0EEEvT1_
	.p2align	8
	.type	_ZN7rocprim17ROCPRIM_400000_NS6detail17trampoline_kernelINS0_14default_configENS1_25partition_config_selectorILNS1_17partition_subalgoE8ElNS0_10empty_typeEbEEZZNS1_14partition_implILS5_8ELb0ES3_jPlPS6_PKS6_NS0_5tupleIJS9_S6_EEENSD_IJSA_SA_EEENS0_18inequality_wrapperIZN2at6native12_GLOBAL__N_124unique_dim_cuda_templateIaEESt5tupleIJNSH_6TensorESM_SM_EERKSM_lbbbEUlllE0_EEPmJS6_EEE10hipError_tPvRmT3_T4_T5_T6_T7_T9_mT8_P12ihipStream_tbDpT10_ENKUlT_T0_E_clISt17integral_constantIbLb1EES1C_EEDaS17_S18_EUlS17_E_NS1_11comp_targetILNS1_3genE8ELNS1_11target_archE1030ELNS1_3gpuE2ELNS1_3repE0EEENS1_30default_config_static_selectorELNS0_4arch9wavefront6targetE0EEEvT1_,@function
_ZN7rocprim17ROCPRIM_400000_NS6detail17trampoline_kernelINS0_14default_configENS1_25partition_config_selectorILNS1_17partition_subalgoE8ElNS0_10empty_typeEbEEZZNS1_14partition_implILS5_8ELb0ES3_jPlPS6_PKS6_NS0_5tupleIJS9_S6_EEENSD_IJSA_SA_EEENS0_18inequality_wrapperIZN2at6native12_GLOBAL__N_124unique_dim_cuda_templateIaEESt5tupleIJNSH_6TensorESM_SM_EERKSM_lbbbEUlllE0_EEPmJS6_EEE10hipError_tPvRmT3_T4_T5_T6_T7_T9_mT8_P12ihipStream_tbDpT10_ENKUlT_T0_E_clISt17integral_constantIbLb1EES1C_EEDaS17_S18_EUlS17_E_NS1_11comp_targetILNS1_3genE8ELNS1_11target_archE1030ELNS1_3gpuE2ELNS1_3repE0EEENS1_30default_config_static_selectorELNS0_4arch9wavefront6targetE0EEEvT1_: ; @_ZN7rocprim17ROCPRIM_400000_NS6detail17trampoline_kernelINS0_14default_configENS1_25partition_config_selectorILNS1_17partition_subalgoE8ElNS0_10empty_typeEbEEZZNS1_14partition_implILS5_8ELb0ES3_jPlPS6_PKS6_NS0_5tupleIJS9_S6_EEENSD_IJSA_SA_EEENS0_18inequality_wrapperIZN2at6native12_GLOBAL__N_124unique_dim_cuda_templateIaEESt5tupleIJNSH_6TensorESM_SM_EERKSM_lbbbEUlllE0_EEPmJS6_EEE10hipError_tPvRmT3_T4_T5_T6_T7_T9_mT8_P12ihipStream_tbDpT10_ENKUlT_T0_E_clISt17integral_constantIbLb1EES1C_EEDaS17_S18_EUlS17_E_NS1_11comp_targetILNS1_3genE8ELNS1_11target_archE1030ELNS1_3gpuE2ELNS1_3repE0EEENS1_30default_config_static_selectorELNS0_4arch9wavefront6targetE0EEEvT1_
; %bb.0:
	.section	.rodata,"a",@progbits
	.p2align	6, 0x0
	.amdhsa_kernel _ZN7rocprim17ROCPRIM_400000_NS6detail17trampoline_kernelINS0_14default_configENS1_25partition_config_selectorILNS1_17partition_subalgoE8ElNS0_10empty_typeEbEEZZNS1_14partition_implILS5_8ELb0ES3_jPlPS6_PKS6_NS0_5tupleIJS9_S6_EEENSD_IJSA_SA_EEENS0_18inequality_wrapperIZN2at6native12_GLOBAL__N_124unique_dim_cuda_templateIaEESt5tupleIJNSH_6TensorESM_SM_EERKSM_lbbbEUlllE0_EEPmJS6_EEE10hipError_tPvRmT3_T4_T5_T6_T7_T9_mT8_P12ihipStream_tbDpT10_ENKUlT_T0_E_clISt17integral_constantIbLb1EES1C_EEDaS17_S18_EUlS17_E_NS1_11comp_targetILNS1_3genE8ELNS1_11target_archE1030ELNS1_3gpuE2ELNS1_3repE0EEENS1_30default_config_static_selectorELNS0_4arch9wavefront6targetE0EEEvT1_
		.amdhsa_group_segment_fixed_size 0
		.amdhsa_private_segment_fixed_size 0
		.amdhsa_kernarg_size 136
		.amdhsa_user_sgpr_count 2
		.amdhsa_user_sgpr_dispatch_ptr 0
		.amdhsa_user_sgpr_queue_ptr 0
		.amdhsa_user_sgpr_kernarg_segment_ptr 1
		.amdhsa_user_sgpr_dispatch_id 0
		.amdhsa_user_sgpr_kernarg_preload_length 0
		.amdhsa_user_sgpr_kernarg_preload_offset 0
		.amdhsa_user_sgpr_private_segment_size 0
		.amdhsa_wavefront_size32 1
		.amdhsa_uses_dynamic_stack 0
		.amdhsa_enable_private_segment 0
		.amdhsa_system_sgpr_workgroup_id_x 1
		.amdhsa_system_sgpr_workgroup_id_y 0
		.amdhsa_system_sgpr_workgroup_id_z 0
		.amdhsa_system_sgpr_workgroup_info 0
		.amdhsa_system_vgpr_workitem_id 0
		.amdhsa_next_free_vgpr 1
		.amdhsa_next_free_sgpr 1
		.amdhsa_named_barrier_count 0
		.amdhsa_reserve_vcc 0
		.amdhsa_float_round_mode_32 0
		.amdhsa_float_round_mode_16_64 0
		.amdhsa_float_denorm_mode_32 3
		.amdhsa_float_denorm_mode_16_64 3
		.amdhsa_fp16_overflow 0
		.amdhsa_memory_ordered 1
		.amdhsa_forward_progress 1
		.amdhsa_inst_pref_size 0
		.amdhsa_round_robin_scheduling 0
		.amdhsa_exception_fp_ieee_invalid_op 0
		.amdhsa_exception_fp_denorm_src 0
		.amdhsa_exception_fp_ieee_div_zero 0
		.amdhsa_exception_fp_ieee_overflow 0
		.amdhsa_exception_fp_ieee_underflow 0
		.amdhsa_exception_fp_ieee_inexact 0
		.amdhsa_exception_int_div_zero 0
	.end_amdhsa_kernel
	.section	.text._ZN7rocprim17ROCPRIM_400000_NS6detail17trampoline_kernelINS0_14default_configENS1_25partition_config_selectorILNS1_17partition_subalgoE8ElNS0_10empty_typeEbEEZZNS1_14partition_implILS5_8ELb0ES3_jPlPS6_PKS6_NS0_5tupleIJS9_S6_EEENSD_IJSA_SA_EEENS0_18inequality_wrapperIZN2at6native12_GLOBAL__N_124unique_dim_cuda_templateIaEESt5tupleIJNSH_6TensorESM_SM_EERKSM_lbbbEUlllE0_EEPmJS6_EEE10hipError_tPvRmT3_T4_T5_T6_T7_T9_mT8_P12ihipStream_tbDpT10_ENKUlT_T0_E_clISt17integral_constantIbLb1EES1C_EEDaS17_S18_EUlS17_E_NS1_11comp_targetILNS1_3genE8ELNS1_11target_archE1030ELNS1_3gpuE2ELNS1_3repE0EEENS1_30default_config_static_selectorELNS0_4arch9wavefront6targetE0EEEvT1_,"axG",@progbits,_ZN7rocprim17ROCPRIM_400000_NS6detail17trampoline_kernelINS0_14default_configENS1_25partition_config_selectorILNS1_17partition_subalgoE8ElNS0_10empty_typeEbEEZZNS1_14partition_implILS5_8ELb0ES3_jPlPS6_PKS6_NS0_5tupleIJS9_S6_EEENSD_IJSA_SA_EEENS0_18inequality_wrapperIZN2at6native12_GLOBAL__N_124unique_dim_cuda_templateIaEESt5tupleIJNSH_6TensorESM_SM_EERKSM_lbbbEUlllE0_EEPmJS6_EEE10hipError_tPvRmT3_T4_T5_T6_T7_T9_mT8_P12ihipStream_tbDpT10_ENKUlT_T0_E_clISt17integral_constantIbLb1EES1C_EEDaS17_S18_EUlS17_E_NS1_11comp_targetILNS1_3genE8ELNS1_11target_archE1030ELNS1_3gpuE2ELNS1_3repE0EEENS1_30default_config_static_selectorELNS0_4arch9wavefront6targetE0EEEvT1_,comdat
.Lfunc_end334:
	.size	_ZN7rocprim17ROCPRIM_400000_NS6detail17trampoline_kernelINS0_14default_configENS1_25partition_config_selectorILNS1_17partition_subalgoE8ElNS0_10empty_typeEbEEZZNS1_14partition_implILS5_8ELb0ES3_jPlPS6_PKS6_NS0_5tupleIJS9_S6_EEENSD_IJSA_SA_EEENS0_18inequality_wrapperIZN2at6native12_GLOBAL__N_124unique_dim_cuda_templateIaEESt5tupleIJNSH_6TensorESM_SM_EERKSM_lbbbEUlllE0_EEPmJS6_EEE10hipError_tPvRmT3_T4_T5_T6_T7_T9_mT8_P12ihipStream_tbDpT10_ENKUlT_T0_E_clISt17integral_constantIbLb1EES1C_EEDaS17_S18_EUlS17_E_NS1_11comp_targetILNS1_3genE8ELNS1_11target_archE1030ELNS1_3gpuE2ELNS1_3repE0EEENS1_30default_config_static_selectorELNS0_4arch9wavefront6targetE0EEEvT1_, .Lfunc_end334-_ZN7rocprim17ROCPRIM_400000_NS6detail17trampoline_kernelINS0_14default_configENS1_25partition_config_selectorILNS1_17partition_subalgoE8ElNS0_10empty_typeEbEEZZNS1_14partition_implILS5_8ELb0ES3_jPlPS6_PKS6_NS0_5tupleIJS9_S6_EEENSD_IJSA_SA_EEENS0_18inequality_wrapperIZN2at6native12_GLOBAL__N_124unique_dim_cuda_templateIaEESt5tupleIJNSH_6TensorESM_SM_EERKSM_lbbbEUlllE0_EEPmJS6_EEE10hipError_tPvRmT3_T4_T5_T6_T7_T9_mT8_P12ihipStream_tbDpT10_ENKUlT_T0_E_clISt17integral_constantIbLb1EES1C_EEDaS17_S18_EUlS17_E_NS1_11comp_targetILNS1_3genE8ELNS1_11target_archE1030ELNS1_3gpuE2ELNS1_3repE0EEENS1_30default_config_static_selectorELNS0_4arch9wavefront6targetE0EEEvT1_
                                        ; -- End function
	.set _ZN7rocprim17ROCPRIM_400000_NS6detail17trampoline_kernelINS0_14default_configENS1_25partition_config_selectorILNS1_17partition_subalgoE8ElNS0_10empty_typeEbEEZZNS1_14partition_implILS5_8ELb0ES3_jPlPS6_PKS6_NS0_5tupleIJS9_S6_EEENSD_IJSA_SA_EEENS0_18inequality_wrapperIZN2at6native12_GLOBAL__N_124unique_dim_cuda_templateIaEESt5tupleIJNSH_6TensorESM_SM_EERKSM_lbbbEUlllE0_EEPmJS6_EEE10hipError_tPvRmT3_T4_T5_T6_T7_T9_mT8_P12ihipStream_tbDpT10_ENKUlT_T0_E_clISt17integral_constantIbLb1EES1C_EEDaS17_S18_EUlS17_E_NS1_11comp_targetILNS1_3genE8ELNS1_11target_archE1030ELNS1_3gpuE2ELNS1_3repE0EEENS1_30default_config_static_selectorELNS0_4arch9wavefront6targetE0EEEvT1_.num_vgpr, 0
	.set _ZN7rocprim17ROCPRIM_400000_NS6detail17trampoline_kernelINS0_14default_configENS1_25partition_config_selectorILNS1_17partition_subalgoE8ElNS0_10empty_typeEbEEZZNS1_14partition_implILS5_8ELb0ES3_jPlPS6_PKS6_NS0_5tupleIJS9_S6_EEENSD_IJSA_SA_EEENS0_18inequality_wrapperIZN2at6native12_GLOBAL__N_124unique_dim_cuda_templateIaEESt5tupleIJNSH_6TensorESM_SM_EERKSM_lbbbEUlllE0_EEPmJS6_EEE10hipError_tPvRmT3_T4_T5_T6_T7_T9_mT8_P12ihipStream_tbDpT10_ENKUlT_T0_E_clISt17integral_constantIbLb1EES1C_EEDaS17_S18_EUlS17_E_NS1_11comp_targetILNS1_3genE8ELNS1_11target_archE1030ELNS1_3gpuE2ELNS1_3repE0EEENS1_30default_config_static_selectorELNS0_4arch9wavefront6targetE0EEEvT1_.num_agpr, 0
	.set _ZN7rocprim17ROCPRIM_400000_NS6detail17trampoline_kernelINS0_14default_configENS1_25partition_config_selectorILNS1_17partition_subalgoE8ElNS0_10empty_typeEbEEZZNS1_14partition_implILS5_8ELb0ES3_jPlPS6_PKS6_NS0_5tupleIJS9_S6_EEENSD_IJSA_SA_EEENS0_18inequality_wrapperIZN2at6native12_GLOBAL__N_124unique_dim_cuda_templateIaEESt5tupleIJNSH_6TensorESM_SM_EERKSM_lbbbEUlllE0_EEPmJS6_EEE10hipError_tPvRmT3_T4_T5_T6_T7_T9_mT8_P12ihipStream_tbDpT10_ENKUlT_T0_E_clISt17integral_constantIbLb1EES1C_EEDaS17_S18_EUlS17_E_NS1_11comp_targetILNS1_3genE8ELNS1_11target_archE1030ELNS1_3gpuE2ELNS1_3repE0EEENS1_30default_config_static_selectorELNS0_4arch9wavefront6targetE0EEEvT1_.numbered_sgpr, 0
	.set _ZN7rocprim17ROCPRIM_400000_NS6detail17trampoline_kernelINS0_14default_configENS1_25partition_config_selectorILNS1_17partition_subalgoE8ElNS0_10empty_typeEbEEZZNS1_14partition_implILS5_8ELb0ES3_jPlPS6_PKS6_NS0_5tupleIJS9_S6_EEENSD_IJSA_SA_EEENS0_18inequality_wrapperIZN2at6native12_GLOBAL__N_124unique_dim_cuda_templateIaEESt5tupleIJNSH_6TensorESM_SM_EERKSM_lbbbEUlllE0_EEPmJS6_EEE10hipError_tPvRmT3_T4_T5_T6_T7_T9_mT8_P12ihipStream_tbDpT10_ENKUlT_T0_E_clISt17integral_constantIbLb1EES1C_EEDaS17_S18_EUlS17_E_NS1_11comp_targetILNS1_3genE8ELNS1_11target_archE1030ELNS1_3gpuE2ELNS1_3repE0EEENS1_30default_config_static_selectorELNS0_4arch9wavefront6targetE0EEEvT1_.num_named_barrier, 0
	.set _ZN7rocprim17ROCPRIM_400000_NS6detail17trampoline_kernelINS0_14default_configENS1_25partition_config_selectorILNS1_17partition_subalgoE8ElNS0_10empty_typeEbEEZZNS1_14partition_implILS5_8ELb0ES3_jPlPS6_PKS6_NS0_5tupleIJS9_S6_EEENSD_IJSA_SA_EEENS0_18inequality_wrapperIZN2at6native12_GLOBAL__N_124unique_dim_cuda_templateIaEESt5tupleIJNSH_6TensorESM_SM_EERKSM_lbbbEUlllE0_EEPmJS6_EEE10hipError_tPvRmT3_T4_T5_T6_T7_T9_mT8_P12ihipStream_tbDpT10_ENKUlT_T0_E_clISt17integral_constantIbLb1EES1C_EEDaS17_S18_EUlS17_E_NS1_11comp_targetILNS1_3genE8ELNS1_11target_archE1030ELNS1_3gpuE2ELNS1_3repE0EEENS1_30default_config_static_selectorELNS0_4arch9wavefront6targetE0EEEvT1_.private_seg_size, 0
	.set _ZN7rocprim17ROCPRIM_400000_NS6detail17trampoline_kernelINS0_14default_configENS1_25partition_config_selectorILNS1_17partition_subalgoE8ElNS0_10empty_typeEbEEZZNS1_14partition_implILS5_8ELb0ES3_jPlPS6_PKS6_NS0_5tupleIJS9_S6_EEENSD_IJSA_SA_EEENS0_18inequality_wrapperIZN2at6native12_GLOBAL__N_124unique_dim_cuda_templateIaEESt5tupleIJNSH_6TensorESM_SM_EERKSM_lbbbEUlllE0_EEPmJS6_EEE10hipError_tPvRmT3_T4_T5_T6_T7_T9_mT8_P12ihipStream_tbDpT10_ENKUlT_T0_E_clISt17integral_constantIbLb1EES1C_EEDaS17_S18_EUlS17_E_NS1_11comp_targetILNS1_3genE8ELNS1_11target_archE1030ELNS1_3gpuE2ELNS1_3repE0EEENS1_30default_config_static_selectorELNS0_4arch9wavefront6targetE0EEEvT1_.uses_vcc, 0
	.set _ZN7rocprim17ROCPRIM_400000_NS6detail17trampoline_kernelINS0_14default_configENS1_25partition_config_selectorILNS1_17partition_subalgoE8ElNS0_10empty_typeEbEEZZNS1_14partition_implILS5_8ELb0ES3_jPlPS6_PKS6_NS0_5tupleIJS9_S6_EEENSD_IJSA_SA_EEENS0_18inequality_wrapperIZN2at6native12_GLOBAL__N_124unique_dim_cuda_templateIaEESt5tupleIJNSH_6TensorESM_SM_EERKSM_lbbbEUlllE0_EEPmJS6_EEE10hipError_tPvRmT3_T4_T5_T6_T7_T9_mT8_P12ihipStream_tbDpT10_ENKUlT_T0_E_clISt17integral_constantIbLb1EES1C_EEDaS17_S18_EUlS17_E_NS1_11comp_targetILNS1_3genE8ELNS1_11target_archE1030ELNS1_3gpuE2ELNS1_3repE0EEENS1_30default_config_static_selectorELNS0_4arch9wavefront6targetE0EEEvT1_.uses_flat_scratch, 0
	.set _ZN7rocprim17ROCPRIM_400000_NS6detail17trampoline_kernelINS0_14default_configENS1_25partition_config_selectorILNS1_17partition_subalgoE8ElNS0_10empty_typeEbEEZZNS1_14partition_implILS5_8ELb0ES3_jPlPS6_PKS6_NS0_5tupleIJS9_S6_EEENSD_IJSA_SA_EEENS0_18inequality_wrapperIZN2at6native12_GLOBAL__N_124unique_dim_cuda_templateIaEESt5tupleIJNSH_6TensorESM_SM_EERKSM_lbbbEUlllE0_EEPmJS6_EEE10hipError_tPvRmT3_T4_T5_T6_T7_T9_mT8_P12ihipStream_tbDpT10_ENKUlT_T0_E_clISt17integral_constantIbLb1EES1C_EEDaS17_S18_EUlS17_E_NS1_11comp_targetILNS1_3genE8ELNS1_11target_archE1030ELNS1_3gpuE2ELNS1_3repE0EEENS1_30default_config_static_selectorELNS0_4arch9wavefront6targetE0EEEvT1_.has_dyn_sized_stack, 0
	.set _ZN7rocprim17ROCPRIM_400000_NS6detail17trampoline_kernelINS0_14default_configENS1_25partition_config_selectorILNS1_17partition_subalgoE8ElNS0_10empty_typeEbEEZZNS1_14partition_implILS5_8ELb0ES3_jPlPS6_PKS6_NS0_5tupleIJS9_S6_EEENSD_IJSA_SA_EEENS0_18inequality_wrapperIZN2at6native12_GLOBAL__N_124unique_dim_cuda_templateIaEESt5tupleIJNSH_6TensorESM_SM_EERKSM_lbbbEUlllE0_EEPmJS6_EEE10hipError_tPvRmT3_T4_T5_T6_T7_T9_mT8_P12ihipStream_tbDpT10_ENKUlT_T0_E_clISt17integral_constantIbLb1EES1C_EEDaS17_S18_EUlS17_E_NS1_11comp_targetILNS1_3genE8ELNS1_11target_archE1030ELNS1_3gpuE2ELNS1_3repE0EEENS1_30default_config_static_selectorELNS0_4arch9wavefront6targetE0EEEvT1_.has_recursion, 0
	.set _ZN7rocprim17ROCPRIM_400000_NS6detail17trampoline_kernelINS0_14default_configENS1_25partition_config_selectorILNS1_17partition_subalgoE8ElNS0_10empty_typeEbEEZZNS1_14partition_implILS5_8ELb0ES3_jPlPS6_PKS6_NS0_5tupleIJS9_S6_EEENSD_IJSA_SA_EEENS0_18inequality_wrapperIZN2at6native12_GLOBAL__N_124unique_dim_cuda_templateIaEESt5tupleIJNSH_6TensorESM_SM_EERKSM_lbbbEUlllE0_EEPmJS6_EEE10hipError_tPvRmT3_T4_T5_T6_T7_T9_mT8_P12ihipStream_tbDpT10_ENKUlT_T0_E_clISt17integral_constantIbLb1EES1C_EEDaS17_S18_EUlS17_E_NS1_11comp_targetILNS1_3genE8ELNS1_11target_archE1030ELNS1_3gpuE2ELNS1_3repE0EEENS1_30default_config_static_selectorELNS0_4arch9wavefront6targetE0EEEvT1_.has_indirect_call, 0
	.section	.AMDGPU.csdata,"",@progbits
; Kernel info:
; codeLenInByte = 0
; TotalNumSgprs: 0
; NumVgprs: 0
; ScratchSize: 0
; MemoryBound: 0
; FloatMode: 240
; IeeeMode: 1
; LDSByteSize: 0 bytes/workgroup (compile time only)
; SGPRBlocks: 0
; VGPRBlocks: 0
; NumSGPRsForWavesPerEU: 1
; NumVGPRsForWavesPerEU: 1
; NamedBarCnt: 0
; Occupancy: 16
; WaveLimiterHint : 0
; COMPUTE_PGM_RSRC2:SCRATCH_EN: 0
; COMPUTE_PGM_RSRC2:USER_SGPR: 2
; COMPUTE_PGM_RSRC2:TRAP_HANDLER: 0
; COMPUTE_PGM_RSRC2:TGID_X_EN: 1
; COMPUTE_PGM_RSRC2:TGID_Y_EN: 0
; COMPUTE_PGM_RSRC2:TGID_Z_EN: 0
; COMPUTE_PGM_RSRC2:TIDIG_COMP_CNT: 0
	.section	.text._ZN7rocprim17ROCPRIM_400000_NS6detail17trampoline_kernelINS0_14default_configENS1_25partition_config_selectorILNS1_17partition_subalgoE8ElNS0_10empty_typeEbEEZZNS1_14partition_implILS5_8ELb0ES3_jPlPS6_PKS6_NS0_5tupleIJS9_S6_EEENSD_IJSA_SA_EEENS0_18inequality_wrapperIZN2at6native12_GLOBAL__N_124unique_dim_cuda_templateIaEESt5tupleIJNSH_6TensorESM_SM_EERKSM_lbbbEUlllE0_EEPmJS6_EEE10hipError_tPvRmT3_T4_T5_T6_T7_T9_mT8_P12ihipStream_tbDpT10_ENKUlT_T0_E_clISt17integral_constantIbLb1EES1B_IbLb0EEEEDaS17_S18_EUlS17_E_NS1_11comp_targetILNS1_3genE0ELNS1_11target_archE4294967295ELNS1_3gpuE0ELNS1_3repE0EEENS1_30default_config_static_selectorELNS0_4arch9wavefront6targetE0EEEvT1_,"axG",@progbits,_ZN7rocprim17ROCPRIM_400000_NS6detail17trampoline_kernelINS0_14default_configENS1_25partition_config_selectorILNS1_17partition_subalgoE8ElNS0_10empty_typeEbEEZZNS1_14partition_implILS5_8ELb0ES3_jPlPS6_PKS6_NS0_5tupleIJS9_S6_EEENSD_IJSA_SA_EEENS0_18inequality_wrapperIZN2at6native12_GLOBAL__N_124unique_dim_cuda_templateIaEESt5tupleIJNSH_6TensorESM_SM_EERKSM_lbbbEUlllE0_EEPmJS6_EEE10hipError_tPvRmT3_T4_T5_T6_T7_T9_mT8_P12ihipStream_tbDpT10_ENKUlT_T0_E_clISt17integral_constantIbLb1EES1B_IbLb0EEEEDaS17_S18_EUlS17_E_NS1_11comp_targetILNS1_3genE0ELNS1_11target_archE4294967295ELNS1_3gpuE0ELNS1_3repE0EEENS1_30default_config_static_selectorELNS0_4arch9wavefront6targetE0EEEvT1_,comdat
	.globl	_ZN7rocprim17ROCPRIM_400000_NS6detail17trampoline_kernelINS0_14default_configENS1_25partition_config_selectorILNS1_17partition_subalgoE8ElNS0_10empty_typeEbEEZZNS1_14partition_implILS5_8ELb0ES3_jPlPS6_PKS6_NS0_5tupleIJS9_S6_EEENSD_IJSA_SA_EEENS0_18inequality_wrapperIZN2at6native12_GLOBAL__N_124unique_dim_cuda_templateIaEESt5tupleIJNSH_6TensorESM_SM_EERKSM_lbbbEUlllE0_EEPmJS6_EEE10hipError_tPvRmT3_T4_T5_T6_T7_T9_mT8_P12ihipStream_tbDpT10_ENKUlT_T0_E_clISt17integral_constantIbLb1EES1B_IbLb0EEEEDaS17_S18_EUlS17_E_NS1_11comp_targetILNS1_3genE0ELNS1_11target_archE4294967295ELNS1_3gpuE0ELNS1_3repE0EEENS1_30default_config_static_selectorELNS0_4arch9wavefront6targetE0EEEvT1_ ; -- Begin function _ZN7rocprim17ROCPRIM_400000_NS6detail17trampoline_kernelINS0_14default_configENS1_25partition_config_selectorILNS1_17partition_subalgoE8ElNS0_10empty_typeEbEEZZNS1_14partition_implILS5_8ELb0ES3_jPlPS6_PKS6_NS0_5tupleIJS9_S6_EEENSD_IJSA_SA_EEENS0_18inequality_wrapperIZN2at6native12_GLOBAL__N_124unique_dim_cuda_templateIaEESt5tupleIJNSH_6TensorESM_SM_EERKSM_lbbbEUlllE0_EEPmJS6_EEE10hipError_tPvRmT3_T4_T5_T6_T7_T9_mT8_P12ihipStream_tbDpT10_ENKUlT_T0_E_clISt17integral_constantIbLb1EES1B_IbLb0EEEEDaS17_S18_EUlS17_E_NS1_11comp_targetILNS1_3genE0ELNS1_11target_archE4294967295ELNS1_3gpuE0ELNS1_3repE0EEENS1_30default_config_static_selectorELNS0_4arch9wavefront6targetE0EEEvT1_
	.p2align	8
	.type	_ZN7rocprim17ROCPRIM_400000_NS6detail17trampoline_kernelINS0_14default_configENS1_25partition_config_selectorILNS1_17partition_subalgoE8ElNS0_10empty_typeEbEEZZNS1_14partition_implILS5_8ELb0ES3_jPlPS6_PKS6_NS0_5tupleIJS9_S6_EEENSD_IJSA_SA_EEENS0_18inequality_wrapperIZN2at6native12_GLOBAL__N_124unique_dim_cuda_templateIaEESt5tupleIJNSH_6TensorESM_SM_EERKSM_lbbbEUlllE0_EEPmJS6_EEE10hipError_tPvRmT3_T4_T5_T6_T7_T9_mT8_P12ihipStream_tbDpT10_ENKUlT_T0_E_clISt17integral_constantIbLb1EES1B_IbLb0EEEEDaS17_S18_EUlS17_E_NS1_11comp_targetILNS1_3genE0ELNS1_11target_archE4294967295ELNS1_3gpuE0ELNS1_3repE0EEENS1_30default_config_static_selectorELNS0_4arch9wavefront6targetE0EEEvT1_,@function
_ZN7rocprim17ROCPRIM_400000_NS6detail17trampoline_kernelINS0_14default_configENS1_25partition_config_selectorILNS1_17partition_subalgoE8ElNS0_10empty_typeEbEEZZNS1_14partition_implILS5_8ELb0ES3_jPlPS6_PKS6_NS0_5tupleIJS9_S6_EEENSD_IJSA_SA_EEENS0_18inequality_wrapperIZN2at6native12_GLOBAL__N_124unique_dim_cuda_templateIaEESt5tupleIJNSH_6TensorESM_SM_EERKSM_lbbbEUlllE0_EEPmJS6_EEE10hipError_tPvRmT3_T4_T5_T6_T7_T9_mT8_P12ihipStream_tbDpT10_ENKUlT_T0_E_clISt17integral_constantIbLb1EES1B_IbLb0EEEEDaS17_S18_EUlS17_E_NS1_11comp_targetILNS1_3genE0ELNS1_11target_archE4294967295ELNS1_3gpuE0ELNS1_3repE0EEENS1_30default_config_static_selectorELNS0_4arch9wavefront6targetE0EEEvT1_: ; @_ZN7rocprim17ROCPRIM_400000_NS6detail17trampoline_kernelINS0_14default_configENS1_25partition_config_selectorILNS1_17partition_subalgoE8ElNS0_10empty_typeEbEEZZNS1_14partition_implILS5_8ELb0ES3_jPlPS6_PKS6_NS0_5tupleIJS9_S6_EEENSD_IJSA_SA_EEENS0_18inequality_wrapperIZN2at6native12_GLOBAL__N_124unique_dim_cuda_templateIaEESt5tupleIJNSH_6TensorESM_SM_EERKSM_lbbbEUlllE0_EEPmJS6_EEE10hipError_tPvRmT3_T4_T5_T6_T7_T9_mT8_P12ihipStream_tbDpT10_ENKUlT_T0_E_clISt17integral_constantIbLb1EES1B_IbLb0EEEEDaS17_S18_EUlS17_E_NS1_11comp_targetILNS1_3genE0ELNS1_11target_archE4294967295ELNS1_3gpuE0ELNS1_3repE0EEENS1_30default_config_static_selectorELNS0_4arch9wavefront6targetE0EEEvT1_
; %bb.0:
	s_endpgm
	.section	.rodata,"a",@progbits
	.p2align	6, 0x0
	.amdhsa_kernel _ZN7rocprim17ROCPRIM_400000_NS6detail17trampoline_kernelINS0_14default_configENS1_25partition_config_selectorILNS1_17partition_subalgoE8ElNS0_10empty_typeEbEEZZNS1_14partition_implILS5_8ELb0ES3_jPlPS6_PKS6_NS0_5tupleIJS9_S6_EEENSD_IJSA_SA_EEENS0_18inequality_wrapperIZN2at6native12_GLOBAL__N_124unique_dim_cuda_templateIaEESt5tupleIJNSH_6TensorESM_SM_EERKSM_lbbbEUlllE0_EEPmJS6_EEE10hipError_tPvRmT3_T4_T5_T6_T7_T9_mT8_P12ihipStream_tbDpT10_ENKUlT_T0_E_clISt17integral_constantIbLb1EES1B_IbLb0EEEEDaS17_S18_EUlS17_E_NS1_11comp_targetILNS1_3genE0ELNS1_11target_archE4294967295ELNS1_3gpuE0ELNS1_3repE0EEENS1_30default_config_static_selectorELNS0_4arch9wavefront6targetE0EEEvT1_
		.amdhsa_group_segment_fixed_size 0
		.amdhsa_private_segment_fixed_size 0
		.amdhsa_kernarg_size 120
		.amdhsa_user_sgpr_count 2
		.amdhsa_user_sgpr_dispatch_ptr 0
		.amdhsa_user_sgpr_queue_ptr 0
		.amdhsa_user_sgpr_kernarg_segment_ptr 1
		.amdhsa_user_sgpr_dispatch_id 0
		.amdhsa_user_sgpr_kernarg_preload_length 0
		.amdhsa_user_sgpr_kernarg_preload_offset 0
		.amdhsa_user_sgpr_private_segment_size 0
		.amdhsa_wavefront_size32 1
		.amdhsa_uses_dynamic_stack 0
		.amdhsa_enable_private_segment 0
		.amdhsa_system_sgpr_workgroup_id_x 1
		.amdhsa_system_sgpr_workgroup_id_y 0
		.amdhsa_system_sgpr_workgroup_id_z 0
		.amdhsa_system_sgpr_workgroup_info 0
		.amdhsa_system_vgpr_workitem_id 0
		.amdhsa_next_free_vgpr 1
		.amdhsa_next_free_sgpr 1
		.amdhsa_named_barrier_count 0
		.amdhsa_reserve_vcc 0
		.amdhsa_float_round_mode_32 0
		.amdhsa_float_round_mode_16_64 0
		.amdhsa_float_denorm_mode_32 3
		.amdhsa_float_denorm_mode_16_64 3
		.amdhsa_fp16_overflow 0
		.amdhsa_memory_ordered 1
		.amdhsa_forward_progress 1
		.amdhsa_inst_pref_size 1
		.amdhsa_round_robin_scheduling 0
		.amdhsa_exception_fp_ieee_invalid_op 0
		.amdhsa_exception_fp_denorm_src 0
		.amdhsa_exception_fp_ieee_div_zero 0
		.amdhsa_exception_fp_ieee_overflow 0
		.amdhsa_exception_fp_ieee_underflow 0
		.amdhsa_exception_fp_ieee_inexact 0
		.amdhsa_exception_int_div_zero 0
	.end_amdhsa_kernel
	.section	.text._ZN7rocprim17ROCPRIM_400000_NS6detail17trampoline_kernelINS0_14default_configENS1_25partition_config_selectorILNS1_17partition_subalgoE8ElNS0_10empty_typeEbEEZZNS1_14partition_implILS5_8ELb0ES3_jPlPS6_PKS6_NS0_5tupleIJS9_S6_EEENSD_IJSA_SA_EEENS0_18inequality_wrapperIZN2at6native12_GLOBAL__N_124unique_dim_cuda_templateIaEESt5tupleIJNSH_6TensorESM_SM_EERKSM_lbbbEUlllE0_EEPmJS6_EEE10hipError_tPvRmT3_T4_T5_T6_T7_T9_mT8_P12ihipStream_tbDpT10_ENKUlT_T0_E_clISt17integral_constantIbLb1EES1B_IbLb0EEEEDaS17_S18_EUlS17_E_NS1_11comp_targetILNS1_3genE0ELNS1_11target_archE4294967295ELNS1_3gpuE0ELNS1_3repE0EEENS1_30default_config_static_selectorELNS0_4arch9wavefront6targetE0EEEvT1_,"axG",@progbits,_ZN7rocprim17ROCPRIM_400000_NS6detail17trampoline_kernelINS0_14default_configENS1_25partition_config_selectorILNS1_17partition_subalgoE8ElNS0_10empty_typeEbEEZZNS1_14partition_implILS5_8ELb0ES3_jPlPS6_PKS6_NS0_5tupleIJS9_S6_EEENSD_IJSA_SA_EEENS0_18inequality_wrapperIZN2at6native12_GLOBAL__N_124unique_dim_cuda_templateIaEESt5tupleIJNSH_6TensorESM_SM_EERKSM_lbbbEUlllE0_EEPmJS6_EEE10hipError_tPvRmT3_T4_T5_T6_T7_T9_mT8_P12ihipStream_tbDpT10_ENKUlT_T0_E_clISt17integral_constantIbLb1EES1B_IbLb0EEEEDaS17_S18_EUlS17_E_NS1_11comp_targetILNS1_3genE0ELNS1_11target_archE4294967295ELNS1_3gpuE0ELNS1_3repE0EEENS1_30default_config_static_selectorELNS0_4arch9wavefront6targetE0EEEvT1_,comdat
.Lfunc_end335:
	.size	_ZN7rocprim17ROCPRIM_400000_NS6detail17trampoline_kernelINS0_14default_configENS1_25partition_config_selectorILNS1_17partition_subalgoE8ElNS0_10empty_typeEbEEZZNS1_14partition_implILS5_8ELb0ES3_jPlPS6_PKS6_NS0_5tupleIJS9_S6_EEENSD_IJSA_SA_EEENS0_18inequality_wrapperIZN2at6native12_GLOBAL__N_124unique_dim_cuda_templateIaEESt5tupleIJNSH_6TensorESM_SM_EERKSM_lbbbEUlllE0_EEPmJS6_EEE10hipError_tPvRmT3_T4_T5_T6_T7_T9_mT8_P12ihipStream_tbDpT10_ENKUlT_T0_E_clISt17integral_constantIbLb1EES1B_IbLb0EEEEDaS17_S18_EUlS17_E_NS1_11comp_targetILNS1_3genE0ELNS1_11target_archE4294967295ELNS1_3gpuE0ELNS1_3repE0EEENS1_30default_config_static_selectorELNS0_4arch9wavefront6targetE0EEEvT1_, .Lfunc_end335-_ZN7rocprim17ROCPRIM_400000_NS6detail17trampoline_kernelINS0_14default_configENS1_25partition_config_selectorILNS1_17partition_subalgoE8ElNS0_10empty_typeEbEEZZNS1_14partition_implILS5_8ELb0ES3_jPlPS6_PKS6_NS0_5tupleIJS9_S6_EEENSD_IJSA_SA_EEENS0_18inequality_wrapperIZN2at6native12_GLOBAL__N_124unique_dim_cuda_templateIaEESt5tupleIJNSH_6TensorESM_SM_EERKSM_lbbbEUlllE0_EEPmJS6_EEE10hipError_tPvRmT3_T4_T5_T6_T7_T9_mT8_P12ihipStream_tbDpT10_ENKUlT_T0_E_clISt17integral_constantIbLb1EES1B_IbLb0EEEEDaS17_S18_EUlS17_E_NS1_11comp_targetILNS1_3genE0ELNS1_11target_archE4294967295ELNS1_3gpuE0ELNS1_3repE0EEENS1_30default_config_static_selectorELNS0_4arch9wavefront6targetE0EEEvT1_
                                        ; -- End function
	.set _ZN7rocprim17ROCPRIM_400000_NS6detail17trampoline_kernelINS0_14default_configENS1_25partition_config_selectorILNS1_17partition_subalgoE8ElNS0_10empty_typeEbEEZZNS1_14partition_implILS5_8ELb0ES3_jPlPS6_PKS6_NS0_5tupleIJS9_S6_EEENSD_IJSA_SA_EEENS0_18inequality_wrapperIZN2at6native12_GLOBAL__N_124unique_dim_cuda_templateIaEESt5tupleIJNSH_6TensorESM_SM_EERKSM_lbbbEUlllE0_EEPmJS6_EEE10hipError_tPvRmT3_T4_T5_T6_T7_T9_mT8_P12ihipStream_tbDpT10_ENKUlT_T0_E_clISt17integral_constantIbLb1EES1B_IbLb0EEEEDaS17_S18_EUlS17_E_NS1_11comp_targetILNS1_3genE0ELNS1_11target_archE4294967295ELNS1_3gpuE0ELNS1_3repE0EEENS1_30default_config_static_selectorELNS0_4arch9wavefront6targetE0EEEvT1_.num_vgpr, 0
	.set _ZN7rocprim17ROCPRIM_400000_NS6detail17trampoline_kernelINS0_14default_configENS1_25partition_config_selectorILNS1_17partition_subalgoE8ElNS0_10empty_typeEbEEZZNS1_14partition_implILS5_8ELb0ES3_jPlPS6_PKS6_NS0_5tupleIJS9_S6_EEENSD_IJSA_SA_EEENS0_18inequality_wrapperIZN2at6native12_GLOBAL__N_124unique_dim_cuda_templateIaEESt5tupleIJNSH_6TensorESM_SM_EERKSM_lbbbEUlllE0_EEPmJS6_EEE10hipError_tPvRmT3_T4_T5_T6_T7_T9_mT8_P12ihipStream_tbDpT10_ENKUlT_T0_E_clISt17integral_constantIbLb1EES1B_IbLb0EEEEDaS17_S18_EUlS17_E_NS1_11comp_targetILNS1_3genE0ELNS1_11target_archE4294967295ELNS1_3gpuE0ELNS1_3repE0EEENS1_30default_config_static_selectorELNS0_4arch9wavefront6targetE0EEEvT1_.num_agpr, 0
	.set _ZN7rocprim17ROCPRIM_400000_NS6detail17trampoline_kernelINS0_14default_configENS1_25partition_config_selectorILNS1_17partition_subalgoE8ElNS0_10empty_typeEbEEZZNS1_14partition_implILS5_8ELb0ES3_jPlPS6_PKS6_NS0_5tupleIJS9_S6_EEENSD_IJSA_SA_EEENS0_18inequality_wrapperIZN2at6native12_GLOBAL__N_124unique_dim_cuda_templateIaEESt5tupleIJNSH_6TensorESM_SM_EERKSM_lbbbEUlllE0_EEPmJS6_EEE10hipError_tPvRmT3_T4_T5_T6_T7_T9_mT8_P12ihipStream_tbDpT10_ENKUlT_T0_E_clISt17integral_constantIbLb1EES1B_IbLb0EEEEDaS17_S18_EUlS17_E_NS1_11comp_targetILNS1_3genE0ELNS1_11target_archE4294967295ELNS1_3gpuE0ELNS1_3repE0EEENS1_30default_config_static_selectorELNS0_4arch9wavefront6targetE0EEEvT1_.numbered_sgpr, 0
	.set _ZN7rocprim17ROCPRIM_400000_NS6detail17trampoline_kernelINS0_14default_configENS1_25partition_config_selectorILNS1_17partition_subalgoE8ElNS0_10empty_typeEbEEZZNS1_14partition_implILS5_8ELb0ES3_jPlPS6_PKS6_NS0_5tupleIJS9_S6_EEENSD_IJSA_SA_EEENS0_18inequality_wrapperIZN2at6native12_GLOBAL__N_124unique_dim_cuda_templateIaEESt5tupleIJNSH_6TensorESM_SM_EERKSM_lbbbEUlllE0_EEPmJS6_EEE10hipError_tPvRmT3_T4_T5_T6_T7_T9_mT8_P12ihipStream_tbDpT10_ENKUlT_T0_E_clISt17integral_constantIbLb1EES1B_IbLb0EEEEDaS17_S18_EUlS17_E_NS1_11comp_targetILNS1_3genE0ELNS1_11target_archE4294967295ELNS1_3gpuE0ELNS1_3repE0EEENS1_30default_config_static_selectorELNS0_4arch9wavefront6targetE0EEEvT1_.num_named_barrier, 0
	.set _ZN7rocprim17ROCPRIM_400000_NS6detail17trampoline_kernelINS0_14default_configENS1_25partition_config_selectorILNS1_17partition_subalgoE8ElNS0_10empty_typeEbEEZZNS1_14partition_implILS5_8ELb0ES3_jPlPS6_PKS6_NS0_5tupleIJS9_S6_EEENSD_IJSA_SA_EEENS0_18inequality_wrapperIZN2at6native12_GLOBAL__N_124unique_dim_cuda_templateIaEESt5tupleIJNSH_6TensorESM_SM_EERKSM_lbbbEUlllE0_EEPmJS6_EEE10hipError_tPvRmT3_T4_T5_T6_T7_T9_mT8_P12ihipStream_tbDpT10_ENKUlT_T0_E_clISt17integral_constantIbLb1EES1B_IbLb0EEEEDaS17_S18_EUlS17_E_NS1_11comp_targetILNS1_3genE0ELNS1_11target_archE4294967295ELNS1_3gpuE0ELNS1_3repE0EEENS1_30default_config_static_selectorELNS0_4arch9wavefront6targetE0EEEvT1_.private_seg_size, 0
	.set _ZN7rocprim17ROCPRIM_400000_NS6detail17trampoline_kernelINS0_14default_configENS1_25partition_config_selectorILNS1_17partition_subalgoE8ElNS0_10empty_typeEbEEZZNS1_14partition_implILS5_8ELb0ES3_jPlPS6_PKS6_NS0_5tupleIJS9_S6_EEENSD_IJSA_SA_EEENS0_18inequality_wrapperIZN2at6native12_GLOBAL__N_124unique_dim_cuda_templateIaEESt5tupleIJNSH_6TensorESM_SM_EERKSM_lbbbEUlllE0_EEPmJS6_EEE10hipError_tPvRmT3_T4_T5_T6_T7_T9_mT8_P12ihipStream_tbDpT10_ENKUlT_T0_E_clISt17integral_constantIbLb1EES1B_IbLb0EEEEDaS17_S18_EUlS17_E_NS1_11comp_targetILNS1_3genE0ELNS1_11target_archE4294967295ELNS1_3gpuE0ELNS1_3repE0EEENS1_30default_config_static_selectorELNS0_4arch9wavefront6targetE0EEEvT1_.uses_vcc, 0
	.set _ZN7rocprim17ROCPRIM_400000_NS6detail17trampoline_kernelINS0_14default_configENS1_25partition_config_selectorILNS1_17partition_subalgoE8ElNS0_10empty_typeEbEEZZNS1_14partition_implILS5_8ELb0ES3_jPlPS6_PKS6_NS0_5tupleIJS9_S6_EEENSD_IJSA_SA_EEENS0_18inequality_wrapperIZN2at6native12_GLOBAL__N_124unique_dim_cuda_templateIaEESt5tupleIJNSH_6TensorESM_SM_EERKSM_lbbbEUlllE0_EEPmJS6_EEE10hipError_tPvRmT3_T4_T5_T6_T7_T9_mT8_P12ihipStream_tbDpT10_ENKUlT_T0_E_clISt17integral_constantIbLb1EES1B_IbLb0EEEEDaS17_S18_EUlS17_E_NS1_11comp_targetILNS1_3genE0ELNS1_11target_archE4294967295ELNS1_3gpuE0ELNS1_3repE0EEENS1_30default_config_static_selectorELNS0_4arch9wavefront6targetE0EEEvT1_.uses_flat_scratch, 0
	.set _ZN7rocprim17ROCPRIM_400000_NS6detail17trampoline_kernelINS0_14default_configENS1_25partition_config_selectorILNS1_17partition_subalgoE8ElNS0_10empty_typeEbEEZZNS1_14partition_implILS5_8ELb0ES3_jPlPS6_PKS6_NS0_5tupleIJS9_S6_EEENSD_IJSA_SA_EEENS0_18inequality_wrapperIZN2at6native12_GLOBAL__N_124unique_dim_cuda_templateIaEESt5tupleIJNSH_6TensorESM_SM_EERKSM_lbbbEUlllE0_EEPmJS6_EEE10hipError_tPvRmT3_T4_T5_T6_T7_T9_mT8_P12ihipStream_tbDpT10_ENKUlT_T0_E_clISt17integral_constantIbLb1EES1B_IbLb0EEEEDaS17_S18_EUlS17_E_NS1_11comp_targetILNS1_3genE0ELNS1_11target_archE4294967295ELNS1_3gpuE0ELNS1_3repE0EEENS1_30default_config_static_selectorELNS0_4arch9wavefront6targetE0EEEvT1_.has_dyn_sized_stack, 0
	.set _ZN7rocprim17ROCPRIM_400000_NS6detail17trampoline_kernelINS0_14default_configENS1_25partition_config_selectorILNS1_17partition_subalgoE8ElNS0_10empty_typeEbEEZZNS1_14partition_implILS5_8ELb0ES3_jPlPS6_PKS6_NS0_5tupleIJS9_S6_EEENSD_IJSA_SA_EEENS0_18inequality_wrapperIZN2at6native12_GLOBAL__N_124unique_dim_cuda_templateIaEESt5tupleIJNSH_6TensorESM_SM_EERKSM_lbbbEUlllE0_EEPmJS6_EEE10hipError_tPvRmT3_T4_T5_T6_T7_T9_mT8_P12ihipStream_tbDpT10_ENKUlT_T0_E_clISt17integral_constantIbLb1EES1B_IbLb0EEEEDaS17_S18_EUlS17_E_NS1_11comp_targetILNS1_3genE0ELNS1_11target_archE4294967295ELNS1_3gpuE0ELNS1_3repE0EEENS1_30default_config_static_selectorELNS0_4arch9wavefront6targetE0EEEvT1_.has_recursion, 0
	.set _ZN7rocprim17ROCPRIM_400000_NS6detail17trampoline_kernelINS0_14default_configENS1_25partition_config_selectorILNS1_17partition_subalgoE8ElNS0_10empty_typeEbEEZZNS1_14partition_implILS5_8ELb0ES3_jPlPS6_PKS6_NS0_5tupleIJS9_S6_EEENSD_IJSA_SA_EEENS0_18inequality_wrapperIZN2at6native12_GLOBAL__N_124unique_dim_cuda_templateIaEESt5tupleIJNSH_6TensorESM_SM_EERKSM_lbbbEUlllE0_EEPmJS6_EEE10hipError_tPvRmT3_T4_T5_T6_T7_T9_mT8_P12ihipStream_tbDpT10_ENKUlT_T0_E_clISt17integral_constantIbLb1EES1B_IbLb0EEEEDaS17_S18_EUlS17_E_NS1_11comp_targetILNS1_3genE0ELNS1_11target_archE4294967295ELNS1_3gpuE0ELNS1_3repE0EEENS1_30default_config_static_selectorELNS0_4arch9wavefront6targetE0EEEvT1_.has_indirect_call, 0
	.section	.AMDGPU.csdata,"",@progbits
; Kernel info:
; codeLenInByte = 4
; TotalNumSgprs: 0
; NumVgprs: 0
; ScratchSize: 0
; MemoryBound: 0
; FloatMode: 240
; IeeeMode: 1
; LDSByteSize: 0 bytes/workgroup (compile time only)
; SGPRBlocks: 0
; VGPRBlocks: 0
; NumSGPRsForWavesPerEU: 1
; NumVGPRsForWavesPerEU: 1
; NamedBarCnt: 0
; Occupancy: 16
; WaveLimiterHint : 0
; COMPUTE_PGM_RSRC2:SCRATCH_EN: 0
; COMPUTE_PGM_RSRC2:USER_SGPR: 2
; COMPUTE_PGM_RSRC2:TRAP_HANDLER: 0
; COMPUTE_PGM_RSRC2:TGID_X_EN: 1
; COMPUTE_PGM_RSRC2:TGID_Y_EN: 0
; COMPUTE_PGM_RSRC2:TGID_Z_EN: 0
; COMPUTE_PGM_RSRC2:TIDIG_COMP_CNT: 0
	.section	.text._ZN7rocprim17ROCPRIM_400000_NS6detail17trampoline_kernelINS0_14default_configENS1_25partition_config_selectorILNS1_17partition_subalgoE8ElNS0_10empty_typeEbEEZZNS1_14partition_implILS5_8ELb0ES3_jPlPS6_PKS6_NS0_5tupleIJS9_S6_EEENSD_IJSA_SA_EEENS0_18inequality_wrapperIZN2at6native12_GLOBAL__N_124unique_dim_cuda_templateIaEESt5tupleIJNSH_6TensorESM_SM_EERKSM_lbbbEUlllE0_EEPmJS6_EEE10hipError_tPvRmT3_T4_T5_T6_T7_T9_mT8_P12ihipStream_tbDpT10_ENKUlT_T0_E_clISt17integral_constantIbLb1EES1B_IbLb0EEEEDaS17_S18_EUlS17_E_NS1_11comp_targetILNS1_3genE5ELNS1_11target_archE942ELNS1_3gpuE9ELNS1_3repE0EEENS1_30default_config_static_selectorELNS0_4arch9wavefront6targetE0EEEvT1_,"axG",@progbits,_ZN7rocprim17ROCPRIM_400000_NS6detail17trampoline_kernelINS0_14default_configENS1_25partition_config_selectorILNS1_17partition_subalgoE8ElNS0_10empty_typeEbEEZZNS1_14partition_implILS5_8ELb0ES3_jPlPS6_PKS6_NS0_5tupleIJS9_S6_EEENSD_IJSA_SA_EEENS0_18inequality_wrapperIZN2at6native12_GLOBAL__N_124unique_dim_cuda_templateIaEESt5tupleIJNSH_6TensorESM_SM_EERKSM_lbbbEUlllE0_EEPmJS6_EEE10hipError_tPvRmT3_T4_T5_T6_T7_T9_mT8_P12ihipStream_tbDpT10_ENKUlT_T0_E_clISt17integral_constantIbLb1EES1B_IbLb0EEEEDaS17_S18_EUlS17_E_NS1_11comp_targetILNS1_3genE5ELNS1_11target_archE942ELNS1_3gpuE9ELNS1_3repE0EEENS1_30default_config_static_selectorELNS0_4arch9wavefront6targetE0EEEvT1_,comdat
	.globl	_ZN7rocprim17ROCPRIM_400000_NS6detail17trampoline_kernelINS0_14default_configENS1_25partition_config_selectorILNS1_17partition_subalgoE8ElNS0_10empty_typeEbEEZZNS1_14partition_implILS5_8ELb0ES3_jPlPS6_PKS6_NS0_5tupleIJS9_S6_EEENSD_IJSA_SA_EEENS0_18inequality_wrapperIZN2at6native12_GLOBAL__N_124unique_dim_cuda_templateIaEESt5tupleIJNSH_6TensorESM_SM_EERKSM_lbbbEUlllE0_EEPmJS6_EEE10hipError_tPvRmT3_T4_T5_T6_T7_T9_mT8_P12ihipStream_tbDpT10_ENKUlT_T0_E_clISt17integral_constantIbLb1EES1B_IbLb0EEEEDaS17_S18_EUlS17_E_NS1_11comp_targetILNS1_3genE5ELNS1_11target_archE942ELNS1_3gpuE9ELNS1_3repE0EEENS1_30default_config_static_selectorELNS0_4arch9wavefront6targetE0EEEvT1_ ; -- Begin function _ZN7rocprim17ROCPRIM_400000_NS6detail17trampoline_kernelINS0_14default_configENS1_25partition_config_selectorILNS1_17partition_subalgoE8ElNS0_10empty_typeEbEEZZNS1_14partition_implILS5_8ELb0ES3_jPlPS6_PKS6_NS0_5tupleIJS9_S6_EEENSD_IJSA_SA_EEENS0_18inequality_wrapperIZN2at6native12_GLOBAL__N_124unique_dim_cuda_templateIaEESt5tupleIJNSH_6TensorESM_SM_EERKSM_lbbbEUlllE0_EEPmJS6_EEE10hipError_tPvRmT3_T4_T5_T6_T7_T9_mT8_P12ihipStream_tbDpT10_ENKUlT_T0_E_clISt17integral_constantIbLb1EES1B_IbLb0EEEEDaS17_S18_EUlS17_E_NS1_11comp_targetILNS1_3genE5ELNS1_11target_archE942ELNS1_3gpuE9ELNS1_3repE0EEENS1_30default_config_static_selectorELNS0_4arch9wavefront6targetE0EEEvT1_
	.p2align	8
	.type	_ZN7rocprim17ROCPRIM_400000_NS6detail17trampoline_kernelINS0_14default_configENS1_25partition_config_selectorILNS1_17partition_subalgoE8ElNS0_10empty_typeEbEEZZNS1_14partition_implILS5_8ELb0ES3_jPlPS6_PKS6_NS0_5tupleIJS9_S6_EEENSD_IJSA_SA_EEENS0_18inequality_wrapperIZN2at6native12_GLOBAL__N_124unique_dim_cuda_templateIaEESt5tupleIJNSH_6TensorESM_SM_EERKSM_lbbbEUlllE0_EEPmJS6_EEE10hipError_tPvRmT3_T4_T5_T6_T7_T9_mT8_P12ihipStream_tbDpT10_ENKUlT_T0_E_clISt17integral_constantIbLb1EES1B_IbLb0EEEEDaS17_S18_EUlS17_E_NS1_11comp_targetILNS1_3genE5ELNS1_11target_archE942ELNS1_3gpuE9ELNS1_3repE0EEENS1_30default_config_static_selectorELNS0_4arch9wavefront6targetE0EEEvT1_,@function
_ZN7rocprim17ROCPRIM_400000_NS6detail17trampoline_kernelINS0_14default_configENS1_25partition_config_selectorILNS1_17partition_subalgoE8ElNS0_10empty_typeEbEEZZNS1_14partition_implILS5_8ELb0ES3_jPlPS6_PKS6_NS0_5tupleIJS9_S6_EEENSD_IJSA_SA_EEENS0_18inequality_wrapperIZN2at6native12_GLOBAL__N_124unique_dim_cuda_templateIaEESt5tupleIJNSH_6TensorESM_SM_EERKSM_lbbbEUlllE0_EEPmJS6_EEE10hipError_tPvRmT3_T4_T5_T6_T7_T9_mT8_P12ihipStream_tbDpT10_ENKUlT_T0_E_clISt17integral_constantIbLb1EES1B_IbLb0EEEEDaS17_S18_EUlS17_E_NS1_11comp_targetILNS1_3genE5ELNS1_11target_archE942ELNS1_3gpuE9ELNS1_3repE0EEENS1_30default_config_static_selectorELNS0_4arch9wavefront6targetE0EEEvT1_: ; @_ZN7rocprim17ROCPRIM_400000_NS6detail17trampoline_kernelINS0_14default_configENS1_25partition_config_selectorILNS1_17partition_subalgoE8ElNS0_10empty_typeEbEEZZNS1_14partition_implILS5_8ELb0ES3_jPlPS6_PKS6_NS0_5tupleIJS9_S6_EEENSD_IJSA_SA_EEENS0_18inequality_wrapperIZN2at6native12_GLOBAL__N_124unique_dim_cuda_templateIaEESt5tupleIJNSH_6TensorESM_SM_EERKSM_lbbbEUlllE0_EEPmJS6_EEE10hipError_tPvRmT3_T4_T5_T6_T7_T9_mT8_P12ihipStream_tbDpT10_ENKUlT_T0_E_clISt17integral_constantIbLb1EES1B_IbLb0EEEEDaS17_S18_EUlS17_E_NS1_11comp_targetILNS1_3genE5ELNS1_11target_archE942ELNS1_3gpuE9ELNS1_3repE0EEENS1_30default_config_static_selectorELNS0_4arch9wavefront6targetE0EEEvT1_
; %bb.0:
	.section	.rodata,"a",@progbits
	.p2align	6, 0x0
	.amdhsa_kernel _ZN7rocprim17ROCPRIM_400000_NS6detail17trampoline_kernelINS0_14default_configENS1_25partition_config_selectorILNS1_17partition_subalgoE8ElNS0_10empty_typeEbEEZZNS1_14partition_implILS5_8ELb0ES3_jPlPS6_PKS6_NS0_5tupleIJS9_S6_EEENSD_IJSA_SA_EEENS0_18inequality_wrapperIZN2at6native12_GLOBAL__N_124unique_dim_cuda_templateIaEESt5tupleIJNSH_6TensorESM_SM_EERKSM_lbbbEUlllE0_EEPmJS6_EEE10hipError_tPvRmT3_T4_T5_T6_T7_T9_mT8_P12ihipStream_tbDpT10_ENKUlT_T0_E_clISt17integral_constantIbLb1EES1B_IbLb0EEEEDaS17_S18_EUlS17_E_NS1_11comp_targetILNS1_3genE5ELNS1_11target_archE942ELNS1_3gpuE9ELNS1_3repE0EEENS1_30default_config_static_selectorELNS0_4arch9wavefront6targetE0EEEvT1_
		.amdhsa_group_segment_fixed_size 0
		.amdhsa_private_segment_fixed_size 0
		.amdhsa_kernarg_size 120
		.amdhsa_user_sgpr_count 2
		.amdhsa_user_sgpr_dispatch_ptr 0
		.amdhsa_user_sgpr_queue_ptr 0
		.amdhsa_user_sgpr_kernarg_segment_ptr 1
		.amdhsa_user_sgpr_dispatch_id 0
		.amdhsa_user_sgpr_kernarg_preload_length 0
		.amdhsa_user_sgpr_kernarg_preload_offset 0
		.amdhsa_user_sgpr_private_segment_size 0
		.amdhsa_wavefront_size32 1
		.amdhsa_uses_dynamic_stack 0
		.amdhsa_enable_private_segment 0
		.amdhsa_system_sgpr_workgroup_id_x 1
		.amdhsa_system_sgpr_workgroup_id_y 0
		.amdhsa_system_sgpr_workgroup_id_z 0
		.amdhsa_system_sgpr_workgroup_info 0
		.amdhsa_system_vgpr_workitem_id 0
		.amdhsa_next_free_vgpr 1
		.amdhsa_next_free_sgpr 1
		.amdhsa_named_barrier_count 0
		.amdhsa_reserve_vcc 0
		.amdhsa_float_round_mode_32 0
		.amdhsa_float_round_mode_16_64 0
		.amdhsa_float_denorm_mode_32 3
		.amdhsa_float_denorm_mode_16_64 3
		.amdhsa_fp16_overflow 0
		.amdhsa_memory_ordered 1
		.amdhsa_forward_progress 1
		.amdhsa_inst_pref_size 0
		.amdhsa_round_robin_scheduling 0
		.amdhsa_exception_fp_ieee_invalid_op 0
		.amdhsa_exception_fp_denorm_src 0
		.amdhsa_exception_fp_ieee_div_zero 0
		.amdhsa_exception_fp_ieee_overflow 0
		.amdhsa_exception_fp_ieee_underflow 0
		.amdhsa_exception_fp_ieee_inexact 0
		.amdhsa_exception_int_div_zero 0
	.end_amdhsa_kernel
	.section	.text._ZN7rocprim17ROCPRIM_400000_NS6detail17trampoline_kernelINS0_14default_configENS1_25partition_config_selectorILNS1_17partition_subalgoE8ElNS0_10empty_typeEbEEZZNS1_14partition_implILS5_8ELb0ES3_jPlPS6_PKS6_NS0_5tupleIJS9_S6_EEENSD_IJSA_SA_EEENS0_18inequality_wrapperIZN2at6native12_GLOBAL__N_124unique_dim_cuda_templateIaEESt5tupleIJNSH_6TensorESM_SM_EERKSM_lbbbEUlllE0_EEPmJS6_EEE10hipError_tPvRmT3_T4_T5_T6_T7_T9_mT8_P12ihipStream_tbDpT10_ENKUlT_T0_E_clISt17integral_constantIbLb1EES1B_IbLb0EEEEDaS17_S18_EUlS17_E_NS1_11comp_targetILNS1_3genE5ELNS1_11target_archE942ELNS1_3gpuE9ELNS1_3repE0EEENS1_30default_config_static_selectorELNS0_4arch9wavefront6targetE0EEEvT1_,"axG",@progbits,_ZN7rocprim17ROCPRIM_400000_NS6detail17trampoline_kernelINS0_14default_configENS1_25partition_config_selectorILNS1_17partition_subalgoE8ElNS0_10empty_typeEbEEZZNS1_14partition_implILS5_8ELb0ES3_jPlPS6_PKS6_NS0_5tupleIJS9_S6_EEENSD_IJSA_SA_EEENS0_18inequality_wrapperIZN2at6native12_GLOBAL__N_124unique_dim_cuda_templateIaEESt5tupleIJNSH_6TensorESM_SM_EERKSM_lbbbEUlllE0_EEPmJS6_EEE10hipError_tPvRmT3_T4_T5_T6_T7_T9_mT8_P12ihipStream_tbDpT10_ENKUlT_T0_E_clISt17integral_constantIbLb1EES1B_IbLb0EEEEDaS17_S18_EUlS17_E_NS1_11comp_targetILNS1_3genE5ELNS1_11target_archE942ELNS1_3gpuE9ELNS1_3repE0EEENS1_30default_config_static_selectorELNS0_4arch9wavefront6targetE0EEEvT1_,comdat
.Lfunc_end336:
	.size	_ZN7rocprim17ROCPRIM_400000_NS6detail17trampoline_kernelINS0_14default_configENS1_25partition_config_selectorILNS1_17partition_subalgoE8ElNS0_10empty_typeEbEEZZNS1_14partition_implILS5_8ELb0ES3_jPlPS6_PKS6_NS0_5tupleIJS9_S6_EEENSD_IJSA_SA_EEENS0_18inequality_wrapperIZN2at6native12_GLOBAL__N_124unique_dim_cuda_templateIaEESt5tupleIJNSH_6TensorESM_SM_EERKSM_lbbbEUlllE0_EEPmJS6_EEE10hipError_tPvRmT3_T4_T5_T6_T7_T9_mT8_P12ihipStream_tbDpT10_ENKUlT_T0_E_clISt17integral_constantIbLb1EES1B_IbLb0EEEEDaS17_S18_EUlS17_E_NS1_11comp_targetILNS1_3genE5ELNS1_11target_archE942ELNS1_3gpuE9ELNS1_3repE0EEENS1_30default_config_static_selectorELNS0_4arch9wavefront6targetE0EEEvT1_, .Lfunc_end336-_ZN7rocprim17ROCPRIM_400000_NS6detail17trampoline_kernelINS0_14default_configENS1_25partition_config_selectorILNS1_17partition_subalgoE8ElNS0_10empty_typeEbEEZZNS1_14partition_implILS5_8ELb0ES3_jPlPS6_PKS6_NS0_5tupleIJS9_S6_EEENSD_IJSA_SA_EEENS0_18inequality_wrapperIZN2at6native12_GLOBAL__N_124unique_dim_cuda_templateIaEESt5tupleIJNSH_6TensorESM_SM_EERKSM_lbbbEUlllE0_EEPmJS6_EEE10hipError_tPvRmT3_T4_T5_T6_T7_T9_mT8_P12ihipStream_tbDpT10_ENKUlT_T0_E_clISt17integral_constantIbLb1EES1B_IbLb0EEEEDaS17_S18_EUlS17_E_NS1_11comp_targetILNS1_3genE5ELNS1_11target_archE942ELNS1_3gpuE9ELNS1_3repE0EEENS1_30default_config_static_selectorELNS0_4arch9wavefront6targetE0EEEvT1_
                                        ; -- End function
	.set _ZN7rocprim17ROCPRIM_400000_NS6detail17trampoline_kernelINS0_14default_configENS1_25partition_config_selectorILNS1_17partition_subalgoE8ElNS0_10empty_typeEbEEZZNS1_14partition_implILS5_8ELb0ES3_jPlPS6_PKS6_NS0_5tupleIJS9_S6_EEENSD_IJSA_SA_EEENS0_18inequality_wrapperIZN2at6native12_GLOBAL__N_124unique_dim_cuda_templateIaEESt5tupleIJNSH_6TensorESM_SM_EERKSM_lbbbEUlllE0_EEPmJS6_EEE10hipError_tPvRmT3_T4_T5_T6_T7_T9_mT8_P12ihipStream_tbDpT10_ENKUlT_T0_E_clISt17integral_constantIbLb1EES1B_IbLb0EEEEDaS17_S18_EUlS17_E_NS1_11comp_targetILNS1_3genE5ELNS1_11target_archE942ELNS1_3gpuE9ELNS1_3repE0EEENS1_30default_config_static_selectorELNS0_4arch9wavefront6targetE0EEEvT1_.num_vgpr, 0
	.set _ZN7rocprim17ROCPRIM_400000_NS6detail17trampoline_kernelINS0_14default_configENS1_25partition_config_selectorILNS1_17partition_subalgoE8ElNS0_10empty_typeEbEEZZNS1_14partition_implILS5_8ELb0ES3_jPlPS6_PKS6_NS0_5tupleIJS9_S6_EEENSD_IJSA_SA_EEENS0_18inequality_wrapperIZN2at6native12_GLOBAL__N_124unique_dim_cuda_templateIaEESt5tupleIJNSH_6TensorESM_SM_EERKSM_lbbbEUlllE0_EEPmJS6_EEE10hipError_tPvRmT3_T4_T5_T6_T7_T9_mT8_P12ihipStream_tbDpT10_ENKUlT_T0_E_clISt17integral_constantIbLb1EES1B_IbLb0EEEEDaS17_S18_EUlS17_E_NS1_11comp_targetILNS1_3genE5ELNS1_11target_archE942ELNS1_3gpuE9ELNS1_3repE0EEENS1_30default_config_static_selectorELNS0_4arch9wavefront6targetE0EEEvT1_.num_agpr, 0
	.set _ZN7rocprim17ROCPRIM_400000_NS6detail17trampoline_kernelINS0_14default_configENS1_25partition_config_selectorILNS1_17partition_subalgoE8ElNS0_10empty_typeEbEEZZNS1_14partition_implILS5_8ELb0ES3_jPlPS6_PKS6_NS0_5tupleIJS9_S6_EEENSD_IJSA_SA_EEENS0_18inequality_wrapperIZN2at6native12_GLOBAL__N_124unique_dim_cuda_templateIaEESt5tupleIJNSH_6TensorESM_SM_EERKSM_lbbbEUlllE0_EEPmJS6_EEE10hipError_tPvRmT3_T4_T5_T6_T7_T9_mT8_P12ihipStream_tbDpT10_ENKUlT_T0_E_clISt17integral_constantIbLb1EES1B_IbLb0EEEEDaS17_S18_EUlS17_E_NS1_11comp_targetILNS1_3genE5ELNS1_11target_archE942ELNS1_3gpuE9ELNS1_3repE0EEENS1_30default_config_static_selectorELNS0_4arch9wavefront6targetE0EEEvT1_.numbered_sgpr, 0
	.set _ZN7rocprim17ROCPRIM_400000_NS6detail17trampoline_kernelINS0_14default_configENS1_25partition_config_selectorILNS1_17partition_subalgoE8ElNS0_10empty_typeEbEEZZNS1_14partition_implILS5_8ELb0ES3_jPlPS6_PKS6_NS0_5tupleIJS9_S6_EEENSD_IJSA_SA_EEENS0_18inequality_wrapperIZN2at6native12_GLOBAL__N_124unique_dim_cuda_templateIaEESt5tupleIJNSH_6TensorESM_SM_EERKSM_lbbbEUlllE0_EEPmJS6_EEE10hipError_tPvRmT3_T4_T5_T6_T7_T9_mT8_P12ihipStream_tbDpT10_ENKUlT_T0_E_clISt17integral_constantIbLb1EES1B_IbLb0EEEEDaS17_S18_EUlS17_E_NS1_11comp_targetILNS1_3genE5ELNS1_11target_archE942ELNS1_3gpuE9ELNS1_3repE0EEENS1_30default_config_static_selectorELNS0_4arch9wavefront6targetE0EEEvT1_.num_named_barrier, 0
	.set _ZN7rocprim17ROCPRIM_400000_NS6detail17trampoline_kernelINS0_14default_configENS1_25partition_config_selectorILNS1_17partition_subalgoE8ElNS0_10empty_typeEbEEZZNS1_14partition_implILS5_8ELb0ES3_jPlPS6_PKS6_NS0_5tupleIJS9_S6_EEENSD_IJSA_SA_EEENS0_18inequality_wrapperIZN2at6native12_GLOBAL__N_124unique_dim_cuda_templateIaEESt5tupleIJNSH_6TensorESM_SM_EERKSM_lbbbEUlllE0_EEPmJS6_EEE10hipError_tPvRmT3_T4_T5_T6_T7_T9_mT8_P12ihipStream_tbDpT10_ENKUlT_T0_E_clISt17integral_constantIbLb1EES1B_IbLb0EEEEDaS17_S18_EUlS17_E_NS1_11comp_targetILNS1_3genE5ELNS1_11target_archE942ELNS1_3gpuE9ELNS1_3repE0EEENS1_30default_config_static_selectorELNS0_4arch9wavefront6targetE0EEEvT1_.private_seg_size, 0
	.set _ZN7rocprim17ROCPRIM_400000_NS6detail17trampoline_kernelINS0_14default_configENS1_25partition_config_selectorILNS1_17partition_subalgoE8ElNS0_10empty_typeEbEEZZNS1_14partition_implILS5_8ELb0ES3_jPlPS6_PKS6_NS0_5tupleIJS9_S6_EEENSD_IJSA_SA_EEENS0_18inequality_wrapperIZN2at6native12_GLOBAL__N_124unique_dim_cuda_templateIaEESt5tupleIJNSH_6TensorESM_SM_EERKSM_lbbbEUlllE0_EEPmJS6_EEE10hipError_tPvRmT3_T4_T5_T6_T7_T9_mT8_P12ihipStream_tbDpT10_ENKUlT_T0_E_clISt17integral_constantIbLb1EES1B_IbLb0EEEEDaS17_S18_EUlS17_E_NS1_11comp_targetILNS1_3genE5ELNS1_11target_archE942ELNS1_3gpuE9ELNS1_3repE0EEENS1_30default_config_static_selectorELNS0_4arch9wavefront6targetE0EEEvT1_.uses_vcc, 0
	.set _ZN7rocprim17ROCPRIM_400000_NS6detail17trampoline_kernelINS0_14default_configENS1_25partition_config_selectorILNS1_17partition_subalgoE8ElNS0_10empty_typeEbEEZZNS1_14partition_implILS5_8ELb0ES3_jPlPS6_PKS6_NS0_5tupleIJS9_S6_EEENSD_IJSA_SA_EEENS0_18inequality_wrapperIZN2at6native12_GLOBAL__N_124unique_dim_cuda_templateIaEESt5tupleIJNSH_6TensorESM_SM_EERKSM_lbbbEUlllE0_EEPmJS6_EEE10hipError_tPvRmT3_T4_T5_T6_T7_T9_mT8_P12ihipStream_tbDpT10_ENKUlT_T0_E_clISt17integral_constantIbLb1EES1B_IbLb0EEEEDaS17_S18_EUlS17_E_NS1_11comp_targetILNS1_3genE5ELNS1_11target_archE942ELNS1_3gpuE9ELNS1_3repE0EEENS1_30default_config_static_selectorELNS0_4arch9wavefront6targetE0EEEvT1_.uses_flat_scratch, 0
	.set _ZN7rocprim17ROCPRIM_400000_NS6detail17trampoline_kernelINS0_14default_configENS1_25partition_config_selectorILNS1_17partition_subalgoE8ElNS0_10empty_typeEbEEZZNS1_14partition_implILS5_8ELb0ES3_jPlPS6_PKS6_NS0_5tupleIJS9_S6_EEENSD_IJSA_SA_EEENS0_18inequality_wrapperIZN2at6native12_GLOBAL__N_124unique_dim_cuda_templateIaEESt5tupleIJNSH_6TensorESM_SM_EERKSM_lbbbEUlllE0_EEPmJS6_EEE10hipError_tPvRmT3_T4_T5_T6_T7_T9_mT8_P12ihipStream_tbDpT10_ENKUlT_T0_E_clISt17integral_constantIbLb1EES1B_IbLb0EEEEDaS17_S18_EUlS17_E_NS1_11comp_targetILNS1_3genE5ELNS1_11target_archE942ELNS1_3gpuE9ELNS1_3repE0EEENS1_30default_config_static_selectorELNS0_4arch9wavefront6targetE0EEEvT1_.has_dyn_sized_stack, 0
	.set _ZN7rocprim17ROCPRIM_400000_NS6detail17trampoline_kernelINS0_14default_configENS1_25partition_config_selectorILNS1_17partition_subalgoE8ElNS0_10empty_typeEbEEZZNS1_14partition_implILS5_8ELb0ES3_jPlPS6_PKS6_NS0_5tupleIJS9_S6_EEENSD_IJSA_SA_EEENS0_18inequality_wrapperIZN2at6native12_GLOBAL__N_124unique_dim_cuda_templateIaEESt5tupleIJNSH_6TensorESM_SM_EERKSM_lbbbEUlllE0_EEPmJS6_EEE10hipError_tPvRmT3_T4_T5_T6_T7_T9_mT8_P12ihipStream_tbDpT10_ENKUlT_T0_E_clISt17integral_constantIbLb1EES1B_IbLb0EEEEDaS17_S18_EUlS17_E_NS1_11comp_targetILNS1_3genE5ELNS1_11target_archE942ELNS1_3gpuE9ELNS1_3repE0EEENS1_30default_config_static_selectorELNS0_4arch9wavefront6targetE0EEEvT1_.has_recursion, 0
	.set _ZN7rocprim17ROCPRIM_400000_NS6detail17trampoline_kernelINS0_14default_configENS1_25partition_config_selectorILNS1_17partition_subalgoE8ElNS0_10empty_typeEbEEZZNS1_14partition_implILS5_8ELb0ES3_jPlPS6_PKS6_NS0_5tupleIJS9_S6_EEENSD_IJSA_SA_EEENS0_18inequality_wrapperIZN2at6native12_GLOBAL__N_124unique_dim_cuda_templateIaEESt5tupleIJNSH_6TensorESM_SM_EERKSM_lbbbEUlllE0_EEPmJS6_EEE10hipError_tPvRmT3_T4_T5_T6_T7_T9_mT8_P12ihipStream_tbDpT10_ENKUlT_T0_E_clISt17integral_constantIbLb1EES1B_IbLb0EEEEDaS17_S18_EUlS17_E_NS1_11comp_targetILNS1_3genE5ELNS1_11target_archE942ELNS1_3gpuE9ELNS1_3repE0EEENS1_30default_config_static_selectorELNS0_4arch9wavefront6targetE0EEEvT1_.has_indirect_call, 0
	.section	.AMDGPU.csdata,"",@progbits
; Kernel info:
; codeLenInByte = 0
; TotalNumSgprs: 0
; NumVgprs: 0
; ScratchSize: 0
; MemoryBound: 0
; FloatMode: 240
; IeeeMode: 1
; LDSByteSize: 0 bytes/workgroup (compile time only)
; SGPRBlocks: 0
; VGPRBlocks: 0
; NumSGPRsForWavesPerEU: 1
; NumVGPRsForWavesPerEU: 1
; NamedBarCnt: 0
; Occupancy: 16
; WaveLimiterHint : 0
; COMPUTE_PGM_RSRC2:SCRATCH_EN: 0
; COMPUTE_PGM_RSRC2:USER_SGPR: 2
; COMPUTE_PGM_RSRC2:TRAP_HANDLER: 0
; COMPUTE_PGM_RSRC2:TGID_X_EN: 1
; COMPUTE_PGM_RSRC2:TGID_Y_EN: 0
; COMPUTE_PGM_RSRC2:TGID_Z_EN: 0
; COMPUTE_PGM_RSRC2:TIDIG_COMP_CNT: 0
	.section	.text._ZN7rocprim17ROCPRIM_400000_NS6detail17trampoline_kernelINS0_14default_configENS1_25partition_config_selectorILNS1_17partition_subalgoE8ElNS0_10empty_typeEbEEZZNS1_14partition_implILS5_8ELb0ES3_jPlPS6_PKS6_NS0_5tupleIJS9_S6_EEENSD_IJSA_SA_EEENS0_18inequality_wrapperIZN2at6native12_GLOBAL__N_124unique_dim_cuda_templateIaEESt5tupleIJNSH_6TensorESM_SM_EERKSM_lbbbEUlllE0_EEPmJS6_EEE10hipError_tPvRmT3_T4_T5_T6_T7_T9_mT8_P12ihipStream_tbDpT10_ENKUlT_T0_E_clISt17integral_constantIbLb1EES1B_IbLb0EEEEDaS17_S18_EUlS17_E_NS1_11comp_targetILNS1_3genE4ELNS1_11target_archE910ELNS1_3gpuE8ELNS1_3repE0EEENS1_30default_config_static_selectorELNS0_4arch9wavefront6targetE0EEEvT1_,"axG",@progbits,_ZN7rocprim17ROCPRIM_400000_NS6detail17trampoline_kernelINS0_14default_configENS1_25partition_config_selectorILNS1_17partition_subalgoE8ElNS0_10empty_typeEbEEZZNS1_14partition_implILS5_8ELb0ES3_jPlPS6_PKS6_NS0_5tupleIJS9_S6_EEENSD_IJSA_SA_EEENS0_18inequality_wrapperIZN2at6native12_GLOBAL__N_124unique_dim_cuda_templateIaEESt5tupleIJNSH_6TensorESM_SM_EERKSM_lbbbEUlllE0_EEPmJS6_EEE10hipError_tPvRmT3_T4_T5_T6_T7_T9_mT8_P12ihipStream_tbDpT10_ENKUlT_T0_E_clISt17integral_constantIbLb1EES1B_IbLb0EEEEDaS17_S18_EUlS17_E_NS1_11comp_targetILNS1_3genE4ELNS1_11target_archE910ELNS1_3gpuE8ELNS1_3repE0EEENS1_30default_config_static_selectorELNS0_4arch9wavefront6targetE0EEEvT1_,comdat
	.globl	_ZN7rocprim17ROCPRIM_400000_NS6detail17trampoline_kernelINS0_14default_configENS1_25partition_config_selectorILNS1_17partition_subalgoE8ElNS0_10empty_typeEbEEZZNS1_14partition_implILS5_8ELb0ES3_jPlPS6_PKS6_NS0_5tupleIJS9_S6_EEENSD_IJSA_SA_EEENS0_18inequality_wrapperIZN2at6native12_GLOBAL__N_124unique_dim_cuda_templateIaEESt5tupleIJNSH_6TensorESM_SM_EERKSM_lbbbEUlllE0_EEPmJS6_EEE10hipError_tPvRmT3_T4_T5_T6_T7_T9_mT8_P12ihipStream_tbDpT10_ENKUlT_T0_E_clISt17integral_constantIbLb1EES1B_IbLb0EEEEDaS17_S18_EUlS17_E_NS1_11comp_targetILNS1_3genE4ELNS1_11target_archE910ELNS1_3gpuE8ELNS1_3repE0EEENS1_30default_config_static_selectorELNS0_4arch9wavefront6targetE0EEEvT1_ ; -- Begin function _ZN7rocprim17ROCPRIM_400000_NS6detail17trampoline_kernelINS0_14default_configENS1_25partition_config_selectorILNS1_17partition_subalgoE8ElNS0_10empty_typeEbEEZZNS1_14partition_implILS5_8ELb0ES3_jPlPS6_PKS6_NS0_5tupleIJS9_S6_EEENSD_IJSA_SA_EEENS0_18inequality_wrapperIZN2at6native12_GLOBAL__N_124unique_dim_cuda_templateIaEESt5tupleIJNSH_6TensorESM_SM_EERKSM_lbbbEUlllE0_EEPmJS6_EEE10hipError_tPvRmT3_T4_T5_T6_T7_T9_mT8_P12ihipStream_tbDpT10_ENKUlT_T0_E_clISt17integral_constantIbLb1EES1B_IbLb0EEEEDaS17_S18_EUlS17_E_NS1_11comp_targetILNS1_3genE4ELNS1_11target_archE910ELNS1_3gpuE8ELNS1_3repE0EEENS1_30default_config_static_selectorELNS0_4arch9wavefront6targetE0EEEvT1_
	.p2align	8
	.type	_ZN7rocprim17ROCPRIM_400000_NS6detail17trampoline_kernelINS0_14default_configENS1_25partition_config_selectorILNS1_17partition_subalgoE8ElNS0_10empty_typeEbEEZZNS1_14partition_implILS5_8ELb0ES3_jPlPS6_PKS6_NS0_5tupleIJS9_S6_EEENSD_IJSA_SA_EEENS0_18inequality_wrapperIZN2at6native12_GLOBAL__N_124unique_dim_cuda_templateIaEESt5tupleIJNSH_6TensorESM_SM_EERKSM_lbbbEUlllE0_EEPmJS6_EEE10hipError_tPvRmT3_T4_T5_T6_T7_T9_mT8_P12ihipStream_tbDpT10_ENKUlT_T0_E_clISt17integral_constantIbLb1EES1B_IbLb0EEEEDaS17_S18_EUlS17_E_NS1_11comp_targetILNS1_3genE4ELNS1_11target_archE910ELNS1_3gpuE8ELNS1_3repE0EEENS1_30default_config_static_selectorELNS0_4arch9wavefront6targetE0EEEvT1_,@function
_ZN7rocprim17ROCPRIM_400000_NS6detail17trampoline_kernelINS0_14default_configENS1_25partition_config_selectorILNS1_17partition_subalgoE8ElNS0_10empty_typeEbEEZZNS1_14partition_implILS5_8ELb0ES3_jPlPS6_PKS6_NS0_5tupleIJS9_S6_EEENSD_IJSA_SA_EEENS0_18inequality_wrapperIZN2at6native12_GLOBAL__N_124unique_dim_cuda_templateIaEESt5tupleIJNSH_6TensorESM_SM_EERKSM_lbbbEUlllE0_EEPmJS6_EEE10hipError_tPvRmT3_T4_T5_T6_T7_T9_mT8_P12ihipStream_tbDpT10_ENKUlT_T0_E_clISt17integral_constantIbLb1EES1B_IbLb0EEEEDaS17_S18_EUlS17_E_NS1_11comp_targetILNS1_3genE4ELNS1_11target_archE910ELNS1_3gpuE8ELNS1_3repE0EEENS1_30default_config_static_selectorELNS0_4arch9wavefront6targetE0EEEvT1_: ; @_ZN7rocprim17ROCPRIM_400000_NS6detail17trampoline_kernelINS0_14default_configENS1_25partition_config_selectorILNS1_17partition_subalgoE8ElNS0_10empty_typeEbEEZZNS1_14partition_implILS5_8ELb0ES3_jPlPS6_PKS6_NS0_5tupleIJS9_S6_EEENSD_IJSA_SA_EEENS0_18inequality_wrapperIZN2at6native12_GLOBAL__N_124unique_dim_cuda_templateIaEESt5tupleIJNSH_6TensorESM_SM_EERKSM_lbbbEUlllE0_EEPmJS6_EEE10hipError_tPvRmT3_T4_T5_T6_T7_T9_mT8_P12ihipStream_tbDpT10_ENKUlT_T0_E_clISt17integral_constantIbLb1EES1B_IbLb0EEEEDaS17_S18_EUlS17_E_NS1_11comp_targetILNS1_3genE4ELNS1_11target_archE910ELNS1_3gpuE8ELNS1_3repE0EEENS1_30default_config_static_selectorELNS0_4arch9wavefront6targetE0EEEvT1_
; %bb.0:
	.section	.rodata,"a",@progbits
	.p2align	6, 0x0
	.amdhsa_kernel _ZN7rocprim17ROCPRIM_400000_NS6detail17trampoline_kernelINS0_14default_configENS1_25partition_config_selectorILNS1_17partition_subalgoE8ElNS0_10empty_typeEbEEZZNS1_14partition_implILS5_8ELb0ES3_jPlPS6_PKS6_NS0_5tupleIJS9_S6_EEENSD_IJSA_SA_EEENS0_18inequality_wrapperIZN2at6native12_GLOBAL__N_124unique_dim_cuda_templateIaEESt5tupleIJNSH_6TensorESM_SM_EERKSM_lbbbEUlllE0_EEPmJS6_EEE10hipError_tPvRmT3_T4_T5_T6_T7_T9_mT8_P12ihipStream_tbDpT10_ENKUlT_T0_E_clISt17integral_constantIbLb1EES1B_IbLb0EEEEDaS17_S18_EUlS17_E_NS1_11comp_targetILNS1_3genE4ELNS1_11target_archE910ELNS1_3gpuE8ELNS1_3repE0EEENS1_30default_config_static_selectorELNS0_4arch9wavefront6targetE0EEEvT1_
		.amdhsa_group_segment_fixed_size 0
		.amdhsa_private_segment_fixed_size 0
		.amdhsa_kernarg_size 120
		.amdhsa_user_sgpr_count 2
		.amdhsa_user_sgpr_dispatch_ptr 0
		.amdhsa_user_sgpr_queue_ptr 0
		.amdhsa_user_sgpr_kernarg_segment_ptr 1
		.amdhsa_user_sgpr_dispatch_id 0
		.amdhsa_user_sgpr_kernarg_preload_length 0
		.amdhsa_user_sgpr_kernarg_preload_offset 0
		.amdhsa_user_sgpr_private_segment_size 0
		.amdhsa_wavefront_size32 1
		.amdhsa_uses_dynamic_stack 0
		.amdhsa_enable_private_segment 0
		.amdhsa_system_sgpr_workgroup_id_x 1
		.amdhsa_system_sgpr_workgroup_id_y 0
		.amdhsa_system_sgpr_workgroup_id_z 0
		.amdhsa_system_sgpr_workgroup_info 0
		.amdhsa_system_vgpr_workitem_id 0
		.amdhsa_next_free_vgpr 1
		.amdhsa_next_free_sgpr 1
		.amdhsa_named_barrier_count 0
		.amdhsa_reserve_vcc 0
		.amdhsa_float_round_mode_32 0
		.amdhsa_float_round_mode_16_64 0
		.amdhsa_float_denorm_mode_32 3
		.amdhsa_float_denorm_mode_16_64 3
		.amdhsa_fp16_overflow 0
		.amdhsa_memory_ordered 1
		.amdhsa_forward_progress 1
		.amdhsa_inst_pref_size 0
		.amdhsa_round_robin_scheduling 0
		.amdhsa_exception_fp_ieee_invalid_op 0
		.amdhsa_exception_fp_denorm_src 0
		.amdhsa_exception_fp_ieee_div_zero 0
		.amdhsa_exception_fp_ieee_overflow 0
		.amdhsa_exception_fp_ieee_underflow 0
		.amdhsa_exception_fp_ieee_inexact 0
		.amdhsa_exception_int_div_zero 0
	.end_amdhsa_kernel
	.section	.text._ZN7rocprim17ROCPRIM_400000_NS6detail17trampoline_kernelINS0_14default_configENS1_25partition_config_selectorILNS1_17partition_subalgoE8ElNS0_10empty_typeEbEEZZNS1_14partition_implILS5_8ELb0ES3_jPlPS6_PKS6_NS0_5tupleIJS9_S6_EEENSD_IJSA_SA_EEENS0_18inequality_wrapperIZN2at6native12_GLOBAL__N_124unique_dim_cuda_templateIaEESt5tupleIJNSH_6TensorESM_SM_EERKSM_lbbbEUlllE0_EEPmJS6_EEE10hipError_tPvRmT3_T4_T5_T6_T7_T9_mT8_P12ihipStream_tbDpT10_ENKUlT_T0_E_clISt17integral_constantIbLb1EES1B_IbLb0EEEEDaS17_S18_EUlS17_E_NS1_11comp_targetILNS1_3genE4ELNS1_11target_archE910ELNS1_3gpuE8ELNS1_3repE0EEENS1_30default_config_static_selectorELNS0_4arch9wavefront6targetE0EEEvT1_,"axG",@progbits,_ZN7rocprim17ROCPRIM_400000_NS6detail17trampoline_kernelINS0_14default_configENS1_25partition_config_selectorILNS1_17partition_subalgoE8ElNS0_10empty_typeEbEEZZNS1_14partition_implILS5_8ELb0ES3_jPlPS6_PKS6_NS0_5tupleIJS9_S6_EEENSD_IJSA_SA_EEENS0_18inequality_wrapperIZN2at6native12_GLOBAL__N_124unique_dim_cuda_templateIaEESt5tupleIJNSH_6TensorESM_SM_EERKSM_lbbbEUlllE0_EEPmJS6_EEE10hipError_tPvRmT3_T4_T5_T6_T7_T9_mT8_P12ihipStream_tbDpT10_ENKUlT_T0_E_clISt17integral_constantIbLb1EES1B_IbLb0EEEEDaS17_S18_EUlS17_E_NS1_11comp_targetILNS1_3genE4ELNS1_11target_archE910ELNS1_3gpuE8ELNS1_3repE0EEENS1_30default_config_static_selectorELNS0_4arch9wavefront6targetE0EEEvT1_,comdat
.Lfunc_end337:
	.size	_ZN7rocprim17ROCPRIM_400000_NS6detail17trampoline_kernelINS0_14default_configENS1_25partition_config_selectorILNS1_17partition_subalgoE8ElNS0_10empty_typeEbEEZZNS1_14partition_implILS5_8ELb0ES3_jPlPS6_PKS6_NS0_5tupleIJS9_S6_EEENSD_IJSA_SA_EEENS0_18inequality_wrapperIZN2at6native12_GLOBAL__N_124unique_dim_cuda_templateIaEESt5tupleIJNSH_6TensorESM_SM_EERKSM_lbbbEUlllE0_EEPmJS6_EEE10hipError_tPvRmT3_T4_T5_T6_T7_T9_mT8_P12ihipStream_tbDpT10_ENKUlT_T0_E_clISt17integral_constantIbLb1EES1B_IbLb0EEEEDaS17_S18_EUlS17_E_NS1_11comp_targetILNS1_3genE4ELNS1_11target_archE910ELNS1_3gpuE8ELNS1_3repE0EEENS1_30default_config_static_selectorELNS0_4arch9wavefront6targetE0EEEvT1_, .Lfunc_end337-_ZN7rocprim17ROCPRIM_400000_NS6detail17trampoline_kernelINS0_14default_configENS1_25partition_config_selectorILNS1_17partition_subalgoE8ElNS0_10empty_typeEbEEZZNS1_14partition_implILS5_8ELb0ES3_jPlPS6_PKS6_NS0_5tupleIJS9_S6_EEENSD_IJSA_SA_EEENS0_18inequality_wrapperIZN2at6native12_GLOBAL__N_124unique_dim_cuda_templateIaEESt5tupleIJNSH_6TensorESM_SM_EERKSM_lbbbEUlllE0_EEPmJS6_EEE10hipError_tPvRmT3_T4_T5_T6_T7_T9_mT8_P12ihipStream_tbDpT10_ENKUlT_T0_E_clISt17integral_constantIbLb1EES1B_IbLb0EEEEDaS17_S18_EUlS17_E_NS1_11comp_targetILNS1_3genE4ELNS1_11target_archE910ELNS1_3gpuE8ELNS1_3repE0EEENS1_30default_config_static_selectorELNS0_4arch9wavefront6targetE0EEEvT1_
                                        ; -- End function
	.set _ZN7rocprim17ROCPRIM_400000_NS6detail17trampoline_kernelINS0_14default_configENS1_25partition_config_selectorILNS1_17partition_subalgoE8ElNS0_10empty_typeEbEEZZNS1_14partition_implILS5_8ELb0ES3_jPlPS6_PKS6_NS0_5tupleIJS9_S6_EEENSD_IJSA_SA_EEENS0_18inequality_wrapperIZN2at6native12_GLOBAL__N_124unique_dim_cuda_templateIaEESt5tupleIJNSH_6TensorESM_SM_EERKSM_lbbbEUlllE0_EEPmJS6_EEE10hipError_tPvRmT3_T4_T5_T6_T7_T9_mT8_P12ihipStream_tbDpT10_ENKUlT_T0_E_clISt17integral_constantIbLb1EES1B_IbLb0EEEEDaS17_S18_EUlS17_E_NS1_11comp_targetILNS1_3genE4ELNS1_11target_archE910ELNS1_3gpuE8ELNS1_3repE0EEENS1_30default_config_static_selectorELNS0_4arch9wavefront6targetE0EEEvT1_.num_vgpr, 0
	.set _ZN7rocprim17ROCPRIM_400000_NS6detail17trampoline_kernelINS0_14default_configENS1_25partition_config_selectorILNS1_17partition_subalgoE8ElNS0_10empty_typeEbEEZZNS1_14partition_implILS5_8ELb0ES3_jPlPS6_PKS6_NS0_5tupleIJS9_S6_EEENSD_IJSA_SA_EEENS0_18inequality_wrapperIZN2at6native12_GLOBAL__N_124unique_dim_cuda_templateIaEESt5tupleIJNSH_6TensorESM_SM_EERKSM_lbbbEUlllE0_EEPmJS6_EEE10hipError_tPvRmT3_T4_T5_T6_T7_T9_mT8_P12ihipStream_tbDpT10_ENKUlT_T0_E_clISt17integral_constantIbLb1EES1B_IbLb0EEEEDaS17_S18_EUlS17_E_NS1_11comp_targetILNS1_3genE4ELNS1_11target_archE910ELNS1_3gpuE8ELNS1_3repE0EEENS1_30default_config_static_selectorELNS0_4arch9wavefront6targetE0EEEvT1_.num_agpr, 0
	.set _ZN7rocprim17ROCPRIM_400000_NS6detail17trampoline_kernelINS0_14default_configENS1_25partition_config_selectorILNS1_17partition_subalgoE8ElNS0_10empty_typeEbEEZZNS1_14partition_implILS5_8ELb0ES3_jPlPS6_PKS6_NS0_5tupleIJS9_S6_EEENSD_IJSA_SA_EEENS0_18inequality_wrapperIZN2at6native12_GLOBAL__N_124unique_dim_cuda_templateIaEESt5tupleIJNSH_6TensorESM_SM_EERKSM_lbbbEUlllE0_EEPmJS6_EEE10hipError_tPvRmT3_T4_T5_T6_T7_T9_mT8_P12ihipStream_tbDpT10_ENKUlT_T0_E_clISt17integral_constantIbLb1EES1B_IbLb0EEEEDaS17_S18_EUlS17_E_NS1_11comp_targetILNS1_3genE4ELNS1_11target_archE910ELNS1_3gpuE8ELNS1_3repE0EEENS1_30default_config_static_selectorELNS0_4arch9wavefront6targetE0EEEvT1_.numbered_sgpr, 0
	.set _ZN7rocprim17ROCPRIM_400000_NS6detail17trampoline_kernelINS0_14default_configENS1_25partition_config_selectorILNS1_17partition_subalgoE8ElNS0_10empty_typeEbEEZZNS1_14partition_implILS5_8ELb0ES3_jPlPS6_PKS6_NS0_5tupleIJS9_S6_EEENSD_IJSA_SA_EEENS0_18inequality_wrapperIZN2at6native12_GLOBAL__N_124unique_dim_cuda_templateIaEESt5tupleIJNSH_6TensorESM_SM_EERKSM_lbbbEUlllE0_EEPmJS6_EEE10hipError_tPvRmT3_T4_T5_T6_T7_T9_mT8_P12ihipStream_tbDpT10_ENKUlT_T0_E_clISt17integral_constantIbLb1EES1B_IbLb0EEEEDaS17_S18_EUlS17_E_NS1_11comp_targetILNS1_3genE4ELNS1_11target_archE910ELNS1_3gpuE8ELNS1_3repE0EEENS1_30default_config_static_selectorELNS0_4arch9wavefront6targetE0EEEvT1_.num_named_barrier, 0
	.set _ZN7rocprim17ROCPRIM_400000_NS6detail17trampoline_kernelINS0_14default_configENS1_25partition_config_selectorILNS1_17partition_subalgoE8ElNS0_10empty_typeEbEEZZNS1_14partition_implILS5_8ELb0ES3_jPlPS6_PKS6_NS0_5tupleIJS9_S6_EEENSD_IJSA_SA_EEENS0_18inequality_wrapperIZN2at6native12_GLOBAL__N_124unique_dim_cuda_templateIaEESt5tupleIJNSH_6TensorESM_SM_EERKSM_lbbbEUlllE0_EEPmJS6_EEE10hipError_tPvRmT3_T4_T5_T6_T7_T9_mT8_P12ihipStream_tbDpT10_ENKUlT_T0_E_clISt17integral_constantIbLb1EES1B_IbLb0EEEEDaS17_S18_EUlS17_E_NS1_11comp_targetILNS1_3genE4ELNS1_11target_archE910ELNS1_3gpuE8ELNS1_3repE0EEENS1_30default_config_static_selectorELNS0_4arch9wavefront6targetE0EEEvT1_.private_seg_size, 0
	.set _ZN7rocprim17ROCPRIM_400000_NS6detail17trampoline_kernelINS0_14default_configENS1_25partition_config_selectorILNS1_17partition_subalgoE8ElNS0_10empty_typeEbEEZZNS1_14partition_implILS5_8ELb0ES3_jPlPS6_PKS6_NS0_5tupleIJS9_S6_EEENSD_IJSA_SA_EEENS0_18inequality_wrapperIZN2at6native12_GLOBAL__N_124unique_dim_cuda_templateIaEESt5tupleIJNSH_6TensorESM_SM_EERKSM_lbbbEUlllE0_EEPmJS6_EEE10hipError_tPvRmT3_T4_T5_T6_T7_T9_mT8_P12ihipStream_tbDpT10_ENKUlT_T0_E_clISt17integral_constantIbLb1EES1B_IbLb0EEEEDaS17_S18_EUlS17_E_NS1_11comp_targetILNS1_3genE4ELNS1_11target_archE910ELNS1_3gpuE8ELNS1_3repE0EEENS1_30default_config_static_selectorELNS0_4arch9wavefront6targetE0EEEvT1_.uses_vcc, 0
	.set _ZN7rocprim17ROCPRIM_400000_NS6detail17trampoline_kernelINS0_14default_configENS1_25partition_config_selectorILNS1_17partition_subalgoE8ElNS0_10empty_typeEbEEZZNS1_14partition_implILS5_8ELb0ES3_jPlPS6_PKS6_NS0_5tupleIJS9_S6_EEENSD_IJSA_SA_EEENS0_18inequality_wrapperIZN2at6native12_GLOBAL__N_124unique_dim_cuda_templateIaEESt5tupleIJNSH_6TensorESM_SM_EERKSM_lbbbEUlllE0_EEPmJS6_EEE10hipError_tPvRmT3_T4_T5_T6_T7_T9_mT8_P12ihipStream_tbDpT10_ENKUlT_T0_E_clISt17integral_constantIbLb1EES1B_IbLb0EEEEDaS17_S18_EUlS17_E_NS1_11comp_targetILNS1_3genE4ELNS1_11target_archE910ELNS1_3gpuE8ELNS1_3repE0EEENS1_30default_config_static_selectorELNS0_4arch9wavefront6targetE0EEEvT1_.uses_flat_scratch, 0
	.set _ZN7rocprim17ROCPRIM_400000_NS6detail17trampoline_kernelINS0_14default_configENS1_25partition_config_selectorILNS1_17partition_subalgoE8ElNS0_10empty_typeEbEEZZNS1_14partition_implILS5_8ELb0ES3_jPlPS6_PKS6_NS0_5tupleIJS9_S6_EEENSD_IJSA_SA_EEENS0_18inequality_wrapperIZN2at6native12_GLOBAL__N_124unique_dim_cuda_templateIaEESt5tupleIJNSH_6TensorESM_SM_EERKSM_lbbbEUlllE0_EEPmJS6_EEE10hipError_tPvRmT3_T4_T5_T6_T7_T9_mT8_P12ihipStream_tbDpT10_ENKUlT_T0_E_clISt17integral_constantIbLb1EES1B_IbLb0EEEEDaS17_S18_EUlS17_E_NS1_11comp_targetILNS1_3genE4ELNS1_11target_archE910ELNS1_3gpuE8ELNS1_3repE0EEENS1_30default_config_static_selectorELNS0_4arch9wavefront6targetE0EEEvT1_.has_dyn_sized_stack, 0
	.set _ZN7rocprim17ROCPRIM_400000_NS6detail17trampoline_kernelINS0_14default_configENS1_25partition_config_selectorILNS1_17partition_subalgoE8ElNS0_10empty_typeEbEEZZNS1_14partition_implILS5_8ELb0ES3_jPlPS6_PKS6_NS0_5tupleIJS9_S6_EEENSD_IJSA_SA_EEENS0_18inequality_wrapperIZN2at6native12_GLOBAL__N_124unique_dim_cuda_templateIaEESt5tupleIJNSH_6TensorESM_SM_EERKSM_lbbbEUlllE0_EEPmJS6_EEE10hipError_tPvRmT3_T4_T5_T6_T7_T9_mT8_P12ihipStream_tbDpT10_ENKUlT_T0_E_clISt17integral_constantIbLb1EES1B_IbLb0EEEEDaS17_S18_EUlS17_E_NS1_11comp_targetILNS1_3genE4ELNS1_11target_archE910ELNS1_3gpuE8ELNS1_3repE0EEENS1_30default_config_static_selectorELNS0_4arch9wavefront6targetE0EEEvT1_.has_recursion, 0
	.set _ZN7rocprim17ROCPRIM_400000_NS6detail17trampoline_kernelINS0_14default_configENS1_25partition_config_selectorILNS1_17partition_subalgoE8ElNS0_10empty_typeEbEEZZNS1_14partition_implILS5_8ELb0ES3_jPlPS6_PKS6_NS0_5tupleIJS9_S6_EEENSD_IJSA_SA_EEENS0_18inequality_wrapperIZN2at6native12_GLOBAL__N_124unique_dim_cuda_templateIaEESt5tupleIJNSH_6TensorESM_SM_EERKSM_lbbbEUlllE0_EEPmJS6_EEE10hipError_tPvRmT3_T4_T5_T6_T7_T9_mT8_P12ihipStream_tbDpT10_ENKUlT_T0_E_clISt17integral_constantIbLb1EES1B_IbLb0EEEEDaS17_S18_EUlS17_E_NS1_11comp_targetILNS1_3genE4ELNS1_11target_archE910ELNS1_3gpuE8ELNS1_3repE0EEENS1_30default_config_static_selectorELNS0_4arch9wavefront6targetE0EEEvT1_.has_indirect_call, 0
	.section	.AMDGPU.csdata,"",@progbits
; Kernel info:
; codeLenInByte = 0
; TotalNumSgprs: 0
; NumVgprs: 0
; ScratchSize: 0
; MemoryBound: 0
; FloatMode: 240
; IeeeMode: 1
; LDSByteSize: 0 bytes/workgroup (compile time only)
; SGPRBlocks: 0
; VGPRBlocks: 0
; NumSGPRsForWavesPerEU: 1
; NumVGPRsForWavesPerEU: 1
; NamedBarCnt: 0
; Occupancy: 16
; WaveLimiterHint : 0
; COMPUTE_PGM_RSRC2:SCRATCH_EN: 0
; COMPUTE_PGM_RSRC2:USER_SGPR: 2
; COMPUTE_PGM_RSRC2:TRAP_HANDLER: 0
; COMPUTE_PGM_RSRC2:TGID_X_EN: 1
; COMPUTE_PGM_RSRC2:TGID_Y_EN: 0
; COMPUTE_PGM_RSRC2:TGID_Z_EN: 0
; COMPUTE_PGM_RSRC2:TIDIG_COMP_CNT: 0
	.section	.text._ZN7rocprim17ROCPRIM_400000_NS6detail17trampoline_kernelINS0_14default_configENS1_25partition_config_selectorILNS1_17partition_subalgoE8ElNS0_10empty_typeEbEEZZNS1_14partition_implILS5_8ELb0ES3_jPlPS6_PKS6_NS0_5tupleIJS9_S6_EEENSD_IJSA_SA_EEENS0_18inequality_wrapperIZN2at6native12_GLOBAL__N_124unique_dim_cuda_templateIaEESt5tupleIJNSH_6TensorESM_SM_EERKSM_lbbbEUlllE0_EEPmJS6_EEE10hipError_tPvRmT3_T4_T5_T6_T7_T9_mT8_P12ihipStream_tbDpT10_ENKUlT_T0_E_clISt17integral_constantIbLb1EES1B_IbLb0EEEEDaS17_S18_EUlS17_E_NS1_11comp_targetILNS1_3genE3ELNS1_11target_archE908ELNS1_3gpuE7ELNS1_3repE0EEENS1_30default_config_static_selectorELNS0_4arch9wavefront6targetE0EEEvT1_,"axG",@progbits,_ZN7rocprim17ROCPRIM_400000_NS6detail17trampoline_kernelINS0_14default_configENS1_25partition_config_selectorILNS1_17partition_subalgoE8ElNS0_10empty_typeEbEEZZNS1_14partition_implILS5_8ELb0ES3_jPlPS6_PKS6_NS0_5tupleIJS9_S6_EEENSD_IJSA_SA_EEENS0_18inequality_wrapperIZN2at6native12_GLOBAL__N_124unique_dim_cuda_templateIaEESt5tupleIJNSH_6TensorESM_SM_EERKSM_lbbbEUlllE0_EEPmJS6_EEE10hipError_tPvRmT3_T4_T5_T6_T7_T9_mT8_P12ihipStream_tbDpT10_ENKUlT_T0_E_clISt17integral_constantIbLb1EES1B_IbLb0EEEEDaS17_S18_EUlS17_E_NS1_11comp_targetILNS1_3genE3ELNS1_11target_archE908ELNS1_3gpuE7ELNS1_3repE0EEENS1_30default_config_static_selectorELNS0_4arch9wavefront6targetE0EEEvT1_,comdat
	.globl	_ZN7rocprim17ROCPRIM_400000_NS6detail17trampoline_kernelINS0_14default_configENS1_25partition_config_selectorILNS1_17partition_subalgoE8ElNS0_10empty_typeEbEEZZNS1_14partition_implILS5_8ELb0ES3_jPlPS6_PKS6_NS0_5tupleIJS9_S6_EEENSD_IJSA_SA_EEENS0_18inequality_wrapperIZN2at6native12_GLOBAL__N_124unique_dim_cuda_templateIaEESt5tupleIJNSH_6TensorESM_SM_EERKSM_lbbbEUlllE0_EEPmJS6_EEE10hipError_tPvRmT3_T4_T5_T6_T7_T9_mT8_P12ihipStream_tbDpT10_ENKUlT_T0_E_clISt17integral_constantIbLb1EES1B_IbLb0EEEEDaS17_S18_EUlS17_E_NS1_11comp_targetILNS1_3genE3ELNS1_11target_archE908ELNS1_3gpuE7ELNS1_3repE0EEENS1_30default_config_static_selectorELNS0_4arch9wavefront6targetE0EEEvT1_ ; -- Begin function _ZN7rocprim17ROCPRIM_400000_NS6detail17trampoline_kernelINS0_14default_configENS1_25partition_config_selectorILNS1_17partition_subalgoE8ElNS0_10empty_typeEbEEZZNS1_14partition_implILS5_8ELb0ES3_jPlPS6_PKS6_NS0_5tupleIJS9_S6_EEENSD_IJSA_SA_EEENS0_18inequality_wrapperIZN2at6native12_GLOBAL__N_124unique_dim_cuda_templateIaEESt5tupleIJNSH_6TensorESM_SM_EERKSM_lbbbEUlllE0_EEPmJS6_EEE10hipError_tPvRmT3_T4_T5_T6_T7_T9_mT8_P12ihipStream_tbDpT10_ENKUlT_T0_E_clISt17integral_constantIbLb1EES1B_IbLb0EEEEDaS17_S18_EUlS17_E_NS1_11comp_targetILNS1_3genE3ELNS1_11target_archE908ELNS1_3gpuE7ELNS1_3repE0EEENS1_30default_config_static_selectorELNS0_4arch9wavefront6targetE0EEEvT1_
	.p2align	8
	.type	_ZN7rocprim17ROCPRIM_400000_NS6detail17trampoline_kernelINS0_14default_configENS1_25partition_config_selectorILNS1_17partition_subalgoE8ElNS0_10empty_typeEbEEZZNS1_14partition_implILS5_8ELb0ES3_jPlPS6_PKS6_NS0_5tupleIJS9_S6_EEENSD_IJSA_SA_EEENS0_18inequality_wrapperIZN2at6native12_GLOBAL__N_124unique_dim_cuda_templateIaEESt5tupleIJNSH_6TensorESM_SM_EERKSM_lbbbEUlllE0_EEPmJS6_EEE10hipError_tPvRmT3_T4_T5_T6_T7_T9_mT8_P12ihipStream_tbDpT10_ENKUlT_T0_E_clISt17integral_constantIbLb1EES1B_IbLb0EEEEDaS17_S18_EUlS17_E_NS1_11comp_targetILNS1_3genE3ELNS1_11target_archE908ELNS1_3gpuE7ELNS1_3repE0EEENS1_30default_config_static_selectorELNS0_4arch9wavefront6targetE0EEEvT1_,@function
_ZN7rocprim17ROCPRIM_400000_NS6detail17trampoline_kernelINS0_14default_configENS1_25partition_config_selectorILNS1_17partition_subalgoE8ElNS0_10empty_typeEbEEZZNS1_14partition_implILS5_8ELb0ES3_jPlPS6_PKS6_NS0_5tupleIJS9_S6_EEENSD_IJSA_SA_EEENS0_18inequality_wrapperIZN2at6native12_GLOBAL__N_124unique_dim_cuda_templateIaEESt5tupleIJNSH_6TensorESM_SM_EERKSM_lbbbEUlllE0_EEPmJS6_EEE10hipError_tPvRmT3_T4_T5_T6_T7_T9_mT8_P12ihipStream_tbDpT10_ENKUlT_T0_E_clISt17integral_constantIbLb1EES1B_IbLb0EEEEDaS17_S18_EUlS17_E_NS1_11comp_targetILNS1_3genE3ELNS1_11target_archE908ELNS1_3gpuE7ELNS1_3repE0EEENS1_30default_config_static_selectorELNS0_4arch9wavefront6targetE0EEEvT1_: ; @_ZN7rocprim17ROCPRIM_400000_NS6detail17trampoline_kernelINS0_14default_configENS1_25partition_config_selectorILNS1_17partition_subalgoE8ElNS0_10empty_typeEbEEZZNS1_14partition_implILS5_8ELb0ES3_jPlPS6_PKS6_NS0_5tupleIJS9_S6_EEENSD_IJSA_SA_EEENS0_18inequality_wrapperIZN2at6native12_GLOBAL__N_124unique_dim_cuda_templateIaEESt5tupleIJNSH_6TensorESM_SM_EERKSM_lbbbEUlllE0_EEPmJS6_EEE10hipError_tPvRmT3_T4_T5_T6_T7_T9_mT8_P12ihipStream_tbDpT10_ENKUlT_T0_E_clISt17integral_constantIbLb1EES1B_IbLb0EEEEDaS17_S18_EUlS17_E_NS1_11comp_targetILNS1_3genE3ELNS1_11target_archE908ELNS1_3gpuE7ELNS1_3repE0EEENS1_30default_config_static_selectorELNS0_4arch9wavefront6targetE0EEEvT1_
; %bb.0:
	.section	.rodata,"a",@progbits
	.p2align	6, 0x0
	.amdhsa_kernel _ZN7rocprim17ROCPRIM_400000_NS6detail17trampoline_kernelINS0_14default_configENS1_25partition_config_selectorILNS1_17partition_subalgoE8ElNS0_10empty_typeEbEEZZNS1_14partition_implILS5_8ELb0ES3_jPlPS6_PKS6_NS0_5tupleIJS9_S6_EEENSD_IJSA_SA_EEENS0_18inequality_wrapperIZN2at6native12_GLOBAL__N_124unique_dim_cuda_templateIaEESt5tupleIJNSH_6TensorESM_SM_EERKSM_lbbbEUlllE0_EEPmJS6_EEE10hipError_tPvRmT3_T4_T5_T6_T7_T9_mT8_P12ihipStream_tbDpT10_ENKUlT_T0_E_clISt17integral_constantIbLb1EES1B_IbLb0EEEEDaS17_S18_EUlS17_E_NS1_11comp_targetILNS1_3genE3ELNS1_11target_archE908ELNS1_3gpuE7ELNS1_3repE0EEENS1_30default_config_static_selectorELNS0_4arch9wavefront6targetE0EEEvT1_
		.amdhsa_group_segment_fixed_size 0
		.amdhsa_private_segment_fixed_size 0
		.amdhsa_kernarg_size 120
		.amdhsa_user_sgpr_count 2
		.amdhsa_user_sgpr_dispatch_ptr 0
		.amdhsa_user_sgpr_queue_ptr 0
		.amdhsa_user_sgpr_kernarg_segment_ptr 1
		.amdhsa_user_sgpr_dispatch_id 0
		.amdhsa_user_sgpr_kernarg_preload_length 0
		.amdhsa_user_sgpr_kernarg_preload_offset 0
		.amdhsa_user_sgpr_private_segment_size 0
		.amdhsa_wavefront_size32 1
		.amdhsa_uses_dynamic_stack 0
		.amdhsa_enable_private_segment 0
		.amdhsa_system_sgpr_workgroup_id_x 1
		.amdhsa_system_sgpr_workgroup_id_y 0
		.amdhsa_system_sgpr_workgroup_id_z 0
		.amdhsa_system_sgpr_workgroup_info 0
		.amdhsa_system_vgpr_workitem_id 0
		.amdhsa_next_free_vgpr 1
		.amdhsa_next_free_sgpr 1
		.amdhsa_named_barrier_count 0
		.amdhsa_reserve_vcc 0
		.amdhsa_float_round_mode_32 0
		.amdhsa_float_round_mode_16_64 0
		.amdhsa_float_denorm_mode_32 3
		.amdhsa_float_denorm_mode_16_64 3
		.amdhsa_fp16_overflow 0
		.amdhsa_memory_ordered 1
		.amdhsa_forward_progress 1
		.amdhsa_inst_pref_size 0
		.amdhsa_round_robin_scheduling 0
		.amdhsa_exception_fp_ieee_invalid_op 0
		.amdhsa_exception_fp_denorm_src 0
		.amdhsa_exception_fp_ieee_div_zero 0
		.amdhsa_exception_fp_ieee_overflow 0
		.amdhsa_exception_fp_ieee_underflow 0
		.amdhsa_exception_fp_ieee_inexact 0
		.amdhsa_exception_int_div_zero 0
	.end_amdhsa_kernel
	.section	.text._ZN7rocprim17ROCPRIM_400000_NS6detail17trampoline_kernelINS0_14default_configENS1_25partition_config_selectorILNS1_17partition_subalgoE8ElNS0_10empty_typeEbEEZZNS1_14partition_implILS5_8ELb0ES3_jPlPS6_PKS6_NS0_5tupleIJS9_S6_EEENSD_IJSA_SA_EEENS0_18inequality_wrapperIZN2at6native12_GLOBAL__N_124unique_dim_cuda_templateIaEESt5tupleIJNSH_6TensorESM_SM_EERKSM_lbbbEUlllE0_EEPmJS6_EEE10hipError_tPvRmT3_T4_T5_T6_T7_T9_mT8_P12ihipStream_tbDpT10_ENKUlT_T0_E_clISt17integral_constantIbLb1EES1B_IbLb0EEEEDaS17_S18_EUlS17_E_NS1_11comp_targetILNS1_3genE3ELNS1_11target_archE908ELNS1_3gpuE7ELNS1_3repE0EEENS1_30default_config_static_selectorELNS0_4arch9wavefront6targetE0EEEvT1_,"axG",@progbits,_ZN7rocprim17ROCPRIM_400000_NS6detail17trampoline_kernelINS0_14default_configENS1_25partition_config_selectorILNS1_17partition_subalgoE8ElNS0_10empty_typeEbEEZZNS1_14partition_implILS5_8ELb0ES3_jPlPS6_PKS6_NS0_5tupleIJS9_S6_EEENSD_IJSA_SA_EEENS0_18inequality_wrapperIZN2at6native12_GLOBAL__N_124unique_dim_cuda_templateIaEESt5tupleIJNSH_6TensorESM_SM_EERKSM_lbbbEUlllE0_EEPmJS6_EEE10hipError_tPvRmT3_T4_T5_T6_T7_T9_mT8_P12ihipStream_tbDpT10_ENKUlT_T0_E_clISt17integral_constantIbLb1EES1B_IbLb0EEEEDaS17_S18_EUlS17_E_NS1_11comp_targetILNS1_3genE3ELNS1_11target_archE908ELNS1_3gpuE7ELNS1_3repE0EEENS1_30default_config_static_selectorELNS0_4arch9wavefront6targetE0EEEvT1_,comdat
.Lfunc_end338:
	.size	_ZN7rocprim17ROCPRIM_400000_NS6detail17trampoline_kernelINS0_14default_configENS1_25partition_config_selectorILNS1_17partition_subalgoE8ElNS0_10empty_typeEbEEZZNS1_14partition_implILS5_8ELb0ES3_jPlPS6_PKS6_NS0_5tupleIJS9_S6_EEENSD_IJSA_SA_EEENS0_18inequality_wrapperIZN2at6native12_GLOBAL__N_124unique_dim_cuda_templateIaEESt5tupleIJNSH_6TensorESM_SM_EERKSM_lbbbEUlllE0_EEPmJS6_EEE10hipError_tPvRmT3_T4_T5_T6_T7_T9_mT8_P12ihipStream_tbDpT10_ENKUlT_T0_E_clISt17integral_constantIbLb1EES1B_IbLb0EEEEDaS17_S18_EUlS17_E_NS1_11comp_targetILNS1_3genE3ELNS1_11target_archE908ELNS1_3gpuE7ELNS1_3repE0EEENS1_30default_config_static_selectorELNS0_4arch9wavefront6targetE0EEEvT1_, .Lfunc_end338-_ZN7rocprim17ROCPRIM_400000_NS6detail17trampoline_kernelINS0_14default_configENS1_25partition_config_selectorILNS1_17partition_subalgoE8ElNS0_10empty_typeEbEEZZNS1_14partition_implILS5_8ELb0ES3_jPlPS6_PKS6_NS0_5tupleIJS9_S6_EEENSD_IJSA_SA_EEENS0_18inequality_wrapperIZN2at6native12_GLOBAL__N_124unique_dim_cuda_templateIaEESt5tupleIJNSH_6TensorESM_SM_EERKSM_lbbbEUlllE0_EEPmJS6_EEE10hipError_tPvRmT3_T4_T5_T6_T7_T9_mT8_P12ihipStream_tbDpT10_ENKUlT_T0_E_clISt17integral_constantIbLb1EES1B_IbLb0EEEEDaS17_S18_EUlS17_E_NS1_11comp_targetILNS1_3genE3ELNS1_11target_archE908ELNS1_3gpuE7ELNS1_3repE0EEENS1_30default_config_static_selectorELNS0_4arch9wavefront6targetE0EEEvT1_
                                        ; -- End function
	.set _ZN7rocprim17ROCPRIM_400000_NS6detail17trampoline_kernelINS0_14default_configENS1_25partition_config_selectorILNS1_17partition_subalgoE8ElNS0_10empty_typeEbEEZZNS1_14partition_implILS5_8ELb0ES3_jPlPS6_PKS6_NS0_5tupleIJS9_S6_EEENSD_IJSA_SA_EEENS0_18inequality_wrapperIZN2at6native12_GLOBAL__N_124unique_dim_cuda_templateIaEESt5tupleIJNSH_6TensorESM_SM_EERKSM_lbbbEUlllE0_EEPmJS6_EEE10hipError_tPvRmT3_T4_T5_T6_T7_T9_mT8_P12ihipStream_tbDpT10_ENKUlT_T0_E_clISt17integral_constantIbLb1EES1B_IbLb0EEEEDaS17_S18_EUlS17_E_NS1_11comp_targetILNS1_3genE3ELNS1_11target_archE908ELNS1_3gpuE7ELNS1_3repE0EEENS1_30default_config_static_selectorELNS0_4arch9wavefront6targetE0EEEvT1_.num_vgpr, 0
	.set _ZN7rocprim17ROCPRIM_400000_NS6detail17trampoline_kernelINS0_14default_configENS1_25partition_config_selectorILNS1_17partition_subalgoE8ElNS0_10empty_typeEbEEZZNS1_14partition_implILS5_8ELb0ES3_jPlPS6_PKS6_NS0_5tupleIJS9_S6_EEENSD_IJSA_SA_EEENS0_18inequality_wrapperIZN2at6native12_GLOBAL__N_124unique_dim_cuda_templateIaEESt5tupleIJNSH_6TensorESM_SM_EERKSM_lbbbEUlllE0_EEPmJS6_EEE10hipError_tPvRmT3_T4_T5_T6_T7_T9_mT8_P12ihipStream_tbDpT10_ENKUlT_T0_E_clISt17integral_constantIbLb1EES1B_IbLb0EEEEDaS17_S18_EUlS17_E_NS1_11comp_targetILNS1_3genE3ELNS1_11target_archE908ELNS1_3gpuE7ELNS1_3repE0EEENS1_30default_config_static_selectorELNS0_4arch9wavefront6targetE0EEEvT1_.num_agpr, 0
	.set _ZN7rocprim17ROCPRIM_400000_NS6detail17trampoline_kernelINS0_14default_configENS1_25partition_config_selectorILNS1_17partition_subalgoE8ElNS0_10empty_typeEbEEZZNS1_14partition_implILS5_8ELb0ES3_jPlPS6_PKS6_NS0_5tupleIJS9_S6_EEENSD_IJSA_SA_EEENS0_18inequality_wrapperIZN2at6native12_GLOBAL__N_124unique_dim_cuda_templateIaEESt5tupleIJNSH_6TensorESM_SM_EERKSM_lbbbEUlllE0_EEPmJS6_EEE10hipError_tPvRmT3_T4_T5_T6_T7_T9_mT8_P12ihipStream_tbDpT10_ENKUlT_T0_E_clISt17integral_constantIbLb1EES1B_IbLb0EEEEDaS17_S18_EUlS17_E_NS1_11comp_targetILNS1_3genE3ELNS1_11target_archE908ELNS1_3gpuE7ELNS1_3repE0EEENS1_30default_config_static_selectorELNS0_4arch9wavefront6targetE0EEEvT1_.numbered_sgpr, 0
	.set _ZN7rocprim17ROCPRIM_400000_NS6detail17trampoline_kernelINS0_14default_configENS1_25partition_config_selectorILNS1_17partition_subalgoE8ElNS0_10empty_typeEbEEZZNS1_14partition_implILS5_8ELb0ES3_jPlPS6_PKS6_NS0_5tupleIJS9_S6_EEENSD_IJSA_SA_EEENS0_18inequality_wrapperIZN2at6native12_GLOBAL__N_124unique_dim_cuda_templateIaEESt5tupleIJNSH_6TensorESM_SM_EERKSM_lbbbEUlllE0_EEPmJS6_EEE10hipError_tPvRmT3_T4_T5_T6_T7_T9_mT8_P12ihipStream_tbDpT10_ENKUlT_T0_E_clISt17integral_constantIbLb1EES1B_IbLb0EEEEDaS17_S18_EUlS17_E_NS1_11comp_targetILNS1_3genE3ELNS1_11target_archE908ELNS1_3gpuE7ELNS1_3repE0EEENS1_30default_config_static_selectorELNS0_4arch9wavefront6targetE0EEEvT1_.num_named_barrier, 0
	.set _ZN7rocprim17ROCPRIM_400000_NS6detail17trampoline_kernelINS0_14default_configENS1_25partition_config_selectorILNS1_17partition_subalgoE8ElNS0_10empty_typeEbEEZZNS1_14partition_implILS5_8ELb0ES3_jPlPS6_PKS6_NS0_5tupleIJS9_S6_EEENSD_IJSA_SA_EEENS0_18inequality_wrapperIZN2at6native12_GLOBAL__N_124unique_dim_cuda_templateIaEESt5tupleIJNSH_6TensorESM_SM_EERKSM_lbbbEUlllE0_EEPmJS6_EEE10hipError_tPvRmT3_T4_T5_T6_T7_T9_mT8_P12ihipStream_tbDpT10_ENKUlT_T0_E_clISt17integral_constantIbLb1EES1B_IbLb0EEEEDaS17_S18_EUlS17_E_NS1_11comp_targetILNS1_3genE3ELNS1_11target_archE908ELNS1_3gpuE7ELNS1_3repE0EEENS1_30default_config_static_selectorELNS0_4arch9wavefront6targetE0EEEvT1_.private_seg_size, 0
	.set _ZN7rocprim17ROCPRIM_400000_NS6detail17trampoline_kernelINS0_14default_configENS1_25partition_config_selectorILNS1_17partition_subalgoE8ElNS0_10empty_typeEbEEZZNS1_14partition_implILS5_8ELb0ES3_jPlPS6_PKS6_NS0_5tupleIJS9_S6_EEENSD_IJSA_SA_EEENS0_18inequality_wrapperIZN2at6native12_GLOBAL__N_124unique_dim_cuda_templateIaEESt5tupleIJNSH_6TensorESM_SM_EERKSM_lbbbEUlllE0_EEPmJS6_EEE10hipError_tPvRmT3_T4_T5_T6_T7_T9_mT8_P12ihipStream_tbDpT10_ENKUlT_T0_E_clISt17integral_constantIbLb1EES1B_IbLb0EEEEDaS17_S18_EUlS17_E_NS1_11comp_targetILNS1_3genE3ELNS1_11target_archE908ELNS1_3gpuE7ELNS1_3repE0EEENS1_30default_config_static_selectorELNS0_4arch9wavefront6targetE0EEEvT1_.uses_vcc, 0
	.set _ZN7rocprim17ROCPRIM_400000_NS6detail17trampoline_kernelINS0_14default_configENS1_25partition_config_selectorILNS1_17partition_subalgoE8ElNS0_10empty_typeEbEEZZNS1_14partition_implILS5_8ELb0ES3_jPlPS6_PKS6_NS0_5tupleIJS9_S6_EEENSD_IJSA_SA_EEENS0_18inequality_wrapperIZN2at6native12_GLOBAL__N_124unique_dim_cuda_templateIaEESt5tupleIJNSH_6TensorESM_SM_EERKSM_lbbbEUlllE0_EEPmJS6_EEE10hipError_tPvRmT3_T4_T5_T6_T7_T9_mT8_P12ihipStream_tbDpT10_ENKUlT_T0_E_clISt17integral_constantIbLb1EES1B_IbLb0EEEEDaS17_S18_EUlS17_E_NS1_11comp_targetILNS1_3genE3ELNS1_11target_archE908ELNS1_3gpuE7ELNS1_3repE0EEENS1_30default_config_static_selectorELNS0_4arch9wavefront6targetE0EEEvT1_.uses_flat_scratch, 0
	.set _ZN7rocprim17ROCPRIM_400000_NS6detail17trampoline_kernelINS0_14default_configENS1_25partition_config_selectorILNS1_17partition_subalgoE8ElNS0_10empty_typeEbEEZZNS1_14partition_implILS5_8ELb0ES3_jPlPS6_PKS6_NS0_5tupleIJS9_S6_EEENSD_IJSA_SA_EEENS0_18inequality_wrapperIZN2at6native12_GLOBAL__N_124unique_dim_cuda_templateIaEESt5tupleIJNSH_6TensorESM_SM_EERKSM_lbbbEUlllE0_EEPmJS6_EEE10hipError_tPvRmT3_T4_T5_T6_T7_T9_mT8_P12ihipStream_tbDpT10_ENKUlT_T0_E_clISt17integral_constantIbLb1EES1B_IbLb0EEEEDaS17_S18_EUlS17_E_NS1_11comp_targetILNS1_3genE3ELNS1_11target_archE908ELNS1_3gpuE7ELNS1_3repE0EEENS1_30default_config_static_selectorELNS0_4arch9wavefront6targetE0EEEvT1_.has_dyn_sized_stack, 0
	.set _ZN7rocprim17ROCPRIM_400000_NS6detail17trampoline_kernelINS0_14default_configENS1_25partition_config_selectorILNS1_17partition_subalgoE8ElNS0_10empty_typeEbEEZZNS1_14partition_implILS5_8ELb0ES3_jPlPS6_PKS6_NS0_5tupleIJS9_S6_EEENSD_IJSA_SA_EEENS0_18inequality_wrapperIZN2at6native12_GLOBAL__N_124unique_dim_cuda_templateIaEESt5tupleIJNSH_6TensorESM_SM_EERKSM_lbbbEUlllE0_EEPmJS6_EEE10hipError_tPvRmT3_T4_T5_T6_T7_T9_mT8_P12ihipStream_tbDpT10_ENKUlT_T0_E_clISt17integral_constantIbLb1EES1B_IbLb0EEEEDaS17_S18_EUlS17_E_NS1_11comp_targetILNS1_3genE3ELNS1_11target_archE908ELNS1_3gpuE7ELNS1_3repE0EEENS1_30default_config_static_selectorELNS0_4arch9wavefront6targetE0EEEvT1_.has_recursion, 0
	.set _ZN7rocprim17ROCPRIM_400000_NS6detail17trampoline_kernelINS0_14default_configENS1_25partition_config_selectorILNS1_17partition_subalgoE8ElNS0_10empty_typeEbEEZZNS1_14partition_implILS5_8ELb0ES3_jPlPS6_PKS6_NS0_5tupleIJS9_S6_EEENSD_IJSA_SA_EEENS0_18inequality_wrapperIZN2at6native12_GLOBAL__N_124unique_dim_cuda_templateIaEESt5tupleIJNSH_6TensorESM_SM_EERKSM_lbbbEUlllE0_EEPmJS6_EEE10hipError_tPvRmT3_T4_T5_T6_T7_T9_mT8_P12ihipStream_tbDpT10_ENKUlT_T0_E_clISt17integral_constantIbLb1EES1B_IbLb0EEEEDaS17_S18_EUlS17_E_NS1_11comp_targetILNS1_3genE3ELNS1_11target_archE908ELNS1_3gpuE7ELNS1_3repE0EEENS1_30default_config_static_selectorELNS0_4arch9wavefront6targetE0EEEvT1_.has_indirect_call, 0
	.section	.AMDGPU.csdata,"",@progbits
; Kernel info:
; codeLenInByte = 0
; TotalNumSgprs: 0
; NumVgprs: 0
; ScratchSize: 0
; MemoryBound: 0
; FloatMode: 240
; IeeeMode: 1
; LDSByteSize: 0 bytes/workgroup (compile time only)
; SGPRBlocks: 0
; VGPRBlocks: 0
; NumSGPRsForWavesPerEU: 1
; NumVGPRsForWavesPerEU: 1
; NamedBarCnt: 0
; Occupancy: 16
; WaveLimiterHint : 0
; COMPUTE_PGM_RSRC2:SCRATCH_EN: 0
; COMPUTE_PGM_RSRC2:USER_SGPR: 2
; COMPUTE_PGM_RSRC2:TRAP_HANDLER: 0
; COMPUTE_PGM_RSRC2:TGID_X_EN: 1
; COMPUTE_PGM_RSRC2:TGID_Y_EN: 0
; COMPUTE_PGM_RSRC2:TGID_Z_EN: 0
; COMPUTE_PGM_RSRC2:TIDIG_COMP_CNT: 0
	.section	.text._ZN7rocprim17ROCPRIM_400000_NS6detail17trampoline_kernelINS0_14default_configENS1_25partition_config_selectorILNS1_17partition_subalgoE8ElNS0_10empty_typeEbEEZZNS1_14partition_implILS5_8ELb0ES3_jPlPS6_PKS6_NS0_5tupleIJS9_S6_EEENSD_IJSA_SA_EEENS0_18inequality_wrapperIZN2at6native12_GLOBAL__N_124unique_dim_cuda_templateIaEESt5tupleIJNSH_6TensorESM_SM_EERKSM_lbbbEUlllE0_EEPmJS6_EEE10hipError_tPvRmT3_T4_T5_T6_T7_T9_mT8_P12ihipStream_tbDpT10_ENKUlT_T0_E_clISt17integral_constantIbLb1EES1B_IbLb0EEEEDaS17_S18_EUlS17_E_NS1_11comp_targetILNS1_3genE2ELNS1_11target_archE906ELNS1_3gpuE6ELNS1_3repE0EEENS1_30default_config_static_selectorELNS0_4arch9wavefront6targetE0EEEvT1_,"axG",@progbits,_ZN7rocprim17ROCPRIM_400000_NS6detail17trampoline_kernelINS0_14default_configENS1_25partition_config_selectorILNS1_17partition_subalgoE8ElNS0_10empty_typeEbEEZZNS1_14partition_implILS5_8ELb0ES3_jPlPS6_PKS6_NS0_5tupleIJS9_S6_EEENSD_IJSA_SA_EEENS0_18inequality_wrapperIZN2at6native12_GLOBAL__N_124unique_dim_cuda_templateIaEESt5tupleIJNSH_6TensorESM_SM_EERKSM_lbbbEUlllE0_EEPmJS6_EEE10hipError_tPvRmT3_T4_T5_T6_T7_T9_mT8_P12ihipStream_tbDpT10_ENKUlT_T0_E_clISt17integral_constantIbLb1EES1B_IbLb0EEEEDaS17_S18_EUlS17_E_NS1_11comp_targetILNS1_3genE2ELNS1_11target_archE906ELNS1_3gpuE6ELNS1_3repE0EEENS1_30default_config_static_selectorELNS0_4arch9wavefront6targetE0EEEvT1_,comdat
	.globl	_ZN7rocprim17ROCPRIM_400000_NS6detail17trampoline_kernelINS0_14default_configENS1_25partition_config_selectorILNS1_17partition_subalgoE8ElNS0_10empty_typeEbEEZZNS1_14partition_implILS5_8ELb0ES3_jPlPS6_PKS6_NS0_5tupleIJS9_S6_EEENSD_IJSA_SA_EEENS0_18inequality_wrapperIZN2at6native12_GLOBAL__N_124unique_dim_cuda_templateIaEESt5tupleIJNSH_6TensorESM_SM_EERKSM_lbbbEUlllE0_EEPmJS6_EEE10hipError_tPvRmT3_T4_T5_T6_T7_T9_mT8_P12ihipStream_tbDpT10_ENKUlT_T0_E_clISt17integral_constantIbLb1EES1B_IbLb0EEEEDaS17_S18_EUlS17_E_NS1_11comp_targetILNS1_3genE2ELNS1_11target_archE906ELNS1_3gpuE6ELNS1_3repE0EEENS1_30default_config_static_selectorELNS0_4arch9wavefront6targetE0EEEvT1_ ; -- Begin function _ZN7rocprim17ROCPRIM_400000_NS6detail17trampoline_kernelINS0_14default_configENS1_25partition_config_selectorILNS1_17partition_subalgoE8ElNS0_10empty_typeEbEEZZNS1_14partition_implILS5_8ELb0ES3_jPlPS6_PKS6_NS0_5tupleIJS9_S6_EEENSD_IJSA_SA_EEENS0_18inequality_wrapperIZN2at6native12_GLOBAL__N_124unique_dim_cuda_templateIaEESt5tupleIJNSH_6TensorESM_SM_EERKSM_lbbbEUlllE0_EEPmJS6_EEE10hipError_tPvRmT3_T4_T5_T6_T7_T9_mT8_P12ihipStream_tbDpT10_ENKUlT_T0_E_clISt17integral_constantIbLb1EES1B_IbLb0EEEEDaS17_S18_EUlS17_E_NS1_11comp_targetILNS1_3genE2ELNS1_11target_archE906ELNS1_3gpuE6ELNS1_3repE0EEENS1_30default_config_static_selectorELNS0_4arch9wavefront6targetE0EEEvT1_
	.p2align	8
	.type	_ZN7rocprim17ROCPRIM_400000_NS6detail17trampoline_kernelINS0_14default_configENS1_25partition_config_selectorILNS1_17partition_subalgoE8ElNS0_10empty_typeEbEEZZNS1_14partition_implILS5_8ELb0ES3_jPlPS6_PKS6_NS0_5tupleIJS9_S6_EEENSD_IJSA_SA_EEENS0_18inequality_wrapperIZN2at6native12_GLOBAL__N_124unique_dim_cuda_templateIaEESt5tupleIJNSH_6TensorESM_SM_EERKSM_lbbbEUlllE0_EEPmJS6_EEE10hipError_tPvRmT3_T4_T5_T6_T7_T9_mT8_P12ihipStream_tbDpT10_ENKUlT_T0_E_clISt17integral_constantIbLb1EES1B_IbLb0EEEEDaS17_S18_EUlS17_E_NS1_11comp_targetILNS1_3genE2ELNS1_11target_archE906ELNS1_3gpuE6ELNS1_3repE0EEENS1_30default_config_static_selectorELNS0_4arch9wavefront6targetE0EEEvT1_,@function
_ZN7rocprim17ROCPRIM_400000_NS6detail17trampoline_kernelINS0_14default_configENS1_25partition_config_selectorILNS1_17partition_subalgoE8ElNS0_10empty_typeEbEEZZNS1_14partition_implILS5_8ELb0ES3_jPlPS6_PKS6_NS0_5tupleIJS9_S6_EEENSD_IJSA_SA_EEENS0_18inequality_wrapperIZN2at6native12_GLOBAL__N_124unique_dim_cuda_templateIaEESt5tupleIJNSH_6TensorESM_SM_EERKSM_lbbbEUlllE0_EEPmJS6_EEE10hipError_tPvRmT3_T4_T5_T6_T7_T9_mT8_P12ihipStream_tbDpT10_ENKUlT_T0_E_clISt17integral_constantIbLb1EES1B_IbLb0EEEEDaS17_S18_EUlS17_E_NS1_11comp_targetILNS1_3genE2ELNS1_11target_archE906ELNS1_3gpuE6ELNS1_3repE0EEENS1_30default_config_static_selectorELNS0_4arch9wavefront6targetE0EEEvT1_: ; @_ZN7rocprim17ROCPRIM_400000_NS6detail17trampoline_kernelINS0_14default_configENS1_25partition_config_selectorILNS1_17partition_subalgoE8ElNS0_10empty_typeEbEEZZNS1_14partition_implILS5_8ELb0ES3_jPlPS6_PKS6_NS0_5tupleIJS9_S6_EEENSD_IJSA_SA_EEENS0_18inequality_wrapperIZN2at6native12_GLOBAL__N_124unique_dim_cuda_templateIaEESt5tupleIJNSH_6TensorESM_SM_EERKSM_lbbbEUlllE0_EEPmJS6_EEE10hipError_tPvRmT3_T4_T5_T6_T7_T9_mT8_P12ihipStream_tbDpT10_ENKUlT_T0_E_clISt17integral_constantIbLb1EES1B_IbLb0EEEEDaS17_S18_EUlS17_E_NS1_11comp_targetILNS1_3genE2ELNS1_11target_archE906ELNS1_3gpuE6ELNS1_3repE0EEENS1_30default_config_static_selectorELNS0_4arch9wavefront6targetE0EEEvT1_
; %bb.0:
	.section	.rodata,"a",@progbits
	.p2align	6, 0x0
	.amdhsa_kernel _ZN7rocprim17ROCPRIM_400000_NS6detail17trampoline_kernelINS0_14default_configENS1_25partition_config_selectorILNS1_17partition_subalgoE8ElNS0_10empty_typeEbEEZZNS1_14partition_implILS5_8ELb0ES3_jPlPS6_PKS6_NS0_5tupleIJS9_S6_EEENSD_IJSA_SA_EEENS0_18inequality_wrapperIZN2at6native12_GLOBAL__N_124unique_dim_cuda_templateIaEESt5tupleIJNSH_6TensorESM_SM_EERKSM_lbbbEUlllE0_EEPmJS6_EEE10hipError_tPvRmT3_T4_T5_T6_T7_T9_mT8_P12ihipStream_tbDpT10_ENKUlT_T0_E_clISt17integral_constantIbLb1EES1B_IbLb0EEEEDaS17_S18_EUlS17_E_NS1_11comp_targetILNS1_3genE2ELNS1_11target_archE906ELNS1_3gpuE6ELNS1_3repE0EEENS1_30default_config_static_selectorELNS0_4arch9wavefront6targetE0EEEvT1_
		.amdhsa_group_segment_fixed_size 0
		.amdhsa_private_segment_fixed_size 0
		.amdhsa_kernarg_size 120
		.amdhsa_user_sgpr_count 2
		.amdhsa_user_sgpr_dispatch_ptr 0
		.amdhsa_user_sgpr_queue_ptr 0
		.amdhsa_user_sgpr_kernarg_segment_ptr 1
		.amdhsa_user_sgpr_dispatch_id 0
		.amdhsa_user_sgpr_kernarg_preload_length 0
		.amdhsa_user_sgpr_kernarg_preload_offset 0
		.amdhsa_user_sgpr_private_segment_size 0
		.amdhsa_wavefront_size32 1
		.amdhsa_uses_dynamic_stack 0
		.amdhsa_enable_private_segment 0
		.amdhsa_system_sgpr_workgroup_id_x 1
		.amdhsa_system_sgpr_workgroup_id_y 0
		.amdhsa_system_sgpr_workgroup_id_z 0
		.amdhsa_system_sgpr_workgroup_info 0
		.amdhsa_system_vgpr_workitem_id 0
		.amdhsa_next_free_vgpr 1
		.amdhsa_next_free_sgpr 1
		.amdhsa_named_barrier_count 0
		.amdhsa_reserve_vcc 0
		.amdhsa_float_round_mode_32 0
		.amdhsa_float_round_mode_16_64 0
		.amdhsa_float_denorm_mode_32 3
		.amdhsa_float_denorm_mode_16_64 3
		.amdhsa_fp16_overflow 0
		.amdhsa_memory_ordered 1
		.amdhsa_forward_progress 1
		.amdhsa_inst_pref_size 0
		.amdhsa_round_robin_scheduling 0
		.amdhsa_exception_fp_ieee_invalid_op 0
		.amdhsa_exception_fp_denorm_src 0
		.amdhsa_exception_fp_ieee_div_zero 0
		.amdhsa_exception_fp_ieee_overflow 0
		.amdhsa_exception_fp_ieee_underflow 0
		.amdhsa_exception_fp_ieee_inexact 0
		.amdhsa_exception_int_div_zero 0
	.end_amdhsa_kernel
	.section	.text._ZN7rocprim17ROCPRIM_400000_NS6detail17trampoline_kernelINS0_14default_configENS1_25partition_config_selectorILNS1_17partition_subalgoE8ElNS0_10empty_typeEbEEZZNS1_14partition_implILS5_8ELb0ES3_jPlPS6_PKS6_NS0_5tupleIJS9_S6_EEENSD_IJSA_SA_EEENS0_18inequality_wrapperIZN2at6native12_GLOBAL__N_124unique_dim_cuda_templateIaEESt5tupleIJNSH_6TensorESM_SM_EERKSM_lbbbEUlllE0_EEPmJS6_EEE10hipError_tPvRmT3_T4_T5_T6_T7_T9_mT8_P12ihipStream_tbDpT10_ENKUlT_T0_E_clISt17integral_constantIbLb1EES1B_IbLb0EEEEDaS17_S18_EUlS17_E_NS1_11comp_targetILNS1_3genE2ELNS1_11target_archE906ELNS1_3gpuE6ELNS1_3repE0EEENS1_30default_config_static_selectorELNS0_4arch9wavefront6targetE0EEEvT1_,"axG",@progbits,_ZN7rocprim17ROCPRIM_400000_NS6detail17trampoline_kernelINS0_14default_configENS1_25partition_config_selectorILNS1_17partition_subalgoE8ElNS0_10empty_typeEbEEZZNS1_14partition_implILS5_8ELb0ES3_jPlPS6_PKS6_NS0_5tupleIJS9_S6_EEENSD_IJSA_SA_EEENS0_18inequality_wrapperIZN2at6native12_GLOBAL__N_124unique_dim_cuda_templateIaEESt5tupleIJNSH_6TensorESM_SM_EERKSM_lbbbEUlllE0_EEPmJS6_EEE10hipError_tPvRmT3_T4_T5_T6_T7_T9_mT8_P12ihipStream_tbDpT10_ENKUlT_T0_E_clISt17integral_constantIbLb1EES1B_IbLb0EEEEDaS17_S18_EUlS17_E_NS1_11comp_targetILNS1_3genE2ELNS1_11target_archE906ELNS1_3gpuE6ELNS1_3repE0EEENS1_30default_config_static_selectorELNS0_4arch9wavefront6targetE0EEEvT1_,comdat
.Lfunc_end339:
	.size	_ZN7rocprim17ROCPRIM_400000_NS6detail17trampoline_kernelINS0_14default_configENS1_25partition_config_selectorILNS1_17partition_subalgoE8ElNS0_10empty_typeEbEEZZNS1_14partition_implILS5_8ELb0ES3_jPlPS6_PKS6_NS0_5tupleIJS9_S6_EEENSD_IJSA_SA_EEENS0_18inequality_wrapperIZN2at6native12_GLOBAL__N_124unique_dim_cuda_templateIaEESt5tupleIJNSH_6TensorESM_SM_EERKSM_lbbbEUlllE0_EEPmJS6_EEE10hipError_tPvRmT3_T4_T5_T6_T7_T9_mT8_P12ihipStream_tbDpT10_ENKUlT_T0_E_clISt17integral_constantIbLb1EES1B_IbLb0EEEEDaS17_S18_EUlS17_E_NS1_11comp_targetILNS1_3genE2ELNS1_11target_archE906ELNS1_3gpuE6ELNS1_3repE0EEENS1_30default_config_static_selectorELNS0_4arch9wavefront6targetE0EEEvT1_, .Lfunc_end339-_ZN7rocprim17ROCPRIM_400000_NS6detail17trampoline_kernelINS0_14default_configENS1_25partition_config_selectorILNS1_17partition_subalgoE8ElNS0_10empty_typeEbEEZZNS1_14partition_implILS5_8ELb0ES3_jPlPS6_PKS6_NS0_5tupleIJS9_S6_EEENSD_IJSA_SA_EEENS0_18inequality_wrapperIZN2at6native12_GLOBAL__N_124unique_dim_cuda_templateIaEESt5tupleIJNSH_6TensorESM_SM_EERKSM_lbbbEUlllE0_EEPmJS6_EEE10hipError_tPvRmT3_T4_T5_T6_T7_T9_mT8_P12ihipStream_tbDpT10_ENKUlT_T0_E_clISt17integral_constantIbLb1EES1B_IbLb0EEEEDaS17_S18_EUlS17_E_NS1_11comp_targetILNS1_3genE2ELNS1_11target_archE906ELNS1_3gpuE6ELNS1_3repE0EEENS1_30default_config_static_selectorELNS0_4arch9wavefront6targetE0EEEvT1_
                                        ; -- End function
	.set _ZN7rocprim17ROCPRIM_400000_NS6detail17trampoline_kernelINS0_14default_configENS1_25partition_config_selectorILNS1_17partition_subalgoE8ElNS0_10empty_typeEbEEZZNS1_14partition_implILS5_8ELb0ES3_jPlPS6_PKS6_NS0_5tupleIJS9_S6_EEENSD_IJSA_SA_EEENS0_18inequality_wrapperIZN2at6native12_GLOBAL__N_124unique_dim_cuda_templateIaEESt5tupleIJNSH_6TensorESM_SM_EERKSM_lbbbEUlllE0_EEPmJS6_EEE10hipError_tPvRmT3_T4_T5_T6_T7_T9_mT8_P12ihipStream_tbDpT10_ENKUlT_T0_E_clISt17integral_constantIbLb1EES1B_IbLb0EEEEDaS17_S18_EUlS17_E_NS1_11comp_targetILNS1_3genE2ELNS1_11target_archE906ELNS1_3gpuE6ELNS1_3repE0EEENS1_30default_config_static_selectorELNS0_4arch9wavefront6targetE0EEEvT1_.num_vgpr, 0
	.set _ZN7rocprim17ROCPRIM_400000_NS6detail17trampoline_kernelINS0_14default_configENS1_25partition_config_selectorILNS1_17partition_subalgoE8ElNS0_10empty_typeEbEEZZNS1_14partition_implILS5_8ELb0ES3_jPlPS6_PKS6_NS0_5tupleIJS9_S6_EEENSD_IJSA_SA_EEENS0_18inequality_wrapperIZN2at6native12_GLOBAL__N_124unique_dim_cuda_templateIaEESt5tupleIJNSH_6TensorESM_SM_EERKSM_lbbbEUlllE0_EEPmJS6_EEE10hipError_tPvRmT3_T4_T5_T6_T7_T9_mT8_P12ihipStream_tbDpT10_ENKUlT_T0_E_clISt17integral_constantIbLb1EES1B_IbLb0EEEEDaS17_S18_EUlS17_E_NS1_11comp_targetILNS1_3genE2ELNS1_11target_archE906ELNS1_3gpuE6ELNS1_3repE0EEENS1_30default_config_static_selectorELNS0_4arch9wavefront6targetE0EEEvT1_.num_agpr, 0
	.set _ZN7rocprim17ROCPRIM_400000_NS6detail17trampoline_kernelINS0_14default_configENS1_25partition_config_selectorILNS1_17partition_subalgoE8ElNS0_10empty_typeEbEEZZNS1_14partition_implILS5_8ELb0ES3_jPlPS6_PKS6_NS0_5tupleIJS9_S6_EEENSD_IJSA_SA_EEENS0_18inequality_wrapperIZN2at6native12_GLOBAL__N_124unique_dim_cuda_templateIaEESt5tupleIJNSH_6TensorESM_SM_EERKSM_lbbbEUlllE0_EEPmJS6_EEE10hipError_tPvRmT3_T4_T5_T6_T7_T9_mT8_P12ihipStream_tbDpT10_ENKUlT_T0_E_clISt17integral_constantIbLb1EES1B_IbLb0EEEEDaS17_S18_EUlS17_E_NS1_11comp_targetILNS1_3genE2ELNS1_11target_archE906ELNS1_3gpuE6ELNS1_3repE0EEENS1_30default_config_static_selectorELNS0_4arch9wavefront6targetE0EEEvT1_.numbered_sgpr, 0
	.set _ZN7rocprim17ROCPRIM_400000_NS6detail17trampoline_kernelINS0_14default_configENS1_25partition_config_selectorILNS1_17partition_subalgoE8ElNS0_10empty_typeEbEEZZNS1_14partition_implILS5_8ELb0ES3_jPlPS6_PKS6_NS0_5tupleIJS9_S6_EEENSD_IJSA_SA_EEENS0_18inequality_wrapperIZN2at6native12_GLOBAL__N_124unique_dim_cuda_templateIaEESt5tupleIJNSH_6TensorESM_SM_EERKSM_lbbbEUlllE0_EEPmJS6_EEE10hipError_tPvRmT3_T4_T5_T6_T7_T9_mT8_P12ihipStream_tbDpT10_ENKUlT_T0_E_clISt17integral_constantIbLb1EES1B_IbLb0EEEEDaS17_S18_EUlS17_E_NS1_11comp_targetILNS1_3genE2ELNS1_11target_archE906ELNS1_3gpuE6ELNS1_3repE0EEENS1_30default_config_static_selectorELNS0_4arch9wavefront6targetE0EEEvT1_.num_named_barrier, 0
	.set _ZN7rocprim17ROCPRIM_400000_NS6detail17trampoline_kernelINS0_14default_configENS1_25partition_config_selectorILNS1_17partition_subalgoE8ElNS0_10empty_typeEbEEZZNS1_14partition_implILS5_8ELb0ES3_jPlPS6_PKS6_NS0_5tupleIJS9_S6_EEENSD_IJSA_SA_EEENS0_18inequality_wrapperIZN2at6native12_GLOBAL__N_124unique_dim_cuda_templateIaEESt5tupleIJNSH_6TensorESM_SM_EERKSM_lbbbEUlllE0_EEPmJS6_EEE10hipError_tPvRmT3_T4_T5_T6_T7_T9_mT8_P12ihipStream_tbDpT10_ENKUlT_T0_E_clISt17integral_constantIbLb1EES1B_IbLb0EEEEDaS17_S18_EUlS17_E_NS1_11comp_targetILNS1_3genE2ELNS1_11target_archE906ELNS1_3gpuE6ELNS1_3repE0EEENS1_30default_config_static_selectorELNS0_4arch9wavefront6targetE0EEEvT1_.private_seg_size, 0
	.set _ZN7rocprim17ROCPRIM_400000_NS6detail17trampoline_kernelINS0_14default_configENS1_25partition_config_selectorILNS1_17partition_subalgoE8ElNS0_10empty_typeEbEEZZNS1_14partition_implILS5_8ELb0ES3_jPlPS6_PKS6_NS0_5tupleIJS9_S6_EEENSD_IJSA_SA_EEENS0_18inequality_wrapperIZN2at6native12_GLOBAL__N_124unique_dim_cuda_templateIaEESt5tupleIJNSH_6TensorESM_SM_EERKSM_lbbbEUlllE0_EEPmJS6_EEE10hipError_tPvRmT3_T4_T5_T6_T7_T9_mT8_P12ihipStream_tbDpT10_ENKUlT_T0_E_clISt17integral_constantIbLb1EES1B_IbLb0EEEEDaS17_S18_EUlS17_E_NS1_11comp_targetILNS1_3genE2ELNS1_11target_archE906ELNS1_3gpuE6ELNS1_3repE0EEENS1_30default_config_static_selectorELNS0_4arch9wavefront6targetE0EEEvT1_.uses_vcc, 0
	.set _ZN7rocprim17ROCPRIM_400000_NS6detail17trampoline_kernelINS0_14default_configENS1_25partition_config_selectorILNS1_17partition_subalgoE8ElNS0_10empty_typeEbEEZZNS1_14partition_implILS5_8ELb0ES3_jPlPS6_PKS6_NS0_5tupleIJS9_S6_EEENSD_IJSA_SA_EEENS0_18inequality_wrapperIZN2at6native12_GLOBAL__N_124unique_dim_cuda_templateIaEESt5tupleIJNSH_6TensorESM_SM_EERKSM_lbbbEUlllE0_EEPmJS6_EEE10hipError_tPvRmT3_T4_T5_T6_T7_T9_mT8_P12ihipStream_tbDpT10_ENKUlT_T0_E_clISt17integral_constantIbLb1EES1B_IbLb0EEEEDaS17_S18_EUlS17_E_NS1_11comp_targetILNS1_3genE2ELNS1_11target_archE906ELNS1_3gpuE6ELNS1_3repE0EEENS1_30default_config_static_selectorELNS0_4arch9wavefront6targetE0EEEvT1_.uses_flat_scratch, 0
	.set _ZN7rocprim17ROCPRIM_400000_NS6detail17trampoline_kernelINS0_14default_configENS1_25partition_config_selectorILNS1_17partition_subalgoE8ElNS0_10empty_typeEbEEZZNS1_14partition_implILS5_8ELb0ES3_jPlPS6_PKS6_NS0_5tupleIJS9_S6_EEENSD_IJSA_SA_EEENS0_18inequality_wrapperIZN2at6native12_GLOBAL__N_124unique_dim_cuda_templateIaEESt5tupleIJNSH_6TensorESM_SM_EERKSM_lbbbEUlllE0_EEPmJS6_EEE10hipError_tPvRmT3_T4_T5_T6_T7_T9_mT8_P12ihipStream_tbDpT10_ENKUlT_T0_E_clISt17integral_constantIbLb1EES1B_IbLb0EEEEDaS17_S18_EUlS17_E_NS1_11comp_targetILNS1_3genE2ELNS1_11target_archE906ELNS1_3gpuE6ELNS1_3repE0EEENS1_30default_config_static_selectorELNS0_4arch9wavefront6targetE0EEEvT1_.has_dyn_sized_stack, 0
	.set _ZN7rocprim17ROCPRIM_400000_NS6detail17trampoline_kernelINS0_14default_configENS1_25partition_config_selectorILNS1_17partition_subalgoE8ElNS0_10empty_typeEbEEZZNS1_14partition_implILS5_8ELb0ES3_jPlPS6_PKS6_NS0_5tupleIJS9_S6_EEENSD_IJSA_SA_EEENS0_18inequality_wrapperIZN2at6native12_GLOBAL__N_124unique_dim_cuda_templateIaEESt5tupleIJNSH_6TensorESM_SM_EERKSM_lbbbEUlllE0_EEPmJS6_EEE10hipError_tPvRmT3_T4_T5_T6_T7_T9_mT8_P12ihipStream_tbDpT10_ENKUlT_T0_E_clISt17integral_constantIbLb1EES1B_IbLb0EEEEDaS17_S18_EUlS17_E_NS1_11comp_targetILNS1_3genE2ELNS1_11target_archE906ELNS1_3gpuE6ELNS1_3repE0EEENS1_30default_config_static_selectorELNS0_4arch9wavefront6targetE0EEEvT1_.has_recursion, 0
	.set _ZN7rocprim17ROCPRIM_400000_NS6detail17trampoline_kernelINS0_14default_configENS1_25partition_config_selectorILNS1_17partition_subalgoE8ElNS0_10empty_typeEbEEZZNS1_14partition_implILS5_8ELb0ES3_jPlPS6_PKS6_NS0_5tupleIJS9_S6_EEENSD_IJSA_SA_EEENS0_18inequality_wrapperIZN2at6native12_GLOBAL__N_124unique_dim_cuda_templateIaEESt5tupleIJNSH_6TensorESM_SM_EERKSM_lbbbEUlllE0_EEPmJS6_EEE10hipError_tPvRmT3_T4_T5_T6_T7_T9_mT8_P12ihipStream_tbDpT10_ENKUlT_T0_E_clISt17integral_constantIbLb1EES1B_IbLb0EEEEDaS17_S18_EUlS17_E_NS1_11comp_targetILNS1_3genE2ELNS1_11target_archE906ELNS1_3gpuE6ELNS1_3repE0EEENS1_30default_config_static_selectorELNS0_4arch9wavefront6targetE0EEEvT1_.has_indirect_call, 0
	.section	.AMDGPU.csdata,"",@progbits
; Kernel info:
; codeLenInByte = 0
; TotalNumSgprs: 0
; NumVgprs: 0
; ScratchSize: 0
; MemoryBound: 0
; FloatMode: 240
; IeeeMode: 1
; LDSByteSize: 0 bytes/workgroup (compile time only)
; SGPRBlocks: 0
; VGPRBlocks: 0
; NumSGPRsForWavesPerEU: 1
; NumVGPRsForWavesPerEU: 1
; NamedBarCnt: 0
; Occupancy: 16
; WaveLimiterHint : 0
; COMPUTE_PGM_RSRC2:SCRATCH_EN: 0
; COMPUTE_PGM_RSRC2:USER_SGPR: 2
; COMPUTE_PGM_RSRC2:TRAP_HANDLER: 0
; COMPUTE_PGM_RSRC2:TGID_X_EN: 1
; COMPUTE_PGM_RSRC2:TGID_Y_EN: 0
; COMPUTE_PGM_RSRC2:TGID_Z_EN: 0
; COMPUTE_PGM_RSRC2:TIDIG_COMP_CNT: 0
	.section	.text._ZN7rocprim17ROCPRIM_400000_NS6detail17trampoline_kernelINS0_14default_configENS1_25partition_config_selectorILNS1_17partition_subalgoE8ElNS0_10empty_typeEbEEZZNS1_14partition_implILS5_8ELb0ES3_jPlPS6_PKS6_NS0_5tupleIJS9_S6_EEENSD_IJSA_SA_EEENS0_18inequality_wrapperIZN2at6native12_GLOBAL__N_124unique_dim_cuda_templateIaEESt5tupleIJNSH_6TensorESM_SM_EERKSM_lbbbEUlllE0_EEPmJS6_EEE10hipError_tPvRmT3_T4_T5_T6_T7_T9_mT8_P12ihipStream_tbDpT10_ENKUlT_T0_E_clISt17integral_constantIbLb1EES1B_IbLb0EEEEDaS17_S18_EUlS17_E_NS1_11comp_targetILNS1_3genE10ELNS1_11target_archE1200ELNS1_3gpuE4ELNS1_3repE0EEENS1_30default_config_static_selectorELNS0_4arch9wavefront6targetE0EEEvT1_,"axG",@progbits,_ZN7rocprim17ROCPRIM_400000_NS6detail17trampoline_kernelINS0_14default_configENS1_25partition_config_selectorILNS1_17partition_subalgoE8ElNS0_10empty_typeEbEEZZNS1_14partition_implILS5_8ELb0ES3_jPlPS6_PKS6_NS0_5tupleIJS9_S6_EEENSD_IJSA_SA_EEENS0_18inequality_wrapperIZN2at6native12_GLOBAL__N_124unique_dim_cuda_templateIaEESt5tupleIJNSH_6TensorESM_SM_EERKSM_lbbbEUlllE0_EEPmJS6_EEE10hipError_tPvRmT3_T4_T5_T6_T7_T9_mT8_P12ihipStream_tbDpT10_ENKUlT_T0_E_clISt17integral_constantIbLb1EES1B_IbLb0EEEEDaS17_S18_EUlS17_E_NS1_11comp_targetILNS1_3genE10ELNS1_11target_archE1200ELNS1_3gpuE4ELNS1_3repE0EEENS1_30default_config_static_selectorELNS0_4arch9wavefront6targetE0EEEvT1_,comdat
	.globl	_ZN7rocprim17ROCPRIM_400000_NS6detail17trampoline_kernelINS0_14default_configENS1_25partition_config_selectorILNS1_17partition_subalgoE8ElNS0_10empty_typeEbEEZZNS1_14partition_implILS5_8ELb0ES3_jPlPS6_PKS6_NS0_5tupleIJS9_S6_EEENSD_IJSA_SA_EEENS0_18inequality_wrapperIZN2at6native12_GLOBAL__N_124unique_dim_cuda_templateIaEESt5tupleIJNSH_6TensorESM_SM_EERKSM_lbbbEUlllE0_EEPmJS6_EEE10hipError_tPvRmT3_T4_T5_T6_T7_T9_mT8_P12ihipStream_tbDpT10_ENKUlT_T0_E_clISt17integral_constantIbLb1EES1B_IbLb0EEEEDaS17_S18_EUlS17_E_NS1_11comp_targetILNS1_3genE10ELNS1_11target_archE1200ELNS1_3gpuE4ELNS1_3repE0EEENS1_30default_config_static_selectorELNS0_4arch9wavefront6targetE0EEEvT1_ ; -- Begin function _ZN7rocprim17ROCPRIM_400000_NS6detail17trampoline_kernelINS0_14default_configENS1_25partition_config_selectorILNS1_17partition_subalgoE8ElNS0_10empty_typeEbEEZZNS1_14partition_implILS5_8ELb0ES3_jPlPS6_PKS6_NS0_5tupleIJS9_S6_EEENSD_IJSA_SA_EEENS0_18inequality_wrapperIZN2at6native12_GLOBAL__N_124unique_dim_cuda_templateIaEESt5tupleIJNSH_6TensorESM_SM_EERKSM_lbbbEUlllE0_EEPmJS6_EEE10hipError_tPvRmT3_T4_T5_T6_T7_T9_mT8_P12ihipStream_tbDpT10_ENKUlT_T0_E_clISt17integral_constantIbLb1EES1B_IbLb0EEEEDaS17_S18_EUlS17_E_NS1_11comp_targetILNS1_3genE10ELNS1_11target_archE1200ELNS1_3gpuE4ELNS1_3repE0EEENS1_30default_config_static_selectorELNS0_4arch9wavefront6targetE0EEEvT1_
	.p2align	8
	.type	_ZN7rocprim17ROCPRIM_400000_NS6detail17trampoline_kernelINS0_14default_configENS1_25partition_config_selectorILNS1_17partition_subalgoE8ElNS0_10empty_typeEbEEZZNS1_14partition_implILS5_8ELb0ES3_jPlPS6_PKS6_NS0_5tupleIJS9_S6_EEENSD_IJSA_SA_EEENS0_18inequality_wrapperIZN2at6native12_GLOBAL__N_124unique_dim_cuda_templateIaEESt5tupleIJNSH_6TensorESM_SM_EERKSM_lbbbEUlllE0_EEPmJS6_EEE10hipError_tPvRmT3_T4_T5_T6_T7_T9_mT8_P12ihipStream_tbDpT10_ENKUlT_T0_E_clISt17integral_constantIbLb1EES1B_IbLb0EEEEDaS17_S18_EUlS17_E_NS1_11comp_targetILNS1_3genE10ELNS1_11target_archE1200ELNS1_3gpuE4ELNS1_3repE0EEENS1_30default_config_static_selectorELNS0_4arch9wavefront6targetE0EEEvT1_,@function
_ZN7rocprim17ROCPRIM_400000_NS6detail17trampoline_kernelINS0_14default_configENS1_25partition_config_selectorILNS1_17partition_subalgoE8ElNS0_10empty_typeEbEEZZNS1_14partition_implILS5_8ELb0ES3_jPlPS6_PKS6_NS0_5tupleIJS9_S6_EEENSD_IJSA_SA_EEENS0_18inequality_wrapperIZN2at6native12_GLOBAL__N_124unique_dim_cuda_templateIaEESt5tupleIJNSH_6TensorESM_SM_EERKSM_lbbbEUlllE0_EEPmJS6_EEE10hipError_tPvRmT3_T4_T5_T6_T7_T9_mT8_P12ihipStream_tbDpT10_ENKUlT_T0_E_clISt17integral_constantIbLb1EES1B_IbLb0EEEEDaS17_S18_EUlS17_E_NS1_11comp_targetILNS1_3genE10ELNS1_11target_archE1200ELNS1_3gpuE4ELNS1_3repE0EEENS1_30default_config_static_selectorELNS0_4arch9wavefront6targetE0EEEvT1_: ; @_ZN7rocprim17ROCPRIM_400000_NS6detail17trampoline_kernelINS0_14default_configENS1_25partition_config_selectorILNS1_17partition_subalgoE8ElNS0_10empty_typeEbEEZZNS1_14partition_implILS5_8ELb0ES3_jPlPS6_PKS6_NS0_5tupleIJS9_S6_EEENSD_IJSA_SA_EEENS0_18inequality_wrapperIZN2at6native12_GLOBAL__N_124unique_dim_cuda_templateIaEESt5tupleIJNSH_6TensorESM_SM_EERKSM_lbbbEUlllE0_EEPmJS6_EEE10hipError_tPvRmT3_T4_T5_T6_T7_T9_mT8_P12ihipStream_tbDpT10_ENKUlT_T0_E_clISt17integral_constantIbLb1EES1B_IbLb0EEEEDaS17_S18_EUlS17_E_NS1_11comp_targetILNS1_3genE10ELNS1_11target_archE1200ELNS1_3gpuE4ELNS1_3repE0EEENS1_30default_config_static_selectorELNS0_4arch9wavefront6targetE0EEEvT1_
; %bb.0:
	.section	.rodata,"a",@progbits
	.p2align	6, 0x0
	.amdhsa_kernel _ZN7rocprim17ROCPRIM_400000_NS6detail17trampoline_kernelINS0_14default_configENS1_25partition_config_selectorILNS1_17partition_subalgoE8ElNS0_10empty_typeEbEEZZNS1_14partition_implILS5_8ELb0ES3_jPlPS6_PKS6_NS0_5tupleIJS9_S6_EEENSD_IJSA_SA_EEENS0_18inequality_wrapperIZN2at6native12_GLOBAL__N_124unique_dim_cuda_templateIaEESt5tupleIJNSH_6TensorESM_SM_EERKSM_lbbbEUlllE0_EEPmJS6_EEE10hipError_tPvRmT3_T4_T5_T6_T7_T9_mT8_P12ihipStream_tbDpT10_ENKUlT_T0_E_clISt17integral_constantIbLb1EES1B_IbLb0EEEEDaS17_S18_EUlS17_E_NS1_11comp_targetILNS1_3genE10ELNS1_11target_archE1200ELNS1_3gpuE4ELNS1_3repE0EEENS1_30default_config_static_selectorELNS0_4arch9wavefront6targetE0EEEvT1_
		.amdhsa_group_segment_fixed_size 0
		.amdhsa_private_segment_fixed_size 0
		.amdhsa_kernarg_size 120
		.amdhsa_user_sgpr_count 2
		.amdhsa_user_sgpr_dispatch_ptr 0
		.amdhsa_user_sgpr_queue_ptr 0
		.amdhsa_user_sgpr_kernarg_segment_ptr 1
		.amdhsa_user_sgpr_dispatch_id 0
		.amdhsa_user_sgpr_kernarg_preload_length 0
		.amdhsa_user_sgpr_kernarg_preload_offset 0
		.amdhsa_user_sgpr_private_segment_size 0
		.amdhsa_wavefront_size32 1
		.amdhsa_uses_dynamic_stack 0
		.amdhsa_enable_private_segment 0
		.amdhsa_system_sgpr_workgroup_id_x 1
		.amdhsa_system_sgpr_workgroup_id_y 0
		.amdhsa_system_sgpr_workgroup_id_z 0
		.amdhsa_system_sgpr_workgroup_info 0
		.amdhsa_system_vgpr_workitem_id 0
		.amdhsa_next_free_vgpr 1
		.amdhsa_next_free_sgpr 1
		.amdhsa_named_barrier_count 0
		.amdhsa_reserve_vcc 0
		.amdhsa_float_round_mode_32 0
		.amdhsa_float_round_mode_16_64 0
		.amdhsa_float_denorm_mode_32 3
		.amdhsa_float_denorm_mode_16_64 3
		.amdhsa_fp16_overflow 0
		.amdhsa_memory_ordered 1
		.amdhsa_forward_progress 1
		.amdhsa_inst_pref_size 0
		.amdhsa_round_robin_scheduling 0
		.amdhsa_exception_fp_ieee_invalid_op 0
		.amdhsa_exception_fp_denorm_src 0
		.amdhsa_exception_fp_ieee_div_zero 0
		.amdhsa_exception_fp_ieee_overflow 0
		.amdhsa_exception_fp_ieee_underflow 0
		.amdhsa_exception_fp_ieee_inexact 0
		.amdhsa_exception_int_div_zero 0
	.end_amdhsa_kernel
	.section	.text._ZN7rocprim17ROCPRIM_400000_NS6detail17trampoline_kernelINS0_14default_configENS1_25partition_config_selectorILNS1_17partition_subalgoE8ElNS0_10empty_typeEbEEZZNS1_14partition_implILS5_8ELb0ES3_jPlPS6_PKS6_NS0_5tupleIJS9_S6_EEENSD_IJSA_SA_EEENS0_18inequality_wrapperIZN2at6native12_GLOBAL__N_124unique_dim_cuda_templateIaEESt5tupleIJNSH_6TensorESM_SM_EERKSM_lbbbEUlllE0_EEPmJS6_EEE10hipError_tPvRmT3_T4_T5_T6_T7_T9_mT8_P12ihipStream_tbDpT10_ENKUlT_T0_E_clISt17integral_constantIbLb1EES1B_IbLb0EEEEDaS17_S18_EUlS17_E_NS1_11comp_targetILNS1_3genE10ELNS1_11target_archE1200ELNS1_3gpuE4ELNS1_3repE0EEENS1_30default_config_static_selectorELNS0_4arch9wavefront6targetE0EEEvT1_,"axG",@progbits,_ZN7rocprim17ROCPRIM_400000_NS6detail17trampoline_kernelINS0_14default_configENS1_25partition_config_selectorILNS1_17partition_subalgoE8ElNS0_10empty_typeEbEEZZNS1_14partition_implILS5_8ELb0ES3_jPlPS6_PKS6_NS0_5tupleIJS9_S6_EEENSD_IJSA_SA_EEENS0_18inequality_wrapperIZN2at6native12_GLOBAL__N_124unique_dim_cuda_templateIaEESt5tupleIJNSH_6TensorESM_SM_EERKSM_lbbbEUlllE0_EEPmJS6_EEE10hipError_tPvRmT3_T4_T5_T6_T7_T9_mT8_P12ihipStream_tbDpT10_ENKUlT_T0_E_clISt17integral_constantIbLb1EES1B_IbLb0EEEEDaS17_S18_EUlS17_E_NS1_11comp_targetILNS1_3genE10ELNS1_11target_archE1200ELNS1_3gpuE4ELNS1_3repE0EEENS1_30default_config_static_selectorELNS0_4arch9wavefront6targetE0EEEvT1_,comdat
.Lfunc_end340:
	.size	_ZN7rocprim17ROCPRIM_400000_NS6detail17trampoline_kernelINS0_14default_configENS1_25partition_config_selectorILNS1_17partition_subalgoE8ElNS0_10empty_typeEbEEZZNS1_14partition_implILS5_8ELb0ES3_jPlPS6_PKS6_NS0_5tupleIJS9_S6_EEENSD_IJSA_SA_EEENS0_18inequality_wrapperIZN2at6native12_GLOBAL__N_124unique_dim_cuda_templateIaEESt5tupleIJNSH_6TensorESM_SM_EERKSM_lbbbEUlllE0_EEPmJS6_EEE10hipError_tPvRmT3_T4_T5_T6_T7_T9_mT8_P12ihipStream_tbDpT10_ENKUlT_T0_E_clISt17integral_constantIbLb1EES1B_IbLb0EEEEDaS17_S18_EUlS17_E_NS1_11comp_targetILNS1_3genE10ELNS1_11target_archE1200ELNS1_3gpuE4ELNS1_3repE0EEENS1_30default_config_static_selectorELNS0_4arch9wavefront6targetE0EEEvT1_, .Lfunc_end340-_ZN7rocprim17ROCPRIM_400000_NS6detail17trampoline_kernelINS0_14default_configENS1_25partition_config_selectorILNS1_17partition_subalgoE8ElNS0_10empty_typeEbEEZZNS1_14partition_implILS5_8ELb0ES3_jPlPS6_PKS6_NS0_5tupleIJS9_S6_EEENSD_IJSA_SA_EEENS0_18inequality_wrapperIZN2at6native12_GLOBAL__N_124unique_dim_cuda_templateIaEESt5tupleIJNSH_6TensorESM_SM_EERKSM_lbbbEUlllE0_EEPmJS6_EEE10hipError_tPvRmT3_T4_T5_T6_T7_T9_mT8_P12ihipStream_tbDpT10_ENKUlT_T0_E_clISt17integral_constantIbLb1EES1B_IbLb0EEEEDaS17_S18_EUlS17_E_NS1_11comp_targetILNS1_3genE10ELNS1_11target_archE1200ELNS1_3gpuE4ELNS1_3repE0EEENS1_30default_config_static_selectorELNS0_4arch9wavefront6targetE0EEEvT1_
                                        ; -- End function
	.set _ZN7rocprim17ROCPRIM_400000_NS6detail17trampoline_kernelINS0_14default_configENS1_25partition_config_selectorILNS1_17partition_subalgoE8ElNS0_10empty_typeEbEEZZNS1_14partition_implILS5_8ELb0ES3_jPlPS6_PKS6_NS0_5tupleIJS9_S6_EEENSD_IJSA_SA_EEENS0_18inequality_wrapperIZN2at6native12_GLOBAL__N_124unique_dim_cuda_templateIaEESt5tupleIJNSH_6TensorESM_SM_EERKSM_lbbbEUlllE0_EEPmJS6_EEE10hipError_tPvRmT3_T4_T5_T6_T7_T9_mT8_P12ihipStream_tbDpT10_ENKUlT_T0_E_clISt17integral_constantIbLb1EES1B_IbLb0EEEEDaS17_S18_EUlS17_E_NS1_11comp_targetILNS1_3genE10ELNS1_11target_archE1200ELNS1_3gpuE4ELNS1_3repE0EEENS1_30default_config_static_selectorELNS0_4arch9wavefront6targetE0EEEvT1_.num_vgpr, 0
	.set _ZN7rocprim17ROCPRIM_400000_NS6detail17trampoline_kernelINS0_14default_configENS1_25partition_config_selectorILNS1_17partition_subalgoE8ElNS0_10empty_typeEbEEZZNS1_14partition_implILS5_8ELb0ES3_jPlPS6_PKS6_NS0_5tupleIJS9_S6_EEENSD_IJSA_SA_EEENS0_18inequality_wrapperIZN2at6native12_GLOBAL__N_124unique_dim_cuda_templateIaEESt5tupleIJNSH_6TensorESM_SM_EERKSM_lbbbEUlllE0_EEPmJS6_EEE10hipError_tPvRmT3_T4_T5_T6_T7_T9_mT8_P12ihipStream_tbDpT10_ENKUlT_T0_E_clISt17integral_constantIbLb1EES1B_IbLb0EEEEDaS17_S18_EUlS17_E_NS1_11comp_targetILNS1_3genE10ELNS1_11target_archE1200ELNS1_3gpuE4ELNS1_3repE0EEENS1_30default_config_static_selectorELNS0_4arch9wavefront6targetE0EEEvT1_.num_agpr, 0
	.set _ZN7rocprim17ROCPRIM_400000_NS6detail17trampoline_kernelINS0_14default_configENS1_25partition_config_selectorILNS1_17partition_subalgoE8ElNS0_10empty_typeEbEEZZNS1_14partition_implILS5_8ELb0ES3_jPlPS6_PKS6_NS0_5tupleIJS9_S6_EEENSD_IJSA_SA_EEENS0_18inequality_wrapperIZN2at6native12_GLOBAL__N_124unique_dim_cuda_templateIaEESt5tupleIJNSH_6TensorESM_SM_EERKSM_lbbbEUlllE0_EEPmJS6_EEE10hipError_tPvRmT3_T4_T5_T6_T7_T9_mT8_P12ihipStream_tbDpT10_ENKUlT_T0_E_clISt17integral_constantIbLb1EES1B_IbLb0EEEEDaS17_S18_EUlS17_E_NS1_11comp_targetILNS1_3genE10ELNS1_11target_archE1200ELNS1_3gpuE4ELNS1_3repE0EEENS1_30default_config_static_selectorELNS0_4arch9wavefront6targetE0EEEvT1_.numbered_sgpr, 0
	.set _ZN7rocprim17ROCPRIM_400000_NS6detail17trampoline_kernelINS0_14default_configENS1_25partition_config_selectorILNS1_17partition_subalgoE8ElNS0_10empty_typeEbEEZZNS1_14partition_implILS5_8ELb0ES3_jPlPS6_PKS6_NS0_5tupleIJS9_S6_EEENSD_IJSA_SA_EEENS0_18inequality_wrapperIZN2at6native12_GLOBAL__N_124unique_dim_cuda_templateIaEESt5tupleIJNSH_6TensorESM_SM_EERKSM_lbbbEUlllE0_EEPmJS6_EEE10hipError_tPvRmT3_T4_T5_T6_T7_T9_mT8_P12ihipStream_tbDpT10_ENKUlT_T0_E_clISt17integral_constantIbLb1EES1B_IbLb0EEEEDaS17_S18_EUlS17_E_NS1_11comp_targetILNS1_3genE10ELNS1_11target_archE1200ELNS1_3gpuE4ELNS1_3repE0EEENS1_30default_config_static_selectorELNS0_4arch9wavefront6targetE0EEEvT1_.num_named_barrier, 0
	.set _ZN7rocprim17ROCPRIM_400000_NS6detail17trampoline_kernelINS0_14default_configENS1_25partition_config_selectorILNS1_17partition_subalgoE8ElNS0_10empty_typeEbEEZZNS1_14partition_implILS5_8ELb0ES3_jPlPS6_PKS6_NS0_5tupleIJS9_S6_EEENSD_IJSA_SA_EEENS0_18inequality_wrapperIZN2at6native12_GLOBAL__N_124unique_dim_cuda_templateIaEESt5tupleIJNSH_6TensorESM_SM_EERKSM_lbbbEUlllE0_EEPmJS6_EEE10hipError_tPvRmT3_T4_T5_T6_T7_T9_mT8_P12ihipStream_tbDpT10_ENKUlT_T0_E_clISt17integral_constantIbLb1EES1B_IbLb0EEEEDaS17_S18_EUlS17_E_NS1_11comp_targetILNS1_3genE10ELNS1_11target_archE1200ELNS1_3gpuE4ELNS1_3repE0EEENS1_30default_config_static_selectorELNS0_4arch9wavefront6targetE0EEEvT1_.private_seg_size, 0
	.set _ZN7rocprim17ROCPRIM_400000_NS6detail17trampoline_kernelINS0_14default_configENS1_25partition_config_selectorILNS1_17partition_subalgoE8ElNS0_10empty_typeEbEEZZNS1_14partition_implILS5_8ELb0ES3_jPlPS6_PKS6_NS0_5tupleIJS9_S6_EEENSD_IJSA_SA_EEENS0_18inequality_wrapperIZN2at6native12_GLOBAL__N_124unique_dim_cuda_templateIaEESt5tupleIJNSH_6TensorESM_SM_EERKSM_lbbbEUlllE0_EEPmJS6_EEE10hipError_tPvRmT3_T4_T5_T6_T7_T9_mT8_P12ihipStream_tbDpT10_ENKUlT_T0_E_clISt17integral_constantIbLb1EES1B_IbLb0EEEEDaS17_S18_EUlS17_E_NS1_11comp_targetILNS1_3genE10ELNS1_11target_archE1200ELNS1_3gpuE4ELNS1_3repE0EEENS1_30default_config_static_selectorELNS0_4arch9wavefront6targetE0EEEvT1_.uses_vcc, 0
	.set _ZN7rocprim17ROCPRIM_400000_NS6detail17trampoline_kernelINS0_14default_configENS1_25partition_config_selectorILNS1_17partition_subalgoE8ElNS0_10empty_typeEbEEZZNS1_14partition_implILS5_8ELb0ES3_jPlPS6_PKS6_NS0_5tupleIJS9_S6_EEENSD_IJSA_SA_EEENS0_18inequality_wrapperIZN2at6native12_GLOBAL__N_124unique_dim_cuda_templateIaEESt5tupleIJNSH_6TensorESM_SM_EERKSM_lbbbEUlllE0_EEPmJS6_EEE10hipError_tPvRmT3_T4_T5_T6_T7_T9_mT8_P12ihipStream_tbDpT10_ENKUlT_T0_E_clISt17integral_constantIbLb1EES1B_IbLb0EEEEDaS17_S18_EUlS17_E_NS1_11comp_targetILNS1_3genE10ELNS1_11target_archE1200ELNS1_3gpuE4ELNS1_3repE0EEENS1_30default_config_static_selectorELNS0_4arch9wavefront6targetE0EEEvT1_.uses_flat_scratch, 0
	.set _ZN7rocprim17ROCPRIM_400000_NS6detail17trampoline_kernelINS0_14default_configENS1_25partition_config_selectorILNS1_17partition_subalgoE8ElNS0_10empty_typeEbEEZZNS1_14partition_implILS5_8ELb0ES3_jPlPS6_PKS6_NS0_5tupleIJS9_S6_EEENSD_IJSA_SA_EEENS0_18inequality_wrapperIZN2at6native12_GLOBAL__N_124unique_dim_cuda_templateIaEESt5tupleIJNSH_6TensorESM_SM_EERKSM_lbbbEUlllE0_EEPmJS6_EEE10hipError_tPvRmT3_T4_T5_T6_T7_T9_mT8_P12ihipStream_tbDpT10_ENKUlT_T0_E_clISt17integral_constantIbLb1EES1B_IbLb0EEEEDaS17_S18_EUlS17_E_NS1_11comp_targetILNS1_3genE10ELNS1_11target_archE1200ELNS1_3gpuE4ELNS1_3repE0EEENS1_30default_config_static_selectorELNS0_4arch9wavefront6targetE0EEEvT1_.has_dyn_sized_stack, 0
	.set _ZN7rocprim17ROCPRIM_400000_NS6detail17trampoline_kernelINS0_14default_configENS1_25partition_config_selectorILNS1_17partition_subalgoE8ElNS0_10empty_typeEbEEZZNS1_14partition_implILS5_8ELb0ES3_jPlPS6_PKS6_NS0_5tupleIJS9_S6_EEENSD_IJSA_SA_EEENS0_18inequality_wrapperIZN2at6native12_GLOBAL__N_124unique_dim_cuda_templateIaEESt5tupleIJNSH_6TensorESM_SM_EERKSM_lbbbEUlllE0_EEPmJS6_EEE10hipError_tPvRmT3_T4_T5_T6_T7_T9_mT8_P12ihipStream_tbDpT10_ENKUlT_T0_E_clISt17integral_constantIbLb1EES1B_IbLb0EEEEDaS17_S18_EUlS17_E_NS1_11comp_targetILNS1_3genE10ELNS1_11target_archE1200ELNS1_3gpuE4ELNS1_3repE0EEENS1_30default_config_static_selectorELNS0_4arch9wavefront6targetE0EEEvT1_.has_recursion, 0
	.set _ZN7rocprim17ROCPRIM_400000_NS6detail17trampoline_kernelINS0_14default_configENS1_25partition_config_selectorILNS1_17partition_subalgoE8ElNS0_10empty_typeEbEEZZNS1_14partition_implILS5_8ELb0ES3_jPlPS6_PKS6_NS0_5tupleIJS9_S6_EEENSD_IJSA_SA_EEENS0_18inequality_wrapperIZN2at6native12_GLOBAL__N_124unique_dim_cuda_templateIaEESt5tupleIJNSH_6TensorESM_SM_EERKSM_lbbbEUlllE0_EEPmJS6_EEE10hipError_tPvRmT3_T4_T5_T6_T7_T9_mT8_P12ihipStream_tbDpT10_ENKUlT_T0_E_clISt17integral_constantIbLb1EES1B_IbLb0EEEEDaS17_S18_EUlS17_E_NS1_11comp_targetILNS1_3genE10ELNS1_11target_archE1200ELNS1_3gpuE4ELNS1_3repE0EEENS1_30default_config_static_selectorELNS0_4arch9wavefront6targetE0EEEvT1_.has_indirect_call, 0
	.section	.AMDGPU.csdata,"",@progbits
; Kernel info:
; codeLenInByte = 0
; TotalNumSgprs: 0
; NumVgprs: 0
; ScratchSize: 0
; MemoryBound: 0
; FloatMode: 240
; IeeeMode: 1
; LDSByteSize: 0 bytes/workgroup (compile time only)
; SGPRBlocks: 0
; VGPRBlocks: 0
; NumSGPRsForWavesPerEU: 1
; NumVGPRsForWavesPerEU: 1
; NamedBarCnt: 0
; Occupancy: 16
; WaveLimiterHint : 0
; COMPUTE_PGM_RSRC2:SCRATCH_EN: 0
; COMPUTE_PGM_RSRC2:USER_SGPR: 2
; COMPUTE_PGM_RSRC2:TRAP_HANDLER: 0
; COMPUTE_PGM_RSRC2:TGID_X_EN: 1
; COMPUTE_PGM_RSRC2:TGID_Y_EN: 0
; COMPUTE_PGM_RSRC2:TGID_Z_EN: 0
; COMPUTE_PGM_RSRC2:TIDIG_COMP_CNT: 0
	.section	.text._ZN7rocprim17ROCPRIM_400000_NS6detail17trampoline_kernelINS0_14default_configENS1_25partition_config_selectorILNS1_17partition_subalgoE8ElNS0_10empty_typeEbEEZZNS1_14partition_implILS5_8ELb0ES3_jPlPS6_PKS6_NS0_5tupleIJS9_S6_EEENSD_IJSA_SA_EEENS0_18inequality_wrapperIZN2at6native12_GLOBAL__N_124unique_dim_cuda_templateIaEESt5tupleIJNSH_6TensorESM_SM_EERKSM_lbbbEUlllE0_EEPmJS6_EEE10hipError_tPvRmT3_T4_T5_T6_T7_T9_mT8_P12ihipStream_tbDpT10_ENKUlT_T0_E_clISt17integral_constantIbLb1EES1B_IbLb0EEEEDaS17_S18_EUlS17_E_NS1_11comp_targetILNS1_3genE9ELNS1_11target_archE1100ELNS1_3gpuE3ELNS1_3repE0EEENS1_30default_config_static_selectorELNS0_4arch9wavefront6targetE0EEEvT1_,"axG",@progbits,_ZN7rocprim17ROCPRIM_400000_NS6detail17trampoline_kernelINS0_14default_configENS1_25partition_config_selectorILNS1_17partition_subalgoE8ElNS0_10empty_typeEbEEZZNS1_14partition_implILS5_8ELb0ES3_jPlPS6_PKS6_NS0_5tupleIJS9_S6_EEENSD_IJSA_SA_EEENS0_18inequality_wrapperIZN2at6native12_GLOBAL__N_124unique_dim_cuda_templateIaEESt5tupleIJNSH_6TensorESM_SM_EERKSM_lbbbEUlllE0_EEPmJS6_EEE10hipError_tPvRmT3_T4_T5_T6_T7_T9_mT8_P12ihipStream_tbDpT10_ENKUlT_T0_E_clISt17integral_constantIbLb1EES1B_IbLb0EEEEDaS17_S18_EUlS17_E_NS1_11comp_targetILNS1_3genE9ELNS1_11target_archE1100ELNS1_3gpuE3ELNS1_3repE0EEENS1_30default_config_static_selectorELNS0_4arch9wavefront6targetE0EEEvT1_,comdat
	.globl	_ZN7rocprim17ROCPRIM_400000_NS6detail17trampoline_kernelINS0_14default_configENS1_25partition_config_selectorILNS1_17partition_subalgoE8ElNS0_10empty_typeEbEEZZNS1_14partition_implILS5_8ELb0ES3_jPlPS6_PKS6_NS0_5tupleIJS9_S6_EEENSD_IJSA_SA_EEENS0_18inequality_wrapperIZN2at6native12_GLOBAL__N_124unique_dim_cuda_templateIaEESt5tupleIJNSH_6TensorESM_SM_EERKSM_lbbbEUlllE0_EEPmJS6_EEE10hipError_tPvRmT3_T4_T5_T6_T7_T9_mT8_P12ihipStream_tbDpT10_ENKUlT_T0_E_clISt17integral_constantIbLb1EES1B_IbLb0EEEEDaS17_S18_EUlS17_E_NS1_11comp_targetILNS1_3genE9ELNS1_11target_archE1100ELNS1_3gpuE3ELNS1_3repE0EEENS1_30default_config_static_selectorELNS0_4arch9wavefront6targetE0EEEvT1_ ; -- Begin function _ZN7rocprim17ROCPRIM_400000_NS6detail17trampoline_kernelINS0_14default_configENS1_25partition_config_selectorILNS1_17partition_subalgoE8ElNS0_10empty_typeEbEEZZNS1_14partition_implILS5_8ELb0ES3_jPlPS6_PKS6_NS0_5tupleIJS9_S6_EEENSD_IJSA_SA_EEENS0_18inequality_wrapperIZN2at6native12_GLOBAL__N_124unique_dim_cuda_templateIaEESt5tupleIJNSH_6TensorESM_SM_EERKSM_lbbbEUlllE0_EEPmJS6_EEE10hipError_tPvRmT3_T4_T5_T6_T7_T9_mT8_P12ihipStream_tbDpT10_ENKUlT_T0_E_clISt17integral_constantIbLb1EES1B_IbLb0EEEEDaS17_S18_EUlS17_E_NS1_11comp_targetILNS1_3genE9ELNS1_11target_archE1100ELNS1_3gpuE3ELNS1_3repE0EEENS1_30default_config_static_selectorELNS0_4arch9wavefront6targetE0EEEvT1_
	.p2align	8
	.type	_ZN7rocprim17ROCPRIM_400000_NS6detail17trampoline_kernelINS0_14default_configENS1_25partition_config_selectorILNS1_17partition_subalgoE8ElNS0_10empty_typeEbEEZZNS1_14partition_implILS5_8ELb0ES3_jPlPS6_PKS6_NS0_5tupleIJS9_S6_EEENSD_IJSA_SA_EEENS0_18inequality_wrapperIZN2at6native12_GLOBAL__N_124unique_dim_cuda_templateIaEESt5tupleIJNSH_6TensorESM_SM_EERKSM_lbbbEUlllE0_EEPmJS6_EEE10hipError_tPvRmT3_T4_T5_T6_T7_T9_mT8_P12ihipStream_tbDpT10_ENKUlT_T0_E_clISt17integral_constantIbLb1EES1B_IbLb0EEEEDaS17_S18_EUlS17_E_NS1_11comp_targetILNS1_3genE9ELNS1_11target_archE1100ELNS1_3gpuE3ELNS1_3repE0EEENS1_30default_config_static_selectorELNS0_4arch9wavefront6targetE0EEEvT1_,@function
_ZN7rocprim17ROCPRIM_400000_NS6detail17trampoline_kernelINS0_14default_configENS1_25partition_config_selectorILNS1_17partition_subalgoE8ElNS0_10empty_typeEbEEZZNS1_14partition_implILS5_8ELb0ES3_jPlPS6_PKS6_NS0_5tupleIJS9_S6_EEENSD_IJSA_SA_EEENS0_18inequality_wrapperIZN2at6native12_GLOBAL__N_124unique_dim_cuda_templateIaEESt5tupleIJNSH_6TensorESM_SM_EERKSM_lbbbEUlllE0_EEPmJS6_EEE10hipError_tPvRmT3_T4_T5_T6_T7_T9_mT8_P12ihipStream_tbDpT10_ENKUlT_T0_E_clISt17integral_constantIbLb1EES1B_IbLb0EEEEDaS17_S18_EUlS17_E_NS1_11comp_targetILNS1_3genE9ELNS1_11target_archE1100ELNS1_3gpuE3ELNS1_3repE0EEENS1_30default_config_static_selectorELNS0_4arch9wavefront6targetE0EEEvT1_: ; @_ZN7rocprim17ROCPRIM_400000_NS6detail17trampoline_kernelINS0_14default_configENS1_25partition_config_selectorILNS1_17partition_subalgoE8ElNS0_10empty_typeEbEEZZNS1_14partition_implILS5_8ELb0ES3_jPlPS6_PKS6_NS0_5tupleIJS9_S6_EEENSD_IJSA_SA_EEENS0_18inequality_wrapperIZN2at6native12_GLOBAL__N_124unique_dim_cuda_templateIaEESt5tupleIJNSH_6TensorESM_SM_EERKSM_lbbbEUlllE0_EEPmJS6_EEE10hipError_tPvRmT3_T4_T5_T6_T7_T9_mT8_P12ihipStream_tbDpT10_ENKUlT_T0_E_clISt17integral_constantIbLb1EES1B_IbLb0EEEEDaS17_S18_EUlS17_E_NS1_11comp_targetILNS1_3genE9ELNS1_11target_archE1100ELNS1_3gpuE3ELNS1_3repE0EEENS1_30default_config_static_selectorELNS0_4arch9wavefront6targetE0EEEvT1_
; %bb.0:
	.section	.rodata,"a",@progbits
	.p2align	6, 0x0
	.amdhsa_kernel _ZN7rocprim17ROCPRIM_400000_NS6detail17trampoline_kernelINS0_14default_configENS1_25partition_config_selectorILNS1_17partition_subalgoE8ElNS0_10empty_typeEbEEZZNS1_14partition_implILS5_8ELb0ES3_jPlPS6_PKS6_NS0_5tupleIJS9_S6_EEENSD_IJSA_SA_EEENS0_18inequality_wrapperIZN2at6native12_GLOBAL__N_124unique_dim_cuda_templateIaEESt5tupleIJNSH_6TensorESM_SM_EERKSM_lbbbEUlllE0_EEPmJS6_EEE10hipError_tPvRmT3_T4_T5_T6_T7_T9_mT8_P12ihipStream_tbDpT10_ENKUlT_T0_E_clISt17integral_constantIbLb1EES1B_IbLb0EEEEDaS17_S18_EUlS17_E_NS1_11comp_targetILNS1_3genE9ELNS1_11target_archE1100ELNS1_3gpuE3ELNS1_3repE0EEENS1_30default_config_static_selectorELNS0_4arch9wavefront6targetE0EEEvT1_
		.amdhsa_group_segment_fixed_size 0
		.amdhsa_private_segment_fixed_size 0
		.amdhsa_kernarg_size 120
		.amdhsa_user_sgpr_count 2
		.amdhsa_user_sgpr_dispatch_ptr 0
		.amdhsa_user_sgpr_queue_ptr 0
		.amdhsa_user_sgpr_kernarg_segment_ptr 1
		.amdhsa_user_sgpr_dispatch_id 0
		.amdhsa_user_sgpr_kernarg_preload_length 0
		.amdhsa_user_sgpr_kernarg_preload_offset 0
		.amdhsa_user_sgpr_private_segment_size 0
		.amdhsa_wavefront_size32 1
		.amdhsa_uses_dynamic_stack 0
		.amdhsa_enable_private_segment 0
		.amdhsa_system_sgpr_workgroup_id_x 1
		.amdhsa_system_sgpr_workgroup_id_y 0
		.amdhsa_system_sgpr_workgroup_id_z 0
		.amdhsa_system_sgpr_workgroup_info 0
		.amdhsa_system_vgpr_workitem_id 0
		.amdhsa_next_free_vgpr 1
		.amdhsa_next_free_sgpr 1
		.amdhsa_named_barrier_count 0
		.amdhsa_reserve_vcc 0
		.amdhsa_float_round_mode_32 0
		.amdhsa_float_round_mode_16_64 0
		.amdhsa_float_denorm_mode_32 3
		.amdhsa_float_denorm_mode_16_64 3
		.amdhsa_fp16_overflow 0
		.amdhsa_memory_ordered 1
		.amdhsa_forward_progress 1
		.amdhsa_inst_pref_size 0
		.amdhsa_round_robin_scheduling 0
		.amdhsa_exception_fp_ieee_invalid_op 0
		.amdhsa_exception_fp_denorm_src 0
		.amdhsa_exception_fp_ieee_div_zero 0
		.amdhsa_exception_fp_ieee_overflow 0
		.amdhsa_exception_fp_ieee_underflow 0
		.amdhsa_exception_fp_ieee_inexact 0
		.amdhsa_exception_int_div_zero 0
	.end_amdhsa_kernel
	.section	.text._ZN7rocprim17ROCPRIM_400000_NS6detail17trampoline_kernelINS0_14default_configENS1_25partition_config_selectorILNS1_17partition_subalgoE8ElNS0_10empty_typeEbEEZZNS1_14partition_implILS5_8ELb0ES3_jPlPS6_PKS6_NS0_5tupleIJS9_S6_EEENSD_IJSA_SA_EEENS0_18inequality_wrapperIZN2at6native12_GLOBAL__N_124unique_dim_cuda_templateIaEESt5tupleIJNSH_6TensorESM_SM_EERKSM_lbbbEUlllE0_EEPmJS6_EEE10hipError_tPvRmT3_T4_T5_T6_T7_T9_mT8_P12ihipStream_tbDpT10_ENKUlT_T0_E_clISt17integral_constantIbLb1EES1B_IbLb0EEEEDaS17_S18_EUlS17_E_NS1_11comp_targetILNS1_3genE9ELNS1_11target_archE1100ELNS1_3gpuE3ELNS1_3repE0EEENS1_30default_config_static_selectorELNS0_4arch9wavefront6targetE0EEEvT1_,"axG",@progbits,_ZN7rocprim17ROCPRIM_400000_NS6detail17trampoline_kernelINS0_14default_configENS1_25partition_config_selectorILNS1_17partition_subalgoE8ElNS0_10empty_typeEbEEZZNS1_14partition_implILS5_8ELb0ES3_jPlPS6_PKS6_NS0_5tupleIJS9_S6_EEENSD_IJSA_SA_EEENS0_18inequality_wrapperIZN2at6native12_GLOBAL__N_124unique_dim_cuda_templateIaEESt5tupleIJNSH_6TensorESM_SM_EERKSM_lbbbEUlllE0_EEPmJS6_EEE10hipError_tPvRmT3_T4_T5_T6_T7_T9_mT8_P12ihipStream_tbDpT10_ENKUlT_T0_E_clISt17integral_constantIbLb1EES1B_IbLb0EEEEDaS17_S18_EUlS17_E_NS1_11comp_targetILNS1_3genE9ELNS1_11target_archE1100ELNS1_3gpuE3ELNS1_3repE0EEENS1_30default_config_static_selectorELNS0_4arch9wavefront6targetE0EEEvT1_,comdat
.Lfunc_end341:
	.size	_ZN7rocprim17ROCPRIM_400000_NS6detail17trampoline_kernelINS0_14default_configENS1_25partition_config_selectorILNS1_17partition_subalgoE8ElNS0_10empty_typeEbEEZZNS1_14partition_implILS5_8ELb0ES3_jPlPS6_PKS6_NS0_5tupleIJS9_S6_EEENSD_IJSA_SA_EEENS0_18inequality_wrapperIZN2at6native12_GLOBAL__N_124unique_dim_cuda_templateIaEESt5tupleIJNSH_6TensorESM_SM_EERKSM_lbbbEUlllE0_EEPmJS6_EEE10hipError_tPvRmT3_T4_T5_T6_T7_T9_mT8_P12ihipStream_tbDpT10_ENKUlT_T0_E_clISt17integral_constantIbLb1EES1B_IbLb0EEEEDaS17_S18_EUlS17_E_NS1_11comp_targetILNS1_3genE9ELNS1_11target_archE1100ELNS1_3gpuE3ELNS1_3repE0EEENS1_30default_config_static_selectorELNS0_4arch9wavefront6targetE0EEEvT1_, .Lfunc_end341-_ZN7rocprim17ROCPRIM_400000_NS6detail17trampoline_kernelINS0_14default_configENS1_25partition_config_selectorILNS1_17partition_subalgoE8ElNS0_10empty_typeEbEEZZNS1_14partition_implILS5_8ELb0ES3_jPlPS6_PKS6_NS0_5tupleIJS9_S6_EEENSD_IJSA_SA_EEENS0_18inequality_wrapperIZN2at6native12_GLOBAL__N_124unique_dim_cuda_templateIaEESt5tupleIJNSH_6TensorESM_SM_EERKSM_lbbbEUlllE0_EEPmJS6_EEE10hipError_tPvRmT3_T4_T5_T6_T7_T9_mT8_P12ihipStream_tbDpT10_ENKUlT_T0_E_clISt17integral_constantIbLb1EES1B_IbLb0EEEEDaS17_S18_EUlS17_E_NS1_11comp_targetILNS1_3genE9ELNS1_11target_archE1100ELNS1_3gpuE3ELNS1_3repE0EEENS1_30default_config_static_selectorELNS0_4arch9wavefront6targetE0EEEvT1_
                                        ; -- End function
	.set _ZN7rocprim17ROCPRIM_400000_NS6detail17trampoline_kernelINS0_14default_configENS1_25partition_config_selectorILNS1_17partition_subalgoE8ElNS0_10empty_typeEbEEZZNS1_14partition_implILS5_8ELb0ES3_jPlPS6_PKS6_NS0_5tupleIJS9_S6_EEENSD_IJSA_SA_EEENS0_18inequality_wrapperIZN2at6native12_GLOBAL__N_124unique_dim_cuda_templateIaEESt5tupleIJNSH_6TensorESM_SM_EERKSM_lbbbEUlllE0_EEPmJS6_EEE10hipError_tPvRmT3_T4_T5_T6_T7_T9_mT8_P12ihipStream_tbDpT10_ENKUlT_T0_E_clISt17integral_constantIbLb1EES1B_IbLb0EEEEDaS17_S18_EUlS17_E_NS1_11comp_targetILNS1_3genE9ELNS1_11target_archE1100ELNS1_3gpuE3ELNS1_3repE0EEENS1_30default_config_static_selectorELNS0_4arch9wavefront6targetE0EEEvT1_.num_vgpr, 0
	.set _ZN7rocprim17ROCPRIM_400000_NS6detail17trampoline_kernelINS0_14default_configENS1_25partition_config_selectorILNS1_17partition_subalgoE8ElNS0_10empty_typeEbEEZZNS1_14partition_implILS5_8ELb0ES3_jPlPS6_PKS6_NS0_5tupleIJS9_S6_EEENSD_IJSA_SA_EEENS0_18inequality_wrapperIZN2at6native12_GLOBAL__N_124unique_dim_cuda_templateIaEESt5tupleIJNSH_6TensorESM_SM_EERKSM_lbbbEUlllE0_EEPmJS6_EEE10hipError_tPvRmT3_T4_T5_T6_T7_T9_mT8_P12ihipStream_tbDpT10_ENKUlT_T0_E_clISt17integral_constantIbLb1EES1B_IbLb0EEEEDaS17_S18_EUlS17_E_NS1_11comp_targetILNS1_3genE9ELNS1_11target_archE1100ELNS1_3gpuE3ELNS1_3repE0EEENS1_30default_config_static_selectorELNS0_4arch9wavefront6targetE0EEEvT1_.num_agpr, 0
	.set _ZN7rocprim17ROCPRIM_400000_NS6detail17trampoline_kernelINS0_14default_configENS1_25partition_config_selectorILNS1_17partition_subalgoE8ElNS0_10empty_typeEbEEZZNS1_14partition_implILS5_8ELb0ES3_jPlPS6_PKS6_NS0_5tupleIJS9_S6_EEENSD_IJSA_SA_EEENS0_18inequality_wrapperIZN2at6native12_GLOBAL__N_124unique_dim_cuda_templateIaEESt5tupleIJNSH_6TensorESM_SM_EERKSM_lbbbEUlllE0_EEPmJS6_EEE10hipError_tPvRmT3_T4_T5_T6_T7_T9_mT8_P12ihipStream_tbDpT10_ENKUlT_T0_E_clISt17integral_constantIbLb1EES1B_IbLb0EEEEDaS17_S18_EUlS17_E_NS1_11comp_targetILNS1_3genE9ELNS1_11target_archE1100ELNS1_3gpuE3ELNS1_3repE0EEENS1_30default_config_static_selectorELNS0_4arch9wavefront6targetE0EEEvT1_.numbered_sgpr, 0
	.set _ZN7rocprim17ROCPRIM_400000_NS6detail17trampoline_kernelINS0_14default_configENS1_25partition_config_selectorILNS1_17partition_subalgoE8ElNS0_10empty_typeEbEEZZNS1_14partition_implILS5_8ELb0ES3_jPlPS6_PKS6_NS0_5tupleIJS9_S6_EEENSD_IJSA_SA_EEENS0_18inequality_wrapperIZN2at6native12_GLOBAL__N_124unique_dim_cuda_templateIaEESt5tupleIJNSH_6TensorESM_SM_EERKSM_lbbbEUlllE0_EEPmJS6_EEE10hipError_tPvRmT3_T4_T5_T6_T7_T9_mT8_P12ihipStream_tbDpT10_ENKUlT_T0_E_clISt17integral_constantIbLb1EES1B_IbLb0EEEEDaS17_S18_EUlS17_E_NS1_11comp_targetILNS1_3genE9ELNS1_11target_archE1100ELNS1_3gpuE3ELNS1_3repE0EEENS1_30default_config_static_selectorELNS0_4arch9wavefront6targetE0EEEvT1_.num_named_barrier, 0
	.set _ZN7rocprim17ROCPRIM_400000_NS6detail17trampoline_kernelINS0_14default_configENS1_25partition_config_selectorILNS1_17partition_subalgoE8ElNS0_10empty_typeEbEEZZNS1_14partition_implILS5_8ELb0ES3_jPlPS6_PKS6_NS0_5tupleIJS9_S6_EEENSD_IJSA_SA_EEENS0_18inequality_wrapperIZN2at6native12_GLOBAL__N_124unique_dim_cuda_templateIaEESt5tupleIJNSH_6TensorESM_SM_EERKSM_lbbbEUlllE0_EEPmJS6_EEE10hipError_tPvRmT3_T4_T5_T6_T7_T9_mT8_P12ihipStream_tbDpT10_ENKUlT_T0_E_clISt17integral_constantIbLb1EES1B_IbLb0EEEEDaS17_S18_EUlS17_E_NS1_11comp_targetILNS1_3genE9ELNS1_11target_archE1100ELNS1_3gpuE3ELNS1_3repE0EEENS1_30default_config_static_selectorELNS0_4arch9wavefront6targetE0EEEvT1_.private_seg_size, 0
	.set _ZN7rocprim17ROCPRIM_400000_NS6detail17trampoline_kernelINS0_14default_configENS1_25partition_config_selectorILNS1_17partition_subalgoE8ElNS0_10empty_typeEbEEZZNS1_14partition_implILS5_8ELb0ES3_jPlPS6_PKS6_NS0_5tupleIJS9_S6_EEENSD_IJSA_SA_EEENS0_18inequality_wrapperIZN2at6native12_GLOBAL__N_124unique_dim_cuda_templateIaEESt5tupleIJNSH_6TensorESM_SM_EERKSM_lbbbEUlllE0_EEPmJS6_EEE10hipError_tPvRmT3_T4_T5_T6_T7_T9_mT8_P12ihipStream_tbDpT10_ENKUlT_T0_E_clISt17integral_constantIbLb1EES1B_IbLb0EEEEDaS17_S18_EUlS17_E_NS1_11comp_targetILNS1_3genE9ELNS1_11target_archE1100ELNS1_3gpuE3ELNS1_3repE0EEENS1_30default_config_static_selectorELNS0_4arch9wavefront6targetE0EEEvT1_.uses_vcc, 0
	.set _ZN7rocprim17ROCPRIM_400000_NS6detail17trampoline_kernelINS0_14default_configENS1_25partition_config_selectorILNS1_17partition_subalgoE8ElNS0_10empty_typeEbEEZZNS1_14partition_implILS5_8ELb0ES3_jPlPS6_PKS6_NS0_5tupleIJS9_S6_EEENSD_IJSA_SA_EEENS0_18inequality_wrapperIZN2at6native12_GLOBAL__N_124unique_dim_cuda_templateIaEESt5tupleIJNSH_6TensorESM_SM_EERKSM_lbbbEUlllE0_EEPmJS6_EEE10hipError_tPvRmT3_T4_T5_T6_T7_T9_mT8_P12ihipStream_tbDpT10_ENKUlT_T0_E_clISt17integral_constantIbLb1EES1B_IbLb0EEEEDaS17_S18_EUlS17_E_NS1_11comp_targetILNS1_3genE9ELNS1_11target_archE1100ELNS1_3gpuE3ELNS1_3repE0EEENS1_30default_config_static_selectorELNS0_4arch9wavefront6targetE0EEEvT1_.uses_flat_scratch, 0
	.set _ZN7rocprim17ROCPRIM_400000_NS6detail17trampoline_kernelINS0_14default_configENS1_25partition_config_selectorILNS1_17partition_subalgoE8ElNS0_10empty_typeEbEEZZNS1_14partition_implILS5_8ELb0ES3_jPlPS6_PKS6_NS0_5tupleIJS9_S6_EEENSD_IJSA_SA_EEENS0_18inequality_wrapperIZN2at6native12_GLOBAL__N_124unique_dim_cuda_templateIaEESt5tupleIJNSH_6TensorESM_SM_EERKSM_lbbbEUlllE0_EEPmJS6_EEE10hipError_tPvRmT3_T4_T5_T6_T7_T9_mT8_P12ihipStream_tbDpT10_ENKUlT_T0_E_clISt17integral_constantIbLb1EES1B_IbLb0EEEEDaS17_S18_EUlS17_E_NS1_11comp_targetILNS1_3genE9ELNS1_11target_archE1100ELNS1_3gpuE3ELNS1_3repE0EEENS1_30default_config_static_selectorELNS0_4arch9wavefront6targetE0EEEvT1_.has_dyn_sized_stack, 0
	.set _ZN7rocprim17ROCPRIM_400000_NS6detail17trampoline_kernelINS0_14default_configENS1_25partition_config_selectorILNS1_17partition_subalgoE8ElNS0_10empty_typeEbEEZZNS1_14partition_implILS5_8ELb0ES3_jPlPS6_PKS6_NS0_5tupleIJS9_S6_EEENSD_IJSA_SA_EEENS0_18inequality_wrapperIZN2at6native12_GLOBAL__N_124unique_dim_cuda_templateIaEESt5tupleIJNSH_6TensorESM_SM_EERKSM_lbbbEUlllE0_EEPmJS6_EEE10hipError_tPvRmT3_T4_T5_T6_T7_T9_mT8_P12ihipStream_tbDpT10_ENKUlT_T0_E_clISt17integral_constantIbLb1EES1B_IbLb0EEEEDaS17_S18_EUlS17_E_NS1_11comp_targetILNS1_3genE9ELNS1_11target_archE1100ELNS1_3gpuE3ELNS1_3repE0EEENS1_30default_config_static_selectorELNS0_4arch9wavefront6targetE0EEEvT1_.has_recursion, 0
	.set _ZN7rocprim17ROCPRIM_400000_NS6detail17trampoline_kernelINS0_14default_configENS1_25partition_config_selectorILNS1_17partition_subalgoE8ElNS0_10empty_typeEbEEZZNS1_14partition_implILS5_8ELb0ES3_jPlPS6_PKS6_NS0_5tupleIJS9_S6_EEENSD_IJSA_SA_EEENS0_18inequality_wrapperIZN2at6native12_GLOBAL__N_124unique_dim_cuda_templateIaEESt5tupleIJNSH_6TensorESM_SM_EERKSM_lbbbEUlllE0_EEPmJS6_EEE10hipError_tPvRmT3_T4_T5_T6_T7_T9_mT8_P12ihipStream_tbDpT10_ENKUlT_T0_E_clISt17integral_constantIbLb1EES1B_IbLb0EEEEDaS17_S18_EUlS17_E_NS1_11comp_targetILNS1_3genE9ELNS1_11target_archE1100ELNS1_3gpuE3ELNS1_3repE0EEENS1_30default_config_static_selectorELNS0_4arch9wavefront6targetE0EEEvT1_.has_indirect_call, 0
	.section	.AMDGPU.csdata,"",@progbits
; Kernel info:
; codeLenInByte = 0
; TotalNumSgprs: 0
; NumVgprs: 0
; ScratchSize: 0
; MemoryBound: 0
; FloatMode: 240
; IeeeMode: 1
; LDSByteSize: 0 bytes/workgroup (compile time only)
; SGPRBlocks: 0
; VGPRBlocks: 0
; NumSGPRsForWavesPerEU: 1
; NumVGPRsForWavesPerEU: 1
; NamedBarCnt: 0
; Occupancy: 16
; WaveLimiterHint : 0
; COMPUTE_PGM_RSRC2:SCRATCH_EN: 0
; COMPUTE_PGM_RSRC2:USER_SGPR: 2
; COMPUTE_PGM_RSRC2:TRAP_HANDLER: 0
; COMPUTE_PGM_RSRC2:TGID_X_EN: 1
; COMPUTE_PGM_RSRC2:TGID_Y_EN: 0
; COMPUTE_PGM_RSRC2:TGID_Z_EN: 0
; COMPUTE_PGM_RSRC2:TIDIG_COMP_CNT: 0
	.section	.text._ZN7rocprim17ROCPRIM_400000_NS6detail17trampoline_kernelINS0_14default_configENS1_25partition_config_selectorILNS1_17partition_subalgoE8ElNS0_10empty_typeEbEEZZNS1_14partition_implILS5_8ELb0ES3_jPlPS6_PKS6_NS0_5tupleIJS9_S6_EEENSD_IJSA_SA_EEENS0_18inequality_wrapperIZN2at6native12_GLOBAL__N_124unique_dim_cuda_templateIaEESt5tupleIJNSH_6TensorESM_SM_EERKSM_lbbbEUlllE0_EEPmJS6_EEE10hipError_tPvRmT3_T4_T5_T6_T7_T9_mT8_P12ihipStream_tbDpT10_ENKUlT_T0_E_clISt17integral_constantIbLb1EES1B_IbLb0EEEEDaS17_S18_EUlS17_E_NS1_11comp_targetILNS1_3genE8ELNS1_11target_archE1030ELNS1_3gpuE2ELNS1_3repE0EEENS1_30default_config_static_selectorELNS0_4arch9wavefront6targetE0EEEvT1_,"axG",@progbits,_ZN7rocprim17ROCPRIM_400000_NS6detail17trampoline_kernelINS0_14default_configENS1_25partition_config_selectorILNS1_17partition_subalgoE8ElNS0_10empty_typeEbEEZZNS1_14partition_implILS5_8ELb0ES3_jPlPS6_PKS6_NS0_5tupleIJS9_S6_EEENSD_IJSA_SA_EEENS0_18inequality_wrapperIZN2at6native12_GLOBAL__N_124unique_dim_cuda_templateIaEESt5tupleIJNSH_6TensorESM_SM_EERKSM_lbbbEUlllE0_EEPmJS6_EEE10hipError_tPvRmT3_T4_T5_T6_T7_T9_mT8_P12ihipStream_tbDpT10_ENKUlT_T0_E_clISt17integral_constantIbLb1EES1B_IbLb0EEEEDaS17_S18_EUlS17_E_NS1_11comp_targetILNS1_3genE8ELNS1_11target_archE1030ELNS1_3gpuE2ELNS1_3repE0EEENS1_30default_config_static_selectorELNS0_4arch9wavefront6targetE0EEEvT1_,comdat
	.globl	_ZN7rocprim17ROCPRIM_400000_NS6detail17trampoline_kernelINS0_14default_configENS1_25partition_config_selectorILNS1_17partition_subalgoE8ElNS0_10empty_typeEbEEZZNS1_14partition_implILS5_8ELb0ES3_jPlPS6_PKS6_NS0_5tupleIJS9_S6_EEENSD_IJSA_SA_EEENS0_18inequality_wrapperIZN2at6native12_GLOBAL__N_124unique_dim_cuda_templateIaEESt5tupleIJNSH_6TensorESM_SM_EERKSM_lbbbEUlllE0_EEPmJS6_EEE10hipError_tPvRmT3_T4_T5_T6_T7_T9_mT8_P12ihipStream_tbDpT10_ENKUlT_T0_E_clISt17integral_constantIbLb1EES1B_IbLb0EEEEDaS17_S18_EUlS17_E_NS1_11comp_targetILNS1_3genE8ELNS1_11target_archE1030ELNS1_3gpuE2ELNS1_3repE0EEENS1_30default_config_static_selectorELNS0_4arch9wavefront6targetE0EEEvT1_ ; -- Begin function _ZN7rocprim17ROCPRIM_400000_NS6detail17trampoline_kernelINS0_14default_configENS1_25partition_config_selectorILNS1_17partition_subalgoE8ElNS0_10empty_typeEbEEZZNS1_14partition_implILS5_8ELb0ES3_jPlPS6_PKS6_NS0_5tupleIJS9_S6_EEENSD_IJSA_SA_EEENS0_18inequality_wrapperIZN2at6native12_GLOBAL__N_124unique_dim_cuda_templateIaEESt5tupleIJNSH_6TensorESM_SM_EERKSM_lbbbEUlllE0_EEPmJS6_EEE10hipError_tPvRmT3_T4_T5_T6_T7_T9_mT8_P12ihipStream_tbDpT10_ENKUlT_T0_E_clISt17integral_constantIbLb1EES1B_IbLb0EEEEDaS17_S18_EUlS17_E_NS1_11comp_targetILNS1_3genE8ELNS1_11target_archE1030ELNS1_3gpuE2ELNS1_3repE0EEENS1_30default_config_static_selectorELNS0_4arch9wavefront6targetE0EEEvT1_
	.p2align	8
	.type	_ZN7rocprim17ROCPRIM_400000_NS6detail17trampoline_kernelINS0_14default_configENS1_25partition_config_selectorILNS1_17partition_subalgoE8ElNS0_10empty_typeEbEEZZNS1_14partition_implILS5_8ELb0ES3_jPlPS6_PKS6_NS0_5tupleIJS9_S6_EEENSD_IJSA_SA_EEENS0_18inequality_wrapperIZN2at6native12_GLOBAL__N_124unique_dim_cuda_templateIaEESt5tupleIJNSH_6TensorESM_SM_EERKSM_lbbbEUlllE0_EEPmJS6_EEE10hipError_tPvRmT3_T4_T5_T6_T7_T9_mT8_P12ihipStream_tbDpT10_ENKUlT_T0_E_clISt17integral_constantIbLb1EES1B_IbLb0EEEEDaS17_S18_EUlS17_E_NS1_11comp_targetILNS1_3genE8ELNS1_11target_archE1030ELNS1_3gpuE2ELNS1_3repE0EEENS1_30default_config_static_selectorELNS0_4arch9wavefront6targetE0EEEvT1_,@function
_ZN7rocprim17ROCPRIM_400000_NS6detail17trampoline_kernelINS0_14default_configENS1_25partition_config_selectorILNS1_17partition_subalgoE8ElNS0_10empty_typeEbEEZZNS1_14partition_implILS5_8ELb0ES3_jPlPS6_PKS6_NS0_5tupleIJS9_S6_EEENSD_IJSA_SA_EEENS0_18inequality_wrapperIZN2at6native12_GLOBAL__N_124unique_dim_cuda_templateIaEESt5tupleIJNSH_6TensorESM_SM_EERKSM_lbbbEUlllE0_EEPmJS6_EEE10hipError_tPvRmT3_T4_T5_T6_T7_T9_mT8_P12ihipStream_tbDpT10_ENKUlT_T0_E_clISt17integral_constantIbLb1EES1B_IbLb0EEEEDaS17_S18_EUlS17_E_NS1_11comp_targetILNS1_3genE8ELNS1_11target_archE1030ELNS1_3gpuE2ELNS1_3repE0EEENS1_30default_config_static_selectorELNS0_4arch9wavefront6targetE0EEEvT1_: ; @_ZN7rocprim17ROCPRIM_400000_NS6detail17trampoline_kernelINS0_14default_configENS1_25partition_config_selectorILNS1_17partition_subalgoE8ElNS0_10empty_typeEbEEZZNS1_14partition_implILS5_8ELb0ES3_jPlPS6_PKS6_NS0_5tupleIJS9_S6_EEENSD_IJSA_SA_EEENS0_18inequality_wrapperIZN2at6native12_GLOBAL__N_124unique_dim_cuda_templateIaEESt5tupleIJNSH_6TensorESM_SM_EERKSM_lbbbEUlllE0_EEPmJS6_EEE10hipError_tPvRmT3_T4_T5_T6_T7_T9_mT8_P12ihipStream_tbDpT10_ENKUlT_T0_E_clISt17integral_constantIbLb1EES1B_IbLb0EEEEDaS17_S18_EUlS17_E_NS1_11comp_targetILNS1_3genE8ELNS1_11target_archE1030ELNS1_3gpuE2ELNS1_3repE0EEENS1_30default_config_static_selectorELNS0_4arch9wavefront6targetE0EEEvT1_
; %bb.0:
	.section	.rodata,"a",@progbits
	.p2align	6, 0x0
	.amdhsa_kernel _ZN7rocprim17ROCPRIM_400000_NS6detail17trampoline_kernelINS0_14default_configENS1_25partition_config_selectorILNS1_17partition_subalgoE8ElNS0_10empty_typeEbEEZZNS1_14partition_implILS5_8ELb0ES3_jPlPS6_PKS6_NS0_5tupleIJS9_S6_EEENSD_IJSA_SA_EEENS0_18inequality_wrapperIZN2at6native12_GLOBAL__N_124unique_dim_cuda_templateIaEESt5tupleIJNSH_6TensorESM_SM_EERKSM_lbbbEUlllE0_EEPmJS6_EEE10hipError_tPvRmT3_T4_T5_T6_T7_T9_mT8_P12ihipStream_tbDpT10_ENKUlT_T0_E_clISt17integral_constantIbLb1EES1B_IbLb0EEEEDaS17_S18_EUlS17_E_NS1_11comp_targetILNS1_3genE8ELNS1_11target_archE1030ELNS1_3gpuE2ELNS1_3repE0EEENS1_30default_config_static_selectorELNS0_4arch9wavefront6targetE0EEEvT1_
		.amdhsa_group_segment_fixed_size 0
		.amdhsa_private_segment_fixed_size 0
		.amdhsa_kernarg_size 120
		.amdhsa_user_sgpr_count 2
		.amdhsa_user_sgpr_dispatch_ptr 0
		.amdhsa_user_sgpr_queue_ptr 0
		.amdhsa_user_sgpr_kernarg_segment_ptr 1
		.amdhsa_user_sgpr_dispatch_id 0
		.amdhsa_user_sgpr_kernarg_preload_length 0
		.amdhsa_user_sgpr_kernarg_preload_offset 0
		.amdhsa_user_sgpr_private_segment_size 0
		.amdhsa_wavefront_size32 1
		.amdhsa_uses_dynamic_stack 0
		.amdhsa_enable_private_segment 0
		.amdhsa_system_sgpr_workgroup_id_x 1
		.amdhsa_system_sgpr_workgroup_id_y 0
		.amdhsa_system_sgpr_workgroup_id_z 0
		.amdhsa_system_sgpr_workgroup_info 0
		.amdhsa_system_vgpr_workitem_id 0
		.amdhsa_next_free_vgpr 1
		.amdhsa_next_free_sgpr 1
		.amdhsa_named_barrier_count 0
		.amdhsa_reserve_vcc 0
		.amdhsa_float_round_mode_32 0
		.amdhsa_float_round_mode_16_64 0
		.amdhsa_float_denorm_mode_32 3
		.amdhsa_float_denorm_mode_16_64 3
		.amdhsa_fp16_overflow 0
		.amdhsa_memory_ordered 1
		.amdhsa_forward_progress 1
		.amdhsa_inst_pref_size 0
		.amdhsa_round_robin_scheduling 0
		.amdhsa_exception_fp_ieee_invalid_op 0
		.amdhsa_exception_fp_denorm_src 0
		.amdhsa_exception_fp_ieee_div_zero 0
		.amdhsa_exception_fp_ieee_overflow 0
		.amdhsa_exception_fp_ieee_underflow 0
		.amdhsa_exception_fp_ieee_inexact 0
		.amdhsa_exception_int_div_zero 0
	.end_amdhsa_kernel
	.section	.text._ZN7rocprim17ROCPRIM_400000_NS6detail17trampoline_kernelINS0_14default_configENS1_25partition_config_selectorILNS1_17partition_subalgoE8ElNS0_10empty_typeEbEEZZNS1_14partition_implILS5_8ELb0ES3_jPlPS6_PKS6_NS0_5tupleIJS9_S6_EEENSD_IJSA_SA_EEENS0_18inequality_wrapperIZN2at6native12_GLOBAL__N_124unique_dim_cuda_templateIaEESt5tupleIJNSH_6TensorESM_SM_EERKSM_lbbbEUlllE0_EEPmJS6_EEE10hipError_tPvRmT3_T4_T5_T6_T7_T9_mT8_P12ihipStream_tbDpT10_ENKUlT_T0_E_clISt17integral_constantIbLb1EES1B_IbLb0EEEEDaS17_S18_EUlS17_E_NS1_11comp_targetILNS1_3genE8ELNS1_11target_archE1030ELNS1_3gpuE2ELNS1_3repE0EEENS1_30default_config_static_selectorELNS0_4arch9wavefront6targetE0EEEvT1_,"axG",@progbits,_ZN7rocprim17ROCPRIM_400000_NS6detail17trampoline_kernelINS0_14default_configENS1_25partition_config_selectorILNS1_17partition_subalgoE8ElNS0_10empty_typeEbEEZZNS1_14partition_implILS5_8ELb0ES3_jPlPS6_PKS6_NS0_5tupleIJS9_S6_EEENSD_IJSA_SA_EEENS0_18inequality_wrapperIZN2at6native12_GLOBAL__N_124unique_dim_cuda_templateIaEESt5tupleIJNSH_6TensorESM_SM_EERKSM_lbbbEUlllE0_EEPmJS6_EEE10hipError_tPvRmT3_T4_T5_T6_T7_T9_mT8_P12ihipStream_tbDpT10_ENKUlT_T0_E_clISt17integral_constantIbLb1EES1B_IbLb0EEEEDaS17_S18_EUlS17_E_NS1_11comp_targetILNS1_3genE8ELNS1_11target_archE1030ELNS1_3gpuE2ELNS1_3repE0EEENS1_30default_config_static_selectorELNS0_4arch9wavefront6targetE0EEEvT1_,comdat
.Lfunc_end342:
	.size	_ZN7rocprim17ROCPRIM_400000_NS6detail17trampoline_kernelINS0_14default_configENS1_25partition_config_selectorILNS1_17partition_subalgoE8ElNS0_10empty_typeEbEEZZNS1_14partition_implILS5_8ELb0ES3_jPlPS6_PKS6_NS0_5tupleIJS9_S6_EEENSD_IJSA_SA_EEENS0_18inequality_wrapperIZN2at6native12_GLOBAL__N_124unique_dim_cuda_templateIaEESt5tupleIJNSH_6TensorESM_SM_EERKSM_lbbbEUlllE0_EEPmJS6_EEE10hipError_tPvRmT3_T4_T5_T6_T7_T9_mT8_P12ihipStream_tbDpT10_ENKUlT_T0_E_clISt17integral_constantIbLb1EES1B_IbLb0EEEEDaS17_S18_EUlS17_E_NS1_11comp_targetILNS1_3genE8ELNS1_11target_archE1030ELNS1_3gpuE2ELNS1_3repE0EEENS1_30default_config_static_selectorELNS0_4arch9wavefront6targetE0EEEvT1_, .Lfunc_end342-_ZN7rocprim17ROCPRIM_400000_NS6detail17trampoline_kernelINS0_14default_configENS1_25partition_config_selectorILNS1_17partition_subalgoE8ElNS0_10empty_typeEbEEZZNS1_14partition_implILS5_8ELb0ES3_jPlPS6_PKS6_NS0_5tupleIJS9_S6_EEENSD_IJSA_SA_EEENS0_18inequality_wrapperIZN2at6native12_GLOBAL__N_124unique_dim_cuda_templateIaEESt5tupleIJNSH_6TensorESM_SM_EERKSM_lbbbEUlllE0_EEPmJS6_EEE10hipError_tPvRmT3_T4_T5_T6_T7_T9_mT8_P12ihipStream_tbDpT10_ENKUlT_T0_E_clISt17integral_constantIbLb1EES1B_IbLb0EEEEDaS17_S18_EUlS17_E_NS1_11comp_targetILNS1_3genE8ELNS1_11target_archE1030ELNS1_3gpuE2ELNS1_3repE0EEENS1_30default_config_static_selectorELNS0_4arch9wavefront6targetE0EEEvT1_
                                        ; -- End function
	.set _ZN7rocprim17ROCPRIM_400000_NS6detail17trampoline_kernelINS0_14default_configENS1_25partition_config_selectorILNS1_17partition_subalgoE8ElNS0_10empty_typeEbEEZZNS1_14partition_implILS5_8ELb0ES3_jPlPS6_PKS6_NS0_5tupleIJS9_S6_EEENSD_IJSA_SA_EEENS0_18inequality_wrapperIZN2at6native12_GLOBAL__N_124unique_dim_cuda_templateIaEESt5tupleIJNSH_6TensorESM_SM_EERKSM_lbbbEUlllE0_EEPmJS6_EEE10hipError_tPvRmT3_T4_T5_T6_T7_T9_mT8_P12ihipStream_tbDpT10_ENKUlT_T0_E_clISt17integral_constantIbLb1EES1B_IbLb0EEEEDaS17_S18_EUlS17_E_NS1_11comp_targetILNS1_3genE8ELNS1_11target_archE1030ELNS1_3gpuE2ELNS1_3repE0EEENS1_30default_config_static_selectorELNS0_4arch9wavefront6targetE0EEEvT1_.num_vgpr, 0
	.set _ZN7rocprim17ROCPRIM_400000_NS6detail17trampoline_kernelINS0_14default_configENS1_25partition_config_selectorILNS1_17partition_subalgoE8ElNS0_10empty_typeEbEEZZNS1_14partition_implILS5_8ELb0ES3_jPlPS6_PKS6_NS0_5tupleIJS9_S6_EEENSD_IJSA_SA_EEENS0_18inequality_wrapperIZN2at6native12_GLOBAL__N_124unique_dim_cuda_templateIaEESt5tupleIJNSH_6TensorESM_SM_EERKSM_lbbbEUlllE0_EEPmJS6_EEE10hipError_tPvRmT3_T4_T5_T6_T7_T9_mT8_P12ihipStream_tbDpT10_ENKUlT_T0_E_clISt17integral_constantIbLb1EES1B_IbLb0EEEEDaS17_S18_EUlS17_E_NS1_11comp_targetILNS1_3genE8ELNS1_11target_archE1030ELNS1_3gpuE2ELNS1_3repE0EEENS1_30default_config_static_selectorELNS0_4arch9wavefront6targetE0EEEvT1_.num_agpr, 0
	.set _ZN7rocprim17ROCPRIM_400000_NS6detail17trampoline_kernelINS0_14default_configENS1_25partition_config_selectorILNS1_17partition_subalgoE8ElNS0_10empty_typeEbEEZZNS1_14partition_implILS5_8ELb0ES3_jPlPS6_PKS6_NS0_5tupleIJS9_S6_EEENSD_IJSA_SA_EEENS0_18inequality_wrapperIZN2at6native12_GLOBAL__N_124unique_dim_cuda_templateIaEESt5tupleIJNSH_6TensorESM_SM_EERKSM_lbbbEUlllE0_EEPmJS6_EEE10hipError_tPvRmT3_T4_T5_T6_T7_T9_mT8_P12ihipStream_tbDpT10_ENKUlT_T0_E_clISt17integral_constantIbLb1EES1B_IbLb0EEEEDaS17_S18_EUlS17_E_NS1_11comp_targetILNS1_3genE8ELNS1_11target_archE1030ELNS1_3gpuE2ELNS1_3repE0EEENS1_30default_config_static_selectorELNS0_4arch9wavefront6targetE0EEEvT1_.numbered_sgpr, 0
	.set _ZN7rocprim17ROCPRIM_400000_NS6detail17trampoline_kernelINS0_14default_configENS1_25partition_config_selectorILNS1_17partition_subalgoE8ElNS0_10empty_typeEbEEZZNS1_14partition_implILS5_8ELb0ES3_jPlPS6_PKS6_NS0_5tupleIJS9_S6_EEENSD_IJSA_SA_EEENS0_18inequality_wrapperIZN2at6native12_GLOBAL__N_124unique_dim_cuda_templateIaEESt5tupleIJNSH_6TensorESM_SM_EERKSM_lbbbEUlllE0_EEPmJS6_EEE10hipError_tPvRmT3_T4_T5_T6_T7_T9_mT8_P12ihipStream_tbDpT10_ENKUlT_T0_E_clISt17integral_constantIbLb1EES1B_IbLb0EEEEDaS17_S18_EUlS17_E_NS1_11comp_targetILNS1_3genE8ELNS1_11target_archE1030ELNS1_3gpuE2ELNS1_3repE0EEENS1_30default_config_static_selectorELNS0_4arch9wavefront6targetE0EEEvT1_.num_named_barrier, 0
	.set _ZN7rocprim17ROCPRIM_400000_NS6detail17trampoline_kernelINS0_14default_configENS1_25partition_config_selectorILNS1_17partition_subalgoE8ElNS0_10empty_typeEbEEZZNS1_14partition_implILS5_8ELb0ES3_jPlPS6_PKS6_NS0_5tupleIJS9_S6_EEENSD_IJSA_SA_EEENS0_18inequality_wrapperIZN2at6native12_GLOBAL__N_124unique_dim_cuda_templateIaEESt5tupleIJNSH_6TensorESM_SM_EERKSM_lbbbEUlllE0_EEPmJS6_EEE10hipError_tPvRmT3_T4_T5_T6_T7_T9_mT8_P12ihipStream_tbDpT10_ENKUlT_T0_E_clISt17integral_constantIbLb1EES1B_IbLb0EEEEDaS17_S18_EUlS17_E_NS1_11comp_targetILNS1_3genE8ELNS1_11target_archE1030ELNS1_3gpuE2ELNS1_3repE0EEENS1_30default_config_static_selectorELNS0_4arch9wavefront6targetE0EEEvT1_.private_seg_size, 0
	.set _ZN7rocprim17ROCPRIM_400000_NS6detail17trampoline_kernelINS0_14default_configENS1_25partition_config_selectorILNS1_17partition_subalgoE8ElNS0_10empty_typeEbEEZZNS1_14partition_implILS5_8ELb0ES3_jPlPS6_PKS6_NS0_5tupleIJS9_S6_EEENSD_IJSA_SA_EEENS0_18inequality_wrapperIZN2at6native12_GLOBAL__N_124unique_dim_cuda_templateIaEESt5tupleIJNSH_6TensorESM_SM_EERKSM_lbbbEUlllE0_EEPmJS6_EEE10hipError_tPvRmT3_T4_T5_T6_T7_T9_mT8_P12ihipStream_tbDpT10_ENKUlT_T0_E_clISt17integral_constantIbLb1EES1B_IbLb0EEEEDaS17_S18_EUlS17_E_NS1_11comp_targetILNS1_3genE8ELNS1_11target_archE1030ELNS1_3gpuE2ELNS1_3repE0EEENS1_30default_config_static_selectorELNS0_4arch9wavefront6targetE0EEEvT1_.uses_vcc, 0
	.set _ZN7rocprim17ROCPRIM_400000_NS6detail17trampoline_kernelINS0_14default_configENS1_25partition_config_selectorILNS1_17partition_subalgoE8ElNS0_10empty_typeEbEEZZNS1_14partition_implILS5_8ELb0ES3_jPlPS6_PKS6_NS0_5tupleIJS9_S6_EEENSD_IJSA_SA_EEENS0_18inequality_wrapperIZN2at6native12_GLOBAL__N_124unique_dim_cuda_templateIaEESt5tupleIJNSH_6TensorESM_SM_EERKSM_lbbbEUlllE0_EEPmJS6_EEE10hipError_tPvRmT3_T4_T5_T6_T7_T9_mT8_P12ihipStream_tbDpT10_ENKUlT_T0_E_clISt17integral_constantIbLb1EES1B_IbLb0EEEEDaS17_S18_EUlS17_E_NS1_11comp_targetILNS1_3genE8ELNS1_11target_archE1030ELNS1_3gpuE2ELNS1_3repE0EEENS1_30default_config_static_selectorELNS0_4arch9wavefront6targetE0EEEvT1_.uses_flat_scratch, 0
	.set _ZN7rocprim17ROCPRIM_400000_NS6detail17trampoline_kernelINS0_14default_configENS1_25partition_config_selectorILNS1_17partition_subalgoE8ElNS0_10empty_typeEbEEZZNS1_14partition_implILS5_8ELb0ES3_jPlPS6_PKS6_NS0_5tupleIJS9_S6_EEENSD_IJSA_SA_EEENS0_18inequality_wrapperIZN2at6native12_GLOBAL__N_124unique_dim_cuda_templateIaEESt5tupleIJNSH_6TensorESM_SM_EERKSM_lbbbEUlllE0_EEPmJS6_EEE10hipError_tPvRmT3_T4_T5_T6_T7_T9_mT8_P12ihipStream_tbDpT10_ENKUlT_T0_E_clISt17integral_constantIbLb1EES1B_IbLb0EEEEDaS17_S18_EUlS17_E_NS1_11comp_targetILNS1_3genE8ELNS1_11target_archE1030ELNS1_3gpuE2ELNS1_3repE0EEENS1_30default_config_static_selectorELNS0_4arch9wavefront6targetE0EEEvT1_.has_dyn_sized_stack, 0
	.set _ZN7rocprim17ROCPRIM_400000_NS6detail17trampoline_kernelINS0_14default_configENS1_25partition_config_selectorILNS1_17partition_subalgoE8ElNS0_10empty_typeEbEEZZNS1_14partition_implILS5_8ELb0ES3_jPlPS6_PKS6_NS0_5tupleIJS9_S6_EEENSD_IJSA_SA_EEENS0_18inequality_wrapperIZN2at6native12_GLOBAL__N_124unique_dim_cuda_templateIaEESt5tupleIJNSH_6TensorESM_SM_EERKSM_lbbbEUlllE0_EEPmJS6_EEE10hipError_tPvRmT3_T4_T5_T6_T7_T9_mT8_P12ihipStream_tbDpT10_ENKUlT_T0_E_clISt17integral_constantIbLb1EES1B_IbLb0EEEEDaS17_S18_EUlS17_E_NS1_11comp_targetILNS1_3genE8ELNS1_11target_archE1030ELNS1_3gpuE2ELNS1_3repE0EEENS1_30default_config_static_selectorELNS0_4arch9wavefront6targetE0EEEvT1_.has_recursion, 0
	.set _ZN7rocprim17ROCPRIM_400000_NS6detail17trampoline_kernelINS0_14default_configENS1_25partition_config_selectorILNS1_17partition_subalgoE8ElNS0_10empty_typeEbEEZZNS1_14partition_implILS5_8ELb0ES3_jPlPS6_PKS6_NS0_5tupleIJS9_S6_EEENSD_IJSA_SA_EEENS0_18inequality_wrapperIZN2at6native12_GLOBAL__N_124unique_dim_cuda_templateIaEESt5tupleIJNSH_6TensorESM_SM_EERKSM_lbbbEUlllE0_EEPmJS6_EEE10hipError_tPvRmT3_T4_T5_T6_T7_T9_mT8_P12ihipStream_tbDpT10_ENKUlT_T0_E_clISt17integral_constantIbLb1EES1B_IbLb0EEEEDaS17_S18_EUlS17_E_NS1_11comp_targetILNS1_3genE8ELNS1_11target_archE1030ELNS1_3gpuE2ELNS1_3repE0EEENS1_30default_config_static_selectorELNS0_4arch9wavefront6targetE0EEEvT1_.has_indirect_call, 0
	.section	.AMDGPU.csdata,"",@progbits
; Kernel info:
; codeLenInByte = 0
; TotalNumSgprs: 0
; NumVgprs: 0
; ScratchSize: 0
; MemoryBound: 0
; FloatMode: 240
; IeeeMode: 1
; LDSByteSize: 0 bytes/workgroup (compile time only)
; SGPRBlocks: 0
; VGPRBlocks: 0
; NumSGPRsForWavesPerEU: 1
; NumVGPRsForWavesPerEU: 1
; NamedBarCnt: 0
; Occupancy: 16
; WaveLimiterHint : 0
; COMPUTE_PGM_RSRC2:SCRATCH_EN: 0
; COMPUTE_PGM_RSRC2:USER_SGPR: 2
; COMPUTE_PGM_RSRC2:TRAP_HANDLER: 0
; COMPUTE_PGM_RSRC2:TGID_X_EN: 1
; COMPUTE_PGM_RSRC2:TGID_Y_EN: 0
; COMPUTE_PGM_RSRC2:TGID_Z_EN: 0
; COMPUTE_PGM_RSRC2:TIDIG_COMP_CNT: 0
	.section	.text._ZN7rocprim17ROCPRIM_400000_NS6detail17trampoline_kernelINS0_14default_configENS1_25partition_config_selectorILNS1_17partition_subalgoE8ElNS0_10empty_typeEbEEZZNS1_14partition_implILS5_8ELb0ES3_jPlPS6_PKS6_NS0_5tupleIJS9_S6_EEENSD_IJSA_SA_EEENS0_18inequality_wrapperIZN2at6native12_GLOBAL__N_124unique_dim_cuda_templateIaEESt5tupleIJNSH_6TensorESM_SM_EERKSM_lbbbEUlllE0_EEPmJS6_EEE10hipError_tPvRmT3_T4_T5_T6_T7_T9_mT8_P12ihipStream_tbDpT10_ENKUlT_T0_E_clISt17integral_constantIbLb0EES1B_IbLb1EEEEDaS17_S18_EUlS17_E_NS1_11comp_targetILNS1_3genE0ELNS1_11target_archE4294967295ELNS1_3gpuE0ELNS1_3repE0EEENS1_30default_config_static_selectorELNS0_4arch9wavefront6targetE0EEEvT1_,"axG",@progbits,_ZN7rocprim17ROCPRIM_400000_NS6detail17trampoline_kernelINS0_14default_configENS1_25partition_config_selectorILNS1_17partition_subalgoE8ElNS0_10empty_typeEbEEZZNS1_14partition_implILS5_8ELb0ES3_jPlPS6_PKS6_NS0_5tupleIJS9_S6_EEENSD_IJSA_SA_EEENS0_18inequality_wrapperIZN2at6native12_GLOBAL__N_124unique_dim_cuda_templateIaEESt5tupleIJNSH_6TensorESM_SM_EERKSM_lbbbEUlllE0_EEPmJS6_EEE10hipError_tPvRmT3_T4_T5_T6_T7_T9_mT8_P12ihipStream_tbDpT10_ENKUlT_T0_E_clISt17integral_constantIbLb0EES1B_IbLb1EEEEDaS17_S18_EUlS17_E_NS1_11comp_targetILNS1_3genE0ELNS1_11target_archE4294967295ELNS1_3gpuE0ELNS1_3repE0EEENS1_30default_config_static_selectorELNS0_4arch9wavefront6targetE0EEEvT1_,comdat
	.globl	_ZN7rocprim17ROCPRIM_400000_NS6detail17trampoline_kernelINS0_14default_configENS1_25partition_config_selectorILNS1_17partition_subalgoE8ElNS0_10empty_typeEbEEZZNS1_14partition_implILS5_8ELb0ES3_jPlPS6_PKS6_NS0_5tupleIJS9_S6_EEENSD_IJSA_SA_EEENS0_18inequality_wrapperIZN2at6native12_GLOBAL__N_124unique_dim_cuda_templateIaEESt5tupleIJNSH_6TensorESM_SM_EERKSM_lbbbEUlllE0_EEPmJS6_EEE10hipError_tPvRmT3_T4_T5_T6_T7_T9_mT8_P12ihipStream_tbDpT10_ENKUlT_T0_E_clISt17integral_constantIbLb0EES1B_IbLb1EEEEDaS17_S18_EUlS17_E_NS1_11comp_targetILNS1_3genE0ELNS1_11target_archE4294967295ELNS1_3gpuE0ELNS1_3repE0EEENS1_30default_config_static_selectorELNS0_4arch9wavefront6targetE0EEEvT1_ ; -- Begin function _ZN7rocprim17ROCPRIM_400000_NS6detail17trampoline_kernelINS0_14default_configENS1_25partition_config_selectorILNS1_17partition_subalgoE8ElNS0_10empty_typeEbEEZZNS1_14partition_implILS5_8ELb0ES3_jPlPS6_PKS6_NS0_5tupleIJS9_S6_EEENSD_IJSA_SA_EEENS0_18inequality_wrapperIZN2at6native12_GLOBAL__N_124unique_dim_cuda_templateIaEESt5tupleIJNSH_6TensorESM_SM_EERKSM_lbbbEUlllE0_EEPmJS6_EEE10hipError_tPvRmT3_T4_T5_T6_T7_T9_mT8_P12ihipStream_tbDpT10_ENKUlT_T0_E_clISt17integral_constantIbLb0EES1B_IbLb1EEEEDaS17_S18_EUlS17_E_NS1_11comp_targetILNS1_3genE0ELNS1_11target_archE4294967295ELNS1_3gpuE0ELNS1_3repE0EEENS1_30default_config_static_selectorELNS0_4arch9wavefront6targetE0EEEvT1_
	.p2align	8
	.type	_ZN7rocprim17ROCPRIM_400000_NS6detail17trampoline_kernelINS0_14default_configENS1_25partition_config_selectorILNS1_17partition_subalgoE8ElNS0_10empty_typeEbEEZZNS1_14partition_implILS5_8ELb0ES3_jPlPS6_PKS6_NS0_5tupleIJS9_S6_EEENSD_IJSA_SA_EEENS0_18inequality_wrapperIZN2at6native12_GLOBAL__N_124unique_dim_cuda_templateIaEESt5tupleIJNSH_6TensorESM_SM_EERKSM_lbbbEUlllE0_EEPmJS6_EEE10hipError_tPvRmT3_T4_T5_T6_T7_T9_mT8_P12ihipStream_tbDpT10_ENKUlT_T0_E_clISt17integral_constantIbLb0EES1B_IbLb1EEEEDaS17_S18_EUlS17_E_NS1_11comp_targetILNS1_3genE0ELNS1_11target_archE4294967295ELNS1_3gpuE0ELNS1_3repE0EEENS1_30default_config_static_selectorELNS0_4arch9wavefront6targetE0EEEvT1_,@function
_ZN7rocprim17ROCPRIM_400000_NS6detail17trampoline_kernelINS0_14default_configENS1_25partition_config_selectorILNS1_17partition_subalgoE8ElNS0_10empty_typeEbEEZZNS1_14partition_implILS5_8ELb0ES3_jPlPS6_PKS6_NS0_5tupleIJS9_S6_EEENSD_IJSA_SA_EEENS0_18inequality_wrapperIZN2at6native12_GLOBAL__N_124unique_dim_cuda_templateIaEESt5tupleIJNSH_6TensorESM_SM_EERKSM_lbbbEUlllE0_EEPmJS6_EEE10hipError_tPvRmT3_T4_T5_T6_T7_T9_mT8_P12ihipStream_tbDpT10_ENKUlT_T0_E_clISt17integral_constantIbLb0EES1B_IbLb1EEEEDaS17_S18_EUlS17_E_NS1_11comp_targetILNS1_3genE0ELNS1_11target_archE4294967295ELNS1_3gpuE0ELNS1_3repE0EEENS1_30default_config_static_selectorELNS0_4arch9wavefront6targetE0EEEvT1_: ; @_ZN7rocprim17ROCPRIM_400000_NS6detail17trampoline_kernelINS0_14default_configENS1_25partition_config_selectorILNS1_17partition_subalgoE8ElNS0_10empty_typeEbEEZZNS1_14partition_implILS5_8ELb0ES3_jPlPS6_PKS6_NS0_5tupleIJS9_S6_EEENSD_IJSA_SA_EEENS0_18inequality_wrapperIZN2at6native12_GLOBAL__N_124unique_dim_cuda_templateIaEESt5tupleIJNSH_6TensorESM_SM_EERKSM_lbbbEUlllE0_EEPmJS6_EEE10hipError_tPvRmT3_T4_T5_T6_T7_T9_mT8_P12ihipStream_tbDpT10_ENKUlT_T0_E_clISt17integral_constantIbLb0EES1B_IbLb1EEEEDaS17_S18_EUlS17_E_NS1_11comp_targetILNS1_3genE0ELNS1_11target_archE4294967295ELNS1_3gpuE0ELNS1_3repE0EEENS1_30default_config_static_selectorELNS0_4arch9wavefront6targetE0EEEvT1_
; %bb.0:
	s_clause 0x1
	s_load_b256 s[12:19], s[0:1], 0x40
	s_load_b128 s[8:11], s[0:1], 0x60
	v_cmp_ne_u32_e64 s3, 0, v0
	v_cmp_eq_u32_e64 s2, 0, v0
	s_and_saveexec_b32 s4, s2
	s_cbranch_execz .LBB343_4
; %bb.1:
	s_mov_b32 s6, exec_lo
	s_mov_b32 s5, exec_lo
	v_mbcnt_lo_u32_b32 v1, s6, 0
                                        ; implicit-def: $vgpr2
	s_delay_alu instid0(VALU_DEP_1)
	v_cmpx_eq_u32_e32 0, v1
	s_cbranch_execz .LBB343_3
; %bb.2:
	s_load_b64 s[20:21], s[0:1], 0x78
	s_bcnt1_i32_b32 s6, s6
	s_delay_alu instid0(SALU_CYCLE_1)
	v_dual_mov_b32 v2, 0 :: v_dual_mov_b32 v3, s6
	s_wait_xcnt 0x0
	s_wait_kmcnt 0x0
	global_atomic_add_u32 v2, v2, v3, s[20:21] th:TH_ATOMIC_RETURN scope:SCOPE_DEV
.LBB343_3:
	s_wait_xcnt 0x0
	s_or_b32 exec_lo, exec_lo, s5
	s_wait_loadcnt 0x0
	v_readfirstlane_b32 s5, v2
	s_delay_alu instid0(VALU_DEP_1)
	v_dual_mov_b32 v2, 0 :: v_dual_add_nc_u32 v1, s5, v1
	ds_store_b32 v2, v1
.LBB343_4:
	s_or_b32 exec_lo, exec_lo, s4
	v_dual_mov_b32 v3, 0 :: v_dual_lshlrev_b32 v18, 3, v0
	s_clause 0x2
	s_load_b128 s[4:7], s[0:1], 0x8
	s_load_b64 s[20:21], s[0:1], 0x28
	s_load_b32 s22, s[0:1], 0x70
	s_wait_dscnt 0x0
	s_barrier_signal -1
	s_barrier_wait -1
	ds_load_b32 v1, v3
	s_wait_dscnt 0x0
	s_barrier_signal -1
	s_barrier_wait -1
	s_wait_kmcnt 0x0
	global_load_b64 v[4:5], v3, s[14:15]
	s_wait_xcnt 0x0
	s_mov_b32 s15, 0
	s_lshl_b64 s[0:1], s[6:7], 3
	s_mul_i32 s14, s22, 0xe00
	s_add_co_i32 s26, s22, -1
	s_add_nc_u64 s[24:25], s[6:7], s[14:15]
	s_add_co_i32 s14, s14, s6
	v_cmp_le_u64_e64 s15, s[16:17], s[24:25]
	v_mul_lo_u32 v2, 0xe00, v1
	v_readfirstlane_b32 s22, v1
	s_sub_co_i32 s23, s16, s14
	s_add_nc_u64 s[0:1], s[4:5], s[0:1]
	s_cmp_eq_u32 s22, s26
	s_cselect_b32 s16, -1, 0
	s_delay_alu instid0(SALU_CYCLE_1) | instskip(SKIP_2) | instid1(SALU_CYCLE_1)
	s_and_b32 s24, s15, s16
	v_lshlrev_b64_e32 v[2:3], 3, v[2:3]
	s_xor_b32 s17, s24, -1
	s_and_b32 vcc_lo, exec_lo, s17
	s_delay_alu instid0(VALU_DEP_1)
	v_add_nc_u64_e32 v[20:21], s[0:1], v[2:3]
	s_mov_b32 s0, -1
	s_wait_loadcnt 0x0
	v_readfirstlane_b32 s14, v4
	v_readfirstlane_b32 s15, v5
	s_cbranch_vccz .LBB343_6
; %bb.5:
	v_readfirstlane_b32 s0, v20
	v_readfirstlane_b32 s1, v21
	v_lshlrev_b32_e32 v1, 3, v0
	s_clause 0x6
	global_load_b64 v[2:3], v0, s[0:1] scale_offset
	global_load_b64 v[4:5], v0, s[0:1] offset:4096 scale_offset
	global_load_b64 v[6:7], v0, s[0:1] offset:8192 scale_offset
	;; [unrolled: 1-line block ×6, first 2 shown]
	s_wait_xcnt 0x0
	s_mov_b32 s0, 0
	s_wait_loadcnt 0x5
	ds_store_2addr_stride64_b64 v1, v[2:3], v[4:5] offset1:8
	s_wait_loadcnt 0x3
	ds_store_2addr_stride64_b64 v1, v[6:7], v[8:9] offset0:16 offset1:24
	s_wait_loadcnt 0x1
	ds_store_2addr_stride64_b64 v1, v[10:11], v[12:13] offset0:32 offset1:40
	s_wait_loadcnt 0x0
	ds_store_b64 v1, v[14:15] offset:24576
	s_wait_dscnt 0x0
	s_barrier_signal -1
	s_barrier_wait -1
.LBB343_6:
	s_and_not1_b32 vcc_lo, exec_lo, s0
	s_addk_co_i32 s23, 0xe00
	s_cbranch_vccnz .LBB343_22
; %bb.7:
	v_mov_b32_e32 v2, 0
	s_mov_b32 s0, exec_lo
	s_delay_alu instid0(VALU_DEP_1)
	v_dual_mov_b32 v3, v2 :: v_dual_mov_b32 v4, v2
	v_dual_mov_b32 v5, v2 :: v_dual_mov_b32 v6, v2
	;; [unrolled: 1-line block ×6, first 2 shown]
	v_mov_b32_e32 v15, v2
	v_cmpx_gt_u32_e64 s23, v0
	s_cbranch_execz .LBB343_9
; %bb.8:
	v_readfirstlane_b32 s4, v20
	v_readfirstlane_b32 s5, v21
	v_dual_mov_b32 v6, v2 :: v_dual_mov_b32 v7, v2
	v_dual_mov_b32 v8, v2 :: v_dual_mov_b32 v9, v2
	global_load_b64 v[4:5], v0, s[4:5] scale_offset
	v_dual_mov_b32 v10, v2 :: v_dual_mov_b32 v11, v2
	v_dual_mov_b32 v12, v2 :: v_dual_mov_b32 v13, v2
	;; [unrolled: 1-line block ×4, first 2 shown]
	s_wait_loadcnt 0x0
	v_mov_b64_e32 v[2:3], v[4:5]
	v_mov_b64_e32 v[4:5], v[6:7]
	;; [unrolled: 1-line block ×8, first 2 shown]
.LBB343_9:
	s_or_b32 exec_lo, exec_lo, s0
	v_or_b32_e32 v1, 0x200, v0
	s_mov_b32 s0, exec_lo
	s_delay_alu instid0(VALU_DEP_1)
	v_cmpx_gt_u32_e64 s23, v1
	s_cbranch_execz .LBB343_11
; %bb.10:
	v_readfirstlane_b32 s4, v20
	v_readfirstlane_b32 s5, v21
	global_load_b64 v[4:5], v0, s[4:5] offset:4096 scale_offset
.LBB343_11:
	s_wait_xcnt 0x0
	s_or_b32 exec_lo, exec_lo, s0
	v_or_b32_e32 v1, 0x400, v0
	s_mov_b32 s0, exec_lo
	s_delay_alu instid0(VALU_DEP_1)
	v_cmpx_gt_u32_e64 s23, v1
	s_cbranch_execz .LBB343_13
; %bb.12:
	v_readfirstlane_b32 s4, v20
	v_readfirstlane_b32 s5, v21
	global_load_b64 v[6:7], v0, s[4:5] offset:8192 scale_offset
.LBB343_13:
	s_wait_xcnt 0x0
	;; [unrolled: 12-line block ×6, first 2 shown]
	s_or_b32 exec_lo, exec_lo, s0
	v_lshlrev_b32_e32 v1, 3, v0
	s_wait_loadcnt 0x0
	ds_store_2addr_stride64_b64 v1, v[2:3], v[4:5] offset1:8
	ds_store_2addr_stride64_b64 v1, v[6:7], v[8:9] offset0:16 offset1:24
	ds_store_2addr_stride64_b64 v1, v[10:11], v[12:13] offset0:32 offset1:40
	ds_store_b64 v1, v[14:15] offset:24576
	s_wait_dscnt 0x0
	s_barrier_signal -1
	s_barrier_wait -1
.LBB343_22:
	v_mul_u32_u24_e32 v1, 7, v0
	s_cmp_lg_u32 s22, 0
	s_cselect_b32 s25, -1, 0
	s_delay_alu instid0(VALU_DEP_1)
	v_lshlrev_b32_e32 v28, 3, v1
	s_cmp_lg_u64 s[6:7], 0
	v_cmp_gt_i64_e64 s7, s[18:19], 0
	s_cselect_b32 s0, -1, 0
	s_mov_b32 s6, 0
	ds_load_2addr_b64 v[10:13], v28 offset1:1
	ds_load_2addr_b64 v[6:9], v28 offset0:2 offset1:3
	ds_load_2addr_b64 v[2:5], v28 offset0:4 offset1:5
	ds_load_b64 v[14:15], v28 offset:48
	s_or_b32 s0, s0, s25
	s_wait_dscnt 0x0
	s_and_b32 vcc_lo, exec_lo, s0
	s_barrier_signal -1
	s_barrier_wait -1
	s_cbranch_vccz .LBB343_38
; %bb.23:
	global_load_b64 v[20:21], v[20:21], off offset:-8
	v_cndmask_b32_e64 v29, 0, 1, s7
	v_lshlrev_b32_e32 v31, 3, v0
	s_and_b32 vcc_lo, exec_lo, s17
	s_delay_alu instid0(VALU_DEP_2)
	v_cmp_ne_u32_e64 s0, 1, v29
	ds_store_b64 v31, v[14:15]
	s_cbranch_vccz .LBB343_40
; %bb.24:
	s_and_b32 vcc_lo, exec_lo, s0
	s_cbranch_vccnz .LBB343_41
; %bb.25:
	v_mad_nc_u64_u32 v[16:17], v4, s18, s[8:9]
	v_mad_nc_u64_u32 v[22:23], v14, s18, s[8:9]
	s_add_nc_u64 s[4:5], s[18:19], -1
	s_mov_b32 s26, 0
	s_mov_b64 s[0:1], s[4:5]
                                        ; implicit-def: $sgpr6
	s_delay_alu instid0(VALU_DEP_2) | instskip(NEXT) | instid1(VALU_DEP_2)
	v_mad_u32 v17, v5, s18, v17
	v_mad_u32 v19, v15, s18, v23
	s_delay_alu instid0(VALU_DEP_2) | instskip(NEXT) | instid1(VALU_DEP_2)
	v_mad_u32 v17, v4, s19, v17
	v_mad_u32 v23, v14, s19, v19
	s_delay_alu instid0(VALU_DEP_2)
	v_mov_b64_e32 v[24:25], v[16:17]
.LBB343_26:                             ; =>This Inner Loop Header: Depth=1
	global_load_u8 v19, v[24:25], off
	global_load_u8 v26, v[22:23], off
	s_cmp_eq_u64 s[0:1], 0
	s_add_nc_u64 s[28:29], s[0:1], -1
	s_cselect_b32 s1, -1, 0
	s_wait_xcnt 0x1
	v_add_nc_u64_e32 v[24:25], 1, v[24:25]
	s_wait_xcnt 0x0
	v_add_nc_u64_e32 v[22:23], 1, v[22:23]
	s_wait_loadcnt 0x0
	v_cmp_ne_u16_e32 vcc_lo, v19, v26
	v_cmp_eq_u16_e64 s0, v19, v26
	s_or_b32 s1, vcc_lo, s1
	s_delay_alu instid0(SALU_CYCLE_1) | instskip(NEXT) | instid1(SALU_CYCLE_1)
	s_and_b32 s1, exec_lo, s1
	s_or_b32 s26, s1, s26
	s_and_not1_b32 s6, s6, exec_lo
	s_and_b32 s27, s0, exec_lo
	s_mov_b64 s[0:1], s[28:29]
	s_or_b32 s6, s6, s27
	s_and_not1_b32 exec_lo, exec_lo, s26
	s_cbranch_execnz .LBB343_26
; %bb.27:
	s_or_b32 exec_lo, exec_lo, s26
	v_mad_nc_u64_u32 v[22:23], v2, s18, s[8:9]
	s_mov_b32 s27, 0
	s_mov_b64 s[0:1], s[4:5]
                                        ; implicit-def: $sgpr26
	s_delay_alu instid0(VALU_DEP_1) | instskip(NEXT) | instid1(VALU_DEP_1)
	v_mad_u32 v19, v3, s18, v23
	v_mad_u32 v23, v2, s19, v19
	s_delay_alu instid0(VALU_DEP_1)
	v_mov_b64_e32 v[24:25], v[22:23]
.LBB343_28:                             ; =>This Inner Loop Header: Depth=1
	global_load_u8 v19, v[24:25], off
	global_load_u8 v26, v[16:17], off
	s_cmp_eq_u64 s[0:1], 0
	s_add_nc_u64 s[28:29], s[0:1], -1
	s_cselect_b32 s1, -1, 0
	s_wait_xcnt 0x1
	v_add_nc_u64_e32 v[24:25], 1, v[24:25]
	s_wait_xcnt 0x0
	v_add_nc_u64_e32 v[16:17], 1, v[16:17]
	s_wait_loadcnt 0x0
	v_cmp_ne_u16_e32 vcc_lo, v19, v26
	v_cmp_eq_u16_e64 s0, v19, v26
	s_or_b32 s1, vcc_lo, s1
	s_delay_alu instid0(SALU_CYCLE_1) | instskip(NEXT) | instid1(SALU_CYCLE_1)
	s_and_b32 s1, exec_lo, s1
	s_or_b32 s27, s1, s27
	s_and_not1_b32 s26, s26, exec_lo
	s_and_b32 s30, s0, exec_lo
	s_mov_b64 s[0:1], s[28:29]
	s_or_b32 s26, s26, s30
	s_and_not1_b32 exec_lo, exec_lo, s27
	s_cbranch_execnz .LBB343_28
; %bb.29:
	s_or_b32 exec_lo, exec_lo, s27
	v_mad_nc_u64_u32 v[16:17], v8, s18, s[8:9]
	s_mov_b32 s28, 0
	s_mov_b64 s[0:1], s[4:5]
                                        ; implicit-def: $sgpr27
	s_delay_alu instid0(VALU_DEP_1) | instskip(NEXT) | instid1(VALU_DEP_1)
	v_mad_u32 v17, v9, s18, v17
	v_mad_u32 v17, v8, s19, v17
	s_delay_alu instid0(VALU_DEP_1)
	v_mov_b64_e32 v[24:25], v[16:17]
.LBB343_30:                             ; =>This Inner Loop Header: Depth=1
	global_load_u8 v19, v[24:25], off
	global_load_u8 v26, v[22:23], off
	s_cmp_eq_u64 s[0:1], 0
	s_add_nc_u64 s[30:31], s[0:1], -1
	s_cselect_b32 s1, -1, 0
	s_wait_xcnt 0x1
	v_add_nc_u64_e32 v[24:25], 1, v[24:25]
	s_wait_xcnt 0x0
	v_add_nc_u64_e32 v[22:23], 1, v[22:23]
	s_wait_loadcnt 0x0
	v_cmp_ne_u16_e32 vcc_lo, v19, v26
	v_cmp_eq_u16_e64 s0, v19, v26
	s_or_b32 s1, vcc_lo, s1
	s_delay_alu instid0(SALU_CYCLE_1) | instskip(NEXT) | instid1(SALU_CYCLE_1)
	s_and_b32 s1, exec_lo, s1
	s_or_b32 s28, s1, s28
	s_and_not1_b32 s27, s27, exec_lo
	s_and_b32 s29, s0, exec_lo
	s_mov_b64 s[0:1], s[30:31]
	s_or_b32 s27, s27, s29
	s_and_not1_b32 exec_lo, exec_lo, s28
	s_cbranch_execnz .LBB343_30
; %bb.31:
	s_or_b32 exec_lo, exec_lo, s28
	v_mad_nc_u64_u32 v[22:23], v6, s18, s[8:9]
	s_mov_b32 s29, 0
	s_mov_b64 s[0:1], s[4:5]
                                        ; implicit-def: $sgpr28
	s_delay_alu instid0(VALU_DEP_1) | instskip(NEXT) | instid1(VALU_DEP_1)
	v_mad_u32 v19, v7, s18, v23
	v_mad_u32 v23, v6, s19, v19
	s_delay_alu instid0(VALU_DEP_1)
	v_mov_b64_e32 v[24:25], v[22:23]
.LBB343_32:                             ; =>This Inner Loop Header: Depth=1
	global_load_u8 v19, v[24:25], off
	global_load_u8 v26, v[16:17], off
	s_cmp_eq_u64 s[0:1], 0
	s_add_nc_u64 s[30:31], s[0:1], -1
	s_cselect_b32 s1, -1, 0
	s_wait_xcnt 0x1
	v_add_nc_u64_e32 v[24:25], 1, v[24:25]
	s_wait_xcnt 0x0
	v_add_nc_u64_e32 v[16:17], 1, v[16:17]
	s_wait_loadcnt 0x0
	v_cmp_ne_u16_e32 vcc_lo, v19, v26
	v_cmp_eq_u16_e64 s0, v19, v26
	s_or_b32 s1, vcc_lo, s1
	s_delay_alu instid0(SALU_CYCLE_1) | instskip(NEXT) | instid1(SALU_CYCLE_1)
	s_and_b32 s1, exec_lo, s1
	s_or_b32 s29, s1, s29
	s_and_not1_b32 s28, s28, exec_lo
	s_and_b32 s33, s0, exec_lo
	s_mov_b64 s[0:1], s[30:31]
	s_or_b32 s28, s28, s33
	s_and_not1_b32 exec_lo, exec_lo, s29
	s_cbranch_execnz .LBB343_32
; %bb.33:
	s_or_b32 exec_lo, exec_lo, s29
	v_mad_nc_u64_u32 v[16:17], v12, s18, s[8:9]
	s_mov_b32 s30, 0
	s_mov_b64 s[0:1], s[4:5]
                                        ; implicit-def: $sgpr29
	s_delay_alu instid0(VALU_DEP_1) | instskip(NEXT) | instid1(VALU_DEP_1)
	v_mad_u32 v17, v13, s18, v17
	v_mad_u32 v17, v12, s19, v17
	s_delay_alu instid0(VALU_DEP_1)
	v_mov_b64_e32 v[24:25], v[16:17]
.LBB343_34:                             ; =>This Inner Loop Header: Depth=1
	global_load_u8 v19, v[24:25], off
	global_load_u8 v26, v[22:23], off
	s_cmp_eq_u64 s[0:1], 0
	s_add_nc_u64 s[34:35], s[0:1], -1
	s_cselect_b32 s1, -1, 0
	s_wait_xcnt 0x1
	v_add_nc_u64_e32 v[24:25], 1, v[24:25]
	s_wait_xcnt 0x0
	v_add_nc_u64_e32 v[22:23], 1, v[22:23]
	s_wait_loadcnt 0x0
	v_cmp_ne_u16_e32 vcc_lo, v19, v26
	v_cmp_eq_u16_e64 s0, v19, v26
	s_or_b32 s1, vcc_lo, s1
	s_delay_alu instid0(SALU_CYCLE_1) | instskip(NEXT) | instid1(SALU_CYCLE_1)
	s_and_b32 s1, exec_lo, s1
	s_or_b32 s30, s1, s30
	s_and_not1_b32 s29, s29, exec_lo
	s_and_b32 s31, s0, exec_lo
	s_mov_b64 s[0:1], s[34:35]
	s_or_b32 s29, s29, s31
	s_and_not1_b32 exec_lo, exec_lo, s30
	s_cbranch_execnz .LBB343_34
; %bb.35:
	s_or_b32 exec_lo, exec_lo, s30
	v_mad_nc_u64_u32 v[22:23], v10, s18, s[8:9]
	s_mov_b32 s30, 0
                                        ; implicit-def: $sgpr1
	s_delay_alu instid0(VALU_DEP_1) | instskip(NEXT) | instid1(VALU_DEP_1)
	v_mad_u32 v19, v11, s18, v23
	v_mad_u32 v23, v10, s19, v19
.LBB343_36:                             ; =>This Inner Loop Header: Depth=1
	global_load_u8 v19, v[22:23], off
	global_load_u8 v24, v[16:17], off
	s_cmp_eq_u64 s[4:5], 0
	s_add_nc_u64 s[34:35], s[4:5], -1
	s_cselect_b32 s4, -1, 0
	s_wait_xcnt 0x1
	v_add_nc_u64_e32 v[22:23], 1, v[22:23]
	s_wait_xcnt 0x0
	v_add_nc_u64_e32 v[16:17], 1, v[16:17]
	s_wait_loadcnt 0x0
	v_cmp_ne_u16_e32 vcc_lo, v19, v24
	v_cmp_eq_u16_e64 s0, v19, v24
	s_or_b32 s4, vcc_lo, s4
	s_delay_alu instid0(SALU_CYCLE_1) | instskip(NEXT) | instid1(SALU_CYCLE_1)
	s_and_b32 s4, exec_lo, s4
	s_or_b32 s30, s4, s30
	s_and_not1_b32 s1, s1, exec_lo
	s_and_b32 s0, s0, exec_lo
	s_mov_b64 s[4:5], s[34:35]
	s_or_b32 s1, s1, s0
	s_and_not1_b32 exec_lo, exec_lo, s30
	s_cbranch_execnz .LBB343_36
; %bb.37:
	s_or_b32 exec_lo, exec_lo, s30
	s_xor_b32 s0, s28, -1
	s_delay_alu instid0(SALU_CYCLE_1) | instskip(SKIP_1) | instid1(SALU_CYCLE_1)
	v_cndmask_b32_e64 v16, 0, 1, s0
	s_xor_b32 s0, s29, -1
	v_cndmask_b32_e64 v17, 0, 1, s0
	s_xor_b32 s0, s26, -1
	s_delay_alu instid0(VALU_DEP_2) | instskip(SKIP_2) | instid1(SALU_CYCLE_1)
	v_lshlrev_b16 v16, 8, v16
	v_cndmask_b32_e64 v30, 0, 1, s0
	s_xor_b32 s0, s6, -1
	v_cndmask_b32_e64 v19, 0, 1, s0
	s_delay_alu instid0(VALU_DEP_3) | instskip(SKIP_1) | instid1(VALU_DEP_1)
	v_lshrrev_b32_e32 v16, 8, v16
	s_xor_b32 s0, s27, -1
	v_and_b32_e32 v16, 1, v16
	s_delay_alu instid0(VALU_DEP_1) | instskip(NEXT) | instid1(VALU_DEP_1)
	v_lshlrev_b16 v16, 8, v16
	v_or_b32_e32 v16, v17, v16
	v_cndmask_b32_e64 v17, 0, 1, s0
	s_xor_b32 s0, s1, -1
	s_delay_alu instid0(VALU_DEP_2)
	v_lshlrev_b32_e32 v16, 16, v16
	s_branch .LBB343_42
.LBB343_38:
                                        ; implicit-def: $sgpr0
                                        ; implicit-def: $vgpr19
                                        ; implicit-def: $vgpr30
                                        ; implicit-def: $vgpr17
                                        ; implicit-def: $vgpr22
	s_branch .LBB343_95
.LBB343_39:
                                        ; implicit-def: $vgpr32
                                        ; implicit-def: $vgpr31
                                        ; implicit-def: $vgpr20
	s_branch .LBB343_164
.LBB343_40:
                                        ; implicit-def: $sgpr0
                                        ; implicit-def: $vgpr19
                                        ; implicit-def: $vgpr30
                                        ; implicit-def: $vgpr17
                                        ; implicit-def: $vgpr22
	s_cbranch_execnz .LBB343_49
	s_branch .LBB343_94
.LBB343_41:
	v_dual_mov_b32 v16, 0 :: v_dual_mov_b32 v19, 0
	v_dual_mov_b32 v30, 0 :: v_dual_mov_b32 v17, 0
	s_mov_b32 s0, 0
.LBB343_42:
	s_wait_loadcnt 0x0
	v_mov_b64_e32 v[26:27], v[20:21]
	s_wait_dscnt 0x0
	s_barrier_signal -1
	s_barrier_wait -1
	s_and_saveexec_b32 s1, s3
; %bb.43:
	v_add_nc_u32_e32 v22, -8, v31
	ds_load_b64 v[26:27], v22
; %bb.44:
	s_or_b32 exec_lo, exec_lo, s1
	v_cndmask_b32_e64 v22, 0, 1, s0
	v_lshrrev_b32_e32 v23, 16, v16
	s_mov_b32 s4, 0
	s_and_not1_b32 vcc_lo, exec_lo, s7
	s_mov_b32 s0, 0
	v_lshlrev_b16 v22, 8, v22
	s_delay_alu instid0(VALU_DEP_1) | instskip(SKIP_1) | instid1(VALU_DEP_2)
	v_bitop3_b16 v22, v16, v22, 0xff bitop3:0xec
	v_perm_b32 v16, v23, v16, 0xc0c0304
	v_and_b32_e32 v32, 0xffff, v22
	s_cbranch_vccnz .LBB343_48
; %bb.45:
	s_wait_dscnt 0x0
	v_mad_nc_u64_u32 v[22:23], v26, s18, s[8:9]
	v_mad_nc_u64_u32 v[24:25], v10, s18, s[8:9]
	s_add_nc_u64 s[0:1], s[18:19], -1
	s_mov_b32 s5, 0
                                        ; implicit-def: $sgpr6
	s_delay_alu instid0(VALU_DEP_2) | instskip(NEXT) | instid1(VALU_DEP_2)
	v_mad_u32 v23, v27, s18, v23
	v_mad_u32 v25, v11, s18, v25
	s_delay_alu instid0(VALU_DEP_2) | instskip(NEXT) | instid1(VALU_DEP_2)
	v_mad_u32 v23, v26, s19, v23
	v_mad_u32 v25, v10, s19, v25
.LBB343_46:                             ; =>This Inner Loop Header: Depth=1
	global_load_u8 v26, v[22:23], off
	global_load_u8 v27, v[24:25], off
	s_cmp_eq_u64 s[0:1], 0
	s_add_nc_u64 s[26:27], s[0:1], -1
	s_cselect_b32 s1, -1, 0
	s_wait_xcnt 0x1
	v_add_nc_u64_e32 v[22:23], 1, v[22:23]
	s_wait_xcnt 0x0
	v_add_nc_u64_e32 v[24:25], 1, v[24:25]
	s_wait_loadcnt 0x0
	v_cmp_ne_u16_e32 vcc_lo, v26, v27
	v_cmp_eq_u16_e64 s0, v26, v27
	s_or_b32 s1, vcc_lo, s1
	s_delay_alu instid0(SALU_CYCLE_1) | instskip(NEXT) | instid1(SALU_CYCLE_1)
	s_and_b32 s1, exec_lo, s1
	s_or_b32 s5, s1, s5
	s_and_not1_b32 s6, s6, exec_lo
	s_and_b32 s28, s0, exec_lo
	s_mov_b64 s[0:1], s[26:27]
	s_or_b32 s6, s6, s28
	s_and_not1_b32 exec_lo, exec_lo, s5
	s_cbranch_execnz .LBB343_46
; %bb.47:
	s_or_b32 exec_lo, exec_lo, s5
	s_xor_b32 s0, s6, -1
.LBB343_48:
	s_delay_alu instid0(VALU_DEP_1)
	v_lshl_or_b32 v22, v16, 16, v32
	s_and_b32 vcc_lo, exec_lo, s4
	s_cbranch_vccz .LBB343_94
.LBB343_49:
	v_add_nc_u32_e32 v16, 6, v1
	s_mov_b32 s5, 0
	s_mov_b32 s4, 0
	s_mov_b32 s6, exec_lo
	s_wait_xcnt 0x0
	v_cmpx_gt_u32_e64 s23, v16
	s_cbranch_execz .LBB343_55
; %bb.50:
	s_and_not1_b32 vcc_lo, exec_lo, s7
	s_mov_b32 s0, 0
	s_cbranch_vccnz .LBB343_54
; %bb.51:
	v_mad_nc_u64_u32 v[16:17], v4, s18, s[8:9]
	v_mad_nc_u64_u32 v[22:23], v14, s18, s[8:9]
	s_add_nc_u64 s[0:1], s[18:19], -1
                                        ; implicit-def: $sgpr7
	s_delay_alu instid0(VALU_DEP_2) | instskip(NEXT) | instid1(VALU_DEP_2)
	v_mad_u32 v17, v5, s18, v17
	v_mad_u32 v19, v15, s18, v23
	s_delay_alu instid0(VALU_DEP_2) | instskip(NEXT) | instid1(VALU_DEP_2)
	v_mad_u32 v17, v4, s19, v17
	v_mad_u32 v23, v14, s19, v19
.LBB343_52:                             ; =>This Inner Loop Header: Depth=1
	global_load_u8 v19, v[16:17], off
	global_load_u8 v24, v[22:23], off
	s_cmp_eq_u64 s[0:1], 0
	s_add_nc_u64 s[26:27], s[0:1], -1
	s_cselect_b32 s1, -1, 0
	s_wait_xcnt 0x1
	v_add_nc_u64_e32 v[16:17], 1, v[16:17]
	s_wait_xcnt 0x0
	v_add_nc_u64_e32 v[22:23], 1, v[22:23]
	s_wait_loadcnt 0x0
	v_cmp_ne_u16_e32 vcc_lo, v19, v24
	v_cmp_eq_u16_e64 s0, v19, v24
	s_or_b32 s1, vcc_lo, s1
	s_delay_alu instid0(SALU_CYCLE_1) | instskip(NEXT) | instid1(SALU_CYCLE_1)
	s_and_b32 s1, exec_lo, s1
	s_or_b32 s4, s1, s4
	s_and_not1_b32 s7, s7, exec_lo
	s_and_b32 s28, s0, exec_lo
	s_mov_b64 s[0:1], s[26:27]
	s_or_b32 s7, s7, s28
	s_and_not1_b32 exec_lo, exec_lo, s4
	s_cbranch_execnz .LBB343_52
; %bb.53:
	s_or_b32 exec_lo, exec_lo, s4
	s_xor_b32 s0, s7, -1
.LBB343_54:
	s_delay_alu instid0(SALU_CYCLE_1)
	s_and_b32 s4, s0, exec_lo
.LBB343_55:
	s_or_b32 exec_lo, exec_lo, s6
	v_add_nc_u32_e32 v16, 5, v1
	s_mov_b32 s6, exec_lo
	s_delay_alu instid0(VALU_DEP_1)
	v_cmpx_gt_u32_e64 s23, v16
	s_cbranch_execz .LBB343_61
; %bb.56:
	v_cmp_ne_u32_e32 vcc_lo, 1, v29
	s_mov_b32 s0, 0
	s_cbranch_vccnz .LBB343_60
; %bb.57:
	v_mad_nc_u64_u32 v[16:17], v2, s18, s[8:9]
	v_mad_nc_u64_u32 v[22:23], v4, s18, s[8:9]
	s_add_nc_u64 s[0:1], s[18:19], -1
	s_mov_b32 s5, 0
                                        ; implicit-def: $sgpr7
	s_delay_alu instid0(VALU_DEP_2) | instskip(NEXT) | instid1(VALU_DEP_2)
	v_mad_u32 v17, v3, s18, v17
	v_mad_u32 v19, v5, s18, v23
	s_delay_alu instid0(VALU_DEP_2) | instskip(NEXT) | instid1(VALU_DEP_2)
	v_mad_u32 v17, v2, s19, v17
	v_mad_u32 v23, v4, s19, v19
.LBB343_58:                             ; =>This Inner Loop Header: Depth=1
	global_load_u8 v19, v[16:17], off
	global_load_u8 v24, v[22:23], off
	s_cmp_eq_u64 s[0:1], 0
	s_add_nc_u64 s[26:27], s[0:1], -1
	s_cselect_b32 s1, -1, 0
	s_wait_xcnt 0x1
	v_add_nc_u64_e32 v[16:17], 1, v[16:17]
	s_wait_xcnt 0x0
	v_add_nc_u64_e32 v[22:23], 1, v[22:23]
	s_wait_loadcnt 0x0
	v_cmp_ne_u16_e32 vcc_lo, v19, v24
	v_cmp_eq_u16_e64 s0, v19, v24
	s_or_b32 s1, vcc_lo, s1
	s_delay_alu instid0(SALU_CYCLE_1) | instskip(NEXT) | instid1(SALU_CYCLE_1)
	s_and_b32 s1, exec_lo, s1
	s_or_b32 s5, s1, s5
	s_and_not1_b32 s7, s7, exec_lo
	s_and_b32 s28, s0, exec_lo
	s_mov_b64 s[0:1], s[26:27]
	s_or_b32 s7, s7, s28
	s_and_not1_b32 exec_lo, exec_lo, s5
	s_cbranch_execnz .LBB343_58
; %bb.59:
	s_or_b32 exec_lo, exec_lo, s5
	s_xor_b32 s0, s7, -1
.LBB343_60:
	s_delay_alu instid0(SALU_CYCLE_1)
	s_and_b32 s5, s0, exec_lo
.LBB343_61:
	s_or_b32 exec_lo, exec_lo, s6
	v_add_nc_u32_e32 v16, 4, v1
	s_mov_b32 s7, 0
	s_mov_b32 s6, 0
	s_mov_b32 s26, exec_lo
	s_delay_alu instid0(VALU_DEP_1)
	v_cmpx_gt_u32_e64 s23, v16
	s_cbranch_execz .LBB343_67
; %bb.62:
	v_cmp_ne_u32_e32 vcc_lo, 1, v29
	s_mov_b32 s0, 0
	s_cbranch_vccnz .LBB343_66
; %bb.63:
	v_mad_nc_u64_u32 v[16:17], v8, s18, s[8:9]
	v_mad_nc_u64_u32 v[22:23], v2, s18, s[8:9]
	s_add_nc_u64 s[0:1], s[18:19], -1
                                        ; implicit-def: $sgpr27
	s_delay_alu instid0(VALU_DEP_2) | instskip(NEXT) | instid1(VALU_DEP_2)
	v_mad_u32 v17, v9, s18, v17
	v_mad_u32 v19, v3, s18, v23
	s_delay_alu instid0(VALU_DEP_2) | instskip(NEXT) | instid1(VALU_DEP_2)
	v_mad_u32 v17, v8, s19, v17
	v_mad_u32 v23, v2, s19, v19
.LBB343_64:                             ; =>This Inner Loop Header: Depth=1
	global_load_u8 v19, v[16:17], off
	global_load_u8 v24, v[22:23], off
	s_cmp_eq_u64 s[0:1], 0
	s_add_nc_u64 s[28:29], s[0:1], -1
	s_cselect_b32 s1, -1, 0
	s_wait_xcnt 0x1
	v_add_nc_u64_e32 v[16:17], 1, v[16:17]
	s_wait_xcnt 0x0
	v_add_nc_u64_e32 v[22:23], 1, v[22:23]
	s_wait_loadcnt 0x0
	v_cmp_ne_u16_e32 vcc_lo, v19, v24
	v_cmp_eq_u16_e64 s0, v19, v24
	s_or_b32 s1, vcc_lo, s1
	s_delay_alu instid0(SALU_CYCLE_1) | instskip(NEXT) | instid1(SALU_CYCLE_1)
	s_and_b32 s1, exec_lo, s1
	s_or_b32 s6, s1, s6
	s_and_not1_b32 s27, s27, exec_lo
	s_and_b32 s30, s0, exec_lo
	s_mov_b64 s[0:1], s[28:29]
	s_or_b32 s27, s27, s30
	s_and_not1_b32 exec_lo, exec_lo, s6
	s_cbranch_execnz .LBB343_64
; %bb.65:
	s_or_b32 exec_lo, exec_lo, s6
	s_xor_b32 s0, s27, -1
.LBB343_66:
	s_delay_alu instid0(SALU_CYCLE_1)
	s_and_b32 s6, s0, exec_lo
.LBB343_67:
	s_or_b32 exec_lo, exec_lo, s26
	v_add_nc_u32_e32 v16, 3, v1
	s_mov_b32 s26, exec_lo
	s_delay_alu instid0(VALU_DEP_1)
	v_cmpx_gt_u32_e64 s23, v16
	s_cbranch_execz .LBB343_73
; %bb.68:
	v_cmp_ne_u32_e32 vcc_lo, 1, v29
	s_mov_b32 s0, 0
	s_cbranch_vccnz .LBB343_72
; %bb.69:
	v_mad_nc_u64_u32 v[16:17], v6, s18, s[8:9]
	v_mad_nc_u64_u32 v[22:23], v8, s18, s[8:9]
	s_add_nc_u64 s[0:1], s[18:19], -1
	s_mov_b32 s7, 0
                                        ; implicit-def: $sgpr27
	s_delay_alu instid0(VALU_DEP_2) | instskip(NEXT) | instid1(VALU_DEP_2)
	v_mad_u32 v17, v7, s18, v17
	v_mad_u32 v19, v9, s18, v23
	s_delay_alu instid0(VALU_DEP_2) | instskip(NEXT) | instid1(VALU_DEP_2)
	v_mad_u32 v17, v6, s19, v17
	v_mad_u32 v23, v8, s19, v19
.LBB343_70:                             ; =>This Inner Loop Header: Depth=1
	global_load_u8 v19, v[16:17], off
	global_load_u8 v24, v[22:23], off
	s_cmp_eq_u64 s[0:1], 0
	s_add_nc_u64 s[28:29], s[0:1], -1
	s_cselect_b32 s1, -1, 0
	s_wait_xcnt 0x1
	v_add_nc_u64_e32 v[16:17], 1, v[16:17]
	s_wait_xcnt 0x0
	v_add_nc_u64_e32 v[22:23], 1, v[22:23]
	s_wait_loadcnt 0x0
	v_cmp_ne_u16_e32 vcc_lo, v19, v24
	v_cmp_eq_u16_e64 s0, v19, v24
	s_or_b32 s1, vcc_lo, s1
	s_delay_alu instid0(SALU_CYCLE_1) | instskip(NEXT) | instid1(SALU_CYCLE_1)
	s_and_b32 s1, exec_lo, s1
	s_or_b32 s7, s1, s7
	s_and_not1_b32 s27, s27, exec_lo
	s_and_b32 s30, s0, exec_lo
	s_mov_b64 s[0:1], s[28:29]
	s_or_b32 s27, s27, s30
	s_and_not1_b32 exec_lo, exec_lo, s7
	s_cbranch_execnz .LBB343_70
; %bb.71:
	s_or_b32 exec_lo, exec_lo, s7
	s_xor_b32 s0, s27, -1
.LBB343_72:
	s_delay_alu instid0(SALU_CYCLE_1)
	s_and_b32 s7, s0, exec_lo
.LBB343_73:
	s_or_b32 exec_lo, exec_lo, s26
	v_add_nc_u32_e32 v16, 2, v1
	s_mov_b32 s26, 0
	s_mov_b32 s27, 0
	s_mov_b32 s28, exec_lo
	s_delay_alu instid0(VALU_DEP_1)
	v_cmpx_gt_u32_e64 s23, v16
	s_cbranch_execz .LBB343_79
; %bb.74:
	v_cmp_ne_u32_e32 vcc_lo, 1, v29
	s_mov_b32 s0, 0
	s_cbranch_vccnz .LBB343_78
; %bb.75:
	v_mad_nc_u64_u32 v[16:17], v12, s18, s[8:9]
	v_mad_nc_u64_u32 v[22:23], v6, s18, s[8:9]
	s_add_nc_u64 s[0:1], s[18:19], -1
                                        ; implicit-def: $sgpr29
	s_delay_alu instid0(VALU_DEP_2) | instskip(NEXT) | instid1(VALU_DEP_2)
	v_mad_u32 v17, v13, s18, v17
	v_mad_u32 v19, v7, s18, v23
	s_delay_alu instid0(VALU_DEP_2) | instskip(NEXT) | instid1(VALU_DEP_2)
	v_mad_u32 v17, v12, s19, v17
	v_mad_u32 v23, v6, s19, v19
.LBB343_76:                             ; =>This Inner Loop Header: Depth=1
	global_load_u8 v19, v[16:17], off
	global_load_u8 v24, v[22:23], off
	s_cmp_eq_u64 s[0:1], 0
	s_add_nc_u64 s[30:31], s[0:1], -1
	s_cselect_b32 s1, -1, 0
	s_wait_xcnt 0x1
	v_add_nc_u64_e32 v[16:17], 1, v[16:17]
	s_wait_xcnt 0x0
	v_add_nc_u64_e32 v[22:23], 1, v[22:23]
	s_wait_loadcnt 0x0
	v_cmp_ne_u16_e32 vcc_lo, v19, v24
	v_cmp_eq_u16_e64 s0, v19, v24
	s_or_b32 s1, vcc_lo, s1
	s_delay_alu instid0(SALU_CYCLE_1) | instskip(NEXT) | instid1(SALU_CYCLE_1)
	s_and_b32 s1, exec_lo, s1
	s_or_b32 s27, s1, s27
	s_and_not1_b32 s29, s29, exec_lo
	s_and_b32 s33, s0, exec_lo
	s_mov_b64 s[0:1], s[30:31]
	s_or_b32 s29, s29, s33
	s_and_not1_b32 exec_lo, exec_lo, s27
	s_cbranch_execnz .LBB343_76
; %bb.77:
	s_or_b32 exec_lo, exec_lo, s27
	s_xor_b32 s0, s29, -1
.LBB343_78:
	s_delay_alu instid0(SALU_CYCLE_1)
	s_and_b32 s27, s0, exec_lo
.LBB343_79:
	s_or_b32 exec_lo, exec_lo, s28
	v_add_nc_u32_e32 v16, 1, v1
	s_mov_b32 s28, exec_lo
	s_delay_alu instid0(VALU_DEP_1)
	v_cmpx_gt_u32_e64 s23, v16
	s_cbranch_execz .LBB343_85
; %bb.80:
	v_cmp_ne_u32_e32 vcc_lo, 1, v29
	s_mov_b32 s0, 0
	s_cbranch_vccnz .LBB343_84
; %bb.81:
	v_mad_nc_u64_u32 v[16:17], v10, s18, s[8:9]
	v_mad_nc_u64_u32 v[22:23], v12, s18, s[8:9]
	s_add_nc_u64 s[0:1], s[18:19], -1
	s_mov_b32 s26, 0
                                        ; implicit-def: $sgpr29
	s_delay_alu instid0(VALU_DEP_2) | instskip(NEXT) | instid1(VALU_DEP_2)
	v_mad_u32 v17, v11, s18, v17
	v_mad_u32 v19, v13, s18, v23
	s_delay_alu instid0(VALU_DEP_2) | instskip(NEXT) | instid1(VALU_DEP_2)
	v_mad_u32 v17, v10, s19, v17
	v_mad_u32 v23, v12, s19, v19
.LBB343_82:                             ; =>This Inner Loop Header: Depth=1
	global_load_u8 v19, v[16:17], off
	global_load_u8 v24, v[22:23], off
	s_cmp_eq_u64 s[0:1], 0
	s_add_nc_u64 s[30:31], s[0:1], -1
	s_cselect_b32 s1, -1, 0
	s_wait_xcnt 0x1
	v_add_nc_u64_e32 v[16:17], 1, v[16:17]
	s_wait_xcnt 0x0
	v_add_nc_u64_e32 v[22:23], 1, v[22:23]
	s_wait_loadcnt 0x0
	v_cmp_ne_u16_e32 vcc_lo, v19, v24
	v_cmp_eq_u16_e64 s0, v19, v24
	s_or_b32 s1, vcc_lo, s1
	s_delay_alu instid0(SALU_CYCLE_1) | instskip(NEXT) | instid1(SALU_CYCLE_1)
	s_and_b32 s1, exec_lo, s1
	s_or_b32 s26, s1, s26
	s_and_not1_b32 s29, s29, exec_lo
	s_and_b32 s33, s0, exec_lo
	s_mov_b64 s[0:1], s[30:31]
	s_or_b32 s29, s29, s33
	s_and_not1_b32 exec_lo, exec_lo, s26
	s_cbranch_execnz .LBB343_82
; %bb.83:
	s_or_b32 exec_lo, exec_lo, s26
	s_xor_b32 s0, s29, -1
.LBB343_84:
	s_delay_alu instid0(SALU_CYCLE_1)
	s_and_b32 s26, s0, exec_lo
.LBB343_85:
	s_or_b32 exec_lo, exec_lo, s28
	s_wait_loadcnt_dscnt 0x0
	s_barrier_signal -1
	s_barrier_wait -1
	s_and_saveexec_b32 s0, s3
; %bb.86:
	v_add_nc_u32_e32 v16, -8, v31
	ds_load_b64 v[20:21], v16
; %bb.87:
	s_or_b32 exec_lo, exec_lo, s0
	v_cndmask_b32_e64 v16, 0, 1, s7
	v_cndmask_b32_e64 v17, 0, 1, s27
	;; [unrolled: 1-line block ×3, first 2 shown]
	s_mov_b32 s0, 0
	s_mov_b32 s7, exec_lo
	v_lshlrev_b16 v16, 8, v16
	s_delay_alu instid0(VALU_DEP_2) | instskip(NEXT) | instid1(VALU_DEP_2)
	v_lshlrev_b16 v19, 8, v19
	v_or_b32_e32 v16, v17, v16
	s_delay_alu instid0(VALU_DEP_2) | instskip(NEXT) | instid1(VALU_DEP_2)
	v_and_b32_e32 v24, 0xffff, v19
	v_lshlrev_b32_e32 v25, 16, v16
	v_cmpx_gt_u32_e64 s23, v1
	s_cbranch_execz .LBB343_93
; %bb.88:
	v_cmp_ne_u32_e32 vcc_lo, 1, v29
	s_cbranch_vccnz .LBB343_92
; %bb.89:
	s_wait_dscnt 0x0
	v_mad_nc_u64_u32 v[16:17], v20, s18, s[8:9]
	v_mad_nc_u64_u32 v[22:23], v10, s18, s[8:9]
	s_add_nc_u64 s[0:1], s[18:19], -1
	s_mov_b32 s26, 0
                                        ; implicit-def: $sgpr27
	s_delay_alu instid0(VALU_DEP_2) | instskip(NEXT) | instid1(VALU_DEP_2)
	v_mad_u32 v17, v21, s18, v17
	v_mad_u32 v19, v11, s18, v23
	s_delay_alu instid0(VALU_DEP_2) | instskip(NEXT) | instid1(VALU_DEP_2)
	v_mad_u32 v17, v20, s19, v17
	v_mad_u32 v23, v10, s19, v19
.LBB343_90:                             ; =>This Inner Loop Header: Depth=1
	global_load_u8 v19, v[16:17], off
	global_load_u8 v20, v[22:23], off
	s_cmp_eq_u64 s[0:1], 0
	s_add_nc_u64 s[28:29], s[0:1], -1
	s_cselect_b32 s1, -1, 0
	s_wait_xcnt 0x1
	v_add_nc_u64_e32 v[16:17], 1, v[16:17]
	s_wait_xcnt 0x0
	v_add_nc_u64_e32 v[22:23], 1, v[22:23]
	s_wait_loadcnt 0x0
	v_cmp_ne_u16_e32 vcc_lo, v19, v20
	v_cmp_eq_u16_e64 s0, v19, v20
	s_or_b32 s1, vcc_lo, s1
	s_delay_alu instid0(SALU_CYCLE_1) | instskip(NEXT) | instid1(SALU_CYCLE_1)
	s_and_b32 s1, exec_lo, s1
	s_or_b32 s26, s1, s26
	s_and_not1_b32 s27, s27, exec_lo
	s_and_b32 s30, s0, exec_lo
	s_mov_b64 s[0:1], s[28:29]
	s_or_b32 s27, s27, s30
	s_and_not1_b32 exec_lo, exec_lo, s26
	s_cbranch_execnz .LBB343_90
; %bb.91:
	s_or_b32 exec_lo, exec_lo, s26
	s_xor_b32 s0, s27, -1
.LBB343_92:
	s_delay_alu instid0(SALU_CYCLE_1)
	s_and_b32 s0, s0, exec_lo
.LBB343_93:
	s_or_b32 exec_lo, exec_lo, s7
	v_cndmask_b32_e64 v17, 0, 1, s6
	v_cndmask_b32_e64 v30, 0, 1, s5
	;; [unrolled: 1-line block ×3, first 2 shown]
	v_or_b32_e32 v22, v24, v25
.LBB343_94:
	s_mov_b32 s6, -1
	s_cbranch_execnz .LBB343_39
.LBB343_95:
	v_cmp_gt_i64_e64 s7, s[18:19], 0
	s_wait_dscnt 0x0
	v_mad_i32_i24 v26, 0xffffffd0, v0, v28
	s_and_b32 vcc_lo, exec_lo, s17
	ds_store_b64 v26, v[14:15]
	s_cbranch_vccz .LBB343_110
; %bb.96:
	s_and_not1_b32 vcc_lo, exec_lo, s7
	s_cbranch_vccnz .LBB343_111
; %bb.97:
	v_mad_nc_u64_u32 v[16:17], v4, s18, s[8:9]
	s_wait_loadcnt 0x0
	v_mad_nc_u64_u32 v[20:21], v14, s18, s[8:9]
	s_add_nc_u64 s[4:5], s[18:19], -1
	s_mov_b32 s27, 0
	s_mov_b64 s[0:1], s[4:5]
                                        ; implicit-def: $sgpr26
	s_delay_alu instid0(VALU_DEP_2) | instskip(NEXT) | instid1(VALU_DEP_2)
	v_mad_u32 v17, v5, s18, v17
	v_mad_u32 v19, v15, s18, v21
	s_delay_alu instid0(VALU_DEP_2) | instskip(NEXT) | instid1(VALU_DEP_2)
	v_mad_u32 v17, v4, s19, v17
	v_mad_u32 v21, v14, s19, v19
	s_delay_alu instid0(VALU_DEP_2)
	v_mov_b64_e32 v[22:23], v[16:17]
.LBB343_98:                             ; =>This Inner Loop Header: Depth=1
	global_load_u8 v19, v[22:23], off
	global_load_u8 v24, v[20:21], off
	s_cmp_eq_u64 s[0:1], 0
	s_add_nc_u64 s[28:29], s[0:1], -1
	s_cselect_b32 s1, -1, 0
	s_wait_xcnt 0x1
	v_add_nc_u64_e32 v[22:23], 1, v[22:23]
	s_wait_xcnt 0x0
	v_add_nc_u64_e32 v[20:21], 1, v[20:21]
	s_wait_loadcnt 0x0
	v_cmp_ne_u16_e32 vcc_lo, v19, v24
	v_cmp_eq_u16_e64 s0, v19, v24
	s_or_b32 s1, vcc_lo, s1
	s_delay_alu instid0(SALU_CYCLE_1) | instskip(NEXT) | instid1(SALU_CYCLE_1)
	s_and_b32 s1, exec_lo, s1
	s_or_b32 s27, s1, s27
	s_and_not1_b32 s26, s26, exec_lo
	s_and_b32 s30, s0, exec_lo
	s_mov_b64 s[0:1], s[28:29]
	s_or_b32 s26, s26, s30
	s_and_not1_b32 exec_lo, exec_lo, s27
	s_cbranch_execnz .LBB343_98
; %bb.99:
	s_or_b32 exec_lo, exec_lo, s27
	v_mad_nc_u64_u32 v[20:21], v2, s18, s[8:9]
	s_mov_b32 s28, 0
	s_mov_b64 s[0:1], s[4:5]
                                        ; implicit-def: $sgpr27
	s_delay_alu instid0(VALU_DEP_1) | instskip(NEXT) | instid1(VALU_DEP_1)
	v_mad_u32 v19, v3, s18, v21
	v_mad_u32 v21, v2, s19, v19
	s_delay_alu instid0(VALU_DEP_1)
	v_mov_b64_e32 v[22:23], v[20:21]
.LBB343_100:                            ; =>This Inner Loop Header: Depth=1
	global_load_u8 v19, v[22:23], off
	global_load_u8 v24, v[16:17], off
	s_cmp_eq_u64 s[0:1], 0
	s_add_nc_u64 s[30:31], s[0:1], -1
	s_cselect_b32 s1, -1, 0
	s_wait_xcnt 0x1
	v_add_nc_u64_e32 v[22:23], 1, v[22:23]
	s_wait_xcnt 0x0
	v_add_nc_u64_e32 v[16:17], 1, v[16:17]
	s_wait_loadcnt 0x0
	v_cmp_ne_u16_e32 vcc_lo, v19, v24
	v_cmp_eq_u16_e64 s0, v19, v24
	s_or_b32 s1, vcc_lo, s1
	s_delay_alu instid0(SALU_CYCLE_1) | instskip(NEXT) | instid1(SALU_CYCLE_1)
	s_and_b32 s1, exec_lo, s1
	s_or_b32 s28, s1, s28
	s_and_not1_b32 s27, s27, exec_lo
	s_and_b32 s29, s0, exec_lo
	s_mov_b64 s[0:1], s[30:31]
	s_or_b32 s27, s27, s29
	s_and_not1_b32 exec_lo, exec_lo, s28
	s_cbranch_execnz .LBB343_100
; %bb.101:
	s_or_b32 exec_lo, exec_lo, s28
	v_mad_nc_u64_u32 v[16:17], v8, s18, s[8:9]
	s_mov_b32 s29, 0
	s_mov_b64 s[0:1], s[4:5]
                                        ; implicit-def: $sgpr28
	s_delay_alu instid0(VALU_DEP_1) | instskip(NEXT) | instid1(VALU_DEP_1)
	v_mad_u32 v17, v9, s18, v17
	v_mad_u32 v17, v8, s19, v17
	s_delay_alu instid0(VALU_DEP_1)
	v_mov_b64_e32 v[22:23], v[16:17]
.LBB343_102:                            ; =>This Inner Loop Header: Depth=1
	global_load_u8 v19, v[22:23], off
	global_load_u8 v24, v[20:21], off
	s_cmp_eq_u64 s[0:1], 0
	s_add_nc_u64 s[30:31], s[0:1], -1
	s_cselect_b32 s1, -1, 0
	s_wait_xcnt 0x1
	v_add_nc_u64_e32 v[22:23], 1, v[22:23]
	s_wait_xcnt 0x0
	v_add_nc_u64_e32 v[20:21], 1, v[20:21]
	s_wait_loadcnt 0x0
	v_cmp_ne_u16_e32 vcc_lo, v19, v24
	v_cmp_eq_u16_e64 s0, v19, v24
	s_or_b32 s1, vcc_lo, s1
	s_delay_alu instid0(SALU_CYCLE_1) | instskip(NEXT) | instid1(SALU_CYCLE_1)
	s_and_b32 s1, exec_lo, s1
	s_or_b32 s29, s1, s29
	s_and_not1_b32 s28, s28, exec_lo
	s_and_b32 s33, s0, exec_lo
	s_mov_b64 s[0:1], s[30:31]
	s_or_b32 s28, s28, s33
	s_and_not1_b32 exec_lo, exec_lo, s29
	s_cbranch_execnz .LBB343_102
; %bb.103:
	s_or_b32 exec_lo, exec_lo, s29
	v_mad_nc_u64_u32 v[20:21], v6, s18, s[8:9]
	s_mov_b32 s30, 0
	s_mov_b64 s[0:1], s[4:5]
                                        ; implicit-def: $sgpr29
	s_delay_alu instid0(VALU_DEP_1) | instskip(NEXT) | instid1(VALU_DEP_1)
	v_mad_u32 v19, v7, s18, v21
	v_mad_u32 v21, v6, s19, v19
	s_delay_alu instid0(VALU_DEP_1)
	v_mov_b64_e32 v[22:23], v[20:21]
.LBB343_104:                            ; =>This Inner Loop Header: Depth=1
	global_load_u8 v19, v[22:23], off
	global_load_u8 v24, v[16:17], off
	s_cmp_eq_u64 s[0:1], 0
	s_add_nc_u64 s[34:35], s[0:1], -1
	s_cselect_b32 s1, -1, 0
	s_wait_xcnt 0x1
	v_add_nc_u64_e32 v[22:23], 1, v[22:23]
	s_wait_xcnt 0x0
	v_add_nc_u64_e32 v[16:17], 1, v[16:17]
	s_wait_loadcnt 0x0
	v_cmp_ne_u16_e32 vcc_lo, v19, v24
	v_cmp_eq_u16_e64 s0, v19, v24
	s_or_b32 s1, vcc_lo, s1
	s_delay_alu instid0(SALU_CYCLE_1) | instskip(NEXT) | instid1(SALU_CYCLE_1)
	s_and_b32 s1, exec_lo, s1
	s_or_b32 s30, s1, s30
	s_and_not1_b32 s29, s29, exec_lo
	s_and_b32 s31, s0, exec_lo
	s_mov_b64 s[0:1], s[34:35]
	s_or_b32 s29, s29, s31
	s_and_not1_b32 exec_lo, exec_lo, s30
	s_cbranch_execnz .LBB343_104
; %bb.105:
	s_or_b32 exec_lo, exec_lo, s30
	v_mad_nc_u64_u32 v[16:17], v12, s18, s[8:9]
	s_mov_b32 s31, 0
	s_mov_b64 s[0:1], s[4:5]
                                        ; implicit-def: $sgpr30
	s_delay_alu instid0(VALU_DEP_1) | instskip(NEXT) | instid1(VALU_DEP_1)
	v_mad_u32 v17, v13, s18, v17
	v_mad_u32 v17, v12, s19, v17
	s_delay_alu instid0(VALU_DEP_1)
	v_mov_b64_e32 v[22:23], v[16:17]
.LBB343_106:                            ; =>This Inner Loop Header: Depth=1
	global_load_u8 v19, v[22:23], off
	global_load_u8 v24, v[20:21], off
	s_cmp_eq_u64 s[0:1], 0
	s_add_nc_u64 s[34:35], s[0:1], -1
	s_cselect_b32 s1, -1, 0
	s_wait_xcnt 0x1
	v_add_nc_u64_e32 v[22:23], 1, v[22:23]
	s_wait_xcnt 0x0
	v_add_nc_u64_e32 v[20:21], 1, v[20:21]
	s_wait_loadcnt 0x0
	v_cmp_ne_u16_e32 vcc_lo, v19, v24
	v_cmp_eq_u16_e64 s0, v19, v24
	s_or_b32 s1, vcc_lo, s1
	s_delay_alu instid0(SALU_CYCLE_1) | instskip(NEXT) | instid1(SALU_CYCLE_1)
	s_and_b32 s1, exec_lo, s1
	s_or_b32 s31, s1, s31
	s_and_not1_b32 s30, s30, exec_lo
	s_and_b32 s33, s0, exec_lo
	s_mov_b64 s[0:1], s[34:35]
	s_or_b32 s30, s30, s33
	s_and_not1_b32 exec_lo, exec_lo, s31
	s_cbranch_execnz .LBB343_106
; %bb.107:
	s_or_b32 exec_lo, exec_lo, s31
	v_mad_nc_u64_u32 v[20:21], v10, s18, s[8:9]
	s_mov_b32 s31, 0
                                        ; implicit-def: $sgpr1
	s_delay_alu instid0(VALU_DEP_1) | instskip(NEXT) | instid1(VALU_DEP_1)
	v_mad_u32 v19, v11, s18, v21
	v_mad_u32 v21, v10, s19, v19
.LBB343_108:                            ; =>This Inner Loop Header: Depth=1
	global_load_u8 v19, v[20:21], off
	global_load_u8 v22, v[16:17], off
	s_cmp_eq_u64 s[4:5], 0
	s_add_nc_u64 s[34:35], s[4:5], -1
	s_cselect_b32 s4, -1, 0
	s_wait_xcnt 0x1
	v_add_nc_u64_e32 v[20:21], 1, v[20:21]
	s_wait_xcnt 0x0
	v_add_nc_u64_e32 v[16:17], 1, v[16:17]
	s_wait_loadcnt 0x0
	v_cmp_ne_u16_e32 vcc_lo, v19, v22
	v_cmp_eq_u16_e64 s0, v19, v22
	s_or_b32 s4, vcc_lo, s4
	s_delay_alu instid0(SALU_CYCLE_1) | instskip(NEXT) | instid1(SALU_CYCLE_1)
	s_and_b32 s4, exec_lo, s4
	s_or_b32 s31, s4, s31
	s_and_not1_b32 s1, s1, exec_lo
	s_and_b32 s0, s0, exec_lo
	s_mov_b64 s[4:5], s[34:35]
	s_or_b32 s1, s1, s0
	s_and_not1_b32 exec_lo, exec_lo, s31
	s_cbranch_execnz .LBB343_108
; %bb.109:
	s_or_b32 exec_lo, exec_lo, s31
	s_xor_b32 s0, s29, -1
	s_delay_alu instid0(SALU_CYCLE_1) | instskip(SKIP_1) | instid1(SALU_CYCLE_1)
	v_cndmask_b32_e64 v16, 0, 1, s0
	s_xor_b32 s0, s30, -1
	v_cndmask_b32_e64 v17, 0, 1, s0
	s_xor_b32 s0, s27, -1
	s_delay_alu instid0(VALU_DEP_2) | instskip(SKIP_2) | instid1(SALU_CYCLE_1)
	v_lshlrev_b16 v16, 8, v16
	v_cndmask_b32_e64 v30, 0, 1, s0
	s_xor_b32 s0, s26, -1
	v_cndmask_b32_e64 v19, 0, 1, s0
	s_delay_alu instid0(VALU_DEP_3) | instskip(SKIP_1) | instid1(VALU_DEP_1)
	v_lshrrev_b32_e32 v16, 8, v16
	s_xor_b32 s0, s28, -1
	v_and_b32_e32 v16, 1, v16
	s_delay_alu instid0(VALU_DEP_1) | instskip(NEXT) | instid1(VALU_DEP_1)
	v_lshlrev_b16 v16, 8, v16
	v_or_b32_e32 v16, v17, v16
	v_cndmask_b32_e64 v17, 0, 1, s0
	s_xor_b32 s0, s1, -1
	s_delay_alu instid0(VALU_DEP_2)
	v_lshlrev_b32_e32 v16, 16, v16
	s_branch .LBB343_112
.LBB343_110:
                                        ; implicit-def: $sgpr0
                                        ; implicit-def: $vgpr19
                                        ; implicit-def: $vgpr30
                                        ; implicit-def: $vgpr17
                                        ; implicit-def: $vgpr22
                                        ; implicit-def: $vgpr32
                                        ; implicit-def: $vgpr31
                                        ; implicit-def: $vgpr20
	s_cbranch_execnz .LBB343_119
	s_branch .LBB343_164
.LBB343_111:
	v_dual_mov_b32 v16, 0 :: v_dual_mov_b32 v19, 0
	v_dual_mov_b32 v30, 0 :: v_dual_mov_b32 v17, 0
	s_mov_b32 s0, 0
.LBB343_112:
	s_wait_loadcnt 0x0
	s_delay_alu instid0(VALU_DEP_1)
	v_dual_lshrrev_b32 v31, 16, v16 :: v_dual_lshrrev_b32 v20, 24, v16
	v_cndmask_b32_e64 v32, 0, 1, s0
	v_mov_b32_e32 v16, 1
	s_wait_dscnt 0x0
	s_barrier_signal -1
	s_barrier_wait -1
                                        ; implicit-def: $sgpr0
                                        ; implicit-def: $vgpr22
	s_and_saveexec_b32 s1, s3
	s_delay_alu instid0(SALU_CYCLE_1)
	s_xor_b32 s4, exec_lo, s1
	s_cbranch_execz .LBB343_118
; %bb.113:
	v_lshlrev_b16 v21, 8, v20
	v_lshlrev_b16 v22, 8, v32
	s_and_not1_b32 vcc_lo, exec_lo, s7
	s_mov_b32 s0, 0
	s_delay_alu instid0(VALU_DEP_2) | instskip(NEXT) | instid1(VALU_DEP_1)
	v_bitop3_b16 v21, v31, v21, 0xff bitop3:0xec
	v_dual_lshlrev_b32 v21, 16, v21 :: v_dual_bitop2_b32 v22, 1, v22 bitop3:0x54
	s_delay_alu instid0(VALU_DEP_1) | instskip(NEXT) | instid1(VALU_DEP_1)
	v_and_b32_e32 v22, 0xffff, v22
	v_or_b32_e32 v21, v22, v21
	s_cbranch_vccnz .LBB343_117
; %bb.114:
	v_add_nc_u32_e32 v22, -8, v26
	v_mad_nc_u64_u32 v[24:25], v10, s18, s[8:9]
	s_add_nc_u64 s[0:1], s[18:19], -1
	s_mov_b32 s5, 0
                                        ; implicit-def: $sgpr26
	ds_load_b64 v[28:29], v22
	v_mad_u32 v25, v11, s18, v25
	s_delay_alu instid0(VALU_DEP_1) | instskip(SKIP_2) | instid1(VALU_DEP_1)
	v_mad_u32 v25, v10, s19, v25
	s_wait_dscnt 0x0
	v_mad_nc_u64_u32 v[22:23], v28, s18, s[8:9]
	v_mad_u32 v23, v29, s18, v23
	s_delay_alu instid0(VALU_DEP_1)
	v_mad_u32 v23, v28, s19, v23
.LBB343_115:                            ; =>This Inner Loop Header: Depth=1
	global_load_u8 v27, v[22:23], off
	global_load_u8 v28, v[24:25], off
	s_cmp_eq_u64 s[0:1], 0
	s_add_nc_u64 s[28:29], s[0:1], -1
	s_cselect_b32 s1, -1, 0
	s_wait_xcnt 0x1
	v_add_nc_u64_e32 v[22:23], 1, v[22:23]
	s_wait_xcnt 0x0
	v_add_nc_u64_e32 v[24:25], 1, v[24:25]
	s_wait_loadcnt 0x0
	v_cmp_ne_u16_e32 vcc_lo, v27, v28
	v_cmp_eq_u16_e64 s0, v27, v28
	s_or_b32 s1, vcc_lo, s1
	s_delay_alu instid0(SALU_CYCLE_1) | instskip(NEXT) | instid1(SALU_CYCLE_1)
	s_and_b32 s1, exec_lo, s1
	s_or_b32 s5, s1, s5
	s_and_not1_b32 s26, s26, exec_lo
	s_and_b32 s27, s0, exec_lo
	s_mov_b64 s[0:1], s[28:29]
	s_or_b32 s26, s26, s27
	s_and_not1_b32 exec_lo, exec_lo, s5
	s_cbranch_execnz .LBB343_115
; %bb.116:
	s_or_b32 exec_lo, exec_lo, s5
	s_xor_b32 s0, s26, -1
.LBB343_117:
	s_delay_alu instid0(VALU_DEP_1)
	v_perm_b32 v22, v21, v21, 0x3020104
	s_or_b32 s6, s6, exec_lo
.LBB343_118:
	s_or_b32 exec_lo, exec_lo, s4
	s_branch .LBB343_164
.LBB343_119:
	v_add_nc_u32_e32 v16, 6, v1
	s_mov_b32 s5, 0
	s_mov_b32 s4, 0
	s_mov_b32 s26, exec_lo
	s_wait_xcnt 0x0
	v_cmpx_gt_u32_e64 s23, v16
	s_cbranch_execz .LBB343_125
; %bb.120:
	s_and_not1_b32 vcc_lo, exec_lo, s7
	s_mov_b32 s0, 0
	s_cbranch_vccnz .LBB343_124
; %bb.121:
	v_mad_nc_u64_u32 v[16:17], v4, s18, s[8:9]
	s_wait_loadcnt 0x0
	v_mad_nc_u64_u32 v[20:21], v14, s18, s[8:9]
	s_add_nc_u64 s[0:1], s[18:19], -1
                                        ; implicit-def: $sgpr27
	s_delay_alu instid0(VALU_DEP_2) | instskip(NEXT) | instid1(VALU_DEP_2)
	v_mad_u32 v17, v5, s18, v17
	v_mad_u32 v19, v15, s18, v21
	s_delay_alu instid0(VALU_DEP_2) | instskip(NEXT) | instid1(VALU_DEP_2)
	v_mad_u32 v17, v4, s19, v17
	v_mad_u32 v21, v14, s19, v19
.LBB343_122:                            ; =>This Inner Loop Header: Depth=1
	global_load_u8 v19, v[16:17], off
	global_load_u8 v22, v[20:21], off
	s_cmp_eq_u64 s[0:1], 0
	s_add_nc_u64 s[28:29], s[0:1], -1
	s_cselect_b32 s1, -1, 0
	s_wait_xcnt 0x1
	v_add_nc_u64_e32 v[16:17], 1, v[16:17]
	s_wait_xcnt 0x0
	v_add_nc_u64_e32 v[20:21], 1, v[20:21]
	s_wait_loadcnt 0x0
	v_cmp_ne_u16_e32 vcc_lo, v19, v22
	v_cmp_eq_u16_e64 s0, v19, v22
	s_or_b32 s1, vcc_lo, s1
	s_delay_alu instid0(SALU_CYCLE_1) | instskip(NEXT) | instid1(SALU_CYCLE_1)
	s_and_b32 s1, exec_lo, s1
	s_or_b32 s4, s1, s4
	s_and_not1_b32 s27, s27, exec_lo
	s_and_b32 s30, s0, exec_lo
	s_mov_b64 s[0:1], s[28:29]
	s_or_b32 s27, s27, s30
	s_and_not1_b32 exec_lo, exec_lo, s4
	s_cbranch_execnz .LBB343_122
; %bb.123:
	s_or_b32 exec_lo, exec_lo, s4
	s_xor_b32 s0, s27, -1
.LBB343_124:
	s_delay_alu instid0(SALU_CYCLE_1)
	s_and_b32 s4, s0, exec_lo
.LBB343_125:
	s_or_b32 exec_lo, exec_lo, s26
	v_add_nc_u32_e32 v16, 5, v1
	s_mov_b32 s26, exec_lo
	s_delay_alu instid0(VALU_DEP_1)
	v_cmpx_gt_u32_e64 s23, v16
	s_cbranch_execz .LBB343_131
; %bb.126:
	s_and_not1_b32 vcc_lo, exec_lo, s7
	s_mov_b32 s0, 0
	s_cbranch_vccnz .LBB343_130
; %bb.127:
	v_mad_nc_u64_u32 v[16:17], v2, s18, s[8:9]
	s_wait_loadcnt 0x0
	v_mad_nc_u64_u32 v[20:21], v4, s18, s[8:9]
	s_add_nc_u64 s[0:1], s[18:19], -1
	s_mov_b32 s5, 0
                                        ; implicit-def: $sgpr27
	s_delay_alu instid0(VALU_DEP_2) | instskip(NEXT) | instid1(VALU_DEP_2)
	v_mad_u32 v17, v3, s18, v17
	v_mad_u32 v19, v5, s18, v21
	s_delay_alu instid0(VALU_DEP_2) | instskip(NEXT) | instid1(VALU_DEP_2)
	v_mad_u32 v17, v2, s19, v17
	v_mad_u32 v21, v4, s19, v19
.LBB343_128:                            ; =>This Inner Loop Header: Depth=1
	global_load_u8 v19, v[16:17], off
	global_load_u8 v22, v[20:21], off
	s_cmp_eq_u64 s[0:1], 0
	s_add_nc_u64 s[28:29], s[0:1], -1
	s_cselect_b32 s1, -1, 0
	s_wait_xcnt 0x1
	v_add_nc_u64_e32 v[16:17], 1, v[16:17]
	s_wait_xcnt 0x0
	v_add_nc_u64_e32 v[20:21], 1, v[20:21]
	s_wait_loadcnt 0x0
	v_cmp_ne_u16_e32 vcc_lo, v19, v22
	v_cmp_eq_u16_e64 s0, v19, v22
	s_or_b32 s1, vcc_lo, s1
	s_delay_alu instid0(SALU_CYCLE_1) | instskip(NEXT) | instid1(SALU_CYCLE_1)
	s_and_b32 s1, exec_lo, s1
	s_or_b32 s5, s1, s5
	s_and_not1_b32 s27, s27, exec_lo
	s_and_b32 s30, s0, exec_lo
	s_mov_b64 s[0:1], s[28:29]
	s_or_b32 s27, s27, s30
	s_and_not1_b32 exec_lo, exec_lo, s5
	s_cbranch_execnz .LBB343_128
; %bb.129:
	s_or_b32 exec_lo, exec_lo, s5
	s_xor_b32 s0, s27, -1
.LBB343_130:
	s_delay_alu instid0(SALU_CYCLE_1)
	s_and_b32 s5, s0, exec_lo
.LBB343_131:
	s_or_b32 exec_lo, exec_lo, s26
	v_add_nc_u32_e32 v16, 4, v1
	s_mov_b32 s26, 0
	s_mov_b32 s27, 0
	s_mov_b32 s28, exec_lo
	s_delay_alu instid0(VALU_DEP_1)
	v_cmpx_gt_u32_e64 s23, v16
	s_cbranch_execz .LBB343_137
; %bb.132:
	s_and_not1_b32 vcc_lo, exec_lo, s7
	s_mov_b32 s0, 0
	s_cbranch_vccnz .LBB343_136
; %bb.133:
	v_mad_nc_u64_u32 v[16:17], v8, s18, s[8:9]
	s_wait_loadcnt 0x0
	v_mad_nc_u64_u32 v[20:21], v2, s18, s[8:9]
	s_add_nc_u64 s[0:1], s[18:19], -1
                                        ; implicit-def: $sgpr29
	s_delay_alu instid0(VALU_DEP_2) | instskip(NEXT) | instid1(VALU_DEP_2)
	v_mad_u32 v17, v9, s18, v17
	v_mad_u32 v19, v3, s18, v21
	s_delay_alu instid0(VALU_DEP_2) | instskip(NEXT) | instid1(VALU_DEP_2)
	v_mad_u32 v17, v8, s19, v17
	v_mad_u32 v21, v2, s19, v19
.LBB343_134:                            ; =>This Inner Loop Header: Depth=1
	global_load_u8 v19, v[16:17], off
	global_load_u8 v22, v[20:21], off
	s_cmp_eq_u64 s[0:1], 0
	s_add_nc_u64 s[30:31], s[0:1], -1
	s_cselect_b32 s1, -1, 0
	s_wait_xcnt 0x1
	v_add_nc_u64_e32 v[16:17], 1, v[16:17]
	s_wait_xcnt 0x0
	v_add_nc_u64_e32 v[20:21], 1, v[20:21]
	s_wait_loadcnt 0x0
	v_cmp_ne_u16_e32 vcc_lo, v19, v22
	v_cmp_eq_u16_e64 s0, v19, v22
	s_or_b32 s1, vcc_lo, s1
	s_delay_alu instid0(SALU_CYCLE_1) | instskip(NEXT) | instid1(SALU_CYCLE_1)
	s_and_b32 s1, exec_lo, s1
	s_or_b32 s27, s1, s27
	s_and_not1_b32 s29, s29, exec_lo
	s_and_b32 s33, s0, exec_lo
	s_mov_b64 s[0:1], s[30:31]
	s_or_b32 s29, s29, s33
	s_and_not1_b32 exec_lo, exec_lo, s27
	s_cbranch_execnz .LBB343_134
; %bb.135:
	s_or_b32 exec_lo, exec_lo, s27
	s_xor_b32 s0, s29, -1
.LBB343_136:
	s_delay_alu instid0(SALU_CYCLE_1)
	s_and_b32 s27, s0, exec_lo
.LBB343_137:
	s_or_b32 exec_lo, exec_lo, s28
	v_add_nc_u32_e32 v16, 3, v1
	s_mov_b32 s28, exec_lo
	s_delay_alu instid0(VALU_DEP_1)
	v_cmpx_gt_u32_e64 s23, v16
	s_cbranch_execz .LBB343_143
; %bb.138:
	s_and_not1_b32 vcc_lo, exec_lo, s7
	s_mov_b32 s0, 0
	s_cbranch_vccnz .LBB343_142
; %bb.139:
	v_mad_nc_u64_u32 v[16:17], v6, s18, s[8:9]
	s_wait_loadcnt 0x0
	v_mad_nc_u64_u32 v[20:21], v8, s18, s[8:9]
	s_add_nc_u64 s[0:1], s[18:19], -1
	s_mov_b32 s26, 0
                                        ; implicit-def: $sgpr29
	s_delay_alu instid0(VALU_DEP_2) | instskip(NEXT) | instid1(VALU_DEP_2)
	v_mad_u32 v17, v7, s18, v17
	v_mad_u32 v19, v9, s18, v21
	s_delay_alu instid0(VALU_DEP_2) | instskip(NEXT) | instid1(VALU_DEP_2)
	v_mad_u32 v17, v6, s19, v17
	v_mad_u32 v21, v8, s19, v19
.LBB343_140:                            ; =>This Inner Loop Header: Depth=1
	global_load_u8 v19, v[16:17], off
	global_load_u8 v22, v[20:21], off
	s_cmp_eq_u64 s[0:1], 0
	s_add_nc_u64 s[30:31], s[0:1], -1
	s_cselect_b32 s1, -1, 0
	s_wait_xcnt 0x1
	v_add_nc_u64_e32 v[16:17], 1, v[16:17]
	s_wait_xcnt 0x0
	v_add_nc_u64_e32 v[20:21], 1, v[20:21]
	s_wait_loadcnt 0x0
	v_cmp_ne_u16_e32 vcc_lo, v19, v22
	v_cmp_eq_u16_e64 s0, v19, v22
	s_or_b32 s1, vcc_lo, s1
	s_delay_alu instid0(SALU_CYCLE_1) | instskip(NEXT) | instid1(SALU_CYCLE_1)
	s_and_b32 s1, exec_lo, s1
	s_or_b32 s26, s1, s26
	s_and_not1_b32 s29, s29, exec_lo
	s_and_b32 s33, s0, exec_lo
	s_mov_b64 s[0:1], s[30:31]
	s_or_b32 s29, s29, s33
	s_and_not1_b32 exec_lo, exec_lo, s26
	s_cbranch_execnz .LBB343_140
; %bb.141:
	s_or_b32 exec_lo, exec_lo, s26
	s_xor_b32 s0, s29, -1
.LBB343_142:
	s_delay_alu instid0(SALU_CYCLE_1)
	s_and_b32 s26, s0, exec_lo
.LBB343_143:
	s_or_b32 exec_lo, exec_lo, s28
	v_add_nc_u32_e32 v16, 2, v1
	s_mov_b32 s28, 0
	s_mov_b32 s29, 0
	s_mov_b32 s30, exec_lo
	s_delay_alu instid0(VALU_DEP_1)
	v_cmpx_gt_u32_e64 s23, v16
	s_cbranch_execz .LBB343_149
; %bb.144:
	s_and_not1_b32 vcc_lo, exec_lo, s7
	s_mov_b32 s0, 0
	s_cbranch_vccnz .LBB343_148
; %bb.145:
	v_mad_nc_u64_u32 v[16:17], v12, s18, s[8:9]
	s_wait_loadcnt 0x0
	v_mad_nc_u64_u32 v[20:21], v6, s18, s[8:9]
	s_add_nc_u64 s[0:1], s[18:19], -1
                                        ; implicit-def: $sgpr31
	s_delay_alu instid0(VALU_DEP_2) | instskip(NEXT) | instid1(VALU_DEP_2)
	v_mad_u32 v17, v13, s18, v17
	v_mad_u32 v19, v7, s18, v21
	s_delay_alu instid0(VALU_DEP_2) | instskip(NEXT) | instid1(VALU_DEP_2)
	v_mad_u32 v17, v12, s19, v17
	v_mad_u32 v21, v6, s19, v19
.LBB343_146:                            ; =>This Inner Loop Header: Depth=1
	global_load_u8 v19, v[16:17], off
	global_load_u8 v22, v[20:21], off
	s_cmp_eq_u64 s[0:1], 0
	s_add_nc_u64 s[34:35], s[0:1], -1
	s_cselect_b32 s1, -1, 0
	s_wait_xcnt 0x1
	v_add_nc_u64_e32 v[16:17], 1, v[16:17]
	s_wait_xcnt 0x0
	v_add_nc_u64_e32 v[20:21], 1, v[20:21]
	s_wait_loadcnt 0x0
	v_cmp_ne_u16_e32 vcc_lo, v19, v22
	v_cmp_eq_u16_e64 s0, v19, v22
	s_or_b32 s1, vcc_lo, s1
	s_delay_alu instid0(SALU_CYCLE_1) | instskip(NEXT) | instid1(SALU_CYCLE_1)
	s_and_b32 s1, exec_lo, s1
	s_or_b32 s29, s1, s29
	s_and_not1_b32 s31, s31, exec_lo
	s_and_b32 s33, s0, exec_lo
	s_mov_b64 s[0:1], s[34:35]
	s_or_b32 s31, s31, s33
	s_and_not1_b32 exec_lo, exec_lo, s29
	s_cbranch_execnz .LBB343_146
; %bb.147:
	s_or_b32 exec_lo, exec_lo, s29
	s_xor_b32 s0, s31, -1
.LBB343_148:
	s_delay_alu instid0(SALU_CYCLE_1)
	s_and_b32 s29, s0, exec_lo
.LBB343_149:
	s_or_b32 exec_lo, exec_lo, s30
	v_add_nc_u32_e32 v16, 1, v1
	s_mov_b32 s30, exec_lo
	s_delay_alu instid0(VALU_DEP_1)
	v_cmpx_gt_u32_e64 s23, v16
	s_cbranch_execz .LBB343_155
; %bb.150:
	s_and_not1_b32 vcc_lo, exec_lo, s7
	s_mov_b32 s0, 0
	s_cbranch_vccnz .LBB343_154
; %bb.151:
	v_mad_nc_u64_u32 v[16:17], v10, s18, s[8:9]
	s_wait_loadcnt 0x0
	v_mad_nc_u64_u32 v[20:21], v12, s18, s[8:9]
	s_add_nc_u64 s[0:1], s[18:19], -1
	s_mov_b32 s28, 0
                                        ; implicit-def: $sgpr31
	s_delay_alu instid0(VALU_DEP_2) | instskip(NEXT) | instid1(VALU_DEP_2)
	v_mad_u32 v17, v11, s18, v17
	v_mad_u32 v19, v13, s18, v21
	s_delay_alu instid0(VALU_DEP_2) | instskip(NEXT) | instid1(VALU_DEP_2)
	v_mad_u32 v17, v10, s19, v17
	v_mad_u32 v21, v12, s19, v19
.LBB343_152:                            ; =>This Inner Loop Header: Depth=1
	global_load_u8 v19, v[16:17], off
	global_load_u8 v22, v[20:21], off
	s_cmp_eq_u64 s[0:1], 0
	s_add_nc_u64 s[34:35], s[0:1], -1
	s_cselect_b32 s1, -1, 0
	s_wait_xcnt 0x1
	v_add_nc_u64_e32 v[16:17], 1, v[16:17]
	s_wait_xcnt 0x0
	v_add_nc_u64_e32 v[20:21], 1, v[20:21]
	s_wait_loadcnt 0x0
	v_cmp_ne_u16_e32 vcc_lo, v19, v22
	v_cmp_eq_u16_e64 s0, v19, v22
	s_or_b32 s1, vcc_lo, s1
	s_delay_alu instid0(SALU_CYCLE_1) | instskip(NEXT) | instid1(SALU_CYCLE_1)
	s_and_b32 s1, exec_lo, s1
	s_or_b32 s28, s1, s28
	s_and_not1_b32 s31, s31, exec_lo
	s_and_b32 s33, s0, exec_lo
	s_mov_b64 s[0:1], s[34:35]
	s_or_b32 s31, s31, s33
	s_and_not1_b32 exec_lo, exec_lo, s28
	s_cbranch_execnz .LBB343_152
; %bb.153:
	s_or_b32 exec_lo, exec_lo, s28
	s_xor_b32 s0, s31, -1
.LBB343_154:
	s_delay_alu instid0(SALU_CYCLE_1)
	s_and_b32 s28, s0, exec_lo
.LBB343_155:
	s_or_b32 exec_lo, exec_lo, s30
	v_cndmask_b32_e64 v17, 0, 1, s27
	v_cndmask_b32_e64 v30, 0, 1, s5
	;; [unrolled: 1-line block ×4, first 2 shown]
	s_wait_loadcnt 0x0
	v_cndmask_b32_e64 v20, 0, 1, s26
	v_cndmask_b32_e64 v32, 0, 1, s28
	v_mov_b32_e32 v16, 1
	s_wait_dscnt 0x0
	s_barrier_signal -1
	s_barrier_wait -1
                                        ; implicit-def: $sgpr0
                                        ; implicit-def: $vgpr22
	s_and_saveexec_b32 s4, s3
	s_cbranch_execz .LBB343_163
; %bb.156:
	v_lshlrev_b16 v21, 8, v32
	v_lshlrev_b16 v22, 8, v20
	s_mov_b32 s0, 0
	s_mov_b32 s3, exec_lo
	s_delay_alu instid0(VALU_DEP_1) | instskip(NEXT) | instid1(VALU_DEP_1)
	v_or_b32_e32 v22, v31, v22
	v_dual_lshlrev_b32 v22, 16, v22 :: v_dual_bitop2_b32 v21, 1, v21 bitop3:0x54
	s_delay_alu instid0(VALU_DEP_1) | instskip(NEXT) | instid1(VALU_DEP_1)
	v_and_b32_e32 v21, 0xffff, v21
	v_or_b32_e32 v21, v21, v22
	v_cmpx_gt_u32_e64 s23, v1
	s_cbranch_execz .LBB343_162
; %bb.157:
	s_and_not1_b32 vcc_lo, exec_lo, s7
	s_cbranch_vccnz .LBB343_161
; %bb.158:
	v_add_nc_u32_e32 v22, -8, v26
	v_mad_nc_u64_u32 v[24:25], v10, s18, s[8:9]
	s_add_nc_u64 s[0:1], s[18:19], -1
	s_mov_b32 s5, 0
                                        ; implicit-def: $sgpr7
	ds_load_b64 v[26:27], v22
	v_mad_u32 v25, v11, s18, v25
	s_delay_alu instid0(VALU_DEP_1) | instskip(SKIP_2) | instid1(VALU_DEP_1)
	v_mad_u32 v25, v10, s19, v25
	s_wait_dscnt 0x0
	v_mad_nc_u64_u32 v[22:23], v26, s18, s[8:9]
	v_mad_u32 v23, v27, s18, v23
	s_delay_alu instid0(VALU_DEP_1)
	v_mad_u32 v23, v26, s19, v23
.LBB343_159:                            ; =>This Inner Loop Header: Depth=1
	global_load_u8 v26, v[22:23], off
	global_load_u8 v27, v[24:25], off
	s_cmp_eq_u64 s[0:1], 0
	s_add_nc_u64 s[8:9], s[0:1], -1
	s_cselect_b32 s1, -1, 0
	s_wait_xcnt 0x1
	v_add_nc_u64_e32 v[22:23], 1, v[22:23]
	s_wait_xcnt 0x0
	v_add_nc_u64_e32 v[24:25], 1, v[24:25]
	s_wait_loadcnt 0x0
	v_cmp_ne_u16_e32 vcc_lo, v26, v27
	v_cmp_eq_u16_e64 s0, v26, v27
	s_or_b32 s1, vcc_lo, s1
	s_delay_alu instid0(SALU_CYCLE_1) | instskip(NEXT) | instid1(SALU_CYCLE_1)
	s_and_b32 s1, exec_lo, s1
	s_or_b32 s5, s1, s5
	s_and_not1_b32 s7, s7, exec_lo
	s_and_b32 s18, s0, exec_lo
	s_mov_b64 s[0:1], s[8:9]
	s_or_b32 s7, s7, s18
	s_and_not1_b32 exec_lo, exec_lo, s5
	s_cbranch_execnz .LBB343_159
; %bb.160:
	s_or_b32 exec_lo, exec_lo, s5
	s_xor_b32 s0, s7, -1
.LBB343_161:
	s_delay_alu instid0(SALU_CYCLE_1)
	s_and_b32 s0, s0, exec_lo
.LBB343_162:
	s_or_b32 exec_lo, exec_lo, s3
	s_delay_alu instid0(VALU_DEP_2)
	v_perm_b32 v22, v21, v21, 0x3020104
	s_or_b32 s6, s6, exec_lo
.LBB343_163:
	s_or_b32 exec_lo, exec_lo, s4
.LBB343_164:
	s_wait_xcnt 0x0
	s_and_saveexec_b32 s1, s6
	s_cbranch_execz .LBB343_166
; %bb.165:
	s_wait_loadcnt_dscnt 0x0
	v_dual_lshrrev_b32 v20, 24, v22 :: v_dual_lshrrev_b32 v31, 16, v22
	v_lshrrev_b32_e32 v32, 8, v22
	v_cndmask_b32_e64 v16, 0, 1, s0
.LBB343_166:
	s_or_b32 exec_lo, exec_lo, s1
	s_delay_alu instid0(SALU_CYCLE_1)
	s_and_not1_b32 vcc_lo, exec_lo, s24
	s_cbranch_vccnz .LBB343_170
; %bb.167:
	s_delay_alu instid0(VALU_DEP_1)
	v_perm_b32 v16, v16, v32, 0xc0c0004
	s_wait_loadcnt_dscnt 0x0
	v_perm_b32 v20, v31, v20, 0xc0c0004
	v_cmp_gt_u32_e32 vcc_lo, s23, v1
	v_and_b32_e32 v19, 0xff, v19
	v_perm_b32 v17, v17, v30, 0xc0c0004
	v_add_nc_u32_e32 v21, 1, v1
	v_lshl_or_b32 v16, v20, 16, v16
	s_delay_alu instid0(VALU_DEP_4) | instskip(NEXT) | instid1(VALU_DEP_2)
	v_dual_add_nc_u32 v22, 4, v1 :: v_dual_lshlrev_b32 v19, 16, v19
	v_cndmask_b32_e32 v20, 0, v16, vcc_lo
	s_delay_alu instid0(VALU_DEP_4) | instskip(SKIP_1) | instid1(VALU_DEP_3)
	v_cmp_gt_u32_e32 vcc_lo, s23, v21
	v_add_nc_u32_e32 v21, 2, v1
	v_and_b32_e32 v20, 0xff, v20
	s_delay_alu instid0(VALU_DEP_1) | instskip(NEXT) | instid1(VALU_DEP_3)
	v_cndmask_b32_e32 v20, v20, v16, vcc_lo
	v_cmp_gt_u32_e32 vcc_lo, s23, v21
	s_delay_alu instid0(VALU_DEP_2) | instskip(SKIP_2) | instid1(VALU_DEP_3)
	v_and_b32_e32 v20, 0xffff, v20
	v_or_b32_e32 v23, v17, v19
	v_bitop3_b32 v17, v17, 0xffff00, v19 bitop3:0xc8
	v_cndmask_b32_e32 v19, v20, v16, vcc_lo
	v_cmp_gt_u32_e32 vcc_lo, s23, v22
	v_add_nc_u32_e32 v20, 5, v1
	s_delay_alu instid0(VALU_DEP_3) | instskip(SKIP_1) | instid1(VALU_DEP_3)
	v_and_b32_e32 v19, 0xffffff, v19
	v_dual_add_nc_u32 v21, 3, v1 :: v_dual_cndmask_b32 v17, v17, v23, vcc_lo
	v_cmp_gt_u32_e64 s0, s23, v20
	s_delay_alu instid0(VALU_DEP_2) | instskip(NEXT) | instid1(VALU_DEP_3)
	v_cmp_gt_u32_e64 s1, s23, v21
	v_and_b32_e32 v17, 0xffff00ff, v17
	s_or_b32 vcc_lo, s0, vcc_lo
	s_delay_alu instid0(VALU_DEP_1) | instskip(SKIP_1) | instid1(VALU_DEP_1)
	v_dual_cndmask_b32 v19, v19, v16, s1 :: v_dual_cndmask_b32 v17, v17, v23, s0
	s_mov_b32 s0, exec_lo
	v_dual_cndmask_b32 v16, v19, v16 :: v_dual_add_nc_u32 v1, 6, v1
	s_delay_alu instid0(VALU_DEP_2) | instskip(NEXT) | instid1(VALU_DEP_2)
	v_dual_lshrrev_b32 v30, 8, v17 :: v_dual_lshrrev_b32 v19, 16, v17
	v_lshrrev_b32_e32 v32, 8, v16
	v_lshrrev_b64 v[20:21], 24, v[16:17]
	v_lshrrev_b32_e32 v31, 16, v16
	v_cmpx_le_u32_e64 s23, v1
; %bb.168:
	v_mov_b32_e32 v19, 0
; %bb.169:
	s_or_b32 exec_lo, exec_lo, s0
.LBB343_170:
	s_delay_alu instid0(VALU_DEP_1)
	v_and_b32_e32 v1, 0xff, v16
	s_wait_loadcnt_dscnt 0x0
	v_and_b32_e32 v21, 0xff, v32
	v_and_b32_e32 v33, 0xff, v31
	;; [unrolled: 1-line block ×4, first 2 shown]
	v_mbcnt_lo_u32_b32 v37, -1, 0
	v_and_b32_e32 v36, 0xff, v30
	v_add3_u32 v22, v21, v1, v33
	v_and_b32_e32 v23, 0xff, v19
	s_delay_alu instid0(VALU_DEP_4) | instskip(SKIP_1) | instid1(VALU_DEP_3)
	v_dual_lshrrev_b32 v38, 5, v0 :: v_dual_bitop2_b32 v24, 15, v37 bitop3:0x40
	s_and_b32 vcc_lo, exec_lo, s25
	v_add3_u32 v22, v22, v34, v35
	s_mov_b32 s7, -1
	s_delay_alu instid0(VALU_DEP_2) | instskip(SKIP_1) | instid1(VALU_DEP_3)
	v_cmp_eq_u32_e64 s0, 0, v24
	v_cmp_lt_u32_e64 s3, 1, v24
	v_add3_u32 v39, v22, v36, v23
	v_and_b32_e32 v22, 16, v37
	v_or_b32_e32 v23, 31, v0
	v_cmp_lt_u32_e64 s4, 3, v24
	v_cmp_lt_u32_e64 s1, 7, v24
	s_barrier_signal -1
	v_cmp_eq_u32_e64 s6, 0, v22
	v_cmp_eq_u32_e64 s5, v0, v23
	s_barrier_wait -1
                                        ; implicit-def: $vgpr25
                                        ; implicit-def: $vgpr26
                                        ; implicit-def: $vgpr27
                                        ; implicit-def: $vgpr28
                                        ; implicit-def: $vgpr29
                                        ; implicit-def: $vgpr40
                                        ; implicit-def: $vgpr41
                                        ; implicit-def: $vgpr24
                                        ; implicit-def: $vgpr22
	s_cbranch_vccz .LBB343_197
; %bb.171:
	v_mov_b32_dpp v22, v39 row_shr:1 row_mask:0xf bank_mask:0xf
	s_delay_alu instid0(VALU_DEP_1) | instskip(NEXT) | instid1(VALU_DEP_1)
	v_cndmask_b32_e64 v22, v22, 0, s0
	v_add_nc_u32_e32 v22, v22, v39
	s_delay_alu instid0(VALU_DEP_1) | instskip(NEXT) | instid1(VALU_DEP_1)
	v_mov_b32_dpp v23, v22 row_shr:2 row_mask:0xf bank_mask:0xf
	v_cndmask_b32_e64 v23, 0, v23, s3
	s_delay_alu instid0(VALU_DEP_1) | instskip(NEXT) | instid1(VALU_DEP_1)
	v_add_nc_u32_e32 v22, v22, v23
	v_mov_b32_dpp v23, v22 row_shr:4 row_mask:0xf bank_mask:0xf
	s_delay_alu instid0(VALU_DEP_1) | instskip(NEXT) | instid1(VALU_DEP_1)
	v_cndmask_b32_e64 v23, 0, v23, s4
	v_add_nc_u32_e32 v22, v22, v23
	s_delay_alu instid0(VALU_DEP_1) | instskip(NEXT) | instid1(VALU_DEP_1)
	v_mov_b32_dpp v23, v22 row_shr:8 row_mask:0xf bank_mask:0xf
	v_cndmask_b32_e64 v23, 0, v23, s1
	s_delay_alu instid0(VALU_DEP_1) | instskip(SKIP_3) | instid1(VALU_DEP_1)
	v_add_nc_u32_e32 v22, v22, v23
	ds_swizzle_b32 v23, v22 offset:swizzle(BROADCAST,32,15)
	s_wait_dscnt 0x0
	v_cndmask_b32_e64 v23, v23, 0, s6
	v_add_nc_u32_e32 v22, v22, v23
	s_and_saveexec_b32 s7, s5
; %bb.172:
	v_lshlrev_b32_e32 v23, 2, v38
	ds_store_b32 v23, v22
; %bb.173:
	s_or_b32 exec_lo, exec_lo, s7
	s_delay_alu instid0(SALU_CYCLE_1)
	s_mov_b32 s7, exec_lo
	s_wait_dscnt 0x0
	s_barrier_signal -1
	s_barrier_wait -1
	v_cmpx_gt_u32_e32 16, v0
	s_cbranch_execz .LBB343_175
; %bb.174:
	v_lshlrev_b32_e32 v23, 2, v0
	ds_load_b32 v24, v23
	s_wait_dscnt 0x0
	v_mov_b32_dpp v25, v24 row_shr:1 row_mask:0xf bank_mask:0xf
	s_delay_alu instid0(VALU_DEP_1) | instskip(NEXT) | instid1(VALU_DEP_1)
	v_cndmask_b32_e64 v25, v25, 0, s0
	v_add_nc_u32_e32 v24, v25, v24
	s_delay_alu instid0(VALU_DEP_1) | instskip(NEXT) | instid1(VALU_DEP_1)
	v_mov_b32_dpp v25, v24 row_shr:2 row_mask:0xf bank_mask:0xf
	v_cndmask_b32_e64 v25, 0, v25, s3
	s_delay_alu instid0(VALU_DEP_1) | instskip(NEXT) | instid1(VALU_DEP_1)
	v_add_nc_u32_e32 v24, v24, v25
	v_mov_b32_dpp v25, v24 row_shr:4 row_mask:0xf bank_mask:0xf
	s_delay_alu instid0(VALU_DEP_1) | instskip(NEXT) | instid1(VALU_DEP_1)
	v_cndmask_b32_e64 v25, 0, v25, s4
	v_add_nc_u32_e32 v24, v24, v25
	s_delay_alu instid0(VALU_DEP_1) | instskip(NEXT) | instid1(VALU_DEP_1)
	v_mov_b32_dpp v25, v24 row_shr:8 row_mask:0xf bank_mask:0xf
	v_cndmask_b32_e64 v25, 0, v25, s1
	s_delay_alu instid0(VALU_DEP_1)
	v_add_nc_u32_e32 v24, v24, v25
	ds_store_b32 v23, v24
.LBB343_175:
	s_or_b32 exec_lo, exec_lo, s7
	s_delay_alu instid0(SALU_CYCLE_1)
	s_mov_b32 s8, exec_lo
	v_cmp_gt_u32_e32 vcc_lo, 32, v0
	s_wait_dscnt 0x0
	s_barrier_signal -1
	s_barrier_wait -1
                                        ; implicit-def: $vgpr40
	v_cmpx_lt_u32_e32 31, v0
	s_cbranch_execz .LBB343_177
; %bb.176:
	v_lshl_add_u32 v23, v38, 2, -4
	ds_load_b32 v40, v23
	s_wait_dscnt 0x0
	v_add_nc_u32_e32 v22, v40, v22
.LBB343_177:
	s_or_b32 exec_lo, exec_lo, s8
	v_sub_co_u32 v23, s7, v37, 1
	s_delay_alu instid0(VALU_DEP_1) | instskip(NEXT) | instid1(VALU_DEP_1)
	v_cmp_gt_i32_e64 s8, 0, v23
	v_cndmask_b32_e64 v23, v23, v37, s8
	s_delay_alu instid0(VALU_DEP_1)
	v_lshlrev_b32_e32 v23, 2, v23
	ds_bpermute_b32 v41, v23, v22
	s_and_saveexec_b32 s8, vcc_lo
	s_cbranch_execz .LBB343_196
; %bb.178:
	v_mov_b32_e32 v29, 0
	ds_load_b32 v22, v29 offset:60
	s_and_saveexec_b32 s9, s7
	s_cbranch_execz .LBB343_180
; %bb.179:
	s_add_co_i32 s18, s22, 32
	s_delay_alu instid0(SALU_CYCLE_1)
	v_dual_mov_b32 v23, 1 :: v_dual_mov_b32 v24, s18
	s_wait_dscnt 0x0
	global_store_b64 v24, v[22:23], s[10:11] scale_offset scope:SCOPE_DEV
.LBB343_180:
	s_wait_xcnt 0x0
	s_or_b32 exec_lo, exec_lo, s9
	v_xad_u32 v24, v37, -1, s22
	s_mov_b32 s18, 0
	s_mov_b32 s9, exec_lo
	s_delay_alu instid0(VALU_DEP_1) | instskip(SKIP_4) | instid1(VALU_DEP_1)
	v_add_nc_u32_e32 v28, 32, v24
	global_load_b64 v[26:27], v28, s[10:11] scale_offset scope:SCOPE_DEV
	s_wait_loadcnt 0x0
	v_and_b32_e32 v23, 0xff, v27
	s_wait_xcnt 0x0
	v_cmpx_eq_u16_e32 0, v23
	s_cbranch_execz .LBB343_184
; %bb.181:
	v_lshl_add_u64 v[28:29], v[28:29], 3, s[10:11]
.LBB343_182:                            ; =>This Inner Loop Header: Depth=1
	global_load_b64 v[26:27], v[28:29], off scope:SCOPE_DEV
	s_wait_loadcnt 0x0
	v_and_b32_e32 v23, 0xff, v27
	s_delay_alu instid0(VALU_DEP_1)
	v_cmp_ne_u16_e32 vcc_lo, 0, v23
	s_or_b32 s18, vcc_lo, s18
	s_wait_xcnt 0x0
	s_and_not1_b32 exec_lo, exec_lo, s18
	s_cbranch_execnz .LBB343_182
; %bb.183:
	s_or_b32 exec_lo, exec_lo, s18
.LBB343_184:
	s_delay_alu instid0(SALU_CYCLE_1)
	s_or_b32 exec_lo, exec_lo, s9
	v_cmp_ne_u32_e32 vcc_lo, 31, v37
	v_lshlrev_b32_e64 v43, v37, -1
	v_lshl_or_b32 v50, v37, 2, 64
	v_dual_add_nc_u32 v45, 2, v37 :: v_dual_add_nc_u32 v47, 4, v37
	v_add_co_ci_u32_e64 v23, null, 0, v37, vcc_lo
	v_dual_add_nc_u32 v49, 8, v37 :: v_dual_add_nc_u32 v51, 16, v37
	s_delay_alu instid0(VALU_DEP_2)
	v_lshlrev_b32_e32 v42, 2, v23
	v_and_b32_e32 v23, 0xff, v27
	ds_bpermute_b32 v25, v42, v26
	v_cmp_eq_u16_e32 vcc_lo, 2, v23
	v_and_or_b32 v23, vcc_lo, v43, 0x80000000
	v_cmp_gt_u32_e32 vcc_lo, 30, v37
	s_delay_alu instid0(VALU_DEP_2) | instskip(SKIP_1) | instid1(VALU_DEP_2)
	v_ctz_i32_b32_e32 v23, v23
	v_cndmask_b32_e64 v28, 0, 2, vcc_lo
	v_cmp_lt_u32_e32 vcc_lo, v37, v23
	s_delay_alu instid0(VALU_DEP_2) | instskip(SKIP_3) | instid1(VALU_DEP_2)
	v_add_lshl_u32 v44, v28, v37, 2
	s_wait_dscnt 0x0
	v_cndmask_b32_e32 v25, 0, v25, vcc_lo
	v_cmp_gt_u32_e32 vcc_lo, 28, v37
	v_add_nc_u32_e32 v25, v25, v26
	v_cndmask_b32_e64 v28, 0, 4, vcc_lo
	v_cmp_le_u32_e32 vcc_lo, v45, v23
	ds_bpermute_b32 v26, v44, v25
	v_add_lshl_u32 v46, v28, v37, 2
	s_wait_dscnt 0x0
	v_cndmask_b32_e32 v26, 0, v26, vcc_lo
	v_cmp_gt_u32_e32 vcc_lo, 24, v37
	v_cndmask_b32_e64 v28, 0, 8, vcc_lo
	v_cmp_le_u32_e32 vcc_lo, v47, v23
	s_delay_alu instid0(VALU_DEP_4) | instskip(NEXT) | instid1(VALU_DEP_3)
	v_add_nc_u32_e32 v25, v25, v26
	v_add_lshl_u32 v48, v28, v37, 2
	ds_bpermute_b32 v26, v46, v25
	s_wait_dscnt 0x0
	v_cndmask_b32_e32 v26, 0, v26, vcc_lo
	v_cmp_le_u32_e32 vcc_lo, v49, v23
	s_delay_alu instid0(VALU_DEP_2) | instskip(SKIP_4) | instid1(VALU_DEP_2)
	v_add_nc_u32_e32 v25, v25, v26
	ds_bpermute_b32 v26, v48, v25
	s_wait_dscnt 0x0
	v_cndmask_b32_e32 v26, 0, v26, vcc_lo
	v_cmp_le_u32_e32 vcc_lo, v51, v23
	v_add_nc_u32_e32 v25, v25, v26
	ds_bpermute_b32 v26, v50, v25
	s_wait_dscnt 0x0
	v_cndmask_b32_e32 v23, 0, v26, vcc_lo
	s_delay_alu instid0(VALU_DEP_1)
	v_dual_mov_b32 v25, 0 :: v_dual_add_nc_u32 v26, v25, v23
	s_branch .LBB343_187
.LBB343_185:                            ;   in Loop: Header=BB343_187 Depth=1
	s_or_b32 exec_lo, exec_lo, s9
	v_and_b32_e32 v28, 0xff, v27
	ds_bpermute_b32 v29, v42, v26
	v_subrev_nc_u32_e32 v24, 32, v24
	s_mov_b32 s9, 0
	v_cmp_eq_u16_e32 vcc_lo, 2, v28
	v_and_or_b32 v28, vcc_lo, v43, 0x80000000
	s_delay_alu instid0(VALU_DEP_1) | instskip(NEXT) | instid1(VALU_DEP_1)
	v_ctz_i32_b32_e32 v28, v28
	v_cmp_lt_u32_e32 vcc_lo, v37, v28
	s_wait_dscnt 0x0
	v_cndmask_b32_e32 v29, 0, v29, vcc_lo
	v_cmp_le_u32_e32 vcc_lo, v45, v28
	s_delay_alu instid0(VALU_DEP_2) | instskip(SKIP_4) | instid1(VALU_DEP_2)
	v_add_nc_u32_e32 v26, v29, v26
	ds_bpermute_b32 v29, v44, v26
	s_wait_dscnt 0x0
	v_cndmask_b32_e32 v29, 0, v29, vcc_lo
	v_cmp_le_u32_e32 vcc_lo, v47, v28
	v_add_nc_u32_e32 v26, v26, v29
	ds_bpermute_b32 v29, v46, v26
	s_wait_dscnt 0x0
	v_cndmask_b32_e32 v29, 0, v29, vcc_lo
	v_cmp_le_u32_e32 vcc_lo, v49, v28
	s_delay_alu instid0(VALU_DEP_2) | instskip(SKIP_4) | instid1(VALU_DEP_2)
	v_add_nc_u32_e32 v26, v26, v29
	ds_bpermute_b32 v29, v48, v26
	s_wait_dscnt 0x0
	v_cndmask_b32_e32 v29, 0, v29, vcc_lo
	v_cmp_le_u32_e32 vcc_lo, v51, v28
	v_add_nc_u32_e32 v26, v26, v29
	ds_bpermute_b32 v29, v50, v26
	s_wait_dscnt 0x0
	v_cndmask_b32_e32 v28, 0, v29, vcc_lo
	s_delay_alu instid0(VALU_DEP_1)
	v_add3_u32 v26, v28, v23, v26
.LBB343_186:                            ;   in Loop: Header=BB343_187 Depth=1
	s_and_b32 vcc_lo, exec_lo, s9
	s_cbranch_vccnz .LBB343_192
.LBB343_187:                            ; =>This Loop Header: Depth=1
                                        ;     Child Loop BB343_190 Depth 2
	v_and_b32_e32 v23, 0xff, v27
	s_mov_b32 s9, -1
                                        ; implicit-def: $vgpr27
	s_delay_alu instid0(VALU_DEP_1)
	v_cmp_ne_u16_e32 vcc_lo, 2, v23
	v_mov_b32_e32 v23, v26
                                        ; implicit-def: $vgpr26
	s_cmp_lg_u32 vcc_lo, exec_lo
	s_cbranch_scc1 .LBB343_186
; %bb.188:                              ;   in Loop: Header=BB343_187 Depth=1
	global_load_b64 v[26:27], v24, s[10:11] scale_offset scope:SCOPE_DEV
	s_mov_b32 s9, exec_lo
	s_wait_loadcnt 0x0
	v_and_b32_e32 v28, 0xff, v27
	s_wait_xcnt 0x0
	s_delay_alu instid0(VALU_DEP_1)
	v_cmpx_eq_u16_e32 0, v28
	s_cbranch_execz .LBB343_185
; %bb.189:                              ;   in Loop: Header=BB343_187 Depth=1
	v_lshl_add_u64 v[28:29], v[24:25], 3, s[10:11]
	s_mov_b32 s18, 0
.LBB343_190:                            ;   Parent Loop BB343_187 Depth=1
                                        ; =>  This Inner Loop Header: Depth=2
	global_load_b64 v[26:27], v[28:29], off scope:SCOPE_DEV
	s_wait_loadcnt 0x0
	v_and_b32_e32 v52, 0xff, v27
	s_delay_alu instid0(VALU_DEP_1)
	v_cmp_ne_u16_e32 vcc_lo, 0, v52
	s_or_b32 s18, vcc_lo, s18
	s_wait_xcnt 0x0
	s_and_not1_b32 exec_lo, exec_lo, s18
	s_cbranch_execnz .LBB343_190
; %bb.191:                              ;   in Loop: Header=BB343_187 Depth=1
	s_or_b32 exec_lo, exec_lo, s18
	s_branch .LBB343_185
.LBB343_192:
	s_and_saveexec_b32 s9, s7
	s_cbranch_execz .LBB343_194
; %bb.193:
	s_add_co_i32 s18, s22, 32
	v_dual_mov_b32 v25, 2 :: v_dual_add_nc_u32 v24, v23, v22
	v_dual_mov_b32 v26, s18 :: v_dual_mov_b32 v27, 0
	global_store_b64 v26, v[24:25], s[10:11] scale_offset scope:SCOPE_DEV
	ds_store_b64 v27, v[22:23] offset:28672
.LBB343_194:
	s_wait_xcnt 0x0
	s_or_b32 exec_lo, exec_lo, s9
	s_delay_alu instid0(SALU_CYCLE_1)
	s_and_b32 exec_lo, exec_lo, s2
; %bb.195:
	v_mov_b32_e32 v22, 0
	ds_store_b32 v22, v23 offset:60
.LBB343_196:
	s_or_b32 exec_lo, exec_lo, s8
	s_wait_dscnt 0x0
	v_dual_mov_b32 v22, 0 :: v_dual_cndmask_b32 v24, v41, v40, s7
	s_wait_storecnt 0x0
	s_barrier_signal -1
	s_barrier_wait -1
	ds_load_b32 v23, v22 offset:60
	v_cndmask_b32_e64 v24, v24, 0, s2
	s_wait_dscnt 0x0
	s_barrier_signal -1
	s_barrier_wait -1
	s_mov_b32 s7, 0
	v_add_nc_u32_e32 v41, v23, v24
	ds_load_b64 v[22:23], v22 offset:28672
	v_add_nc_u32_e32 v40, v41, v1
	s_delay_alu instid0(VALU_DEP_1) | instskip(NEXT) | instid1(VALU_DEP_1)
	v_add_nc_u32_e32 v29, v40, v21
	v_add_nc_u32_e32 v28, v29, v33
	s_wait_dscnt 0x0
	s_delay_alu instid0(VALU_DEP_1) | instskip(NEXT) | instid1(VALU_DEP_1)
	v_dual_mov_b32 v24, v23 :: v_dual_add_nc_u32 v27, v28, v34
	v_add_nc_u32_e32 v26, v27, v35
	s_delay_alu instid0(VALU_DEP_1)
	v_add_nc_u32_e32 v25, v26, v36
.LBB343_197:
	s_and_b32 vcc_lo, exec_lo, s7
	s_cbranch_vccz .LBB343_207
; %bb.198:
	v_mov_b32_dpp v22, v39 row_shr:1 row_mask:0xf bank_mask:0xf
	s_delay_alu instid0(VALU_DEP_1) | instskip(NEXT) | instid1(VALU_DEP_1)
	v_cndmask_b32_e64 v22, v22, 0, s0
	v_add_nc_u32_e32 v22, v22, v39
	s_delay_alu instid0(VALU_DEP_1) | instskip(NEXT) | instid1(VALU_DEP_1)
	v_mov_b32_dpp v23, v22 row_shr:2 row_mask:0xf bank_mask:0xf
	v_cndmask_b32_e64 v23, 0, v23, s3
	s_delay_alu instid0(VALU_DEP_1) | instskip(NEXT) | instid1(VALU_DEP_1)
	v_add_nc_u32_e32 v22, v22, v23
	v_mov_b32_dpp v23, v22 row_shr:4 row_mask:0xf bank_mask:0xf
	s_delay_alu instid0(VALU_DEP_1) | instskip(NEXT) | instid1(VALU_DEP_1)
	v_cndmask_b32_e64 v23, 0, v23, s4
	v_add_nc_u32_e32 v22, v22, v23
	s_delay_alu instid0(VALU_DEP_1) | instskip(NEXT) | instid1(VALU_DEP_1)
	v_mov_b32_dpp v23, v22 row_shr:8 row_mask:0xf bank_mask:0xf
	v_cndmask_b32_e64 v23, 0, v23, s1
	s_delay_alu instid0(VALU_DEP_1) | instskip(SKIP_3) | instid1(VALU_DEP_1)
	v_add_nc_u32_e32 v22, v22, v23
	ds_swizzle_b32 v23, v22 offset:swizzle(BROADCAST,32,15)
	s_wait_dscnt 0x0
	v_cndmask_b32_e64 v23, v23, 0, s6
	v_add_nc_u32_e32 v22, v22, v23
	s_and_saveexec_b32 s6, s5
; %bb.199:
	v_lshlrev_b32_e32 v23, 2, v38
	ds_store_b32 v23, v22
; %bb.200:
	s_or_b32 exec_lo, exec_lo, s6
	s_delay_alu instid0(SALU_CYCLE_1)
	s_mov_b32 s5, exec_lo
	s_wait_dscnt 0x0
	s_barrier_signal -1
	s_barrier_wait -1
	v_cmpx_gt_u32_e32 16, v0
	s_cbranch_execz .LBB343_202
; %bb.201:
	v_lshlrev_b32_e32 v23, 2, v0
	ds_load_b32 v24, v23
	s_wait_dscnt 0x0
	v_mov_b32_dpp v25, v24 row_shr:1 row_mask:0xf bank_mask:0xf
	s_delay_alu instid0(VALU_DEP_1) | instskip(NEXT) | instid1(VALU_DEP_1)
	v_cndmask_b32_e64 v25, v25, 0, s0
	v_add_nc_u32_e32 v24, v25, v24
	s_delay_alu instid0(VALU_DEP_1) | instskip(NEXT) | instid1(VALU_DEP_1)
	v_mov_b32_dpp v25, v24 row_shr:2 row_mask:0xf bank_mask:0xf
	v_cndmask_b32_e64 v25, 0, v25, s3
	s_delay_alu instid0(VALU_DEP_1) | instskip(NEXT) | instid1(VALU_DEP_1)
	v_add_nc_u32_e32 v24, v24, v25
	v_mov_b32_dpp v25, v24 row_shr:4 row_mask:0xf bank_mask:0xf
	s_delay_alu instid0(VALU_DEP_1) | instskip(NEXT) | instid1(VALU_DEP_1)
	v_cndmask_b32_e64 v25, 0, v25, s4
	v_add_nc_u32_e32 v24, v24, v25
	s_delay_alu instid0(VALU_DEP_1) | instskip(NEXT) | instid1(VALU_DEP_1)
	v_mov_b32_dpp v25, v24 row_shr:8 row_mask:0xf bank_mask:0xf
	v_cndmask_b32_e64 v25, 0, v25, s1
	s_delay_alu instid0(VALU_DEP_1)
	v_add_nc_u32_e32 v24, v24, v25
	ds_store_b32 v23, v24
.LBB343_202:
	s_or_b32 exec_lo, exec_lo, s5
	v_dual_mov_b32 v23, 0 :: v_dual_mov_b32 v24, 0
	s_mov_b32 s0, exec_lo
	s_wait_dscnt 0x0
	s_barrier_signal -1
	s_barrier_wait -1
	v_cmpx_lt_u32_e32 31, v0
; %bb.203:
	v_lshl_add_u32 v24, v38, 2, -4
	ds_load_b32 v24, v24
; %bb.204:
	s_or_b32 exec_lo, exec_lo, s0
	v_sub_co_u32 v25, vcc_lo, v37, 1
	s_wait_dscnt 0x0
	v_add_nc_u32_e32 v22, v24, v22
	s_delay_alu instid0(VALU_DEP_2) | instskip(NEXT) | instid1(VALU_DEP_1)
	v_cmp_gt_i32_e64 s0, 0, v25
	v_cndmask_b32_e64 v25, v25, v37, s0
	s_delay_alu instid0(VALU_DEP_1)
	v_lshlrev_b32_e32 v25, 2, v25
	ds_bpermute_b32 v25, v25, v22
	ds_load_b32 v22, v23 offset:60
	s_and_saveexec_b32 s0, s2
	s_cbranch_execz .LBB343_206
; %bb.205:
	v_dual_mov_b32 v26, 0 :: v_dual_mov_b32 v23, 2
	s_wait_dscnt 0x0
	global_store_b64 v26, v[22:23], s[10:11] offset:256 scope:SCOPE_DEV
.LBB343_206:
	s_wait_xcnt 0x0
	s_or_b32 exec_lo, exec_lo, s0
	s_wait_dscnt 0x1
	v_cndmask_b32_e32 v23, v25, v24, vcc_lo
	s_wait_storecnt_dscnt 0x0
	s_barrier_signal -1
	s_barrier_wait -1
	s_delay_alu instid0(VALU_DEP_1) | instskip(NEXT) | instid1(VALU_DEP_1)
	v_cndmask_b32_e64 v41, v23, 0, s2
	v_dual_mov_b32 v24, 0 :: v_dual_add_nc_u32 v40, v41, v1
	s_delay_alu instid0(VALU_DEP_1) | instskip(NEXT) | instid1(VALU_DEP_1)
	v_add_nc_u32_e32 v29, v40, v21
	v_add_nc_u32_e32 v28, v29, v33
	s_delay_alu instid0(VALU_DEP_1) | instskip(NEXT) | instid1(VALU_DEP_1)
	v_add_nc_u32_e32 v27, v28, v34
	v_add_nc_u32_e32 v26, v27, v35
	s_delay_alu instid0(VALU_DEP_1)
	v_add_nc_u32_e32 v25, v26, v36
.LBB343_207:
	v_and_b32_e32 v1, 1, v16
	v_cmp_gt_u32_e32 vcc_lo, 0x201, v22
	s_mov_b32 s1, -1
	s_delay_alu instid0(VALU_DEP_2)
	v_cmp_eq_u32_e64 s0, 1, v1
	s_cbranch_vccnz .LBB343_211
; %bb.208:
	s_and_b32 vcc_lo, exec_lo, s1
	s_cbranch_vccnz .LBB343_226
.LBB343_209:
	s_and_b32 s0, s2, s16
	s_delay_alu instid0(SALU_CYCLE_1)
	s_and_saveexec_b32 s1, s0
	s_cbranch_execnz .LBB343_243
.LBB343_210:
	s_endpgm
.LBB343_211:
	v_add_nc_u32_e32 v16, v24, v22
	s_delay_alu instid0(VALU_DEP_1) | instskip(SKIP_1) | instid1(SALU_CYCLE_1)
	v_cmp_lt_u32_e32 vcc_lo, v41, v16
	s_or_b32 s1, s17, vcc_lo
	s_and_b32 s1, s1, s0
	s_delay_alu instid0(SALU_CYCLE_1)
	s_and_saveexec_b32 s0, s1
	s_cbranch_execz .LBB343_213
; %bb.212:
	s_lshl_b64 s[4:5], s[14:15], 3
	s_delay_alu instid0(SALU_CYCLE_1)
	s_add_nc_u64 s[4:5], s[20:21], s[4:5]
	global_store_b64 v41, v[10:11], s[4:5] scale_offset
.LBB343_213:
	s_wait_xcnt 0x0
	s_or_b32 exec_lo, exec_lo, s0
	v_and_b32_e32 v21, 1, v32
	v_cmp_lt_u32_e32 vcc_lo, v40, v16
	s_delay_alu instid0(VALU_DEP_2) | instskip(SKIP_1) | instid1(SALU_CYCLE_1)
	v_cmp_eq_u32_e64 s0, 1, v21
	s_or_b32 s1, s17, vcc_lo
	s_and_b32 s1, s1, s0
	s_delay_alu instid0(SALU_CYCLE_1)
	s_and_saveexec_b32 s0, s1
	s_cbranch_execz .LBB343_215
; %bb.214:
	s_lshl_b64 s[4:5], s[14:15], 3
	s_delay_alu instid0(SALU_CYCLE_1)
	s_add_nc_u64 s[4:5], s[20:21], s[4:5]
	global_store_b64 v40, v[12:13], s[4:5] scale_offset
.LBB343_215:
	s_wait_xcnt 0x0
	s_or_b32 exec_lo, exec_lo, s0
	v_and_b32_e32 v21, 1, v31
	v_cmp_lt_u32_e32 vcc_lo, v29, v16
	s_delay_alu instid0(VALU_DEP_2) | instskip(SKIP_1) | instid1(SALU_CYCLE_1)
	v_cmp_eq_u32_e64 s0, 1, v21
	s_or_b32 s1, s17, vcc_lo
	s_and_b32 s1, s1, s0
	s_delay_alu instid0(SALU_CYCLE_1)
	s_and_saveexec_b32 s0, s1
	s_cbranch_execz .LBB343_217
; %bb.216:
	s_lshl_b64 s[4:5], s[14:15], 3
	s_delay_alu instid0(SALU_CYCLE_1)
	s_add_nc_u64 s[4:5], s[20:21], s[4:5]
	global_store_b64 v29, v[6:7], s[4:5] scale_offset
.LBB343_217:
	s_wait_xcnt 0x0
	s_or_b32 exec_lo, exec_lo, s0
	v_and_b32_e32 v21, 1, v20
	v_cmp_lt_u32_e32 vcc_lo, v28, v16
	s_delay_alu instid0(VALU_DEP_2) | instskip(SKIP_1) | instid1(SALU_CYCLE_1)
	v_cmp_eq_u32_e64 s0, 1, v21
	s_or_b32 s1, s17, vcc_lo
	s_and_b32 s1, s1, s0
	s_delay_alu instid0(SALU_CYCLE_1)
	s_and_saveexec_b32 s0, s1
	s_cbranch_execz .LBB343_219
; %bb.218:
	s_lshl_b64 s[4:5], s[14:15], 3
	s_delay_alu instid0(SALU_CYCLE_1)
	s_add_nc_u64 s[4:5], s[20:21], s[4:5]
	global_store_b64 v28, v[8:9], s[4:5] scale_offset
.LBB343_219:
	s_wait_xcnt 0x0
	s_or_b32 exec_lo, exec_lo, s0
	v_and_b32_e32 v21, 1, v17
	v_cmp_lt_u32_e32 vcc_lo, v27, v16
	s_delay_alu instid0(VALU_DEP_2) | instskip(SKIP_1) | instid1(SALU_CYCLE_1)
	v_cmp_eq_u32_e64 s0, 1, v21
	s_or_b32 s1, s17, vcc_lo
	s_and_b32 s1, s1, s0
	s_delay_alu instid0(SALU_CYCLE_1)
	s_and_saveexec_b32 s0, s1
	s_cbranch_execz .LBB343_221
; %bb.220:
	s_lshl_b64 s[4:5], s[14:15], 3
	s_delay_alu instid0(SALU_CYCLE_1)
	s_add_nc_u64 s[4:5], s[20:21], s[4:5]
	global_store_b64 v27, v[2:3], s[4:5] scale_offset
.LBB343_221:
	s_wait_xcnt 0x0
	s_or_b32 exec_lo, exec_lo, s0
	v_and_b32_e32 v21, 1, v30
	v_cmp_lt_u32_e32 vcc_lo, v26, v16
	s_delay_alu instid0(VALU_DEP_2) | instskip(SKIP_1) | instid1(SALU_CYCLE_1)
	v_cmp_eq_u32_e64 s0, 1, v21
	s_or_b32 s1, s17, vcc_lo
	s_and_b32 s1, s1, s0
	s_delay_alu instid0(SALU_CYCLE_1)
	s_and_saveexec_b32 s0, s1
	s_cbranch_execz .LBB343_223
; %bb.222:
	s_lshl_b64 s[4:5], s[14:15], 3
	s_delay_alu instid0(SALU_CYCLE_1)
	s_add_nc_u64 s[4:5], s[20:21], s[4:5]
	global_store_b64 v26, v[4:5], s[4:5] scale_offset
.LBB343_223:
	s_wait_xcnt 0x0
	s_or_b32 exec_lo, exec_lo, s0
	v_and_b32_e32 v21, 1, v19
	v_cmp_lt_u32_e32 vcc_lo, v25, v16
	s_delay_alu instid0(VALU_DEP_2) | instskip(SKIP_1) | instid1(SALU_CYCLE_1)
	v_cmp_eq_u32_e64 s0, 1, v21
	s_or_b32 s1, s17, vcc_lo
	s_and_b32 s1, s1, s0
	s_delay_alu instid0(SALU_CYCLE_1)
	s_and_saveexec_b32 s0, s1
	s_cbranch_execz .LBB343_225
; %bb.224:
	s_lshl_b64 s[4:5], s[14:15], 3
	s_delay_alu instid0(SALU_CYCLE_1)
	s_add_nc_u64 s[4:5], s[20:21], s[4:5]
	global_store_b64 v25, v[14:15], s[4:5] scale_offset
.LBB343_225:
	s_wait_xcnt 0x0
	s_or_b32 exec_lo, exec_lo, s0
	s_branch .LBB343_209
.LBB343_226:
	s_mov_b32 s0, exec_lo
	v_cmpx_eq_u32_e32 1, v1
; %bb.227:
	v_sub_nc_u32_e32 v1, v41, v24
	s_delay_alu instid0(VALU_DEP_1)
	v_lshlrev_b32_e32 v1, 3, v1
	ds_store_b64 v1, v[10:11]
; %bb.228:
	s_or_b32 exec_lo, exec_lo, s0
	v_and_b32_e32 v1, 1, v32
	s_mov_b32 s0, exec_lo
	s_delay_alu instid0(VALU_DEP_1)
	v_cmpx_eq_u32_e32 1, v1
; %bb.229:
	v_sub_nc_u32_e32 v1, v40, v24
	s_delay_alu instid0(VALU_DEP_1)
	v_lshlrev_b32_e32 v1, 3, v1
	ds_store_b64 v1, v[12:13]
; %bb.230:
	s_or_b32 exec_lo, exec_lo, s0
	v_and_b32_e32 v1, 1, v31
	s_mov_b32 s0, exec_lo
	s_delay_alu instid0(VALU_DEP_1)
	;; [unrolled: 11-line block ×6, first 2 shown]
	v_cmpx_eq_u32_e32 1, v1
; %bb.239:
	v_sub_nc_u32_e32 v1, v25, v24
	s_delay_alu instid0(VALU_DEP_1)
	v_lshlrev_b32_e32 v1, 3, v1
	ds_store_b64 v1, v[14:15]
; %bb.240:
	s_or_b32 exec_lo, exec_lo, s0
	v_mov_b32_e32 v25, 0
	s_lshl_b64 s[0:1], s[14:15], 3
	s_wait_storecnt_dscnt 0x0
	s_barrier_signal -1
	s_barrier_wait -1
	v_lshlrev_b64_e32 v[2:3], 3, v[24:25]
	v_mov_b32_e32 v19, v25
	s_delay_alu instid0(VALU_DEP_2) | instskip(SKIP_1) | instid1(VALU_DEP_1)
	v_add_nc_u64_e32 v[2:3], s[0:1], v[2:3]
	s_mov_b32 s0, 0
	v_add_nc_u64_e32 v[2:3], s[20:21], v[2:3]
	s_delay_alu instid0(VALU_DEP_1)
	v_add_nc_u64_e32 v[2:3], v[2:3], v[18:19]
.LBB343_241:                            ; =>This Inner Loop Header: Depth=1
	ds_load_b64 v[4:5], v18
	v_add_nc_u32_e32 v0, 0x200, v0
	v_add_nc_u32_e32 v18, 0x1000, v18
	s_delay_alu instid0(VALU_DEP_2)
	v_cmp_ge_u32_e32 vcc_lo, v0, v22
	s_or_b32 s0, vcc_lo, s0
	s_wait_dscnt 0x0
	global_store_b64 v[2:3], v[4:5], off
	s_wait_xcnt 0x0
	v_add_nc_u64_e32 v[2:3], 0x1000, v[2:3]
	s_and_not1_b32 exec_lo, exec_lo, s0
	s_cbranch_execnz .LBB343_241
; %bb.242:
	s_or_b32 exec_lo, exec_lo, s0
	s_and_b32 s0, s2, s16
	s_delay_alu instid0(SALU_CYCLE_1)
	s_and_saveexec_b32 s1, s0
	s_cbranch_execz .LBB343_210
.LBB343_243:
	v_mov_b32_e32 v23, 0
	s_delay_alu instid0(VALU_DEP_1) | instskip(SKIP_1) | instid1(VALU_DEP_1)
	v_add_nc_u64_e32 v[0:1], s[14:15], v[22:23]
	v_mov_b32_e32 v25, v23
	v_add_nc_u64_e32 v[0:1], v[0:1], v[24:25]
	global_store_b64 v23, v[0:1], s[12:13]
	s_endpgm
	.section	.rodata,"a",@progbits
	.p2align	6, 0x0
	.amdhsa_kernel _ZN7rocprim17ROCPRIM_400000_NS6detail17trampoline_kernelINS0_14default_configENS1_25partition_config_selectorILNS1_17partition_subalgoE8ElNS0_10empty_typeEbEEZZNS1_14partition_implILS5_8ELb0ES3_jPlPS6_PKS6_NS0_5tupleIJS9_S6_EEENSD_IJSA_SA_EEENS0_18inequality_wrapperIZN2at6native12_GLOBAL__N_124unique_dim_cuda_templateIaEESt5tupleIJNSH_6TensorESM_SM_EERKSM_lbbbEUlllE0_EEPmJS6_EEE10hipError_tPvRmT3_T4_T5_T6_T7_T9_mT8_P12ihipStream_tbDpT10_ENKUlT_T0_E_clISt17integral_constantIbLb0EES1B_IbLb1EEEEDaS17_S18_EUlS17_E_NS1_11comp_targetILNS1_3genE0ELNS1_11target_archE4294967295ELNS1_3gpuE0ELNS1_3repE0EEENS1_30default_config_static_selectorELNS0_4arch9wavefront6targetE0EEEvT1_
		.amdhsa_group_segment_fixed_size 28680
		.amdhsa_private_segment_fixed_size 0
		.amdhsa_kernarg_size 136
		.amdhsa_user_sgpr_count 2
		.amdhsa_user_sgpr_dispatch_ptr 0
		.amdhsa_user_sgpr_queue_ptr 0
		.amdhsa_user_sgpr_kernarg_segment_ptr 1
		.amdhsa_user_sgpr_dispatch_id 0
		.amdhsa_user_sgpr_kernarg_preload_length 0
		.amdhsa_user_sgpr_kernarg_preload_offset 0
		.amdhsa_user_sgpr_private_segment_size 0
		.amdhsa_wavefront_size32 1
		.amdhsa_uses_dynamic_stack 0
		.amdhsa_enable_private_segment 0
		.amdhsa_system_sgpr_workgroup_id_x 1
		.amdhsa_system_sgpr_workgroup_id_y 0
		.amdhsa_system_sgpr_workgroup_id_z 0
		.amdhsa_system_sgpr_workgroup_info 0
		.amdhsa_system_vgpr_workitem_id 0
		.amdhsa_next_free_vgpr 53
		.amdhsa_next_free_sgpr 36
		.amdhsa_named_barrier_count 0
		.amdhsa_reserve_vcc 1
		.amdhsa_float_round_mode_32 0
		.amdhsa_float_round_mode_16_64 0
		.amdhsa_float_denorm_mode_32 3
		.amdhsa_float_denorm_mode_16_64 3
		.amdhsa_fp16_overflow 0
		.amdhsa_memory_ordered 1
		.amdhsa_forward_progress 1
		.amdhsa_inst_pref_size 88
		.amdhsa_round_robin_scheduling 0
		.amdhsa_exception_fp_ieee_invalid_op 0
		.amdhsa_exception_fp_denorm_src 0
		.amdhsa_exception_fp_ieee_div_zero 0
		.amdhsa_exception_fp_ieee_overflow 0
		.amdhsa_exception_fp_ieee_underflow 0
		.amdhsa_exception_fp_ieee_inexact 0
		.amdhsa_exception_int_div_zero 0
	.end_amdhsa_kernel
	.section	.text._ZN7rocprim17ROCPRIM_400000_NS6detail17trampoline_kernelINS0_14default_configENS1_25partition_config_selectorILNS1_17partition_subalgoE8ElNS0_10empty_typeEbEEZZNS1_14partition_implILS5_8ELb0ES3_jPlPS6_PKS6_NS0_5tupleIJS9_S6_EEENSD_IJSA_SA_EEENS0_18inequality_wrapperIZN2at6native12_GLOBAL__N_124unique_dim_cuda_templateIaEESt5tupleIJNSH_6TensorESM_SM_EERKSM_lbbbEUlllE0_EEPmJS6_EEE10hipError_tPvRmT3_T4_T5_T6_T7_T9_mT8_P12ihipStream_tbDpT10_ENKUlT_T0_E_clISt17integral_constantIbLb0EES1B_IbLb1EEEEDaS17_S18_EUlS17_E_NS1_11comp_targetILNS1_3genE0ELNS1_11target_archE4294967295ELNS1_3gpuE0ELNS1_3repE0EEENS1_30default_config_static_selectorELNS0_4arch9wavefront6targetE0EEEvT1_,"axG",@progbits,_ZN7rocprim17ROCPRIM_400000_NS6detail17trampoline_kernelINS0_14default_configENS1_25partition_config_selectorILNS1_17partition_subalgoE8ElNS0_10empty_typeEbEEZZNS1_14partition_implILS5_8ELb0ES3_jPlPS6_PKS6_NS0_5tupleIJS9_S6_EEENSD_IJSA_SA_EEENS0_18inequality_wrapperIZN2at6native12_GLOBAL__N_124unique_dim_cuda_templateIaEESt5tupleIJNSH_6TensorESM_SM_EERKSM_lbbbEUlllE0_EEPmJS6_EEE10hipError_tPvRmT3_T4_T5_T6_T7_T9_mT8_P12ihipStream_tbDpT10_ENKUlT_T0_E_clISt17integral_constantIbLb0EES1B_IbLb1EEEEDaS17_S18_EUlS17_E_NS1_11comp_targetILNS1_3genE0ELNS1_11target_archE4294967295ELNS1_3gpuE0ELNS1_3repE0EEENS1_30default_config_static_selectorELNS0_4arch9wavefront6targetE0EEEvT1_,comdat
.Lfunc_end343:
	.size	_ZN7rocprim17ROCPRIM_400000_NS6detail17trampoline_kernelINS0_14default_configENS1_25partition_config_selectorILNS1_17partition_subalgoE8ElNS0_10empty_typeEbEEZZNS1_14partition_implILS5_8ELb0ES3_jPlPS6_PKS6_NS0_5tupleIJS9_S6_EEENSD_IJSA_SA_EEENS0_18inequality_wrapperIZN2at6native12_GLOBAL__N_124unique_dim_cuda_templateIaEESt5tupleIJNSH_6TensorESM_SM_EERKSM_lbbbEUlllE0_EEPmJS6_EEE10hipError_tPvRmT3_T4_T5_T6_T7_T9_mT8_P12ihipStream_tbDpT10_ENKUlT_T0_E_clISt17integral_constantIbLb0EES1B_IbLb1EEEEDaS17_S18_EUlS17_E_NS1_11comp_targetILNS1_3genE0ELNS1_11target_archE4294967295ELNS1_3gpuE0ELNS1_3repE0EEENS1_30default_config_static_selectorELNS0_4arch9wavefront6targetE0EEEvT1_, .Lfunc_end343-_ZN7rocprim17ROCPRIM_400000_NS6detail17trampoline_kernelINS0_14default_configENS1_25partition_config_selectorILNS1_17partition_subalgoE8ElNS0_10empty_typeEbEEZZNS1_14partition_implILS5_8ELb0ES3_jPlPS6_PKS6_NS0_5tupleIJS9_S6_EEENSD_IJSA_SA_EEENS0_18inequality_wrapperIZN2at6native12_GLOBAL__N_124unique_dim_cuda_templateIaEESt5tupleIJNSH_6TensorESM_SM_EERKSM_lbbbEUlllE0_EEPmJS6_EEE10hipError_tPvRmT3_T4_T5_T6_T7_T9_mT8_P12ihipStream_tbDpT10_ENKUlT_T0_E_clISt17integral_constantIbLb0EES1B_IbLb1EEEEDaS17_S18_EUlS17_E_NS1_11comp_targetILNS1_3genE0ELNS1_11target_archE4294967295ELNS1_3gpuE0ELNS1_3repE0EEENS1_30default_config_static_selectorELNS0_4arch9wavefront6targetE0EEEvT1_
                                        ; -- End function
	.set _ZN7rocprim17ROCPRIM_400000_NS6detail17trampoline_kernelINS0_14default_configENS1_25partition_config_selectorILNS1_17partition_subalgoE8ElNS0_10empty_typeEbEEZZNS1_14partition_implILS5_8ELb0ES3_jPlPS6_PKS6_NS0_5tupleIJS9_S6_EEENSD_IJSA_SA_EEENS0_18inequality_wrapperIZN2at6native12_GLOBAL__N_124unique_dim_cuda_templateIaEESt5tupleIJNSH_6TensorESM_SM_EERKSM_lbbbEUlllE0_EEPmJS6_EEE10hipError_tPvRmT3_T4_T5_T6_T7_T9_mT8_P12ihipStream_tbDpT10_ENKUlT_T0_E_clISt17integral_constantIbLb0EES1B_IbLb1EEEEDaS17_S18_EUlS17_E_NS1_11comp_targetILNS1_3genE0ELNS1_11target_archE4294967295ELNS1_3gpuE0ELNS1_3repE0EEENS1_30default_config_static_selectorELNS0_4arch9wavefront6targetE0EEEvT1_.num_vgpr, 53
	.set _ZN7rocprim17ROCPRIM_400000_NS6detail17trampoline_kernelINS0_14default_configENS1_25partition_config_selectorILNS1_17partition_subalgoE8ElNS0_10empty_typeEbEEZZNS1_14partition_implILS5_8ELb0ES3_jPlPS6_PKS6_NS0_5tupleIJS9_S6_EEENSD_IJSA_SA_EEENS0_18inequality_wrapperIZN2at6native12_GLOBAL__N_124unique_dim_cuda_templateIaEESt5tupleIJNSH_6TensorESM_SM_EERKSM_lbbbEUlllE0_EEPmJS6_EEE10hipError_tPvRmT3_T4_T5_T6_T7_T9_mT8_P12ihipStream_tbDpT10_ENKUlT_T0_E_clISt17integral_constantIbLb0EES1B_IbLb1EEEEDaS17_S18_EUlS17_E_NS1_11comp_targetILNS1_3genE0ELNS1_11target_archE4294967295ELNS1_3gpuE0ELNS1_3repE0EEENS1_30default_config_static_selectorELNS0_4arch9wavefront6targetE0EEEvT1_.num_agpr, 0
	.set _ZN7rocprim17ROCPRIM_400000_NS6detail17trampoline_kernelINS0_14default_configENS1_25partition_config_selectorILNS1_17partition_subalgoE8ElNS0_10empty_typeEbEEZZNS1_14partition_implILS5_8ELb0ES3_jPlPS6_PKS6_NS0_5tupleIJS9_S6_EEENSD_IJSA_SA_EEENS0_18inequality_wrapperIZN2at6native12_GLOBAL__N_124unique_dim_cuda_templateIaEESt5tupleIJNSH_6TensorESM_SM_EERKSM_lbbbEUlllE0_EEPmJS6_EEE10hipError_tPvRmT3_T4_T5_T6_T7_T9_mT8_P12ihipStream_tbDpT10_ENKUlT_T0_E_clISt17integral_constantIbLb0EES1B_IbLb1EEEEDaS17_S18_EUlS17_E_NS1_11comp_targetILNS1_3genE0ELNS1_11target_archE4294967295ELNS1_3gpuE0ELNS1_3repE0EEENS1_30default_config_static_selectorELNS0_4arch9wavefront6targetE0EEEvT1_.numbered_sgpr, 36
	.set _ZN7rocprim17ROCPRIM_400000_NS6detail17trampoline_kernelINS0_14default_configENS1_25partition_config_selectorILNS1_17partition_subalgoE8ElNS0_10empty_typeEbEEZZNS1_14partition_implILS5_8ELb0ES3_jPlPS6_PKS6_NS0_5tupleIJS9_S6_EEENSD_IJSA_SA_EEENS0_18inequality_wrapperIZN2at6native12_GLOBAL__N_124unique_dim_cuda_templateIaEESt5tupleIJNSH_6TensorESM_SM_EERKSM_lbbbEUlllE0_EEPmJS6_EEE10hipError_tPvRmT3_T4_T5_T6_T7_T9_mT8_P12ihipStream_tbDpT10_ENKUlT_T0_E_clISt17integral_constantIbLb0EES1B_IbLb1EEEEDaS17_S18_EUlS17_E_NS1_11comp_targetILNS1_3genE0ELNS1_11target_archE4294967295ELNS1_3gpuE0ELNS1_3repE0EEENS1_30default_config_static_selectorELNS0_4arch9wavefront6targetE0EEEvT1_.num_named_barrier, 0
	.set _ZN7rocprim17ROCPRIM_400000_NS6detail17trampoline_kernelINS0_14default_configENS1_25partition_config_selectorILNS1_17partition_subalgoE8ElNS0_10empty_typeEbEEZZNS1_14partition_implILS5_8ELb0ES3_jPlPS6_PKS6_NS0_5tupleIJS9_S6_EEENSD_IJSA_SA_EEENS0_18inequality_wrapperIZN2at6native12_GLOBAL__N_124unique_dim_cuda_templateIaEESt5tupleIJNSH_6TensorESM_SM_EERKSM_lbbbEUlllE0_EEPmJS6_EEE10hipError_tPvRmT3_T4_T5_T6_T7_T9_mT8_P12ihipStream_tbDpT10_ENKUlT_T0_E_clISt17integral_constantIbLb0EES1B_IbLb1EEEEDaS17_S18_EUlS17_E_NS1_11comp_targetILNS1_3genE0ELNS1_11target_archE4294967295ELNS1_3gpuE0ELNS1_3repE0EEENS1_30default_config_static_selectorELNS0_4arch9wavefront6targetE0EEEvT1_.private_seg_size, 0
	.set _ZN7rocprim17ROCPRIM_400000_NS6detail17trampoline_kernelINS0_14default_configENS1_25partition_config_selectorILNS1_17partition_subalgoE8ElNS0_10empty_typeEbEEZZNS1_14partition_implILS5_8ELb0ES3_jPlPS6_PKS6_NS0_5tupleIJS9_S6_EEENSD_IJSA_SA_EEENS0_18inequality_wrapperIZN2at6native12_GLOBAL__N_124unique_dim_cuda_templateIaEESt5tupleIJNSH_6TensorESM_SM_EERKSM_lbbbEUlllE0_EEPmJS6_EEE10hipError_tPvRmT3_T4_T5_T6_T7_T9_mT8_P12ihipStream_tbDpT10_ENKUlT_T0_E_clISt17integral_constantIbLb0EES1B_IbLb1EEEEDaS17_S18_EUlS17_E_NS1_11comp_targetILNS1_3genE0ELNS1_11target_archE4294967295ELNS1_3gpuE0ELNS1_3repE0EEENS1_30default_config_static_selectorELNS0_4arch9wavefront6targetE0EEEvT1_.uses_vcc, 1
	.set _ZN7rocprim17ROCPRIM_400000_NS6detail17trampoline_kernelINS0_14default_configENS1_25partition_config_selectorILNS1_17partition_subalgoE8ElNS0_10empty_typeEbEEZZNS1_14partition_implILS5_8ELb0ES3_jPlPS6_PKS6_NS0_5tupleIJS9_S6_EEENSD_IJSA_SA_EEENS0_18inequality_wrapperIZN2at6native12_GLOBAL__N_124unique_dim_cuda_templateIaEESt5tupleIJNSH_6TensorESM_SM_EERKSM_lbbbEUlllE0_EEPmJS6_EEE10hipError_tPvRmT3_T4_T5_T6_T7_T9_mT8_P12ihipStream_tbDpT10_ENKUlT_T0_E_clISt17integral_constantIbLb0EES1B_IbLb1EEEEDaS17_S18_EUlS17_E_NS1_11comp_targetILNS1_3genE0ELNS1_11target_archE4294967295ELNS1_3gpuE0ELNS1_3repE0EEENS1_30default_config_static_selectorELNS0_4arch9wavefront6targetE0EEEvT1_.uses_flat_scratch, 0
	.set _ZN7rocprim17ROCPRIM_400000_NS6detail17trampoline_kernelINS0_14default_configENS1_25partition_config_selectorILNS1_17partition_subalgoE8ElNS0_10empty_typeEbEEZZNS1_14partition_implILS5_8ELb0ES3_jPlPS6_PKS6_NS0_5tupleIJS9_S6_EEENSD_IJSA_SA_EEENS0_18inequality_wrapperIZN2at6native12_GLOBAL__N_124unique_dim_cuda_templateIaEESt5tupleIJNSH_6TensorESM_SM_EERKSM_lbbbEUlllE0_EEPmJS6_EEE10hipError_tPvRmT3_T4_T5_T6_T7_T9_mT8_P12ihipStream_tbDpT10_ENKUlT_T0_E_clISt17integral_constantIbLb0EES1B_IbLb1EEEEDaS17_S18_EUlS17_E_NS1_11comp_targetILNS1_3genE0ELNS1_11target_archE4294967295ELNS1_3gpuE0ELNS1_3repE0EEENS1_30default_config_static_selectorELNS0_4arch9wavefront6targetE0EEEvT1_.has_dyn_sized_stack, 0
	.set _ZN7rocprim17ROCPRIM_400000_NS6detail17trampoline_kernelINS0_14default_configENS1_25partition_config_selectorILNS1_17partition_subalgoE8ElNS0_10empty_typeEbEEZZNS1_14partition_implILS5_8ELb0ES3_jPlPS6_PKS6_NS0_5tupleIJS9_S6_EEENSD_IJSA_SA_EEENS0_18inequality_wrapperIZN2at6native12_GLOBAL__N_124unique_dim_cuda_templateIaEESt5tupleIJNSH_6TensorESM_SM_EERKSM_lbbbEUlllE0_EEPmJS6_EEE10hipError_tPvRmT3_T4_T5_T6_T7_T9_mT8_P12ihipStream_tbDpT10_ENKUlT_T0_E_clISt17integral_constantIbLb0EES1B_IbLb1EEEEDaS17_S18_EUlS17_E_NS1_11comp_targetILNS1_3genE0ELNS1_11target_archE4294967295ELNS1_3gpuE0ELNS1_3repE0EEENS1_30default_config_static_selectorELNS0_4arch9wavefront6targetE0EEEvT1_.has_recursion, 0
	.set _ZN7rocprim17ROCPRIM_400000_NS6detail17trampoline_kernelINS0_14default_configENS1_25partition_config_selectorILNS1_17partition_subalgoE8ElNS0_10empty_typeEbEEZZNS1_14partition_implILS5_8ELb0ES3_jPlPS6_PKS6_NS0_5tupleIJS9_S6_EEENSD_IJSA_SA_EEENS0_18inequality_wrapperIZN2at6native12_GLOBAL__N_124unique_dim_cuda_templateIaEESt5tupleIJNSH_6TensorESM_SM_EERKSM_lbbbEUlllE0_EEPmJS6_EEE10hipError_tPvRmT3_T4_T5_T6_T7_T9_mT8_P12ihipStream_tbDpT10_ENKUlT_T0_E_clISt17integral_constantIbLb0EES1B_IbLb1EEEEDaS17_S18_EUlS17_E_NS1_11comp_targetILNS1_3genE0ELNS1_11target_archE4294967295ELNS1_3gpuE0ELNS1_3repE0EEENS1_30default_config_static_selectorELNS0_4arch9wavefront6targetE0EEEvT1_.has_indirect_call, 0
	.section	.AMDGPU.csdata,"",@progbits
; Kernel info:
; codeLenInByte = 11260
; TotalNumSgprs: 38
; NumVgprs: 53
; ScratchSize: 0
; MemoryBound: 0
; FloatMode: 240
; IeeeMode: 1
; LDSByteSize: 28680 bytes/workgroup (compile time only)
; SGPRBlocks: 0
; VGPRBlocks: 3
; NumSGPRsForWavesPerEU: 38
; NumVGPRsForWavesPerEU: 53
; NamedBarCnt: 0
; Occupancy: 16
; WaveLimiterHint : 1
; COMPUTE_PGM_RSRC2:SCRATCH_EN: 0
; COMPUTE_PGM_RSRC2:USER_SGPR: 2
; COMPUTE_PGM_RSRC2:TRAP_HANDLER: 0
; COMPUTE_PGM_RSRC2:TGID_X_EN: 1
; COMPUTE_PGM_RSRC2:TGID_Y_EN: 0
; COMPUTE_PGM_RSRC2:TGID_Z_EN: 0
; COMPUTE_PGM_RSRC2:TIDIG_COMP_CNT: 0
	.section	.text._ZN7rocprim17ROCPRIM_400000_NS6detail17trampoline_kernelINS0_14default_configENS1_25partition_config_selectorILNS1_17partition_subalgoE8ElNS0_10empty_typeEbEEZZNS1_14partition_implILS5_8ELb0ES3_jPlPS6_PKS6_NS0_5tupleIJS9_S6_EEENSD_IJSA_SA_EEENS0_18inequality_wrapperIZN2at6native12_GLOBAL__N_124unique_dim_cuda_templateIaEESt5tupleIJNSH_6TensorESM_SM_EERKSM_lbbbEUlllE0_EEPmJS6_EEE10hipError_tPvRmT3_T4_T5_T6_T7_T9_mT8_P12ihipStream_tbDpT10_ENKUlT_T0_E_clISt17integral_constantIbLb0EES1B_IbLb1EEEEDaS17_S18_EUlS17_E_NS1_11comp_targetILNS1_3genE5ELNS1_11target_archE942ELNS1_3gpuE9ELNS1_3repE0EEENS1_30default_config_static_selectorELNS0_4arch9wavefront6targetE0EEEvT1_,"axG",@progbits,_ZN7rocprim17ROCPRIM_400000_NS6detail17trampoline_kernelINS0_14default_configENS1_25partition_config_selectorILNS1_17partition_subalgoE8ElNS0_10empty_typeEbEEZZNS1_14partition_implILS5_8ELb0ES3_jPlPS6_PKS6_NS0_5tupleIJS9_S6_EEENSD_IJSA_SA_EEENS0_18inequality_wrapperIZN2at6native12_GLOBAL__N_124unique_dim_cuda_templateIaEESt5tupleIJNSH_6TensorESM_SM_EERKSM_lbbbEUlllE0_EEPmJS6_EEE10hipError_tPvRmT3_T4_T5_T6_T7_T9_mT8_P12ihipStream_tbDpT10_ENKUlT_T0_E_clISt17integral_constantIbLb0EES1B_IbLb1EEEEDaS17_S18_EUlS17_E_NS1_11comp_targetILNS1_3genE5ELNS1_11target_archE942ELNS1_3gpuE9ELNS1_3repE0EEENS1_30default_config_static_selectorELNS0_4arch9wavefront6targetE0EEEvT1_,comdat
	.globl	_ZN7rocprim17ROCPRIM_400000_NS6detail17trampoline_kernelINS0_14default_configENS1_25partition_config_selectorILNS1_17partition_subalgoE8ElNS0_10empty_typeEbEEZZNS1_14partition_implILS5_8ELb0ES3_jPlPS6_PKS6_NS0_5tupleIJS9_S6_EEENSD_IJSA_SA_EEENS0_18inequality_wrapperIZN2at6native12_GLOBAL__N_124unique_dim_cuda_templateIaEESt5tupleIJNSH_6TensorESM_SM_EERKSM_lbbbEUlllE0_EEPmJS6_EEE10hipError_tPvRmT3_T4_T5_T6_T7_T9_mT8_P12ihipStream_tbDpT10_ENKUlT_T0_E_clISt17integral_constantIbLb0EES1B_IbLb1EEEEDaS17_S18_EUlS17_E_NS1_11comp_targetILNS1_3genE5ELNS1_11target_archE942ELNS1_3gpuE9ELNS1_3repE0EEENS1_30default_config_static_selectorELNS0_4arch9wavefront6targetE0EEEvT1_ ; -- Begin function _ZN7rocprim17ROCPRIM_400000_NS6detail17trampoline_kernelINS0_14default_configENS1_25partition_config_selectorILNS1_17partition_subalgoE8ElNS0_10empty_typeEbEEZZNS1_14partition_implILS5_8ELb0ES3_jPlPS6_PKS6_NS0_5tupleIJS9_S6_EEENSD_IJSA_SA_EEENS0_18inequality_wrapperIZN2at6native12_GLOBAL__N_124unique_dim_cuda_templateIaEESt5tupleIJNSH_6TensorESM_SM_EERKSM_lbbbEUlllE0_EEPmJS6_EEE10hipError_tPvRmT3_T4_T5_T6_T7_T9_mT8_P12ihipStream_tbDpT10_ENKUlT_T0_E_clISt17integral_constantIbLb0EES1B_IbLb1EEEEDaS17_S18_EUlS17_E_NS1_11comp_targetILNS1_3genE5ELNS1_11target_archE942ELNS1_3gpuE9ELNS1_3repE0EEENS1_30default_config_static_selectorELNS0_4arch9wavefront6targetE0EEEvT1_
	.p2align	8
	.type	_ZN7rocprim17ROCPRIM_400000_NS6detail17trampoline_kernelINS0_14default_configENS1_25partition_config_selectorILNS1_17partition_subalgoE8ElNS0_10empty_typeEbEEZZNS1_14partition_implILS5_8ELb0ES3_jPlPS6_PKS6_NS0_5tupleIJS9_S6_EEENSD_IJSA_SA_EEENS0_18inequality_wrapperIZN2at6native12_GLOBAL__N_124unique_dim_cuda_templateIaEESt5tupleIJNSH_6TensorESM_SM_EERKSM_lbbbEUlllE0_EEPmJS6_EEE10hipError_tPvRmT3_T4_T5_T6_T7_T9_mT8_P12ihipStream_tbDpT10_ENKUlT_T0_E_clISt17integral_constantIbLb0EES1B_IbLb1EEEEDaS17_S18_EUlS17_E_NS1_11comp_targetILNS1_3genE5ELNS1_11target_archE942ELNS1_3gpuE9ELNS1_3repE0EEENS1_30default_config_static_selectorELNS0_4arch9wavefront6targetE0EEEvT1_,@function
_ZN7rocprim17ROCPRIM_400000_NS6detail17trampoline_kernelINS0_14default_configENS1_25partition_config_selectorILNS1_17partition_subalgoE8ElNS0_10empty_typeEbEEZZNS1_14partition_implILS5_8ELb0ES3_jPlPS6_PKS6_NS0_5tupleIJS9_S6_EEENSD_IJSA_SA_EEENS0_18inequality_wrapperIZN2at6native12_GLOBAL__N_124unique_dim_cuda_templateIaEESt5tupleIJNSH_6TensorESM_SM_EERKSM_lbbbEUlllE0_EEPmJS6_EEE10hipError_tPvRmT3_T4_T5_T6_T7_T9_mT8_P12ihipStream_tbDpT10_ENKUlT_T0_E_clISt17integral_constantIbLb0EES1B_IbLb1EEEEDaS17_S18_EUlS17_E_NS1_11comp_targetILNS1_3genE5ELNS1_11target_archE942ELNS1_3gpuE9ELNS1_3repE0EEENS1_30default_config_static_selectorELNS0_4arch9wavefront6targetE0EEEvT1_: ; @_ZN7rocprim17ROCPRIM_400000_NS6detail17trampoline_kernelINS0_14default_configENS1_25partition_config_selectorILNS1_17partition_subalgoE8ElNS0_10empty_typeEbEEZZNS1_14partition_implILS5_8ELb0ES3_jPlPS6_PKS6_NS0_5tupleIJS9_S6_EEENSD_IJSA_SA_EEENS0_18inequality_wrapperIZN2at6native12_GLOBAL__N_124unique_dim_cuda_templateIaEESt5tupleIJNSH_6TensorESM_SM_EERKSM_lbbbEUlllE0_EEPmJS6_EEE10hipError_tPvRmT3_T4_T5_T6_T7_T9_mT8_P12ihipStream_tbDpT10_ENKUlT_T0_E_clISt17integral_constantIbLb0EES1B_IbLb1EEEEDaS17_S18_EUlS17_E_NS1_11comp_targetILNS1_3genE5ELNS1_11target_archE942ELNS1_3gpuE9ELNS1_3repE0EEENS1_30default_config_static_selectorELNS0_4arch9wavefront6targetE0EEEvT1_
; %bb.0:
	.section	.rodata,"a",@progbits
	.p2align	6, 0x0
	.amdhsa_kernel _ZN7rocprim17ROCPRIM_400000_NS6detail17trampoline_kernelINS0_14default_configENS1_25partition_config_selectorILNS1_17partition_subalgoE8ElNS0_10empty_typeEbEEZZNS1_14partition_implILS5_8ELb0ES3_jPlPS6_PKS6_NS0_5tupleIJS9_S6_EEENSD_IJSA_SA_EEENS0_18inequality_wrapperIZN2at6native12_GLOBAL__N_124unique_dim_cuda_templateIaEESt5tupleIJNSH_6TensorESM_SM_EERKSM_lbbbEUlllE0_EEPmJS6_EEE10hipError_tPvRmT3_T4_T5_T6_T7_T9_mT8_P12ihipStream_tbDpT10_ENKUlT_T0_E_clISt17integral_constantIbLb0EES1B_IbLb1EEEEDaS17_S18_EUlS17_E_NS1_11comp_targetILNS1_3genE5ELNS1_11target_archE942ELNS1_3gpuE9ELNS1_3repE0EEENS1_30default_config_static_selectorELNS0_4arch9wavefront6targetE0EEEvT1_
		.amdhsa_group_segment_fixed_size 0
		.amdhsa_private_segment_fixed_size 0
		.amdhsa_kernarg_size 136
		.amdhsa_user_sgpr_count 2
		.amdhsa_user_sgpr_dispatch_ptr 0
		.amdhsa_user_sgpr_queue_ptr 0
		.amdhsa_user_sgpr_kernarg_segment_ptr 1
		.amdhsa_user_sgpr_dispatch_id 0
		.amdhsa_user_sgpr_kernarg_preload_length 0
		.amdhsa_user_sgpr_kernarg_preload_offset 0
		.amdhsa_user_sgpr_private_segment_size 0
		.amdhsa_wavefront_size32 1
		.amdhsa_uses_dynamic_stack 0
		.amdhsa_enable_private_segment 0
		.amdhsa_system_sgpr_workgroup_id_x 1
		.amdhsa_system_sgpr_workgroup_id_y 0
		.amdhsa_system_sgpr_workgroup_id_z 0
		.amdhsa_system_sgpr_workgroup_info 0
		.amdhsa_system_vgpr_workitem_id 0
		.amdhsa_next_free_vgpr 1
		.amdhsa_next_free_sgpr 1
		.amdhsa_named_barrier_count 0
		.amdhsa_reserve_vcc 0
		.amdhsa_float_round_mode_32 0
		.amdhsa_float_round_mode_16_64 0
		.amdhsa_float_denorm_mode_32 3
		.amdhsa_float_denorm_mode_16_64 3
		.amdhsa_fp16_overflow 0
		.amdhsa_memory_ordered 1
		.amdhsa_forward_progress 1
		.amdhsa_inst_pref_size 0
		.amdhsa_round_robin_scheduling 0
		.amdhsa_exception_fp_ieee_invalid_op 0
		.amdhsa_exception_fp_denorm_src 0
		.amdhsa_exception_fp_ieee_div_zero 0
		.amdhsa_exception_fp_ieee_overflow 0
		.amdhsa_exception_fp_ieee_underflow 0
		.amdhsa_exception_fp_ieee_inexact 0
		.amdhsa_exception_int_div_zero 0
	.end_amdhsa_kernel
	.section	.text._ZN7rocprim17ROCPRIM_400000_NS6detail17trampoline_kernelINS0_14default_configENS1_25partition_config_selectorILNS1_17partition_subalgoE8ElNS0_10empty_typeEbEEZZNS1_14partition_implILS5_8ELb0ES3_jPlPS6_PKS6_NS0_5tupleIJS9_S6_EEENSD_IJSA_SA_EEENS0_18inequality_wrapperIZN2at6native12_GLOBAL__N_124unique_dim_cuda_templateIaEESt5tupleIJNSH_6TensorESM_SM_EERKSM_lbbbEUlllE0_EEPmJS6_EEE10hipError_tPvRmT3_T4_T5_T6_T7_T9_mT8_P12ihipStream_tbDpT10_ENKUlT_T0_E_clISt17integral_constantIbLb0EES1B_IbLb1EEEEDaS17_S18_EUlS17_E_NS1_11comp_targetILNS1_3genE5ELNS1_11target_archE942ELNS1_3gpuE9ELNS1_3repE0EEENS1_30default_config_static_selectorELNS0_4arch9wavefront6targetE0EEEvT1_,"axG",@progbits,_ZN7rocprim17ROCPRIM_400000_NS6detail17trampoline_kernelINS0_14default_configENS1_25partition_config_selectorILNS1_17partition_subalgoE8ElNS0_10empty_typeEbEEZZNS1_14partition_implILS5_8ELb0ES3_jPlPS6_PKS6_NS0_5tupleIJS9_S6_EEENSD_IJSA_SA_EEENS0_18inequality_wrapperIZN2at6native12_GLOBAL__N_124unique_dim_cuda_templateIaEESt5tupleIJNSH_6TensorESM_SM_EERKSM_lbbbEUlllE0_EEPmJS6_EEE10hipError_tPvRmT3_T4_T5_T6_T7_T9_mT8_P12ihipStream_tbDpT10_ENKUlT_T0_E_clISt17integral_constantIbLb0EES1B_IbLb1EEEEDaS17_S18_EUlS17_E_NS1_11comp_targetILNS1_3genE5ELNS1_11target_archE942ELNS1_3gpuE9ELNS1_3repE0EEENS1_30default_config_static_selectorELNS0_4arch9wavefront6targetE0EEEvT1_,comdat
.Lfunc_end344:
	.size	_ZN7rocprim17ROCPRIM_400000_NS6detail17trampoline_kernelINS0_14default_configENS1_25partition_config_selectorILNS1_17partition_subalgoE8ElNS0_10empty_typeEbEEZZNS1_14partition_implILS5_8ELb0ES3_jPlPS6_PKS6_NS0_5tupleIJS9_S6_EEENSD_IJSA_SA_EEENS0_18inequality_wrapperIZN2at6native12_GLOBAL__N_124unique_dim_cuda_templateIaEESt5tupleIJNSH_6TensorESM_SM_EERKSM_lbbbEUlllE0_EEPmJS6_EEE10hipError_tPvRmT3_T4_T5_T6_T7_T9_mT8_P12ihipStream_tbDpT10_ENKUlT_T0_E_clISt17integral_constantIbLb0EES1B_IbLb1EEEEDaS17_S18_EUlS17_E_NS1_11comp_targetILNS1_3genE5ELNS1_11target_archE942ELNS1_3gpuE9ELNS1_3repE0EEENS1_30default_config_static_selectorELNS0_4arch9wavefront6targetE0EEEvT1_, .Lfunc_end344-_ZN7rocprim17ROCPRIM_400000_NS6detail17trampoline_kernelINS0_14default_configENS1_25partition_config_selectorILNS1_17partition_subalgoE8ElNS0_10empty_typeEbEEZZNS1_14partition_implILS5_8ELb0ES3_jPlPS6_PKS6_NS0_5tupleIJS9_S6_EEENSD_IJSA_SA_EEENS0_18inequality_wrapperIZN2at6native12_GLOBAL__N_124unique_dim_cuda_templateIaEESt5tupleIJNSH_6TensorESM_SM_EERKSM_lbbbEUlllE0_EEPmJS6_EEE10hipError_tPvRmT3_T4_T5_T6_T7_T9_mT8_P12ihipStream_tbDpT10_ENKUlT_T0_E_clISt17integral_constantIbLb0EES1B_IbLb1EEEEDaS17_S18_EUlS17_E_NS1_11comp_targetILNS1_3genE5ELNS1_11target_archE942ELNS1_3gpuE9ELNS1_3repE0EEENS1_30default_config_static_selectorELNS0_4arch9wavefront6targetE0EEEvT1_
                                        ; -- End function
	.set _ZN7rocprim17ROCPRIM_400000_NS6detail17trampoline_kernelINS0_14default_configENS1_25partition_config_selectorILNS1_17partition_subalgoE8ElNS0_10empty_typeEbEEZZNS1_14partition_implILS5_8ELb0ES3_jPlPS6_PKS6_NS0_5tupleIJS9_S6_EEENSD_IJSA_SA_EEENS0_18inequality_wrapperIZN2at6native12_GLOBAL__N_124unique_dim_cuda_templateIaEESt5tupleIJNSH_6TensorESM_SM_EERKSM_lbbbEUlllE0_EEPmJS6_EEE10hipError_tPvRmT3_T4_T5_T6_T7_T9_mT8_P12ihipStream_tbDpT10_ENKUlT_T0_E_clISt17integral_constantIbLb0EES1B_IbLb1EEEEDaS17_S18_EUlS17_E_NS1_11comp_targetILNS1_3genE5ELNS1_11target_archE942ELNS1_3gpuE9ELNS1_3repE0EEENS1_30default_config_static_selectorELNS0_4arch9wavefront6targetE0EEEvT1_.num_vgpr, 0
	.set _ZN7rocprim17ROCPRIM_400000_NS6detail17trampoline_kernelINS0_14default_configENS1_25partition_config_selectorILNS1_17partition_subalgoE8ElNS0_10empty_typeEbEEZZNS1_14partition_implILS5_8ELb0ES3_jPlPS6_PKS6_NS0_5tupleIJS9_S6_EEENSD_IJSA_SA_EEENS0_18inequality_wrapperIZN2at6native12_GLOBAL__N_124unique_dim_cuda_templateIaEESt5tupleIJNSH_6TensorESM_SM_EERKSM_lbbbEUlllE0_EEPmJS6_EEE10hipError_tPvRmT3_T4_T5_T6_T7_T9_mT8_P12ihipStream_tbDpT10_ENKUlT_T0_E_clISt17integral_constantIbLb0EES1B_IbLb1EEEEDaS17_S18_EUlS17_E_NS1_11comp_targetILNS1_3genE5ELNS1_11target_archE942ELNS1_3gpuE9ELNS1_3repE0EEENS1_30default_config_static_selectorELNS0_4arch9wavefront6targetE0EEEvT1_.num_agpr, 0
	.set _ZN7rocprim17ROCPRIM_400000_NS6detail17trampoline_kernelINS0_14default_configENS1_25partition_config_selectorILNS1_17partition_subalgoE8ElNS0_10empty_typeEbEEZZNS1_14partition_implILS5_8ELb0ES3_jPlPS6_PKS6_NS0_5tupleIJS9_S6_EEENSD_IJSA_SA_EEENS0_18inequality_wrapperIZN2at6native12_GLOBAL__N_124unique_dim_cuda_templateIaEESt5tupleIJNSH_6TensorESM_SM_EERKSM_lbbbEUlllE0_EEPmJS6_EEE10hipError_tPvRmT3_T4_T5_T6_T7_T9_mT8_P12ihipStream_tbDpT10_ENKUlT_T0_E_clISt17integral_constantIbLb0EES1B_IbLb1EEEEDaS17_S18_EUlS17_E_NS1_11comp_targetILNS1_3genE5ELNS1_11target_archE942ELNS1_3gpuE9ELNS1_3repE0EEENS1_30default_config_static_selectorELNS0_4arch9wavefront6targetE0EEEvT1_.numbered_sgpr, 0
	.set _ZN7rocprim17ROCPRIM_400000_NS6detail17trampoline_kernelINS0_14default_configENS1_25partition_config_selectorILNS1_17partition_subalgoE8ElNS0_10empty_typeEbEEZZNS1_14partition_implILS5_8ELb0ES3_jPlPS6_PKS6_NS0_5tupleIJS9_S6_EEENSD_IJSA_SA_EEENS0_18inequality_wrapperIZN2at6native12_GLOBAL__N_124unique_dim_cuda_templateIaEESt5tupleIJNSH_6TensorESM_SM_EERKSM_lbbbEUlllE0_EEPmJS6_EEE10hipError_tPvRmT3_T4_T5_T6_T7_T9_mT8_P12ihipStream_tbDpT10_ENKUlT_T0_E_clISt17integral_constantIbLb0EES1B_IbLb1EEEEDaS17_S18_EUlS17_E_NS1_11comp_targetILNS1_3genE5ELNS1_11target_archE942ELNS1_3gpuE9ELNS1_3repE0EEENS1_30default_config_static_selectorELNS0_4arch9wavefront6targetE0EEEvT1_.num_named_barrier, 0
	.set _ZN7rocprim17ROCPRIM_400000_NS6detail17trampoline_kernelINS0_14default_configENS1_25partition_config_selectorILNS1_17partition_subalgoE8ElNS0_10empty_typeEbEEZZNS1_14partition_implILS5_8ELb0ES3_jPlPS6_PKS6_NS0_5tupleIJS9_S6_EEENSD_IJSA_SA_EEENS0_18inequality_wrapperIZN2at6native12_GLOBAL__N_124unique_dim_cuda_templateIaEESt5tupleIJNSH_6TensorESM_SM_EERKSM_lbbbEUlllE0_EEPmJS6_EEE10hipError_tPvRmT3_T4_T5_T6_T7_T9_mT8_P12ihipStream_tbDpT10_ENKUlT_T0_E_clISt17integral_constantIbLb0EES1B_IbLb1EEEEDaS17_S18_EUlS17_E_NS1_11comp_targetILNS1_3genE5ELNS1_11target_archE942ELNS1_3gpuE9ELNS1_3repE0EEENS1_30default_config_static_selectorELNS0_4arch9wavefront6targetE0EEEvT1_.private_seg_size, 0
	.set _ZN7rocprim17ROCPRIM_400000_NS6detail17trampoline_kernelINS0_14default_configENS1_25partition_config_selectorILNS1_17partition_subalgoE8ElNS0_10empty_typeEbEEZZNS1_14partition_implILS5_8ELb0ES3_jPlPS6_PKS6_NS0_5tupleIJS9_S6_EEENSD_IJSA_SA_EEENS0_18inequality_wrapperIZN2at6native12_GLOBAL__N_124unique_dim_cuda_templateIaEESt5tupleIJNSH_6TensorESM_SM_EERKSM_lbbbEUlllE0_EEPmJS6_EEE10hipError_tPvRmT3_T4_T5_T6_T7_T9_mT8_P12ihipStream_tbDpT10_ENKUlT_T0_E_clISt17integral_constantIbLb0EES1B_IbLb1EEEEDaS17_S18_EUlS17_E_NS1_11comp_targetILNS1_3genE5ELNS1_11target_archE942ELNS1_3gpuE9ELNS1_3repE0EEENS1_30default_config_static_selectorELNS0_4arch9wavefront6targetE0EEEvT1_.uses_vcc, 0
	.set _ZN7rocprim17ROCPRIM_400000_NS6detail17trampoline_kernelINS0_14default_configENS1_25partition_config_selectorILNS1_17partition_subalgoE8ElNS0_10empty_typeEbEEZZNS1_14partition_implILS5_8ELb0ES3_jPlPS6_PKS6_NS0_5tupleIJS9_S6_EEENSD_IJSA_SA_EEENS0_18inequality_wrapperIZN2at6native12_GLOBAL__N_124unique_dim_cuda_templateIaEESt5tupleIJNSH_6TensorESM_SM_EERKSM_lbbbEUlllE0_EEPmJS6_EEE10hipError_tPvRmT3_T4_T5_T6_T7_T9_mT8_P12ihipStream_tbDpT10_ENKUlT_T0_E_clISt17integral_constantIbLb0EES1B_IbLb1EEEEDaS17_S18_EUlS17_E_NS1_11comp_targetILNS1_3genE5ELNS1_11target_archE942ELNS1_3gpuE9ELNS1_3repE0EEENS1_30default_config_static_selectorELNS0_4arch9wavefront6targetE0EEEvT1_.uses_flat_scratch, 0
	.set _ZN7rocprim17ROCPRIM_400000_NS6detail17trampoline_kernelINS0_14default_configENS1_25partition_config_selectorILNS1_17partition_subalgoE8ElNS0_10empty_typeEbEEZZNS1_14partition_implILS5_8ELb0ES3_jPlPS6_PKS6_NS0_5tupleIJS9_S6_EEENSD_IJSA_SA_EEENS0_18inequality_wrapperIZN2at6native12_GLOBAL__N_124unique_dim_cuda_templateIaEESt5tupleIJNSH_6TensorESM_SM_EERKSM_lbbbEUlllE0_EEPmJS6_EEE10hipError_tPvRmT3_T4_T5_T6_T7_T9_mT8_P12ihipStream_tbDpT10_ENKUlT_T0_E_clISt17integral_constantIbLb0EES1B_IbLb1EEEEDaS17_S18_EUlS17_E_NS1_11comp_targetILNS1_3genE5ELNS1_11target_archE942ELNS1_3gpuE9ELNS1_3repE0EEENS1_30default_config_static_selectorELNS0_4arch9wavefront6targetE0EEEvT1_.has_dyn_sized_stack, 0
	.set _ZN7rocprim17ROCPRIM_400000_NS6detail17trampoline_kernelINS0_14default_configENS1_25partition_config_selectorILNS1_17partition_subalgoE8ElNS0_10empty_typeEbEEZZNS1_14partition_implILS5_8ELb0ES3_jPlPS6_PKS6_NS0_5tupleIJS9_S6_EEENSD_IJSA_SA_EEENS0_18inequality_wrapperIZN2at6native12_GLOBAL__N_124unique_dim_cuda_templateIaEESt5tupleIJNSH_6TensorESM_SM_EERKSM_lbbbEUlllE0_EEPmJS6_EEE10hipError_tPvRmT3_T4_T5_T6_T7_T9_mT8_P12ihipStream_tbDpT10_ENKUlT_T0_E_clISt17integral_constantIbLb0EES1B_IbLb1EEEEDaS17_S18_EUlS17_E_NS1_11comp_targetILNS1_3genE5ELNS1_11target_archE942ELNS1_3gpuE9ELNS1_3repE0EEENS1_30default_config_static_selectorELNS0_4arch9wavefront6targetE0EEEvT1_.has_recursion, 0
	.set _ZN7rocprim17ROCPRIM_400000_NS6detail17trampoline_kernelINS0_14default_configENS1_25partition_config_selectorILNS1_17partition_subalgoE8ElNS0_10empty_typeEbEEZZNS1_14partition_implILS5_8ELb0ES3_jPlPS6_PKS6_NS0_5tupleIJS9_S6_EEENSD_IJSA_SA_EEENS0_18inequality_wrapperIZN2at6native12_GLOBAL__N_124unique_dim_cuda_templateIaEESt5tupleIJNSH_6TensorESM_SM_EERKSM_lbbbEUlllE0_EEPmJS6_EEE10hipError_tPvRmT3_T4_T5_T6_T7_T9_mT8_P12ihipStream_tbDpT10_ENKUlT_T0_E_clISt17integral_constantIbLb0EES1B_IbLb1EEEEDaS17_S18_EUlS17_E_NS1_11comp_targetILNS1_3genE5ELNS1_11target_archE942ELNS1_3gpuE9ELNS1_3repE0EEENS1_30default_config_static_selectorELNS0_4arch9wavefront6targetE0EEEvT1_.has_indirect_call, 0
	.section	.AMDGPU.csdata,"",@progbits
; Kernel info:
; codeLenInByte = 0
; TotalNumSgprs: 0
; NumVgprs: 0
; ScratchSize: 0
; MemoryBound: 0
; FloatMode: 240
; IeeeMode: 1
; LDSByteSize: 0 bytes/workgroup (compile time only)
; SGPRBlocks: 0
; VGPRBlocks: 0
; NumSGPRsForWavesPerEU: 1
; NumVGPRsForWavesPerEU: 1
; NamedBarCnt: 0
; Occupancy: 16
; WaveLimiterHint : 0
; COMPUTE_PGM_RSRC2:SCRATCH_EN: 0
; COMPUTE_PGM_RSRC2:USER_SGPR: 2
; COMPUTE_PGM_RSRC2:TRAP_HANDLER: 0
; COMPUTE_PGM_RSRC2:TGID_X_EN: 1
; COMPUTE_PGM_RSRC2:TGID_Y_EN: 0
; COMPUTE_PGM_RSRC2:TGID_Z_EN: 0
; COMPUTE_PGM_RSRC2:TIDIG_COMP_CNT: 0
	.section	.text._ZN7rocprim17ROCPRIM_400000_NS6detail17trampoline_kernelINS0_14default_configENS1_25partition_config_selectorILNS1_17partition_subalgoE8ElNS0_10empty_typeEbEEZZNS1_14partition_implILS5_8ELb0ES3_jPlPS6_PKS6_NS0_5tupleIJS9_S6_EEENSD_IJSA_SA_EEENS0_18inequality_wrapperIZN2at6native12_GLOBAL__N_124unique_dim_cuda_templateIaEESt5tupleIJNSH_6TensorESM_SM_EERKSM_lbbbEUlllE0_EEPmJS6_EEE10hipError_tPvRmT3_T4_T5_T6_T7_T9_mT8_P12ihipStream_tbDpT10_ENKUlT_T0_E_clISt17integral_constantIbLb0EES1B_IbLb1EEEEDaS17_S18_EUlS17_E_NS1_11comp_targetILNS1_3genE4ELNS1_11target_archE910ELNS1_3gpuE8ELNS1_3repE0EEENS1_30default_config_static_selectorELNS0_4arch9wavefront6targetE0EEEvT1_,"axG",@progbits,_ZN7rocprim17ROCPRIM_400000_NS6detail17trampoline_kernelINS0_14default_configENS1_25partition_config_selectorILNS1_17partition_subalgoE8ElNS0_10empty_typeEbEEZZNS1_14partition_implILS5_8ELb0ES3_jPlPS6_PKS6_NS0_5tupleIJS9_S6_EEENSD_IJSA_SA_EEENS0_18inequality_wrapperIZN2at6native12_GLOBAL__N_124unique_dim_cuda_templateIaEESt5tupleIJNSH_6TensorESM_SM_EERKSM_lbbbEUlllE0_EEPmJS6_EEE10hipError_tPvRmT3_T4_T5_T6_T7_T9_mT8_P12ihipStream_tbDpT10_ENKUlT_T0_E_clISt17integral_constantIbLb0EES1B_IbLb1EEEEDaS17_S18_EUlS17_E_NS1_11comp_targetILNS1_3genE4ELNS1_11target_archE910ELNS1_3gpuE8ELNS1_3repE0EEENS1_30default_config_static_selectorELNS0_4arch9wavefront6targetE0EEEvT1_,comdat
	.globl	_ZN7rocprim17ROCPRIM_400000_NS6detail17trampoline_kernelINS0_14default_configENS1_25partition_config_selectorILNS1_17partition_subalgoE8ElNS0_10empty_typeEbEEZZNS1_14partition_implILS5_8ELb0ES3_jPlPS6_PKS6_NS0_5tupleIJS9_S6_EEENSD_IJSA_SA_EEENS0_18inequality_wrapperIZN2at6native12_GLOBAL__N_124unique_dim_cuda_templateIaEESt5tupleIJNSH_6TensorESM_SM_EERKSM_lbbbEUlllE0_EEPmJS6_EEE10hipError_tPvRmT3_T4_T5_T6_T7_T9_mT8_P12ihipStream_tbDpT10_ENKUlT_T0_E_clISt17integral_constantIbLb0EES1B_IbLb1EEEEDaS17_S18_EUlS17_E_NS1_11comp_targetILNS1_3genE4ELNS1_11target_archE910ELNS1_3gpuE8ELNS1_3repE0EEENS1_30default_config_static_selectorELNS0_4arch9wavefront6targetE0EEEvT1_ ; -- Begin function _ZN7rocprim17ROCPRIM_400000_NS6detail17trampoline_kernelINS0_14default_configENS1_25partition_config_selectorILNS1_17partition_subalgoE8ElNS0_10empty_typeEbEEZZNS1_14partition_implILS5_8ELb0ES3_jPlPS6_PKS6_NS0_5tupleIJS9_S6_EEENSD_IJSA_SA_EEENS0_18inequality_wrapperIZN2at6native12_GLOBAL__N_124unique_dim_cuda_templateIaEESt5tupleIJNSH_6TensorESM_SM_EERKSM_lbbbEUlllE0_EEPmJS6_EEE10hipError_tPvRmT3_T4_T5_T6_T7_T9_mT8_P12ihipStream_tbDpT10_ENKUlT_T0_E_clISt17integral_constantIbLb0EES1B_IbLb1EEEEDaS17_S18_EUlS17_E_NS1_11comp_targetILNS1_3genE4ELNS1_11target_archE910ELNS1_3gpuE8ELNS1_3repE0EEENS1_30default_config_static_selectorELNS0_4arch9wavefront6targetE0EEEvT1_
	.p2align	8
	.type	_ZN7rocprim17ROCPRIM_400000_NS6detail17trampoline_kernelINS0_14default_configENS1_25partition_config_selectorILNS1_17partition_subalgoE8ElNS0_10empty_typeEbEEZZNS1_14partition_implILS5_8ELb0ES3_jPlPS6_PKS6_NS0_5tupleIJS9_S6_EEENSD_IJSA_SA_EEENS0_18inequality_wrapperIZN2at6native12_GLOBAL__N_124unique_dim_cuda_templateIaEESt5tupleIJNSH_6TensorESM_SM_EERKSM_lbbbEUlllE0_EEPmJS6_EEE10hipError_tPvRmT3_T4_T5_T6_T7_T9_mT8_P12ihipStream_tbDpT10_ENKUlT_T0_E_clISt17integral_constantIbLb0EES1B_IbLb1EEEEDaS17_S18_EUlS17_E_NS1_11comp_targetILNS1_3genE4ELNS1_11target_archE910ELNS1_3gpuE8ELNS1_3repE0EEENS1_30default_config_static_selectorELNS0_4arch9wavefront6targetE0EEEvT1_,@function
_ZN7rocprim17ROCPRIM_400000_NS6detail17trampoline_kernelINS0_14default_configENS1_25partition_config_selectorILNS1_17partition_subalgoE8ElNS0_10empty_typeEbEEZZNS1_14partition_implILS5_8ELb0ES3_jPlPS6_PKS6_NS0_5tupleIJS9_S6_EEENSD_IJSA_SA_EEENS0_18inequality_wrapperIZN2at6native12_GLOBAL__N_124unique_dim_cuda_templateIaEESt5tupleIJNSH_6TensorESM_SM_EERKSM_lbbbEUlllE0_EEPmJS6_EEE10hipError_tPvRmT3_T4_T5_T6_T7_T9_mT8_P12ihipStream_tbDpT10_ENKUlT_T0_E_clISt17integral_constantIbLb0EES1B_IbLb1EEEEDaS17_S18_EUlS17_E_NS1_11comp_targetILNS1_3genE4ELNS1_11target_archE910ELNS1_3gpuE8ELNS1_3repE0EEENS1_30default_config_static_selectorELNS0_4arch9wavefront6targetE0EEEvT1_: ; @_ZN7rocprim17ROCPRIM_400000_NS6detail17trampoline_kernelINS0_14default_configENS1_25partition_config_selectorILNS1_17partition_subalgoE8ElNS0_10empty_typeEbEEZZNS1_14partition_implILS5_8ELb0ES3_jPlPS6_PKS6_NS0_5tupleIJS9_S6_EEENSD_IJSA_SA_EEENS0_18inequality_wrapperIZN2at6native12_GLOBAL__N_124unique_dim_cuda_templateIaEESt5tupleIJNSH_6TensorESM_SM_EERKSM_lbbbEUlllE0_EEPmJS6_EEE10hipError_tPvRmT3_T4_T5_T6_T7_T9_mT8_P12ihipStream_tbDpT10_ENKUlT_T0_E_clISt17integral_constantIbLb0EES1B_IbLb1EEEEDaS17_S18_EUlS17_E_NS1_11comp_targetILNS1_3genE4ELNS1_11target_archE910ELNS1_3gpuE8ELNS1_3repE0EEENS1_30default_config_static_selectorELNS0_4arch9wavefront6targetE0EEEvT1_
; %bb.0:
	.section	.rodata,"a",@progbits
	.p2align	6, 0x0
	.amdhsa_kernel _ZN7rocprim17ROCPRIM_400000_NS6detail17trampoline_kernelINS0_14default_configENS1_25partition_config_selectorILNS1_17partition_subalgoE8ElNS0_10empty_typeEbEEZZNS1_14partition_implILS5_8ELb0ES3_jPlPS6_PKS6_NS0_5tupleIJS9_S6_EEENSD_IJSA_SA_EEENS0_18inequality_wrapperIZN2at6native12_GLOBAL__N_124unique_dim_cuda_templateIaEESt5tupleIJNSH_6TensorESM_SM_EERKSM_lbbbEUlllE0_EEPmJS6_EEE10hipError_tPvRmT3_T4_T5_T6_T7_T9_mT8_P12ihipStream_tbDpT10_ENKUlT_T0_E_clISt17integral_constantIbLb0EES1B_IbLb1EEEEDaS17_S18_EUlS17_E_NS1_11comp_targetILNS1_3genE4ELNS1_11target_archE910ELNS1_3gpuE8ELNS1_3repE0EEENS1_30default_config_static_selectorELNS0_4arch9wavefront6targetE0EEEvT1_
		.amdhsa_group_segment_fixed_size 0
		.amdhsa_private_segment_fixed_size 0
		.amdhsa_kernarg_size 136
		.amdhsa_user_sgpr_count 2
		.amdhsa_user_sgpr_dispatch_ptr 0
		.amdhsa_user_sgpr_queue_ptr 0
		.amdhsa_user_sgpr_kernarg_segment_ptr 1
		.amdhsa_user_sgpr_dispatch_id 0
		.amdhsa_user_sgpr_kernarg_preload_length 0
		.amdhsa_user_sgpr_kernarg_preload_offset 0
		.amdhsa_user_sgpr_private_segment_size 0
		.amdhsa_wavefront_size32 1
		.amdhsa_uses_dynamic_stack 0
		.amdhsa_enable_private_segment 0
		.amdhsa_system_sgpr_workgroup_id_x 1
		.amdhsa_system_sgpr_workgroup_id_y 0
		.amdhsa_system_sgpr_workgroup_id_z 0
		.amdhsa_system_sgpr_workgroup_info 0
		.amdhsa_system_vgpr_workitem_id 0
		.amdhsa_next_free_vgpr 1
		.amdhsa_next_free_sgpr 1
		.amdhsa_named_barrier_count 0
		.amdhsa_reserve_vcc 0
		.amdhsa_float_round_mode_32 0
		.amdhsa_float_round_mode_16_64 0
		.amdhsa_float_denorm_mode_32 3
		.amdhsa_float_denorm_mode_16_64 3
		.amdhsa_fp16_overflow 0
		.amdhsa_memory_ordered 1
		.amdhsa_forward_progress 1
		.amdhsa_inst_pref_size 0
		.amdhsa_round_robin_scheduling 0
		.amdhsa_exception_fp_ieee_invalid_op 0
		.amdhsa_exception_fp_denorm_src 0
		.amdhsa_exception_fp_ieee_div_zero 0
		.amdhsa_exception_fp_ieee_overflow 0
		.amdhsa_exception_fp_ieee_underflow 0
		.amdhsa_exception_fp_ieee_inexact 0
		.amdhsa_exception_int_div_zero 0
	.end_amdhsa_kernel
	.section	.text._ZN7rocprim17ROCPRIM_400000_NS6detail17trampoline_kernelINS0_14default_configENS1_25partition_config_selectorILNS1_17partition_subalgoE8ElNS0_10empty_typeEbEEZZNS1_14partition_implILS5_8ELb0ES3_jPlPS6_PKS6_NS0_5tupleIJS9_S6_EEENSD_IJSA_SA_EEENS0_18inequality_wrapperIZN2at6native12_GLOBAL__N_124unique_dim_cuda_templateIaEESt5tupleIJNSH_6TensorESM_SM_EERKSM_lbbbEUlllE0_EEPmJS6_EEE10hipError_tPvRmT3_T4_T5_T6_T7_T9_mT8_P12ihipStream_tbDpT10_ENKUlT_T0_E_clISt17integral_constantIbLb0EES1B_IbLb1EEEEDaS17_S18_EUlS17_E_NS1_11comp_targetILNS1_3genE4ELNS1_11target_archE910ELNS1_3gpuE8ELNS1_3repE0EEENS1_30default_config_static_selectorELNS0_4arch9wavefront6targetE0EEEvT1_,"axG",@progbits,_ZN7rocprim17ROCPRIM_400000_NS6detail17trampoline_kernelINS0_14default_configENS1_25partition_config_selectorILNS1_17partition_subalgoE8ElNS0_10empty_typeEbEEZZNS1_14partition_implILS5_8ELb0ES3_jPlPS6_PKS6_NS0_5tupleIJS9_S6_EEENSD_IJSA_SA_EEENS0_18inequality_wrapperIZN2at6native12_GLOBAL__N_124unique_dim_cuda_templateIaEESt5tupleIJNSH_6TensorESM_SM_EERKSM_lbbbEUlllE0_EEPmJS6_EEE10hipError_tPvRmT3_T4_T5_T6_T7_T9_mT8_P12ihipStream_tbDpT10_ENKUlT_T0_E_clISt17integral_constantIbLb0EES1B_IbLb1EEEEDaS17_S18_EUlS17_E_NS1_11comp_targetILNS1_3genE4ELNS1_11target_archE910ELNS1_3gpuE8ELNS1_3repE0EEENS1_30default_config_static_selectorELNS0_4arch9wavefront6targetE0EEEvT1_,comdat
.Lfunc_end345:
	.size	_ZN7rocprim17ROCPRIM_400000_NS6detail17trampoline_kernelINS0_14default_configENS1_25partition_config_selectorILNS1_17partition_subalgoE8ElNS0_10empty_typeEbEEZZNS1_14partition_implILS5_8ELb0ES3_jPlPS6_PKS6_NS0_5tupleIJS9_S6_EEENSD_IJSA_SA_EEENS0_18inequality_wrapperIZN2at6native12_GLOBAL__N_124unique_dim_cuda_templateIaEESt5tupleIJNSH_6TensorESM_SM_EERKSM_lbbbEUlllE0_EEPmJS6_EEE10hipError_tPvRmT3_T4_T5_T6_T7_T9_mT8_P12ihipStream_tbDpT10_ENKUlT_T0_E_clISt17integral_constantIbLb0EES1B_IbLb1EEEEDaS17_S18_EUlS17_E_NS1_11comp_targetILNS1_3genE4ELNS1_11target_archE910ELNS1_3gpuE8ELNS1_3repE0EEENS1_30default_config_static_selectorELNS0_4arch9wavefront6targetE0EEEvT1_, .Lfunc_end345-_ZN7rocprim17ROCPRIM_400000_NS6detail17trampoline_kernelINS0_14default_configENS1_25partition_config_selectorILNS1_17partition_subalgoE8ElNS0_10empty_typeEbEEZZNS1_14partition_implILS5_8ELb0ES3_jPlPS6_PKS6_NS0_5tupleIJS9_S6_EEENSD_IJSA_SA_EEENS0_18inequality_wrapperIZN2at6native12_GLOBAL__N_124unique_dim_cuda_templateIaEESt5tupleIJNSH_6TensorESM_SM_EERKSM_lbbbEUlllE0_EEPmJS6_EEE10hipError_tPvRmT3_T4_T5_T6_T7_T9_mT8_P12ihipStream_tbDpT10_ENKUlT_T0_E_clISt17integral_constantIbLb0EES1B_IbLb1EEEEDaS17_S18_EUlS17_E_NS1_11comp_targetILNS1_3genE4ELNS1_11target_archE910ELNS1_3gpuE8ELNS1_3repE0EEENS1_30default_config_static_selectorELNS0_4arch9wavefront6targetE0EEEvT1_
                                        ; -- End function
	.set _ZN7rocprim17ROCPRIM_400000_NS6detail17trampoline_kernelINS0_14default_configENS1_25partition_config_selectorILNS1_17partition_subalgoE8ElNS0_10empty_typeEbEEZZNS1_14partition_implILS5_8ELb0ES3_jPlPS6_PKS6_NS0_5tupleIJS9_S6_EEENSD_IJSA_SA_EEENS0_18inequality_wrapperIZN2at6native12_GLOBAL__N_124unique_dim_cuda_templateIaEESt5tupleIJNSH_6TensorESM_SM_EERKSM_lbbbEUlllE0_EEPmJS6_EEE10hipError_tPvRmT3_T4_T5_T6_T7_T9_mT8_P12ihipStream_tbDpT10_ENKUlT_T0_E_clISt17integral_constantIbLb0EES1B_IbLb1EEEEDaS17_S18_EUlS17_E_NS1_11comp_targetILNS1_3genE4ELNS1_11target_archE910ELNS1_3gpuE8ELNS1_3repE0EEENS1_30default_config_static_selectorELNS0_4arch9wavefront6targetE0EEEvT1_.num_vgpr, 0
	.set _ZN7rocprim17ROCPRIM_400000_NS6detail17trampoline_kernelINS0_14default_configENS1_25partition_config_selectorILNS1_17partition_subalgoE8ElNS0_10empty_typeEbEEZZNS1_14partition_implILS5_8ELb0ES3_jPlPS6_PKS6_NS0_5tupleIJS9_S6_EEENSD_IJSA_SA_EEENS0_18inequality_wrapperIZN2at6native12_GLOBAL__N_124unique_dim_cuda_templateIaEESt5tupleIJNSH_6TensorESM_SM_EERKSM_lbbbEUlllE0_EEPmJS6_EEE10hipError_tPvRmT3_T4_T5_T6_T7_T9_mT8_P12ihipStream_tbDpT10_ENKUlT_T0_E_clISt17integral_constantIbLb0EES1B_IbLb1EEEEDaS17_S18_EUlS17_E_NS1_11comp_targetILNS1_3genE4ELNS1_11target_archE910ELNS1_3gpuE8ELNS1_3repE0EEENS1_30default_config_static_selectorELNS0_4arch9wavefront6targetE0EEEvT1_.num_agpr, 0
	.set _ZN7rocprim17ROCPRIM_400000_NS6detail17trampoline_kernelINS0_14default_configENS1_25partition_config_selectorILNS1_17partition_subalgoE8ElNS0_10empty_typeEbEEZZNS1_14partition_implILS5_8ELb0ES3_jPlPS6_PKS6_NS0_5tupleIJS9_S6_EEENSD_IJSA_SA_EEENS0_18inequality_wrapperIZN2at6native12_GLOBAL__N_124unique_dim_cuda_templateIaEESt5tupleIJNSH_6TensorESM_SM_EERKSM_lbbbEUlllE0_EEPmJS6_EEE10hipError_tPvRmT3_T4_T5_T6_T7_T9_mT8_P12ihipStream_tbDpT10_ENKUlT_T0_E_clISt17integral_constantIbLb0EES1B_IbLb1EEEEDaS17_S18_EUlS17_E_NS1_11comp_targetILNS1_3genE4ELNS1_11target_archE910ELNS1_3gpuE8ELNS1_3repE0EEENS1_30default_config_static_selectorELNS0_4arch9wavefront6targetE0EEEvT1_.numbered_sgpr, 0
	.set _ZN7rocprim17ROCPRIM_400000_NS6detail17trampoline_kernelINS0_14default_configENS1_25partition_config_selectorILNS1_17partition_subalgoE8ElNS0_10empty_typeEbEEZZNS1_14partition_implILS5_8ELb0ES3_jPlPS6_PKS6_NS0_5tupleIJS9_S6_EEENSD_IJSA_SA_EEENS0_18inequality_wrapperIZN2at6native12_GLOBAL__N_124unique_dim_cuda_templateIaEESt5tupleIJNSH_6TensorESM_SM_EERKSM_lbbbEUlllE0_EEPmJS6_EEE10hipError_tPvRmT3_T4_T5_T6_T7_T9_mT8_P12ihipStream_tbDpT10_ENKUlT_T0_E_clISt17integral_constantIbLb0EES1B_IbLb1EEEEDaS17_S18_EUlS17_E_NS1_11comp_targetILNS1_3genE4ELNS1_11target_archE910ELNS1_3gpuE8ELNS1_3repE0EEENS1_30default_config_static_selectorELNS0_4arch9wavefront6targetE0EEEvT1_.num_named_barrier, 0
	.set _ZN7rocprim17ROCPRIM_400000_NS6detail17trampoline_kernelINS0_14default_configENS1_25partition_config_selectorILNS1_17partition_subalgoE8ElNS0_10empty_typeEbEEZZNS1_14partition_implILS5_8ELb0ES3_jPlPS6_PKS6_NS0_5tupleIJS9_S6_EEENSD_IJSA_SA_EEENS0_18inequality_wrapperIZN2at6native12_GLOBAL__N_124unique_dim_cuda_templateIaEESt5tupleIJNSH_6TensorESM_SM_EERKSM_lbbbEUlllE0_EEPmJS6_EEE10hipError_tPvRmT3_T4_T5_T6_T7_T9_mT8_P12ihipStream_tbDpT10_ENKUlT_T0_E_clISt17integral_constantIbLb0EES1B_IbLb1EEEEDaS17_S18_EUlS17_E_NS1_11comp_targetILNS1_3genE4ELNS1_11target_archE910ELNS1_3gpuE8ELNS1_3repE0EEENS1_30default_config_static_selectorELNS0_4arch9wavefront6targetE0EEEvT1_.private_seg_size, 0
	.set _ZN7rocprim17ROCPRIM_400000_NS6detail17trampoline_kernelINS0_14default_configENS1_25partition_config_selectorILNS1_17partition_subalgoE8ElNS0_10empty_typeEbEEZZNS1_14partition_implILS5_8ELb0ES3_jPlPS6_PKS6_NS0_5tupleIJS9_S6_EEENSD_IJSA_SA_EEENS0_18inequality_wrapperIZN2at6native12_GLOBAL__N_124unique_dim_cuda_templateIaEESt5tupleIJNSH_6TensorESM_SM_EERKSM_lbbbEUlllE0_EEPmJS6_EEE10hipError_tPvRmT3_T4_T5_T6_T7_T9_mT8_P12ihipStream_tbDpT10_ENKUlT_T0_E_clISt17integral_constantIbLb0EES1B_IbLb1EEEEDaS17_S18_EUlS17_E_NS1_11comp_targetILNS1_3genE4ELNS1_11target_archE910ELNS1_3gpuE8ELNS1_3repE0EEENS1_30default_config_static_selectorELNS0_4arch9wavefront6targetE0EEEvT1_.uses_vcc, 0
	.set _ZN7rocprim17ROCPRIM_400000_NS6detail17trampoline_kernelINS0_14default_configENS1_25partition_config_selectorILNS1_17partition_subalgoE8ElNS0_10empty_typeEbEEZZNS1_14partition_implILS5_8ELb0ES3_jPlPS6_PKS6_NS0_5tupleIJS9_S6_EEENSD_IJSA_SA_EEENS0_18inequality_wrapperIZN2at6native12_GLOBAL__N_124unique_dim_cuda_templateIaEESt5tupleIJNSH_6TensorESM_SM_EERKSM_lbbbEUlllE0_EEPmJS6_EEE10hipError_tPvRmT3_T4_T5_T6_T7_T9_mT8_P12ihipStream_tbDpT10_ENKUlT_T0_E_clISt17integral_constantIbLb0EES1B_IbLb1EEEEDaS17_S18_EUlS17_E_NS1_11comp_targetILNS1_3genE4ELNS1_11target_archE910ELNS1_3gpuE8ELNS1_3repE0EEENS1_30default_config_static_selectorELNS0_4arch9wavefront6targetE0EEEvT1_.uses_flat_scratch, 0
	.set _ZN7rocprim17ROCPRIM_400000_NS6detail17trampoline_kernelINS0_14default_configENS1_25partition_config_selectorILNS1_17partition_subalgoE8ElNS0_10empty_typeEbEEZZNS1_14partition_implILS5_8ELb0ES3_jPlPS6_PKS6_NS0_5tupleIJS9_S6_EEENSD_IJSA_SA_EEENS0_18inequality_wrapperIZN2at6native12_GLOBAL__N_124unique_dim_cuda_templateIaEESt5tupleIJNSH_6TensorESM_SM_EERKSM_lbbbEUlllE0_EEPmJS6_EEE10hipError_tPvRmT3_T4_T5_T6_T7_T9_mT8_P12ihipStream_tbDpT10_ENKUlT_T0_E_clISt17integral_constantIbLb0EES1B_IbLb1EEEEDaS17_S18_EUlS17_E_NS1_11comp_targetILNS1_3genE4ELNS1_11target_archE910ELNS1_3gpuE8ELNS1_3repE0EEENS1_30default_config_static_selectorELNS0_4arch9wavefront6targetE0EEEvT1_.has_dyn_sized_stack, 0
	.set _ZN7rocprim17ROCPRIM_400000_NS6detail17trampoline_kernelINS0_14default_configENS1_25partition_config_selectorILNS1_17partition_subalgoE8ElNS0_10empty_typeEbEEZZNS1_14partition_implILS5_8ELb0ES3_jPlPS6_PKS6_NS0_5tupleIJS9_S6_EEENSD_IJSA_SA_EEENS0_18inequality_wrapperIZN2at6native12_GLOBAL__N_124unique_dim_cuda_templateIaEESt5tupleIJNSH_6TensorESM_SM_EERKSM_lbbbEUlllE0_EEPmJS6_EEE10hipError_tPvRmT3_T4_T5_T6_T7_T9_mT8_P12ihipStream_tbDpT10_ENKUlT_T0_E_clISt17integral_constantIbLb0EES1B_IbLb1EEEEDaS17_S18_EUlS17_E_NS1_11comp_targetILNS1_3genE4ELNS1_11target_archE910ELNS1_3gpuE8ELNS1_3repE0EEENS1_30default_config_static_selectorELNS0_4arch9wavefront6targetE0EEEvT1_.has_recursion, 0
	.set _ZN7rocprim17ROCPRIM_400000_NS6detail17trampoline_kernelINS0_14default_configENS1_25partition_config_selectorILNS1_17partition_subalgoE8ElNS0_10empty_typeEbEEZZNS1_14partition_implILS5_8ELb0ES3_jPlPS6_PKS6_NS0_5tupleIJS9_S6_EEENSD_IJSA_SA_EEENS0_18inequality_wrapperIZN2at6native12_GLOBAL__N_124unique_dim_cuda_templateIaEESt5tupleIJNSH_6TensorESM_SM_EERKSM_lbbbEUlllE0_EEPmJS6_EEE10hipError_tPvRmT3_T4_T5_T6_T7_T9_mT8_P12ihipStream_tbDpT10_ENKUlT_T0_E_clISt17integral_constantIbLb0EES1B_IbLb1EEEEDaS17_S18_EUlS17_E_NS1_11comp_targetILNS1_3genE4ELNS1_11target_archE910ELNS1_3gpuE8ELNS1_3repE0EEENS1_30default_config_static_selectorELNS0_4arch9wavefront6targetE0EEEvT1_.has_indirect_call, 0
	.section	.AMDGPU.csdata,"",@progbits
; Kernel info:
; codeLenInByte = 0
; TotalNumSgprs: 0
; NumVgprs: 0
; ScratchSize: 0
; MemoryBound: 0
; FloatMode: 240
; IeeeMode: 1
; LDSByteSize: 0 bytes/workgroup (compile time only)
; SGPRBlocks: 0
; VGPRBlocks: 0
; NumSGPRsForWavesPerEU: 1
; NumVGPRsForWavesPerEU: 1
; NamedBarCnt: 0
; Occupancy: 16
; WaveLimiterHint : 0
; COMPUTE_PGM_RSRC2:SCRATCH_EN: 0
; COMPUTE_PGM_RSRC2:USER_SGPR: 2
; COMPUTE_PGM_RSRC2:TRAP_HANDLER: 0
; COMPUTE_PGM_RSRC2:TGID_X_EN: 1
; COMPUTE_PGM_RSRC2:TGID_Y_EN: 0
; COMPUTE_PGM_RSRC2:TGID_Z_EN: 0
; COMPUTE_PGM_RSRC2:TIDIG_COMP_CNT: 0
	.section	.text._ZN7rocprim17ROCPRIM_400000_NS6detail17trampoline_kernelINS0_14default_configENS1_25partition_config_selectorILNS1_17partition_subalgoE8ElNS0_10empty_typeEbEEZZNS1_14partition_implILS5_8ELb0ES3_jPlPS6_PKS6_NS0_5tupleIJS9_S6_EEENSD_IJSA_SA_EEENS0_18inequality_wrapperIZN2at6native12_GLOBAL__N_124unique_dim_cuda_templateIaEESt5tupleIJNSH_6TensorESM_SM_EERKSM_lbbbEUlllE0_EEPmJS6_EEE10hipError_tPvRmT3_T4_T5_T6_T7_T9_mT8_P12ihipStream_tbDpT10_ENKUlT_T0_E_clISt17integral_constantIbLb0EES1B_IbLb1EEEEDaS17_S18_EUlS17_E_NS1_11comp_targetILNS1_3genE3ELNS1_11target_archE908ELNS1_3gpuE7ELNS1_3repE0EEENS1_30default_config_static_selectorELNS0_4arch9wavefront6targetE0EEEvT1_,"axG",@progbits,_ZN7rocprim17ROCPRIM_400000_NS6detail17trampoline_kernelINS0_14default_configENS1_25partition_config_selectorILNS1_17partition_subalgoE8ElNS0_10empty_typeEbEEZZNS1_14partition_implILS5_8ELb0ES3_jPlPS6_PKS6_NS0_5tupleIJS9_S6_EEENSD_IJSA_SA_EEENS0_18inequality_wrapperIZN2at6native12_GLOBAL__N_124unique_dim_cuda_templateIaEESt5tupleIJNSH_6TensorESM_SM_EERKSM_lbbbEUlllE0_EEPmJS6_EEE10hipError_tPvRmT3_T4_T5_T6_T7_T9_mT8_P12ihipStream_tbDpT10_ENKUlT_T0_E_clISt17integral_constantIbLb0EES1B_IbLb1EEEEDaS17_S18_EUlS17_E_NS1_11comp_targetILNS1_3genE3ELNS1_11target_archE908ELNS1_3gpuE7ELNS1_3repE0EEENS1_30default_config_static_selectorELNS0_4arch9wavefront6targetE0EEEvT1_,comdat
	.globl	_ZN7rocprim17ROCPRIM_400000_NS6detail17trampoline_kernelINS0_14default_configENS1_25partition_config_selectorILNS1_17partition_subalgoE8ElNS0_10empty_typeEbEEZZNS1_14partition_implILS5_8ELb0ES3_jPlPS6_PKS6_NS0_5tupleIJS9_S6_EEENSD_IJSA_SA_EEENS0_18inequality_wrapperIZN2at6native12_GLOBAL__N_124unique_dim_cuda_templateIaEESt5tupleIJNSH_6TensorESM_SM_EERKSM_lbbbEUlllE0_EEPmJS6_EEE10hipError_tPvRmT3_T4_T5_T6_T7_T9_mT8_P12ihipStream_tbDpT10_ENKUlT_T0_E_clISt17integral_constantIbLb0EES1B_IbLb1EEEEDaS17_S18_EUlS17_E_NS1_11comp_targetILNS1_3genE3ELNS1_11target_archE908ELNS1_3gpuE7ELNS1_3repE0EEENS1_30default_config_static_selectorELNS0_4arch9wavefront6targetE0EEEvT1_ ; -- Begin function _ZN7rocprim17ROCPRIM_400000_NS6detail17trampoline_kernelINS0_14default_configENS1_25partition_config_selectorILNS1_17partition_subalgoE8ElNS0_10empty_typeEbEEZZNS1_14partition_implILS5_8ELb0ES3_jPlPS6_PKS6_NS0_5tupleIJS9_S6_EEENSD_IJSA_SA_EEENS0_18inequality_wrapperIZN2at6native12_GLOBAL__N_124unique_dim_cuda_templateIaEESt5tupleIJNSH_6TensorESM_SM_EERKSM_lbbbEUlllE0_EEPmJS6_EEE10hipError_tPvRmT3_T4_T5_T6_T7_T9_mT8_P12ihipStream_tbDpT10_ENKUlT_T0_E_clISt17integral_constantIbLb0EES1B_IbLb1EEEEDaS17_S18_EUlS17_E_NS1_11comp_targetILNS1_3genE3ELNS1_11target_archE908ELNS1_3gpuE7ELNS1_3repE0EEENS1_30default_config_static_selectorELNS0_4arch9wavefront6targetE0EEEvT1_
	.p2align	8
	.type	_ZN7rocprim17ROCPRIM_400000_NS6detail17trampoline_kernelINS0_14default_configENS1_25partition_config_selectorILNS1_17partition_subalgoE8ElNS0_10empty_typeEbEEZZNS1_14partition_implILS5_8ELb0ES3_jPlPS6_PKS6_NS0_5tupleIJS9_S6_EEENSD_IJSA_SA_EEENS0_18inequality_wrapperIZN2at6native12_GLOBAL__N_124unique_dim_cuda_templateIaEESt5tupleIJNSH_6TensorESM_SM_EERKSM_lbbbEUlllE0_EEPmJS6_EEE10hipError_tPvRmT3_T4_T5_T6_T7_T9_mT8_P12ihipStream_tbDpT10_ENKUlT_T0_E_clISt17integral_constantIbLb0EES1B_IbLb1EEEEDaS17_S18_EUlS17_E_NS1_11comp_targetILNS1_3genE3ELNS1_11target_archE908ELNS1_3gpuE7ELNS1_3repE0EEENS1_30default_config_static_selectorELNS0_4arch9wavefront6targetE0EEEvT1_,@function
_ZN7rocprim17ROCPRIM_400000_NS6detail17trampoline_kernelINS0_14default_configENS1_25partition_config_selectorILNS1_17partition_subalgoE8ElNS0_10empty_typeEbEEZZNS1_14partition_implILS5_8ELb0ES3_jPlPS6_PKS6_NS0_5tupleIJS9_S6_EEENSD_IJSA_SA_EEENS0_18inequality_wrapperIZN2at6native12_GLOBAL__N_124unique_dim_cuda_templateIaEESt5tupleIJNSH_6TensorESM_SM_EERKSM_lbbbEUlllE0_EEPmJS6_EEE10hipError_tPvRmT3_T4_T5_T6_T7_T9_mT8_P12ihipStream_tbDpT10_ENKUlT_T0_E_clISt17integral_constantIbLb0EES1B_IbLb1EEEEDaS17_S18_EUlS17_E_NS1_11comp_targetILNS1_3genE3ELNS1_11target_archE908ELNS1_3gpuE7ELNS1_3repE0EEENS1_30default_config_static_selectorELNS0_4arch9wavefront6targetE0EEEvT1_: ; @_ZN7rocprim17ROCPRIM_400000_NS6detail17trampoline_kernelINS0_14default_configENS1_25partition_config_selectorILNS1_17partition_subalgoE8ElNS0_10empty_typeEbEEZZNS1_14partition_implILS5_8ELb0ES3_jPlPS6_PKS6_NS0_5tupleIJS9_S6_EEENSD_IJSA_SA_EEENS0_18inequality_wrapperIZN2at6native12_GLOBAL__N_124unique_dim_cuda_templateIaEESt5tupleIJNSH_6TensorESM_SM_EERKSM_lbbbEUlllE0_EEPmJS6_EEE10hipError_tPvRmT3_T4_T5_T6_T7_T9_mT8_P12ihipStream_tbDpT10_ENKUlT_T0_E_clISt17integral_constantIbLb0EES1B_IbLb1EEEEDaS17_S18_EUlS17_E_NS1_11comp_targetILNS1_3genE3ELNS1_11target_archE908ELNS1_3gpuE7ELNS1_3repE0EEENS1_30default_config_static_selectorELNS0_4arch9wavefront6targetE0EEEvT1_
; %bb.0:
	.section	.rodata,"a",@progbits
	.p2align	6, 0x0
	.amdhsa_kernel _ZN7rocprim17ROCPRIM_400000_NS6detail17trampoline_kernelINS0_14default_configENS1_25partition_config_selectorILNS1_17partition_subalgoE8ElNS0_10empty_typeEbEEZZNS1_14partition_implILS5_8ELb0ES3_jPlPS6_PKS6_NS0_5tupleIJS9_S6_EEENSD_IJSA_SA_EEENS0_18inequality_wrapperIZN2at6native12_GLOBAL__N_124unique_dim_cuda_templateIaEESt5tupleIJNSH_6TensorESM_SM_EERKSM_lbbbEUlllE0_EEPmJS6_EEE10hipError_tPvRmT3_T4_T5_T6_T7_T9_mT8_P12ihipStream_tbDpT10_ENKUlT_T0_E_clISt17integral_constantIbLb0EES1B_IbLb1EEEEDaS17_S18_EUlS17_E_NS1_11comp_targetILNS1_3genE3ELNS1_11target_archE908ELNS1_3gpuE7ELNS1_3repE0EEENS1_30default_config_static_selectorELNS0_4arch9wavefront6targetE0EEEvT1_
		.amdhsa_group_segment_fixed_size 0
		.amdhsa_private_segment_fixed_size 0
		.amdhsa_kernarg_size 136
		.amdhsa_user_sgpr_count 2
		.amdhsa_user_sgpr_dispatch_ptr 0
		.amdhsa_user_sgpr_queue_ptr 0
		.amdhsa_user_sgpr_kernarg_segment_ptr 1
		.amdhsa_user_sgpr_dispatch_id 0
		.amdhsa_user_sgpr_kernarg_preload_length 0
		.amdhsa_user_sgpr_kernarg_preload_offset 0
		.amdhsa_user_sgpr_private_segment_size 0
		.amdhsa_wavefront_size32 1
		.amdhsa_uses_dynamic_stack 0
		.amdhsa_enable_private_segment 0
		.amdhsa_system_sgpr_workgroup_id_x 1
		.amdhsa_system_sgpr_workgroup_id_y 0
		.amdhsa_system_sgpr_workgroup_id_z 0
		.amdhsa_system_sgpr_workgroup_info 0
		.amdhsa_system_vgpr_workitem_id 0
		.amdhsa_next_free_vgpr 1
		.amdhsa_next_free_sgpr 1
		.amdhsa_named_barrier_count 0
		.amdhsa_reserve_vcc 0
		.amdhsa_float_round_mode_32 0
		.amdhsa_float_round_mode_16_64 0
		.amdhsa_float_denorm_mode_32 3
		.amdhsa_float_denorm_mode_16_64 3
		.amdhsa_fp16_overflow 0
		.amdhsa_memory_ordered 1
		.amdhsa_forward_progress 1
		.amdhsa_inst_pref_size 0
		.amdhsa_round_robin_scheduling 0
		.amdhsa_exception_fp_ieee_invalid_op 0
		.amdhsa_exception_fp_denorm_src 0
		.amdhsa_exception_fp_ieee_div_zero 0
		.amdhsa_exception_fp_ieee_overflow 0
		.amdhsa_exception_fp_ieee_underflow 0
		.amdhsa_exception_fp_ieee_inexact 0
		.amdhsa_exception_int_div_zero 0
	.end_amdhsa_kernel
	.section	.text._ZN7rocprim17ROCPRIM_400000_NS6detail17trampoline_kernelINS0_14default_configENS1_25partition_config_selectorILNS1_17partition_subalgoE8ElNS0_10empty_typeEbEEZZNS1_14partition_implILS5_8ELb0ES3_jPlPS6_PKS6_NS0_5tupleIJS9_S6_EEENSD_IJSA_SA_EEENS0_18inequality_wrapperIZN2at6native12_GLOBAL__N_124unique_dim_cuda_templateIaEESt5tupleIJNSH_6TensorESM_SM_EERKSM_lbbbEUlllE0_EEPmJS6_EEE10hipError_tPvRmT3_T4_T5_T6_T7_T9_mT8_P12ihipStream_tbDpT10_ENKUlT_T0_E_clISt17integral_constantIbLb0EES1B_IbLb1EEEEDaS17_S18_EUlS17_E_NS1_11comp_targetILNS1_3genE3ELNS1_11target_archE908ELNS1_3gpuE7ELNS1_3repE0EEENS1_30default_config_static_selectorELNS0_4arch9wavefront6targetE0EEEvT1_,"axG",@progbits,_ZN7rocprim17ROCPRIM_400000_NS6detail17trampoline_kernelINS0_14default_configENS1_25partition_config_selectorILNS1_17partition_subalgoE8ElNS0_10empty_typeEbEEZZNS1_14partition_implILS5_8ELb0ES3_jPlPS6_PKS6_NS0_5tupleIJS9_S6_EEENSD_IJSA_SA_EEENS0_18inequality_wrapperIZN2at6native12_GLOBAL__N_124unique_dim_cuda_templateIaEESt5tupleIJNSH_6TensorESM_SM_EERKSM_lbbbEUlllE0_EEPmJS6_EEE10hipError_tPvRmT3_T4_T5_T6_T7_T9_mT8_P12ihipStream_tbDpT10_ENKUlT_T0_E_clISt17integral_constantIbLb0EES1B_IbLb1EEEEDaS17_S18_EUlS17_E_NS1_11comp_targetILNS1_3genE3ELNS1_11target_archE908ELNS1_3gpuE7ELNS1_3repE0EEENS1_30default_config_static_selectorELNS0_4arch9wavefront6targetE0EEEvT1_,comdat
.Lfunc_end346:
	.size	_ZN7rocprim17ROCPRIM_400000_NS6detail17trampoline_kernelINS0_14default_configENS1_25partition_config_selectorILNS1_17partition_subalgoE8ElNS0_10empty_typeEbEEZZNS1_14partition_implILS5_8ELb0ES3_jPlPS6_PKS6_NS0_5tupleIJS9_S6_EEENSD_IJSA_SA_EEENS0_18inequality_wrapperIZN2at6native12_GLOBAL__N_124unique_dim_cuda_templateIaEESt5tupleIJNSH_6TensorESM_SM_EERKSM_lbbbEUlllE0_EEPmJS6_EEE10hipError_tPvRmT3_T4_T5_T6_T7_T9_mT8_P12ihipStream_tbDpT10_ENKUlT_T0_E_clISt17integral_constantIbLb0EES1B_IbLb1EEEEDaS17_S18_EUlS17_E_NS1_11comp_targetILNS1_3genE3ELNS1_11target_archE908ELNS1_3gpuE7ELNS1_3repE0EEENS1_30default_config_static_selectorELNS0_4arch9wavefront6targetE0EEEvT1_, .Lfunc_end346-_ZN7rocprim17ROCPRIM_400000_NS6detail17trampoline_kernelINS0_14default_configENS1_25partition_config_selectorILNS1_17partition_subalgoE8ElNS0_10empty_typeEbEEZZNS1_14partition_implILS5_8ELb0ES3_jPlPS6_PKS6_NS0_5tupleIJS9_S6_EEENSD_IJSA_SA_EEENS0_18inequality_wrapperIZN2at6native12_GLOBAL__N_124unique_dim_cuda_templateIaEESt5tupleIJNSH_6TensorESM_SM_EERKSM_lbbbEUlllE0_EEPmJS6_EEE10hipError_tPvRmT3_T4_T5_T6_T7_T9_mT8_P12ihipStream_tbDpT10_ENKUlT_T0_E_clISt17integral_constantIbLb0EES1B_IbLb1EEEEDaS17_S18_EUlS17_E_NS1_11comp_targetILNS1_3genE3ELNS1_11target_archE908ELNS1_3gpuE7ELNS1_3repE0EEENS1_30default_config_static_selectorELNS0_4arch9wavefront6targetE0EEEvT1_
                                        ; -- End function
	.set _ZN7rocprim17ROCPRIM_400000_NS6detail17trampoline_kernelINS0_14default_configENS1_25partition_config_selectorILNS1_17partition_subalgoE8ElNS0_10empty_typeEbEEZZNS1_14partition_implILS5_8ELb0ES3_jPlPS6_PKS6_NS0_5tupleIJS9_S6_EEENSD_IJSA_SA_EEENS0_18inequality_wrapperIZN2at6native12_GLOBAL__N_124unique_dim_cuda_templateIaEESt5tupleIJNSH_6TensorESM_SM_EERKSM_lbbbEUlllE0_EEPmJS6_EEE10hipError_tPvRmT3_T4_T5_T6_T7_T9_mT8_P12ihipStream_tbDpT10_ENKUlT_T0_E_clISt17integral_constantIbLb0EES1B_IbLb1EEEEDaS17_S18_EUlS17_E_NS1_11comp_targetILNS1_3genE3ELNS1_11target_archE908ELNS1_3gpuE7ELNS1_3repE0EEENS1_30default_config_static_selectorELNS0_4arch9wavefront6targetE0EEEvT1_.num_vgpr, 0
	.set _ZN7rocprim17ROCPRIM_400000_NS6detail17trampoline_kernelINS0_14default_configENS1_25partition_config_selectorILNS1_17partition_subalgoE8ElNS0_10empty_typeEbEEZZNS1_14partition_implILS5_8ELb0ES3_jPlPS6_PKS6_NS0_5tupleIJS9_S6_EEENSD_IJSA_SA_EEENS0_18inequality_wrapperIZN2at6native12_GLOBAL__N_124unique_dim_cuda_templateIaEESt5tupleIJNSH_6TensorESM_SM_EERKSM_lbbbEUlllE0_EEPmJS6_EEE10hipError_tPvRmT3_T4_T5_T6_T7_T9_mT8_P12ihipStream_tbDpT10_ENKUlT_T0_E_clISt17integral_constantIbLb0EES1B_IbLb1EEEEDaS17_S18_EUlS17_E_NS1_11comp_targetILNS1_3genE3ELNS1_11target_archE908ELNS1_3gpuE7ELNS1_3repE0EEENS1_30default_config_static_selectorELNS0_4arch9wavefront6targetE0EEEvT1_.num_agpr, 0
	.set _ZN7rocprim17ROCPRIM_400000_NS6detail17trampoline_kernelINS0_14default_configENS1_25partition_config_selectorILNS1_17partition_subalgoE8ElNS0_10empty_typeEbEEZZNS1_14partition_implILS5_8ELb0ES3_jPlPS6_PKS6_NS0_5tupleIJS9_S6_EEENSD_IJSA_SA_EEENS0_18inequality_wrapperIZN2at6native12_GLOBAL__N_124unique_dim_cuda_templateIaEESt5tupleIJNSH_6TensorESM_SM_EERKSM_lbbbEUlllE0_EEPmJS6_EEE10hipError_tPvRmT3_T4_T5_T6_T7_T9_mT8_P12ihipStream_tbDpT10_ENKUlT_T0_E_clISt17integral_constantIbLb0EES1B_IbLb1EEEEDaS17_S18_EUlS17_E_NS1_11comp_targetILNS1_3genE3ELNS1_11target_archE908ELNS1_3gpuE7ELNS1_3repE0EEENS1_30default_config_static_selectorELNS0_4arch9wavefront6targetE0EEEvT1_.numbered_sgpr, 0
	.set _ZN7rocprim17ROCPRIM_400000_NS6detail17trampoline_kernelINS0_14default_configENS1_25partition_config_selectorILNS1_17partition_subalgoE8ElNS0_10empty_typeEbEEZZNS1_14partition_implILS5_8ELb0ES3_jPlPS6_PKS6_NS0_5tupleIJS9_S6_EEENSD_IJSA_SA_EEENS0_18inequality_wrapperIZN2at6native12_GLOBAL__N_124unique_dim_cuda_templateIaEESt5tupleIJNSH_6TensorESM_SM_EERKSM_lbbbEUlllE0_EEPmJS6_EEE10hipError_tPvRmT3_T4_T5_T6_T7_T9_mT8_P12ihipStream_tbDpT10_ENKUlT_T0_E_clISt17integral_constantIbLb0EES1B_IbLb1EEEEDaS17_S18_EUlS17_E_NS1_11comp_targetILNS1_3genE3ELNS1_11target_archE908ELNS1_3gpuE7ELNS1_3repE0EEENS1_30default_config_static_selectorELNS0_4arch9wavefront6targetE0EEEvT1_.num_named_barrier, 0
	.set _ZN7rocprim17ROCPRIM_400000_NS6detail17trampoline_kernelINS0_14default_configENS1_25partition_config_selectorILNS1_17partition_subalgoE8ElNS0_10empty_typeEbEEZZNS1_14partition_implILS5_8ELb0ES3_jPlPS6_PKS6_NS0_5tupleIJS9_S6_EEENSD_IJSA_SA_EEENS0_18inequality_wrapperIZN2at6native12_GLOBAL__N_124unique_dim_cuda_templateIaEESt5tupleIJNSH_6TensorESM_SM_EERKSM_lbbbEUlllE0_EEPmJS6_EEE10hipError_tPvRmT3_T4_T5_T6_T7_T9_mT8_P12ihipStream_tbDpT10_ENKUlT_T0_E_clISt17integral_constantIbLb0EES1B_IbLb1EEEEDaS17_S18_EUlS17_E_NS1_11comp_targetILNS1_3genE3ELNS1_11target_archE908ELNS1_3gpuE7ELNS1_3repE0EEENS1_30default_config_static_selectorELNS0_4arch9wavefront6targetE0EEEvT1_.private_seg_size, 0
	.set _ZN7rocprim17ROCPRIM_400000_NS6detail17trampoline_kernelINS0_14default_configENS1_25partition_config_selectorILNS1_17partition_subalgoE8ElNS0_10empty_typeEbEEZZNS1_14partition_implILS5_8ELb0ES3_jPlPS6_PKS6_NS0_5tupleIJS9_S6_EEENSD_IJSA_SA_EEENS0_18inequality_wrapperIZN2at6native12_GLOBAL__N_124unique_dim_cuda_templateIaEESt5tupleIJNSH_6TensorESM_SM_EERKSM_lbbbEUlllE0_EEPmJS6_EEE10hipError_tPvRmT3_T4_T5_T6_T7_T9_mT8_P12ihipStream_tbDpT10_ENKUlT_T0_E_clISt17integral_constantIbLb0EES1B_IbLb1EEEEDaS17_S18_EUlS17_E_NS1_11comp_targetILNS1_3genE3ELNS1_11target_archE908ELNS1_3gpuE7ELNS1_3repE0EEENS1_30default_config_static_selectorELNS0_4arch9wavefront6targetE0EEEvT1_.uses_vcc, 0
	.set _ZN7rocprim17ROCPRIM_400000_NS6detail17trampoline_kernelINS0_14default_configENS1_25partition_config_selectorILNS1_17partition_subalgoE8ElNS0_10empty_typeEbEEZZNS1_14partition_implILS5_8ELb0ES3_jPlPS6_PKS6_NS0_5tupleIJS9_S6_EEENSD_IJSA_SA_EEENS0_18inequality_wrapperIZN2at6native12_GLOBAL__N_124unique_dim_cuda_templateIaEESt5tupleIJNSH_6TensorESM_SM_EERKSM_lbbbEUlllE0_EEPmJS6_EEE10hipError_tPvRmT3_T4_T5_T6_T7_T9_mT8_P12ihipStream_tbDpT10_ENKUlT_T0_E_clISt17integral_constantIbLb0EES1B_IbLb1EEEEDaS17_S18_EUlS17_E_NS1_11comp_targetILNS1_3genE3ELNS1_11target_archE908ELNS1_3gpuE7ELNS1_3repE0EEENS1_30default_config_static_selectorELNS0_4arch9wavefront6targetE0EEEvT1_.uses_flat_scratch, 0
	.set _ZN7rocprim17ROCPRIM_400000_NS6detail17trampoline_kernelINS0_14default_configENS1_25partition_config_selectorILNS1_17partition_subalgoE8ElNS0_10empty_typeEbEEZZNS1_14partition_implILS5_8ELb0ES3_jPlPS6_PKS6_NS0_5tupleIJS9_S6_EEENSD_IJSA_SA_EEENS0_18inequality_wrapperIZN2at6native12_GLOBAL__N_124unique_dim_cuda_templateIaEESt5tupleIJNSH_6TensorESM_SM_EERKSM_lbbbEUlllE0_EEPmJS6_EEE10hipError_tPvRmT3_T4_T5_T6_T7_T9_mT8_P12ihipStream_tbDpT10_ENKUlT_T0_E_clISt17integral_constantIbLb0EES1B_IbLb1EEEEDaS17_S18_EUlS17_E_NS1_11comp_targetILNS1_3genE3ELNS1_11target_archE908ELNS1_3gpuE7ELNS1_3repE0EEENS1_30default_config_static_selectorELNS0_4arch9wavefront6targetE0EEEvT1_.has_dyn_sized_stack, 0
	.set _ZN7rocprim17ROCPRIM_400000_NS6detail17trampoline_kernelINS0_14default_configENS1_25partition_config_selectorILNS1_17partition_subalgoE8ElNS0_10empty_typeEbEEZZNS1_14partition_implILS5_8ELb0ES3_jPlPS6_PKS6_NS0_5tupleIJS9_S6_EEENSD_IJSA_SA_EEENS0_18inequality_wrapperIZN2at6native12_GLOBAL__N_124unique_dim_cuda_templateIaEESt5tupleIJNSH_6TensorESM_SM_EERKSM_lbbbEUlllE0_EEPmJS6_EEE10hipError_tPvRmT3_T4_T5_T6_T7_T9_mT8_P12ihipStream_tbDpT10_ENKUlT_T0_E_clISt17integral_constantIbLb0EES1B_IbLb1EEEEDaS17_S18_EUlS17_E_NS1_11comp_targetILNS1_3genE3ELNS1_11target_archE908ELNS1_3gpuE7ELNS1_3repE0EEENS1_30default_config_static_selectorELNS0_4arch9wavefront6targetE0EEEvT1_.has_recursion, 0
	.set _ZN7rocprim17ROCPRIM_400000_NS6detail17trampoline_kernelINS0_14default_configENS1_25partition_config_selectorILNS1_17partition_subalgoE8ElNS0_10empty_typeEbEEZZNS1_14partition_implILS5_8ELb0ES3_jPlPS6_PKS6_NS0_5tupleIJS9_S6_EEENSD_IJSA_SA_EEENS0_18inequality_wrapperIZN2at6native12_GLOBAL__N_124unique_dim_cuda_templateIaEESt5tupleIJNSH_6TensorESM_SM_EERKSM_lbbbEUlllE0_EEPmJS6_EEE10hipError_tPvRmT3_T4_T5_T6_T7_T9_mT8_P12ihipStream_tbDpT10_ENKUlT_T0_E_clISt17integral_constantIbLb0EES1B_IbLb1EEEEDaS17_S18_EUlS17_E_NS1_11comp_targetILNS1_3genE3ELNS1_11target_archE908ELNS1_3gpuE7ELNS1_3repE0EEENS1_30default_config_static_selectorELNS0_4arch9wavefront6targetE0EEEvT1_.has_indirect_call, 0
	.section	.AMDGPU.csdata,"",@progbits
; Kernel info:
; codeLenInByte = 0
; TotalNumSgprs: 0
; NumVgprs: 0
; ScratchSize: 0
; MemoryBound: 0
; FloatMode: 240
; IeeeMode: 1
; LDSByteSize: 0 bytes/workgroup (compile time only)
; SGPRBlocks: 0
; VGPRBlocks: 0
; NumSGPRsForWavesPerEU: 1
; NumVGPRsForWavesPerEU: 1
; NamedBarCnt: 0
; Occupancy: 16
; WaveLimiterHint : 0
; COMPUTE_PGM_RSRC2:SCRATCH_EN: 0
; COMPUTE_PGM_RSRC2:USER_SGPR: 2
; COMPUTE_PGM_RSRC2:TRAP_HANDLER: 0
; COMPUTE_PGM_RSRC2:TGID_X_EN: 1
; COMPUTE_PGM_RSRC2:TGID_Y_EN: 0
; COMPUTE_PGM_RSRC2:TGID_Z_EN: 0
; COMPUTE_PGM_RSRC2:TIDIG_COMP_CNT: 0
	.section	.text._ZN7rocprim17ROCPRIM_400000_NS6detail17trampoline_kernelINS0_14default_configENS1_25partition_config_selectorILNS1_17partition_subalgoE8ElNS0_10empty_typeEbEEZZNS1_14partition_implILS5_8ELb0ES3_jPlPS6_PKS6_NS0_5tupleIJS9_S6_EEENSD_IJSA_SA_EEENS0_18inequality_wrapperIZN2at6native12_GLOBAL__N_124unique_dim_cuda_templateIaEESt5tupleIJNSH_6TensorESM_SM_EERKSM_lbbbEUlllE0_EEPmJS6_EEE10hipError_tPvRmT3_T4_T5_T6_T7_T9_mT8_P12ihipStream_tbDpT10_ENKUlT_T0_E_clISt17integral_constantIbLb0EES1B_IbLb1EEEEDaS17_S18_EUlS17_E_NS1_11comp_targetILNS1_3genE2ELNS1_11target_archE906ELNS1_3gpuE6ELNS1_3repE0EEENS1_30default_config_static_selectorELNS0_4arch9wavefront6targetE0EEEvT1_,"axG",@progbits,_ZN7rocprim17ROCPRIM_400000_NS6detail17trampoline_kernelINS0_14default_configENS1_25partition_config_selectorILNS1_17partition_subalgoE8ElNS0_10empty_typeEbEEZZNS1_14partition_implILS5_8ELb0ES3_jPlPS6_PKS6_NS0_5tupleIJS9_S6_EEENSD_IJSA_SA_EEENS0_18inequality_wrapperIZN2at6native12_GLOBAL__N_124unique_dim_cuda_templateIaEESt5tupleIJNSH_6TensorESM_SM_EERKSM_lbbbEUlllE0_EEPmJS6_EEE10hipError_tPvRmT3_T4_T5_T6_T7_T9_mT8_P12ihipStream_tbDpT10_ENKUlT_T0_E_clISt17integral_constantIbLb0EES1B_IbLb1EEEEDaS17_S18_EUlS17_E_NS1_11comp_targetILNS1_3genE2ELNS1_11target_archE906ELNS1_3gpuE6ELNS1_3repE0EEENS1_30default_config_static_selectorELNS0_4arch9wavefront6targetE0EEEvT1_,comdat
	.globl	_ZN7rocprim17ROCPRIM_400000_NS6detail17trampoline_kernelINS0_14default_configENS1_25partition_config_selectorILNS1_17partition_subalgoE8ElNS0_10empty_typeEbEEZZNS1_14partition_implILS5_8ELb0ES3_jPlPS6_PKS6_NS0_5tupleIJS9_S6_EEENSD_IJSA_SA_EEENS0_18inequality_wrapperIZN2at6native12_GLOBAL__N_124unique_dim_cuda_templateIaEESt5tupleIJNSH_6TensorESM_SM_EERKSM_lbbbEUlllE0_EEPmJS6_EEE10hipError_tPvRmT3_T4_T5_T6_T7_T9_mT8_P12ihipStream_tbDpT10_ENKUlT_T0_E_clISt17integral_constantIbLb0EES1B_IbLb1EEEEDaS17_S18_EUlS17_E_NS1_11comp_targetILNS1_3genE2ELNS1_11target_archE906ELNS1_3gpuE6ELNS1_3repE0EEENS1_30default_config_static_selectorELNS0_4arch9wavefront6targetE0EEEvT1_ ; -- Begin function _ZN7rocprim17ROCPRIM_400000_NS6detail17trampoline_kernelINS0_14default_configENS1_25partition_config_selectorILNS1_17partition_subalgoE8ElNS0_10empty_typeEbEEZZNS1_14partition_implILS5_8ELb0ES3_jPlPS6_PKS6_NS0_5tupleIJS9_S6_EEENSD_IJSA_SA_EEENS0_18inequality_wrapperIZN2at6native12_GLOBAL__N_124unique_dim_cuda_templateIaEESt5tupleIJNSH_6TensorESM_SM_EERKSM_lbbbEUlllE0_EEPmJS6_EEE10hipError_tPvRmT3_T4_T5_T6_T7_T9_mT8_P12ihipStream_tbDpT10_ENKUlT_T0_E_clISt17integral_constantIbLb0EES1B_IbLb1EEEEDaS17_S18_EUlS17_E_NS1_11comp_targetILNS1_3genE2ELNS1_11target_archE906ELNS1_3gpuE6ELNS1_3repE0EEENS1_30default_config_static_selectorELNS0_4arch9wavefront6targetE0EEEvT1_
	.p2align	8
	.type	_ZN7rocprim17ROCPRIM_400000_NS6detail17trampoline_kernelINS0_14default_configENS1_25partition_config_selectorILNS1_17partition_subalgoE8ElNS0_10empty_typeEbEEZZNS1_14partition_implILS5_8ELb0ES3_jPlPS6_PKS6_NS0_5tupleIJS9_S6_EEENSD_IJSA_SA_EEENS0_18inequality_wrapperIZN2at6native12_GLOBAL__N_124unique_dim_cuda_templateIaEESt5tupleIJNSH_6TensorESM_SM_EERKSM_lbbbEUlllE0_EEPmJS6_EEE10hipError_tPvRmT3_T4_T5_T6_T7_T9_mT8_P12ihipStream_tbDpT10_ENKUlT_T0_E_clISt17integral_constantIbLb0EES1B_IbLb1EEEEDaS17_S18_EUlS17_E_NS1_11comp_targetILNS1_3genE2ELNS1_11target_archE906ELNS1_3gpuE6ELNS1_3repE0EEENS1_30default_config_static_selectorELNS0_4arch9wavefront6targetE0EEEvT1_,@function
_ZN7rocprim17ROCPRIM_400000_NS6detail17trampoline_kernelINS0_14default_configENS1_25partition_config_selectorILNS1_17partition_subalgoE8ElNS0_10empty_typeEbEEZZNS1_14partition_implILS5_8ELb0ES3_jPlPS6_PKS6_NS0_5tupleIJS9_S6_EEENSD_IJSA_SA_EEENS0_18inequality_wrapperIZN2at6native12_GLOBAL__N_124unique_dim_cuda_templateIaEESt5tupleIJNSH_6TensorESM_SM_EERKSM_lbbbEUlllE0_EEPmJS6_EEE10hipError_tPvRmT3_T4_T5_T6_T7_T9_mT8_P12ihipStream_tbDpT10_ENKUlT_T0_E_clISt17integral_constantIbLb0EES1B_IbLb1EEEEDaS17_S18_EUlS17_E_NS1_11comp_targetILNS1_3genE2ELNS1_11target_archE906ELNS1_3gpuE6ELNS1_3repE0EEENS1_30default_config_static_selectorELNS0_4arch9wavefront6targetE0EEEvT1_: ; @_ZN7rocprim17ROCPRIM_400000_NS6detail17trampoline_kernelINS0_14default_configENS1_25partition_config_selectorILNS1_17partition_subalgoE8ElNS0_10empty_typeEbEEZZNS1_14partition_implILS5_8ELb0ES3_jPlPS6_PKS6_NS0_5tupleIJS9_S6_EEENSD_IJSA_SA_EEENS0_18inequality_wrapperIZN2at6native12_GLOBAL__N_124unique_dim_cuda_templateIaEESt5tupleIJNSH_6TensorESM_SM_EERKSM_lbbbEUlllE0_EEPmJS6_EEE10hipError_tPvRmT3_T4_T5_T6_T7_T9_mT8_P12ihipStream_tbDpT10_ENKUlT_T0_E_clISt17integral_constantIbLb0EES1B_IbLb1EEEEDaS17_S18_EUlS17_E_NS1_11comp_targetILNS1_3genE2ELNS1_11target_archE906ELNS1_3gpuE6ELNS1_3repE0EEENS1_30default_config_static_selectorELNS0_4arch9wavefront6targetE0EEEvT1_
; %bb.0:
	.section	.rodata,"a",@progbits
	.p2align	6, 0x0
	.amdhsa_kernel _ZN7rocprim17ROCPRIM_400000_NS6detail17trampoline_kernelINS0_14default_configENS1_25partition_config_selectorILNS1_17partition_subalgoE8ElNS0_10empty_typeEbEEZZNS1_14partition_implILS5_8ELb0ES3_jPlPS6_PKS6_NS0_5tupleIJS9_S6_EEENSD_IJSA_SA_EEENS0_18inequality_wrapperIZN2at6native12_GLOBAL__N_124unique_dim_cuda_templateIaEESt5tupleIJNSH_6TensorESM_SM_EERKSM_lbbbEUlllE0_EEPmJS6_EEE10hipError_tPvRmT3_T4_T5_T6_T7_T9_mT8_P12ihipStream_tbDpT10_ENKUlT_T0_E_clISt17integral_constantIbLb0EES1B_IbLb1EEEEDaS17_S18_EUlS17_E_NS1_11comp_targetILNS1_3genE2ELNS1_11target_archE906ELNS1_3gpuE6ELNS1_3repE0EEENS1_30default_config_static_selectorELNS0_4arch9wavefront6targetE0EEEvT1_
		.amdhsa_group_segment_fixed_size 0
		.amdhsa_private_segment_fixed_size 0
		.amdhsa_kernarg_size 136
		.amdhsa_user_sgpr_count 2
		.amdhsa_user_sgpr_dispatch_ptr 0
		.amdhsa_user_sgpr_queue_ptr 0
		.amdhsa_user_sgpr_kernarg_segment_ptr 1
		.amdhsa_user_sgpr_dispatch_id 0
		.amdhsa_user_sgpr_kernarg_preload_length 0
		.amdhsa_user_sgpr_kernarg_preload_offset 0
		.amdhsa_user_sgpr_private_segment_size 0
		.amdhsa_wavefront_size32 1
		.amdhsa_uses_dynamic_stack 0
		.amdhsa_enable_private_segment 0
		.amdhsa_system_sgpr_workgroup_id_x 1
		.amdhsa_system_sgpr_workgroup_id_y 0
		.amdhsa_system_sgpr_workgroup_id_z 0
		.amdhsa_system_sgpr_workgroup_info 0
		.amdhsa_system_vgpr_workitem_id 0
		.amdhsa_next_free_vgpr 1
		.amdhsa_next_free_sgpr 1
		.amdhsa_named_barrier_count 0
		.amdhsa_reserve_vcc 0
		.amdhsa_float_round_mode_32 0
		.amdhsa_float_round_mode_16_64 0
		.amdhsa_float_denorm_mode_32 3
		.amdhsa_float_denorm_mode_16_64 3
		.amdhsa_fp16_overflow 0
		.amdhsa_memory_ordered 1
		.amdhsa_forward_progress 1
		.amdhsa_inst_pref_size 0
		.amdhsa_round_robin_scheduling 0
		.amdhsa_exception_fp_ieee_invalid_op 0
		.amdhsa_exception_fp_denorm_src 0
		.amdhsa_exception_fp_ieee_div_zero 0
		.amdhsa_exception_fp_ieee_overflow 0
		.amdhsa_exception_fp_ieee_underflow 0
		.amdhsa_exception_fp_ieee_inexact 0
		.amdhsa_exception_int_div_zero 0
	.end_amdhsa_kernel
	.section	.text._ZN7rocprim17ROCPRIM_400000_NS6detail17trampoline_kernelINS0_14default_configENS1_25partition_config_selectorILNS1_17partition_subalgoE8ElNS0_10empty_typeEbEEZZNS1_14partition_implILS5_8ELb0ES3_jPlPS6_PKS6_NS0_5tupleIJS9_S6_EEENSD_IJSA_SA_EEENS0_18inequality_wrapperIZN2at6native12_GLOBAL__N_124unique_dim_cuda_templateIaEESt5tupleIJNSH_6TensorESM_SM_EERKSM_lbbbEUlllE0_EEPmJS6_EEE10hipError_tPvRmT3_T4_T5_T6_T7_T9_mT8_P12ihipStream_tbDpT10_ENKUlT_T0_E_clISt17integral_constantIbLb0EES1B_IbLb1EEEEDaS17_S18_EUlS17_E_NS1_11comp_targetILNS1_3genE2ELNS1_11target_archE906ELNS1_3gpuE6ELNS1_3repE0EEENS1_30default_config_static_selectorELNS0_4arch9wavefront6targetE0EEEvT1_,"axG",@progbits,_ZN7rocprim17ROCPRIM_400000_NS6detail17trampoline_kernelINS0_14default_configENS1_25partition_config_selectorILNS1_17partition_subalgoE8ElNS0_10empty_typeEbEEZZNS1_14partition_implILS5_8ELb0ES3_jPlPS6_PKS6_NS0_5tupleIJS9_S6_EEENSD_IJSA_SA_EEENS0_18inequality_wrapperIZN2at6native12_GLOBAL__N_124unique_dim_cuda_templateIaEESt5tupleIJNSH_6TensorESM_SM_EERKSM_lbbbEUlllE0_EEPmJS6_EEE10hipError_tPvRmT3_T4_T5_T6_T7_T9_mT8_P12ihipStream_tbDpT10_ENKUlT_T0_E_clISt17integral_constantIbLb0EES1B_IbLb1EEEEDaS17_S18_EUlS17_E_NS1_11comp_targetILNS1_3genE2ELNS1_11target_archE906ELNS1_3gpuE6ELNS1_3repE0EEENS1_30default_config_static_selectorELNS0_4arch9wavefront6targetE0EEEvT1_,comdat
.Lfunc_end347:
	.size	_ZN7rocprim17ROCPRIM_400000_NS6detail17trampoline_kernelINS0_14default_configENS1_25partition_config_selectorILNS1_17partition_subalgoE8ElNS0_10empty_typeEbEEZZNS1_14partition_implILS5_8ELb0ES3_jPlPS6_PKS6_NS0_5tupleIJS9_S6_EEENSD_IJSA_SA_EEENS0_18inequality_wrapperIZN2at6native12_GLOBAL__N_124unique_dim_cuda_templateIaEESt5tupleIJNSH_6TensorESM_SM_EERKSM_lbbbEUlllE0_EEPmJS6_EEE10hipError_tPvRmT3_T4_T5_T6_T7_T9_mT8_P12ihipStream_tbDpT10_ENKUlT_T0_E_clISt17integral_constantIbLb0EES1B_IbLb1EEEEDaS17_S18_EUlS17_E_NS1_11comp_targetILNS1_3genE2ELNS1_11target_archE906ELNS1_3gpuE6ELNS1_3repE0EEENS1_30default_config_static_selectorELNS0_4arch9wavefront6targetE0EEEvT1_, .Lfunc_end347-_ZN7rocprim17ROCPRIM_400000_NS6detail17trampoline_kernelINS0_14default_configENS1_25partition_config_selectorILNS1_17partition_subalgoE8ElNS0_10empty_typeEbEEZZNS1_14partition_implILS5_8ELb0ES3_jPlPS6_PKS6_NS0_5tupleIJS9_S6_EEENSD_IJSA_SA_EEENS0_18inequality_wrapperIZN2at6native12_GLOBAL__N_124unique_dim_cuda_templateIaEESt5tupleIJNSH_6TensorESM_SM_EERKSM_lbbbEUlllE0_EEPmJS6_EEE10hipError_tPvRmT3_T4_T5_T6_T7_T9_mT8_P12ihipStream_tbDpT10_ENKUlT_T0_E_clISt17integral_constantIbLb0EES1B_IbLb1EEEEDaS17_S18_EUlS17_E_NS1_11comp_targetILNS1_3genE2ELNS1_11target_archE906ELNS1_3gpuE6ELNS1_3repE0EEENS1_30default_config_static_selectorELNS0_4arch9wavefront6targetE0EEEvT1_
                                        ; -- End function
	.set _ZN7rocprim17ROCPRIM_400000_NS6detail17trampoline_kernelINS0_14default_configENS1_25partition_config_selectorILNS1_17partition_subalgoE8ElNS0_10empty_typeEbEEZZNS1_14partition_implILS5_8ELb0ES3_jPlPS6_PKS6_NS0_5tupleIJS9_S6_EEENSD_IJSA_SA_EEENS0_18inequality_wrapperIZN2at6native12_GLOBAL__N_124unique_dim_cuda_templateIaEESt5tupleIJNSH_6TensorESM_SM_EERKSM_lbbbEUlllE0_EEPmJS6_EEE10hipError_tPvRmT3_T4_T5_T6_T7_T9_mT8_P12ihipStream_tbDpT10_ENKUlT_T0_E_clISt17integral_constantIbLb0EES1B_IbLb1EEEEDaS17_S18_EUlS17_E_NS1_11comp_targetILNS1_3genE2ELNS1_11target_archE906ELNS1_3gpuE6ELNS1_3repE0EEENS1_30default_config_static_selectorELNS0_4arch9wavefront6targetE0EEEvT1_.num_vgpr, 0
	.set _ZN7rocprim17ROCPRIM_400000_NS6detail17trampoline_kernelINS0_14default_configENS1_25partition_config_selectorILNS1_17partition_subalgoE8ElNS0_10empty_typeEbEEZZNS1_14partition_implILS5_8ELb0ES3_jPlPS6_PKS6_NS0_5tupleIJS9_S6_EEENSD_IJSA_SA_EEENS0_18inequality_wrapperIZN2at6native12_GLOBAL__N_124unique_dim_cuda_templateIaEESt5tupleIJNSH_6TensorESM_SM_EERKSM_lbbbEUlllE0_EEPmJS6_EEE10hipError_tPvRmT3_T4_T5_T6_T7_T9_mT8_P12ihipStream_tbDpT10_ENKUlT_T0_E_clISt17integral_constantIbLb0EES1B_IbLb1EEEEDaS17_S18_EUlS17_E_NS1_11comp_targetILNS1_3genE2ELNS1_11target_archE906ELNS1_3gpuE6ELNS1_3repE0EEENS1_30default_config_static_selectorELNS0_4arch9wavefront6targetE0EEEvT1_.num_agpr, 0
	.set _ZN7rocprim17ROCPRIM_400000_NS6detail17trampoline_kernelINS0_14default_configENS1_25partition_config_selectorILNS1_17partition_subalgoE8ElNS0_10empty_typeEbEEZZNS1_14partition_implILS5_8ELb0ES3_jPlPS6_PKS6_NS0_5tupleIJS9_S6_EEENSD_IJSA_SA_EEENS0_18inequality_wrapperIZN2at6native12_GLOBAL__N_124unique_dim_cuda_templateIaEESt5tupleIJNSH_6TensorESM_SM_EERKSM_lbbbEUlllE0_EEPmJS6_EEE10hipError_tPvRmT3_T4_T5_T6_T7_T9_mT8_P12ihipStream_tbDpT10_ENKUlT_T0_E_clISt17integral_constantIbLb0EES1B_IbLb1EEEEDaS17_S18_EUlS17_E_NS1_11comp_targetILNS1_3genE2ELNS1_11target_archE906ELNS1_3gpuE6ELNS1_3repE0EEENS1_30default_config_static_selectorELNS0_4arch9wavefront6targetE0EEEvT1_.numbered_sgpr, 0
	.set _ZN7rocprim17ROCPRIM_400000_NS6detail17trampoline_kernelINS0_14default_configENS1_25partition_config_selectorILNS1_17partition_subalgoE8ElNS0_10empty_typeEbEEZZNS1_14partition_implILS5_8ELb0ES3_jPlPS6_PKS6_NS0_5tupleIJS9_S6_EEENSD_IJSA_SA_EEENS0_18inequality_wrapperIZN2at6native12_GLOBAL__N_124unique_dim_cuda_templateIaEESt5tupleIJNSH_6TensorESM_SM_EERKSM_lbbbEUlllE0_EEPmJS6_EEE10hipError_tPvRmT3_T4_T5_T6_T7_T9_mT8_P12ihipStream_tbDpT10_ENKUlT_T0_E_clISt17integral_constantIbLb0EES1B_IbLb1EEEEDaS17_S18_EUlS17_E_NS1_11comp_targetILNS1_3genE2ELNS1_11target_archE906ELNS1_3gpuE6ELNS1_3repE0EEENS1_30default_config_static_selectorELNS0_4arch9wavefront6targetE0EEEvT1_.num_named_barrier, 0
	.set _ZN7rocprim17ROCPRIM_400000_NS6detail17trampoline_kernelINS0_14default_configENS1_25partition_config_selectorILNS1_17partition_subalgoE8ElNS0_10empty_typeEbEEZZNS1_14partition_implILS5_8ELb0ES3_jPlPS6_PKS6_NS0_5tupleIJS9_S6_EEENSD_IJSA_SA_EEENS0_18inequality_wrapperIZN2at6native12_GLOBAL__N_124unique_dim_cuda_templateIaEESt5tupleIJNSH_6TensorESM_SM_EERKSM_lbbbEUlllE0_EEPmJS6_EEE10hipError_tPvRmT3_T4_T5_T6_T7_T9_mT8_P12ihipStream_tbDpT10_ENKUlT_T0_E_clISt17integral_constantIbLb0EES1B_IbLb1EEEEDaS17_S18_EUlS17_E_NS1_11comp_targetILNS1_3genE2ELNS1_11target_archE906ELNS1_3gpuE6ELNS1_3repE0EEENS1_30default_config_static_selectorELNS0_4arch9wavefront6targetE0EEEvT1_.private_seg_size, 0
	.set _ZN7rocprim17ROCPRIM_400000_NS6detail17trampoline_kernelINS0_14default_configENS1_25partition_config_selectorILNS1_17partition_subalgoE8ElNS0_10empty_typeEbEEZZNS1_14partition_implILS5_8ELb0ES3_jPlPS6_PKS6_NS0_5tupleIJS9_S6_EEENSD_IJSA_SA_EEENS0_18inequality_wrapperIZN2at6native12_GLOBAL__N_124unique_dim_cuda_templateIaEESt5tupleIJNSH_6TensorESM_SM_EERKSM_lbbbEUlllE0_EEPmJS6_EEE10hipError_tPvRmT3_T4_T5_T6_T7_T9_mT8_P12ihipStream_tbDpT10_ENKUlT_T0_E_clISt17integral_constantIbLb0EES1B_IbLb1EEEEDaS17_S18_EUlS17_E_NS1_11comp_targetILNS1_3genE2ELNS1_11target_archE906ELNS1_3gpuE6ELNS1_3repE0EEENS1_30default_config_static_selectorELNS0_4arch9wavefront6targetE0EEEvT1_.uses_vcc, 0
	.set _ZN7rocprim17ROCPRIM_400000_NS6detail17trampoline_kernelINS0_14default_configENS1_25partition_config_selectorILNS1_17partition_subalgoE8ElNS0_10empty_typeEbEEZZNS1_14partition_implILS5_8ELb0ES3_jPlPS6_PKS6_NS0_5tupleIJS9_S6_EEENSD_IJSA_SA_EEENS0_18inequality_wrapperIZN2at6native12_GLOBAL__N_124unique_dim_cuda_templateIaEESt5tupleIJNSH_6TensorESM_SM_EERKSM_lbbbEUlllE0_EEPmJS6_EEE10hipError_tPvRmT3_T4_T5_T6_T7_T9_mT8_P12ihipStream_tbDpT10_ENKUlT_T0_E_clISt17integral_constantIbLb0EES1B_IbLb1EEEEDaS17_S18_EUlS17_E_NS1_11comp_targetILNS1_3genE2ELNS1_11target_archE906ELNS1_3gpuE6ELNS1_3repE0EEENS1_30default_config_static_selectorELNS0_4arch9wavefront6targetE0EEEvT1_.uses_flat_scratch, 0
	.set _ZN7rocprim17ROCPRIM_400000_NS6detail17trampoline_kernelINS0_14default_configENS1_25partition_config_selectorILNS1_17partition_subalgoE8ElNS0_10empty_typeEbEEZZNS1_14partition_implILS5_8ELb0ES3_jPlPS6_PKS6_NS0_5tupleIJS9_S6_EEENSD_IJSA_SA_EEENS0_18inequality_wrapperIZN2at6native12_GLOBAL__N_124unique_dim_cuda_templateIaEESt5tupleIJNSH_6TensorESM_SM_EERKSM_lbbbEUlllE0_EEPmJS6_EEE10hipError_tPvRmT3_T4_T5_T6_T7_T9_mT8_P12ihipStream_tbDpT10_ENKUlT_T0_E_clISt17integral_constantIbLb0EES1B_IbLb1EEEEDaS17_S18_EUlS17_E_NS1_11comp_targetILNS1_3genE2ELNS1_11target_archE906ELNS1_3gpuE6ELNS1_3repE0EEENS1_30default_config_static_selectorELNS0_4arch9wavefront6targetE0EEEvT1_.has_dyn_sized_stack, 0
	.set _ZN7rocprim17ROCPRIM_400000_NS6detail17trampoline_kernelINS0_14default_configENS1_25partition_config_selectorILNS1_17partition_subalgoE8ElNS0_10empty_typeEbEEZZNS1_14partition_implILS5_8ELb0ES3_jPlPS6_PKS6_NS0_5tupleIJS9_S6_EEENSD_IJSA_SA_EEENS0_18inequality_wrapperIZN2at6native12_GLOBAL__N_124unique_dim_cuda_templateIaEESt5tupleIJNSH_6TensorESM_SM_EERKSM_lbbbEUlllE0_EEPmJS6_EEE10hipError_tPvRmT3_T4_T5_T6_T7_T9_mT8_P12ihipStream_tbDpT10_ENKUlT_T0_E_clISt17integral_constantIbLb0EES1B_IbLb1EEEEDaS17_S18_EUlS17_E_NS1_11comp_targetILNS1_3genE2ELNS1_11target_archE906ELNS1_3gpuE6ELNS1_3repE0EEENS1_30default_config_static_selectorELNS0_4arch9wavefront6targetE0EEEvT1_.has_recursion, 0
	.set _ZN7rocprim17ROCPRIM_400000_NS6detail17trampoline_kernelINS0_14default_configENS1_25partition_config_selectorILNS1_17partition_subalgoE8ElNS0_10empty_typeEbEEZZNS1_14partition_implILS5_8ELb0ES3_jPlPS6_PKS6_NS0_5tupleIJS9_S6_EEENSD_IJSA_SA_EEENS0_18inequality_wrapperIZN2at6native12_GLOBAL__N_124unique_dim_cuda_templateIaEESt5tupleIJNSH_6TensorESM_SM_EERKSM_lbbbEUlllE0_EEPmJS6_EEE10hipError_tPvRmT3_T4_T5_T6_T7_T9_mT8_P12ihipStream_tbDpT10_ENKUlT_T0_E_clISt17integral_constantIbLb0EES1B_IbLb1EEEEDaS17_S18_EUlS17_E_NS1_11comp_targetILNS1_3genE2ELNS1_11target_archE906ELNS1_3gpuE6ELNS1_3repE0EEENS1_30default_config_static_selectorELNS0_4arch9wavefront6targetE0EEEvT1_.has_indirect_call, 0
	.section	.AMDGPU.csdata,"",@progbits
; Kernel info:
; codeLenInByte = 0
; TotalNumSgprs: 0
; NumVgprs: 0
; ScratchSize: 0
; MemoryBound: 0
; FloatMode: 240
; IeeeMode: 1
; LDSByteSize: 0 bytes/workgroup (compile time only)
; SGPRBlocks: 0
; VGPRBlocks: 0
; NumSGPRsForWavesPerEU: 1
; NumVGPRsForWavesPerEU: 1
; NamedBarCnt: 0
; Occupancy: 16
; WaveLimiterHint : 0
; COMPUTE_PGM_RSRC2:SCRATCH_EN: 0
; COMPUTE_PGM_RSRC2:USER_SGPR: 2
; COMPUTE_PGM_RSRC2:TRAP_HANDLER: 0
; COMPUTE_PGM_RSRC2:TGID_X_EN: 1
; COMPUTE_PGM_RSRC2:TGID_Y_EN: 0
; COMPUTE_PGM_RSRC2:TGID_Z_EN: 0
; COMPUTE_PGM_RSRC2:TIDIG_COMP_CNT: 0
	.section	.text._ZN7rocprim17ROCPRIM_400000_NS6detail17trampoline_kernelINS0_14default_configENS1_25partition_config_selectorILNS1_17partition_subalgoE8ElNS0_10empty_typeEbEEZZNS1_14partition_implILS5_8ELb0ES3_jPlPS6_PKS6_NS0_5tupleIJS9_S6_EEENSD_IJSA_SA_EEENS0_18inequality_wrapperIZN2at6native12_GLOBAL__N_124unique_dim_cuda_templateIaEESt5tupleIJNSH_6TensorESM_SM_EERKSM_lbbbEUlllE0_EEPmJS6_EEE10hipError_tPvRmT3_T4_T5_T6_T7_T9_mT8_P12ihipStream_tbDpT10_ENKUlT_T0_E_clISt17integral_constantIbLb0EES1B_IbLb1EEEEDaS17_S18_EUlS17_E_NS1_11comp_targetILNS1_3genE10ELNS1_11target_archE1200ELNS1_3gpuE4ELNS1_3repE0EEENS1_30default_config_static_selectorELNS0_4arch9wavefront6targetE0EEEvT1_,"axG",@progbits,_ZN7rocprim17ROCPRIM_400000_NS6detail17trampoline_kernelINS0_14default_configENS1_25partition_config_selectorILNS1_17partition_subalgoE8ElNS0_10empty_typeEbEEZZNS1_14partition_implILS5_8ELb0ES3_jPlPS6_PKS6_NS0_5tupleIJS9_S6_EEENSD_IJSA_SA_EEENS0_18inequality_wrapperIZN2at6native12_GLOBAL__N_124unique_dim_cuda_templateIaEESt5tupleIJNSH_6TensorESM_SM_EERKSM_lbbbEUlllE0_EEPmJS6_EEE10hipError_tPvRmT3_T4_T5_T6_T7_T9_mT8_P12ihipStream_tbDpT10_ENKUlT_T0_E_clISt17integral_constantIbLb0EES1B_IbLb1EEEEDaS17_S18_EUlS17_E_NS1_11comp_targetILNS1_3genE10ELNS1_11target_archE1200ELNS1_3gpuE4ELNS1_3repE0EEENS1_30default_config_static_selectorELNS0_4arch9wavefront6targetE0EEEvT1_,comdat
	.globl	_ZN7rocprim17ROCPRIM_400000_NS6detail17trampoline_kernelINS0_14default_configENS1_25partition_config_selectorILNS1_17partition_subalgoE8ElNS0_10empty_typeEbEEZZNS1_14partition_implILS5_8ELb0ES3_jPlPS6_PKS6_NS0_5tupleIJS9_S6_EEENSD_IJSA_SA_EEENS0_18inequality_wrapperIZN2at6native12_GLOBAL__N_124unique_dim_cuda_templateIaEESt5tupleIJNSH_6TensorESM_SM_EERKSM_lbbbEUlllE0_EEPmJS6_EEE10hipError_tPvRmT3_T4_T5_T6_T7_T9_mT8_P12ihipStream_tbDpT10_ENKUlT_T0_E_clISt17integral_constantIbLb0EES1B_IbLb1EEEEDaS17_S18_EUlS17_E_NS1_11comp_targetILNS1_3genE10ELNS1_11target_archE1200ELNS1_3gpuE4ELNS1_3repE0EEENS1_30default_config_static_selectorELNS0_4arch9wavefront6targetE0EEEvT1_ ; -- Begin function _ZN7rocprim17ROCPRIM_400000_NS6detail17trampoline_kernelINS0_14default_configENS1_25partition_config_selectorILNS1_17partition_subalgoE8ElNS0_10empty_typeEbEEZZNS1_14partition_implILS5_8ELb0ES3_jPlPS6_PKS6_NS0_5tupleIJS9_S6_EEENSD_IJSA_SA_EEENS0_18inequality_wrapperIZN2at6native12_GLOBAL__N_124unique_dim_cuda_templateIaEESt5tupleIJNSH_6TensorESM_SM_EERKSM_lbbbEUlllE0_EEPmJS6_EEE10hipError_tPvRmT3_T4_T5_T6_T7_T9_mT8_P12ihipStream_tbDpT10_ENKUlT_T0_E_clISt17integral_constantIbLb0EES1B_IbLb1EEEEDaS17_S18_EUlS17_E_NS1_11comp_targetILNS1_3genE10ELNS1_11target_archE1200ELNS1_3gpuE4ELNS1_3repE0EEENS1_30default_config_static_selectorELNS0_4arch9wavefront6targetE0EEEvT1_
	.p2align	8
	.type	_ZN7rocprim17ROCPRIM_400000_NS6detail17trampoline_kernelINS0_14default_configENS1_25partition_config_selectorILNS1_17partition_subalgoE8ElNS0_10empty_typeEbEEZZNS1_14partition_implILS5_8ELb0ES3_jPlPS6_PKS6_NS0_5tupleIJS9_S6_EEENSD_IJSA_SA_EEENS0_18inequality_wrapperIZN2at6native12_GLOBAL__N_124unique_dim_cuda_templateIaEESt5tupleIJNSH_6TensorESM_SM_EERKSM_lbbbEUlllE0_EEPmJS6_EEE10hipError_tPvRmT3_T4_T5_T6_T7_T9_mT8_P12ihipStream_tbDpT10_ENKUlT_T0_E_clISt17integral_constantIbLb0EES1B_IbLb1EEEEDaS17_S18_EUlS17_E_NS1_11comp_targetILNS1_3genE10ELNS1_11target_archE1200ELNS1_3gpuE4ELNS1_3repE0EEENS1_30default_config_static_selectorELNS0_4arch9wavefront6targetE0EEEvT1_,@function
_ZN7rocprim17ROCPRIM_400000_NS6detail17trampoline_kernelINS0_14default_configENS1_25partition_config_selectorILNS1_17partition_subalgoE8ElNS0_10empty_typeEbEEZZNS1_14partition_implILS5_8ELb0ES3_jPlPS6_PKS6_NS0_5tupleIJS9_S6_EEENSD_IJSA_SA_EEENS0_18inequality_wrapperIZN2at6native12_GLOBAL__N_124unique_dim_cuda_templateIaEESt5tupleIJNSH_6TensorESM_SM_EERKSM_lbbbEUlllE0_EEPmJS6_EEE10hipError_tPvRmT3_T4_T5_T6_T7_T9_mT8_P12ihipStream_tbDpT10_ENKUlT_T0_E_clISt17integral_constantIbLb0EES1B_IbLb1EEEEDaS17_S18_EUlS17_E_NS1_11comp_targetILNS1_3genE10ELNS1_11target_archE1200ELNS1_3gpuE4ELNS1_3repE0EEENS1_30default_config_static_selectorELNS0_4arch9wavefront6targetE0EEEvT1_: ; @_ZN7rocprim17ROCPRIM_400000_NS6detail17trampoline_kernelINS0_14default_configENS1_25partition_config_selectorILNS1_17partition_subalgoE8ElNS0_10empty_typeEbEEZZNS1_14partition_implILS5_8ELb0ES3_jPlPS6_PKS6_NS0_5tupleIJS9_S6_EEENSD_IJSA_SA_EEENS0_18inequality_wrapperIZN2at6native12_GLOBAL__N_124unique_dim_cuda_templateIaEESt5tupleIJNSH_6TensorESM_SM_EERKSM_lbbbEUlllE0_EEPmJS6_EEE10hipError_tPvRmT3_T4_T5_T6_T7_T9_mT8_P12ihipStream_tbDpT10_ENKUlT_T0_E_clISt17integral_constantIbLb0EES1B_IbLb1EEEEDaS17_S18_EUlS17_E_NS1_11comp_targetILNS1_3genE10ELNS1_11target_archE1200ELNS1_3gpuE4ELNS1_3repE0EEENS1_30default_config_static_selectorELNS0_4arch9wavefront6targetE0EEEvT1_
; %bb.0:
	.section	.rodata,"a",@progbits
	.p2align	6, 0x0
	.amdhsa_kernel _ZN7rocprim17ROCPRIM_400000_NS6detail17trampoline_kernelINS0_14default_configENS1_25partition_config_selectorILNS1_17partition_subalgoE8ElNS0_10empty_typeEbEEZZNS1_14partition_implILS5_8ELb0ES3_jPlPS6_PKS6_NS0_5tupleIJS9_S6_EEENSD_IJSA_SA_EEENS0_18inequality_wrapperIZN2at6native12_GLOBAL__N_124unique_dim_cuda_templateIaEESt5tupleIJNSH_6TensorESM_SM_EERKSM_lbbbEUlllE0_EEPmJS6_EEE10hipError_tPvRmT3_T4_T5_T6_T7_T9_mT8_P12ihipStream_tbDpT10_ENKUlT_T0_E_clISt17integral_constantIbLb0EES1B_IbLb1EEEEDaS17_S18_EUlS17_E_NS1_11comp_targetILNS1_3genE10ELNS1_11target_archE1200ELNS1_3gpuE4ELNS1_3repE0EEENS1_30default_config_static_selectorELNS0_4arch9wavefront6targetE0EEEvT1_
		.amdhsa_group_segment_fixed_size 0
		.amdhsa_private_segment_fixed_size 0
		.amdhsa_kernarg_size 136
		.amdhsa_user_sgpr_count 2
		.amdhsa_user_sgpr_dispatch_ptr 0
		.amdhsa_user_sgpr_queue_ptr 0
		.amdhsa_user_sgpr_kernarg_segment_ptr 1
		.amdhsa_user_sgpr_dispatch_id 0
		.amdhsa_user_sgpr_kernarg_preload_length 0
		.amdhsa_user_sgpr_kernarg_preload_offset 0
		.amdhsa_user_sgpr_private_segment_size 0
		.amdhsa_wavefront_size32 1
		.amdhsa_uses_dynamic_stack 0
		.amdhsa_enable_private_segment 0
		.amdhsa_system_sgpr_workgroup_id_x 1
		.amdhsa_system_sgpr_workgroup_id_y 0
		.amdhsa_system_sgpr_workgroup_id_z 0
		.amdhsa_system_sgpr_workgroup_info 0
		.amdhsa_system_vgpr_workitem_id 0
		.amdhsa_next_free_vgpr 1
		.amdhsa_next_free_sgpr 1
		.amdhsa_named_barrier_count 0
		.amdhsa_reserve_vcc 0
		.amdhsa_float_round_mode_32 0
		.amdhsa_float_round_mode_16_64 0
		.amdhsa_float_denorm_mode_32 3
		.amdhsa_float_denorm_mode_16_64 3
		.amdhsa_fp16_overflow 0
		.amdhsa_memory_ordered 1
		.amdhsa_forward_progress 1
		.amdhsa_inst_pref_size 0
		.amdhsa_round_robin_scheduling 0
		.amdhsa_exception_fp_ieee_invalid_op 0
		.amdhsa_exception_fp_denorm_src 0
		.amdhsa_exception_fp_ieee_div_zero 0
		.amdhsa_exception_fp_ieee_overflow 0
		.amdhsa_exception_fp_ieee_underflow 0
		.amdhsa_exception_fp_ieee_inexact 0
		.amdhsa_exception_int_div_zero 0
	.end_amdhsa_kernel
	.section	.text._ZN7rocprim17ROCPRIM_400000_NS6detail17trampoline_kernelINS0_14default_configENS1_25partition_config_selectorILNS1_17partition_subalgoE8ElNS0_10empty_typeEbEEZZNS1_14partition_implILS5_8ELb0ES3_jPlPS6_PKS6_NS0_5tupleIJS9_S6_EEENSD_IJSA_SA_EEENS0_18inequality_wrapperIZN2at6native12_GLOBAL__N_124unique_dim_cuda_templateIaEESt5tupleIJNSH_6TensorESM_SM_EERKSM_lbbbEUlllE0_EEPmJS6_EEE10hipError_tPvRmT3_T4_T5_T6_T7_T9_mT8_P12ihipStream_tbDpT10_ENKUlT_T0_E_clISt17integral_constantIbLb0EES1B_IbLb1EEEEDaS17_S18_EUlS17_E_NS1_11comp_targetILNS1_3genE10ELNS1_11target_archE1200ELNS1_3gpuE4ELNS1_3repE0EEENS1_30default_config_static_selectorELNS0_4arch9wavefront6targetE0EEEvT1_,"axG",@progbits,_ZN7rocprim17ROCPRIM_400000_NS6detail17trampoline_kernelINS0_14default_configENS1_25partition_config_selectorILNS1_17partition_subalgoE8ElNS0_10empty_typeEbEEZZNS1_14partition_implILS5_8ELb0ES3_jPlPS6_PKS6_NS0_5tupleIJS9_S6_EEENSD_IJSA_SA_EEENS0_18inequality_wrapperIZN2at6native12_GLOBAL__N_124unique_dim_cuda_templateIaEESt5tupleIJNSH_6TensorESM_SM_EERKSM_lbbbEUlllE0_EEPmJS6_EEE10hipError_tPvRmT3_T4_T5_T6_T7_T9_mT8_P12ihipStream_tbDpT10_ENKUlT_T0_E_clISt17integral_constantIbLb0EES1B_IbLb1EEEEDaS17_S18_EUlS17_E_NS1_11comp_targetILNS1_3genE10ELNS1_11target_archE1200ELNS1_3gpuE4ELNS1_3repE0EEENS1_30default_config_static_selectorELNS0_4arch9wavefront6targetE0EEEvT1_,comdat
.Lfunc_end348:
	.size	_ZN7rocprim17ROCPRIM_400000_NS6detail17trampoline_kernelINS0_14default_configENS1_25partition_config_selectorILNS1_17partition_subalgoE8ElNS0_10empty_typeEbEEZZNS1_14partition_implILS5_8ELb0ES3_jPlPS6_PKS6_NS0_5tupleIJS9_S6_EEENSD_IJSA_SA_EEENS0_18inequality_wrapperIZN2at6native12_GLOBAL__N_124unique_dim_cuda_templateIaEESt5tupleIJNSH_6TensorESM_SM_EERKSM_lbbbEUlllE0_EEPmJS6_EEE10hipError_tPvRmT3_T4_T5_T6_T7_T9_mT8_P12ihipStream_tbDpT10_ENKUlT_T0_E_clISt17integral_constantIbLb0EES1B_IbLb1EEEEDaS17_S18_EUlS17_E_NS1_11comp_targetILNS1_3genE10ELNS1_11target_archE1200ELNS1_3gpuE4ELNS1_3repE0EEENS1_30default_config_static_selectorELNS0_4arch9wavefront6targetE0EEEvT1_, .Lfunc_end348-_ZN7rocprim17ROCPRIM_400000_NS6detail17trampoline_kernelINS0_14default_configENS1_25partition_config_selectorILNS1_17partition_subalgoE8ElNS0_10empty_typeEbEEZZNS1_14partition_implILS5_8ELb0ES3_jPlPS6_PKS6_NS0_5tupleIJS9_S6_EEENSD_IJSA_SA_EEENS0_18inequality_wrapperIZN2at6native12_GLOBAL__N_124unique_dim_cuda_templateIaEESt5tupleIJNSH_6TensorESM_SM_EERKSM_lbbbEUlllE0_EEPmJS6_EEE10hipError_tPvRmT3_T4_T5_T6_T7_T9_mT8_P12ihipStream_tbDpT10_ENKUlT_T0_E_clISt17integral_constantIbLb0EES1B_IbLb1EEEEDaS17_S18_EUlS17_E_NS1_11comp_targetILNS1_3genE10ELNS1_11target_archE1200ELNS1_3gpuE4ELNS1_3repE0EEENS1_30default_config_static_selectorELNS0_4arch9wavefront6targetE0EEEvT1_
                                        ; -- End function
	.set _ZN7rocprim17ROCPRIM_400000_NS6detail17trampoline_kernelINS0_14default_configENS1_25partition_config_selectorILNS1_17partition_subalgoE8ElNS0_10empty_typeEbEEZZNS1_14partition_implILS5_8ELb0ES3_jPlPS6_PKS6_NS0_5tupleIJS9_S6_EEENSD_IJSA_SA_EEENS0_18inequality_wrapperIZN2at6native12_GLOBAL__N_124unique_dim_cuda_templateIaEESt5tupleIJNSH_6TensorESM_SM_EERKSM_lbbbEUlllE0_EEPmJS6_EEE10hipError_tPvRmT3_T4_T5_T6_T7_T9_mT8_P12ihipStream_tbDpT10_ENKUlT_T0_E_clISt17integral_constantIbLb0EES1B_IbLb1EEEEDaS17_S18_EUlS17_E_NS1_11comp_targetILNS1_3genE10ELNS1_11target_archE1200ELNS1_3gpuE4ELNS1_3repE0EEENS1_30default_config_static_selectorELNS0_4arch9wavefront6targetE0EEEvT1_.num_vgpr, 0
	.set _ZN7rocprim17ROCPRIM_400000_NS6detail17trampoline_kernelINS0_14default_configENS1_25partition_config_selectorILNS1_17partition_subalgoE8ElNS0_10empty_typeEbEEZZNS1_14partition_implILS5_8ELb0ES3_jPlPS6_PKS6_NS0_5tupleIJS9_S6_EEENSD_IJSA_SA_EEENS0_18inequality_wrapperIZN2at6native12_GLOBAL__N_124unique_dim_cuda_templateIaEESt5tupleIJNSH_6TensorESM_SM_EERKSM_lbbbEUlllE0_EEPmJS6_EEE10hipError_tPvRmT3_T4_T5_T6_T7_T9_mT8_P12ihipStream_tbDpT10_ENKUlT_T0_E_clISt17integral_constantIbLb0EES1B_IbLb1EEEEDaS17_S18_EUlS17_E_NS1_11comp_targetILNS1_3genE10ELNS1_11target_archE1200ELNS1_3gpuE4ELNS1_3repE0EEENS1_30default_config_static_selectorELNS0_4arch9wavefront6targetE0EEEvT1_.num_agpr, 0
	.set _ZN7rocprim17ROCPRIM_400000_NS6detail17trampoline_kernelINS0_14default_configENS1_25partition_config_selectorILNS1_17partition_subalgoE8ElNS0_10empty_typeEbEEZZNS1_14partition_implILS5_8ELb0ES3_jPlPS6_PKS6_NS0_5tupleIJS9_S6_EEENSD_IJSA_SA_EEENS0_18inequality_wrapperIZN2at6native12_GLOBAL__N_124unique_dim_cuda_templateIaEESt5tupleIJNSH_6TensorESM_SM_EERKSM_lbbbEUlllE0_EEPmJS6_EEE10hipError_tPvRmT3_T4_T5_T6_T7_T9_mT8_P12ihipStream_tbDpT10_ENKUlT_T0_E_clISt17integral_constantIbLb0EES1B_IbLb1EEEEDaS17_S18_EUlS17_E_NS1_11comp_targetILNS1_3genE10ELNS1_11target_archE1200ELNS1_3gpuE4ELNS1_3repE0EEENS1_30default_config_static_selectorELNS0_4arch9wavefront6targetE0EEEvT1_.numbered_sgpr, 0
	.set _ZN7rocprim17ROCPRIM_400000_NS6detail17trampoline_kernelINS0_14default_configENS1_25partition_config_selectorILNS1_17partition_subalgoE8ElNS0_10empty_typeEbEEZZNS1_14partition_implILS5_8ELb0ES3_jPlPS6_PKS6_NS0_5tupleIJS9_S6_EEENSD_IJSA_SA_EEENS0_18inequality_wrapperIZN2at6native12_GLOBAL__N_124unique_dim_cuda_templateIaEESt5tupleIJNSH_6TensorESM_SM_EERKSM_lbbbEUlllE0_EEPmJS6_EEE10hipError_tPvRmT3_T4_T5_T6_T7_T9_mT8_P12ihipStream_tbDpT10_ENKUlT_T0_E_clISt17integral_constantIbLb0EES1B_IbLb1EEEEDaS17_S18_EUlS17_E_NS1_11comp_targetILNS1_3genE10ELNS1_11target_archE1200ELNS1_3gpuE4ELNS1_3repE0EEENS1_30default_config_static_selectorELNS0_4arch9wavefront6targetE0EEEvT1_.num_named_barrier, 0
	.set _ZN7rocprim17ROCPRIM_400000_NS6detail17trampoline_kernelINS0_14default_configENS1_25partition_config_selectorILNS1_17partition_subalgoE8ElNS0_10empty_typeEbEEZZNS1_14partition_implILS5_8ELb0ES3_jPlPS6_PKS6_NS0_5tupleIJS9_S6_EEENSD_IJSA_SA_EEENS0_18inequality_wrapperIZN2at6native12_GLOBAL__N_124unique_dim_cuda_templateIaEESt5tupleIJNSH_6TensorESM_SM_EERKSM_lbbbEUlllE0_EEPmJS6_EEE10hipError_tPvRmT3_T4_T5_T6_T7_T9_mT8_P12ihipStream_tbDpT10_ENKUlT_T0_E_clISt17integral_constantIbLb0EES1B_IbLb1EEEEDaS17_S18_EUlS17_E_NS1_11comp_targetILNS1_3genE10ELNS1_11target_archE1200ELNS1_3gpuE4ELNS1_3repE0EEENS1_30default_config_static_selectorELNS0_4arch9wavefront6targetE0EEEvT1_.private_seg_size, 0
	.set _ZN7rocprim17ROCPRIM_400000_NS6detail17trampoline_kernelINS0_14default_configENS1_25partition_config_selectorILNS1_17partition_subalgoE8ElNS0_10empty_typeEbEEZZNS1_14partition_implILS5_8ELb0ES3_jPlPS6_PKS6_NS0_5tupleIJS9_S6_EEENSD_IJSA_SA_EEENS0_18inequality_wrapperIZN2at6native12_GLOBAL__N_124unique_dim_cuda_templateIaEESt5tupleIJNSH_6TensorESM_SM_EERKSM_lbbbEUlllE0_EEPmJS6_EEE10hipError_tPvRmT3_T4_T5_T6_T7_T9_mT8_P12ihipStream_tbDpT10_ENKUlT_T0_E_clISt17integral_constantIbLb0EES1B_IbLb1EEEEDaS17_S18_EUlS17_E_NS1_11comp_targetILNS1_3genE10ELNS1_11target_archE1200ELNS1_3gpuE4ELNS1_3repE0EEENS1_30default_config_static_selectorELNS0_4arch9wavefront6targetE0EEEvT1_.uses_vcc, 0
	.set _ZN7rocprim17ROCPRIM_400000_NS6detail17trampoline_kernelINS0_14default_configENS1_25partition_config_selectorILNS1_17partition_subalgoE8ElNS0_10empty_typeEbEEZZNS1_14partition_implILS5_8ELb0ES3_jPlPS6_PKS6_NS0_5tupleIJS9_S6_EEENSD_IJSA_SA_EEENS0_18inequality_wrapperIZN2at6native12_GLOBAL__N_124unique_dim_cuda_templateIaEESt5tupleIJNSH_6TensorESM_SM_EERKSM_lbbbEUlllE0_EEPmJS6_EEE10hipError_tPvRmT3_T4_T5_T6_T7_T9_mT8_P12ihipStream_tbDpT10_ENKUlT_T0_E_clISt17integral_constantIbLb0EES1B_IbLb1EEEEDaS17_S18_EUlS17_E_NS1_11comp_targetILNS1_3genE10ELNS1_11target_archE1200ELNS1_3gpuE4ELNS1_3repE0EEENS1_30default_config_static_selectorELNS0_4arch9wavefront6targetE0EEEvT1_.uses_flat_scratch, 0
	.set _ZN7rocprim17ROCPRIM_400000_NS6detail17trampoline_kernelINS0_14default_configENS1_25partition_config_selectorILNS1_17partition_subalgoE8ElNS0_10empty_typeEbEEZZNS1_14partition_implILS5_8ELb0ES3_jPlPS6_PKS6_NS0_5tupleIJS9_S6_EEENSD_IJSA_SA_EEENS0_18inequality_wrapperIZN2at6native12_GLOBAL__N_124unique_dim_cuda_templateIaEESt5tupleIJNSH_6TensorESM_SM_EERKSM_lbbbEUlllE0_EEPmJS6_EEE10hipError_tPvRmT3_T4_T5_T6_T7_T9_mT8_P12ihipStream_tbDpT10_ENKUlT_T0_E_clISt17integral_constantIbLb0EES1B_IbLb1EEEEDaS17_S18_EUlS17_E_NS1_11comp_targetILNS1_3genE10ELNS1_11target_archE1200ELNS1_3gpuE4ELNS1_3repE0EEENS1_30default_config_static_selectorELNS0_4arch9wavefront6targetE0EEEvT1_.has_dyn_sized_stack, 0
	.set _ZN7rocprim17ROCPRIM_400000_NS6detail17trampoline_kernelINS0_14default_configENS1_25partition_config_selectorILNS1_17partition_subalgoE8ElNS0_10empty_typeEbEEZZNS1_14partition_implILS5_8ELb0ES3_jPlPS6_PKS6_NS0_5tupleIJS9_S6_EEENSD_IJSA_SA_EEENS0_18inequality_wrapperIZN2at6native12_GLOBAL__N_124unique_dim_cuda_templateIaEESt5tupleIJNSH_6TensorESM_SM_EERKSM_lbbbEUlllE0_EEPmJS6_EEE10hipError_tPvRmT3_T4_T5_T6_T7_T9_mT8_P12ihipStream_tbDpT10_ENKUlT_T0_E_clISt17integral_constantIbLb0EES1B_IbLb1EEEEDaS17_S18_EUlS17_E_NS1_11comp_targetILNS1_3genE10ELNS1_11target_archE1200ELNS1_3gpuE4ELNS1_3repE0EEENS1_30default_config_static_selectorELNS0_4arch9wavefront6targetE0EEEvT1_.has_recursion, 0
	.set _ZN7rocprim17ROCPRIM_400000_NS6detail17trampoline_kernelINS0_14default_configENS1_25partition_config_selectorILNS1_17partition_subalgoE8ElNS0_10empty_typeEbEEZZNS1_14partition_implILS5_8ELb0ES3_jPlPS6_PKS6_NS0_5tupleIJS9_S6_EEENSD_IJSA_SA_EEENS0_18inequality_wrapperIZN2at6native12_GLOBAL__N_124unique_dim_cuda_templateIaEESt5tupleIJNSH_6TensorESM_SM_EERKSM_lbbbEUlllE0_EEPmJS6_EEE10hipError_tPvRmT3_T4_T5_T6_T7_T9_mT8_P12ihipStream_tbDpT10_ENKUlT_T0_E_clISt17integral_constantIbLb0EES1B_IbLb1EEEEDaS17_S18_EUlS17_E_NS1_11comp_targetILNS1_3genE10ELNS1_11target_archE1200ELNS1_3gpuE4ELNS1_3repE0EEENS1_30default_config_static_selectorELNS0_4arch9wavefront6targetE0EEEvT1_.has_indirect_call, 0
	.section	.AMDGPU.csdata,"",@progbits
; Kernel info:
; codeLenInByte = 0
; TotalNumSgprs: 0
; NumVgprs: 0
; ScratchSize: 0
; MemoryBound: 0
; FloatMode: 240
; IeeeMode: 1
; LDSByteSize: 0 bytes/workgroup (compile time only)
; SGPRBlocks: 0
; VGPRBlocks: 0
; NumSGPRsForWavesPerEU: 1
; NumVGPRsForWavesPerEU: 1
; NamedBarCnt: 0
; Occupancy: 16
; WaveLimiterHint : 0
; COMPUTE_PGM_RSRC2:SCRATCH_EN: 0
; COMPUTE_PGM_RSRC2:USER_SGPR: 2
; COMPUTE_PGM_RSRC2:TRAP_HANDLER: 0
; COMPUTE_PGM_RSRC2:TGID_X_EN: 1
; COMPUTE_PGM_RSRC2:TGID_Y_EN: 0
; COMPUTE_PGM_RSRC2:TGID_Z_EN: 0
; COMPUTE_PGM_RSRC2:TIDIG_COMP_CNT: 0
	.section	.text._ZN7rocprim17ROCPRIM_400000_NS6detail17trampoline_kernelINS0_14default_configENS1_25partition_config_selectorILNS1_17partition_subalgoE8ElNS0_10empty_typeEbEEZZNS1_14partition_implILS5_8ELb0ES3_jPlPS6_PKS6_NS0_5tupleIJS9_S6_EEENSD_IJSA_SA_EEENS0_18inequality_wrapperIZN2at6native12_GLOBAL__N_124unique_dim_cuda_templateIaEESt5tupleIJNSH_6TensorESM_SM_EERKSM_lbbbEUlllE0_EEPmJS6_EEE10hipError_tPvRmT3_T4_T5_T6_T7_T9_mT8_P12ihipStream_tbDpT10_ENKUlT_T0_E_clISt17integral_constantIbLb0EES1B_IbLb1EEEEDaS17_S18_EUlS17_E_NS1_11comp_targetILNS1_3genE9ELNS1_11target_archE1100ELNS1_3gpuE3ELNS1_3repE0EEENS1_30default_config_static_selectorELNS0_4arch9wavefront6targetE0EEEvT1_,"axG",@progbits,_ZN7rocprim17ROCPRIM_400000_NS6detail17trampoline_kernelINS0_14default_configENS1_25partition_config_selectorILNS1_17partition_subalgoE8ElNS0_10empty_typeEbEEZZNS1_14partition_implILS5_8ELb0ES3_jPlPS6_PKS6_NS0_5tupleIJS9_S6_EEENSD_IJSA_SA_EEENS0_18inequality_wrapperIZN2at6native12_GLOBAL__N_124unique_dim_cuda_templateIaEESt5tupleIJNSH_6TensorESM_SM_EERKSM_lbbbEUlllE0_EEPmJS6_EEE10hipError_tPvRmT3_T4_T5_T6_T7_T9_mT8_P12ihipStream_tbDpT10_ENKUlT_T0_E_clISt17integral_constantIbLb0EES1B_IbLb1EEEEDaS17_S18_EUlS17_E_NS1_11comp_targetILNS1_3genE9ELNS1_11target_archE1100ELNS1_3gpuE3ELNS1_3repE0EEENS1_30default_config_static_selectorELNS0_4arch9wavefront6targetE0EEEvT1_,comdat
	.globl	_ZN7rocprim17ROCPRIM_400000_NS6detail17trampoline_kernelINS0_14default_configENS1_25partition_config_selectorILNS1_17partition_subalgoE8ElNS0_10empty_typeEbEEZZNS1_14partition_implILS5_8ELb0ES3_jPlPS6_PKS6_NS0_5tupleIJS9_S6_EEENSD_IJSA_SA_EEENS0_18inequality_wrapperIZN2at6native12_GLOBAL__N_124unique_dim_cuda_templateIaEESt5tupleIJNSH_6TensorESM_SM_EERKSM_lbbbEUlllE0_EEPmJS6_EEE10hipError_tPvRmT3_T4_T5_T6_T7_T9_mT8_P12ihipStream_tbDpT10_ENKUlT_T0_E_clISt17integral_constantIbLb0EES1B_IbLb1EEEEDaS17_S18_EUlS17_E_NS1_11comp_targetILNS1_3genE9ELNS1_11target_archE1100ELNS1_3gpuE3ELNS1_3repE0EEENS1_30default_config_static_selectorELNS0_4arch9wavefront6targetE0EEEvT1_ ; -- Begin function _ZN7rocprim17ROCPRIM_400000_NS6detail17trampoline_kernelINS0_14default_configENS1_25partition_config_selectorILNS1_17partition_subalgoE8ElNS0_10empty_typeEbEEZZNS1_14partition_implILS5_8ELb0ES3_jPlPS6_PKS6_NS0_5tupleIJS9_S6_EEENSD_IJSA_SA_EEENS0_18inequality_wrapperIZN2at6native12_GLOBAL__N_124unique_dim_cuda_templateIaEESt5tupleIJNSH_6TensorESM_SM_EERKSM_lbbbEUlllE0_EEPmJS6_EEE10hipError_tPvRmT3_T4_T5_T6_T7_T9_mT8_P12ihipStream_tbDpT10_ENKUlT_T0_E_clISt17integral_constantIbLb0EES1B_IbLb1EEEEDaS17_S18_EUlS17_E_NS1_11comp_targetILNS1_3genE9ELNS1_11target_archE1100ELNS1_3gpuE3ELNS1_3repE0EEENS1_30default_config_static_selectorELNS0_4arch9wavefront6targetE0EEEvT1_
	.p2align	8
	.type	_ZN7rocprim17ROCPRIM_400000_NS6detail17trampoline_kernelINS0_14default_configENS1_25partition_config_selectorILNS1_17partition_subalgoE8ElNS0_10empty_typeEbEEZZNS1_14partition_implILS5_8ELb0ES3_jPlPS6_PKS6_NS0_5tupleIJS9_S6_EEENSD_IJSA_SA_EEENS0_18inequality_wrapperIZN2at6native12_GLOBAL__N_124unique_dim_cuda_templateIaEESt5tupleIJNSH_6TensorESM_SM_EERKSM_lbbbEUlllE0_EEPmJS6_EEE10hipError_tPvRmT3_T4_T5_T6_T7_T9_mT8_P12ihipStream_tbDpT10_ENKUlT_T0_E_clISt17integral_constantIbLb0EES1B_IbLb1EEEEDaS17_S18_EUlS17_E_NS1_11comp_targetILNS1_3genE9ELNS1_11target_archE1100ELNS1_3gpuE3ELNS1_3repE0EEENS1_30default_config_static_selectorELNS0_4arch9wavefront6targetE0EEEvT1_,@function
_ZN7rocprim17ROCPRIM_400000_NS6detail17trampoline_kernelINS0_14default_configENS1_25partition_config_selectorILNS1_17partition_subalgoE8ElNS0_10empty_typeEbEEZZNS1_14partition_implILS5_8ELb0ES3_jPlPS6_PKS6_NS0_5tupleIJS9_S6_EEENSD_IJSA_SA_EEENS0_18inequality_wrapperIZN2at6native12_GLOBAL__N_124unique_dim_cuda_templateIaEESt5tupleIJNSH_6TensorESM_SM_EERKSM_lbbbEUlllE0_EEPmJS6_EEE10hipError_tPvRmT3_T4_T5_T6_T7_T9_mT8_P12ihipStream_tbDpT10_ENKUlT_T0_E_clISt17integral_constantIbLb0EES1B_IbLb1EEEEDaS17_S18_EUlS17_E_NS1_11comp_targetILNS1_3genE9ELNS1_11target_archE1100ELNS1_3gpuE3ELNS1_3repE0EEENS1_30default_config_static_selectorELNS0_4arch9wavefront6targetE0EEEvT1_: ; @_ZN7rocprim17ROCPRIM_400000_NS6detail17trampoline_kernelINS0_14default_configENS1_25partition_config_selectorILNS1_17partition_subalgoE8ElNS0_10empty_typeEbEEZZNS1_14partition_implILS5_8ELb0ES3_jPlPS6_PKS6_NS0_5tupleIJS9_S6_EEENSD_IJSA_SA_EEENS0_18inequality_wrapperIZN2at6native12_GLOBAL__N_124unique_dim_cuda_templateIaEESt5tupleIJNSH_6TensorESM_SM_EERKSM_lbbbEUlllE0_EEPmJS6_EEE10hipError_tPvRmT3_T4_T5_T6_T7_T9_mT8_P12ihipStream_tbDpT10_ENKUlT_T0_E_clISt17integral_constantIbLb0EES1B_IbLb1EEEEDaS17_S18_EUlS17_E_NS1_11comp_targetILNS1_3genE9ELNS1_11target_archE1100ELNS1_3gpuE3ELNS1_3repE0EEENS1_30default_config_static_selectorELNS0_4arch9wavefront6targetE0EEEvT1_
; %bb.0:
	.section	.rodata,"a",@progbits
	.p2align	6, 0x0
	.amdhsa_kernel _ZN7rocprim17ROCPRIM_400000_NS6detail17trampoline_kernelINS0_14default_configENS1_25partition_config_selectorILNS1_17partition_subalgoE8ElNS0_10empty_typeEbEEZZNS1_14partition_implILS5_8ELb0ES3_jPlPS6_PKS6_NS0_5tupleIJS9_S6_EEENSD_IJSA_SA_EEENS0_18inequality_wrapperIZN2at6native12_GLOBAL__N_124unique_dim_cuda_templateIaEESt5tupleIJNSH_6TensorESM_SM_EERKSM_lbbbEUlllE0_EEPmJS6_EEE10hipError_tPvRmT3_T4_T5_T6_T7_T9_mT8_P12ihipStream_tbDpT10_ENKUlT_T0_E_clISt17integral_constantIbLb0EES1B_IbLb1EEEEDaS17_S18_EUlS17_E_NS1_11comp_targetILNS1_3genE9ELNS1_11target_archE1100ELNS1_3gpuE3ELNS1_3repE0EEENS1_30default_config_static_selectorELNS0_4arch9wavefront6targetE0EEEvT1_
		.amdhsa_group_segment_fixed_size 0
		.amdhsa_private_segment_fixed_size 0
		.amdhsa_kernarg_size 136
		.amdhsa_user_sgpr_count 2
		.amdhsa_user_sgpr_dispatch_ptr 0
		.amdhsa_user_sgpr_queue_ptr 0
		.amdhsa_user_sgpr_kernarg_segment_ptr 1
		.amdhsa_user_sgpr_dispatch_id 0
		.amdhsa_user_sgpr_kernarg_preload_length 0
		.amdhsa_user_sgpr_kernarg_preload_offset 0
		.amdhsa_user_sgpr_private_segment_size 0
		.amdhsa_wavefront_size32 1
		.amdhsa_uses_dynamic_stack 0
		.amdhsa_enable_private_segment 0
		.amdhsa_system_sgpr_workgroup_id_x 1
		.amdhsa_system_sgpr_workgroup_id_y 0
		.amdhsa_system_sgpr_workgroup_id_z 0
		.amdhsa_system_sgpr_workgroup_info 0
		.amdhsa_system_vgpr_workitem_id 0
		.amdhsa_next_free_vgpr 1
		.amdhsa_next_free_sgpr 1
		.amdhsa_named_barrier_count 0
		.amdhsa_reserve_vcc 0
		.amdhsa_float_round_mode_32 0
		.amdhsa_float_round_mode_16_64 0
		.amdhsa_float_denorm_mode_32 3
		.amdhsa_float_denorm_mode_16_64 3
		.amdhsa_fp16_overflow 0
		.amdhsa_memory_ordered 1
		.amdhsa_forward_progress 1
		.amdhsa_inst_pref_size 0
		.amdhsa_round_robin_scheduling 0
		.amdhsa_exception_fp_ieee_invalid_op 0
		.amdhsa_exception_fp_denorm_src 0
		.amdhsa_exception_fp_ieee_div_zero 0
		.amdhsa_exception_fp_ieee_overflow 0
		.amdhsa_exception_fp_ieee_underflow 0
		.amdhsa_exception_fp_ieee_inexact 0
		.amdhsa_exception_int_div_zero 0
	.end_amdhsa_kernel
	.section	.text._ZN7rocprim17ROCPRIM_400000_NS6detail17trampoline_kernelINS0_14default_configENS1_25partition_config_selectorILNS1_17partition_subalgoE8ElNS0_10empty_typeEbEEZZNS1_14partition_implILS5_8ELb0ES3_jPlPS6_PKS6_NS0_5tupleIJS9_S6_EEENSD_IJSA_SA_EEENS0_18inequality_wrapperIZN2at6native12_GLOBAL__N_124unique_dim_cuda_templateIaEESt5tupleIJNSH_6TensorESM_SM_EERKSM_lbbbEUlllE0_EEPmJS6_EEE10hipError_tPvRmT3_T4_T5_T6_T7_T9_mT8_P12ihipStream_tbDpT10_ENKUlT_T0_E_clISt17integral_constantIbLb0EES1B_IbLb1EEEEDaS17_S18_EUlS17_E_NS1_11comp_targetILNS1_3genE9ELNS1_11target_archE1100ELNS1_3gpuE3ELNS1_3repE0EEENS1_30default_config_static_selectorELNS0_4arch9wavefront6targetE0EEEvT1_,"axG",@progbits,_ZN7rocprim17ROCPRIM_400000_NS6detail17trampoline_kernelINS0_14default_configENS1_25partition_config_selectorILNS1_17partition_subalgoE8ElNS0_10empty_typeEbEEZZNS1_14partition_implILS5_8ELb0ES3_jPlPS6_PKS6_NS0_5tupleIJS9_S6_EEENSD_IJSA_SA_EEENS0_18inequality_wrapperIZN2at6native12_GLOBAL__N_124unique_dim_cuda_templateIaEESt5tupleIJNSH_6TensorESM_SM_EERKSM_lbbbEUlllE0_EEPmJS6_EEE10hipError_tPvRmT3_T4_T5_T6_T7_T9_mT8_P12ihipStream_tbDpT10_ENKUlT_T0_E_clISt17integral_constantIbLb0EES1B_IbLb1EEEEDaS17_S18_EUlS17_E_NS1_11comp_targetILNS1_3genE9ELNS1_11target_archE1100ELNS1_3gpuE3ELNS1_3repE0EEENS1_30default_config_static_selectorELNS0_4arch9wavefront6targetE0EEEvT1_,comdat
.Lfunc_end349:
	.size	_ZN7rocprim17ROCPRIM_400000_NS6detail17trampoline_kernelINS0_14default_configENS1_25partition_config_selectorILNS1_17partition_subalgoE8ElNS0_10empty_typeEbEEZZNS1_14partition_implILS5_8ELb0ES3_jPlPS6_PKS6_NS0_5tupleIJS9_S6_EEENSD_IJSA_SA_EEENS0_18inequality_wrapperIZN2at6native12_GLOBAL__N_124unique_dim_cuda_templateIaEESt5tupleIJNSH_6TensorESM_SM_EERKSM_lbbbEUlllE0_EEPmJS6_EEE10hipError_tPvRmT3_T4_T5_T6_T7_T9_mT8_P12ihipStream_tbDpT10_ENKUlT_T0_E_clISt17integral_constantIbLb0EES1B_IbLb1EEEEDaS17_S18_EUlS17_E_NS1_11comp_targetILNS1_3genE9ELNS1_11target_archE1100ELNS1_3gpuE3ELNS1_3repE0EEENS1_30default_config_static_selectorELNS0_4arch9wavefront6targetE0EEEvT1_, .Lfunc_end349-_ZN7rocprim17ROCPRIM_400000_NS6detail17trampoline_kernelINS0_14default_configENS1_25partition_config_selectorILNS1_17partition_subalgoE8ElNS0_10empty_typeEbEEZZNS1_14partition_implILS5_8ELb0ES3_jPlPS6_PKS6_NS0_5tupleIJS9_S6_EEENSD_IJSA_SA_EEENS0_18inequality_wrapperIZN2at6native12_GLOBAL__N_124unique_dim_cuda_templateIaEESt5tupleIJNSH_6TensorESM_SM_EERKSM_lbbbEUlllE0_EEPmJS6_EEE10hipError_tPvRmT3_T4_T5_T6_T7_T9_mT8_P12ihipStream_tbDpT10_ENKUlT_T0_E_clISt17integral_constantIbLb0EES1B_IbLb1EEEEDaS17_S18_EUlS17_E_NS1_11comp_targetILNS1_3genE9ELNS1_11target_archE1100ELNS1_3gpuE3ELNS1_3repE0EEENS1_30default_config_static_selectorELNS0_4arch9wavefront6targetE0EEEvT1_
                                        ; -- End function
	.set _ZN7rocprim17ROCPRIM_400000_NS6detail17trampoline_kernelINS0_14default_configENS1_25partition_config_selectorILNS1_17partition_subalgoE8ElNS0_10empty_typeEbEEZZNS1_14partition_implILS5_8ELb0ES3_jPlPS6_PKS6_NS0_5tupleIJS9_S6_EEENSD_IJSA_SA_EEENS0_18inequality_wrapperIZN2at6native12_GLOBAL__N_124unique_dim_cuda_templateIaEESt5tupleIJNSH_6TensorESM_SM_EERKSM_lbbbEUlllE0_EEPmJS6_EEE10hipError_tPvRmT3_T4_T5_T6_T7_T9_mT8_P12ihipStream_tbDpT10_ENKUlT_T0_E_clISt17integral_constantIbLb0EES1B_IbLb1EEEEDaS17_S18_EUlS17_E_NS1_11comp_targetILNS1_3genE9ELNS1_11target_archE1100ELNS1_3gpuE3ELNS1_3repE0EEENS1_30default_config_static_selectorELNS0_4arch9wavefront6targetE0EEEvT1_.num_vgpr, 0
	.set _ZN7rocprim17ROCPRIM_400000_NS6detail17trampoline_kernelINS0_14default_configENS1_25partition_config_selectorILNS1_17partition_subalgoE8ElNS0_10empty_typeEbEEZZNS1_14partition_implILS5_8ELb0ES3_jPlPS6_PKS6_NS0_5tupleIJS9_S6_EEENSD_IJSA_SA_EEENS0_18inequality_wrapperIZN2at6native12_GLOBAL__N_124unique_dim_cuda_templateIaEESt5tupleIJNSH_6TensorESM_SM_EERKSM_lbbbEUlllE0_EEPmJS6_EEE10hipError_tPvRmT3_T4_T5_T6_T7_T9_mT8_P12ihipStream_tbDpT10_ENKUlT_T0_E_clISt17integral_constantIbLb0EES1B_IbLb1EEEEDaS17_S18_EUlS17_E_NS1_11comp_targetILNS1_3genE9ELNS1_11target_archE1100ELNS1_3gpuE3ELNS1_3repE0EEENS1_30default_config_static_selectorELNS0_4arch9wavefront6targetE0EEEvT1_.num_agpr, 0
	.set _ZN7rocprim17ROCPRIM_400000_NS6detail17trampoline_kernelINS0_14default_configENS1_25partition_config_selectorILNS1_17partition_subalgoE8ElNS0_10empty_typeEbEEZZNS1_14partition_implILS5_8ELb0ES3_jPlPS6_PKS6_NS0_5tupleIJS9_S6_EEENSD_IJSA_SA_EEENS0_18inequality_wrapperIZN2at6native12_GLOBAL__N_124unique_dim_cuda_templateIaEESt5tupleIJNSH_6TensorESM_SM_EERKSM_lbbbEUlllE0_EEPmJS6_EEE10hipError_tPvRmT3_T4_T5_T6_T7_T9_mT8_P12ihipStream_tbDpT10_ENKUlT_T0_E_clISt17integral_constantIbLb0EES1B_IbLb1EEEEDaS17_S18_EUlS17_E_NS1_11comp_targetILNS1_3genE9ELNS1_11target_archE1100ELNS1_3gpuE3ELNS1_3repE0EEENS1_30default_config_static_selectorELNS0_4arch9wavefront6targetE0EEEvT1_.numbered_sgpr, 0
	.set _ZN7rocprim17ROCPRIM_400000_NS6detail17trampoline_kernelINS0_14default_configENS1_25partition_config_selectorILNS1_17partition_subalgoE8ElNS0_10empty_typeEbEEZZNS1_14partition_implILS5_8ELb0ES3_jPlPS6_PKS6_NS0_5tupleIJS9_S6_EEENSD_IJSA_SA_EEENS0_18inequality_wrapperIZN2at6native12_GLOBAL__N_124unique_dim_cuda_templateIaEESt5tupleIJNSH_6TensorESM_SM_EERKSM_lbbbEUlllE0_EEPmJS6_EEE10hipError_tPvRmT3_T4_T5_T6_T7_T9_mT8_P12ihipStream_tbDpT10_ENKUlT_T0_E_clISt17integral_constantIbLb0EES1B_IbLb1EEEEDaS17_S18_EUlS17_E_NS1_11comp_targetILNS1_3genE9ELNS1_11target_archE1100ELNS1_3gpuE3ELNS1_3repE0EEENS1_30default_config_static_selectorELNS0_4arch9wavefront6targetE0EEEvT1_.num_named_barrier, 0
	.set _ZN7rocprim17ROCPRIM_400000_NS6detail17trampoline_kernelINS0_14default_configENS1_25partition_config_selectorILNS1_17partition_subalgoE8ElNS0_10empty_typeEbEEZZNS1_14partition_implILS5_8ELb0ES3_jPlPS6_PKS6_NS0_5tupleIJS9_S6_EEENSD_IJSA_SA_EEENS0_18inequality_wrapperIZN2at6native12_GLOBAL__N_124unique_dim_cuda_templateIaEESt5tupleIJNSH_6TensorESM_SM_EERKSM_lbbbEUlllE0_EEPmJS6_EEE10hipError_tPvRmT3_T4_T5_T6_T7_T9_mT8_P12ihipStream_tbDpT10_ENKUlT_T0_E_clISt17integral_constantIbLb0EES1B_IbLb1EEEEDaS17_S18_EUlS17_E_NS1_11comp_targetILNS1_3genE9ELNS1_11target_archE1100ELNS1_3gpuE3ELNS1_3repE0EEENS1_30default_config_static_selectorELNS0_4arch9wavefront6targetE0EEEvT1_.private_seg_size, 0
	.set _ZN7rocprim17ROCPRIM_400000_NS6detail17trampoline_kernelINS0_14default_configENS1_25partition_config_selectorILNS1_17partition_subalgoE8ElNS0_10empty_typeEbEEZZNS1_14partition_implILS5_8ELb0ES3_jPlPS6_PKS6_NS0_5tupleIJS9_S6_EEENSD_IJSA_SA_EEENS0_18inequality_wrapperIZN2at6native12_GLOBAL__N_124unique_dim_cuda_templateIaEESt5tupleIJNSH_6TensorESM_SM_EERKSM_lbbbEUlllE0_EEPmJS6_EEE10hipError_tPvRmT3_T4_T5_T6_T7_T9_mT8_P12ihipStream_tbDpT10_ENKUlT_T0_E_clISt17integral_constantIbLb0EES1B_IbLb1EEEEDaS17_S18_EUlS17_E_NS1_11comp_targetILNS1_3genE9ELNS1_11target_archE1100ELNS1_3gpuE3ELNS1_3repE0EEENS1_30default_config_static_selectorELNS0_4arch9wavefront6targetE0EEEvT1_.uses_vcc, 0
	.set _ZN7rocprim17ROCPRIM_400000_NS6detail17trampoline_kernelINS0_14default_configENS1_25partition_config_selectorILNS1_17partition_subalgoE8ElNS0_10empty_typeEbEEZZNS1_14partition_implILS5_8ELb0ES3_jPlPS6_PKS6_NS0_5tupleIJS9_S6_EEENSD_IJSA_SA_EEENS0_18inequality_wrapperIZN2at6native12_GLOBAL__N_124unique_dim_cuda_templateIaEESt5tupleIJNSH_6TensorESM_SM_EERKSM_lbbbEUlllE0_EEPmJS6_EEE10hipError_tPvRmT3_T4_T5_T6_T7_T9_mT8_P12ihipStream_tbDpT10_ENKUlT_T0_E_clISt17integral_constantIbLb0EES1B_IbLb1EEEEDaS17_S18_EUlS17_E_NS1_11comp_targetILNS1_3genE9ELNS1_11target_archE1100ELNS1_3gpuE3ELNS1_3repE0EEENS1_30default_config_static_selectorELNS0_4arch9wavefront6targetE0EEEvT1_.uses_flat_scratch, 0
	.set _ZN7rocprim17ROCPRIM_400000_NS6detail17trampoline_kernelINS0_14default_configENS1_25partition_config_selectorILNS1_17partition_subalgoE8ElNS0_10empty_typeEbEEZZNS1_14partition_implILS5_8ELb0ES3_jPlPS6_PKS6_NS0_5tupleIJS9_S6_EEENSD_IJSA_SA_EEENS0_18inequality_wrapperIZN2at6native12_GLOBAL__N_124unique_dim_cuda_templateIaEESt5tupleIJNSH_6TensorESM_SM_EERKSM_lbbbEUlllE0_EEPmJS6_EEE10hipError_tPvRmT3_T4_T5_T6_T7_T9_mT8_P12ihipStream_tbDpT10_ENKUlT_T0_E_clISt17integral_constantIbLb0EES1B_IbLb1EEEEDaS17_S18_EUlS17_E_NS1_11comp_targetILNS1_3genE9ELNS1_11target_archE1100ELNS1_3gpuE3ELNS1_3repE0EEENS1_30default_config_static_selectorELNS0_4arch9wavefront6targetE0EEEvT1_.has_dyn_sized_stack, 0
	.set _ZN7rocprim17ROCPRIM_400000_NS6detail17trampoline_kernelINS0_14default_configENS1_25partition_config_selectorILNS1_17partition_subalgoE8ElNS0_10empty_typeEbEEZZNS1_14partition_implILS5_8ELb0ES3_jPlPS6_PKS6_NS0_5tupleIJS9_S6_EEENSD_IJSA_SA_EEENS0_18inequality_wrapperIZN2at6native12_GLOBAL__N_124unique_dim_cuda_templateIaEESt5tupleIJNSH_6TensorESM_SM_EERKSM_lbbbEUlllE0_EEPmJS6_EEE10hipError_tPvRmT3_T4_T5_T6_T7_T9_mT8_P12ihipStream_tbDpT10_ENKUlT_T0_E_clISt17integral_constantIbLb0EES1B_IbLb1EEEEDaS17_S18_EUlS17_E_NS1_11comp_targetILNS1_3genE9ELNS1_11target_archE1100ELNS1_3gpuE3ELNS1_3repE0EEENS1_30default_config_static_selectorELNS0_4arch9wavefront6targetE0EEEvT1_.has_recursion, 0
	.set _ZN7rocprim17ROCPRIM_400000_NS6detail17trampoline_kernelINS0_14default_configENS1_25partition_config_selectorILNS1_17partition_subalgoE8ElNS0_10empty_typeEbEEZZNS1_14partition_implILS5_8ELb0ES3_jPlPS6_PKS6_NS0_5tupleIJS9_S6_EEENSD_IJSA_SA_EEENS0_18inequality_wrapperIZN2at6native12_GLOBAL__N_124unique_dim_cuda_templateIaEESt5tupleIJNSH_6TensorESM_SM_EERKSM_lbbbEUlllE0_EEPmJS6_EEE10hipError_tPvRmT3_T4_T5_T6_T7_T9_mT8_P12ihipStream_tbDpT10_ENKUlT_T0_E_clISt17integral_constantIbLb0EES1B_IbLb1EEEEDaS17_S18_EUlS17_E_NS1_11comp_targetILNS1_3genE9ELNS1_11target_archE1100ELNS1_3gpuE3ELNS1_3repE0EEENS1_30default_config_static_selectorELNS0_4arch9wavefront6targetE0EEEvT1_.has_indirect_call, 0
	.section	.AMDGPU.csdata,"",@progbits
; Kernel info:
; codeLenInByte = 0
; TotalNumSgprs: 0
; NumVgprs: 0
; ScratchSize: 0
; MemoryBound: 0
; FloatMode: 240
; IeeeMode: 1
; LDSByteSize: 0 bytes/workgroup (compile time only)
; SGPRBlocks: 0
; VGPRBlocks: 0
; NumSGPRsForWavesPerEU: 1
; NumVGPRsForWavesPerEU: 1
; NamedBarCnt: 0
; Occupancy: 16
; WaveLimiterHint : 0
; COMPUTE_PGM_RSRC2:SCRATCH_EN: 0
; COMPUTE_PGM_RSRC2:USER_SGPR: 2
; COMPUTE_PGM_RSRC2:TRAP_HANDLER: 0
; COMPUTE_PGM_RSRC2:TGID_X_EN: 1
; COMPUTE_PGM_RSRC2:TGID_Y_EN: 0
; COMPUTE_PGM_RSRC2:TGID_Z_EN: 0
; COMPUTE_PGM_RSRC2:TIDIG_COMP_CNT: 0
	.section	.text._ZN7rocprim17ROCPRIM_400000_NS6detail17trampoline_kernelINS0_14default_configENS1_25partition_config_selectorILNS1_17partition_subalgoE8ElNS0_10empty_typeEbEEZZNS1_14partition_implILS5_8ELb0ES3_jPlPS6_PKS6_NS0_5tupleIJS9_S6_EEENSD_IJSA_SA_EEENS0_18inequality_wrapperIZN2at6native12_GLOBAL__N_124unique_dim_cuda_templateIaEESt5tupleIJNSH_6TensorESM_SM_EERKSM_lbbbEUlllE0_EEPmJS6_EEE10hipError_tPvRmT3_T4_T5_T6_T7_T9_mT8_P12ihipStream_tbDpT10_ENKUlT_T0_E_clISt17integral_constantIbLb0EES1B_IbLb1EEEEDaS17_S18_EUlS17_E_NS1_11comp_targetILNS1_3genE8ELNS1_11target_archE1030ELNS1_3gpuE2ELNS1_3repE0EEENS1_30default_config_static_selectorELNS0_4arch9wavefront6targetE0EEEvT1_,"axG",@progbits,_ZN7rocprim17ROCPRIM_400000_NS6detail17trampoline_kernelINS0_14default_configENS1_25partition_config_selectorILNS1_17partition_subalgoE8ElNS0_10empty_typeEbEEZZNS1_14partition_implILS5_8ELb0ES3_jPlPS6_PKS6_NS0_5tupleIJS9_S6_EEENSD_IJSA_SA_EEENS0_18inequality_wrapperIZN2at6native12_GLOBAL__N_124unique_dim_cuda_templateIaEESt5tupleIJNSH_6TensorESM_SM_EERKSM_lbbbEUlllE0_EEPmJS6_EEE10hipError_tPvRmT3_T4_T5_T6_T7_T9_mT8_P12ihipStream_tbDpT10_ENKUlT_T0_E_clISt17integral_constantIbLb0EES1B_IbLb1EEEEDaS17_S18_EUlS17_E_NS1_11comp_targetILNS1_3genE8ELNS1_11target_archE1030ELNS1_3gpuE2ELNS1_3repE0EEENS1_30default_config_static_selectorELNS0_4arch9wavefront6targetE0EEEvT1_,comdat
	.globl	_ZN7rocprim17ROCPRIM_400000_NS6detail17trampoline_kernelINS0_14default_configENS1_25partition_config_selectorILNS1_17partition_subalgoE8ElNS0_10empty_typeEbEEZZNS1_14partition_implILS5_8ELb0ES3_jPlPS6_PKS6_NS0_5tupleIJS9_S6_EEENSD_IJSA_SA_EEENS0_18inequality_wrapperIZN2at6native12_GLOBAL__N_124unique_dim_cuda_templateIaEESt5tupleIJNSH_6TensorESM_SM_EERKSM_lbbbEUlllE0_EEPmJS6_EEE10hipError_tPvRmT3_T4_T5_T6_T7_T9_mT8_P12ihipStream_tbDpT10_ENKUlT_T0_E_clISt17integral_constantIbLb0EES1B_IbLb1EEEEDaS17_S18_EUlS17_E_NS1_11comp_targetILNS1_3genE8ELNS1_11target_archE1030ELNS1_3gpuE2ELNS1_3repE0EEENS1_30default_config_static_selectorELNS0_4arch9wavefront6targetE0EEEvT1_ ; -- Begin function _ZN7rocprim17ROCPRIM_400000_NS6detail17trampoline_kernelINS0_14default_configENS1_25partition_config_selectorILNS1_17partition_subalgoE8ElNS0_10empty_typeEbEEZZNS1_14partition_implILS5_8ELb0ES3_jPlPS6_PKS6_NS0_5tupleIJS9_S6_EEENSD_IJSA_SA_EEENS0_18inequality_wrapperIZN2at6native12_GLOBAL__N_124unique_dim_cuda_templateIaEESt5tupleIJNSH_6TensorESM_SM_EERKSM_lbbbEUlllE0_EEPmJS6_EEE10hipError_tPvRmT3_T4_T5_T6_T7_T9_mT8_P12ihipStream_tbDpT10_ENKUlT_T0_E_clISt17integral_constantIbLb0EES1B_IbLb1EEEEDaS17_S18_EUlS17_E_NS1_11comp_targetILNS1_3genE8ELNS1_11target_archE1030ELNS1_3gpuE2ELNS1_3repE0EEENS1_30default_config_static_selectorELNS0_4arch9wavefront6targetE0EEEvT1_
	.p2align	8
	.type	_ZN7rocprim17ROCPRIM_400000_NS6detail17trampoline_kernelINS0_14default_configENS1_25partition_config_selectorILNS1_17partition_subalgoE8ElNS0_10empty_typeEbEEZZNS1_14partition_implILS5_8ELb0ES3_jPlPS6_PKS6_NS0_5tupleIJS9_S6_EEENSD_IJSA_SA_EEENS0_18inequality_wrapperIZN2at6native12_GLOBAL__N_124unique_dim_cuda_templateIaEESt5tupleIJNSH_6TensorESM_SM_EERKSM_lbbbEUlllE0_EEPmJS6_EEE10hipError_tPvRmT3_T4_T5_T6_T7_T9_mT8_P12ihipStream_tbDpT10_ENKUlT_T0_E_clISt17integral_constantIbLb0EES1B_IbLb1EEEEDaS17_S18_EUlS17_E_NS1_11comp_targetILNS1_3genE8ELNS1_11target_archE1030ELNS1_3gpuE2ELNS1_3repE0EEENS1_30default_config_static_selectorELNS0_4arch9wavefront6targetE0EEEvT1_,@function
_ZN7rocprim17ROCPRIM_400000_NS6detail17trampoline_kernelINS0_14default_configENS1_25partition_config_selectorILNS1_17partition_subalgoE8ElNS0_10empty_typeEbEEZZNS1_14partition_implILS5_8ELb0ES3_jPlPS6_PKS6_NS0_5tupleIJS9_S6_EEENSD_IJSA_SA_EEENS0_18inequality_wrapperIZN2at6native12_GLOBAL__N_124unique_dim_cuda_templateIaEESt5tupleIJNSH_6TensorESM_SM_EERKSM_lbbbEUlllE0_EEPmJS6_EEE10hipError_tPvRmT3_T4_T5_T6_T7_T9_mT8_P12ihipStream_tbDpT10_ENKUlT_T0_E_clISt17integral_constantIbLb0EES1B_IbLb1EEEEDaS17_S18_EUlS17_E_NS1_11comp_targetILNS1_3genE8ELNS1_11target_archE1030ELNS1_3gpuE2ELNS1_3repE0EEENS1_30default_config_static_selectorELNS0_4arch9wavefront6targetE0EEEvT1_: ; @_ZN7rocprim17ROCPRIM_400000_NS6detail17trampoline_kernelINS0_14default_configENS1_25partition_config_selectorILNS1_17partition_subalgoE8ElNS0_10empty_typeEbEEZZNS1_14partition_implILS5_8ELb0ES3_jPlPS6_PKS6_NS0_5tupleIJS9_S6_EEENSD_IJSA_SA_EEENS0_18inequality_wrapperIZN2at6native12_GLOBAL__N_124unique_dim_cuda_templateIaEESt5tupleIJNSH_6TensorESM_SM_EERKSM_lbbbEUlllE0_EEPmJS6_EEE10hipError_tPvRmT3_T4_T5_T6_T7_T9_mT8_P12ihipStream_tbDpT10_ENKUlT_T0_E_clISt17integral_constantIbLb0EES1B_IbLb1EEEEDaS17_S18_EUlS17_E_NS1_11comp_targetILNS1_3genE8ELNS1_11target_archE1030ELNS1_3gpuE2ELNS1_3repE0EEENS1_30default_config_static_selectorELNS0_4arch9wavefront6targetE0EEEvT1_
; %bb.0:
	.section	.rodata,"a",@progbits
	.p2align	6, 0x0
	.amdhsa_kernel _ZN7rocprim17ROCPRIM_400000_NS6detail17trampoline_kernelINS0_14default_configENS1_25partition_config_selectorILNS1_17partition_subalgoE8ElNS0_10empty_typeEbEEZZNS1_14partition_implILS5_8ELb0ES3_jPlPS6_PKS6_NS0_5tupleIJS9_S6_EEENSD_IJSA_SA_EEENS0_18inequality_wrapperIZN2at6native12_GLOBAL__N_124unique_dim_cuda_templateIaEESt5tupleIJNSH_6TensorESM_SM_EERKSM_lbbbEUlllE0_EEPmJS6_EEE10hipError_tPvRmT3_T4_T5_T6_T7_T9_mT8_P12ihipStream_tbDpT10_ENKUlT_T0_E_clISt17integral_constantIbLb0EES1B_IbLb1EEEEDaS17_S18_EUlS17_E_NS1_11comp_targetILNS1_3genE8ELNS1_11target_archE1030ELNS1_3gpuE2ELNS1_3repE0EEENS1_30default_config_static_selectorELNS0_4arch9wavefront6targetE0EEEvT1_
		.amdhsa_group_segment_fixed_size 0
		.amdhsa_private_segment_fixed_size 0
		.amdhsa_kernarg_size 136
		.amdhsa_user_sgpr_count 2
		.amdhsa_user_sgpr_dispatch_ptr 0
		.amdhsa_user_sgpr_queue_ptr 0
		.amdhsa_user_sgpr_kernarg_segment_ptr 1
		.amdhsa_user_sgpr_dispatch_id 0
		.amdhsa_user_sgpr_kernarg_preload_length 0
		.amdhsa_user_sgpr_kernarg_preload_offset 0
		.amdhsa_user_sgpr_private_segment_size 0
		.amdhsa_wavefront_size32 1
		.amdhsa_uses_dynamic_stack 0
		.amdhsa_enable_private_segment 0
		.amdhsa_system_sgpr_workgroup_id_x 1
		.amdhsa_system_sgpr_workgroup_id_y 0
		.amdhsa_system_sgpr_workgroup_id_z 0
		.amdhsa_system_sgpr_workgroup_info 0
		.amdhsa_system_vgpr_workitem_id 0
		.amdhsa_next_free_vgpr 1
		.amdhsa_next_free_sgpr 1
		.amdhsa_named_barrier_count 0
		.amdhsa_reserve_vcc 0
		.amdhsa_float_round_mode_32 0
		.amdhsa_float_round_mode_16_64 0
		.amdhsa_float_denorm_mode_32 3
		.amdhsa_float_denorm_mode_16_64 3
		.amdhsa_fp16_overflow 0
		.amdhsa_memory_ordered 1
		.amdhsa_forward_progress 1
		.amdhsa_inst_pref_size 0
		.amdhsa_round_robin_scheduling 0
		.amdhsa_exception_fp_ieee_invalid_op 0
		.amdhsa_exception_fp_denorm_src 0
		.amdhsa_exception_fp_ieee_div_zero 0
		.amdhsa_exception_fp_ieee_overflow 0
		.amdhsa_exception_fp_ieee_underflow 0
		.amdhsa_exception_fp_ieee_inexact 0
		.amdhsa_exception_int_div_zero 0
	.end_amdhsa_kernel
	.section	.text._ZN7rocprim17ROCPRIM_400000_NS6detail17trampoline_kernelINS0_14default_configENS1_25partition_config_selectorILNS1_17partition_subalgoE8ElNS0_10empty_typeEbEEZZNS1_14partition_implILS5_8ELb0ES3_jPlPS6_PKS6_NS0_5tupleIJS9_S6_EEENSD_IJSA_SA_EEENS0_18inequality_wrapperIZN2at6native12_GLOBAL__N_124unique_dim_cuda_templateIaEESt5tupleIJNSH_6TensorESM_SM_EERKSM_lbbbEUlllE0_EEPmJS6_EEE10hipError_tPvRmT3_T4_T5_T6_T7_T9_mT8_P12ihipStream_tbDpT10_ENKUlT_T0_E_clISt17integral_constantIbLb0EES1B_IbLb1EEEEDaS17_S18_EUlS17_E_NS1_11comp_targetILNS1_3genE8ELNS1_11target_archE1030ELNS1_3gpuE2ELNS1_3repE0EEENS1_30default_config_static_selectorELNS0_4arch9wavefront6targetE0EEEvT1_,"axG",@progbits,_ZN7rocprim17ROCPRIM_400000_NS6detail17trampoline_kernelINS0_14default_configENS1_25partition_config_selectorILNS1_17partition_subalgoE8ElNS0_10empty_typeEbEEZZNS1_14partition_implILS5_8ELb0ES3_jPlPS6_PKS6_NS0_5tupleIJS9_S6_EEENSD_IJSA_SA_EEENS0_18inequality_wrapperIZN2at6native12_GLOBAL__N_124unique_dim_cuda_templateIaEESt5tupleIJNSH_6TensorESM_SM_EERKSM_lbbbEUlllE0_EEPmJS6_EEE10hipError_tPvRmT3_T4_T5_T6_T7_T9_mT8_P12ihipStream_tbDpT10_ENKUlT_T0_E_clISt17integral_constantIbLb0EES1B_IbLb1EEEEDaS17_S18_EUlS17_E_NS1_11comp_targetILNS1_3genE8ELNS1_11target_archE1030ELNS1_3gpuE2ELNS1_3repE0EEENS1_30default_config_static_selectorELNS0_4arch9wavefront6targetE0EEEvT1_,comdat
.Lfunc_end350:
	.size	_ZN7rocprim17ROCPRIM_400000_NS6detail17trampoline_kernelINS0_14default_configENS1_25partition_config_selectorILNS1_17partition_subalgoE8ElNS0_10empty_typeEbEEZZNS1_14partition_implILS5_8ELb0ES3_jPlPS6_PKS6_NS0_5tupleIJS9_S6_EEENSD_IJSA_SA_EEENS0_18inequality_wrapperIZN2at6native12_GLOBAL__N_124unique_dim_cuda_templateIaEESt5tupleIJNSH_6TensorESM_SM_EERKSM_lbbbEUlllE0_EEPmJS6_EEE10hipError_tPvRmT3_T4_T5_T6_T7_T9_mT8_P12ihipStream_tbDpT10_ENKUlT_T0_E_clISt17integral_constantIbLb0EES1B_IbLb1EEEEDaS17_S18_EUlS17_E_NS1_11comp_targetILNS1_3genE8ELNS1_11target_archE1030ELNS1_3gpuE2ELNS1_3repE0EEENS1_30default_config_static_selectorELNS0_4arch9wavefront6targetE0EEEvT1_, .Lfunc_end350-_ZN7rocprim17ROCPRIM_400000_NS6detail17trampoline_kernelINS0_14default_configENS1_25partition_config_selectorILNS1_17partition_subalgoE8ElNS0_10empty_typeEbEEZZNS1_14partition_implILS5_8ELb0ES3_jPlPS6_PKS6_NS0_5tupleIJS9_S6_EEENSD_IJSA_SA_EEENS0_18inequality_wrapperIZN2at6native12_GLOBAL__N_124unique_dim_cuda_templateIaEESt5tupleIJNSH_6TensorESM_SM_EERKSM_lbbbEUlllE0_EEPmJS6_EEE10hipError_tPvRmT3_T4_T5_T6_T7_T9_mT8_P12ihipStream_tbDpT10_ENKUlT_T0_E_clISt17integral_constantIbLb0EES1B_IbLb1EEEEDaS17_S18_EUlS17_E_NS1_11comp_targetILNS1_3genE8ELNS1_11target_archE1030ELNS1_3gpuE2ELNS1_3repE0EEENS1_30default_config_static_selectorELNS0_4arch9wavefront6targetE0EEEvT1_
                                        ; -- End function
	.set _ZN7rocprim17ROCPRIM_400000_NS6detail17trampoline_kernelINS0_14default_configENS1_25partition_config_selectorILNS1_17partition_subalgoE8ElNS0_10empty_typeEbEEZZNS1_14partition_implILS5_8ELb0ES3_jPlPS6_PKS6_NS0_5tupleIJS9_S6_EEENSD_IJSA_SA_EEENS0_18inequality_wrapperIZN2at6native12_GLOBAL__N_124unique_dim_cuda_templateIaEESt5tupleIJNSH_6TensorESM_SM_EERKSM_lbbbEUlllE0_EEPmJS6_EEE10hipError_tPvRmT3_T4_T5_T6_T7_T9_mT8_P12ihipStream_tbDpT10_ENKUlT_T0_E_clISt17integral_constantIbLb0EES1B_IbLb1EEEEDaS17_S18_EUlS17_E_NS1_11comp_targetILNS1_3genE8ELNS1_11target_archE1030ELNS1_3gpuE2ELNS1_3repE0EEENS1_30default_config_static_selectorELNS0_4arch9wavefront6targetE0EEEvT1_.num_vgpr, 0
	.set _ZN7rocprim17ROCPRIM_400000_NS6detail17trampoline_kernelINS0_14default_configENS1_25partition_config_selectorILNS1_17partition_subalgoE8ElNS0_10empty_typeEbEEZZNS1_14partition_implILS5_8ELb0ES3_jPlPS6_PKS6_NS0_5tupleIJS9_S6_EEENSD_IJSA_SA_EEENS0_18inequality_wrapperIZN2at6native12_GLOBAL__N_124unique_dim_cuda_templateIaEESt5tupleIJNSH_6TensorESM_SM_EERKSM_lbbbEUlllE0_EEPmJS6_EEE10hipError_tPvRmT3_T4_T5_T6_T7_T9_mT8_P12ihipStream_tbDpT10_ENKUlT_T0_E_clISt17integral_constantIbLb0EES1B_IbLb1EEEEDaS17_S18_EUlS17_E_NS1_11comp_targetILNS1_3genE8ELNS1_11target_archE1030ELNS1_3gpuE2ELNS1_3repE0EEENS1_30default_config_static_selectorELNS0_4arch9wavefront6targetE0EEEvT1_.num_agpr, 0
	.set _ZN7rocprim17ROCPRIM_400000_NS6detail17trampoline_kernelINS0_14default_configENS1_25partition_config_selectorILNS1_17partition_subalgoE8ElNS0_10empty_typeEbEEZZNS1_14partition_implILS5_8ELb0ES3_jPlPS6_PKS6_NS0_5tupleIJS9_S6_EEENSD_IJSA_SA_EEENS0_18inequality_wrapperIZN2at6native12_GLOBAL__N_124unique_dim_cuda_templateIaEESt5tupleIJNSH_6TensorESM_SM_EERKSM_lbbbEUlllE0_EEPmJS6_EEE10hipError_tPvRmT3_T4_T5_T6_T7_T9_mT8_P12ihipStream_tbDpT10_ENKUlT_T0_E_clISt17integral_constantIbLb0EES1B_IbLb1EEEEDaS17_S18_EUlS17_E_NS1_11comp_targetILNS1_3genE8ELNS1_11target_archE1030ELNS1_3gpuE2ELNS1_3repE0EEENS1_30default_config_static_selectorELNS0_4arch9wavefront6targetE0EEEvT1_.numbered_sgpr, 0
	.set _ZN7rocprim17ROCPRIM_400000_NS6detail17trampoline_kernelINS0_14default_configENS1_25partition_config_selectorILNS1_17partition_subalgoE8ElNS0_10empty_typeEbEEZZNS1_14partition_implILS5_8ELb0ES3_jPlPS6_PKS6_NS0_5tupleIJS9_S6_EEENSD_IJSA_SA_EEENS0_18inequality_wrapperIZN2at6native12_GLOBAL__N_124unique_dim_cuda_templateIaEESt5tupleIJNSH_6TensorESM_SM_EERKSM_lbbbEUlllE0_EEPmJS6_EEE10hipError_tPvRmT3_T4_T5_T6_T7_T9_mT8_P12ihipStream_tbDpT10_ENKUlT_T0_E_clISt17integral_constantIbLb0EES1B_IbLb1EEEEDaS17_S18_EUlS17_E_NS1_11comp_targetILNS1_3genE8ELNS1_11target_archE1030ELNS1_3gpuE2ELNS1_3repE0EEENS1_30default_config_static_selectorELNS0_4arch9wavefront6targetE0EEEvT1_.num_named_barrier, 0
	.set _ZN7rocprim17ROCPRIM_400000_NS6detail17trampoline_kernelINS0_14default_configENS1_25partition_config_selectorILNS1_17partition_subalgoE8ElNS0_10empty_typeEbEEZZNS1_14partition_implILS5_8ELb0ES3_jPlPS6_PKS6_NS0_5tupleIJS9_S6_EEENSD_IJSA_SA_EEENS0_18inequality_wrapperIZN2at6native12_GLOBAL__N_124unique_dim_cuda_templateIaEESt5tupleIJNSH_6TensorESM_SM_EERKSM_lbbbEUlllE0_EEPmJS6_EEE10hipError_tPvRmT3_T4_T5_T6_T7_T9_mT8_P12ihipStream_tbDpT10_ENKUlT_T0_E_clISt17integral_constantIbLb0EES1B_IbLb1EEEEDaS17_S18_EUlS17_E_NS1_11comp_targetILNS1_3genE8ELNS1_11target_archE1030ELNS1_3gpuE2ELNS1_3repE0EEENS1_30default_config_static_selectorELNS0_4arch9wavefront6targetE0EEEvT1_.private_seg_size, 0
	.set _ZN7rocprim17ROCPRIM_400000_NS6detail17trampoline_kernelINS0_14default_configENS1_25partition_config_selectorILNS1_17partition_subalgoE8ElNS0_10empty_typeEbEEZZNS1_14partition_implILS5_8ELb0ES3_jPlPS6_PKS6_NS0_5tupleIJS9_S6_EEENSD_IJSA_SA_EEENS0_18inequality_wrapperIZN2at6native12_GLOBAL__N_124unique_dim_cuda_templateIaEESt5tupleIJNSH_6TensorESM_SM_EERKSM_lbbbEUlllE0_EEPmJS6_EEE10hipError_tPvRmT3_T4_T5_T6_T7_T9_mT8_P12ihipStream_tbDpT10_ENKUlT_T0_E_clISt17integral_constantIbLb0EES1B_IbLb1EEEEDaS17_S18_EUlS17_E_NS1_11comp_targetILNS1_3genE8ELNS1_11target_archE1030ELNS1_3gpuE2ELNS1_3repE0EEENS1_30default_config_static_selectorELNS0_4arch9wavefront6targetE0EEEvT1_.uses_vcc, 0
	.set _ZN7rocprim17ROCPRIM_400000_NS6detail17trampoline_kernelINS0_14default_configENS1_25partition_config_selectorILNS1_17partition_subalgoE8ElNS0_10empty_typeEbEEZZNS1_14partition_implILS5_8ELb0ES3_jPlPS6_PKS6_NS0_5tupleIJS9_S6_EEENSD_IJSA_SA_EEENS0_18inequality_wrapperIZN2at6native12_GLOBAL__N_124unique_dim_cuda_templateIaEESt5tupleIJNSH_6TensorESM_SM_EERKSM_lbbbEUlllE0_EEPmJS6_EEE10hipError_tPvRmT3_T4_T5_T6_T7_T9_mT8_P12ihipStream_tbDpT10_ENKUlT_T0_E_clISt17integral_constantIbLb0EES1B_IbLb1EEEEDaS17_S18_EUlS17_E_NS1_11comp_targetILNS1_3genE8ELNS1_11target_archE1030ELNS1_3gpuE2ELNS1_3repE0EEENS1_30default_config_static_selectorELNS0_4arch9wavefront6targetE0EEEvT1_.uses_flat_scratch, 0
	.set _ZN7rocprim17ROCPRIM_400000_NS6detail17trampoline_kernelINS0_14default_configENS1_25partition_config_selectorILNS1_17partition_subalgoE8ElNS0_10empty_typeEbEEZZNS1_14partition_implILS5_8ELb0ES3_jPlPS6_PKS6_NS0_5tupleIJS9_S6_EEENSD_IJSA_SA_EEENS0_18inequality_wrapperIZN2at6native12_GLOBAL__N_124unique_dim_cuda_templateIaEESt5tupleIJNSH_6TensorESM_SM_EERKSM_lbbbEUlllE0_EEPmJS6_EEE10hipError_tPvRmT3_T4_T5_T6_T7_T9_mT8_P12ihipStream_tbDpT10_ENKUlT_T0_E_clISt17integral_constantIbLb0EES1B_IbLb1EEEEDaS17_S18_EUlS17_E_NS1_11comp_targetILNS1_3genE8ELNS1_11target_archE1030ELNS1_3gpuE2ELNS1_3repE0EEENS1_30default_config_static_selectorELNS0_4arch9wavefront6targetE0EEEvT1_.has_dyn_sized_stack, 0
	.set _ZN7rocprim17ROCPRIM_400000_NS6detail17trampoline_kernelINS0_14default_configENS1_25partition_config_selectorILNS1_17partition_subalgoE8ElNS0_10empty_typeEbEEZZNS1_14partition_implILS5_8ELb0ES3_jPlPS6_PKS6_NS0_5tupleIJS9_S6_EEENSD_IJSA_SA_EEENS0_18inequality_wrapperIZN2at6native12_GLOBAL__N_124unique_dim_cuda_templateIaEESt5tupleIJNSH_6TensorESM_SM_EERKSM_lbbbEUlllE0_EEPmJS6_EEE10hipError_tPvRmT3_T4_T5_T6_T7_T9_mT8_P12ihipStream_tbDpT10_ENKUlT_T0_E_clISt17integral_constantIbLb0EES1B_IbLb1EEEEDaS17_S18_EUlS17_E_NS1_11comp_targetILNS1_3genE8ELNS1_11target_archE1030ELNS1_3gpuE2ELNS1_3repE0EEENS1_30default_config_static_selectorELNS0_4arch9wavefront6targetE0EEEvT1_.has_recursion, 0
	.set _ZN7rocprim17ROCPRIM_400000_NS6detail17trampoline_kernelINS0_14default_configENS1_25partition_config_selectorILNS1_17partition_subalgoE8ElNS0_10empty_typeEbEEZZNS1_14partition_implILS5_8ELb0ES3_jPlPS6_PKS6_NS0_5tupleIJS9_S6_EEENSD_IJSA_SA_EEENS0_18inequality_wrapperIZN2at6native12_GLOBAL__N_124unique_dim_cuda_templateIaEESt5tupleIJNSH_6TensorESM_SM_EERKSM_lbbbEUlllE0_EEPmJS6_EEE10hipError_tPvRmT3_T4_T5_T6_T7_T9_mT8_P12ihipStream_tbDpT10_ENKUlT_T0_E_clISt17integral_constantIbLb0EES1B_IbLb1EEEEDaS17_S18_EUlS17_E_NS1_11comp_targetILNS1_3genE8ELNS1_11target_archE1030ELNS1_3gpuE2ELNS1_3repE0EEENS1_30default_config_static_selectorELNS0_4arch9wavefront6targetE0EEEvT1_.has_indirect_call, 0
	.section	.AMDGPU.csdata,"",@progbits
; Kernel info:
; codeLenInByte = 0
; TotalNumSgprs: 0
; NumVgprs: 0
; ScratchSize: 0
; MemoryBound: 0
; FloatMode: 240
; IeeeMode: 1
; LDSByteSize: 0 bytes/workgroup (compile time only)
; SGPRBlocks: 0
; VGPRBlocks: 0
; NumSGPRsForWavesPerEU: 1
; NumVGPRsForWavesPerEU: 1
; NamedBarCnt: 0
; Occupancy: 16
; WaveLimiterHint : 0
; COMPUTE_PGM_RSRC2:SCRATCH_EN: 0
; COMPUTE_PGM_RSRC2:USER_SGPR: 2
; COMPUTE_PGM_RSRC2:TRAP_HANDLER: 0
; COMPUTE_PGM_RSRC2:TGID_X_EN: 1
; COMPUTE_PGM_RSRC2:TGID_Y_EN: 0
; COMPUTE_PGM_RSRC2:TGID_Z_EN: 0
; COMPUTE_PGM_RSRC2:TIDIG_COMP_CNT: 0
	.section	.text._ZN7rocprim17ROCPRIM_400000_NS6detail17trampoline_kernelINS0_14default_configENS1_25partition_config_selectorILNS1_17partition_subalgoE9EllbEEZZNS1_14partition_implILS5_9ELb0ES3_jPlS8_PNS0_10empty_typeENS0_5tupleIJS8_S9_EEENSB_IJS8_SA_EEENS0_18inequality_wrapperIZN2at6native12_GLOBAL__N_124unique_dim_cuda_templateIaEESt5tupleIJNSF_6TensorESK_SK_EERKSK_lbbbEUlllE0_EEPmJS9_EEE10hipError_tPvRmT3_T4_T5_T6_T7_T9_mT8_P12ihipStream_tbDpT10_ENKUlT_T0_E_clISt17integral_constantIbLb0EES1A_EEDaS15_S16_EUlS15_E_NS1_11comp_targetILNS1_3genE0ELNS1_11target_archE4294967295ELNS1_3gpuE0ELNS1_3repE0EEENS1_30default_config_static_selectorELNS0_4arch9wavefront6targetE0EEEvT1_,"axG",@progbits,_ZN7rocprim17ROCPRIM_400000_NS6detail17trampoline_kernelINS0_14default_configENS1_25partition_config_selectorILNS1_17partition_subalgoE9EllbEEZZNS1_14partition_implILS5_9ELb0ES3_jPlS8_PNS0_10empty_typeENS0_5tupleIJS8_S9_EEENSB_IJS8_SA_EEENS0_18inequality_wrapperIZN2at6native12_GLOBAL__N_124unique_dim_cuda_templateIaEESt5tupleIJNSF_6TensorESK_SK_EERKSK_lbbbEUlllE0_EEPmJS9_EEE10hipError_tPvRmT3_T4_T5_T6_T7_T9_mT8_P12ihipStream_tbDpT10_ENKUlT_T0_E_clISt17integral_constantIbLb0EES1A_EEDaS15_S16_EUlS15_E_NS1_11comp_targetILNS1_3genE0ELNS1_11target_archE4294967295ELNS1_3gpuE0ELNS1_3repE0EEENS1_30default_config_static_selectorELNS0_4arch9wavefront6targetE0EEEvT1_,comdat
	.globl	_ZN7rocprim17ROCPRIM_400000_NS6detail17trampoline_kernelINS0_14default_configENS1_25partition_config_selectorILNS1_17partition_subalgoE9EllbEEZZNS1_14partition_implILS5_9ELb0ES3_jPlS8_PNS0_10empty_typeENS0_5tupleIJS8_S9_EEENSB_IJS8_SA_EEENS0_18inequality_wrapperIZN2at6native12_GLOBAL__N_124unique_dim_cuda_templateIaEESt5tupleIJNSF_6TensorESK_SK_EERKSK_lbbbEUlllE0_EEPmJS9_EEE10hipError_tPvRmT3_T4_T5_T6_T7_T9_mT8_P12ihipStream_tbDpT10_ENKUlT_T0_E_clISt17integral_constantIbLb0EES1A_EEDaS15_S16_EUlS15_E_NS1_11comp_targetILNS1_3genE0ELNS1_11target_archE4294967295ELNS1_3gpuE0ELNS1_3repE0EEENS1_30default_config_static_selectorELNS0_4arch9wavefront6targetE0EEEvT1_ ; -- Begin function _ZN7rocprim17ROCPRIM_400000_NS6detail17trampoline_kernelINS0_14default_configENS1_25partition_config_selectorILNS1_17partition_subalgoE9EllbEEZZNS1_14partition_implILS5_9ELb0ES3_jPlS8_PNS0_10empty_typeENS0_5tupleIJS8_S9_EEENSB_IJS8_SA_EEENS0_18inequality_wrapperIZN2at6native12_GLOBAL__N_124unique_dim_cuda_templateIaEESt5tupleIJNSF_6TensorESK_SK_EERKSK_lbbbEUlllE0_EEPmJS9_EEE10hipError_tPvRmT3_T4_T5_T6_T7_T9_mT8_P12ihipStream_tbDpT10_ENKUlT_T0_E_clISt17integral_constantIbLb0EES1A_EEDaS15_S16_EUlS15_E_NS1_11comp_targetILNS1_3genE0ELNS1_11target_archE4294967295ELNS1_3gpuE0ELNS1_3repE0EEENS1_30default_config_static_selectorELNS0_4arch9wavefront6targetE0EEEvT1_
	.p2align	8
	.type	_ZN7rocprim17ROCPRIM_400000_NS6detail17trampoline_kernelINS0_14default_configENS1_25partition_config_selectorILNS1_17partition_subalgoE9EllbEEZZNS1_14partition_implILS5_9ELb0ES3_jPlS8_PNS0_10empty_typeENS0_5tupleIJS8_S9_EEENSB_IJS8_SA_EEENS0_18inequality_wrapperIZN2at6native12_GLOBAL__N_124unique_dim_cuda_templateIaEESt5tupleIJNSF_6TensorESK_SK_EERKSK_lbbbEUlllE0_EEPmJS9_EEE10hipError_tPvRmT3_T4_T5_T6_T7_T9_mT8_P12ihipStream_tbDpT10_ENKUlT_T0_E_clISt17integral_constantIbLb0EES1A_EEDaS15_S16_EUlS15_E_NS1_11comp_targetILNS1_3genE0ELNS1_11target_archE4294967295ELNS1_3gpuE0ELNS1_3repE0EEENS1_30default_config_static_selectorELNS0_4arch9wavefront6targetE0EEEvT1_,@function
_ZN7rocprim17ROCPRIM_400000_NS6detail17trampoline_kernelINS0_14default_configENS1_25partition_config_selectorILNS1_17partition_subalgoE9EllbEEZZNS1_14partition_implILS5_9ELb0ES3_jPlS8_PNS0_10empty_typeENS0_5tupleIJS8_S9_EEENSB_IJS8_SA_EEENS0_18inequality_wrapperIZN2at6native12_GLOBAL__N_124unique_dim_cuda_templateIaEESt5tupleIJNSF_6TensorESK_SK_EERKSK_lbbbEUlllE0_EEPmJS9_EEE10hipError_tPvRmT3_T4_T5_T6_T7_T9_mT8_P12ihipStream_tbDpT10_ENKUlT_T0_E_clISt17integral_constantIbLb0EES1A_EEDaS15_S16_EUlS15_E_NS1_11comp_targetILNS1_3genE0ELNS1_11target_archE4294967295ELNS1_3gpuE0ELNS1_3repE0EEENS1_30default_config_static_selectorELNS0_4arch9wavefront6targetE0EEEvT1_: ; @_ZN7rocprim17ROCPRIM_400000_NS6detail17trampoline_kernelINS0_14default_configENS1_25partition_config_selectorILNS1_17partition_subalgoE9EllbEEZZNS1_14partition_implILS5_9ELb0ES3_jPlS8_PNS0_10empty_typeENS0_5tupleIJS8_S9_EEENSB_IJS8_SA_EEENS0_18inequality_wrapperIZN2at6native12_GLOBAL__N_124unique_dim_cuda_templateIaEESt5tupleIJNSF_6TensorESK_SK_EERKSK_lbbbEUlllE0_EEPmJS9_EEE10hipError_tPvRmT3_T4_T5_T6_T7_T9_mT8_P12ihipStream_tbDpT10_ENKUlT_T0_E_clISt17integral_constantIbLb0EES1A_EEDaS15_S16_EUlS15_E_NS1_11comp_targetILNS1_3genE0ELNS1_11target_archE4294967295ELNS1_3gpuE0ELNS1_3repE0EEENS1_30default_config_static_selectorELNS0_4arch9wavefront6targetE0EEEvT1_
; %bb.0:
	s_clause 0x2
	s_load_b128 s[4:7], s[0:1], 0x8
	s_load_b256 s[12:19], s[0:1], 0x40
	s_load_b32 s2, s[0:1], 0x70
	s_bfe_u32 s10, ttmp6, 0x4000c
	s_and_b32 s8, ttmp6, 15
	s_add_co_i32 s10, s10, 1
	s_load_b64 s[20:21], s[0:1], 0x18
	s_mul_i32 s10, ttmp9, s10
	s_getreg_b32 s24, hwreg(HW_REG_IB_STS2, 6, 4)
	s_add_co_i32 s10, s8, s10
	s_mov_b32 s9, 0
	v_dual_mov_b32 v1, v0 :: v_dual_lshlrev_b32 v34, 3, v0
	s_mov_b32 s11, s9
	s_mov_b32 s3, -1
	s_wait_kmcnt 0x0
	s_lshl_b64 s[22:23], s[6:7], 3
	s_load_b64 s[14:15], s[14:15], 0x0
	s_mul_i32 s8, s2, 0x280
	s_cmp_eq_u32 s24, 0
	s_add_nc_u64 s[24:25], s[6:7], s[8:9]
	s_cselect_b32 s26, ttmp9, s10
	s_add_co_i32 s8, s8, s6
	v_cmp_le_u64_e64 s9, s[16:17], s[24:25]
	s_sub_co_i32 s27, s16, s8
	s_add_co_i32 s2, s2, -1
	s_addk_co_i32 s27, 0x280
	s_cmp_eq_u32 s26, s2
	s_mul_i32 s10, s26, 0x280
	s_cselect_b32 s24, -1, 0
	s_add_nc_u64 s[4:5], s[4:5], s[22:23]
	s_and_b32 s28, s24, s9
	s_lshl_b64 s[16:17], s[10:11], 3
	s_xor_b32 s25, s28, -1
	s_add_nc_u64 s[4:5], s[4:5], s[16:17]
	s_and_b32 vcc_lo, exec_lo, s25
	s_cbranch_vccz .LBB351_2
; %bb.1:
	s_clause 0x4
	global_load_b64 v[2:3], v0, s[4:5] scale_offset
	global_load_b64 v[4:5], v0, s[4:5] offset:1024 scale_offset
	global_load_b64 v[6:7], v0, s[4:5] offset:2048 scale_offset
	;; [unrolled: 1-line block ×4, first 2 shown]
	v_lshlrev_b32_e32 v12, 3, v0
	s_mov_b32 s3, 0
	s_wait_loadcnt 0x3
	ds_store_2addr_stride64_b64 v12, v[2:3], v[4:5] offset1:2
	s_wait_loadcnt 0x1
	ds_store_2addr_stride64_b64 v12, v[6:7], v[8:9] offset0:4 offset1:6
	s_wait_loadcnt 0x0
	ds_store_b64 v12, v[10:11] offset:4096
	s_wait_dscnt 0x0
	s_barrier_signal -1
	s_barrier_wait -1
.LBB351_2:
	s_load_b128 s[8:11], s[0:1], 0x60
	v_cmp_gt_u32_e64 s2, s27, v0
	s_and_not1_b32 vcc_lo, exec_lo, s3
	s_cbranch_vccnz .LBB351_14
; %bb.3:
	v_mov_b32_e32 v2, 0
	s_delay_alu instid0(VALU_DEP_1)
	v_dual_mov_b32 v3, v2 :: v_dual_mov_b32 v4, v2
	v_dual_mov_b32 v5, v2 :: v_dual_mov_b32 v6, v2
	;; [unrolled: 1-line block ×4, first 2 shown]
	v_mov_b32_e32 v11, v2
	s_and_saveexec_b32 s3, s2
	s_cbranch_execz .LBB351_5
; %bb.4:
	global_load_b64 v[4:5], v0, s[4:5] scale_offset
	v_dual_mov_b32 v6, v2 :: v_dual_mov_b32 v7, v2
	v_dual_mov_b32 v8, v2 :: v_dual_mov_b32 v9, v2
	;; [unrolled: 1-line block ×4, first 2 shown]
	s_wait_loadcnt 0x0
	v_mov_b64_e32 v[2:3], v[4:5]
	v_mov_b64_e32 v[4:5], v[6:7]
	;; [unrolled: 1-line block ×8, first 2 shown]
.LBB351_5:
	s_or_b32 exec_lo, exec_lo, s3
	v_or_b32_e32 v12, 0x80, v0
	s_mov_b32 s2, exec_lo
	s_delay_alu instid0(VALU_DEP_1)
	v_cmpx_gt_u32_e64 s27, v12
	s_cbranch_execz .LBB351_7
; %bb.6:
	global_load_b64 v[4:5], v0, s[4:5] offset:1024 scale_offset
.LBB351_7:
	s_wait_xcnt 0x0
	s_or_b32 exec_lo, exec_lo, s2
	v_or_b32_e32 v12, 0x100, v0
	s_mov_b32 s2, exec_lo
	s_delay_alu instid0(VALU_DEP_1)
	v_cmpx_gt_u32_e64 s27, v12
	s_cbranch_execz .LBB351_9
; %bb.8:
	global_load_b64 v[6:7], v0, s[4:5] offset:2048 scale_offset
.LBB351_9:
	s_wait_xcnt 0x0
	;; [unrolled: 10-line block ×4, first 2 shown]
	s_or_b32 exec_lo, exec_lo, s2
	v_lshlrev_b32_e32 v12, 3, v0
	s_wait_loadcnt 0x0
	ds_store_2addr_stride64_b64 v12, v[2:3], v[4:5] offset1:2
	ds_store_2addr_stride64_b64 v12, v[6:7], v[8:9] offset0:4 offset1:6
	ds_store_b64 v12, v[10:11] offset:4096
	s_wait_dscnt 0x0
	s_barrier_signal -1
	s_barrier_wait -1
.LBB351_14:
	v_mul_u32_u24_e32 v30, 5, v0
	s_add_nc_u64 s[2:3], s[20:21], s[22:23]
	s_and_b32 vcc_lo, exec_lo, s25
	s_add_nc_u64 s[2:3], s[2:3], s[16:17]
	s_delay_alu instid0(VALU_DEP_1)
	v_lshlrev_b32_e32 v28, 3, v30
	s_mov_b32 s16, -1
	ds_load_2addr_b64 v[14:17], v28 offset1:1
	ds_load_2addr_b64 v[10:13], v28 offset0:2 offset1:3
	ds_load_b64 v[20:21], v28 offset:32
	s_wait_dscnt 0x0
	s_barrier_signal -1
	s_barrier_wait -1
	s_cbranch_vccz .LBB351_16
; %bb.15:
	s_clause 0x4
	global_load_b64 v[2:3], v0, s[2:3] scale_offset
	global_load_b64 v[4:5], v0, s[2:3] offset:1024 scale_offset
	global_load_b64 v[6:7], v0, s[2:3] offset:2048 scale_offset
	;; [unrolled: 1-line block ×4, first 2 shown]
	v_lshlrev_b32_e32 v22, 3, v0
	s_mov_b32 s16, 0
	s_wait_loadcnt 0x3
	ds_store_2addr_stride64_b64 v22, v[2:3], v[4:5] offset1:2
	s_wait_loadcnt 0x1
	ds_store_2addr_stride64_b64 v22, v[6:7], v[8:9] offset0:4 offset1:6
	s_wait_loadcnt 0x0
	ds_store_b64 v22, v[18:19] offset:4096
	s_wait_dscnt 0x0
	s_barrier_signal -1
	s_barrier_wait -1
.LBB351_16:
	s_and_not1_b32 vcc_lo, exec_lo, s16
	s_cbranch_vccnz .LBB351_28
; %bb.17:
	s_mov_b32 s16, exec_lo
                                        ; implicit-def: $vgpr2_vgpr3
	v_cmpx_gt_u32_e64 s27, v0
	s_cbranch_execz .LBB351_19
; %bb.18:
	global_load_b64 v[2:3], v0, s[2:3] scale_offset
.LBB351_19:
	s_wait_xcnt 0x0
	s_or_b32 exec_lo, exec_lo, s16
	v_or_b32_e32 v4, 0x80, v0
	s_delay_alu instid0(VALU_DEP_1)
	v_cmp_gt_u32_e32 vcc_lo, s27, v4
                                        ; implicit-def: $vgpr4_vgpr5
	s_and_saveexec_b32 s16, vcc_lo
	s_cbranch_execz .LBB351_21
; %bb.20:
	global_load_b64 v[4:5], v0, s[2:3] offset:1024 scale_offset
.LBB351_21:
	s_wait_xcnt 0x0
	s_or_b32 exec_lo, exec_lo, s16
	v_or_b32_e32 v6, 0x100, v0
	s_delay_alu instid0(VALU_DEP_1)
	v_cmp_gt_u32_e32 vcc_lo, s27, v6
                                        ; implicit-def: $vgpr6_vgpr7
	s_and_saveexec_b32 s16, vcc_lo
	s_cbranch_execz .LBB351_23
; %bb.22:
	global_load_b64 v[6:7], v0, s[2:3] offset:2048 scale_offset
.LBB351_23:
	s_wait_xcnt 0x0
	s_or_b32 exec_lo, exec_lo, s16
	v_or_b32_e32 v8, 0x180, v0
	s_delay_alu instid0(VALU_DEP_1)
	v_cmp_gt_u32_e32 vcc_lo, s27, v8
                                        ; implicit-def: $vgpr8_vgpr9
	s_and_saveexec_b32 s16, vcc_lo
	s_cbranch_execz .LBB351_25
; %bb.24:
	global_load_b64 v[8:9], v0, s[2:3] offset:3072 scale_offset
.LBB351_25:
	s_wait_xcnt 0x0
	s_or_b32 exec_lo, exec_lo, s16
	v_or_b32_e32 v18, 0x200, v0
	s_delay_alu instid0(VALU_DEP_1)
	v_cmp_gt_u32_e32 vcc_lo, s27, v18
                                        ; implicit-def: $vgpr18_vgpr19
	s_and_saveexec_b32 s16, vcc_lo
	s_cbranch_execz .LBB351_27
; %bb.26:
	global_load_b64 v[18:19], v0, s[2:3] offset:4096 scale_offset
.LBB351_27:
	s_wait_xcnt 0x0
	s_or_b32 exec_lo, exec_lo, s16
	v_lshlrev_b32_e32 v22, 5, v0
	s_delay_alu instid0(VALU_DEP_1)
	v_sub_nc_u32_e32 v22, v28, v22
	s_wait_loadcnt 0x0
	ds_store_2addr_stride64_b64 v22, v[2:3], v[4:5] offset1:2
	ds_store_2addr_stride64_b64 v22, v[6:7], v[8:9] offset0:4 offset1:6
	ds_store_b64 v22, v[18:19] offset:4096
	s_wait_dscnt 0x0
	s_barrier_signal -1
	s_barrier_wait -1
.LBB351_28:
	ds_load_b64 v[18:19], v28 offset:32
	ds_load_2addr_b64 v[2:5], v28 offset0:2 offset1:3
	ds_load_2addr_b64 v[6:9], v28 offset1:1
	s_cmp_lg_u32 s26, 0
	v_cmp_gt_i64_e64 s17, s[18:19], 0
	s_cselect_b32 s16, -1, 0
	s_cmp_lg_u64 s[6:7], 0
	s_mov_b32 s6, 0
	s_cselect_b32 s2, -1, 0
	s_wait_dscnt 0x0
	s_or_b32 s2, s16, s2
	s_barrier_signal -1
	s_and_b32 vcc_lo, exec_lo, s2
	s_barrier_wait -1
	s_cbranch_vccz .LBB351_40
; %bb.29:
	s_add_nc_u64 s[2:3], s[4:5], -8
	v_cndmask_b32_e64 v29, 0, 1, s17
	s_load_b64 s[4:5], s[2:3], 0x0
	v_lshlrev_b32_e32 v31, 3, v0
	s_and_b32 vcc_lo, exec_lo, s25
	s_wait_xcnt 0x0
	v_cmp_ne_u32_e64 s2, 1, v29
	ds_store_b64 v31, v[20:21]
	s_cbranch_vccz .LBB351_42
; %bb.30:
	s_and_b32 vcc_lo, exec_lo, s2
	s_cbranch_vccnz .LBB351_43
; %bb.31:
	s_wait_kmcnt 0x0
	v_mad_nc_u64_u32 v[22:23], v12, s18, s[8:9]
	v_mad_nc_u64_u32 v[24:25], v20, s18, s[8:9]
	s_add_nc_u64 s[6:7], s[18:19], -1
	s_mov_b32 s21, 0
	s_mov_b64 s[2:3], s[6:7]
                                        ; implicit-def: $sgpr20
	s_delay_alu instid0(VALU_DEP_2) | instskip(NEXT) | instid1(VALU_DEP_2)
	v_mad_u32 v23, v13, s18, v23
	v_mad_u32 v25, v21, s18, v25
	s_delay_alu instid0(VALU_DEP_2) | instskip(NEXT) | instid1(VALU_DEP_2)
	v_mad_u32 v23, v12, s19, v23
	v_mad_u32 v25, v20, s19, v25
	s_delay_alu instid0(VALU_DEP_2)
	v_mov_b64_e32 v[26:27], v[22:23]
.LBB351_32:                             ; =>This Inner Loop Header: Depth=1
	global_load_u8 v32, v[26:27], off
	global_load_u8 v33, v[24:25], off
	s_cmp_eq_u64 s[2:3], 0
	s_add_nc_u64 s[22:23], s[2:3], -1
	s_cselect_b32 s3, -1, 0
	s_wait_xcnt 0x1
	v_add_nc_u64_e32 v[26:27], 1, v[26:27]
	s_wait_xcnt 0x0
	v_add_nc_u64_e32 v[24:25], 1, v[24:25]
	s_wait_loadcnt 0x0
	v_cmp_ne_u16_e32 vcc_lo, v32, v33
	v_cmp_eq_u16_e64 s2, v32, v33
	s_or_b32 s3, vcc_lo, s3
	s_delay_alu instid0(SALU_CYCLE_1) | instskip(NEXT) | instid1(SALU_CYCLE_1)
	s_and_b32 s3, exec_lo, s3
	s_or_b32 s21, s3, s21
	s_and_not1_b32 s20, s20, exec_lo
	s_and_b32 s29, s2, exec_lo
	s_mov_b64 s[2:3], s[22:23]
	s_or_b32 s20, s20, s29
	s_and_not1_b32 exec_lo, exec_lo, s21
	s_cbranch_execnz .LBB351_32
; %bb.33:
	s_or_b32 exec_lo, exec_lo, s21
	v_mad_nc_u64_u32 v[24:25], v10, s18, s[8:9]
	s_mov_b32 s22, 0
	s_mov_b64 s[2:3], s[6:7]
                                        ; implicit-def: $sgpr21
	s_delay_alu instid0(VALU_DEP_1) | instskip(NEXT) | instid1(VALU_DEP_1)
	v_mad_u32 v25, v11, s18, v25
	v_mad_u32 v25, v10, s19, v25
	s_delay_alu instid0(VALU_DEP_1)
	v_mov_b64_e32 v[26:27], v[24:25]
.LBB351_34:                             ; =>This Inner Loop Header: Depth=1
	global_load_u8 v32, v[26:27], off
	global_load_u8 v33, v[22:23], off
	s_cmp_eq_u64 s[2:3], 0
	s_add_nc_u64 s[30:31], s[2:3], -1
	s_cselect_b32 s3, -1, 0
	s_wait_xcnt 0x1
	v_add_nc_u64_e32 v[26:27], 1, v[26:27]
	s_wait_xcnt 0x0
	v_add_nc_u64_e32 v[22:23], 1, v[22:23]
	s_wait_loadcnt 0x0
	v_cmp_ne_u16_e32 vcc_lo, v32, v33
	v_cmp_eq_u16_e64 s2, v32, v33
	s_or_b32 s3, vcc_lo, s3
	s_delay_alu instid0(SALU_CYCLE_1) | instskip(NEXT) | instid1(SALU_CYCLE_1)
	s_and_b32 s3, exec_lo, s3
	s_or_b32 s22, s3, s22
	s_and_not1_b32 s21, s21, exec_lo
	s_and_b32 s23, s2, exec_lo
	s_mov_b64 s[2:3], s[30:31]
	s_or_b32 s21, s21, s23
	s_and_not1_b32 exec_lo, exec_lo, s22
	s_cbranch_execnz .LBB351_34
; %bb.35:
	s_or_b32 exec_lo, exec_lo, s22
	v_mad_nc_u64_u32 v[22:23], v16, s18, s[8:9]
	s_mov_b32 s23, 0
	s_mov_b64 s[2:3], s[6:7]
                                        ; implicit-def: $sgpr22
	s_delay_alu instid0(VALU_DEP_1) | instskip(NEXT) | instid1(VALU_DEP_1)
	v_mad_u32 v23, v17, s18, v23
	v_mad_u32 v23, v16, s19, v23
	s_delay_alu instid0(VALU_DEP_1)
	v_mov_b64_e32 v[26:27], v[22:23]
.LBB351_36:                             ; =>This Inner Loop Header: Depth=1
	global_load_u8 v32, v[26:27], off
	global_load_u8 v33, v[24:25], off
	s_cmp_eq_u64 s[2:3], 0
	s_add_nc_u64 s[30:31], s[2:3], -1
	s_cselect_b32 s3, -1, 0
	s_wait_xcnt 0x1
	v_add_nc_u64_e32 v[26:27], 1, v[26:27]
	s_wait_xcnt 0x0
	v_add_nc_u64_e32 v[24:25], 1, v[24:25]
	s_wait_loadcnt 0x0
	v_cmp_ne_u16_e32 vcc_lo, v32, v33
	v_cmp_eq_u16_e64 s2, v32, v33
	s_or_b32 s3, vcc_lo, s3
	s_delay_alu instid0(SALU_CYCLE_1) | instskip(NEXT) | instid1(SALU_CYCLE_1)
	s_and_b32 s3, exec_lo, s3
	s_or_b32 s23, s3, s23
	s_and_not1_b32 s22, s22, exec_lo
	s_and_b32 s29, s2, exec_lo
	s_mov_b64 s[2:3], s[30:31]
	s_or_b32 s22, s22, s29
	s_and_not1_b32 exec_lo, exec_lo, s23
	s_cbranch_execnz .LBB351_36
; %bb.37:
	s_or_b32 exec_lo, exec_lo, s23
	v_mad_nc_u64_u32 v[24:25], v14, s18, s[8:9]
	s_mov_b32 s23, 0
                                        ; implicit-def: $sgpr3
	s_delay_alu instid0(VALU_DEP_1) | instskip(NEXT) | instid1(VALU_DEP_1)
	v_mad_u32 v25, v15, s18, v25
	v_mad_u32 v25, v14, s19, v25
.LBB351_38:                             ; =>This Inner Loop Header: Depth=1
	global_load_u8 v26, v[24:25], off
	global_load_u8 v27, v[22:23], off
	s_cmp_eq_u64 s[6:7], 0
	s_add_nc_u64 s[30:31], s[6:7], -1
	s_cselect_b32 s6, -1, 0
	s_wait_xcnt 0x1
	v_add_nc_u64_e32 v[24:25], 1, v[24:25]
	s_wait_xcnt 0x0
	v_add_nc_u64_e32 v[22:23], 1, v[22:23]
	s_wait_loadcnt 0x0
	v_cmp_ne_u16_e32 vcc_lo, v26, v27
	v_cmp_eq_u16_e64 s2, v26, v27
	s_or_b32 s6, vcc_lo, s6
	s_delay_alu instid0(SALU_CYCLE_1) | instskip(NEXT) | instid1(SALU_CYCLE_1)
	s_and_b32 s6, exec_lo, s6
	s_or_b32 s23, s6, s23
	s_and_not1_b32 s3, s3, exec_lo
	s_and_b32 s2, s2, exec_lo
	s_mov_b64 s[6:7], s[30:31]
	s_or_b32 s3, s3, s2
	s_and_not1_b32 exec_lo, exec_lo, s23
	s_cbranch_execnz .LBB351_38
; %bb.39:
	s_or_b32 exec_lo, exec_lo, s23
	s_xor_b32 s2, s21, -1
	s_xor_b32 s3, s3, -1
	v_cndmask_b32_e64 v22, 0, 1, s2
	s_xor_b32 s2, s22, -1
	s_delay_alu instid0(SALU_CYCLE_1) | instskip(SKIP_1) | instid1(VALU_DEP_2)
	v_cndmask_b32_e64 v23, 0, 1, s2
	s_xor_b32 s2, s20, -1
	v_lshlrev_b16 v22, 8, v22
	v_cndmask_b32_e64 v35, 0, 1, s2
	s_delay_alu instid0(VALU_DEP_2) | instskip(NEXT) | instid1(VALU_DEP_1)
	v_lshrrev_b32_e32 v22, 8, v22
	v_lshlrev_b16 v22, 8, v22
	s_delay_alu instid0(VALU_DEP_1) | instskip(NEXT) | instid1(VALU_DEP_1)
	v_or_b32_e32 v22, v23, v22
	v_lshlrev_b32_e32 v22, 16, v22
	s_branch .LBB351_44
.LBB351_40:
                                        ; implicit-def: $sgpr2
                                        ; implicit-def: $vgpr35
                                        ; implicit-def: $vgpr25
	s_branch .LBB351_85
.LBB351_41:
                                        ; implicit-def: $vgpr24
                                        ; implicit-def: $vgpr23
                                        ; implicit-def: $vgpr36
                                        ; implicit-def: $vgpr22
	s_branch .LBB351_138
.LBB351_42:
                                        ; implicit-def: $sgpr2
                                        ; implicit-def: $vgpr35
                                        ; implicit-def: $vgpr25
	s_cbranch_execnz .LBB351_51
	s_branch .LBB351_84
.LBB351_43:
	v_dual_mov_b32 v22, 0 :: v_dual_mov_b32 v35, 0
	s_mov_b32 s3, 0
.LBB351_44:
	s_wait_kmcnt 0x0
	v_mov_b64_e32 v[26:27], s[4:5]
	s_mov_b32 s2, 0
	s_mov_b32 s6, exec_lo
	s_wait_dscnt 0x0
	s_barrier_signal -1
	s_barrier_wait -1
	v_cmpx_ne_u32_e32 0, v0
; %bb.45:
	v_add_nc_u32_e32 v23, -8, v31
	ds_load_b64 v[26:27], v23
; %bb.46:
	s_or_b32 exec_lo, exec_lo, s6
	v_cndmask_b32_e64 v23, 0, 1, s3
	v_lshrrev_b32_e32 v24, 16, v22
	s_and_not1_b32 vcc_lo, exec_lo, s17
	s_delay_alu instid0(VALU_DEP_2) | instskip(NEXT) | instid1(VALU_DEP_2)
	v_lshlrev_b16 v23, 8, v23
	v_perm_b32 v32, v24, v22, 0xc0c0304
	s_delay_alu instid0(VALU_DEP_2) | instskip(NEXT) | instid1(VALU_DEP_1)
	v_bitop3_b16 v23, v22, v23, 0xff bitop3:0xec
	v_and_b32_e32 v33, 0xffff, v23
	s_cbranch_vccnz .LBB351_50
; %bb.47:
	s_wait_dscnt 0x0
	v_mad_nc_u64_u32 v[22:23], v26, s18, s[8:9]
	v_mad_nc_u64_u32 v[24:25], v14, s18, s[8:9]
	s_add_nc_u64 s[2:3], s[18:19], -1
	s_mov_b32 s6, 0
                                        ; implicit-def: $sgpr7
	s_delay_alu instid0(VALU_DEP_2) | instskip(NEXT) | instid1(VALU_DEP_2)
	v_mad_u32 v23, v27, s18, v23
	v_mad_u32 v25, v15, s18, v25
	s_delay_alu instid0(VALU_DEP_2) | instskip(NEXT) | instid1(VALU_DEP_2)
	v_mad_u32 v23, v26, s19, v23
	v_mad_u32 v25, v14, s19, v25
.LBB351_48:                             ; =>This Inner Loop Header: Depth=1
	global_load_u8 v26, v[22:23], off
	global_load_u8 v27, v[24:25], off
	s_cmp_eq_u64 s[2:3], 0
	s_add_nc_u64 s[20:21], s[2:3], -1
	s_cselect_b32 s3, -1, 0
	s_wait_xcnt 0x1
	v_add_nc_u64_e32 v[22:23], 1, v[22:23]
	s_wait_xcnt 0x0
	v_add_nc_u64_e32 v[24:25], 1, v[24:25]
	s_wait_loadcnt 0x0
	v_cmp_ne_u16_e32 vcc_lo, v26, v27
	v_cmp_eq_u16_e64 s2, v26, v27
	s_or_b32 s3, vcc_lo, s3
	s_delay_alu instid0(SALU_CYCLE_1) | instskip(NEXT) | instid1(SALU_CYCLE_1)
	s_and_b32 s3, exec_lo, s3
	s_or_b32 s6, s3, s6
	s_and_not1_b32 s7, s7, exec_lo
	s_and_b32 s22, s2, exec_lo
	s_mov_b64 s[2:3], s[20:21]
	s_or_b32 s7, s7, s22
	s_and_not1_b32 exec_lo, exec_lo, s6
	s_cbranch_execnz .LBB351_48
; %bb.49:
	s_or_b32 exec_lo, exec_lo, s6
	s_xor_b32 s2, s7, -1
.LBB351_50:
	s_delay_alu instid0(VALU_DEP_1)
	v_lshl_or_b32 v25, v32, 16, v33
	s_branch .LBB351_84
.LBB351_51:
	v_add_nc_u32_e32 v22, 4, v30
	s_mov_b32 s7, 0
	s_mov_b32 s6, 0
	s_mov_b32 s20, exec_lo
	s_delay_alu instid0(VALU_DEP_1)
	v_cmpx_gt_u32_e64 s27, v22
	s_cbranch_execz .LBB351_57
; %bb.52:
	s_and_not1_b32 vcc_lo, exec_lo, s17
	s_mov_b32 s2, 0
	s_cbranch_vccnz .LBB351_56
; %bb.53:
	s_wait_kmcnt 0x0
	v_mad_nc_u64_u32 v[22:23], v12, s18, s[8:9]
	v_mad_nc_u64_u32 v[24:25], v20, s18, s[8:9]
	s_add_nc_u64 s[2:3], s[18:19], -1
                                        ; implicit-def: $sgpr17
	s_delay_alu instid0(VALU_DEP_2) | instskip(NEXT) | instid1(VALU_DEP_2)
	v_mad_u32 v23, v13, s18, v23
	v_mad_u32 v25, v21, s18, v25
	s_delay_alu instid0(VALU_DEP_2) | instskip(NEXT) | instid1(VALU_DEP_2)
	v_mad_u32 v23, v12, s19, v23
	v_mad_u32 v25, v20, s19, v25
.LBB351_54:                             ; =>This Inner Loop Header: Depth=1
	s_wait_dscnt 0x0
	global_load_u8 v26, v[22:23], off
	global_load_u8 v27, v[24:25], off
	s_cmp_eq_u64 s[2:3], 0
	s_add_nc_u64 s[22:23], s[2:3], -1
	s_cselect_b32 s3, -1, 0
	s_wait_xcnt 0x1
	v_add_nc_u64_e32 v[22:23], 1, v[22:23]
	s_wait_xcnt 0x0
	v_add_nc_u64_e32 v[24:25], 1, v[24:25]
	s_wait_loadcnt 0x0
	v_cmp_ne_u16_e32 vcc_lo, v26, v27
	v_cmp_eq_u16_e64 s2, v26, v27
	s_or_b32 s3, vcc_lo, s3
	s_delay_alu instid0(SALU_CYCLE_1) | instskip(NEXT) | instid1(SALU_CYCLE_1)
	s_and_b32 s3, exec_lo, s3
	s_or_b32 s6, s3, s6
	s_and_not1_b32 s17, s17, exec_lo
	s_and_b32 s21, s2, exec_lo
	s_mov_b64 s[2:3], s[22:23]
	s_or_b32 s17, s17, s21
	s_and_not1_b32 exec_lo, exec_lo, s6
	s_cbranch_execnz .LBB351_54
; %bb.55:
	s_or_b32 exec_lo, exec_lo, s6
	s_xor_b32 s2, s17, -1
.LBB351_56:
	s_delay_alu instid0(SALU_CYCLE_1)
	s_and_b32 s6, s2, exec_lo
.LBB351_57:
	s_or_b32 exec_lo, exec_lo, s20
	v_add_nc_u32_e32 v22, 3, v30
	s_mov_b32 s17, exec_lo
	s_delay_alu instid0(VALU_DEP_1)
	v_cmpx_gt_u32_e64 s27, v22
	s_cbranch_execz .LBB351_63
; %bb.58:
	v_cmp_ne_u32_e32 vcc_lo, 1, v29
	s_mov_b32 s2, 0
	s_cbranch_vccnz .LBB351_62
; %bb.59:
	s_wait_kmcnt 0x0
	v_mad_nc_u64_u32 v[22:23], v10, s18, s[8:9]
	v_mad_nc_u64_u32 v[24:25], v12, s18, s[8:9]
	s_add_nc_u64 s[2:3], s[18:19], -1
	s_mov_b32 s7, 0
                                        ; implicit-def: $sgpr20
	s_delay_alu instid0(VALU_DEP_2) | instskip(NEXT) | instid1(VALU_DEP_2)
	v_mad_u32 v23, v11, s18, v23
	v_mad_u32 v25, v13, s18, v25
	s_delay_alu instid0(VALU_DEP_2) | instskip(NEXT) | instid1(VALU_DEP_2)
	v_mad_u32 v23, v10, s19, v23
	v_mad_u32 v25, v12, s19, v25
.LBB351_60:                             ; =>This Inner Loop Header: Depth=1
	s_wait_dscnt 0x0
	global_load_u8 v26, v[22:23], off
	global_load_u8 v27, v[24:25], off
	s_cmp_eq_u64 s[2:3], 0
	s_add_nc_u64 s[22:23], s[2:3], -1
	s_cselect_b32 s3, -1, 0
	s_wait_xcnt 0x1
	v_add_nc_u64_e32 v[22:23], 1, v[22:23]
	s_wait_xcnt 0x0
	v_add_nc_u64_e32 v[24:25], 1, v[24:25]
	s_wait_loadcnt 0x0
	v_cmp_ne_u16_e32 vcc_lo, v26, v27
	v_cmp_eq_u16_e64 s2, v26, v27
	s_or_b32 s3, vcc_lo, s3
	s_delay_alu instid0(SALU_CYCLE_1) | instskip(NEXT) | instid1(SALU_CYCLE_1)
	s_and_b32 s3, exec_lo, s3
	s_or_b32 s7, s3, s7
	s_and_not1_b32 s20, s20, exec_lo
	s_and_b32 s21, s2, exec_lo
	s_mov_b64 s[2:3], s[22:23]
	s_or_b32 s20, s20, s21
	s_and_not1_b32 exec_lo, exec_lo, s7
	s_cbranch_execnz .LBB351_60
; %bb.61:
	s_or_b32 exec_lo, exec_lo, s7
	s_xor_b32 s2, s20, -1
.LBB351_62:
	s_delay_alu instid0(SALU_CYCLE_1)
	s_and_b32 s7, s2, exec_lo
.LBB351_63:
	s_or_b32 exec_lo, exec_lo, s17
	v_add_nc_u32_e32 v22, 2, v30
	s_mov_b32 s17, 0
	s_mov_b32 s20, 0
	s_mov_b32 s21, exec_lo
	s_delay_alu instid0(VALU_DEP_1)
	v_cmpx_gt_u32_e64 s27, v22
	s_cbranch_execz .LBB351_69
; %bb.64:
	v_cmp_ne_u32_e32 vcc_lo, 1, v29
	s_mov_b32 s2, 0
	s_cbranch_vccnz .LBB351_68
; %bb.65:
	s_wait_kmcnt 0x0
	v_mad_nc_u64_u32 v[22:23], v16, s18, s[8:9]
	v_mad_nc_u64_u32 v[24:25], v10, s18, s[8:9]
	s_add_nc_u64 s[2:3], s[18:19], -1
                                        ; implicit-def: $sgpr22
	s_delay_alu instid0(VALU_DEP_2) | instskip(NEXT) | instid1(VALU_DEP_2)
	v_mad_u32 v23, v17, s18, v23
	v_mad_u32 v25, v11, s18, v25
	s_delay_alu instid0(VALU_DEP_2) | instskip(NEXT) | instid1(VALU_DEP_2)
	v_mad_u32 v23, v16, s19, v23
	v_mad_u32 v25, v10, s19, v25
.LBB351_66:                             ; =>This Inner Loop Header: Depth=1
	s_wait_dscnt 0x0
	global_load_u8 v26, v[22:23], off
	global_load_u8 v27, v[24:25], off
	s_cmp_eq_u64 s[2:3], 0
	s_add_nc_u64 s[30:31], s[2:3], -1
	s_cselect_b32 s3, -1, 0
	s_wait_xcnt 0x1
	v_add_nc_u64_e32 v[22:23], 1, v[22:23]
	s_wait_xcnt 0x0
	v_add_nc_u64_e32 v[24:25], 1, v[24:25]
	s_wait_loadcnt 0x0
	v_cmp_ne_u16_e32 vcc_lo, v26, v27
	v_cmp_eq_u16_e64 s2, v26, v27
	s_or_b32 s3, vcc_lo, s3
	s_delay_alu instid0(SALU_CYCLE_1) | instskip(NEXT) | instid1(SALU_CYCLE_1)
	s_and_b32 s3, exec_lo, s3
	s_or_b32 s20, s3, s20
	s_and_not1_b32 s22, s22, exec_lo
	s_and_b32 s23, s2, exec_lo
	s_mov_b64 s[2:3], s[30:31]
	s_or_b32 s22, s22, s23
	s_and_not1_b32 exec_lo, exec_lo, s20
	s_cbranch_execnz .LBB351_66
; %bb.67:
	s_or_b32 exec_lo, exec_lo, s20
	s_xor_b32 s2, s22, -1
.LBB351_68:
	s_delay_alu instid0(SALU_CYCLE_1)
	s_and_b32 s20, s2, exec_lo
.LBB351_69:
	s_or_b32 exec_lo, exec_lo, s21
	v_add_nc_u32_e32 v22, 1, v30
	s_mov_b32 s21, exec_lo
	s_delay_alu instid0(VALU_DEP_1)
	v_cmpx_gt_u32_e64 s27, v22
	s_cbranch_execz .LBB351_75
; %bb.70:
	v_cmp_ne_u32_e32 vcc_lo, 1, v29
	s_mov_b32 s2, 0
	s_cbranch_vccnz .LBB351_74
; %bb.71:
	s_wait_kmcnt 0x0
	v_mad_nc_u64_u32 v[22:23], v14, s18, s[8:9]
	v_mad_nc_u64_u32 v[24:25], v16, s18, s[8:9]
	s_add_nc_u64 s[2:3], s[18:19], -1
	s_mov_b32 s17, 0
                                        ; implicit-def: $sgpr22
	s_delay_alu instid0(VALU_DEP_2) | instskip(NEXT) | instid1(VALU_DEP_2)
	v_mad_u32 v23, v15, s18, v23
	v_mad_u32 v25, v17, s18, v25
	s_delay_alu instid0(VALU_DEP_2) | instskip(NEXT) | instid1(VALU_DEP_2)
	v_mad_u32 v23, v14, s19, v23
	v_mad_u32 v25, v16, s19, v25
.LBB351_72:                             ; =>This Inner Loop Header: Depth=1
	s_wait_dscnt 0x0
	global_load_u8 v26, v[22:23], off
	global_load_u8 v27, v[24:25], off
	s_cmp_eq_u64 s[2:3], 0
	s_add_nc_u64 s[30:31], s[2:3], -1
	s_cselect_b32 s3, -1, 0
	s_wait_xcnt 0x1
	v_add_nc_u64_e32 v[22:23], 1, v[22:23]
	s_wait_xcnt 0x0
	v_add_nc_u64_e32 v[24:25], 1, v[24:25]
	s_wait_loadcnt 0x0
	v_cmp_ne_u16_e32 vcc_lo, v26, v27
	v_cmp_eq_u16_e64 s2, v26, v27
	s_or_b32 s3, vcc_lo, s3
	s_delay_alu instid0(SALU_CYCLE_1) | instskip(NEXT) | instid1(SALU_CYCLE_1)
	s_and_b32 s3, exec_lo, s3
	s_or_b32 s17, s3, s17
	s_and_not1_b32 s22, s22, exec_lo
	s_and_b32 s23, s2, exec_lo
	s_mov_b64 s[2:3], s[30:31]
	s_or_b32 s22, s22, s23
	s_and_not1_b32 exec_lo, exec_lo, s17
	s_cbranch_execnz .LBB351_72
; %bb.73:
	s_or_b32 exec_lo, exec_lo, s17
	s_xor_b32 s2, s22, -1
.LBB351_74:
	s_delay_alu instid0(SALU_CYCLE_1)
	s_and_b32 s17, s2, exec_lo
.LBB351_75:
	s_or_b32 exec_lo, exec_lo, s21
	s_wait_kmcnt 0x0
	v_mov_b64_e32 v[24:25], s[4:5]
	s_mov_b32 s2, 0
	s_mov_b32 s3, exec_lo
	s_wait_dscnt 0x0
	s_barrier_signal -1
	s_barrier_wait -1
	v_cmpx_ne_u32_e32 0, v0
; %bb.76:
	v_add_nc_u32_e32 v22, -8, v31
	ds_load_b64 v[24:25], v22
; %bb.77:
	s_or_b32 exec_lo, exec_lo, s3
	v_cndmask_b32_e64 v22, 0, 1, s7
	v_cndmask_b32_e64 v23, 0, 1, s20
	;; [unrolled: 1-line block ×3, first 2 shown]
	s_mov_b32 s4, exec_lo
	s_delay_alu instid0(VALU_DEP_3) | instskip(NEXT) | instid1(VALU_DEP_2)
	v_lshlrev_b16 v22, 8, v22
	v_lshlrev_b16 v26, 8, v26
	s_delay_alu instid0(VALU_DEP_2) | instskip(NEXT) | instid1(VALU_DEP_2)
	v_or_b32_e32 v22, v23, v22
	v_and_b32_e32 v31, 0xffff, v26
	s_delay_alu instid0(VALU_DEP_2)
	v_lshlrev_b32_e32 v32, 16, v22
	v_cmpx_gt_u32_e64 s27, v30
	s_cbranch_execz .LBB351_83
; %bb.78:
	v_cmp_ne_u32_e32 vcc_lo, 1, v29
	s_cbranch_vccnz .LBB351_82
; %bb.79:
	s_wait_dscnt 0x0
	v_mad_nc_u64_u32 v[22:23], v24, s18, s[8:9]
	v_mad_nc_u64_u32 v[26:27], v14, s18, s[8:9]
	s_add_nc_u64 s[2:3], s[18:19], -1
	s_mov_b32 s5, 0
                                        ; implicit-def: $sgpr7
	s_delay_alu instid0(VALU_DEP_2) | instskip(NEXT) | instid1(VALU_DEP_2)
	v_mad_u32 v23, v25, s18, v23
	v_mad_u32 v25, v15, s18, v27
	s_delay_alu instid0(VALU_DEP_2) | instskip(NEXT) | instid1(VALU_DEP_2)
	v_mad_u32 v23, v24, s19, v23
	v_mad_u32 v27, v14, s19, v25
.LBB351_80:                             ; =>This Inner Loop Header: Depth=1
	global_load_u8 v24, v[22:23], off
	global_load_u8 v25, v[26:27], off
	s_cmp_eq_u64 s[2:3], 0
	s_add_nc_u64 s[20:21], s[2:3], -1
	s_cselect_b32 s3, -1, 0
	s_wait_xcnt 0x1
	v_add_nc_u64_e32 v[22:23], 1, v[22:23]
	s_wait_xcnt 0x0
	v_add_nc_u64_e32 v[26:27], 1, v[26:27]
	s_wait_loadcnt 0x0
	v_cmp_ne_u16_e32 vcc_lo, v24, v25
	v_cmp_eq_u16_e64 s2, v24, v25
	s_or_b32 s3, vcc_lo, s3
	s_delay_alu instid0(SALU_CYCLE_1) | instskip(NEXT) | instid1(SALU_CYCLE_1)
	s_and_b32 s3, exec_lo, s3
	s_or_b32 s5, s3, s5
	s_and_not1_b32 s7, s7, exec_lo
	s_and_b32 s17, s2, exec_lo
	s_mov_b64 s[2:3], s[20:21]
	s_or_b32 s7, s7, s17
	s_and_not1_b32 exec_lo, exec_lo, s5
	s_cbranch_execnz .LBB351_80
; %bb.81:
	s_or_b32 exec_lo, exec_lo, s5
	s_xor_b32 s2, s7, -1
.LBB351_82:
	s_delay_alu instid0(SALU_CYCLE_1)
	s_and_b32 s2, s2, exec_lo
.LBB351_83:
	s_or_b32 exec_lo, exec_lo, s4
	v_cndmask_b32_e64 v35, 0, 1, s6
	s_wait_dscnt 0x0
	v_or_b32_e32 v25, v31, v32
.LBB351_84:
	s_mov_b32 s6, -1
	s_cbranch_execnz .LBB351_41
.LBB351_85:
	v_lshlrev_b32_e32 v22, 5, v0
	v_cmp_gt_i64_e64 s7, s[18:19], 0
	s_and_b32 vcc_lo, exec_lo, s25
	v_sub_nc_u32_e32 v31, v28, v22
	ds_store_b64 v31, v[20:21]
	s_cbranch_vccz .LBB351_96
; %bb.86:
	s_and_not1_b32 vcc_lo, exec_lo, s7
	s_cbranch_vccnz .LBB351_97
; %bb.87:
	s_wait_kmcnt 0x0
	v_mad_nc_u64_u32 v[22:23], v12, s18, s[8:9]
	v_mad_nc_u64_u32 v[24:25], v20, s18, s[8:9]
	s_add_nc_u64 s[4:5], s[18:19], -1
	s_mov_b32 s20, 0
	s_mov_b64 s[2:3], s[4:5]
                                        ; implicit-def: $sgpr17
	s_delay_alu instid0(VALU_DEP_2) | instskip(NEXT) | instid1(VALU_DEP_2)
	v_mad_u32 v23, v13, s18, v23
	v_mad_u32 v25, v21, s18, v25
	s_delay_alu instid0(VALU_DEP_2) | instskip(NEXT) | instid1(VALU_DEP_2)
	v_mad_u32 v23, v12, s19, v23
	v_mad_u32 v25, v20, s19, v25
	s_wait_dscnt 0x1
	s_delay_alu instid0(VALU_DEP_2)
	v_mov_b64_e32 v[26:27], v[22:23]
.LBB351_88:                             ; =>This Inner Loop Header: Depth=1
	global_load_u8 v28, v[26:27], off
	global_load_u8 v29, v[24:25], off
	s_cmp_eq_u64 s[2:3], 0
	s_add_nc_u64 s[22:23], s[2:3], -1
	s_cselect_b32 s3, -1, 0
	s_wait_xcnt 0x1
	v_add_nc_u64_e32 v[26:27], 1, v[26:27]
	s_wait_xcnt 0x0
	v_add_nc_u64_e32 v[24:25], 1, v[24:25]
	s_wait_loadcnt 0x0
	v_cmp_ne_u16_e32 vcc_lo, v28, v29
	v_cmp_eq_u16_e64 s2, v28, v29
	s_or_b32 s3, vcc_lo, s3
	s_delay_alu instid0(SALU_CYCLE_1) | instskip(NEXT) | instid1(SALU_CYCLE_1)
	s_and_b32 s3, exec_lo, s3
	s_or_b32 s20, s3, s20
	s_and_not1_b32 s17, s17, exec_lo
	s_and_b32 s21, s2, exec_lo
	s_mov_b64 s[2:3], s[22:23]
	s_or_b32 s17, s17, s21
	s_and_not1_b32 exec_lo, exec_lo, s20
	s_cbranch_execnz .LBB351_88
; %bb.89:
	s_or_b32 exec_lo, exec_lo, s20
	v_mad_nc_u64_u32 v[24:25], v10, s18, s[8:9]
	s_mov_b32 s21, 0
	s_mov_b64 s[2:3], s[4:5]
                                        ; implicit-def: $sgpr20
	s_delay_alu instid0(VALU_DEP_1) | instskip(NEXT) | instid1(VALU_DEP_1)
	v_mad_u32 v25, v11, s18, v25
	v_mad_u32 v25, v10, s19, v25
	s_delay_alu instid0(VALU_DEP_1)
	v_mov_b64_e32 v[26:27], v[24:25]
.LBB351_90:                             ; =>This Inner Loop Header: Depth=1
	global_load_u8 v28, v[26:27], off
	global_load_u8 v29, v[22:23], off
	s_cmp_eq_u64 s[2:3], 0
	s_add_nc_u64 s[22:23], s[2:3], -1
	s_cselect_b32 s3, -1, 0
	s_wait_xcnt 0x1
	v_add_nc_u64_e32 v[26:27], 1, v[26:27]
	s_wait_xcnt 0x0
	v_add_nc_u64_e32 v[22:23], 1, v[22:23]
	s_wait_loadcnt 0x0
	v_cmp_ne_u16_e32 vcc_lo, v28, v29
	v_cmp_eq_u16_e64 s2, v28, v29
	s_or_b32 s3, vcc_lo, s3
	s_delay_alu instid0(SALU_CYCLE_1) | instskip(NEXT) | instid1(SALU_CYCLE_1)
	s_and_b32 s3, exec_lo, s3
	s_or_b32 s21, s3, s21
	s_and_not1_b32 s20, s20, exec_lo
	s_and_b32 s29, s2, exec_lo
	s_mov_b64 s[2:3], s[22:23]
	s_or_b32 s20, s20, s29
	s_and_not1_b32 exec_lo, exec_lo, s21
	s_cbranch_execnz .LBB351_90
; %bb.91:
	s_or_b32 exec_lo, exec_lo, s21
	v_mad_nc_u64_u32 v[22:23], v16, s18, s[8:9]
	s_mov_b32 s22, 0
	s_mov_b64 s[2:3], s[4:5]
                                        ; implicit-def: $sgpr21
	s_delay_alu instid0(VALU_DEP_1) | instskip(NEXT) | instid1(VALU_DEP_1)
	v_mad_u32 v23, v17, s18, v23
	v_mad_u32 v23, v16, s19, v23
	s_delay_alu instid0(VALU_DEP_1)
	v_mov_b64_e32 v[26:27], v[22:23]
.LBB351_92:                             ; =>This Inner Loop Header: Depth=1
	global_load_u8 v28, v[26:27], off
	global_load_u8 v29, v[24:25], off
	s_cmp_eq_u64 s[2:3], 0
	s_add_nc_u64 s[30:31], s[2:3], -1
	s_cselect_b32 s3, -1, 0
	s_wait_xcnt 0x1
	v_add_nc_u64_e32 v[26:27], 1, v[26:27]
	s_wait_xcnt 0x0
	v_add_nc_u64_e32 v[24:25], 1, v[24:25]
	s_wait_loadcnt 0x0
	v_cmp_ne_u16_e32 vcc_lo, v28, v29
	v_cmp_eq_u16_e64 s2, v28, v29
	s_or_b32 s3, vcc_lo, s3
	s_delay_alu instid0(SALU_CYCLE_1) | instskip(NEXT) | instid1(SALU_CYCLE_1)
	s_and_b32 s3, exec_lo, s3
	s_or_b32 s22, s3, s22
	s_and_not1_b32 s21, s21, exec_lo
	s_and_b32 s23, s2, exec_lo
	s_mov_b64 s[2:3], s[30:31]
	s_or_b32 s21, s21, s23
	s_and_not1_b32 exec_lo, exec_lo, s22
	s_cbranch_execnz .LBB351_92
; %bb.93:
	s_or_b32 exec_lo, exec_lo, s22
	v_mad_nc_u64_u32 v[24:25], v14, s18, s[8:9]
	s_mov_b32 s22, 0
                                        ; implicit-def: $sgpr3
	s_delay_alu instid0(VALU_DEP_1) | instskip(NEXT) | instid1(VALU_DEP_1)
	v_mad_u32 v25, v15, s18, v25
	v_mad_u32 v25, v14, s19, v25
.LBB351_94:                             ; =>This Inner Loop Header: Depth=1
	global_load_u8 v26, v[24:25], off
	global_load_u8 v27, v[22:23], off
	s_cmp_eq_u64 s[4:5], 0
	s_add_nc_u64 s[30:31], s[4:5], -1
	s_cselect_b32 s4, -1, 0
	s_wait_xcnt 0x1
	v_add_nc_u64_e32 v[24:25], 1, v[24:25]
	s_wait_xcnt 0x0
	v_add_nc_u64_e32 v[22:23], 1, v[22:23]
	s_wait_loadcnt 0x0
	v_cmp_ne_u16_e32 vcc_lo, v26, v27
	v_cmp_eq_u16_e64 s2, v26, v27
	s_or_b32 s4, vcc_lo, s4
	s_delay_alu instid0(SALU_CYCLE_1) | instskip(NEXT) | instid1(SALU_CYCLE_1)
	s_and_b32 s4, exec_lo, s4
	s_or_b32 s22, s4, s22
	s_and_not1_b32 s3, s3, exec_lo
	s_and_b32 s2, s2, exec_lo
	s_mov_b64 s[4:5], s[30:31]
	s_or_b32 s3, s3, s2
	s_and_not1_b32 exec_lo, exec_lo, s22
	s_cbranch_execnz .LBB351_94
; %bb.95:
	s_or_b32 exec_lo, exec_lo, s22
	s_xor_b32 s2, s20, -1
	s_delay_alu instid0(SALU_CYCLE_1) | instskip(SKIP_1) | instid1(SALU_CYCLE_1)
	v_cndmask_b32_e64 v22, 0, 1, s2
	s_xor_b32 s2, s21, -1
	v_cndmask_b32_e64 v23, 0, 1, s2
	s_xor_b32 s2, s17, -1
	s_delay_alu instid0(VALU_DEP_2) | instskip(SKIP_2) | instid1(VALU_DEP_2)
	v_lshlrev_b16 v22, 8, v22
	v_cndmask_b32_e64 v35, 0, 1, s2
	s_xor_b32 s2, s3, -1
	v_lshrrev_b32_e32 v22, 8, v22
	s_delay_alu instid0(VALU_DEP_1) | instskip(NEXT) | instid1(VALU_DEP_1)
	v_lshlrev_b16 v22, 8, v22
	v_or_b32_e32 v22, v23, v22
	s_delay_alu instid0(VALU_DEP_1)
	v_lshlrev_b32_e32 v22, 16, v22
	s_branch .LBB351_98
.LBB351_96:
	s_wait_kmcnt 0x0
                                        ; implicit-def: $sgpr2
                                        ; implicit-def: $vgpr35
                                        ; implicit-def: $vgpr25
                                        ; implicit-def: $vgpr24
                                        ; implicit-def: $vgpr23
                                        ; implicit-def: $vgpr36
                                        ; implicit-def: $vgpr22
	s_cbranch_execnz .LBB351_105
	s_branch .LBB351_138
.LBB351_97:
	v_dual_mov_b32 v22, 0 :: v_dual_mov_b32 v35, 0
	s_mov_b32 s2, 0
.LBB351_98:
	s_delay_alu instid0(VALU_DEP_1)
	v_dual_lshrrev_b32 v36, 16, v22 :: v_dual_lshrrev_b32 v22, 24, v22
	v_cndmask_b32_e64 v23, 0, 1, s2
	v_mov_b32_e32 v24, 1
	s_wait_kmcnt 0x0
	s_mov_b32 s4, 0
	s_wait_dscnt 0x0
	s_barrier_signal -1
	s_barrier_wait -1
                                        ; implicit-def: $sgpr2
                                        ; implicit-def: $vgpr25
	s_mov_b32 s3, exec_lo
	v_cmpx_ne_u32_e32 0, v0
	s_xor_b32 s5, exec_lo, s3
	s_cbranch_execz .LBB351_104
; %bb.99:
	v_lshlrev_b16 v25, 8, v22
	v_lshlrev_b16 v26, 8, v23
	s_and_not1_b32 vcc_lo, exec_lo, s7
	s_mov_b32 s2, 0
	s_delay_alu instid0(VALU_DEP_2) | instskip(NEXT) | instid1(VALU_DEP_1)
	v_bitop3_b16 v25, v36, v25, 0xff bitop3:0xec
	v_dual_lshlrev_b32 v25, 16, v25 :: v_dual_bitop2_b32 v26, 1, v26 bitop3:0x54
	s_delay_alu instid0(VALU_DEP_1) | instskip(NEXT) | instid1(VALU_DEP_1)
	v_and_b32_e32 v26, 0xffff, v26
	v_or_b32_e32 v25, v26, v25
	s_cbranch_vccnz .LBB351_103
; %bb.100:
	v_add_nc_u32_e32 v26, -8, v31
	v_mad_nc_u64_u32 v[28:29], v14, s18, s[8:9]
	s_add_nc_u64 s[2:3], s[18:19], -1
	s_mov_b32 s17, 0
                                        ; implicit-def: $sgpr20
	ds_load_b64 v[32:33], v26
	v_mad_u32 v29, v15, s18, v29
	s_delay_alu instid0(VALU_DEP_1) | instskip(SKIP_2) | instid1(VALU_DEP_1)
	v_mad_u32 v29, v14, s19, v29
	s_wait_dscnt 0x0
	v_mad_nc_u64_u32 v[26:27], v32, s18, s[8:9]
	v_mad_u32 v27, v33, s18, v27
	s_delay_alu instid0(VALU_DEP_1)
	v_mad_u32 v27, v32, s19, v27
.LBB351_101:                            ; =>This Inner Loop Header: Depth=1
	global_load_u8 v32, v[26:27], off
	global_load_u8 v33, v[28:29], off
	s_cmp_eq_u64 s[2:3], 0
	s_add_nc_u64 s[22:23], s[2:3], -1
	s_cselect_b32 s3, -1, 0
	s_wait_xcnt 0x1
	v_add_nc_u64_e32 v[26:27], 1, v[26:27]
	s_wait_xcnt 0x0
	v_add_nc_u64_e32 v[28:29], 1, v[28:29]
	s_wait_loadcnt 0x0
	v_cmp_ne_u16_e32 vcc_lo, v32, v33
	v_cmp_eq_u16_e64 s2, v32, v33
	s_or_b32 s3, vcc_lo, s3
	s_delay_alu instid0(SALU_CYCLE_1) | instskip(NEXT) | instid1(SALU_CYCLE_1)
	s_and_b32 s3, exec_lo, s3
	s_or_b32 s17, s3, s17
	s_and_not1_b32 s20, s20, exec_lo
	s_and_b32 s21, s2, exec_lo
	s_mov_b64 s[2:3], s[22:23]
	s_or_b32 s20, s20, s21
	s_and_not1_b32 exec_lo, exec_lo, s17
	s_cbranch_execnz .LBB351_101
; %bb.102:
	s_or_b32 exec_lo, exec_lo, s17
	s_xor_b32 s2, s20, -1
.LBB351_103:
	s_delay_alu instid0(VALU_DEP_1)
	v_perm_b32 v25, v25, v25, 0x3020104
	s_or_b32 s6, s6, exec_lo
.LBB351_104:
	s_or_b32 exec_lo, exec_lo, s5
	s_delay_alu instid0(SALU_CYCLE_1)
	s_and_b32 vcc_lo, exec_lo, s4
	s_cbranch_vccz .LBB351_138
.LBB351_105:
	v_add_nc_u32_e32 v22, 4, v30
	s_mov_b32 s4, 0
	s_mov_b32 s5, 0
	s_mov_b32 s17, exec_lo
	s_delay_alu instid0(VALU_DEP_1)
	v_cmpx_gt_u32_e64 s27, v22
	s_cbranch_execz .LBB351_111
; %bb.106:
	s_and_not1_b32 vcc_lo, exec_lo, s7
	s_mov_b32 s2, 0
	s_cbranch_vccnz .LBB351_110
; %bb.107:
	v_mad_nc_u64_u32 v[22:23], v12, s18, s[8:9]
	v_mad_nc_u64_u32 v[24:25], v20, s18, s[8:9]
	s_add_nc_u64 s[2:3], s[18:19], -1
                                        ; implicit-def: $sgpr20
	s_delay_alu instid0(VALU_DEP_2) | instskip(NEXT) | instid1(VALU_DEP_2)
	v_mad_u32 v23, v13, s18, v23
	v_mad_u32 v25, v21, s18, v25
	s_delay_alu instid0(VALU_DEP_2) | instskip(NEXT) | instid1(VALU_DEP_2)
	v_mad_u32 v23, v12, s19, v23
	v_mad_u32 v25, v20, s19, v25
.LBB351_108:                            ; =>This Inner Loop Header: Depth=1
	s_wait_dscnt 0x1
	global_load_u8 v26, v[22:23], off
	global_load_u8 v27, v[24:25], off
	s_cmp_eq_u64 s[2:3], 0
	s_add_nc_u64 s[22:23], s[2:3], -1
	s_cselect_b32 s3, -1, 0
	s_wait_xcnt 0x1
	v_add_nc_u64_e32 v[22:23], 1, v[22:23]
	s_wait_xcnt 0x0
	v_add_nc_u64_e32 v[24:25], 1, v[24:25]
	s_wait_loadcnt 0x0
	v_cmp_ne_u16_e32 vcc_lo, v26, v27
	v_cmp_eq_u16_e64 s2, v26, v27
	s_or_b32 s3, vcc_lo, s3
	s_delay_alu instid0(SALU_CYCLE_1) | instskip(NEXT) | instid1(SALU_CYCLE_1)
	s_and_b32 s3, exec_lo, s3
	s_or_b32 s5, s3, s5
	s_and_not1_b32 s20, s20, exec_lo
	s_and_b32 s21, s2, exec_lo
	s_mov_b64 s[2:3], s[22:23]
	s_or_b32 s20, s20, s21
	s_and_not1_b32 exec_lo, exec_lo, s5
	s_cbranch_execnz .LBB351_108
; %bb.109:
	s_or_b32 exec_lo, exec_lo, s5
	s_xor_b32 s2, s20, -1
.LBB351_110:
	s_delay_alu instid0(SALU_CYCLE_1)
	s_and_b32 s5, s2, exec_lo
.LBB351_111:
	s_or_b32 exec_lo, exec_lo, s17
	v_add_nc_u32_e32 v22, 3, v30
	s_mov_b32 s17, exec_lo
	s_delay_alu instid0(VALU_DEP_1)
	v_cmpx_gt_u32_e64 s27, v22
	s_cbranch_execz .LBB351_117
; %bb.112:
	s_and_not1_b32 vcc_lo, exec_lo, s7
	s_mov_b32 s2, 0
	s_cbranch_vccnz .LBB351_116
; %bb.113:
	v_mad_nc_u64_u32 v[22:23], v10, s18, s[8:9]
	v_mad_nc_u64_u32 v[24:25], v12, s18, s[8:9]
	s_add_nc_u64 s[2:3], s[18:19], -1
	s_mov_b32 s4, 0
                                        ; implicit-def: $sgpr20
	s_delay_alu instid0(VALU_DEP_2) | instskip(NEXT) | instid1(VALU_DEP_2)
	v_mad_u32 v23, v11, s18, v23
	v_mad_u32 v25, v13, s18, v25
	s_delay_alu instid0(VALU_DEP_2) | instskip(NEXT) | instid1(VALU_DEP_2)
	v_mad_u32 v23, v10, s19, v23
	v_mad_u32 v25, v12, s19, v25
.LBB351_114:                            ; =>This Inner Loop Header: Depth=1
	s_wait_dscnt 0x1
	global_load_u8 v26, v[22:23], off
	global_load_u8 v27, v[24:25], off
	s_cmp_eq_u64 s[2:3], 0
	s_add_nc_u64 s[22:23], s[2:3], -1
	s_cselect_b32 s3, -1, 0
	s_wait_xcnt 0x1
	v_add_nc_u64_e32 v[22:23], 1, v[22:23]
	s_wait_xcnt 0x0
	v_add_nc_u64_e32 v[24:25], 1, v[24:25]
	s_wait_loadcnt 0x0
	v_cmp_ne_u16_e32 vcc_lo, v26, v27
	v_cmp_eq_u16_e64 s2, v26, v27
	s_or_b32 s3, vcc_lo, s3
	s_delay_alu instid0(SALU_CYCLE_1) | instskip(NEXT) | instid1(SALU_CYCLE_1)
	s_and_b32 s3, exec_lo, s3
	s_or_b32 s4, s3, s4
	s_and_not1_b32 s20, s20, exec_lo
	s_and_b32 s21, s2, exec_lo
	s_mov_b64 s[2:3], s[22:23]
	s_or_b32 s20, s20, s21
	s_and_not1_b32 exec_lo, exec_lo, s4
	s_cbranch_execnz .LBB351_114
; %bb.115:
	s_or_b32 exec_lo, exec_lo, s4
	s_xor_b32 s2, s20, -1
.LBB351_116:
	s_delay_alu instid0(SALU_CYCLE_1)
	s_and_b32 s4, s2, exec_lo
.LBB351_117:
	s_or_b32 exec_lo, exec_lo, s17
	v_add_nc_u32_e32 v22, 2, v30
	s_mov_b32 s17, 0
	s_mov_b32 s20, 0
	s_mov_b32 s21, exec_lo
	s_delay_alu instid0(VALU_DEP_1)
	v_cmpx_gt_u32_e64 s27, v22
	s_cbranch_execz .LBB351_123
; %bb.118:
	s_and_not1_b32 vcc_lo, exec_lo, s7
	s_mov_b32 s2, 0
	s_cbranch_vccnz .LBB351_122
; %bb.119:
	v_mad_nc_u64_u32 v[22:23], v16, s18, s[8:9]
	v_mad_nc_u64_u32 v[24:25], v10, s18, s[8:9]
	s_add_nc_u64 s[2:3], s[18:19], -1
                                        ; implicit-def: $sgpr22
	s_delay_alu instid0(VALU_DEP_2) | instskip(NEXT) | instid1(VALU_DEP_2)
	v_mad_u32 v23, v17, s18, v23
	v_mad_u32 v25, v11, s18, v25
	s_delay_alu instid0(VALU_DEP_2) | instskip(NEXT) | instid1(VALU_DEP_2)
	v_mad_u32 v23, v16, s19, v23
	v_mad_u32 v25, v10, s19, v25
.LBB351_120:                            ; =>This Inner Loop Header: Depth=1
	s_wait_dscnt 0x1
	global_load_u8 v26, v[22:23], off
	global_load_u8 v27, v[24:25], off
	s_cmp_eq_u64 s[2:3], 0
	s_add_nc_u64 s[30:31], s[2:3], -1
	s_cselect_b32 s3, -1, 0
	s_wait_xcnt 0x1
	v_add_nc_u64_e32 v[22:23], 1, v[22:23]
	s_wait_xcnt 0x0
	v_add_nc_u64_e32 v[24:25], 1, v[24:25]
	s_wait_loadcnt 0x0
	v_cmp_ne_u16_e32 vcc_lo, v26, v27
	v_cmp_eq_u16_e64 s2, v26, v27
	s_or_b32 s3, vcc_lo, s3
	s_delay_alu instid0(SALU_CYCLE_1) | instskip(NEXT) | instid1(SALU_CYCLE_1)
	s_and_b32 s3, exec_lo, s3
	s_or_b32 s20, s3, s20
	s_and_not1_b32 s22, s22, exec_lo
	s_and_b32 s23, s2, exec_lo
	s_mov_b64 s[2:3], s[30:31]
	s_or_b32 s22, s22, s23
	s_and_not1_b32 exec_lo, exec_lo, s20
	s_cbranch_execnz .LBB351_120
; %bb.121:
	s_or_b32 exec_lo, exec_lo, s20
	s_xor_b32 s2, s22, -1
.LBB351_122:
	s_delay_alu instid0(SALU_CYCLE_1)
	s_and_b32 s20, s2, exec_lo
.LBB351_123:
	s_or_b32 exec_lo, exec_lo, s21
	v_add_nc_u32_e32 v22, 1, v30
	s_mov_b32 s21, exec_lo
	s_delay_alu instid0(VALU_DEP_1)
	v_cmpx_gt_u32_e64 s27, v22
	s_cbranch_execz .LBB351_129
; %bb.124:
	s_and_not1_b32 vcc_lo, exec_lo, s7
	s_mov_b32 s2, 0
	s_cbranch_vccnz .LBB351_128
; %bb.125:
	v_mad_nc_u64_u32 v[22:23], v14, s18, s[8:9]
	v_mad_nc_u64_u32 v[24:25], v16, s18, s[8:9]
	s_add_nc_u64 s[2:3], s[18:19], -1
	s_mov_b32 s17, 0
                                        ; implicit-def: $sgpr22
	s_delay_alu instid0(VALU_DEP_2) | instskip(NEXT) | instid1(VALU_DEP_2)
	v_mad_u32 v23, v15, s18, v23
	v_mad_u32 v25, v17, s18, v25
	s_delay_alu instid0(VALU_DEP_2) | instskip(NEXT) | instid1(VALU_DEP_2)
	v_mad_u32 v23, v14, s19, v23
	v_mad_u32 v25, v16, s19, v25
.LBB351_126:                            ; =>This Inner Loop Header: Depth=1
	s_wait_dscnt 0x1
	global_load_u8 v26, v[22:23], off
	global_load_u8 v27, v[24:25], off
	s_cmp_eq_u64 s[2:3], 0
	s_add_nc_u64 s[30:31], s[2:3], -1
	s_cselect_b32 s3, -1, 0
	s_wait_xcnt 0x1
	v_add_nc_u64_e32 v[22:23], 1, v[22:23]
	s_wait_xcnt 0x0
	v_add_nc_u64_e32 v[24:25], 1, v[24:25]
	s_wait_loadcnt 0x0
	v_cmp_ne_u16_e32 vcc_lo, v26, v27
	v_cmp_eq_u16_e64 s2, v26, v27
	s_or_b32 s3, vcc_lo, s3
	s_delay_alu instid0(SALU_CYCLE_1) | instskip(NEXT) | instid1(SALU_CYCLE_1)
	s_and_b32 s3, exec_lo, s3
	s_or_b32 s17, s3, s17
	s_and_not1_b32 s22, s22, exec_lo
	s_and_b32 s23, s2, exec_lo
	s_mov_b64 s[2:3], s[30:31]
	s_or_b32 s22, s22, s23
	s_and_not1_b32 exec_lo, exec_lo, s17
	s_cbranch_execnz .LBB351_126
; %bb.127:
	s_or_b32 exec_lo, exec_lo, s17
	s_xor_b32 s2, s22, -1
.LBB351_128:
	s_delay_alu instid0(SALU_CYCLE_1)
	s_and_b32 s17, s2, exec_lo
.LBB351_129:
	s_or_b32 exec_lo, exec_lo, s21
	v_cndmask_b32_e64 v35, 0, 1, s5
	v_cndmask_b32_e64 v36, 0, 1, s20
	;; [unrolled: 1-line block ×4, first 2 shown]
	v_mov_b32_e32 v24, 1
	s_mov_b32 s2, 0
	s_mov_b32 s4, exec_lo
	s_wait_dscnt 0x0
	s_barrier_signal -1
	s_barrier_wait -1
                                        ; implicit-def: $vgpr25
	v_cmpx_ne_u32_e32 0, v0
	s_cbranch_execz .LBB351_137
; %bb.130:
	v_lshlrev_b16 v25, 8, v23
	v_lshlrev_b16 v26, 8, v22
	s_mov_b32 s5, exec_lo
	s_delay_alu instid0(VALU_DEP_1) | instskip(NEXT) | instid1(VALU_DEP_1)
	v_or_b32_e32 v26, v36, v26
	v_dual_lshlrev_b32 v26, 16, v26 :: v_dual_bitop2_b32 v25, 1, v25 bitop3:0x54
	s_delay_alu instid0(VALU_DEP_1) | instskip(NEXT) | instid1(VALU_DEP_1)
	v_and_b32_e32 v25, 0xffff, v25
	v_or_b32_e32 v25, v25, v26
	v_cmpx_gt_u32_e64 s27, v30
	s_cbranch_execz .LBB351_136
; %bb.131:
	s_and_not1_b32 vcc_lo, exec_lo, s7
	s_cbranch_vccnz .LBB351_135
; %bb.132:
	v_add_nc_u32_e32 v26, -8, v31
	v_mad_nc_u64_u32 v[28:29], v14, s18, s[8:9]
	s_add_nc_u64 s[2:3], s[18:19], -1
	s_mov_b32 s7, 0
	ds_load_b64 v[32:33], v26
	v_mad_u32 v29, v15, s18, v29
	s_delay_alu instid0(VALU_DEP_1) | instskip(SKIP_2) | instid1(VALU_DEP_1)
	v_mad_u32 v29, v14, s19, v29
	s_wait_dscnt 0x0
	v_mad_nc_u64_u32 v[26:27], v32, s18, s[8:9]
                                        ; implicit-def: $sgpr8
	v_mad_u32 v27, v33, s18, v27
	s_delay_alu instid0(VALU_DEP_1)
	v_mad_u32 v27, v32, s19, v27
.LBB351_133:                            ; =>This Inner Loop Header: Depth=1
	global_load_u8 v31, v[26:27], off
	global_load_u8 v32, v[28:29], off
	s_cmp_eq_u64 s[2:3], 0
	s_add_nc_u64 s[18:19], s[2:3], -1
	s_cselect_b32 s3, -1, 0
	s_wait_xcnt 0x1
	v_add_nc_u64_e32 v[26:27], 1, v[26:27]
	s_wait_xcnt 0x0
	v_add_nc_u64_e32 v[28:29], 1, v[28:29]
	s_wait_loadcnt 0x0
	v_cmp_ne_u16_e32 vcc_lo, v31, v32
	v_cmp_eq_u16_e64 s2, v31, v32
	s_or_b32 s3, vcc_lo, s3
	s_delay_alu instid0(SALU_CYCLE_1) | instskip(NEXT) | instid1(SALU_CYCLE_1)
	s_and_b32 s3, exec_lo, s3
	s_or_b32 s7, s3, s7
	s_and_not1_b32 s8, s8, exec_lo
	s_and_b32 s9, s2, exec_lo
	s_mov_b64 s[2:3], s[18:19]
	s_or_b32 s8, s8, s9
	s_and_not1_b32 exec_lo, exec_lo, s7
	s_cbranch_execnz .LBB351_133
; %bb.134:
	s_or_b32 exec_lo, exec_lo, s7
	s_xor_b32 s2, s8, -1
.LBB351_135:
	s_delay_alu instid0(SALU_CYCLE_1)
	s_and_b32 s2, s2, exec_lo
.LBB351_136:
	s_or_b32 exec_lo, exec_lo, s5
	s_delay_alu instid0(VALU_DEP_2)
	v_perm_b32 v25, v25, v25, 0x3020104
	s_or_b32 s6, s6, exec_lo
.LBB351_137:
	s_or_b32 exec_lo, exec_lo, s4
.LBB351_138:
	s_and_saveexec_b32 s3, s6
; %bb.139:
	s_delay_alu instid0(VALU_DEP_1)
	v_dual_lshrrev_b32 v22, 24, v25 :: v_dual_lshrrev_b32 v36, 16, v25
	v_lshrrev_b32_e32 v23, 8, v25
	v_cndmask_b32_e64 v24, 0, 1, s2
; %bb.140:
	s_or_b32 exec_lo, exec_lo, s3
	s_delay_alu instid0(SALU_CYCLE_1)
	s_and_not1_b32 vcc_lo, exec_lo, s28
	s_cbranch_vccnz .LBB351_144
; %bb.141:
	s_delay_alu instid0(VALU_DEP_1)
	v_perm_b32 v23, v24, v23, 0xc0c0004
	v_perm_b32 v22, v36, v22, 0xc0c0004
	v_cmp_gt_u32_e32 vcc_lo, s27, v30
	s_wait_dscnt 0x0
	v_dual_add_nc_u32 v24, 1, v30 :: v_dual_add_nc_u32 v26, 4, v30
	v_and_b32_e32 v35, 0xff, v35
	v_lshl_or_b32 v22, v22, 16, v23
	s_mov_b32 s2, exec_lo
	s_delay_alu instid0(VALU_DEP_2) | instskip(NEXT) | instid1(VALU_DEP_2)
	v_and_b32_e32 v25, 0xffff, v35
	v_cndmask_b32_e32 v23, 0, v22, vcc_lo
	v_cmp_gt_u32_e32 vcc_lo, s27, v24
	v_add_nc_u32_e32 v24, 2, v30
	s_delay_alu instid0(VALU_DEP_3) | instskip(NEXT) | instid1(VALU_DEP_1)
	v_and_b32_e32 v23, 0xff, v23
	v_cndmask_b32_e32 v23, v23, v22, vcc_lo
	s_delay_alu instid0(VALU_DEP_3) | instskip(SKIP_1) | instid1(VALU_DEP_3)
	v_cmp_gt_u32_e32 vcc_lo, s27, v24
	v_add_nc_u32_e32 v24, 3, v30
	v_and_b32_e32 v23, 0xffff, v23
	s_delay_alu instid0(VALU_DEP_1) | instskip(NEXT) | instid1(VALU_DEP_3)
	v_cndmask_b32_e32 v23, v23, v22, vcc_lo
	v_cmp_gt_u32_e32 vcc_lo, s27, v24
	s_delay_alu instid0(VALU_DEP_2) | instskip(NEXT) | instid1(VALU_DEP_1)
	v_and_b32_e32 v23, 0xffffff, v23
	v_cndmask_b32_e32 v24, v23, v22, vcc_lo
	s_delay_alu instid0(VALU_DEP_1)
	v_lshrrev_b64 v[22:23], 24, v[24:25]
	v_dual_lshrrev_b32 v36, 16, v24 :: v_dual_lshrrev_b32 v23, 8, v24
	v_cmpx_le_u32_e64 s27, v26
; %bb.142:
	v_mov_b32_e32 v35, 0
; %bb.143:
	s_or_b32 exec_lo, exec_lo, s2
.LBB351_144:
	s_delay_alu instid0(VALU_DEP_1)
	v_and_b32_e32 v25, 0xff, v24
	v_and_b32_e32 v37, 0xff, v23
	;; [unrolled: 1-line block ×3, first 2 shown]
	v_mbcnt_lo_u32_b32 v40, -1, 0
	v_and_b32_e32 v39, 0xff, v22
	s_wait_dscnt 0x0
	v_and_b32_e32 v26, 0xff, v35
	s_wait_kmcnt 0x0
	v_readfirstlane_b32 s8, v0
	v_add3_u32 v27, v37, v25, v38
	v_and_b32_e32 v28, 15, v40
	s_and_b32 vcc_lo, exec_lo, s16
	v_lshrrev_b32_e32 v41, 5, v0
	s_mov_b32 s9, -1
	v_add3_u32 v42, v27, v39, v26
	v_and_b32_e32 v26, 16, v40
	v_or_b32_e32 v27, 31, v0
	v_cmp_eq_u32_e64 s4, 0, v28
	v_cmp_lt_u32_e64 s6, 1, v28
	v_cmp_lt_u32_e64 s7, 3, v28
	;; [unrolled: 1-line block ×3, first 2 shown]
	v_cmp_eq_u32_e64 s3, 0, v26
	v_cmp_eq_u32_e64 s2, v0, v27
	s_barrier_signal -1
	s_barrier_wait -1
                                        ; implicit-def: $vgpr28
                                        ; implicit-def: $vgpr29
                                        ; implicit-def: $vgpr30
                                        ; implicit-def: $vgpr31
                                        ; implicit-def: $vgpr32
                                        ; implicit-def: $vgpr26
	s_cbranch_vccz .LBB351_171
; %bb.145:
	v_mov_b32_dpp v26, v42 row_shr:1 row_mask:0xf bank_mask:0xf
	s_delay_alu instid0(VALU_DEP_1) | instskip(NEXT) | instid1(VALU_DEP_1)
	v_cndmask_b32_e64 v26, v26, 0, s4
	v_add_nc_u32_e32 v26, v26, v42
	s_delay_alu instid0(VALU_DEP_1) | instskip(NEXT) | instid1(VALU_DEP_1)
	v_mov_b32_dpp v27, v26 row_shr:2 row_mask:0xf bank_mask:0xf
	v_cndmask_b32_e64 v27, 0, v27, s6
	s_delay_alu instid0(VALU_DEP_1) | instskip(NEXT) | instid1(VALU_DEP_1)
	v_add_nc_u32_e32 v26, v26, v27
	v_mov_b32_dpp v27, v26 row_shr:4 row_mask:0xf bank_mask:0xf
	s_delay_alu instid0(VALU_DEP_1) | instskip(NEXT) | instid1(VALU_DEP_1)
	v_cndmask_b32_e64 v27, 0, v27, s7
	v_add_nc_u32_e32 v26, v26, v27
	s_delay_alu instid0(VALU_DEP_1) | instskip(NEXT) | instid1(VALU_DEP_1)
	v_mov_b32_dpp v27, v26 row_shr:8 row_mask:0xf bank_mask:0xf
	v_cndmask_b32_e64 v27, 0, v27, s5
	s_delay_alu instid0(VALU_DEP_1) | instskip(SKIP_3) | instid1(VALU_DEP_1)
	v_add_nc_u32_e32 v26, v26, v27
	ds_swizzle_b32 v27, v26 offset:swizzle(BROADCAST,32,15)
	s_wait_dscnt 0x0
	v_cndmask_b32_e64 v27, v27, 0, s3
	v_add_nc_u32_e32 v26, v26, v27
	s_and_saveexec_b32 s8, s2
; %bb.146:
	v_lshlrev_b32_e32 v27, 2, v41
	ds_store_b32 v27, v26
; %bb.147:
	s_or_b32 exec_lo, exec_lo, s8
	s_delay_alu instid0(SALU_CYCLE_1)
	s_mov_b32 s8, exec_lo
	s_wait_dscnt 0x0
	s_barrier_signal -1
	s_barrier_wait -1
	v_cmpx_gt_u32_e32 4, v0
	s_cbranch_execz .LBB351_149
; %bb.148:
	v_and_b32_e32 v29, 3, v40
	s_delay_alu instid0(VALU_DEP_1) | instskip(SKIP_4) | instid1(VALU_DEP_1)
	v_cmp_ne_u32_e32 vcc_lo, 0, v29
	v_lshlrev_b32_e32 v27, 2, v0
	ds_load_b32 v28, v27
	s_wait_dscnt 0x0
	v_mov_b32_dpp v30, v28 row_shr:1 row_mask:0xf bank_mask:0xf
	v_cndmask_b32_e32 v30, 0, v30, vcc_lo
	v_cmp_lt_u32_e32 vcc_lo, 1, v29
	s_delay_alu instid0(VALU_DEP_2) | instskip(NEXT) | instid1(VALU_DEP_1)
	v_add_nc_u32_e32 v28, v30, v28
	v_mov_b32_dpp v30, v28 row_shr:2 row_mask:0xf bank_mask:0xf
	s_delay_alu instid0(VALU_DEP_1) | instskip(NEXT) | instid1(VALU_DEP_1)
	v_cndmask_b32_e32 v29, 0, v30, vcc_lo
	v_add_nc_u32_e32 v28, v28, v29
	ds_store_b32 v27, v28
.LBB351_149:
	s_or_b32 exec_lo, exec_lo, s8
	s_delay_alu instid0(SALU_CYCLE_1)
	s_mov_b32 s9, exec_lo
	v_cmp_gt_u32_e32 vcc_lo, 32, v0
	s_wait_dscnt 0x0
	s_barrier_signal -1
	s_barrier_wait -1
                                        ; implicit-def: $vgpr43
	v_cmpx_lt_u32_e32 31, v0
	s_cbranch_execz .LBB351_151
; %bb.150:
	v_lshl_add_u32 v27, v41, 2, -4
	ds_load_b32 v43, v27
	s_wait_dscnt 0x0
	v_add_nc_u32_e32 v26, v43, v26
.LBB351_151:
	s_or_b32 exec_lo, exec_lo, s9
	v_sub_co_u32 v27, s8, v40, 1
	s_delay_alu instid0(VALU_DEP_1) | instskip(NEXT) | instid1(VALU_DEP_1)
	v_cmp_gt_i32_e64 s9, 0, v27
	v_cndmask_b32_e64 v27, v27, v40, s9
	s_delay_alu instid0(VALU_DEP_1)
	v_lshlrev_b32_e32 v27, 2, v27
	ds_bpermute_b32 v44, v27, v26
	s_and_saveexec_b32 s9, vcc_lo
	s_cbranch_execz .LBB351_170
; %bb.152:
	v_mov_b32_e32 v33, 0
	ds_load_b32 v26, v33 offset:12
	s_and_saveexec_b32 s16, s8
	s_cbranch_execz .LBB351_154
; %bb.153:
	s_add_co_i32 s17, s26, 32
	s_delay_alu instid0(SALU_CYCLE_1)
	v_dual_mov_b32 v27, 1 :: v_dual_mov_b32 v28, s17
	s_wait_dscnt 0x0
	global_store_b64 v28, v[26:27], s[10:11] scale_offset scope:SCOPE_DEV
.LBB351_154:
	s_wait_xcnt 0x0
	s_or_b32 exec_lo, exec_lo, s16
	v_xad_u32 v28, v40, -1, s26
	s_mov_b32 s17, 0
	s_mov_b32 s16, exec_lo
	s_delay_alu instid0(VALU_DEP_1) | instskip(SKIP_4) | instid1(VALU_DEP_1)
	v_add_nc_u32_e32 v32, 32, v28
	global_load_b64 v[30:31], v32, s[10:11] scale_offset scope:SCOPE_DEV
	s_wait_loadcnt 0x0
	v_and_b32_e32 v27, 0xff, v31
	s_wait_xcnt 0x0
	v_cmpx_eq_u16_e32 0, v27
	s_cbranch_execz .LBB351_158
; %bb.155:
	v_lshl_add_u64 v[32:33], v[32:33], 3, s[10:11]
.LBB351_156:                            ; =>This Inner Loop Header: Depth=1
	global_load_b64 v[30:31], v[32:33], off scope:SCOPE_DEV
	s_wait_loadcnt 0x0
	v_and_b32_e32 v27, 0xff, v31
	s_delay_alu instid0(VALU_DEP_1)
	v_cmp_ne_u16_e32 vcc_lo, 0, v27
	s_or_b32 s17, vcc_lo, s17
	s_wait_xcnt 0x0
	s_and_not1_b32 exec_lo, exec_lo, s17
	s_cbranch_execnz .LBB351_156
; %bb.157:
	s_or_b32 exec_lo, exec_lo, s17
.LBB351_158:
	s_delay_alu instid0(SALU_CYCLE_1)
	s_or_b32 exec_lo, exec_lo, s16
	v_cmp_ne_u32_e32 vcc_lo, 31, v40
	v_lshlrev_b32_e64 v46, v40, -1
	v_lshl_or_b32 v53, v40, 2, 64
	v_dual_add_nc_u32 v48, 2, v40 :: v_dual_add_nc_u32 v50, 4, v40
	v_add_co_ci_u32_e64 v27, null, 0, v40, vcc_lo
	v_dual_add_nc_u32 v52, 8, v40 :: v_dual_add_nc_u32 v54, 16, v40
	s_delay_alu instid0(VALU_DEP_2)
	v_lshlrev_b32_e32 v45, 2, v27
	v_and_b32_e32 v27, 0xff, v31
	ds_bpermute_b32 v29, v45, v30
	v_cmp_eq_u16_e32 vcc_lo, 2, v27
	v_and_or_b32 v27, vcc_lo, v46, 0x80000000
	v_cmp_gt_u32_e32 vcc_lo, 30, v40
	s_delay_alu instid0(VALU_DEP_2) | instskip(SKIP_1) | instid1(VALU_DEP_2)
	v_ctz_i32_b32_e32 v27, v27
	v_cndmask_b32_e64 v32, 0, 2, vcc_lo
	v_cmp_lt_u32_e32 vcc_lo, v40, v27
	s_delay_alu instid0(VALU_DEP_2) | instskip(SKIP_3) | instid1(VALU_DEP_2)
	v_add_lshl_u32 v47, v32, v40, 2
	s_wait_dscnt 0x0
	v_cndmask_b32_e32 v29, 0, v29, vcc_lo
	v_cmp_gt_u32_e32 vcc_lo, 28, v40
	v_add_nc_u32_e32 v29, v29, v30
	v_cndmask_b32_e64 v32, 0, 4, vcc_lo
	v_cmp_le_u32_e32 vcc_lo, v48, v27
	ds_bpermute_b32 v30, v47, v29
	v_add_lshl_u32 v49, v32, v40, 2
	s_wait_dscnt 0x0
	v_cndmask_b32_e32 v30, 0, v30, vcc_lo
	v_cmp_gt_u32_e32 vcc_lo, 24, v40
	v_cndmask_b32_e64 v32, 0, 8, vcc_lo
	v_cmp_le_u32_e32 vcc_lo, v50, v27
	s_delay_alu instid0(VALU_DEP_4) | instskip(NEXT) | instid1(VALU_DEP_3)
	v_add_nc_u32_e32 v29, v29, v30
	v_add_lshl_u32 v51, v32, v40, 2
	ds_bpermute_b32 v30, v49, v29
	s_wait_dscnt 0x0
	v_cndmask_b32_e32 v30, 0, v30, vcc_lo
	v_cmp_le_u32_e32 vcc_lo, v52, v27
	s_delay_alu instid0(VALU_DEP_2) | instskip(SKIP_4) | instid1(VALU_DEP_2)
	v_add_nc_u32_e32 v29, v29, v30
	ds_bpermute_b32 v30, v51, v29
	s_wait_dscnt 0x0
	v_cndmask_b32_e32 v30, 0, v30, vcc_lo
	v_cmp_le_u32_e32 vcc_lo, v54, v27
	v_add_nc_u32_e32 v29, v29, v30
	ds_bpermute_b32 v30, v53, v29
	s_wait_dscnt 0x0
	v_cndmask_b32_e32 v27, 0, v30, vcc_lo
	s_delay_alu instid0(VALU_DEP_1)
	v_dual_mov_b32 v29, 0 :: v_dual_add_nc_u32 v30, v29, v27
	s_branch .LBB351_161
.LBB351_159:                            ;   in Loop: Header=BB351_161 Depth=1
	s_or_b32 exec_lo, exec_lo, s16
	v_and_b32_e32 v32, 0xff, v31
	ds_bpermute_b32 v33, v45, v30
	v_subrev_nc_u32_e32 v28, 32, v28
	s_mov_b32 s16, 0
	v_cmp_eq_u16_e32 vcc_lo, 2, v32
	v_and_or_b32 v32, vcc_lo, v46, 0x80000000
	s_delay_alu instid0(VALU_DEP_1) | instskip(NEXT) | instid1(VALU_DEP_1)
	v_ctz_i32_b32_e32 v32, v32
	v_cmp_lt_u32_e32 vcc_lo, v40, v32
	s_wait_dscnt 0x0
	v_cndmask_b32_e32 v33, 0, v33, vcc_lo
	v_cmp_le_u32_e32 vcc_lo, v48, v32
	s_delay_alu instid0(VALU_DEP_2) | instskip(SKIP_4) | instid1(VALU_DEP_2)
	v_add_nc_u32_e32 v30, v33, v30
	ds_bpermute_b32 v33, v47, v30
	s_wait_dscnt 0x0
	v_cndmask_b32_e32 v33, 0, v33, vcc_lo
	v_cmp_le_u32_e32 vcc_lo, v50, v32
	v_add_nc_u32_e32 v30, v30, v33
	ds_bpermute_b32 v33, v49, v30
	s_wait_dscnt 0x0
	v_cndmask_b32_e32 v33, 0, v33, vcc_lo
	v_cmp_le_u32_e32 vcc_lo, v52, v32
	s_delay_alu instid0(VALU_DEP_2) | instskip(SKIP_4) | instid1(VALU_DEP_2)
	v_add_nc_u32_e32 v30, v30, v33
	ds_bpermute_b32 v33, v51, v30
	s_wait_dscnt 0x0
	v_cndmask_b32_e32 v33, 0, v33, vcc_lo
	v_cmp_le_u32_e32 vcc_lo, v54, v32
	v_add_nc_u32_e32 v30, v30, v33
	ds_bpermute_b32 v33, v53, v30
	s_wait_dscnt 0x0
	v_cndmask_b32_e32 v32, 0, v33, vcc_lo
	s_delay_alu instid0(VALU_DEP_1)
	v_add3_u32 v30, v32, v27, v30
.LBB351_160:                            ;   in Loop: Header=BB351_161 Depth=1
	s_and_b32 vcc_lo, exec_lo, s16
	s_cbranch_vccnz .LBB351_166
.LBB351_161:                            ; =>This Loop Header: Depth=1
                                        ;     Child Loop BB351_164 Depth 2
	v_and_b32_e32 v27, 0xff, v31
	s_mov_b32 s16, -1
                                        ; implicit-def: $vgpr31
	s_delay_alu instid0(VALU_DEP_1)
	v_cmp_ne_u16_e32 vcc_lo, 2, v27
	v_mov_b32_e32 v27, v30
                                        ; implicit-def: $vgpr30
	s_cmp_lg_u32 vcc_lo, exec_lo
	s_cbranch_scc1 .LBB351_160
; %bb.162:                              ;   in Loop: Header=BB351_161 Depth=1
	global_load_b64 v[30:31], v28, s[10:11] scale_offset scope:SCOPE_DEV
	s_mov_b32 s16, exec_lo
	s_wait_loadcnt 0x0
	v_and_b32_e32 v32, 0xff, v31
	s_wait_xcnt 0x0
	s_delay_alu instid0(VALU_DEP_1)
	v_cmpx_eq_u16_e32 0, v32
	s_cbranch_execz .LBB351_159
; %bb.163:                              ;   in Loop: Header=BB351_161 Depth=1
	v_lshl_add_u64 v[32:33], v[28:29], 3, s[10:11]
	s_mov_b32 s17, 0
.LBB351_164:                            ;   Parent Loop BB351_161 Depth=1
                                        ; =>  This Inner Loop Header: Depth=2
	global_load_b64 v[30:31], v[32:33], off scope:SCOPE_DEV
	s_wait_loadcnt 0x0
	v_and_b32_e32 v55, 0xff, v31
	s_delay_alu instid0(VALU_DEP_1)
	v_cmp_ne_u16_e32 vcc_lo, 0, v55
	s_or_b32 s17, vcc_lo, s17
	s_wait_xcnt 0x0
	s_and_not1_b32 exec_lo, exec_lo, s17
	s_cbranch_execnz .LBB351_164
; %bb.165:                              ;   in Loop: Header=BB351_161 Depth=1
	s_or_b32 exec_lo, exec_lo, s17
	s_branch .LBB351_159
.LBB351_166:
	s_and_saveexec_b32 s16, s8
	s_cbranch_execz .LBB351_168
; %bb.167:
	s_add_co_i32 s17, s26, 32
	v_dual_mov_b32 v29, 2 :: v_dual_add_nc_u32 v28, v27, v26
	v_dual_mov_b32 v30, s17 :: v_dual_mov_b32 v31, 0
	global_store_b64 v30, v[28:29], s[10:11] scale_offset scope:SCOPE_DEV
	ds_store_b64 v31, v[26:27] offset:5120
.LBB351_168:
	s_wait_xcnt 0x0
	s_or_b32 exec_lo, exec_lo, s16
	v_cmp_eq_u32_e32 vcc_lo, 0, v0
	s_and_b32 exec_lo, exec_lo, vcc_lo
; %bb.169:
	v_mov_b32_e32 v26, 0
	ds_store_b32 v26, v27 offset:12
.LBB351_170:
	s_or_b32 exec_lo, exec_lo, s9
	s_wait_dscnt 0x0
	v_dual_mov_b32 v26, 0 :: v_dual_cndmask_b32 v28, v44, v43, s8
	s_wait_storecnt 0x0
	s_barrier_signal -1
	s_barrier_wait -1
	ds_load_b32 v27, v26 offset:12
	v_cmp_ne_u32_e32 vcc_lo, 0, v0
	s_wait_dscnt 0x0
	s_barrier_signal -1
	s_barrier_wait -1
	v_cndmask_b32_e32 v28, 0, v28, vcc_lo
	s_mov_b32 s9, 0
	s_delay_alu instid0(VALU_DEP_1) | instskip(SKIP_2) | instid1(VALU_DEP_1)
	v_add_nc_u32_e32 v32, v27, v28
	ds_load_b64 v[26:27], v26 offset:5120
	v_add_nc_u32_e32 v31, v32, v25
	v_add_nc_u32_e32 v30, v31, v37
	s_delay_alu instid0(VALU_DEP_1) | instskip(NEXT) | instid1(VALU_DEP_1)
	v_add_nc_u32_e32 v29, v30, v38
	v_add_nc_u32_e32 v28, v29, v39
	s_wait_dscnt 0x0
	v_readfirstlane_b32 s8, v27
.LBB351_171:
	s_and_b32 vcc_lo, exec_lo, s9
	s_cbranch_vccz .LBB351_181
; %bb.172:
	v_mov_b32_dpp v26, v42 row_shr:1 row_mask:0xf bank_mask:0xf
	s_delay_alu instid0(VALU_DEP_1) | instskip(NEXT) | instid1(VALU_DEP_1)
	v_cndmask_b32_e64 v26, v26, 0, s4
	v_add_nc_u32_e32 v26, v26, v42
	s_delay_alu instid0(VALU_DEP_1) | instskip(NEXT) | instid1(VALU_DEP_1)
	v_mov_b32_dpp v27, v26 row_shr:2 row_mask:0xf bank_mask:0xf
	v_cndmask_b32_e64 v27, 0, v27, s6
	s_delay_alu instid0(VALU_DEP_1) | instskip(NEXT) | instid1(VALU_DEP_1)
	v_add_nc_u32_e32 v26, v26, v27
	v_mov_b32_dpp v27, v26 row_shr:4 row_mask:0xf bank_mask:0xf
	s_delay_alu instid0(VALU_DEP_1) | instskip(NEXT) | instid1(VALU_DEP_1)
	v_cndmask_b32_e64 v27, 0, v27, s7
	v_add_nc_u32_e32 v26, v26, v27
	s_delay_alu instid0(VALU_DEP_1) | instskip(NEXT) | instid1(VALU_DEP_1)
	v_mov_b32_dpp v27, v26 row_shr:8 row_mask:0xf bank_mask:0xf
	v_cndmask_b32_e64 v27, 0, v27, s5
	s_delay_alu instid0(VALU_DEP_1) | instskip(SKIP_3) | instid1(VALU_DEP_1)
	v_add_nc_u32_e32 v26, v26, v27
	ds_swizzle_b32 v27, v26 offset:swizzle(BROADCAST,32,15)
	s_wait_dscnt 0x0
	v_cndmask_b32_e64 v27, v27, 0, s3
	v_add_nc_u32_e32 v26, v26, v27
	s_and_saveexec_b32 s3, s2
; %bb.173:
	v_lshlrev_b32_e32 v27, 2, v41
	ds_store_b32 v27, v26
; %bb.174:
	s_or_b32 exec_lo, exec_lo, s3
	s_delay_alu instid0(SALU_CYCLE_1)
	s_mov_b32 s2, exec_lo
	s_wait_dscnt 0x0
	s_barrier_signal -1
	s_barrier_wait -1
	v_cmpx_gt_u32_e32 4, v0
	s_cbranch_execz .LBB351_176
; %bb.175:
	v_and_b32_e32 v29, 3, v40
	s_delay_alu instid0(VALU_DEP_1) | instskip(SKIP_4) | instid1(VALU_DEP_1)
	v_cmp_ne_u32_e32 vcc_lo, 0, v29
	v_lshlrev_b32_e32 v27, 2, v0
	ds_load_b32 v28, v27
	s_wait_dscnt 0x0
	v_mov_b32_dpp v30, v28 row_shr:1 row_mask:0xf bank_mask:0xf
	v_cndmask_b32_e32 v30, 0, v30, vcc_lo
	v_cmp_lt_u32_e32 vcc_lo, 1, v29
	s_delay_alu instid0(VALU_DEP_2) | instskip(NEXT) | instid1(VALU_DEP_1)
	v_add_nc_u32_e32 v28, v30, v28
	v_mov_b32_dpp v30, v28 row_shr:2 row_mask:0xf bank_mask:0xf
	s_delay_alu instid0(VALU_DEP_1) | instskip(NEXT) | instid1(VALU_DEP_1)
	v_cndmask_b32_e32 v29, 0, v30, vcc_lo
	v_add_nc_u32_e32 v28, v28, v29
	ds_store_b32 v27, v28
.LBB351_176:
	s_or_b32 exec_lo, exec_lo, s2
	v_dual_mov_b32 v27, 0 :: v_dual_mov_b32 v28, 0
	s_mov_b32 s2, exec_lo
	s_wait_dscnt 0x0
	s_barrier_signal -1
	s_barrier_wait -1
	v_cmpx_lt_u32_e32 31, v0
; %bb.177:
	v_lshl_add_u32 v28, v41, 2, -4
	ds_load_b32 v28, v28
; %bb.178:
	s_or_b32 exec_lo, exec_lo, s2
	v_sub_co_u32 v29, vcc_lo, v40, 1
	s_mov_b32 s8, 0
	s_wait_dscnt 0x0
	v_add_nc_u32_e32 v26, v28, v26
	v_cmp_gt_i32_e64 s2, 0, v29
	s_delay_alu instid0(VALU_DEP_1) | instskip(SKIP_1) | instid1(VALU_DEP_2)
	v_cndmask_b32_e64 v29, v29, v40, s2
	v_cmp_eq_u32_e64 s2, 0, v0
	v_lshlrev_b32_e32 v29, 2, v29
	ds_bpermute_b32 v29, v29, v26
	ds_load_b32 v26, v27 offset:12
	s_and_saveexec_b32 s3, s2
	s_cbranch_execz .LBB351_180
; %bb.179:
	v_dual_mov_b32 v30, 0 :: v_dual_mov_b32 v27, 2
	s_wait_dscnt 0x0
	global_store_b64 v30, v[26:27], s[10:11] offset:256 scope:SCOPE_DEV
.LBB351_180:
	s_wait_xcnt 0x0
	s_or_b32 exec_lo, exec_lo, s3
	s_wait_dscnt 0x1
	v_cndmask_b32_e32 v27, v29, v28, vcc_lo
	s_wait_storecnt_dscnt 0x0
	s_barrier_signal -1
	s_barrier_wait -1
	s_delay_alu instid0(VALU_DEP_1) | instskip(NEXT) | instid1(VALU_DEP_1)
	v_cndmask_b32_e64 v32, v27, 0, s2
	v_add_nc_u32_e32 v31, v32, v25
	s_delay_alu instid0(VALU_DEP_1) | instskip(NEXT) | instid1(VALU_DEP_1)
	v_add_nc_u32_e32 v30, v31, v37
	v_add_nc_u32_e32 v29, v30, v38
	s_delay_alu instid0(VALU_DEP_1)
	v_add_nc_u32_e32 v28, v29, v39
.LBB351_181:
	s_load_b128 s[4:7], s[0:1], 0x28
	s_delay_alu instid0(VALU_DEP_1)
	v_dual_add_nc_u32 v25, s8, v26 :: v_dual_bitop2_b32 v24, 1, v24 bitop3:0x40
	s_wait_xcnt 0x0
	v_cmp_gt_u32_e64 s0, 0x81, v26
	s_mov_b32 s3, -1
	v_cmp_lt_u32_e64 s1, v32, v25
	v_cmp_eq_u32_e64 s2, 1, v24
	s_and_b32 vcc_lo, exec_lo, s0
	s_cbranch_vccz .LBB351_193
; %bb.182:
	s_or_b32 s1, s25, s1
	s_delay_alu instid0(SALU_CYCLE_1) | instskip(NEXT) | instid1(SALU_CYCLE_1)
	s_and_b32 s2, s1, s2
	s_and_saveexec_b32 s1, s2
	s_cbranch_execz .LBB351_184
; %bb.183:
	s_lshl_b64 s[2:3], s[14:15], 3
	s_wait_kmcnt 0x0
	s_add_nc_u64 s[2:3], s[4:5], s[2:3]
	global_store_b64 v32, v[14:15], s[2:3] scale_offset
.LBB351_184:
	s_wait_xcnt 0x0
	s_or_b32 exec_lo, exec_lo, s1
	v_and_b32_e32 v27, 1, v23
	v_cmp_lt_u32_e32 vcc_lo, v31, v25
	s_delay_alu instid0(VALU_DEP_2) | instskip(SKIP_1) | instid1(SALU_CYCLE_1)
	v_cmp_eq_u32_e64 s1, 1, v27
	s_or_b32 s2, s25, vcc_lo
	s_and_b32 s2, s2, s1
	s_delay_alu instid0(SALU_CYCLE_1)
	s_and_saveexec_b32 s1, s2
	s_cbranch_execz .LBB351_186
; %bb.185:
	s_lshl_b64 s[2:3], s[14:15], 3
	s_wait_kmcnt 0x0
	s_add_nc_u64 s[2:3], s[4:5], s[2:3]
	global_store_b64 v31, v[16:17], s[2:3] scale_offset
.LBB351_186:
	s_wait_xcnt 0x0
	s_or_b32 exec_lo, exec_lo, s1
	v_and_b32_e32 v27, 1, v36
	v_cmp_lt_u32_e32 vcc_lo, v30, v25
	s_delay_alu instid0(VALU_DEP_2) | instskip(SKIP_1) | instid1(SALU_CYCLE_1)
	v_cmp_eq_u32_e64 s1, 1, v27
	s_or_b32 s2, s25, vcc_lo
	s_and_b32 s2, s2, s1
	s_delay_alu instid0(SALU_CYCLE_1)
	;; [unrolled: 17-line block ×4, first 2 shown]
	s_and_saveexec_b32 s1, s2
	s_cbranch_execz .LBB351_192
; %bb.191:
	s_lshl_b64 s[2:3], s[14:15], 3
	s_wait_kmcnt 0x0
	s_add_nc_u64 s[2:3], s[4:5], s[2:3]
	global_store_b64 v28, v[20:21], s[2:3] scale_offset
.LBB351_192:
	s_wait_xcnt 0x0
	s_or_b32 exec_lo, exec_lo, s1
	s_mov_b32 s3, 0
.LBB351_193:
	s_delay_alu instid0(SALU_CYCLE_1)
	s_and_b32 vcc_lo, exec_lo, s3
	s_cbranch_vccz .LBB351_207
; %bb.194:
	s_mov_b32 s1, exec_lo
	v_cmpx_eq_u32_e32 1, v24
; %bb.195:
	v_subrev_nc_u32_e32 v27, s8, v32
	s_delay_alu instid0(VALU_DEP_1)
	v_lshlrev_b32_e32 v27, 3, v27
	ds_store_b64 v27, v[14:15]
; %bb.196:
	s_or_b32 exec_lo, exec_lo, s1
	v_and_b32_e32 v14, 1, v23
	s_mov_b32 s1, exec_lo
	s_delay_alu instid0(VALU_DEP_1)
	v_cmpx_eq_u32_e32 1, v14
; %bb.197:
	v_subrev_nc_u32_e32 v14, s8, v31
	s_delay_alu instid0(VALU_DEP_1)
	v_lshlrev_b32_e32 v14, 3, v14
	ds_store_b64 v14, v[16:17]
; %bb.198:
	s_or_b32 exec_lo, exec_lo, s1
	v_and_b32_e32 v14, 1, v36
	s_mov_b32 s1, exec_lo
	s_delay_alu instid0(VALU_DEP_1)
	;; [unrolled: 11-line block ×4, first 2 shown]
	v_cmpx_eq_u32_e32 1, v10
; %bb.203:
	v_subrev_nc_u32_e32 v10, s8, v28
	s_delay_alu instid0(VALU_DEP_1)
	v_lshlrev_b32_e32 v10, 3, v10
	ds_store_b64 v10, v[20:21]
; %bb.204:
	s_or_b32 exec_lo, exec_lo, s1
	s_mov_b32 s9, 0
	v_dual_mov_b32 v11, v1 :: v_dual_lshlrev_b32 v10, 3, v0
	s_lshl_b64 s[2:3], s[8:9], 3
	s_wait_storecnt_dscnt 0x0
	s_wait_kmcnt 0x0
	s_add_nc_u64 s[2:3], s[4:5], s[2:3]
	s_lshl_b64 s[4:5], s[14:15], 3
	s_barrier_signal -1
	s_add_nc_u64 s[2:3], s[2:3], s[4:5]
	s_barrier_wait -1
.LBB351_205:                            ; =>This Inner Loop Header: Depth=1
	ds_load_b64 v[12:13], v10
	v_add_nc_u32_e32 v10, 0x400, v10
	s_wait_dscnt 0x0
	global_store_b64 v11, v[12:13], s[2:3] scale_offset
	s_wait_xcnt 0x0
	v_add_nc_u32_e32 v11, 0x80, v11
	s_delay_alu instid0(VALU_DEP_1) | instskip(SKIP_1) | instid1(SALU_CYCLE_1)
	v_cmp_ge_u32_e32 vcc_lo, v11, v26
	s_or_b32 s9, vcc_lo, s9
	s_and_not1_b32 exec_lo, exec_lo, s9
	s_cbranch_execnz .LBB351_205
; %bb.206:
	s_or_b32 exec_lo, exec_lo, s9
.LBB351_207:
	s_delay_alu instid0(SALU_CYCLE_1)
	s_and_b32 vcc_lo, exec_lo, s0
	s_mov_b32 s0, -1
	s_wait_storecnt 0x0
	s_barrier_signal -1
	s_barrier_wait -1
	s_cbranch_vccz .LBB351_219
; %bb.208:
	v_cmp_lt_u32_e32 vcc_lo, v32, v25
	v_cmp_eq_u32_e64 s0, 1, v24
	s_or_b32 s1, s25, vcc_lo
	s_delay_alu instid0(SALU_CYCLE_1) | instskip(NEXT) | instid1(SALU_CYCLE_1)
	s_and_b32 s1, s1, s0
	s_and_saveexec_b32 s0, s1
	s_cbranch_execz .LBB351_210
; %bb.209:
	s_lshl_b64 s[2:3], s[14:15], 3
	s_wait_kmcnt 0x0
	s_add_nc_u64 s[2:3], s[6:7], s[2:3]
	global_store_b64 v32, v[6:7], s[2:3] scale_offset
.LBB351_210:
	s_wait_xcnt 0x0
	s_or_b32 exec_lo, exec_lo, s0
	v_and_b32_e32 v10, 1, v23
	v_cmp_lt_u32_e32 vcc_lo, v31, v25
	s_delay_alu instid0(VALU_DEP_2) | instskip(SKIP_1) | instid1(SALU_CYCLE_1)
	v_cmp_eq_u32_e64 s0, 1, v10
	s_or_b32 s1, s25, vcc_lo
	s_and_b32 s1, s1, s0
	s_delay_alu instid0(SALU_CYCLE_1)
	s_and_saveexec_b32 s0, s1
	s_cbranch_execz .LBB351_212
; %bb.211:
	s_lshl_b64 s[2:3], s[14:15], 3
	s_wait_kmcnt 0x0
	s_add_nc_u64 s[2:3], s[6:7], s[2:3]
	global_store_b64 v31, v[8:9], s[2:3] scale_offset
.LBB351_212:
	s_wait_xcnt 0x0
	s_or_b32 exec_lo, exec_lo, s0
	v_and_b32_e32 v10, 1, v36
	v_cmp_lt_u32_e32 vcc_lo, v30, v25
	s_delay_alu instid0(VALU_DEP_2) | instskip(SKIP_1) | instid1(SALU_CYCLE_1)
	v_cmp_eq_u32_e64 s0, 1, v10
	s_or_b32 s1, s25, vcc_lo
	s_and_b32 s1, s1, s0
	s_delay_alu instid0(SALU_CYCLE_1)
	;; [unrolled: 17-line block ×4, first 2 shown]
	s_and_saveexec_b32 s0, s1
	s_cbranch_execz .LBB351_218
; %bb.217:
	s_lshl_b64 s[2:3], s[14:15], 3
	s_wait_kmcnt 0x0
	s_add_nc_u64 s[2:3], s[6:7], s[2:3]
	global_store_b64 v28, v[18:19], s[2:3] scale_offset
.LBB351_218:
	s_wait_xcnt 0x0
	s_or_b32 exec_lo, exec_lo, s0
	s_mov_b32 s0, 0
.LBB351_219:
	s_delay_alu instid0(SALU_CYCLE_1)
	s_and_b32 vcc_lo, exec_lo, s0
	s_cbranch_vccz .LBB351_233
; %bb.220:
	s_mov_b32 s0, exec_lo
	v_cmpx_eq_u32_e32 1, v24
; %bb.221:
	v_subrev_nc_u32_e32 v10, s8, v32
	s_delay_alu instid0(VALU_DEP_1)
	v_lshlrev_b32_e32 v10, 3, v10
	ds_store_b64 v10, v[6:7]
; %bb.222:
	s_or_b32 exec_lo, exec_lo, s0
	v_and_b32_e32 v6, 1, v23
	s_mov_b32 s0, exec_lo
	s_delay_alu instid0(VALU_DEP_1)
	v_cmpx_eq_u32_e32 1, v6
; %bb.223:
	v_subrev_nc_u32_e32 v6, s8, v31
	s_delay_alu instid0(VALU_DEP_1)
	v_lshlrev_b32_e32 v6, 3, v6
	ds_store_b64 v6, v[8:9]
; %bb.224:
	s_or_b32 exec_lo, exec_lo, s0
	v_and_b32_e32 v6, 1, v36
	s_mov_b32 s0, exec_lo
	s_delay_alu instid0(VALU_DEP_1)
	v_cmpx_eq_u32_e32 1, v6
; %bb.225:
	v_subrev_nc_u32_e32 v6, s8, v30
	s_delay_alu instid0(VALU_DEP_1)
	v_lshlrev_b32_e32 v6, 3, v6
	ds_store_b64 v6, v[2:3]
; %bb.226:
	s_or_b32 exec_lo, exec_lo, s0
	v_and_b32_e32 v2, 1, v22
	s_mov_b32 s0, exec_lo
	s_delay_alu instid0(VALU_DEP_1)
	v_cmpx_eq_u32_e32 1, v2
; %bb.227:
	v_subrev_nc_u32_e32 v2, s8, v29
	s_delay_alu instid0(VALU_DEP_1)
	v_lshlrev_b32_e32 v2, 3, v2
	ds_store_b64 v2, v[4:5]
; %bb.228:
	s_or_b32 exec_lo, exec_lo, s0
	v_and_b32_e32 v2, 1, v35
	s_mov_b32 s0, exec_lo
	s_delay_alu instid0(VALU_DEP_1)
	v_cmpx_eq_u32_e32 1, v2
; %bb.229:
	v_subrev_nc_u32_e32 v2, s8, v28
	s_delay_alu instid0(VALU_DEP_1)
	v_lshlrev_b32_e32 v2, 3, v2
	ds_store_b64 v2, v[18:19]
; %bb.230:
	s_or_b32 exec_lo, exec_lo, s0
	s_mov_b32 s9, 0
	s_lshl_b64 s[2:3], s[14:15], 3
	s_lshl_b64 s[0:1], s[8:9], 3
	s_wait_storecnt_dscnt 0x0
	s_wait_kmcnt 0x0
	s_add_nc_u64 s[0:1], s[6:7], s[0:1]
	s_barrier_signal -1
	s_add_nc_u64 s[0:1], s[0:1], s[2:3]
	s_barrier_wait -1
.LBB351_231:                            ; =>This Inner Loop Header: Depth=1
	ds_load_b64 v[2:3], v34
	v_add_nc_u32_e32 v34, 0x400, v34
	s_wait_dscnt 0x0
	global_store_b64 v1, v[2:3], s[0:1] scale_offset
	s_wait_xcnt 0x0
	v_add_nc_u32_e32 v1, 0x80, v1
	s_delay_alu instid0(VALU_DEP_1) | instskip(SKIP_1) | instid1(SALU_CYCLE_1)
	v_cmp_ge_u32_e32 vcc_lo, v1, v26
	s_or_b32 s9, vcc_lo, s9
	s_and_not1_b32 exec_lo, exec_lo, s9
	s_cbranch_execnz .LBB351_231
; %bb.232:
	s_or_b32 exec_lo, exec_lo, s9
.LBB351_233:
	v_cmp_eq_u32_e32 vcc_lo, 0, v0
	s_mov_b32 s9, 0
	s_and_b32 s0, vcc_lo, s24
	s_delay_alu instid0(SALU_CYCLE_1)
	s_and_saveexec_b32 s1, s0
	s_cbranch_execz .LBB351_235
; %bb.234:
	v_mov_b32_e32 v27, 0
	s_delay_alu instid0(VALU_DEP_1) | instskip(NEXT) | instid1(VALU_DEP_1)
	v_add_nc_u64_e32 v[0:1], s[14:15], v[26:27]
	v_add_nc_u64_e32 v[0:1], s[8:9], v[0:1]
	global_store_b64 v27, v[0:1], s[12:13]
.LBB351_235:
	s_endpgm
	.section	.rodata,"a",@progbits
	.p2align	6, 0x0
	.amdhsa_kernel _ZN7rocprim17ROCPRIM_400000_NS6detail17trampoline_kernelINS0_14default_configENS1_25partition_config_selectorILNS1_17partition_subalgoE9EllbEEZZNS1_14partition_implILS5_9ELb0ES3_jPlS8_PNS0_10empty_typeENS0_5tupleIJS8_S9_EEENSB_IJS8_SA_EEENS0_18inequality_wrapperIZN2at6native12_GLOBAL__N_124unique_dim_cuda_templateIaEESt5tupleIJNSF_6TensorESK_SK_EERKSK_lbbbEUlllE0_EEPmJS9_EEE10hipError_tPvRmT3_T4_T5_T6_T7_T9_mT8_P12ihipStream_tbDpT10_ENKUlT_T0_E_clISt17integral_constantIbLb0EES1A_EEDaS15_S16_EUlS15_E_NS1_11comp_targetILNS1_3genE0ELNS1_11target_archE4294967295ELNS1_3gpuE0ELNS1_3repE0EEENS1_30default_config_static_selectorELNS0_4arch9wavefront6targetE0EEEvT1_
		.amdhsa_group_segment_fixed_size 5128
		.amdhsa_private_segment_fixed_size 0
		.amdhsa_kernarg_size 120
		.amdhsa_user_sgpr_count 2
		.amdhsa_user_sgpr_dispatch_ptr 0
		.amdhsa_user_sgpr_queue_ptr 0
		.amdhsa_user_sgpr_kernarg_segment_ptr 1
		.amdhsa_user_sgpr_dispatch_id 0
		.amdhsa_user_sgpr_kernarg_preload_length 0
		.amdhsa_user_sgpr_kernarg_preload_offset 0
		.amdhsa_user_sgpr_private_segment_size 0
		.amdhsa_wavefront_size32 1
		.amdhsa_uses_dynamic_stack 0
		.amdhsa_enable_private_segment 0
		.amdhsa_system_sgpr_workgroup_id_x 1
		.amdhsa_system_sgpr_workgroup_id_y 0
		.amdhsa_system_sgpr_workgroup_id_z 0
		.amdhsa_system_sgpr_workgroup_info 0
		.amdhsa_system_vgpr_workitem_id 0
		.amdhsa_next_free_vgpr 56
		.amdhsa_next_free_sgpr 32
		.amdhsa_named_barrier_count 0
		.amdhsa_reserve_vcc 1
		.amdhsa_float_round_mode_32 0
		.amdhsa_float_round_mode_16_64 0
		.amdhsa_float_denorm_mode_32 3
		.amdhsa_float_denorm_mode_16_64 3
		.amdhsa_fp16_overflow 0
		.amdhsa_memory_ordered 1
		.amdhsa_forward_progress 1
		.amdhsa_inst_pref_size 78
		.amdhsa_round_robin_scheduling 0
		.amdhsa_exception_fp_ieee_invalid_op 0
		.amdhsa_exception_fp_denorm_src 0
		.amdhsa_exception_fp_ieee_div_zero 0
		.amdhsa_exception_fp_ieee_overflow 0
		.amdhsa_exception_fp_ieee_underflow 0
		.amdhsa_exception_fp_ieee_inexact 0
		.amdhsa_exception_int_div_zero 0
	.end_amdhsa_kernel
	.section	.text._ZN7rocprim17ROCPRIM_400000_NS6detail17trampoline_kernelINS0_14default_configENS1_25partition_config_selectorILNS1_17partition_subalgoE9EllbEEZZNS1_14partition_implILS5_9ELb0ES3_jPlS8_PNS0_10empty_typeENS0_5tupleIJS8_S9_EEENSB_IJS8_SA_EEENS0_18inequality_wrapperIZN2at6native12_GLOBAL__N_124unique_dim_cuda_templateIaEESt5tupleIJNSF_6TensorESK_SK_EERKSK_lbbbEUlllE0_EEPmJS9_EEE10hipError_tPvRmT3_T4_T5_T6_T7_T9_mT8_P12ihipStream_tbDpT10_ENKUlT_T0_E_clISt17integral_constantIbLb0EES1A_EEDaS15_S16_EUlS15_E_NS1_11comp_targetILNS1_3genE0ELNS1_11target_archE4294967295ELNS1_3gpuE0ELNS1_3repE0EEENS1_30default_config_static_selectorELNS0_4arch9wavefront6targetE0EEEvT1_,"axG",@progbits,_ZN7rocprim17ROCPRIM_400000_NS6detail17trampoline_kernelINS0_14default_configENS1_25partition_config_selectorILNS1_17partition_subalgoE9EllbEEZZNS1_14partition_implILS5_9ELb0ES3_jPlS8_PNS0_10empty_typeENS0_5tupleIJS8_S9_EEENSB_IJS8_SA_EEENS0_18inequality_wrapperIZN2at6native12_GLOBAL__N_124unique_dim_cuda_templateIaEESt5tupleIJNSF_6TensorESK_SK_EERKSK_lbbbEUlllE0_EEPmJS9_EEE10hipError_tPvRmT3_T4_T5_T6_T7_T9_mT8_P12ihipStream_tbDpT10_ENKUlT_T0_E_clISt17integral_constantIbLb0EES1A_EEDaS15_S16_EUlS15_E_NS1_11comp_targetILNS1_3genE0ELNS1_11target_archE4294967295ELNS1_3gpuE0ELNS1_3repE0EEENS1_30default_config_static_selectorELNS0_4arch9wavefront6targetE0EEEvT1_,comdat
.Lfunc_end351:
	.size	_ZN7rocprim17ROCPRIM_400000_NS6detail17trampoline_kernelINS0_14default_configENS1_25partition_config_selectorILNS1_17partition_subalgoE9EllbEEZZNS1_14partition_implILS5_9ELb0ES3_jPlS8_PNS0_10empty_typeENS0_5tupleIJS8_S9_EEENSB_IJS8_SA_EEENS0_18inequality_wrapperIZN2at6native12_GLOBAL__N_124unique_dim_cuda_templateIaEESt5tupleIJNSF_6TensorESK_SK_EERKSK_lbbbEUlllE0_EEPmJS9_EEE10hipError_tPvRmT3_T4_T5_T6_T7_T9_mT8_P12ihipStream_tbDpT10_ENKUlT_T0_E_clISt17integral_constantIbLb0EES1A_EEDaS15_S16_EUlS15_E_NS1_11comp_targetILNS1_3genE0ELNS1_11target_archE4294967295ELNS1_3gpuE0ELNS1_3repE0EEENS1_30default_config_static_selectorELNS0_4arch9wavefront6targetE0EEEvT1_, .Lfunc_end351-_ZN7rocprim17ROCPRIM_400000_NS6detail17trampoline_kernelINS0_14default_configENS1_25partition_config_selectorILNS1_17partition_subalgoE9EllbEEZZNS1_14partition_implILS5_9ELb0ES3_jPlS8_PNS0_10empty_typeENS0_5tupleIJS8_S9_EEENSB_IJS8_SA_EEENS0_18inequality_wrapperIZN2at6native12_GLOBAL__N_124unique_dim_cuda_templateIaEESt5tupleIJNSF_6TensorESK_SK_EERKSK_lbbbEUlllE0_EEPmJS9_EEE10hipError_tPvRmT3_T4_T5_T6_T7_T9_mT8_P12ihipStream_tbDpT10_ENKUlT_T0_E_clISt17integral_constantIbLb0EES1A_EEDaS15_S16_EUlS15_E_NS1_11comp_targetILNS1_3genE0ELNS1_11target_archE4294967295ELNS1_3gpuE0ELNS1_3repE0EEENS1_30default_config_static_selectorELNS0_4arch9wavefront6targetE0EEEvT1_
                                        ; -- End function
	.set _ZN7rocprim17ROCPRIM_400000_NS6detail17trampoline_kernelINS0_14default_configENS1_25partition_config_selectorILNS1_17partition_subalgoE9EllbEEZZNS1_14partition_implILS5_9ELb0ES3_jPlS8_PNS0_10empty_typeENS0_5tupleIJS8_S9_EEENSB_IJS8_SA_EEENS0_18inequality_wrapperIZN2at6native12_GLOBAL__N_124unique_dim_cuda_templateIaEESt5tupleIJNSF_6TensorESK_SK_EERKSK_lbbbEUlllE0_EEPmJS9_EEE10hipError_tPvRmT3_T4_T5_T6_T7_T9_mT8_P12ihipStream_tbDpT10_ENKUlT_T0_E_clISt17integral_constantIbLb0EES1A_EEDaS15_S16_EUlS15_E_NS1_11comp_targetILNS1_3genE0ELNS1_11target_archE4294967295ELNS1_3gpuE0ELNS1_3repE0EEENS1_30default_config_static_selectorELNS0_4arch9wavefront6targetE0EEEvT1_.num_vgpr, 56
	.set _ZN7rocprim17ROCPRIM_400000_NS6detail17trampoline_kernelINS0_14default_configENS1_25partition_config_selectorILNS1_17partition_subalgoE9EllbEEZZNS1_14partition_implILS5_9ELb0ES3_jPlS8_PNS0_10empty_typeENS0_5tupleIJS8_S9_EEENSB_IJS8_SA_EEENS0_18inequality_wrapperIZN2at6native12_GLOBAL__N_124unique_dim_cuda_templateIaEESt5tupleIJNSF_6TensorESK_SK_EERKSK_lbbbEUlllE0_EEPmJS9_EEE10hipError_tPvRmT3_T4_T5_T6_T7_T9_mT8_P12ihipStream_tbDpT10_ENKUlT_T0_E_clISt17integral_constantIbLb0EES1A_EEDaS15_S16_EUlS15_E_NS1_11comp_targetILNS1_3genE0ELNS1_11target_archE4294967295ELNS1_3gpuE0ELNS1_3repE0EEENS1_30default_config_static_selectorELNS0_4arch9wavefront6targetE0EEEvT1_.num_agpr, 0
	.set _ZN7rocprim17ROCPRIM_400000_NS6detail17trampoline_kernelINS0_14default_configENS1_25partition_config_selectorILNS1_17partition_subalgoE9EllbEEZZNS1_14partition_implILS5_9ELb0ES3_jPlS8_PNS0_10empty_typeENS0_5tupleIJS8_S9_EEENSB_IJS8_SA_EEENS0_18inequality_wrapperIZN2at6native12_GLOBAL__N_124unique_dim_cuda_templateIaEESt5tupleIJNSF_6TensorESK_SK_EERKSK_lbbbEUlllE0_EEPmJS9_EEE10hipError_tPvRmT3_T4_T5_T6_T7_T9_mT8_P12ihipStream_tbDpT10_ENKUlT_T0_E_clISt17integral_constantIbLb0EES1A_EEDaS15_S16_EUlS15_E_NS1_11comp_targetILNS1_3genE0ELNS1_11target_archE4294967295ELNS1_3gpuE0ELNS1_3repE0EEENS1_30default_config_static_selectorELNS0_4arch9wavefront6targetE0EEEvT1_.numbered_sgpr, 32
	.set _ZN7rocprim17ROCPRIM_400000_NS6detail17trampoline_kernelINS0_14default_configENS1_25partition_config_selectorILNS1_17partition_subalgoE9EllbEEZZNS1_14partition_implILS5_9ELb0ES3_jPlS8_PNS0_10empty_typeENS0_5tupleIJS8_S9_EEENSB_IJS8_SA_EEENS0_18inequality_wrapperIZN2at6native12_GLOBAL__N_124unique_dim_cuda_templateIaEESt5tupleIJNSF_6TensorESK_SK_EERKSK_lbbbEUlllE0_EEPmJS9_EEE10hipError_tPvRmT3_T4_T5_T6_T7_T9_mT8_P12ihipStream_tbDpT10_ENKUlT_T0_E_clISt17integral_constantIbLb0EES1A_EEDaS15_S16_EUlS15_E_NS1_11comp_targetILNS1_3genE0ELNS1_11target_archE4294967295ELNS1_3gpuE0ELNS1_3repE0EEENS1_30default_config_static_selectorELNS0_4arch9wavefront6targetE0EEEvT1_.num_named_barrier, 0
	.set _ZN7rocprim17ROCPRIM_400000_NS6detail17trampoline_kernelINS0_14default_configENS1_25partition_config_selectorILNS1_17partition_subalgoE9EllbEEZZNS1_14partition_implILS5_9ELb0ES3_jPlS8_PNS0_10empty_typeENS0_5tupleIJS8_S9_EEENSB_IJS8_SA_EEENS0_18inequality_wrapperIZN2at6native12_GLOBAL__N_124unique_dim_cuda_templateIaEESt5tupleIJNSF_6TensorESK_SK_EERKSK_lbbbEUlllE0_EEPmJS9_EEE10hipError_tPvRmT3_T4_T5_T6_T7_T9_mT8_P12ihipStream_tbDpT10_ENKUlT_T0_E_clISt17integral_constantIbLb0EES1A_EEDaS15_S16_EUlS15_E_NS1_11comp_targetILNS1_3genE0ELNS1_11target_archE4294967295ELNS1_3gpuE0ELNS1_3repE0EEENS1_30default_config_static_selectorELNS0_4arch9wavefront6targetE0EEEvT1_.private_seg_size, 0
	.set _ZN7rocprim17ROCPRIM_400000_NS6detail17trampoline_kernelINS0_14default_configENS1_25partition_config_selectorILNS1_17partition_subalgoE9EllbEEZZNS1_14partition_implILS5_9ELb0ES3_jPlS8_PNS0_10empty_typeENS0_5tupleIJS8_S9_EEENSB_IJS8_SA_EEENS0_18inequality_wrapperIZN2at6native12_GLOBAL__N_124unique_dim_cuda_templateIaEESt5tupleIJNSF_6TensorESK_SK_EERKSK_lbbbEUlllE0_EEPmJS9_EEE10hipError_tPvRmT3_T4_T5_T6_T7_T9_mT8_P12ihipStream_tbDpT10_ENKUlT_T0_E_clISt17integral_constantIbLb0EES1A_EEDaS15_S16_EUlS15_E_NS1_11comp_targetILNS1_3genE0ELNS1_11target_archE4294967295ELNS1_3gpuE0ELNS1_3repE0EEENS1_30default_config_static_selectorELNS0_4arch9wavefront6targetE0EEEvT1_.uses_vcc, 1
	.set _ZN7rocprim17ROCPRIM_400000_NS6detail17trampoline_kernelINS0_14default_configENS1_25partition_config_selectorILNS1_17partition_subalgoE9EllbEEZZNS1_14partition_implILS5_9ELb0ES3_jPlS8_PNS0_10empty_typeENS0_5tupleIJS8_S9_EEENSB_IJS8_SA_EEENS0_18inequality_wrapperIZN2at6native12_GLOBAL__N_124unique_dim_cuda_templateIaEESt5tupleIJNSF_6TensorESK_SK_EERKSK_lbbbEUlllE0_EEPmJS9_EEE10hipError_tPvRmT3_T4_T5_T6_T7_T9_mT8_P12ihipStream_tbDpT10_ENKUlT_T0_E_clISt17integral_constantIbLb0EES1A_EEDaS15_S16_EUlS15_E_NS1_11comp_targetILNS1_3genE0ELNS1_11target_archE4294967295ELNS1_3gpuE0ELNS1_3repE0EEENS1_30default_config_static_selectorELNS0_4arch9wavefront6targetE0EEEvT1_.uses_flat_scratch, 0
	.set _ZN7rocprim17ROCPRIM_400000_NS6detail17trampoline_kernelINS0_14default_configENS1_25partition_config_selectorILNS1_17partition_subalgoE9EllbEEZZNS1_14partition_implILS5_9ELb0ES3_jPlS8_PNS0_10empty_typeENS0_5tupleIJS8_S9_EEENSB_IJS8_SA_EEENS0_18inequality_wrapperIZN2at6native12_GLOBAL__N_124unique_dim_cuda_templateIaEESt5tupleIJNSF_6TensorESK_SK_EERKSK_lbbbEUlllE0_EEPmJS9_EEE10hipError_tPvRmT3_T4_T5_T6_T7_T9_mT8_P12ihipStream_tbDpT10_ENKUlT_T0_E_clISt17integral_constantIbLb0EES1A_EEDaS15_S16_EUlS15_E_NS1_11comp_targetILNS1_3genE0ELNS1_11target_archE4294967295ELNS1_3gpuE0ELNS1_3repE0EEENS1_30default_config_static_selectorELNS0_4arch9wavefront6targetE0EEEvT1_.has_dyn_sized_stack, 0
	.set _ZN7rocprim17ROCPRIM_400000_NS6detail17trampoline_kernelINS0_14default_configENS1_25partition_config_selectorILNS1_17partition_subalgoE9EllbEEZZNS1_14partition_implILS5_9ELb0ES3_jPlS8_PNS0_10empty_typeENS0_5tupleIJS8_S9_EEENSB_IJS8_SA_EEENS0_18inequality_wrapperIZN2at6native12_GLOBAL__N_124unique_dim_cuda_templateIaEESt5tupleIJNSF_6TensorESK_SK_EERKSK_lbbbEUlllE0_EEPmJS9_EEE10hipError_tPvRmT3_T4_T5_T6_T7_T9_mT8_P12ihipStream_tbDpT10_ENKUlT_T0_E_clISt17integral_constantIbLb0EES1A_EEDaS15_S16_EUlS15_E_NS1_11comp_targetILNS1_3genE0ELNS1_11target_archE4294967295ELNS1_3gpuE0ELNS1_3repE0EEENS1_30default_config_static_selectorELNS0_4arch9wavefront6targetE0EEEvT1_.has_recursion, 0
	.set _ZN7rocprim17ROCPRIM_400000_NS6detail17trampoline_kernelINS0_14default_configENS1_25partition_config_selectorILNS1_17partition_subalgoE9EllbEEZZNS1_14partition_implILS5_9ELb0ES3_jPlS8_PNS0_10empty_typeENS0_5tupleIJS8_S9_EEENSB_IJS8_SA_EEENS0_18inequality_wrapperIZN2at6native12_GLOBAL__N_124unique_dim_cuda_templateIaEESt5tupleIJNSF_6TensorESK_SK_EERKSK_lbbbEUlllE0_EEPmJS9_EEE10hipError_tPvRmT3_T4_T5_T6_T7_T9_mT8_P12ihipStream_tbDpT10_ENKUlT_T0_E_clISt17integral_constantIbLb0EES1A_EEDaS15_S16_EUlS15_E_NS1_11comp_targetILNS1_3genE0ELNS1_11target_archE4294967295ELNS1_3gpuE0ELNS1_3repE0EEENS1_30default_config_static_selectorELNS0_4arch9wavefront6targetE0EEEvT1_.has_indirect_call, 0
	.section	.AMDGPU.csdata,"",@progbits
; Kernel info:
; codeLenInByte = 9904
; TotalNumSgprs: 34
; NumVgprs: 56
; ScratchSize: 0
; MemoryBound: 0
; FloatMode: 240
; IeeeMode: 1
; LDSByteSize: 5128 bytes/workgroup (compile time only)
; SGPRBlocks: 0
; VGPRBlocks: 3
; NumSGPRsForWavesPerEU: 34
; NumVGPRsForWavesPerEU: 56
; NamedBarCnt: 0
; Occupancy: 16
; WaveLimiterHint : 1
; COMPUTE_PGM_RSRC2:SCRATCH_EN: 0
; COMPUTE_PGM_RSRC2:USER_SGPR: 2
; COMPUTE_PGM_RSRC2:TRAP_HANDLER: 0
; COMPUTE_PGM_RSRC2:TGID_X_EN: 1
; COMPUTE_PGM_RSRC2:TGID_Y_EN: 0
; COMPUTE_PGM_RSRC2:TGID_Z_EN: 0
; COMPUTE_PGM_RSRC2:TIDIG_COMP_CNT: 0
	.section	.text._ZN7rocprim17ROCPRIM_400000_NS6detail17trampoline_kernelINS0_14default_configENS1_25partition_config_selectorILNS1_17partition_subalgoE9EllbEEZZNS1_14partition_implILS5_9ELb0ES3_jPlS8_PNS0_10empty_typeENS0_5tupleIJS8_S9_EEENSB_IJS8_SA_EEENS0_18inequality_wrapperIZN2at6native12_GLOBAL__N_124unique_dim_cuda_templateIaEESt5tupleIJNSF_6TensorESK_SK_EERKSK_lbbbEUlllE0_EEPmJS9_EEE10hipError_tPvRmT3_T4_T5_T6_T7_T9_mT8_P12ihipStream_tbDpT10_ENKUlT_T0_E_clISt17integral_constantIbLb0EES1A_EEDaS15_S16_EUlS15_E_NS1_11comp_targetILNS1_3genE5ELNS1_11target_archE942ELNS1_3gpuE9ELNS1_3repE0EEENS1_30default_config_static_selectorELNS0_4arch9wavefront6targetE0EEEvT1_,"axG",@progbits,_ZN7rocprim17ROCPRIM_400000_NS6detail17trampoline_kernelINS0_14default_configENS1_25partition_config_selectorILNS1_17partition_subalgoE9EllbEEZZNS1_14partition_implILS5_9ELb0ES3_jPlS8_PNS0_10empty_typeENS0_5tupleIJS8_S9_EEENSB_IJS8_SA_EEENS0_18inequality_wrapperIZN2at6native12_GLOBAL__N_124unique_dim_cuda_templateIaEESt5tupleIJNSF_6TensorESK_SK_EERKSK_lbbbEUlllE0_EEPmJS9_EEE10hipError_tPvRmT3_T4_T5_T6_T7_T9_mT8_P12ihipStream_tbDpT10_ENKUlT_T0_E_clISt17integral_constantIbLb0EES1A_EEDaS15_S16_EUlS15_E_NS1_11comp_targetILNS1_3genE5ELNS1_11target_archE942ELNS1_3gpuE9ELNS1_3repE0EEENS1_30default_config_static_selectorELNS0_4arch9wavefront6targetE0EEEvT1_,comdat
	.globl	_ZN7rocprim17ROCPRIM_400000_NS6detail17trampoline_kernelINS0_14default_configENS1_25partition_config_selectorILNS1_17partition_subalgoE9EllbEEZZNS1_14partition_implILS5_9ELb0ES3_jPlS8_PNS0_10empty_typeENS0_5tupleIJS8_S9_EEENSB_IJS8_SA_EEENS0_18inequality_wrapperIZN2at6native12_GLOBAL__N_124unique_dim_cuda_templateIaEESt5tupleIJNSF_6TensorESK_SK_EERKSK_lbbbEUlllE0_EEPmJS9_EEE10hipError_tPvRmT3_T4_T5_T6_T7_T9_mT8_P12ihipStream_tbDpT10_ENKUlT_T0_E_clISt17integral_constantIbLb0EES1A_EEDaS15_S16_EUlS15_E_NS1_11comp_targetILNS1_3genE5ELNS1_11target_archE942ELNS1_3gpuE9ELNS1_3repE0EEENS1_30default_config_static_selectorELNS0_4arch9wavefront6targetE0EEEvT1_ ; -- Begin function _ZN7rocprim17ROCPRIM_400000_NS6detail17trampoline_kernelINS0_14default_configENS1_25partition_config_selectorILNS1_17partition_subalgoE9EllbEEZZNS1_14partition_implILS5_9ELb0ES3_jPlS8_PNS0_10empty_typeENS0_5tupleIJS8_S9_EEENSB_IJS8_SA_EEENS0_18inequality_wrapperIZN2at6native12_GLOBAL__N_124unique_dim_cuda_templateIaEESt5tupleIJNSF_6TensorESK_SK_EERKSK_lbbbEUlllE0_EEPmJS9_EEE10hipError_tPvRmT3_T4_T5_T6_T7_T9_mT8_P12ihipStream_tbDpT10_ENKUlT_T0_E_clISt17integral_constantIbLb0EES1A_EEDaS15_S16_EUlS15_E_NS1_11comp_targetILNS1_3genE5ELNS1_11target_archE942ELNS1_3gpuE9ELNS1_3repE0EEENS1_30default_config_static_selectorELNS0_4arch9wavefront6targetE0EEEvT1_
	.p2align	8
	.type	_ZN7rocprim17ROCPRIM_400000_NS6detail17trampoline_kernelINS0_14default_configENS1_25partition_config_selectorILNS1_17partition_subalgoE9EllbEEZZNS1_14partition_implILS5_9ELb0ES3_jPlS8_PNS0_10empty_typeENS0_5tupleIJS8_S9_EEENSB_IJS8_SA_EEENS0_18inequality_wrapperIZN2at6native12_GLOBAL__N_124unique_dim_cuda_templateIaEESt5tupleIJNSF_6TensorESK_SK_EERKSK_lbbbEUlllE0_EEPmJS9_EEE10hipError_tPvRmT3_T4_T5_T6_T7_T9_mT8_P12ihipStream_tbDpT10_ENKUlT_T0_E_clISt17integral_constantIbLb0EES1A_EEDaS15_S16_EUlS15_E_NS1_11comp_targetILNS1_3genE5ELNS1_11target_archE942ELNS1_3gpuE9ELNS1_3repE0EEENS1_30default_config_static_selectorELNS0_4arch9wavefront6targetE0EEEvT1_,@function
_ZN7rocprim17ROCPRIM_400000_NS6detail17trampoline_kernelINS0_14default_configENS1_25partition_config_selectorILNS1_17partition_subalgoE9EllbEEZZNS1_14partition_implILS5_9ELb0ES3_jPlS8_PNS0_10empty_typeENS0_5tupleIJS8_S9_EEENSB_IJS8_SA_EEENS0_18inequality_wrapperIZN2at6native12_GLOBAL__N_124unique_dim_cuda_templateIaEESt5tupleIJNSF_6TensorESK_SK_EERKSK_lbbbEUlllE0_EEPmJS9_EEE10hipError_tPvRmT3_T4_T5_T6_T7_T9_mT8_P12ihipStream_tbDpT10_ENKUlT_T0_E_clISt17integral_constantIbLb0EES1A_EEDaS15_S16_EUlS15_E_NS1_11comp_targetILNS1_3genE5ELNS1_11target_archE942ELNS1_3gpuE9ELNS1_3repE0EEENS1_30default_config_static_selectorELNS0_4arch9wavefront6targetE0EEEvT1_: ; @_ZN7rocprim17ROCPRIM_400000_NS6detail17trampoline_kernelINS0_14default_configENS1_25partition_config_selectorILNS1_17partition_subalgoE9EllbEEZZNS1_14partition_implILS5_9ELb0ES3_jPlS8_PNS0_10empty_typeENS0_5tupleIJS8_S9_EEENSB_IJS8_SA_EEENS0_18inequality_wrapperIZN2at6native12_GLOBAL__N_124unique_dim_cuda_templateIaEESt5tupleIJNSF_6TensorESK_SK_EERKSK_lbbbEUlllE0_EEPmJS9_EEE10hipError_tPvRmT3_T4_T5_T6_T7_T9_mT8_P12ihipStream_tbDpT10_ENKUlT_T0_E_clISt17integral_constantIbLb0EES1A_EEDaS15_S16_EUlS15_E_NS1_11comp_targetILNS1_3genE5ELNS1_11target_archE942ELNS1_3gpuE9ELNS1_3repE0EEENS1_30default_config_static_selectorELNS0_4arch9wavefront6targetE0EEEvT1_
; %bb.0:
	.section	.rodata,"a",@progbits
	.p2align	6, 0x0
	.amdhsa_kernel _ZN7rocprim17ROCPRIM_400000_NS6detail17trampoline_kernelINS0_14default_configENS1_25partition_config_selectorILNS1_17partition_subalgoE9EllbEEZZNS1_14partition_implILS5_9ELb0ES3_jPlS8_PNS0_10empty_typeENS0_5tupleIJS8_S9_EEENSB_IJS8_SA_EEENS0_18inequality_wrapperIZN2at6native12_GLOBAL__N_124unique_dim_cuda_templateIaEESt5tupleIJNSF_6TensorESK_SK_EERKSK_lbbbEUlllE0_EEPmJS9_EEE10hipError_tPvRmT3_T4_T5_T6_T7_T9_mT8_P12ihipStream_tbDpT10_ENKUlT_T0_E_clISt17integral_constantIbLb0EES1A_EEDaS15_S16_EUlS15_E_NS1_11comp_targetILNS1_3genE5ELNS1_11target_archE942ELNS1_3gpuE9ELNS1_3repE0EEENS1_30default_config_static_selectorELNS0_4arch9wavefront6targetE0EEEvT1_
		.amdhsa_group_segment_fixed_size 0
		.amdhsa_private_segment_fixed_size 0
		.amdhsa_kernarg_size 120
		.amdhsa_user_sgpr_count 2
		.amdhsa_user_sgpr_dispatch_ptr 0
		.amdhsa_user_sgpr_queue_ptr 0
		.amdhsa_user_sgpr_kernarg_segment_ptr 1
		.amdhsa_user_sgpr_dispatch_id 0
		.amdhsa_user_sgpr_kernarg_preload_length 0
		.amdhsa_user_sgpr_kernarg_preload_offset 0
		.amdhsa_user_sgpr_private_segment_size 0
		.amdhsa_wavefront_size32 1
		.amdhsa_uses_dynamic_stack 0
		.amdhsa_enable_private_segment 0
		.amdhsa_system_sgpr_workgroup_id_x 1
		.amdhsa_system_sgpr_workgroup_id_y 0
		.amdhsa_system_sgpr_workgroup_id_z 0
		.amdhsa_system_sgpr_workgroup_info 0
		.amdhsa_system_vgpr_workitem_id 0
		.amdhsa_next_free_vgpr 1
		.amdhsa_next_free_sgpr 1
		.amdhsa_named_barrier_count 0
		.amdhsa_reserve_vcc 0
		.amdhsa_float_round_mode_32 0
		.amdhsa_float_round_mode_16_64 0
		.amdhsa_float_denorm_mode_32 3
		.amdhsa_float_denorm_mode_16_64 3
		.amdhsa_fp16_overflow 0
		.amdhsa_memory_ordered 1
		.amdhsa_forward_progress 1
		.amdhsa_inst_pref_size 0
		.amdhsa_round_robin_scheduling 0
		.amdhsa_exception_fp_ieee_invalid_op 0
		.amdhsa_exception_fp_denorm_src 0
		.amdhsa_exception_fp_ieee_div_zero 0
		.amdhsa_exception_fp_ieee_overflow 0
		.amdhsa_exception_fp_ieee_underflow 0
		.amdhsa_exception_fp_ieee_inexact 0
		.amdhsa_exception_int_div_zero 0
	.end_amdhsa_kernel
	.section	.text._ZN7rocprim17ROCPRIM_400000_NS6detail17trampoline_kernelINS0_14default_configENS1_25partition_config_selectorILNS1_17partition_subalgoE9EllbEEZZNS1_14partition_implILS5_9ELb0ES3_jPlS8_PNS0_10empty_typeENS0_5tupleIJS8_S9_EEENSB_IJS8_SA_EEENS0_18inequality_wrapperIZN2at6native12_GLOBAL__N_124unique_dim_cuda_templateIaEESt5tupleIJNSF_6TensorESK_SK_EERKSK_lbbbEUlllE0_EEPmJS9_EEE10hipError_tPvRmT3_T4_T5_T6_T7_T9_mT8_P12ihipStream_tbDpT10_ENKUlT_T0_E_clISt17integral_constantIbLb0EES1A_EEDaS15_S16_EUlS15_E_NS1_11comp_targetILNS1_3genE5ELNS1_11target_archE942ELNS1_3gpuE9ELNS1_3repE0EEENS1_30default_config_static_selectorELNS0_4arch9wavefront6targetE0EEEvT1_,"axG",@progbits,_ZN7rocprim17ROCPRIM_400000_NS6detail17trampoline_kernelINS0_14default_configENS1_25partition_config_selectorILNS1_17partition_subalgoE9EllbEEZZNS1_14partition_implILS5_9ELb0ES3_jPlS8_PNS0_10empty_typeENS0_5tupleIJS8_S9_EEENSB_IJS8_SA_EEENS0_18inequality_wrapperIZN2at6native12_GLOBAL__N_124unique_dim_cuda_templateIaEESt5tupleIJNSF_6TensorESK_SK_EERKSK_lbbbEUlllE0_EEPmJS9_EEE10hipError_tPvRmT3_T4_T5_T6_T7_T9_mT8_P12ihipStream_tbDpT10_ENKUlT_T0_E_clISt17integral_constantIbLb0EES1A_EEDaS15_S16_EUlS15_E_NS1_11comp_targetILNS1_3genE5ELNS1_11target_archE942ELNS1_3gpuE9ELNS1_3repE0EEENS1_30default_config_static_selectorELNS0_4arch9wavefront6targetE0EEEvT1_,comdat
.Lfunc_end352:
	.size	_ZN7rocprim17ROCPRIM_400000_NS6detail17trampoline_kernelINS0_14default_configENS1_25partition_config_selectorILNS1_17partition_subalgoE9EllbEEZZNS1_14partition_implILS5_9ELb0ES3_jPlS8_PNS0_10empty_typeENS0_5tupleIJS8_S9_EEENSB_IJS8_SA_EEENS0_18inequality_wrapperIZN2at6native12_GLOBAL__N_124unique_dim_cuda_templateIaEESt5tupleIJNSF_6TensorESK_SK_EERKSK_lbbbEUlllE0_EEPmJS9_EEE10hipError_tPvRmT3_T4_T5_T6_T7_T9_mT8_P12ihipStream_tbDpT10_ENKUlT_T0_E_clISt17integral_constantIbLb0EES1A_EEDaS15_S16_EUlS15_E_NS1_11comp_targetILNS1_3genE5ELNS1_11target_archE942ELNS1_3gpuE9ELNS1_3repE0EEENS1_30default_config_static_selectorELNS0_4arch9wavefront6targetE0EEEvT1_, .Lfunc_end352-_ZN7rocprim17ROCPRIM_400000_NS6detail17trampoline_kernelINS0_14default_configENS1_25partition_config_selectorILNS1_17partition_subalgoE9EllbEEZZNS1_14partition_implILS5_9ELb0ES3_jPlS8_PNS0_10empty_typeENS0_5tupleIJS8_S9_EEENSB_IJS8_SA_EEENS0_18inequality_wrapperIZN2at6native12_GLOBAL__N_124unique_dim_cuda_templateIaEESt5tupleIJNSF_6TensorESK_SK_EERKSK_lbbbEUlllE0_EEPmJS9_EEE10hipError_tPvRmT3_T4_T5_T6_T7_T9_mT8_P12ihipStream_tbDpT10_ENKUlT_T0_E_clISt17integral_constantIbLb0EES1A_EEDaS15_S16_EUlS15_E_NS1_11comp_targetILNS1_3genE5ELNS1_11target_archE942ELNS1_3gpuE9ELNS1_3repE0EEENS1_30default_config_static_selectorELNS0_4arch9wavefront6targetE0EEEvT1_
                                        ; -- End function
	.set _ZN7rocprim17ROCPRIM_400000_NS6detail17trampoline_kernelINS0_14default_configENS1_25partition_config_selectorILNS1_17partition_subalgoE9EllbEEZZNS1_14partition_implILS5_9ELb0ES3_jPlS8_PNS0_10empty_typeENS0_5tupleIJS8_S9_EEENSB_IJS8_SA_EEENS0_18inequality_wrapperIZN2at6native12_GLOBAL__N_124unique_dim_cuda_templateIaEESt5tupleIJNSF_6TensorESK_SK_EERKSK_lbbbEUlllE0_EEPmJS9_EEE10hipError_tPvRmT3_T4_T5_T6_T7_T9_mT8_P12ihipStream_tbDpT10_ENKUlT_T0_E_clISt17integral_constantIbLb0EES1A_EEDaS15_S16_EUlS15_E_NS1_11comp_targetILNS1_3genE5ELNS1_11target_archE942ELNS1_3gpuE9ELNS1_3repE0EEENS1_30default_config_static_selectorELNS0_4arch9wavefront6targetE0EEEvT1_.num_vgpr, 0
	.set _ZN7rocprim17ROCPRIM_400000_NS6detail17trampoline_kernelINS0_14default_configENS1_25partition_config_selectorILNS1_17partition_subalgoE9EllbEEZZNS1_14partition_implILS5_9ELb0ES3_jPlS8_PNS0_10empty_typeENS0_5tupleIJS8_S9_EEENSB_IJS8_SA_EEENS0_18inequality_wrapperIZN2at6native12_GLOBAL__N_124unique_dim_cuda_templateIaEESt5tupleIJNSF_6TensorESK_SK_EERKSK_lbbbEUlllE0_EEPmJS9_EEE10hipError_tPvRmT3_T4_T5_T6_T7_T9_mT8_P12ihipStream_tbDpT10_ENKUlT_T0_E_clISt17integral_constantIbLb0EES1A_EEDaS15_S16_EUlS15_E_NS1_11comp_targetILNS1_3genE5ELNS1_11target_archE942ELNS1_3gpuE9ELNS1_3repE0EEENS1_30default_config_static_selectorELNS0_4arch9wavefront6targetE0EEEvT1_.num_agpr, 0
	.set _ZN7rocprim17ROCPRIM_400000_NS6detail17trampoline_kernelINS0_14default_configENS1_25partition_config_selectorILNS1_17partition_subalgoE9EllbEEZZNS1_14partition_implILS5_9ELb0ES3_jPlS8_PNS0_10empty_typeENS0_5tupleIJS8_S9_EEENSB_IJS8_SA_EEENS0_18inequality_wrapperIZN2at6native12_GLOBAL__N_124unique_dim_cuda_templateIaEESt5tupleIJNSF_6TensorESK_SK_EERKSK_lbbbEUlllE0_EEPmJS9_EEE10hipError_tPvRmT3_T4_T5_T6_T7_T9_mT8_P12ihipStream_tbDpT10_ENKUlT_T0_E_clISt17integral_constantIbLb0EES1A_EEDaS15_S16_EUlS15_E_NS1_11comp_targetILNS1_3genE5ELNS1_11target_archE942ELNS1_3gpuE9ELNS1_3repE0EEENS1_30default_config_static_selectorELNS0_4arch9wavefront6targetE0EEEvT1_.numbered_sgpr, 0
	.set _ZN7rocprim17ROCPRIM_400000_NS6detail17trampoline_kernelINS0_14default_configENS1_25partition_config_selectorILNS1_17partition_subalgoE9EllbEEZZNS1_14partition_implILS5_9ELb0ES3_jPlS8_PNS0_10empty_typeENS0_5tupleIJS8_S9_EEENSB_IJS8_SA_EEENS0_18inequality_wrapperIZN2at6native12_GLOBAL__N_124unique_dim_cuda_templateIaEESt5tupleIJNSF_6TensorESK_SK_EERKSK_lbbbEUlllE0_EEPmJS9_EEE10hipError_tPvRmT3_T4_T5_T6_T7_T9_mT8_P12ihipStream_tbDpT10_ENKUlT_T0_E_clISt17integral_constantIbLb0EES1A_EEDaS15_S16_EUlS15_E_NS1_11comp_targetILNS1_3genE5ELNS1_11target_archE942ELNS1_3gpuE9ELNS1_3repE0EEENS1_30default_config_static_selectorELNS0_4arch9wavefront6targetE0EEEvT1_.num_named_barrier, 0
	.set _ZN7rocprim17ROCPRIM_400000_NS6detail17trampoline_kernelINS0_14default_configENS1_25partition_config_selectorILNS1_17partition_subalgoE9EllbEEZZNS1_14partition_implILS5_9ELb0ES3_jPlS8_PNS0_10empty_typeENS0_5tupleIJS8_S9_EEENSB_IJS8_SA_EEENS0_18inequality_wrapperIZN2at6native12_GLOBAL__N_124unique_dim_cuda_templateIaEESt5tupleIJNSF_6TensorESK_SK_EERKSK_lbbbEUlllE0_EEPmJS9_EEE10hipError_tPvRmT3_T4_T5_T6_T7_T9_mT8_P12ihipStream_tbDpT10_ENKUlT_T0_E_clISt17integral_constantIbLb0EES1A_EEDaS15_S16_EUlS15_E_NS1_11comp_targetILNS1_3genE5ELNS1_11target_archE942ELNS1_3gpuE9ELNS1_3repE0EEENS1_30default_config_static_selectorELNS0_4arch9wavefront6targetE0EEEvT1_.private_seg_size, 0
	.set _ZN7rocprim17ROCPRIM_400000_NS6detail17trampoline_kernelINS0_14default_configENS1_25partition_config_selectorILNS1_17partition_subalgoE9EllbEEZZNS1_14partition_implILS5_9ELb0ES3_jPlS8_PNS0_10empty_typeENS0_5tupleIJS8_S9_EEENSB_IJS8_SA_EEENS0_18inequality_wrapperIZN2at6native12_GLOBAL__N_124unique_dim_cuda_templateIaEESt5tupleIJNSF_6TensorESK_SK_EERKSK_lbbbEUlllE0_EEPmJS9_EEE10hipError_tPvRmT3_T4_T5_T6_T7_T9_mT8_P12ihipStream_tbDpT10_ENKUlT_T0_E_clISt17integral_constantIbLb0EES1A_EEDaS15_S16_EUlS15_E_NS1_11comp_targetILNS1_3genE5ELNS1_11target_archE942ELNS1_3gpuE9ELNS1_3repE0EEENS1_30default_config_static_selectorELNS0_4arch9wavefront6targetE0EEEvT1_.uses_vcc, 0
	.set _ZN7rocprim17ROCPRIM_400000_NS6detail17trampoline_kernelINS0_14default_configENS1_25partition_config_selectorILNS1_17partition_subalgoE9EllbEEZZNS1_14partition_implILS5_9ELb0ES3_jPlS8_PNS0_10empty_typeENS0_5tupleIJS8_S9_EEENSB_IJS8_SA_EEENS0_18inequality_wrapperIZN2at6native12_GLOBAL__N_124unique_dim_cuda_templateIaEESt5tupleIJNSF_6TensorESK_SK_EERKSK_lbbbEUlllE0_EEPmJS9_EEE10hipError_tPvRmT3_T4_T5_T6_T7_T9_mT8_P12ihipStream_tbDpT10_ENKUlT_T0_E_clISt17integral_constantIbLb0EES1A_EEDaS15_S16_EUlS15_E_NS1_11comp_targetILNS1_3genE5ELNS1_11target_archE942ELNS1_3gpuE9ELNS1_3repE0EEENS1_30default_config_static_selectorELNS0_4arch9wavefront6targetE0EEEvT1_.uses_flat_scratch, 0
	.set _ZN7rocprim17ROCPRIM_400000_NS6detail17trampoline_kernelINS0_14default_configENS1_25partition_config_selectorILNS1_17partition_subalgoE9EllbEEZZNS1_14partition_implILS5_9ELb0ES3_jPlS8_PNS0_10empty_typeENS0_5tupleIJS8_S9_EEENSB_IJS8_SA_EEENS0_18inequality_wrapperIZN2at6native12_GLOBAL__N_124unique_dim_cuda_templateIaEESt5tupleIJNSF_6TensorESK_SK_EERKSK_lbbbEUlllE0_EEPmJS9_EEE10hipError_tPvRmT3_T4_T5_T6_T7_T9_mT8_P12ihipStream_tbDpT10_ENKUlT_T0_E_clISt17integral_constantIbLb0EES1A_EEDaS15_S16_EUlS15_E_NS1_11comp_targetILNS1_3genE5ELNS1_11target_archE942ELNS1_3gpuE9ELNS1_3repE0EEENS1_30default_config_static_selectorELNS0_4arch9wavefront6targetE0EEEvT1_.has_dyn_sized_stack, 0
	.set _ZN7rocprim17ROCPRIM_400000_NS6detail17trampoline_kernelINS0_14default_configENS1_25partition_config_selectorILNS1_17partition_subalgoE9EllbEEZZNS1_14partition_implILS5_9ELb0ES3_jPlS8_PNS0_10empty_typeENS0_5tupleIJS8_S9_EEENSB_IJS8_SA_EEENS0_18inequality_wrapperIZN2at6native12_GLOBAL__N_124unique_dim_cuda_templateIaEESt5tupleIJNSF_6TensorESK_SK_EERKSK_lbbbEUlllE0_EEPmJS9_EEE10hipError_tPvRmT3_T4_T5_T6_T7_T9_mT8_P12ihipStream_tbDpT10_ENKUlT_T0_E_clISt17integral_constantIbLb0EES1A_EEDaS15_S16_EUlS15_E_NS1_11comp_targetILNS1_3genE5ELNS1_11target_archE942ELNS1_3gpuE9ELNS1_3repE0EEENS1_30default_config_static_selectorELNS0_4arch9wavefront6targetE0EEEvT1_.has_recursion, 0
	.set _ZN7rocprim17ROCPRIM_400000_NS6detail17trampoline_kernelINS0_14default_configENS1_25partition_config_selectorILNS1_17partition_subalgoE9EllbEEZZNS1_14partition_implILS5_9ELb0ES3_jPlS8_PNS0_10empty_typeENS0_5tupleIJS8_S9_EEENSB_IJS8_SA_EEENS0_18inequality_wrapperIZN2at6native12_GLOBAL__N_124unique_dim_cuda_templateIaEESt5tupleIJNSF_6TensorESK_SK_EERKSK_lbbbEUlllE0_EEPmJS9_EEE10hipError_tPvRmT3_T4_T5_T6_T7_T9_mT8_P12ihipStream_tbDpT10_ENKUlT_T0_E_clISt17integral_constantIbLb0EES1A_EEDaS15_S16_EUlS15_E_NS1_11comp_targetILNS1_3genE5ELNS1_11target_archE942ELNS1_3gpuE9ELNS1_3repE0EEENS1_30default_config_static_selectorELNS0_4arch9wavefront6targetE0EEEvT1_.has_indirect_call, 0
	.section	.AMDGPU.csdata,"",@progbits
; Kernel info:
; codeLenInByte = 0
; TotalNumSgprs: 0
; NumVgprs: 0
; ScratchSize: 0
; MemoryBound: 0
; FloatMode: 240
; IeeeMode: 1
; LDSByteSize: 0 bytes/workgroup (compile time only)
; SGPRBlocks: 0
; VGPRBlocks: 0
; NumSGPRsForWavesPerEU: 1
; NumVGPRsForWavesPerEU: 1
; NamedBarCnt: 0
; Occupancy: 16
; WaveLimiterHint : 0
; COMPUTE_PGM_RSRC2:SCRATCH_EN: 0
; COMPUTE_PGM_RSRC2:USER_SGPR: 2
; COMPUTE_PGM_RSRC2:TRAP_HANDLER: 0
; COMPUTE_PGM_RSRC2:TGID_X_EN: 1
; COMPUTE_PGM_RSRC2:TGID_Y_EN: 0
; COMPUTE_PGM_RSRC2:TGID_Z_EN: 0
; COMPUTE_PGM_RSRC2:TIDIG_COMP_CNT: 0
	.section	.text._ZN7rocprim17ROCPRIM_400000_NS6detail17trampoline_kernelINS0_14default_configENS1_25partition_config_selectorILNS1_17partition_subalgoE9EllbEEZZNS1_14partition_implILS5_9ELb0ES3_jPlS8_PNS0_10empty_typeENS0_5tupleIJS8_S9_EEENSB_IJS8_SA_EEENS0_18inequality_wrapperIZN2at6native12_GLOBAL__N_124unique_dim_cuda_templateIaEESt5tupleIJNSF_6TensorESK_SK_EERKSK_lbbbEUlllE0_EEPmJS9_EEE10hipError_tPvRmT3_T4_T5_T6_T7_T9_mT8_P12ihipStream_tbDpT10_ENKUlT_T0_E_clISt17integral_constantIbLb0EES1A_EEDaS15_S16_EUlS15_E_NS1_11comp_targetILNS1_3genE4ELNS1_11target_archE910ELNS1_3gpuE8ELNS1_3repE0EEENS1_30default_config_static_selectorELNS0_4arch9wavefront6targetE0EEEvT1_,"axG",@progbits,_ZN7rocprim17ROCPRIM_400000_NS6detail17trampoline_kernelINS0_14default_configENS1_25partition_config_selectorILNS1_17partition_subalgoE9EllbEEZZNS1_14partition_implILS5_9ELb0ES3_jPlS8_PNS0_10empty_typeENS0_5tupleIJS8_S9_EEENSB_IJS8_SA_EEENS0_18inequality_wrapperIZN2at6native12_GLOBAL__N_124unique_dim_cuda_templateIaEESt5tupleIJNSF_6TensorESK_SK_EERKSK_lbbbEUlllE0_EEPmJS9_EEE10hipError_tPvRmT3_T4_T5_T6_T7_T9_mT8_P12ihipStream_tbDpT10_ENKUlT_T0_E_clISt17integral_constantIbLb0EES1A_EEDaS15_S16_EUlS15_E_NS1_11comp_targetILNS1_3genE4ELNS1_11target_archE910ELNS1_3gpuE8ELNS1_3repE0EEENS1_30default_config_static_selectorELNS0_4arch9wavefront6targetE0EEEvT1_,comdat
	.globl	_ZN7rocprim17ROCPRIM_400000_NS6detail17trampoline_kernelINS0_14default_configENS1_25partition_config_selectorILNS1_17partition_subalgoE9EllbEEZZNS1_14partition_implILS5_9ELb0ES3_jPlS8_PNS0_10empty_typeENS0_5tupleIJS8_S9_EEENSB_IJS8_SA_EEENS0_18inequality_wrapperIZN2at6native12_GLOBAL__N_124unique_dim_cuda_templateIaEESt5tupleIJNSF_6TensorESK_SK_EERKSK_lbbbEUlllE0_EEPmJS9_EEE10hipError_tPvRmT3_T4_T5_T6_T7_T9_mT8_P12ihipStream_tbDpT10_ENKUlT_T0_E_clISt17integral_constantIbLb0EES1A_EEDaS15_S16_EUlS15_E_NS1_11comp_targetILNS1_3genE4ELNS1_11target_archE910ELNS1_3gpuE8ELNS1_3repE0EEENS1_30default_config_static_selectorELNS0_4arch9wavefront6targetE0EEEvT1_ ; -- Begin function _ZN7rocprim17ROCPRIM_400000_NS6detail17trampoline_kernelINS0_14default_configENS1_25partition_config_selectorILNS1_17partition_subalgoE9EllbEEZZNS1_14partition_implILS5_9ELb0ES3_jPlS8_PNS0_10empty_typeENS0_5tupleIJS8_S9_EEENSB_IJS8_SA_EEENS0_18inequality_wrapperIZN2at6native12_GLOBAL__N_124unique_dim_cuda_templateIaEESt5tupleIJNSF_6TensorESK_SK_EERKSK_lbbbEUlllE0_EEPmJS9_EEE10hipError_tPvRmT3_T4_T5_T6_T7_T9_mT8_P12ihipStream_tbDpT10_ENKUlT_T0_E_clISt17integral_constantIbLb0EES1A_EEDaS15_S16_EUlS15_E_NS1_11comp_targetILNS1_3genE4ELNS1_11target_archE910ELNS1_3gpuE8ELNS1_3repE0EEENS1_30default_config_static_selectorELNS0_4arch9wavefront6targetE0EEEvT1_
	.p2align	8
	.type	_ZN7rocprim17ROCPRIM_400000_NS6detail17trampoline_kernelINS0_14default_configENS1_25partition_config_selectorILNS1_17partition_subalgoE9EllbEEZZNS1_14partition_implILS5_9ELb0ES3_jPlS8_PNS0_10empty_typeENS0_5tupleIJS8_S9_EEENSB_IJS8_SA_EEENS0_18inequality_wrapperIZN2at6native12_GLOBAL__N_124unique_dim_cuda_templateIaEESt5tupleIJNSF_6TensorESK_SK_EERKSK_lbbbEUlllE0_EEPmJS9_EEE10hipError_tPvRmT3_T4_T5_T6_T7_T9_mT8_P12ihipStream_tbDpT10_ENKUlT_T0_E_clISt17integral_constantIbLb0EES1A_EEDaS15_S16_EUlS15_E_NS1_11comp_targetILNS1_3genE4ELNS1_11target_archE910ELNS1_3gpuE8ELNS1_3repE0EEENS1_30default_config_static_selectorELNS0_4arch9wavefront6targetE0EEEvT1_,@function
_ZN7rocprim17ROCPRIM_400000_NS6detail17trampoline_kernelINS0_14default_configENS1_25partition_config_selectorILNS1_17partition_subalgoE9EllbEEZZNS1_14partition_implILS5_9ELb0ES3_jPlS8_PNS0_10empty_typeENS0_5tupleIJS8_S9_EEENSB_IJS8_SA_EEENS0_18inequality_wrapperIZN2at6native12_GLOBAL__N_124unique_dim_cuda_templateIaEESt5tupleIJNSF_6TensorESK_SK_EERKSK_lbbbEUlllE0_EEPmJS9_EEE10hipError_tPvRmT3_T4_T5_T6_T7_T9_mT8_P12ihipStream_tbDpT10_ENKUlT_T0_E_clISt17integral_constantIbLb0EES1A_EEDaS15_S16_EUlS15_E_NS1_11comp_targetILNS1_3genE4ELNS1_11target_archE910ELNS1_3gpuE8ELNS1_3repE0EEENS1_30default_config_static_selectorELNS0_4arch9wavefront6targetE0EEEvT1_: ; @_ZN7rocprim17ROCPRIM_400000_NS6detail17trampoline_kernelINS0_14default_configENS1_25partition_config_selectorILNS1_17partition_subalgoE9EllbEEZZNS1_14partition_implILS5_9ELb0ES3_jPlS8_PNS0_10empty_typeENS0_5tupleIJS8_S9_EEENSB_IJS8_SA_EEENS0_18inequality_wrapperIZN2at6native12_GLOBAL__N_124unique_dim_cuda_templateIaEESt5tupleIJNSF_6TensorESK_SK_EERKSK_lbbbEUlllE0_EEPmJS9_EEE10hipError_tPvRmT3_T4_T5_T6_T7_T9_mT8_P12ihipStream_tbDpT10_ENKUlT_T0_E_clISt17integral_constantIbLb0EES1A_EEDaS15_S16_EUlS15_E_NS1_11comp_targetILNS1_3genE4ELNS1_11target_archE910ELNS1_3gpuE8ELNS1_3repE0EEENS1_30default_config_static_selectorELNS0_4arch9wavefront6targetE0EEEvT1_
; %bb.0:
	.section	.rodata,"a",@progbits
	.p2align	6, 0x0
	.amdhsa_kernel _ZN7rocprim17ROCPRIM_400000_NS6detail17trampoline_kernelINS0_14default_configENS1_25partition_config_selectorILNS1_17partition_subalgoE9EllbEEZZNS1_14partition_implILS5_9ELb0ES3_jPlS8_PNS0_10empty_typeENS0_5tupleIJS8_S9_EEENSB_IJS8_SA_EEENS0_18inequality_wrapperIZN2at6native12_GLOBAL__N_124unique_dim_cuda_templateIaEESt5tupleIJNSF_6TensorESK_SK_EERKSK_lbbbEUlllE0_EEPmJS9_EEE10hipError_tPvRmT3_T4_T5_T6_T7_T9_mT8_P12ihipStream_tbDpT10_ENKUlT_T0_E_clISt17integral_constantIbLb0EES1A_EEDaS15_S16_EUlS15_E_NS1_11comp_targetILNS1_3genE4ELNS1_11target_archE910ELNS1_3gpuE8ELNS1_3repE0EEENS1_30default_config_static_selectorELNS0_4arch9wavefront6targetE0EEEvT1_
		.amdhsa_group_segment_fixed_size 0
		.amdhsa_private_segment_fixed_size 0
		.amdhsa_kernarg_size 120
		.amdhsa_user_sgpr_count 2
		.amdhsa_user_sgpr_dispatch_ptr 0
		.amdhsa_user_sgpr_queue_ptr 0
		.amdhsa_user_sgpr_kernarg_segment_ptr 1
		.amdhsa_user_sgpr_dispatch_id 0
		.amdhsa_user_sgpr_kernarg_preload_length 0
		.amdhsa_user_sgpr_kernarg_preload_offset 0
		.amdhsa_user_sgpr_private_segment_size 0
		.amdhsa_wavefront_size32 1
		.amdhsa_uses_dynamic_stack 0
		.amdhsa_enable_private_segment 0
		.amdhsa_system_sgpr_workgroup_id_x 1
		.amdhsa_system_sgpr_workgroup_id_y 0
		.amdhsa_system_sgpr_workgroup_id_z 0
		.amdhsa_system_sgpr_workgroup_info 0
		.amdhsa_system_vgpr_workitem_id 0
		.amdhsa_next_free_vgpr 1
		.amdhsa_next_free_sgpr 1
		.amdhsa_named_barrier_count 0
		.amdhsa_reserve_vcc 0
		.amdhsa_float_round_mode_32 0
		.amdhsa_float_round_mode_16_64 0
		.amdhsa_float_denorm_mode_32 3
		.amdhsa_float_denorm_mode_16_64 3
		.amdhsa_fp16_overflow 0
		.amdhsa_memory_ordered 1
		.amdhsa_forward_progress 1
		.amdhsa_inst_pref_size 0
		.amdhsa_round_robin_scheduling 0
		.amdhsa_exception_fp_ieee_invalid_op 0
		.amdhsa_exception_fp_denorm_src 0
		.amdhsa_exception_fp_ieee_div_zero 0
		.amdhsa_exception_fp_ieee_overflow 0
		.amdhsa_exception_fp_ieee_underflow 0
		.amdhsa_exception_fp_ieee_inexact 0
		.amdhsa_exception_int_div_zero 0
	.end_amdhsa_kernel
	.section	.text._ZN7rocprim17ROCPRIM_400000_NS6detail17trampoline_kernelINS0_14default_configENS1_25partition_config_selectorILNS1_17partition_subalgoE9EllbEEZZNS1_14partition_implILS5_9ELb0ES3_jPlS8_PNS0_10empty_typeENS0_5tupleIJS8_S9_EEENSB_IJS8_SA_EEENS0_18inequality_wrapperIZN2at6native12_GLOBAL__N_124unique_dim_cuda_templateIaEESt5tupleIJNSF_6TensorESK_SK_EERKSK_lbbbEUlllE0_EEPmJS9_EEE10hipError_tPvRmT3_T4_T5_T6_T7_T9_mT8_P12ihipStream_tbDpT10_ENKUlT_T0_E_clISt17integral_constantIbLb0EES1A_EEDaS15_S16_EUlS15_E_NS1_11comp_targetILNS1_3genE4ELNS1_11target_archE910ELNS1_3gpuE8ELNS1_3repE0EEENS1_30default_config_static_selectorELNS0_4arch9wavefront6targetE0EEEvT1_,"axG",@progbits,_ZN7rocprim17ROCPRIM_400000_NS6detail17trampoline_kernelINS0_14default_configENS1_25partition_config_selectorILNS1_17partition_subalgoE9EllbEEZZNS1_14partition_implILS5_9ELb0ES3_jPlS8_PNS0_10empty_typeENS0_5tupleIJS8_S9_EEENSB_IJS8_SA_EEENS0_18inequality_wrapperIZN2at6native12_GLOBAL__N_124unique_dim_cuda_templateIaEESt5tupleIJNSF_6TensorESK_SK_EERKSK_lbbbEUlllE0_EEPmJS9_EEE10hipError_tPvRmT3_T4_T5_T6_T7_T9_mT8_P12ihipStream_tbDpT10_ENKUlT_T0_E_clISt17integral_constantIbLb0EES1A_EEDaS15_S16_EUlS15_E_NS1_11comp_targetILNS1_3genE4ELNS1_11target_archE910ELNS1_3gpuE8ELNS1_3repE0EEENS1_30default_config_static_selectorELNS0_4arch9wavefront6targetE0EEEvT1_,comdat
.Lfunc_end353:
	.size	_ZN7rocprim17ROCPRIM_400000_NS6detail17trampoline_kernelINS0_14default_configENS1_25partition_config_selectorILNS1_17partition_subalgoE9EllbEEZZNS1_14partition_implILS5_9ELb0ES3_jPlS8_PNS0_10empty_typeENS0_5tupleIJS8_S9_EEENSB_IJS8_SA_EEENS0_18inequality_wrapperIZN2at6native12_GLOBAL__N_124unique_dim_cuda_templateIaEESt5tupleIJNSF_6TensorESK_SK_EERKSK_lbbbEUlllE0_EEPmJS9_EEE10hipError_tPvRmT3_T4_T5_T6_T7_T9_mT8_P12ihipStream_tbDpT10_ENKUlT_T0_E_clISt17integral_constantIbLb0EES1A_EEDaS15_S16_EUlS15_E_NS1_11comp_targetILNS1_3genE4ELNS1_11target_archE910ELNS1_3gpuE8ELNS1_3repE0EEENS1_30default_config_static_selectorELNS0_4arch9wavefront6targetE0EEEvT1_, .Lfunc_end353-_ZN7rocprim17ROCPRIM_400000_NS6detail17trampoline_kernelINS0_14default_configENS1_25partition_config_selectorILNS1_17partition_subalgoE9EllbEEZZNS1_14partition_implILS5_9ELb0ES3_jPlS8_PNS0_10empty_typeENS0_5tupleIJS8_S9_EEENSB_IJS8_SA_EEENS0_18inequality_wrapperIZN2at6native12_GLOBAL__N_124unique_dim_cuda_templateIaEESt5tupleIJNSF_6TensorESK_SK_EERKSK_lbbbEUlllE0_EEPmJS9_EEE10hipError_tPvRmT3_T4_T5_T6_T7_T9_mT8_P12ihipStream_tbDpT10_ENKUlT_T0_E_clISt17integral_constantIbLb0EES1A_EEDaS15_S16_EUlS15_E_NS1_11comp_targetILNS1_3genE4ELNS1_11target_archE910ELNS1_3gpuE8ELNS1_3repE0EEENS1_30default_config_static_selectorELNS0_4arch9wavefront6targetE0EEEvT1_
                                        ; -- End function
	.set _ZN7rocprim17ROCPRIM_400000_NS6detail17trampoline_kernelINS0_14default_configENS1_25partition_config_selectorILNS1_17partition_subalgoE9EllbEEZZNS1_14partition_implILS5_9ELb0ES3_jPlS8_PNS0_10empty_typeENS0_5tupleIJS8_S9_EEENSB_IJS8_SA_EEENS0_18inequality_wrapperIZN2at6native12_GLOBAL__N_124unique_dim_cuda_templateIaEESt5tupleIJNSF_6TensorESK_SK_EERKSK_lbbbEUlllE0_EEPmJS9_EEE10hipError_tPvRmT3_T4_T5_T6_T7_T9_mT8_P12ihipStream_tbDpT10_ENKUlT_T0_E_clISt17integral_constantIbLb0EES1A_EEDaS15_S16_EUlS15_E_NS1_11comp_targetILNS1_3genE4ELNS1_11target_archE910ELNS1_3gpuE8ELNS1_3repE0EEENS1_30default_config_static_selectorELNS0_4arch9wavefront6targetE0EEEvT1_.num_vgpr, 0
	.set _ZN7rocprim17ROCPRIM_400000_NS6detail17trampoline_kernelINS0_14default_configENS1_25partition_config_selectorILNS1_17partition_subalgoE9EllbEEZZNS1_14partition_implILS5_9ELb0ES3_jPlS8_PNS0_10empty_typeENS0_5tupleIJS8_S9_EEENSB_IJS8_SA_EEENS0_18inequality_wrapperIZN2at6native12_GLOBAL__N_124unique_dim_cuda_templateIaEESt5tupleIJNSF_6TensorESK_SK_EERKSK_lbbbEUlllE0_EEPmJS9_EEE10hipError_tPvRmT3_T4_T5_T6_T7_T9_mT8_P12ihipStream_tbDpT10_ENKUlT_T0_E_clISt17integral_constantIbLb0EES1A_EEDaS15_S16_EUlS15_E_NS1_11comp_targetILNS1_3genE4ELNS1_11target_archE910ELNS1_3gpuE8ELNS1_3repE0EEENS1_30default_config_static_selectorELNS0_4arch9wavefront6targetE0EEEvT1_.num_agpr, 0
	.set _ZN7rocprim17ROCPRIM_400000_NS6detail17trampoline_kernelINS0_14default_configENS1_25partition_config_selectorILNS1_17partition_subalgoE9EllbEEZZNS1_14partition_implILS5_9ELb0ES3_jPlS8_PNS0_10empty_typeENS0_5tupleIJS8_S9_EEENSB_IJS8_SA_EEENS0_18inequality_wrapperIZN2at6native12_GLOBAL__N_124unique_dim_cuda_templateIaEESt5tupleIJNSF_6TensorESK_SK_EERKSK_lbbbEUlllE0_EEPmJS9_EEE10hipError_tPvRmT3_T4_T5_T6_T7_T9_mT8_P12ihipStream_tbDpT10_ENKUlT_T0_E_clISt17integral_constantIbLb0EES1A_EEDaS15_S16_EUlS15_E_NS1_11comp_targetILNS1_3genE4ELNS1_11target_archE910ELNS1_3gpuE8ELNS1_3repE0EEENS1_30default_config_static_selectorELNS0_4arch9wavefront6targetE0EEEvT1_.numbered_sgpr, 0
	.set _ZN7rocprim17ROCPRIM_400000_NS6detail17trampoline_kernelINS0_14default_configENS1_25partition_config_selectorILNS1_17partition_subalgoE9EllbEEZZNS1_14partition_implILS5_9ELb0ES3_jPlS8_PNS0_10empty_typeENS0_5tupleIJS8_S9_EEENSB_IJS8_SA_EEENS0_18inequality_wrapperIZN2at6native12_GLOBAL__N_124unique_dim_cuda_templateIaEESt5tupleIJNSF_6TensorESK_SK_EERKSK_lbbbEUlllE0_EEPmJS9_EEE10hipError_tPvRmT3_T4_T5_T6_T7_T9_mT8_P12ihipStream_tbDpT10_ENKUlT_T0_E_clISt17integral_constantIbLb0EES1A_EEDaS15_S16_EUlS15_E_NS1_11comp_targetILNS1_3genE4ELNS1_11target_archE910ELNS1_3gpuE8ELNS1_3repE0EEENS1_30default_config_static_selectorELNS0_4arch9wavefront6targetE0EEEvT1_.num_named_barrier, 0
	.set _ZN7rocprim17ROCPRIM_400000_NS6detail17trampoline_kernelINS0_14default_configENS1_25partition_config_selectorILNS1_17partition_subalgoE9EllbEEZZNS1_14partition_implILS5_9ELb0ES3_jPlS8_PNS0_10empty_typeENS0_5tupleIJS8_S9_EEENSB_IJS8_SA_EEENS0_18inequality_wrapperIZN2at6native12_GLOBAL__N_124unique_dim_cuda_templateIaEESt5tupleIJNSF_6TensorESK_SK_EERKSK_lbbbEUlllE0_EEPmJS9_EEE10hipError_tPvRmT3_T4_T5_T6_T7_T9_mT8_P12ihipStream_tbDpT10_ENKUlT_T0_E_clISt17integral_constantIbLb0EES1A_EEDaS15_S16_EUlS15_E_NS1_11comp_targetILNS1_3genE4ELNS1_11target_archE910ELNS1_3gpuE8ELNS1_3repE0EEENS1_30default_config_static_selectorELNS0_4arch9wavefront6targetE0EEEvT1_.private_seg_size, 0
	.set _ZN7rocprim17ROCPRIM_400000_NS6detail17trampoline_kernelINS0_14default_configENS1_25partition_config_selectorILNS1_17partition_subalgoE9EllbEEZZNS1_14partition_implILS5_9ELb0ES3_jPlS8_PNS0_10empty_typeENS0_5tupleIJS8_S9_EEENSB_IJS8_SA_EEENS0_18inequality_wrapperIZN2at6native12_GLOBAL__N_124unique_dim_cuda_templateIaEESt5tupleIJNSF_6TensorESK_SK_EERKSK_lbbbEUlllE0_EEPmJS9_EEE10hipError_tPvRmT3_T4_T5_T6_T7_T9_mT8_P12ihipStream_tbDpT10_ENKUlT_T0_E_clISt17integral_constantIbLb0EES1A_EEDaS15_S16_EUlS15_E_NS1_11comp_targetILNS1_3genE4ELNS1_11target_archE910ELNS1_3gpuE8ELNS1_3repE0EEENS1_30default_config_static_selectorELNS0_4arch9wavefront6targetE0EEEvT1_.uses_vcc, 0
	.set _ZN7rocprim17ROCPRIM_400000_NS6detail17trampoline_kernelINS0_14default_configENS1_25partition_config_selectorILNS1_17partition_subalgoE9EllbEEZZNS1_14partition_implILS5_9ELb0ES3_jPlS8_PNS0_10empty_typeENS0_5tupleIJS8_S9_EEENSB_IJS8_SA_EEENS0_18inequality_wrapperIZN2at6native12_GLOBAL__N_124unique_dim_cuda_templateIaEESt5tupleIJNSF_6TensorESK_SK_EERKSK_lbbbEUlllE0_EEPmJS9_EEE10hipError_tPvRmT3_T4_T5_T6_T7_T9_mT8_P12ihipStream_tbDpT10_ENKUlT_T0_E_clISt17integral_constantIbLb0EES1A_EEDaS15_S16_EUlS15_E_NS1_11comp_targetILNS1_3genE4ELNS1_11target_archE910ELNS1_3gpuE8ELNS1_3repE0EEENS1_30default_config_static_selectorELNS0_4arch9wavefront6targetE0EEEvT1_.uses_flat_scratch, 0
	.set _ZN7rocprim17ROCPRIM_400000_NS6detail17trampoline_kernelINS0_14default_configENS1_25partition_config_selectorILNS1_17partition_subalgoE9EllbEEZZNS1_14partition_implILS5_9ELb0ES3_jPlS8_PNS0_10empty_typeENS0_5tupleIJS8_S9_EEENSB_IJS8_SA_EEENS0_18inequality_wrapperIZN2at6native12_GLOBAL__N_124unique_dim_cuda_templateIaEESt5tupleIJNSF_6TensorESK_SK_EERKSK_lbbbEUlllE0_EEPmJS9_EEE10hipError_tPvRmT3_T4_T5_T6_T7_T9_mT8_P12ihipStream_tbDpT10_ENKUlT_T0_E_clISt17integral_constantIbLb0EES1A_EEDaS15_S16_EUlS15_E_NS1_11comp_targetILNS1_3genE4ELNS1_11target_archE910ELNS1_3gpuE8ELNS1_3repE0EEENS1_30default_config_static_selectorELNS0_4arch9wavefront6targetE0EEEvT1_.has_dyn_sized_stack, 0
	.set _ZN7rocprim17ROCPRIM_400000_NS6detail17trampoline_kernelINS0_14default_configENS1_25partition_config_selectorILNS1_17partition_subalgoE9EllbEEZZNS1_14partition_implILS5_9ELb0ES3_jPlS8_PNS0_10empty_typeENS0_5tupleIJS8_S9_EEENSB_IJS8_SA_EEENS0_18inequality_wrapperIZN2at6native12_GLOBAL__N_124unique_dim_cuda_templateIaEESt5tupleIJNSF_6TensorESK_SK_EERKSK_lbbbEUlllE0_EEPmJS9_EEE10hipError_tPvRmT3_T4_T5_T6_T7_T9_mT8_P12ihipStream_tbDpT10_ENKUlT_T0_E_clISt17integral_constantIbLb0EES1A_EEDaS15_S16_EUlS15_E_NS1_11comp_targetILNS1_3genE4ELNS1_11target_archE910ELNS1_3gpuE8ELNS1_3repE0EEENS1_30default_config_static_selectorELNS0_4arch9wavefront6targetE0EEEvT1_.has_recursion, 0
	.set _ZN7rocprim17ROCPRIM_400000_NS6detail17trampoline_kernelINS0_14default_configENS1_25partition_config_selectorILNS1_17partition_subalgoE9EllbEEZZNS1_14partition_implILS5_9ELb0ES3_jPlS8_PNS0_10empty_typeENS0_5tupleIJS8_S9_EEENSB_IJS8_SA_EEENS0_18inequality_wrapperIZN2at6native12_GLOBAL__N_124unique_dim_cuda_templateIaEESt5tupleIJNSF_6TensorESK_SK_EERKSK_lbbbEUlllE0_EEPmJS9_EEE10hipError_tPvRmT3_T4_T5_T6_T7_T9_mT8_P12ihipStream_tbDpT10_ENKUlT_T0_E_clISt17integral_constantIbLb0EES1A_EEDaS15_S16_EUlS15_E_NS1_11comp_targetILNS1_3genE4ELNS1_11target_archE910ELNS1_3gpuE8ELNS1_3repE0EEENS1_30default_config_static_selectorELNS0_4arch9wavefront6targetE0EEEvT1_.has_indirect_call, 0
	.section	.AMDGPU.csdata,"",@progbits
; Kernel info:
; codeLenInByte = 0
; TotalNumSgprs: 0
; NumVgprs: 0
; ScratchSize: 0
; MemoryBound: 0
; FloatMode: 240
; IeeeMode: 1
; LDSByteSize: 0 bytes/workgroup (compile time only)
; SGPRBlocks: 0
; VGPRBlocks: 0
; NumSGPRsForWavesPerEU: 1
; NumVGPRsForWavesPerEU: 1
; NamedBarCnt: 0
; Occupancy: 16
; WaveLimiterHint : 0
; COMPUTE_PGM_RSRC2:SCRATCH_EN: 0
; COMPUTE_PGM_RSRC2:USER_SGPR: 2
; COMPUTE_PGM_RSRC2:TRAP_HANDLER: 0
; COMPUTE_PGM_RSRC2:TGID_X_EN: 1
; COMPUTE_PGM_RSRC2:TGID_Y_EN: 0
; COMPUTE_PGM_RSRC2:TGID_Z_EN: 0
; COMPUTE_PGM_RSRC2:TIDIG_COMP_CNT: 0
	.section	.text._ZN7rocprim17ROCPRIM_400000_NS6detail17trampoline_kernelINS0_14default_configENS1_25partition_config_selectorILNS1_17partition_subalgoE9EllbEEZZNS1_14partition_implILS5_9ELb0ES3_jPlS8_PNS0_10empty_typeENS0_5tupleIJS8_S9_EEENSB_IJS8_SA_EEENS0_18inequality_wrapperIZN2at6native12_GLOBAL__N_124unique_dim_cuda_templateIaEESt5tupleIJNSF_6TensorESK_SK_EERKSK_lbbbEUlllE0_EEPmJS9_EEE10hipError_tPvRmT3_T4_T5_T6_T7_T9_mT8_P12ihipStream_tbDpT10_ENKUlT_T0_E_clISt17integral_constantIbLb0EES1A_EEDaS15_S16_EUlS15_E_NS1_11comp_targetILNS1_3genE3ELNS1_11target_archE908ELNS1_3gpuE7ELNS1_3repE0EEENS1_30default_config_static_selectorELNS0_4arch9wavefront6targetE0EEEvT1_,"axG",@progbits,_ZN7rocprim17ROCPRIM_400000_NS6detail17trampoline_kernelINS0_14default_configENS1_25partition_config_selectorILNS1_17partition_subalgoE9EllbEEZZNS1_14partition_implILS5_9ELb0ES3_jPlS8_PNS0_10empty_typeENS0_5tupleIJS8_S9_EEENSB_IJS8_SA_EEENS0_18inequality_wrapperIZN2at6native12_GLOBAL__N_124unique_dim_cuda_templateIaEESt5tupleIJNSF_6TensorESK_SK_EERKSK_lbbbEUlllE0_EEPmJS9_EEE10hipError_tPvRmT3_T4_T5_T6_T7_T9_mT8_P12ihipStream_tbDpT10_ENKUlT_T0_E_clISt17integral_constantIbLb0EES1A_EEDaS15_S16_EUlS15_E_NS1_11comp_targetILNS1_3genE3ELNS1_11target_archE908ELNS1_3gpuE7ELNS1_3repE0EEENS1_30default_config_static_selectorELNS0_4arch9wavefront6targetE0EEEvT1_,comdat
	.globl	_ZN7rocprim17ROCPRIM_400000_NS6detail17trampoline_kernelINS0_14default_configENS1_25partition_config_selectorILNS1_17partition_subalgoE9EllbEEZZNS1_14partition_implILS5_9ELb0ES3_jPlS8_PNS0_10empty_typeENS0_5tupleIJS8_S9_EEENSB_IJS8_SA_EEENS0_18inequality_wrapperIZN2at6native12_GLOBAL__N_124unique_dim_cuda_templateIaEESt5tupleIJNSF_6TensorESK_SK_EERKSK_lbbbEUlllE0_EEPmJS9_EEE10hipError_tPvRmT3_T4_T5_T6_T7_T9_mT8_P12ihipStream_tbDpT10_ENKUlT_T0_E_clISt17integral_constantIbLb0EES1A_EEDaS15_S16_EUlS15_E_NS1_11comp_targetILNS1_3genE3ELNS1_11target_archE908ELNS1_3gpuE7ELNS1_3repE0EEENS1_30default_config_static_selectorELNS0_4arch9wavefront6targetE0EEEvT1_ ; -- Begin function _ZN7rocprim17ROCPRIM_400000_NS6detail17trampoline_kernelINS0_14default_configENS1_25partition_config_selectorILNS1_17partition_subalgoE9EllbEEZZNS1_14partition_implILS5_9ELb0ES3_jPlS8_PNS0_10empty_typeENS0_5tupleIJS8_S9_EEENSB_IJS8_SA_EEENS0_18inequality_wrapperIZN2at6native12_GLOBAL__N_124unique_dim_cuda_templateIaEESt5tupleIJNSF_6TensorESK_SK_EERKSK_lbbbEUlllE0_EEPmJS9_EEE10hipError_tPvRmT3_T4_T5_T6_T7_T9_mT8_P12ihipStream_tbDpT10_ENKUlT_T0_E_clISt17integral_constantIbLb0EES1A_EEDaS15_S16_EUlS15_E_NS1_11comp_targetILNS1_3genE3ELNS1_11target_archE908ELNS1_3gpuE7ELNS1_3repE0EEENS1_30default_config_static_selectorELNS0_4arch9wavefront6targetE0EEEvT1_
	.p2align	8
	.type	_ZN7rocprim17ROCPRIM_400000_NS6detail17trampoline_kernelINS0_14default_configENS1_25partition_config_selectorILNS1_17partition_subalgoE9EllbEEZZNS1_14partition_implILS5_9ELb0ES3_jPlS8_PNS0_10empty_typeENS0_5tupleIJS8_S9_EEENSB_IJS8_SA_EEENS0_18inequality_wrapperIZN2at6native12_GLOBAL__N_124unique_dim_cuda_templateIaEESt5tupleIJNSF_6TensorESK_SK_EERKSK_lbbbEUlllE0_EEPmJS9_EEE10hipError_tPvRmT3_T4_T5_T6_T7_T9_mT8_P12ihipStream_tbDpT10_ENKUlT_T0_E_clISt17integral_constantIbLb0EES1A_EEDaS15_S16_EUlS15_E_NS1_11comp_targetILNS1_3genE3ELNS1_11target_archE908ELNS1_3gpuE7ELNS1_3repE0EEENS1_30default_config_static_selectorELNS0_4arch9wavefront6targetE0EEEvT1_,@function
_ZN7rocprim17ROCPRIM_400000_NS6detail17trampoline_kernelINS0_14default_configENS1_25partition_config_selectorILNS1_17partition_subalgoE9EllbEEZZNS1_14partition_implILS5_9ELb0ES3_jPlS8_PNS0_10empty_typeENS0_5tupleIJS8_S9_EEENSB_IJS8_SA_EEENS0_18inequality_wrapperIZN2at6native12_GLOBAL__N_124unique_dim_cuda_templateIaEESt5tupleIJNSF_6TensorESK_SK_EERKSK_lbbbEUlllE0_EEPmJS9_EEE10hipError_tPvRmT3_T4_T5_T6_T7_T9_mT8_P12ihipStream_tbDpT10_ENKUlT_T0_E_clISt17integral_constantIbLb0EES1A_EEDaS15_S16_EUlS15_E_NS1_11comp_targetILNS1_3genE3ELNS1_11target_archE908ELNS1_3gpuE7ELNS1_3repE0EEENS1_30default_config_static_selectorELNS0_4arch9wavefront6targetE0EEEvT1_: ; @_ZN7rocprim17ROCPRIM_400000_NS6detail17trampoline_kernelINS0_14default_configENS1_25partition_config_selectorILNS1_17partition_subalgoE9EllbEEZZNS1_14partition_implILS5_9ELb0ES3_jPlS8_PNS0_10empty_typeENS0_5tupleIJS8_S9_EEENSB_IJS8_SA_EEENS0_18inequality_wrapperIZN2at6native12_GLOBAL__N_124unique_dim_cuda_templateIaEESt5tupleIJNSF_6TensorESK_SK_EERKSK_lbbbEUlllE0_EEPmJS9_EEE10hipError_tPvRmT3_T4_T5_T6_T7_T9_mT8_P12ihipStream_tbDpT10_ENKUlT_T0_E_clISt17integral_constantIbLb0EES1A_EEDaS15_S16_EUlS15_E_NS1_11comp_targetILNS1_3genE3ELNS1_11target_archE908ELNS1_3gpuE7ELNS1_3repE0EEENS1_30default_config_static_selectorELNS0_4arch9wavefront6targetE0EEEvT1_
; %bb.0:
	.section	.rodata,"a",@progbits
	.p2align	6, 0x0
	.amdhsa_kernel _ZN7rocprim17ROCPRIM_400000_NS6detail17trampoline_kernelINS0_14default_configENS1_25partition_config_selectorILNS1_17partition_subalgoE9EllbEEZZNS1_14partition_implILS5_9ELb0ES3_jPlS8_PNS0_10empty_typeENS0_5tupleIJS8_S9_EEENSB_IJS8_SA_EEENS0_18inequality_wrapperIZN2at6native12_GLOBAL__N_124unique_dim_cuda_templateIaEESt5tupleIJNSF_6TensorESK_SK_EERKSK_lbbbEUlllE0_EEPmJS9_EEE10hipError_tPvRmT3_T4_T5_T6_T7_T9_mT8_P12ihipStream_tbDpT10_ENKUlT_T0_E_clISt17integral_constantIbLb0EES1A_EEDaS15_S16_EUlS15_E_NS1_11comp_targetILNS1_3genE3ELNS1_11target_archE908ELNS1_3gpuE7ELNS1_3repE0EEENS1_30default_config_static_selectorELNS0_4arch9wavefront6targetE0EEEvT1_
		.amdhsa_group_segment_fixed_size 0
		.amdhsa_private_segment_fixed_size 0
		.amdhsa_kernarg_size 120
		.amdhsa_user_sgpr_count 2
		.amdhsa_user_sgpr_dispatch_ptr 0
		.amdhsa_user_sgpr_queue_ptr 0
		.amdhsa_user_sgpr_kernarg_segment_ptr 1
		.amdhsa_user_sgpr_dispatch_id 0
		.amdhsa_user_sgpr_kernarg_preload_length 0
		.amdhsa_user_sgpr_kernarg_preload_offset 0
		.amdhsa_user_sgpr_private_segment_size 0
		.amdhsa_wavefront_size32 1
		.amdhsa_uses_dynamic_stack 0
		.amdhsa_enable_private_segment 0
		.amdhsa_system_sgpr_workgroup_id_x 1
		.amdhsa_system_sgpr_workgroup_id_y 0
		.amdhsa_system_sgpr_workgroup_id_z 0
		.amdhsa_system_sgpr_workgroup_info 0
		.amdhsa_system_vgpr_workitem_id 0
		.amdhsa_next_free_vgpr 1
		.amdhsa_next_free_sgpr 1
		.amdhsa_named_barrier_count 0
		.amdhsa_reserve_vcc 0
		.amdhsa_float_round_mode_32 0
		.amdhsa_float_round_mode_16_64 0
		.amdhsa_float_denorm_mode_32 3
		.amdhsa_float_denorm_mode_16_64 3
		.amdhsa_fp16_overflow 0
		.amdhsa_memory_ordered 1
		.amdhsa_forward_progress 1
		.amdhsa_inst_pref_size 0
		.amdhsa_round_robin_scheduling 0
		.amdhsa_exception_fp_ieee_invalid_op 0
		.amdhsa_exception_fp_denorm_src 0
		.amdhsa_exception_fp_ieee_div_zero 0
		.amdhsa_exception_fp_ieee_overflow 0
		.amdhsa_exception_fp_ieee_underflow 0
		.amdhsa_exception_fp_ieee_inexact 0
		.amdhsa_exception_int_div_zero 0
	.end_amdhsa_kernel
	.section	.text._ZN7rocprim17ROCPRIM_400000_NS6detail17trampoline_kernelINS0_14default_configENS1_25partition_config_selectorILNS1_17partition_subalgoE9EllbEEZZNS1_14partition_implILS5_9ELb0ES3_jPlS8_PNS0_10empty_typeENS0_5tupleIJS8_S9_EEENSB_IJS8_SA_EEENS0_18inequality_wrapperIZN2at6native12_GLOBAL__N_124unique_dim_cuda_templateIaEESt5tupleIJNSF_6TensorESK_SK_EERKSK_lbbbEUlllE0_EEPmJS9_EEE10hipError_tPvRmT3_T4_T5_T6_T7_T9_mT8_P12ihipStream_tbDpT10_ENKUlT_T0_E_clISt17integral_constantIbLb0EES1A_EEDaS15_S16_EUlS15_E_NS1_11comp_targetILNS1_3genE3ELNS1_11target_archE908ELNS1_3gpuE7ELNS1_3repE0EEENS1_30default_config_static_selectorELNS0_4arch9wavefront6targetE0EEEvT1_,"axG",@progbits,_ZN7rocprim17ROCPRIM_400000_NS6detail17trampoline_kernelINS0_14default_configENS1_25partition_config_selectorILNS1_17partition_subalgoE9EllbEEZZNS1_14partition_implILS5_9ELb0ES3_jPlS8_PNS0_10empty_typeENS0_5tupleIJS8_S9_EEENSB_IJS8_SA_EEENS0_18inequality_wrapperIZN2at6native12_GLOBAL__N_124unique_dim_cuda_templateIaEESt5tupleIJNSF_6TensorESK_SK_EERKSK_lbbbEUlllE0_EEPmJS9_EEE10hipError_tPvRmT3_T4_T5_T6_T7_T9_mT8_P12ihipStream_tbDpT10_ENKUlT_T0_E_clISt17integral_constantIbLb0EES1A_EEDaS15_S16_EUlS15_E_NS1_11comp_targetILNS1_3genE3ELNS1_11target_archE908ELNS1_3gpuE7ELNS1_3repE0EEENS1_30default_config_static_selectorELNS0_4arch9wavefront6targetE0EEEvT1_,comdat
.Lfunc_end354:
	.size	_ZN7rocprim17ROCPRIM_400000_NS6detail17trampoline_kernelINS0_14default_configENS1_25partition_config_selectorILNS1_17partition_subalgoE9EllbEEZZNS1_14partition_implILS5_9ELb0ES3_jPlS8_PNS0_10empty_typeENS0_5tupleIJS8_S9_EEENSB_IJS8_SA_EEENS0_18inequality_wrapperIZN2at6native12_GLOBAL__N_124unique_dim_cuda_templateIaEESt5tupleIJNSF_6TensorESK_SK_EERKSK_lbbbEUlllE0_EEPmJS9_EEE10hipError_tPvRmT3_T4_T5_T6_T7_T9_mT8_P12ihipStream_tbDpT10_ENKUlT_T0_E_clISt17integral_constantIbLb0EES1A_EEDaS15_S16_EUlS15_E_NS1_11comp_targetILNS1_3genE3ELNS1_11target_archE908ELNS1_3gpuE7ELNS1_3repE0EEENS1_30default_config_static_selectorELNS0_4arch9wavefront6targetE0EEEvT1_, .Lfunc_end354-_ZN7rocprim17ROCPRIM_400000_NS6detail17trampoline_kernelINS0_14default_configENS1_25partition_config_selectorILNS1_17partition_subalgoE9EllbEEZZNS1_14partition_implILS5_9ELb0ES3_jPlS8_PNS0_10empty_typeENS0_5tupleIJS8_S9_EEENSB_IJS8_SA_EEENS0_18inequality_wrapperIZN2at6native12_GLOBAL__N_124unique_dim_cuda_templateIaEESt5tupleIJNSF_6TensorESK_SK_EERKSK_lbbbEUlllE0_EEPmJS9_EEE10hipError_tPvRmT3_T4_T5_T6_T7_T9_mT8_P12ihipStream_tbDpT10_ENKUlT_T0_E_clISt17integral_constantIbLb0EES1A_EEDaS15_S16_EUlS15_E_NS1_11comp_targetILNS1_3genE3ELNS1_11target_archE908ELNS1_3gpuE7ELNS1_3repE0EEENS1_30default_config_static_selectorELNS0_4arch9wavefront6targetE0EEEvT1_
                                        ; -- End function
	.set _ZN7rocprim17ROCPRIM_400000_NS6detail17trampoline_kernelINS0_14default_configENS1_25partition_config_selectorILNS1_17partition_subalgoE9EllbEEZZNS1_14partition_implILS5_9ELb0ES3_jPlS8_PNS0_10empty_typeENS0_5tupleIJS8_S9_EEENSB_IJS8_SA_EEENS0_18inequality_wrapperIZN2at6native12_GLOBAL__N_124unique_dim_cuda_templateIaEESt5tupleIJNSF_6TensorESK_SK_EERKSK_lbbbEUlllE0_EEPmJS9_EEE10hipError_tPvRmT3_T4_T5_T6_T7_T9_mT8_P12ihipStream_tbDpT10_ENKUlT_T0_E_clISt17integral_constantIbLb0EES1A_EEDaS15_S16_EUlS15_E_NS1_11comp_targetILNS1_3genE3ELNS1_11target_archE908ELNS1_3gpuE7ELNS1_3repE0EEENS1_30default_config_static_selectorELNS0_4arch9wavefront6targetE0EEEvT1_.num_vgpr, 0
	.set _ZN7rocprim17ROCPRIM_400000_NS6detail17trampoline_kernelINS0_14default_configENS1_25partition_config_selectorILNS1_17partition_subalgoE9EllbEEZZNS1_14partition_implILS5_9ELb0ES3_jPlS8_PNS0_10empty_typeENS0_5tupleIJS8_S9_EEENSB_IJS8_SA_EEENS0_18inequality_wrapperIZN2at6native12_GLOBAL__N_124unique_dim_cuda_templateIaEESt5tupleIJNSF_6TensorESK_SK_EERKSK_lbbbEUlllE0_EEPmJS9_EEE10hipError_tPvRmT3_T4_T5_T6_T7_T9_mT8_P12ihipStream_tbDpT10_ENKUlT_T0_E_clISt17integral_constantIbLb0EES1A_EEDaS15_S16_EUlS15_E_NS1_11comp_targetILNS1_3genE3ELNS1_11target_archE908ELNS1_3gpuE7ELNS1_3repE0EEENS1_30default_config_static_selectorELNS0_4arch9wavefront6targetE0EEEvT1_.num_agpr, 0
	.set _ZN7rocprim17ROCPRIM_400000_NS6detail17trampoline_kernelINS0_14default_configENS1_25partition_config_selectorILNS1_17partition_subalgoE9EllbEEZZNS1_14partition_implILS5_9ELb0ES3_jPlS8_PNS0_10empty_typeENS0_5tupleIJS8_S9_EEENSB_IJS8_SA_EEENS0_18inequality_wrapperIZN2at6native12_GLOBAL__N_124unique_dim_cuda_templateIaEESt5tupleIJNSF_6TensorESK_SK_EERKSK_lbbbEUlllE0_EEPmJS9_EEE10hipError_tPvRmT3_T4_T5_T6_T7_T9_mT8_P12ihipStream_tbDpT10_ENKUlT_T0_E_clISt17integral_constantIbLb0EES1A_EEDaS15_S16_EUlS15_E_NS1_11comp_targetILNS1_3genE3ELNS1_11target_archE908ELNS1_3gpuE7ELNS1_3repE0EEENS1_30default_config_static_selectorELNS0_4arch9wavefront6targetE0EEEvT1_.numbered_sgpr, 0
	.set _ZN7rocprim17ROCPRIM_400000_NS6detail17trampoline_kernelINS0_14default_configENS1_25partition_config_selectorILNS1_17partition_subalgoE9EllbEEZZNS1_14partition_implILS5_9ELb0ES3_jPlS8_PNS0_10empty_typeENS0_5tupleIJS8_S9_EEENSB_IJS8_SA_EEENS0_18inequality_wrapperIZN2at6native12_GLOBAL__N_124unique_dim_cuda_templateIaEESt5tupleIJNSF_6TensorESK_SK_EERKSK_lbbbEUlllE0_EEPmJS9_EEE10hipError_tPvRmT3_T4_T5_T6_T7_T9_mT8_P12ihipStream_tbDpT10_ENKUlT_T0_E_clISt17integral_constantIbLb0EES1A_EEDaS15_S16_EUlS15_E_NS1_11comp_targetILNS1_3genE3ELNS1_11target_archE908ELNS1_3gpuE7ELNS1_3repE0EEENS1_30default_config_static_selectorELNS0_4arch9wavefront6targetE0EEEvT1_.num_named_barrier, 0
	.set _ZN7rocprim17ROCPRIM_400000_NS6detail17trampoline_kernelINS0_14default_configENS1_25partition_config_selectorILNS1_17partition_subalgoE9EllbEEZZNS1_14partition_implILS5_9ELb0ES3_jPlS8_PNS0_10empty_typeENS0_5tupleIJS8_S9_EEENSB_IJS8_SA_EEENS0_18inequality_wrapperIZN2at6native12_GLOBAL__N_124unique_dim_cuda_templateIaEESt5tupleIJNSF_6TensorESK_SK_EERKSK_lbbbEUlllE0_EEPmJS9_EEE10hipError_tPvRmT3_T4_T5_T6_T7_T9_mT8_P12ihipStream_tbDpT10_ENKUlT_T0_E_clISt17integral_constantIbLb0EES1A_EEDaS15_S16_EUlS15_E_NS1_11comp_targetILNS1_3genE3ELNS1_11target_archE908ELNS1_3gpuE7ELNS1_3repE0EEENS1_30default_config_static_selectorELNS0_4arch9wavefront6targetE0EEEvT1_.private_seg_size, 0
	.set _ZN7rocprim17ROCPRIM_400000_NS6detail17trampoline_kernelINS0_14default_configENS1_25partition_config_selectorILNS1_17partition_subalgoE9EllbEEZZNS1_14partition_implILS5_9ELb0ES3_jPlS8_PNS0_10empty_typeENS0_5tupleIJS8_S9_EEENSB_IJS8_SA_EEENS0_18inequality_wrapperIZN2at6native12_GLOBAL__N_124unique_dim_cuda_templateIaEESt5tupleIJNSF_6TensorESK_SK_EERKSK_lbbbEUlllE0_EEPmJS9_EEE10hipError_tPvRmT3_T4_T5_T6_T7_T9_mT8_P12ihipStream_tbDpT10_ENKUlT_T0_E_clISt17integral_constantIbLb0EES1A_EEDaS15_S16_EUlS15_E_NS1_11comp_targetILNS1_3genE3ELNS1_11target_archE908ELNS1_3gpuE7ELNS1_3repE0EEENS1_30default_config_static_selectorELNS0_4arch9wavefront6targetE0EEEvT1_.uses_vcc, 0
	.set _ZN7rocprim17ROCPRIM_400000_NS6detail17trampoline_kernelINS0_14default_configENS1_25partition_config_selectorILNS1_17partition_subalgoE9EllbEEZZNS1_14partition_implILS5_9ELb0ES3_jPlS8_PNS0_10empty_typeENS0_5tupleIJS8_S9_EEENSB_IJS8_SA_EEENS0_18inequality_wrapperIZN2at6native12_GLOBAL__N_124unique_dim_cuda_templateIaEESt5tupleIJNSF_6TensorESK_SK_EERKSK_lbbbEUlllE0_EEPmJS9_EEE10hipError_tPvRmT3_T4_T5_T6_T7_T9_mT8_P12ihipStream_tbDpT10_ENKUlT_T0_E_clISt17integral_constantIbLb0EES1A_EEDaS15_S16_EUlS15_E_NS1_11comp_targetILNS1_3genE3ELNS1_11target_archE908ELNS1_3gpuE7ELNS1_3repE0EEENS1_30default_config_static_selectorELNS0_4arch9wavefront6targetE0EEEvT1_.uses_flat_scratch, 0
	.set _ZN7rocprim17ROCPRIM_400000_NS6detail17trampoline_kernelINS0_14default_configENS1_25partition_config_selectorILNS1_17partition_subalgoE9EllbEEZZNS1_14partition_implILS5_9ELb0ES3_jPlS8_PNS0_10empty_typeENS0_5tupleIJS8_S9_EEENSB_IJS8_SA_EEENS0_18inequality_wrapperIZN2at6native12_GLOBAL__N_124unique_dim_cuda_templateIaEESt5tupleIJNSF_6TensorESK_SK_EERKSK_lbbbEUlllE0_EEPmJS9_EEE10hipError_tPvRmT3_T4_T5_T6_T7_T9_mT8_P12ihipStream_tbDpT10_ENKUlT_T0_E_clISt17integral_constantIbLb0EES1A_EEDaS15_S16_EUlS15_E_NS1_11comp_targetILNS1_3genE3ELNS1_11target_archE908ELNS1_3gpuE7ELNS1_3repE0EEENS1_30default_config_static_selectorELNS0_4arch9wavefront6targetE0EEEvT1_.has_dyn_sized_stack, 0
	.set _ZN7rocprim17ROCPRIM_400000_NS6detail17trampoline_kernelINS0_14default_configENS1_25partition_config_selectorILNS1_17partition_subalgoE9EllbEEZZNS1_14partition_implILS5_9ELb0ES3_jPlS8_PNS0_10empty_typeENS0_5tupleIJS8_S9_EEENSB_IJS8_SA_EEENS0_18inequality_wrapperIZN2at6native12_GLOBAL__N_124unique_dim_cuda_templateIaEESt5tupleIJNSF_6TensorESK_SK_EERKSK_lbbbEUlllE0_EEPmJS9_EEE10hipError_tPvRmT3_T4_T5_T6_T7_T9_mT8_P12ihipStream_tbDpT10_ENKUlT_T0_E_clISt17integral_constantIbLb0EES1A_EEDaS15_S16_EUlS15_E_NS1_11comp_targetILNS1_3genE3ELNS1_11target_archE908ELNS1_3gpuE7ELNS1_3repE0EEENS1_30default_config_static_selectorELNS0_4arch9wavefront6targetE0EEEvT1_.has_recursion, 0
	.set _ZN7rocprim17ROCPRIM_400000_NS6detail17trampoline_kernelINS0_14default_configENS1_25partition_config_selectorILNS1_17partition_subalgoE9EllbEEZZNS1_14partition_implILS5_9ELb0ES3_jPlS8_PNS0_10empty_typeENS0_5tupleIJS8_S9_EEENSB_IJS8_SA_EEENS0_18inequality_wrapperIZN2at6native12_GLOBAL__N_124unique_dim_cuda_templateIaEESt5tupleIJNSF_6TensorESK_SK_EERKSK_lbbbEUlllE0_EEPmJS9_EEE10hipError_tPvRmT3_T4_T5_T6_T7_T9_mT8_P12ihipStream_tbDpT10_ENKUlT_T0_E_clISt17integral_constantIbLb0EES1A_EEDaS15_S16_EUlS15_E_NS1_11comp_targetILNS1_3genE3ELNS1_11target_archE908ELNS1_3gpuE7ELNS1_3repE0EEENS1_30default_config_static_selectorELNS0_4arch9wavefront6targetE0EEEvT1_.has_indirect_call, 0
	.section	.AMDGPU.csdata,"",@progbits
; Kernel info:
; codeLenInByte = 0
; TotalNumSgprs: 0
; NumVgprs: 0
; ScratchSize: 0
; MemoryBound: 0
; FloatMode: 240
; IeeeMode: 1
; LDSByteSize: 0 bytes/workgroup (compile time only)
; SGPRBlocks: 0
; VGPRBlocks: 0
; NumSGPRsForWavesPerEU: 1
; NumVGPRsForWavesPerEU: 1
; NamedBarCnt: 0
; Occupancy: 16
; WaveLimiterHint : 0
; COMPUTE_PGM_RSRC2:SCRATCH_EN: 0
; COMPUTE_PGM_RSRC2:USER_SGPR: 2
; COMPUTE_PGM_RSRC2:TRAP_HANDLER: 0
; COMPUTE_PGM_RSRC2:TGID_X_EN: 1
; COMPUTE_PGM_RSRC2:TGID_Y_EN: 0
; COMPUTE_PGM_RSRC2:TGID_Z_EN: 0
; COMPUTE_PGM_RSRC2:TIDIG_COMP_CNT: 0
	.section	.text._ZN7rocprim17ROCPRIM_400000_NS6detail17trampoline_kernelINS0_14default_configENS1_25partition_config_selectorILNS1_17partition_subalgoE9EllbEEZZNS1_14partition_implILS5_9ELb0ES3_jPlS8_PNS0_10empty_typeENS0_5tupleIJS8_S9_EEENSB_IJS8_SA_EEENS0_18inequality_wrapperIZN2at6native12_GLOBAL__N_124unique_dim_cuda_templateIaEESt5tupleIJNSF_6TensorESK_SK_EERKSK_lbbbEUlllE0_EEPmJS9_EEE10hipError_tPvRmT3_T4_T5_T6_T7_T9_mT8_P12ihipStream_tbDpT10_ENKUlT_T0_E_clISt17integral_constantIbLb0EES1A_EEDaS15_S16_EUlS15_E_NS1_11comp_targetILNS1_3genE2ELNS1_11target_archE906ELNS1_3gpuE6ELNS1_3repE0EEENS1_30default_config_static_selectorELNS0_4arch9wavefront6targetE0EEEvT1_,"axG",@progbits,_ZN7rocprim17ROCPRIM_400000_NS6detail17trampoline_kernelINS0_14default_configENS1_25partition_config_selectorILNS1_17partition_subalgoE9EllbEEZZNS1_14partition_implILS5_9ELb0ES3_jPlS8_PNS0_10empty_typeENS0_5tupleIJS8_S9_EEENSB_IJS8_SA_EEENS0_18inequality_wrapperIZN2at6native12_GLOBAL__N_124unique_dim_cuda_templateIaEESt5tupleIJNSF_6TensorESK_SK_EERKSK_lbbbEUlllE0_EEPmJS9_EEE10hipError_tPvRmT3_T4_T5_T6_T7_T9_mT8_P12ihipStream_tbDpT10_ENKUlT_T0_E_clISt17integral_constantIbLb0EES1A_EEDaS15_S16_EUlS15_E_NS1_11comp_targetILNS1_3genE2ELNS1_11target_archE906ELNS1_3gpuE6ELNS1_3repE0EEENS1_30default_config_static_selectorELNS0_4arch9wavefront6targetE0EEEvT1_,comdat
	.globl	_ZN7rocprim17ROCPRIM_400000_NS6detail17trampoline_kernelINS0_14default_configENS1_25partition_config_selectorILNS1_17partition_subalgoE9EllbEEZZNS1_14partition_implILS5_9ELb0ES3_jPlS8_PNS0_10empty_typeENS0_5tupleIJS8_S9_EEENSB_IJS8_SA_EEENS0_18inequality_wrapperIZN2at6native12_GLOBAL__N_124unique_dim_cuda_templateIaEESt5tupleIJNSF_6TensorESK_SK_EERKSK_lbbbEUlllE0_EEPmJS9_EEE10hipError_tPvRmT3_T4_T5_T6_T7_T9_mT8_P12ihipStream_tbDpT10_ENKUlT_T0_E_clISt17integral_constantIbLb0EES1A_EEDaS15_S16_EUlS15_E_NS1_11comp_targetILNS1_3genE2ELNS1_11target_archE906ELNS1_3gpuE6ELNS1_3repE0EEENS1_30default_config_static_selectorELNS0_4arch9wavefront6targetE0EEEvT1_ ; -- Begin function _ZN7rocprim17ROCPRIM_400000_NS6detail17trampoline_kernelINS0_14default_configENS1_25partition_config_selectorILNS1_17partition_subalgoE9EllbEEZZNS1_14partition_implILS5_9ELb0ES3_jPlS8_PNS0_10empty_typeENS0_5tupleIJS8_S9_EEENSB_IJS8_SA_EEENS0_18inequality_wrapperIZN2at6native12_GLOBAL__N_124unique_dim_cuda_templateIaEESt5tupleIJNSF_6TensorESK_SK_EERKSK_lbbbEUlllE0_EEPmJS9_EEE10hipError_tPvRmT3_T4_T5_T6_T7_T9_mT8_P12ihipStream_tbDpT10_ENKUlT_T0_E_clISt17integral_constantIbLb0EES1A_EEDaS15_S16_EUlS15_E_NS1_11comp_targetILNS1_3genE2ELNS1_11target_archE906ELNS1_3gpuE6ELNS1_3repE0EEENS1_30default_config_static_selectorELNS0_4arch9wavefront6targetE0EEEvT1_
	.p2align	8
	.type	_ZN7rocprim17ROCPRIM_400000_NS6detail17trampoline_kernelINS0_14default_configENS1_25partition_config_selectorILNS1_17partition_subalgoE9EllbEEZZNS1_14partition_implILS5_9ELb0ES3_jPlS8_PNS0_10empty_typeENS0_5tupleIJS8_S9_EEENSB_IJS8_SA_EEENS0_18inequality_wrapperIZN2at6native12_GLOBAL__N_124unique_dim_cuda_templateIaEESt5tupleIJNSF_6TensorESK_SK_EERKSK_lbbbEUlllE0_EEPmJS9_EEE10hipError_tPvRmT3_T4_T5_T6_T7_T9_mT8_P12ihipStream_tbDpT10_ENKUlT_T0_E_clISt17integral_constantIbLb0EES1A_EEDaS15_S16_EUlS15_E_NS1_11comp_targetILNS1_3genE2ELNS1_11target_archE906ELNS1_3gpuE6ELNS1_3repE0EEENS1_30default_config_static_selectorELNS0_4arch9wavefront6targetE0EEEvT1_,@function
_ZN7rocprim17ROCPRIM_400000_NS6detail17trampoline_kernelINS0_14default_configENS1_25partition_config_selectorILNS1_17partition_subalgoE9EllbEEZZNS1_14partition_implILS5_9ELb0ES3_jPlS8_PNS0_10empty_typeENS0_5tupleIJS8_S9_EEENSB_IJS8_SA_EEENS0_18inequality_wrapperIZN2at6native12_GLOBAL__N_124unique_dim_cuda_templateIaEESt5tupleIJNSF_6TensorESK_SK_EERKSK_lbbbEUlllE0_EEPmJS9_EEE10hipError_tPvRmT3_T4_T5_T6_T7_T9_mT8_P12ihipStream_tbDpT10_ENKUlT_T0_E_clISt17integral_constantIbLb0EES1A_EEDaS15_S16_EUlS15_E_NS1_11comp_targetILNS1_3genE2ELNS1_11target_archE906ELNS1_3gpuE6ELNS1_3repE0EEENS1_30default_config_static_selectorELNS0_4arch9wavefront6targetE0EEEvT1_: ; @_ZN7rocprim17ROCPRIM_400000_NS6detail17trampoline_kernelINS0_14default_configENS1_25partition_config_selectorILNS1_17partition_subalgoE9EllbEEZZNS1_14partition_implILS5_9ELb0ES3_jPlS8_PNS0_10empty_typeENS0_5tupleIJS8_S9_EEENSB_IJS8_SA_EEENS0_18inequality_wrapperIZN2at6native12_GLOBAL__N_124unique_dim_cuda_templateIaEESt5tupleIJNSF_6TensorESK_SK_EERKSK_lbbbEUlllE0_EEPmJS9_EEE10hipError_tPvRmT3_T4_T5_T6_T7_T9_mT8_P12ihipStream_tbDpT10_ENKUlT_T0_E_clISt17integral_constantIbLb0EES1A_EEDaS15_S16_EUlS15_E_NS1_11comp_targetILNS1_3genE2ELNS1_11target_archE906ELNS1_3gpuE6ELNS1_3repE0EEENS1_30default_config_static_selectorELNS0_4arch9wavefront6targetE0EEEvT1_
; %bb.0:
	.section	.rodata,"a",@progbits
	.p2align	6, 0x0
	.amdhsa_kernel _ZN7rocprim17ROCPRIM_400000_NS6detail17trampoline_kernelINS0_14default_configENS1_25partition_config_selectorILNS1_17partition_subalgoE9EllbEEZZNS1_14partition_implILS5_9ELb0ES3_jPlS8_PNS0_10empty_typeENS0_5tupleIJS8_S9_EEENSB_IJS8_SA_EEENS0_18inequality_wrapperIZN2at6native12_GLOBAL__N_124unique_dim_cuda_templateIaEESt5tupleIJNSF_6TensorESK_SK_EERKSK_lbbbEUlllE0_EEPmJS9_EEE10hipError_tPvRmT3_T4_T5_T6_T7_T9_mT8_P12ihipStream_tbDpT10_ENKUlT_T0_E_clISt17integral_constantIbLb0EES1A_EEDaS15_S16_EUlS15_E_NS1_11comp_targetILNS1_3genE2ELNS1_11target_archE906ELNS1_3gpuE6ELNS1_3repE0EEENS1_30default_config_static_selectorELNS0_4arch9wavefront6targetE0EEEvT1_
		.amdhsa_group_segment_fixed_size 0
		.amdhsa_private_segment_fixed_size 0
		.amdhsa_kernarg_size 120
		.amdhsa_user_sgpr_count 2
		.amdhsa_user_sgpr_dispatch_ptr 0
		.amdhsa_user_sgpr_queue_ptr 0
		.amdhsa_user_sgpr_kernarg_segment_ptr 1
		.amdhsa_user_sgpr_dispatch_id 0
		.amdhsa_user_sgpr_kernarg_preload_length 0
		.amdhsa_user_sgpr_kernarg_preload_offset 0
		.amdhsa_user_sgpr_private_segment_size 0
		.amdhsa_wavefront_size32 1
		.amdhsa_uses_dynamic_stack 0
		.amdhsa_enable_private_segment 0
		.amdhsa_system_sgpr_workgroup_id_x 1
		.amdhsa_system_sgpr_workgroup_id_y 0
		.amdhsa_system_sgpr_workgroup_id_z 0
		.amdhsa_system_sgpr_workgroup_info 0
		.amdhsa_system_vgpr_workitem_id 0
		.amdhsa_next_free_vgpr 1
		.amdhsa_next_free_sgpr 1
		.amdhsa_named_barrier_count 0
		.amdhsa_reserve_vcc 0
		.amdhsa_float_round_mode_32 0
		.amdhsa_float_round_mode_16_64 0
		.amdhsa_float_denorm_mode_32 3
		.amdhsa_float_denorm_mode_16_64 3
		.amdhsa_fp16_overflow 0
		.amdhsa_memory_ordered 1
		.amdhsa_forward_progress 1
		.amdhsa_inst_pref_size 0
		.amdhsa_round_robin_scheduling 0
		.amdhsa_exception_fp_ieee_invalid_op 0
		.amdhsa_exception_fp_denorm_src 0
		.amdhsa_exception_fp_ieee_div_zero 0
		.amdhsa_exception_fp_ieee_overflow 0
		.amdhsa_exception_fp_ieee_underflow 0
		.amdhsa_exception_fp_ieee_inexact 0
		.amdhsa_exception_int_div_zero 0
	.end_amdhsa_kernel
	.section	.text._ZN7rocprim17ROCPRIM_400000_NS6detail17trampoline_kernelINS0_14default_configENS1_25partition_config_selectorILNS1_17partition_subalgoE9EllbEEZZNS1_14partition_implILS5_9ELb0ES3_jPlS8_PNS0_10empty_typeENS0_5tupleIJS8_S9_EEENSB_IJS8_SA_EEENS0_18inequality_wrapperIZN2at6native12_GLOBAL__N_124unique_dim_cuda_templateIaEESt5tupleIJNSF_6TensorESK_SK_EERKSK_lbbbEUlllE0_EEPmJS9_EEE10hipError_tPvRmT3_T4_T5_T6_T7_T9_mT8_P12ihipStream_tbDpT10_ENKUlT_T0_E_clISt17integral_constantIbLb0EES1A_EEDaS15_S16_EUlS15_E_NS1_11comp_targetILNS1_3genE2ELNS1_11target_archE906ELNS1_3gpuE6ELNS1_3repE0EEENS1_30default_config_static_selectorELNS0_4arch9wavefront6targetE0EEEvT1_,"axG",@progbits,_ZN7rocprim17ROCPRIM_400000_NS6detail17trampoline_kernelINS0_14default_configENS1_25partition_config_selectorILNS1_17partition_subalgoE9EllbEEZZNS1_14partition_implILS5_9ELb0ES3_jPlS8_PNS0_10empty_typeENS0_5tupleIJS8_S9_EEENSB_IJS8_SA_EEENS0_18inequality_wrapperIZN2at6native12_GLOBAL__N_124unique_dim_cuda_templateIaEESt5tupleIJNSF_6TensorESK_SK_EERKSK_lbbbEUlllE0_EEPmJS9_EEE10hipError_tPvRmT3_T4_T5_T6_T7_T9_mT8_P12ihipStream_tbDpT10_ENKUlT_T0_E_clISt17integral_constantIbLb0EES1A_EEDaS15_S16_EUlS15_E_NS1_11comp_targetILNS1_3genE2ELNS1_11target_archE906ELNS1_3gpuE6ELNS1_3repE0EEENS1_30default_config_static_selectorELNS0_4arch9wavefront6targetE0EEEvT1_,comdat
.Lfunc_end355:
	.size	_ZN7rocprim17ROCPRIM_400000_NS6detail17trampoline_kernelINS0_14default_configENS1_25partition_config_selectorILNS1_17partition_subalgoE9EllbEEZZNS1_14partition_implILS5_9ELb0ES3_jPlS8_PNS0_10empty_typeENS0_5tupleIJS8_S9_EEENSB_IJS8_SA_EEENS0_18inequality_wrapperIZN2at6native12_GLOBAL__N_124unique_dim_cuda_templateIaEESt5tupleIJNSF_6TensorESK_SK_EERKSK_lbbbEUlllE0_EEPmJS9_EEE10hipError_tPvRmT3_T4_T5_T6_T7_T9_mT8_P12ihipStream_tbDpT10_ENKUlT_T0_E_clISt17integral_constantIbLb0EES1A_EEDaS15_S16_EUlS15_E_NS1_11comp_targetILNS1_3genE2ELNS1_11target_archE906ELNS1_3gpuE6ELNS1_3repE0EEENS1_30default_config_static_selectorELNS0_4arch9wavefront6targetE0EEEvT1_, .Lfunc_end355-_ZN7rocprim17ROCPRIM_400000_NS6detail17trampoline_kernelINS0_14default_configENS1_25partition_config_selectorILNS1_17partition_subalgoE9EllbEEZZNS1_14partition_implILS5_9ELb0ES3_jPlS8_PNS0_10empty_typeENS0_5tupleIJS8_S9_EEENSB_IJS8_SA_EEENS0_18inequality_wrapperIZN2at6native12_GLOBAL__N_124unique_dim_cuda_templateIaEESt5tupleIJNSF_6TensorESK_SK_EERKSK_lbbbEUlllE0_EEPmJS9_EEE10hipError_tPvRmT3_T4_T5_T6_T7_T9_mT8_P12ihipStream_tbDpT10_ENKUlT_T0_E_clISt17integral_constantIbLb0EES1A_EEDaS15_S16_EUlS15_E_NS1_11comp_targetILNS1_3genE2ELNS1_11target_archE906ELNS1_3gpuE6ELNS1_3repE0EEENS1_30default_config_static_selectorELNS0_4arch9wavefront6targetE0EEEvT1_
                                        ; -- End function
	.set _ZN7rocprim17ROCPRIM_400000_NS6detail17trampoline_kernelINS0_14default_configENS1_25partition_config_selectorILNS1_17partition_subalgoE9EllbEEZZNS1_14partition_implILS5_9ELb0ES3_jPlS8_PNS0_10empty_typeENS0_5tupleIJS8_S9_EEENSB_IJS8_SA_EEENS0_18inequality_wrapperIZN2at6native12_GLOBAL__N_124unique_dim_cuda_templateIaEESt5tupleIJNSF_6TensorESK_SK_EERKSK_lbbbEUlllE0_EEPmJS9_EEE10hipError_tPvRmT3_T4_T5_T6_T7_T9_mT8_P12ihipStream_tbDpT10_ENKUlT_T0_E_clISt17integral_constantIbLb0EES1A_EEDaS15_S16_EUlS15_E_NS1_11comp_targetILNS1_3genE2ELNS1_11target_archE906ELNS1_3gpuE6ELNS1_3repE0EEENS1_30default_config_static_selectorELNS0_4arch9wavefront6targetE0EEEvT1_.num_vgpr, 0
	.set _ZN7rocprim17ROCPRIM_400000_NS6detail17trampoline_kernelINS0_14default_configENS1_25partition_config_selectorILNS1_17partition_subalgoE9EllbEEZZNS1_14partition_implILS5_9ELb0ES3_jPlS8_PNS0_10empty_typeENS0_5tupleIJS8_S9_EEENSB_IJS8_SA_EEENS0_18inequality_wrapperIZN2at6native12_GLOBAL__N_124unique_dim_cuda_templateIaEESt5tupleIJNSF_6TensorESK_SK_EERKSK_lbbbEUlllE0_EEPmJS9_EEE10hipError_tPvRmT3_T4_T5_T6_T7_T9_mT8_P12ihipStream_tbDpT10_ENKUlT_T0_E_clISt17integral_constantIbLb0EES1A_EEDaS15_S16_EUlS15_E_NS1_11comp_targetILNS1_3genE2ELNS1_11target_archE906ELNS1_3gpuE6ELNS1_3repE0EEENS1_30default_config_static_selectorELNS0_4arch9wavefront6targetE0EEEvT1_.num_agpr, 0
	.set _ZN7rocprim17ROCPRIM_400000_NS6detail17trampoline_kernelINS0_14default_configENS1_25partition_config_selectorILNS1_17partition_subalgoE9EllbEEZZNS1_14partition_implILS5_9ELb0ES3_jPlS8_PNS0_10empty_typeENS0_5tupleIJS8_S9_EEENSB_IJS8_SA_EEENS0_18inequality_wrapperIZN2at6native12_GLOBAL__N_124unique_dim_cuda_templateIaEESt5tupleIJNSF_6TensorESK_SK_EERKSK_lbbbEUlllE0_EEPmJS9_EEE10hipError_tPvRmT3_T4_T5_T6_T7_T9_mT8_P12ihipStream_tbDpT10_ENKUlT_T0_E_clISt17integral_constantIbLb0EES1A_EEDaS15_S16_EUlS15_E_NS1_11comp_targetILNS1_3genE2ELNS1_11target_archE906ELNS1_3gpuE6ELNS1_3repE0EEENS1_30default_config_static_selectorELNS0_4arch9wavefront6targetE0EEEvT1_.numbered_sgpr, 0
	.set _ZN7rocprim17ROCPRIM_400000_NS6detail17trampoline_kernelINS0_14default_configENS1_25partition_config_selectorILNS1_17partition_subalgoE9EllbEEZZNS1_14partition_implILS5_9ELb0ES3_jPlS8_PNS0_10empty_typeENS0_5tupleIJS8_S9_EEENSB_IJS8_SA_EEENS0_18inequality_wrapperIZN2at6native12_GLOBAL__N_124unique_dim_cuda_templateIaEESt5tupleIJNSF_6TensorESK_SK_EERKSK_lbbbEUlllE0_EEPmJS9_EEE10hipError_tPvRmT3_T4_T5_T6_T7_T9_mT8_P12ihipStream_tbDpT10_ENKUlT_T0_E_clISt17integral_constantIbLb0EES1A_EEDaS15_S16_EUlS15_E_NS1_11comp_targetILNS1_3genE2ELNS1_11target_archE906ELNS1_3gpuE6ELNS1_3repE0EEENS1_30default_config_static_selectorELNS0_4arch9wavefront6targetE0EEEvT1_.num_named_barrier, 0
	.set _ZN7rocprim17ROCPRIM_400000_NS6detail17trampoline_kernelINS0_14default_configENS1_25partition_config_selectorILNS1_17partition_subalgoE9EllbEEZZNS1_14partition_implILS5_9ELb0ES3_jPlS8_PNS0_10empty_typeENS0_5tupleIJS8_S9_EEENSB_IJS8_SA_EEENS0_18inequality_wrapperIZN2at6native12_GLOBAL__N_124unique_dim_cuda_templateIaEESt5tupleIJNSF_6TensorESK_SK_EERKSK_lbbbEUlllE0_EEPmJS9_EEE10hipError_tPvRmT3_T4_T5_T6_T7_T9_mT8_P12ihipStream_tbDpT10_ENKUlT_T0_E_clISt17integral_constantIbLb0EES1A_EEDaS15_S16_EUlS15_E_NS1_11comp_targetILNS1_3genE2ELNS1_11target_archE906ELNS1_3gpuE6ELNS1_3repE0EEENS1_30default_config_static_selectorELNS0_4arch9wavefront6targetE0EEEvT1_.private_seg_size, 0
	.set _ZN7rocprim17ROCPRIM_400000_NS6detail17trampoline_kernelINS0_14default_configENS1_25partition_config_selectorILNS1_17partition_subalgoE9EllbEEZZNS1_14partition_implILS5_9ELb0ES3_jPlS8_PNS0_10empty_typeENS0_5tupleIJS8_S9_EEENSB_IJS8_SA_EEENS0_18inequality_wrapperIZN2at6native12_GLOBAL__N_124unique_dim_cuda_templateIaEESt5tupleIJNSF_6TensorESK_SK_EERKSK_lbbbEUlllE0_EEPmJS9_EEE10hipError_tPvRmT3_T4_T5_T6_T7_T9_mT8_P12ihipStream_tbDpT10_ENKUlT_T0_E_clISt17integral_constantIbLb0EES1A_EEDaS15_S16_EUlS15_E_NS1_11comp_targetILNS1_3genE2ELNS1_11target_archE906ELNS1_3gpuE6ELNS1_3repE0EEENS1_30default_config_static_selectorELNS0_4arch9wavefront6targetE0EEEvT1_.uses_vcc, 0
	.set _ZN7rocprim17ROCPRIM_400000_NS6detail17trampoline_kernelINS0_14default_configENS1_25partition_config_selectorILNS1_17partition_subalgoE9EllbEEZZNS1_14partition_implILS5_9ELb0ES3_jPlS8_PNS0_10empty_typeENS0_5tupleIJS8_S9_EEENSB_IJS8_SA_EEENS0_18inequality_wrapperIZN2at6native12_GLOBAL__N_124unique_dim_cuda_templateIaEESt5tupleIJNSF_6TensorESK_SK_EERKSK_lbbbEUlllE0_EEPmJS9_EEE10hipError_tPvRmT3_T4_T5_T6_T7_T9_mT8_P12ihipStream_tbDpT10_ENKUlT_T0_E_clISt17integral_constantIbLb0EES1A_EEDaS15_S16_EUlS15_E_NS1_11comp_targetILNS1_3genE2ELNS1_11target_archE906ELNS1_3gpuE6ELNS1_3repE0EEENS1_30default_config_static_selectorELNS0_4arch9wavefront6targetE0EEEvT1_.uses_flat_scratch, 0
	.set _ZN7rocprim17ROCPRIM_400000_NS6detail17trampoline_kernelINS0_14default_configENS1_25partition_config_selectorILNS1_17partition_subalgoE9EllbEEZZNS1_14partition_implILS5_9ELb0ES3_jPlS8_PNS0_10empty_typeENS0_5tupleIJS8_S9_EEENSB_IJS8_SA_EEENS0_18inequality_wrapperIZN2at6native12_GLOBAL__N_124unique_dim_cuda_templateIaEESt5tupleIJNSF_6TensorESK_SK_EERKSK_lbbbEUlllE0_EEPmJS9_EEE10hipError_tPvRmT3_T4_T5_T6_T7_T9_mT8_P12ihipStream_tbDpT10_ENKUlT_T0_E_clISt17integral_constantIbLb0EES1A_EEDaS15_S16_EUlS15_E_NS1_11comp_targetILNS1_3genE2ELNS1_11target_archE906ELNS1_3gpuE6ELNS1_3repE0EEENS1_30default_config_static_selectorELNS0_4arch9wavefront6targetE0EEEvT1_.has_dyn_sized_stack, 0
	.set _ZN7rocprim17ROCPRIM_400000_NS6detail17trampoline_kernelINS0_14default_configENS1_25partition_config_selectorILNS1_17partition_subalgoE9EllbEEZZNS1_14partition_implILS5_9ELb0ES3_jPlS8_PNS0_10empty_typeENS0_5tupleIJS8_S9_EEENSB_IJS8_SA_EEENS0_18inequality_wrapperIZN2at6native12_GLOBAL__N_124unique_dim_cuda_templateIaEESt5tupleIJNSF_6TensorESK_SK_EERKSK_lbbbEUlllE0_EEPmJS9_EEE10hipError_tPvRmT3_T4_T5_T6_T7_T9_mT8_P12ihipStream_tbDpT10_ENKUlT_T0_E_clISt17integral_constantIbLb0EES1A_EEDaS15_S16_EUlS15_E_NS1_11comp_targetILNS1_3genE2ELNS1_11target_archE906ELNS1_3gpuE6ELNS1_3repE0EEENS1_30default_config_static_selectorELNS0_4arch9wavefront6targetE0EEEvT1_.has_recursion, 0
	.set _ZN7rocprim17ROCPRIM_400000_NS6detail17trampoline_kernelINS0_14default_configENS1_25partition_config_selectorILNS1_17partition_subalgoE9EllbEEZZNS1_14partition_implILS5_9ELb0ES3_jPlS8_PNS0_10empty_typeENS0_5tupleIJS8_S9_EEENSB_IJS8_SA_EEENS0_18inequality_wrapperIZN2at6native12_GLOBAL__N_124unique_dim_cuda_templateIaEESt5tupleIJNSF_6TensorESK_SK_EERKSK_lbbbEUlllE0_EEPmJS9_EEE10hipError_tPvRmT3_T4_T5_T6_T7_T9_mT8_P12ihipStream_tbDpT10_ENKUlT_T0_E_clISt17integral_constantIbLb0EES1A_EEDaS15_S16_EUlS15_E_NS1_11comp_targetILNS1_3genE2ELNS1_11target_archE906ELNS1_3gpuE6ELNS1_3repE0EEENS1_30default_config_static_selectorELNS0_4arch9wavefront6targetE0EEEvT1_.has_indirect_call, 0
	.section	.AMDGPU.csdata,"",@progbits
; Kernel info:
; codeLenInByte = 0
; TotalNumSgprs: 0
; NumVgprs: 0
; ScratchSize: 0
; MemoryBound: 0
; FloatMode: 240
; IeeeMode: 1
; LDSByteSize: 0 bytes/workgroup (compile time only)
; SGPRBlocks: 0
; VGPRBlocks: 0
; NumSGPRsForWavesPerEU: 1
; NumVGPRsForWavesPerEU: 1
; NamedBarCnt: 0
; Occupancy: 16
; WaveLimiterHint : 0
; COMPUTE_PGM_RSRC2:SCRATCH_EN: 0
; COMPUTE_PGM_RSRC2:USER_SGPR: 2
; COMPUTE_PGM_RSRC2:TRAP_HANDLER: 0
; COMPUTE_PGM_RSRC2:TGID_X_EN: 1
; COMPUTE_PGM_RSRC2:TGID_Y_EN: 0
; COMPUTE_PGM_RSRC2:TGID_Z_EN: 0
; COMPUTE_PGM_RSRC2:TIDIG_COMP_CNT: 0
	.section	.text._ZN7rocprim17ROCPRIM_400000_NS6detail17trampoline_kernelINS0_14default_configENS1_25partition_config_selectorILNS1_17partition_subalgoE9EllbEEZZNS1_14partition_implILS5_9ELb0ES3_jPlS8_PNS0_10empty_typeENS0_5tupleIJS8_S9_EEENSB_IJS8_SA_EEENS0_18inequality_wrapperIZN2at6native12_GLOBAL__N_124unique_dim_cuda_templateIaEESt5tupleIJNSF_6TensorESK_SK_EERKSK_lbbbEUlllE0_EEPmJS9_EEE10hipError_tPvRmT3_T4_T5_T6_T7_T9_mT8_P12ihipStream_tbDpT10_ENKUlT_T0_E_clISt17integral_constantIbLb0EES1A_EEDaS15_S16_EUlS15_E_NS1_11comp_targetILNS1_3genE10ELNS1_11target_archE1200ELNS1_3gpuE4ELNS1_3repE0EEENS1_30default_config_static_selectorELNS0_4arch9wavefront6targetE0EEEvT1_,"axG",@progbits,_ZN7rocprim17ROCPRIM_400000_NS6detail17trampoline_kernelINS0_14default_configENS1_25partition_config_selectorILNS1_17partition_subalgoE9EllbEEZZNS1_14partition_implILS5_9ELb0ES3_jPlS8_PNS0_10empty_typeENS0_5tupleIJS8_S9_EEENSB_IJS8_SA_EEENS0_18inequality_wrapperIZN2at6native12_GLOBAL__N_124unique_dim_cuda_templateIaEESt5tupleIJNSF_6TensorESK_SK_EERKSK_lbbbEUlllE0_EEPmJS9_EEE10hipError_tPvRmT3_T4_T5_T6_T7_T9_mT8_P12ihipStream_tbDpT10_ENKUlT_T0_E_clISt17integral_constantIbLb0EES1A_EEDaS15_S16_EUlS15_E_NS1_11comp_targetILNS1_3genE10ELNS1_11target_archE1200ELNS1_3gpuE4ELNS1_3repE0EEENS1_30default_config_static_selectorELNS0_4arch9wavefront6targetE0EEEvT1_,comdat
	.globl	_ZN7rocprim17ROCPRIM_400000_NS6detail17trampoline_kernelINS0_14default_configENS1_25partition_config_selectorILNS1_17partition_subalgoE9EllbEEZZNS1_14partition_implILS5_9ELb0ES3_jPlS8_PNS0_10empty_typeENS0_5tupleIJS8_S9_EEENSB_IJS8_SA_EEENS0_18inequality_wrapperIZN2at6native12_GLOBAL__N_124unique_dim_cuda_templateIaEESt5tupleIJNSF_6TensorESK_SK_EERKSK_lbbbEUlllE0_EEPmJS9_EEE10hipError_tPvRmT3_T4_T5_T6_T7_T9_mT8_P12ihipStream_tbDpT10_ENKUlT_T0_E_clISt17integral_constantIbLb0EES1A_EEDaS15_S16_EUlS15_E_NS1_11comp_targetILNS1_3genE10ELNS1_11target_archE1200ELNS1_3gpuE4ELNS1_3repE0EEENS1_30default_config_static_selectorELNS0_4arch9wavefront6targetE0EEEvT1_ ; -- Begin function _ZN7rocprim17ROCPRIM_400000_NS6detail17trampoline_kernelINS0_14default_configENS1_25partition_config_selectorILNS1_17partition_subalgoE9EllbEEZZNS1_14partition_implILS5_9ELb0ES3_jPlS8_PNS0_10empty_typeENS0_5tupleIJS8_S9_EEENSB_IJS8_SA_EEENS0_18inequality_wrapperIZN2at6native12_GLOBAL__N_124unique_dim_cuda_templateIaEESt5tupleIJNSF_6TensorESK_SK_EERKSK_lbbbEUlllE0_EEPmJS9_EEE10hipError_tPvRmT3_T4_T5_T6_T7_T9_mT8_P12ihipStream_tbDpT10_ENKUlT_T0_E_clISt17integral_constantIbLb0EES1A_EEDaS15_S16_EUlS15_E_NS1_11comp_targetILNS1_3genE10ELNS1_11target_archE1200ELNS1_3gpuE4ELNS1_3repE0EEENS1_30default_config_static_selectorELNS0_4arch9wavefront6targetE0EEEvT1_
	.p2align	8
	.type	_ZN7rocprim17ROCPRIM_400000_NS6detail17trampoline_kernelINS0_14default_configENS1_25partition_config_selectorILNS1_17partition_subalgoE9EllbEEZZNS1_14partition_implILS5_9ELb0ES3_jPlS8_PNS0_10empty_typeENS0_5tupleIJS8_S9_EEENSB_IJS8_SA_EEENS0_18inequality_wrapperIZN2at6native12_GLOBAL__N_124unique_dim_cuda_templateIaEESt5tupleIJNSF_6TensorESK_SK_EERKSK_lbbbEUlllE0_EEPmJS9_EEE10hipError_tPvRmT3_T4_T5_T6_T7_T9_mT8_P12ihipStream_tbDpT10_ENKUlT_T0_E_clISt17integral_constantIbLb0EES1A_EEDaS15_S16_EUlS15_E_NS1_11comp_targetILNS1_3genE10ELNS1_11target_archE1200ELNS1_3gpuE4ELNS1_3repE0EEENS1_30default_config_static_selectorELNS0_4arch9wavefront6targetE0EEEvT1_,@function
_ZN7rocprim17ROCPRIM_400000_NS6detail17trampoline_kernelINS0_14default_configENS1_25partition_config_selectorILNS1_17partition_subalgoE9EllbEEZZNS1_14partition_implILS5_9ELb0ES3_jPlS8_PNS0_10empty_typeENS0_5tupleIJS8_S9_EEENSB_IJS8_SA_EEENS0_18inequality_wrapperIZN2at6native12_GLOBAL__N_124unique_dim_cuda_templateIaEESt5tupleIJNSF_6TensorESK_SK_EERKSK_lbbbEUlllE0_EEPmJS9_EEE10hipError_tPvRmT3_T4_T5_T6_T7_T9_mT8_P12ihipStream_tbDpT10_ENKUlT_T0_E_clISt17integral_constantIbLb0EES1A_EEDaS15_S16_EUlS15_E_NS1_11comp_targetILNS1_3genE10ELNS1_11target_archE1200ELNS1_3gpuE4ELNS1_3repE0EEENS1_30default_config_static_selectorELNS0_4arch9wavefront6targetE0EEEvT1_: ; @_ZN7rocprim17ROCPRIM_400000_NS6detail17trampoline_kernelINS0_14default_configENS1_25partition_config_selectorILNS1_17partition_subalgoE9EllbEEZZNS1_14partition_implILS5_9ELb0ES3_jPlS8_PNS0_10empty_typeENS0_5tupleIJS8_S9_EEENSB_IJS8_SA_EEENS0_18inequality_wrapperIZN2at6native12_GLOBAL__N_124unique_dim_cuda_templateIaEESt5tupleIJNSF_6TensorESK_SK_EERKSK_lbbbEUlllE0_EEPmJS9_EEE10hipError_tPvRmT3_T4_T5_T6_T7_T9_mT8_P12ihipStream_tbDpT10_ENKUlT_T0_E_clISt17integral_constantIbLb0EES1A_EEDaS15_S16_EUlS15_E_NS1_11comp_targetILNS1_3genE10ELNS1_11target_archE1200ELNS1_3gpuE4ELNS1_3repE0EEENS1_30default_config_static_selectorELNS0_4arch9wavefront6targetE0EEEvT1_
; %bb.0:
	.section	.rodata,"a",@progbits
	.p2align	6, 0x0
	.amdhsa_kernel _ZN7rocprim17ROCPRIM_400000_NS6detail17trampoline_kernelINS0_14default_configENS1_25partition_config_selectorILNS1_17partition_subalgoE9EllbEEZZNS1_14partition_implILS5_9ELb0ES3_jPlS8_PNS0_10empty_typeENS0_5tupleIJS8_S9_EEENSB_IJS8_SA_EEENS0_18inequality_wrapperIZN2at6native12_GLOBAL__N_124unique_dim_cuda_templateIaEESt5tupleIJNSF_6TensorESK_SK_EERKSK_lbbbEUlllE0_EEPmJS9_EEE10hipError_tPvRmT3_T4_T5_T6_T7_T9_mT8_P12ihipStream_tbDpT10_ENKUlT_T0_E_clISt17integral_constantIbLb0EES1A_EEDaS15_S16_EUlS15_E_NS1_11comp_targetILNS1_3genE10ELNS1_11target_archE1200ELNS1_3gpuE4ELNS1_3repE0EEENS1_30default_config_static_selectorELNS0_4arch9wavefront6targetE0EEEvT1_
		.amdhsa_group_segment_fixed_size 0
		.amdhsa_private_segment_fixed_size 0
		.amdhsa_kernarg_size 120
		.amdhsa_user_sgpr_count 2
		.amdhsa_user_sgpr_dispatch_ptr 0
		.amdhsa_user_sgpr_queue_ptr 0
		.amdhsa_user_sgpr_kernarg_segment_ptr 1
		.amdhsa_user_sgpr_dispatch_id 0
		.amdhsa_user_sgpr_kernarg_preload_length 0
		.amdhsa_user_sgpr_kernarg_preload_offset 0
		.amdhsa_user_sgpr_private_segment_size 0
		.amdhsa_wavefront_size32 1
		.amdhsa_uses_dynamic_stack 0
		.amdhsa_enable_private_segment 0
		.amdhsa_system_sgpr_workgroup_id_x 1
		.amdhsa_system_sgpr_workgroup_id_y 0
		.amdhsa_system_sgpr_workgroup_id_z 0
		.amdhsa_system_sgpr_workgroup_info 0
		.amdhsa_system_vgpr_workitem_id 0
		.amdhsa_next_free_vgpr 1
		.amdhsa_next_free_sgpr 1
		.amdhsa_named_barrier_count 0
		.amdhsa_reserve_vcc 0
		.amdhsa_float_round_mode_32 0
		.amdhsa_float_round_mode_16_64 0
		.amdhsa_float_denorm_mode_32 3
		.amdhsa_float_denorm_mode_16_64 3
		.amdhsa_fp16_overflow 0
		.amdhsa_memory_ordered 1
		.amdhsa_forward_progress 1
		.amdhsa_inst_pref_size 0
		.amdhsa_round_robin_scheduling 0
		.amdhsa_exception_fp_ieee_invalid_op 0
		.amdhsa_exception_fp_denorm_src 0
		.amdhsa_exception_fp_ieee_div_zero 0
		.amdhsa_exception_fp_ieee_overflow 0
		.amdhsa_exception_fp_ieee_underflow 0
		.amdhsa_exception_fp_ieee_inexact 0
		.amdhsa_exception_int_div_zero 0
	.end_amdhsa_kernel
	.section	.text._ZN7rocprim17ROCPRIM_400000_NS6detail17trampoline_kernelINS0_14default_configENS1_25partition_config_selectorILNS1_17partition_subalgoE9EllbEEZZNS1_14partition_implILS5_9ELb0ES3_jPlS8_PNS0_10empty_typeENS0_5tupleIJS8_S9_EEENSB_IJS8_SA_EEENS0_18inequality_wrapperIZN2at6native12_GLOBAL__N_124unique_dim_cuda_templateIaEESt5tupleIJNSF_6TensorESK_SK_EERKSK_lbbbEUlllE0_EEPmJS9_EEE10hipError_tPvRmT3_T4_T5_T6_T7_T9_mT8_P12ihipStream_tbDpT10_ENKUlT_T0_E_clISt17integral_constantIbLb0EES1A_EEDaS15_S16_EUlS15_E_NS1_11comp_targetILNS1_3genE10ELNS1_11target_archE1200ELNS1_3gpuE4ELNS1_3repE0EEENS1_30default_config_static_selectorELNS0_4arch9wavefront6targetE0EEEvT1_,"axG",@progbits,_ZN7rocprim17ROCPRIM_400000_NS6detail17trampoline_kernelINS0_14default_configENS1_25partition_config_selectorILNS1_17partition_subalgoE9EllbEEZZNS1_14partition_implILS5_9ELb0ES3_jPlS8_PNS0_10empty_typeENS0_5tupleIJS8_S9_EEENSB_IJS8_SA_EEENS0_18inequality_wrapperIZN2at6native12_GLOBAL__N_124unique_dim_cuda_templateIaEESt5tupleIJNSF_6TensorESK_SK_EERKSK_lbbbEUlllE0_EEPmJS9_EEE10hipError_tPvRmT3_T4_T5_T6_T7_T9_mT8_P12ihipStream_tbDpT10_ENKUlT_T0_E_clISt17integral_constantIbLb0EES1A_EEDaS15_S16_EUlS15_E_NS1_11comp_targetILNS1_3genE10ELNS1_11target_archE1200ELNS1_3gpuE4ELNS1_3repE0EEENS1_30default_config_static_selectorELNS0_4arch9wavefront6targetE0EEEvT1_,comdat
.Lfunc_end356:
	.size	_ZN7rocprim17ROCPRIM_400000_NS6detail17trampoline_kernelINS0_14default_configENS1_25partition_config_selectorILNS1_17partition_subalgoE9EllbEEZZNS1_14partition_implILS5_9ELb0ES3_jPlS8_PNS0_10empty_typeENS0_5tupleIJS8_S9_EEENSB_IJS8_SA_EEENS0_18inequality_wrapperIZN2at6native12_GLOBAL__N_124unique_dim_cuda_templateIaEESt5tupleIJNSF_6TensorESK_SK_EERKSK_lbbbEUlllE0_EEPmJS9_EEE10hipError_tPvRmT3_T4_T5_T6_T7_T9_mT8_P12ihipStream_tbDpT10_ENKUlT_T0_E_clISt17integral_constantIbLb0EES1A_EEDaS15_S16_EUlS15_E_NS1_11comp_targetILNS1_3genE10ELNS1_11target_archE1200ELNS1_3gpuE4ELNS1_3repE0EEENS1_30default_config_static_selectorELNS0_4arch9wavefront6targetE0EEEvT1_, .Lfunc_end356-_ZN7rocprim17ROCPRIM_400000_NS6detail17trampoline_kernelINS0_14default_configENS1_25partition_config_selectorILNS1_17partition_subalgoE9EllbEEZZNS1_14partition_implILS5_9ELb0ES3_jPlS8_PNS0_10empty_typeENS0_5tupleIJS8_S9_EEENSB_IJS8_SA_EEENS0_18inequality_wrapperIZN2at6native12_GLOBAL__N_124unique_dim_cuda_templateIaEESt5tupleIJNSF_6TensorESK_SK_EERKSK_lbbbEUlllE0_EEPmJS9_EEE10hipError_tPvRmT3_T4_T5_T6_T7_T9_mT8_P12ihipStream_tbDpT10_ENKUlT_T0_E_clISt17integral_constantIbLb0EES1A_EEDaS15_S16_EUlS15_E_NS1_11comp_targetILNS1_3genE10ELNS1_11target_archE1200ELNS1_3gpuE4ELNS1_3repE0EEENS1_30default_config_static_selectorELNS0_4arch9wavefront6targetE0EEEvT1_
                                        ; -- End function
	.set _ZN7rocprim17ROCPRIM_400000_NS6detail17trampoline_kernelINS0_14default_configENS1_25partition_config_selectorILNS1_17partition_subalgoE9EllbEEZZNS1_14partition_implILS5_9ELb0ES3_jPlS8_PNS0_10empty_typeENS0_5tupleIJS8_S9_EEENSB_IJS8_SA_EEENS0_18inequality_wrapperIZN2at6native12_GLOBAL__N_124unique_dim_cuda_templateIaEESt5tupleIJNSF_6TensorESK_SK_EERKSK_lbbbEUlllE0_EEPmJS9_EEE10hipError_tPvRmT3_T4_T5_T6_T7_T9_mT8_P12ihipStream_tbDpT10_ENKUlT_T0_E_clISt17integral_constantIbLb0EES1A_EEDaS15_S16_EUlS15_E_NS1_11comp_targetILNS1_3genE10ELNS1_11target_archE1200ELNS1_3gpuE4ELNS1_3repE0EEENS1_30default_config_static_selectorELNS0_4arch9wavefront6targetE0EEEvT1_.num_vgpr, 0
	.set _ZN7rocprim17ROCPRIM_400000_NS6detail17trampoline_kernelINS0_14default_configENS1_25partition_config_selectorILNS1_17partition_subalgoE9EllbEEZZNS1_14partition_implILS5_9ELb0ES3_jPlS8_PNS0_10empty_typeENS0_5tupleIJS8_S9_EEENSB_IJS8_SA_EEENS0_18inequality_wrapperIZN2at6native12_GLOBAL__N_124unique_dim_cuda_templateIaEESt5tupleIJNSF_6TensorESK_SK_EERKSK_lbbbEUlllE0_EEPmJS9_EEE10hipError_tPvRmT3_T4_T5_T6_T7_T9_mT8_P12ihipStream_tbDpT10_ENKUlT_T0_E_clISt17integral_constantIbLb0EES1A_EEDaS15_S16_EUlS15_E_NS1_11comp_targetILNS1_3genE10ELNS1_11target_archE1200ELNS1_3gpuE4ELNS1_3repE0EEENS1_30default_config_static_selectorELNS0_4arch9wavefront6targetE0EEEvT1_.num_agpr, 0
	.set _ZN7rocprim17ROCPRIM_400000_NS6detail17trampoline_kernelINS0_14default_configENS1_25partition_config_selectorILNS1_17partition_subalgoE9EllbEEZZNS1_14partition_implILS5_9ELb0ES3_jPlS8_PNS0_10empty_typeENS0_5tupleIJS8_S9_EEENSB_IJS8_SA_EEENS0_18inequality_wrapperIZN2at6native12_GLOBAL__N_124unique_dim_cuda_templateIaEESt5tupleIJNSF_6TensorESK_SK_EERKSK_lbbbEUlllE0_EEPmJS9_EEE10hipError_tPvRmT3_T4_T5_T6_T7_T9_mT8_P12ihipStream_tbDpT10_ENKUlT_T0_E_clISt17integral_constantIbLb0EES1A_EEDaS15_S16_EUlS15_E_NS1_11comp_targetILNS1_3genE10ELNS1_11target_archE1200ELNS1_3gpuE4ELNS1_3repE0EEENS1_30default_config_static_selectorELNS0_4arch9wavefront6targetE0EEEvT1_.numbered_sgpr, 0
	.set _ZN7rocprim17ROCPRIM_400000_NS6detail17trampoline_kernelINS0_14default_configENS1_25partition_config_selectorILNS1_17partition_subalgoE9EllbEEZZNS1_14partition_implILS5_9ELb0ES3_jPlS8_PNS0_10empty_typeENS0_5tupleIJS8_S9_EEENSB_IJS8_SA_EEENS0_18inequality_wrapperIZN2at6native12_GLOBAL__N_124unique_dim_cuda_templateIaEESt5tupleIJNSF_6TensorESK_SK_EERKSK_lbbbEUlllE0_EEPmJS9_EEE10hipError_tPvRmT3_T4_T5_T6_T7_T9_mT8_P12ihipStream_tbDpT10_ENKUlT_T0_E_clISt17integral_constantIbLb0EES1A_EEDaS15_S16_EUlS15_E_NS1_11comp_targetILNS1_3genE10ELNS1_11target_archE1200ELNS1_3gpuE4ELNS1_3repE0EEENS1_30default_config_static_selectorELNS0_4arch9wavefront6targetE0EEEvT1_.num_named_barrier, 0
	.set _ZN7rocprim17ROCPRIM_400000_NS6detail17trampoline_kernelINS0_14default_configENS1_25partition_config_selectorILNS1_17partition_subalgoE9EllbEEZZNS1_14partition_implILS5_9ELb0ES3_jPlS8_PNS0_10empty_typeENS0_5tupleIJS8_S9_EEENSB_IJS8_SA_EEENS0_18inequality_wrapperIZN2at6native12_GLOBAL__N_124unique_dim_cuda_templateIaEESt5tupleIJNSF_6TensorESK_SK_EERKSK_lbbbEUlllE0_EEPmJS9_EEE10hipError_tPvRmT3_T4_T5_T6_T7_T9_mT8_P12ihipStream_tbDpT10_ENKUlT_T0_E_clISt17integral_constantIbLb0EES1A_EEDaS15_S16_EUlS15_E_NS1_11comp_targetILNS1_3genE10ELNS1_11target_archE1200ELNS1_3gpuE4ELNS1_3repE0EEENS1_30default_config_static_selectorELNS0_4arch9wavefront6targetE0EEEvT1_.private_seg_size, 0
	.set _ZN7rocprim17ROCPRIM_400000_NS6detail17trampoline_kernelINS0_14default_configENS1_25partition_config_selectorILNS1_17partition_subalgoE9EllbEEZZNS1_14partition_implILS5_9ELb0ES3_jPlS8_PNS0_10empty_typeENS0_5tupleIJS8_S9_EEENSB_IJS8_SA_EEENS0_18inequality_wrapperIZN2at6native12_GLOBAL__N_124unique_dim_cuda_templateIaEESt5tupleIJNSF_6TensorESK_SK_EERKSK_lbbbEUlllE0_EEPmJS9_EEE10hipError_tPvRmT3_T4_T5_T6_T7_T9_mT8_P12ihipStream_tbDpT10_ENKUlT_T0_E_clISt17integral_constantIbLb0EES1A_EEDaS15_S16_EUlS15_E_NS1_11comp_targetILNS1_3genE10ELNS1_11target_archE1200ELNS1_3gpuE4ELNS1_3repE0EEENS1_30default_config_static_selectorELNS0_4arch9wavefront6targetE0EEEvT1_.uses_vcc, 0
	.set _ZN7rocprim17ROCPRIM_400000_NS6detail17trampoline_kernelINS0_14default_configENS1_25partition_config_selectorILNS1_17partition_subalgoE9EllbEEZZNS1_14partition_implILS5_9ELb0ES3_jPlS8_PNS0_10empty_typeENS0_5tupleIJS8_S9_EEENSB_IJS8_SA_EEENS0_18inequality_wrapperIZN2at6native12_GLOBAL__N_124unique_dim_cuda_templateIaEESt5tupleIJNSF_6TensorESK_SK_EERKSK_lbbbEUlllE0_EEPmJS9_EEE10hipError_tPvRmT3_T4_T5_T6_T7_T9_mT8_P12ihipStream_tbDpT10_ENKUlT_T0_E_clISt17integral_constantIbLb0EES1A_EEDaS15_S16_EUlS15_E_NS1_11comp_targetILNS1_3genE10ELNS1_11target_archE1200ELNS1_3gpuE4ELNS1_3repE0EEENS1_30default_config_static_selectorELNS0_4arch9wavefront6targetE0EEEvT1_.uses_flat_scratch, 0
	.set _ZN7rocprim17ROCPRIM_400000_NS6detail17trampoline_kernelINS0_14default_configENS1_25partition_config_selectorILNS1_17partition_subalgoE9EllbEEZZNS1_14partition_implILS5_9ELb0ES3_jPlS8_PNS0_10empty_typeENS0_5tupleIJS8_S9_EEENSB_IJS8_SA_EEENS0_18inequality_wrapperIZN2at6native12_GLOBAL__N_124unique_dim_cuda_templateIaEESt5tupleIJNSF_6TensorESK_SK_EERKSK_lbbbEUlllE0_EEPmJS9_EEE10hipError_tPvRmT3_T4_T5_T6_T7_T9_mT8_P12ihipStream_tbDpT10_ENKUlT_T0_E_clISt17integral_constantIbLb0EES1A_EEDaS15_S16_EUlS15_E_NS1_11comp_targetILNS1_3genE10ELNS1_11target_archE1200ELNS1_3gpuE4ELNS1_3repE0EEENS1_30default_config_static_selectorELNS0_4arch9wavefront6targetE0EEEvT1_.has_dyn_sized_stack, 0
	.set _ZN7rocprim17ROCPRIM_400000_NS6detail17trampoline_kernelINS0_14default_configENS1_25partition_config_selectorILNS1_17partition_subalgoE9EllbEEZZNS1_14partition_implILS5_9ELb0ES3_jPlS8_PNS0_10empty_typeENS0_5tupleIJS8_S9_EEENSB_IJS8_SA_EEENS0_18inequality_wrapperIZN2at6native12_GLOBAL__N_124unique_dim_cuda_templateIaEESt5tupleIJNSF_6TensorESK_SK_EERKSK_lbbbEUlllE0_EEPmJS9_EEE10hipError_tPvRmT3_T4_T5_T6_T7_T9_mT8_P12ihipStream_tbDpT10_ENKUlT_T0_E_clISt17integral_constantIbLb0EES1A_EEDaS15_S16_EUlS15_E_NS1_11comp_targetILNS1_3genE10ELNS1_11target_archE1200ELNS1_3gpuE4ELNS1_3repE0EEENS1_30default_config_static_selectorELNS0_4arch9wavefront6targetE0EEEvT1_.has_recursion, 0
	.set _ZN7rocprim17ROCPRIM_400000_NS6detail17trampoline_kernelINS0_14default_configENS1_25partition_config_selectorILNS1_17partition_subalgoE9EllbEEZZNS1_14partition_implILS5_9ELb0ES3_jPlS8_PNS0_10empty_typeENS0_5tupleIJS8_S9_EEENSB_IJS8_SA_EEENS0_18inequality_wrapperIZN2at6native12_GLOBAL__N_124unique_dim_cuda_templateIaEESt5tupleIJNSF_6TensorESK_SK_EERKSK_lbbbEUlllE0_EEPmJS9_EEE10hipError_tPvRmT3_T4_T5_T6_T7_T9_mT8_P12ihipStream_tbDpT10_ENKUlT_T0_E_clISt17integral_constantIbLb0EES1A_EEDaS15_S16_EUlS15_E_NS1_11comp_targetILNS1_3genE10ELNS1_11target_archE1200ELNS1_3gpuE4ELNS1_3repE0EEENS1_30default_config_static_selectorELNS0_4arch9wavefront6targetE0EEEvT1_.has_indirect_call, 0
	.section	.AMDGPU.csdata,"",@progbits
; Kernel info:
; codeLenInByte = 0
; TotalNumSgprs: 0
; NumVgprs: 0
; ScratchSize: 0
; MemoryBound: 0
; FloatMode: 240
; IeeeMode: 1
; LDSByteSize: 0 bytes/workgroup (compile time only)
; SGPRBlocks: 0
; VGPRBlocks: 0
; NumSGPRsForWavesPerEU: 1
; NumVGPRsForWavesPerEU: 1
; NamedBarCnt: 0
; Occupancy: 16
; WaveLimiterHint : 0
; COMPUTE_PGM_RSRC2:SCRATCH_EN: 0
; COMPUTE_PGM_RSRC2:USER_SGPR: 2
; COMPUTE_PGM_RSRC2:TRAP_HANDLER: 0
; COMPUTE_PGM_RSRC2:TGID_X_EN: 1
; COMPUTE_PGM_RSRC2:TGID_Y_EN: 0
; COMPUTE_PGM_RSRC2:TGID_Z_EN: 0
; COMPUTE_PGM_RSRC2:TIDIG_COMP_CNT: 0
	.section	.text._ZN7rocprim17ROCPRIM_400000_NS6detail17trampoline_kernelINS0_14default_configENS1_25partition_config_selectorILNS1_17partition_subalgoE9EllbEEZZNS1_14partition_implILS5_9ELb0ES3_jPlS8_PNS0_10empty_typeENS0_5tupleIJS8_S9_EEENSB_IJS8_SA_EEENS0_18inequality_wrapperIZN2at6native12_GLOBAL__N_124unique_dim_cuda_templateIaEESt5tupleIJNSF_6TensorESK_SK_EERKSK_lbbbEUlllE0_EEPmJS9_EEE10hipError_tPvRmT3_T4_T5_T6_T7_T9_mT8_P12ihipStream_tbDpT10_ENKUlT_T0_E_clISt17integral_constantIbLb0EES1A_EEDaS15_S16_EUlS15_E_NS1_11comp_targetILNS1_3genE9ELNS1_11target_archE1100ELNS1_3gpuE3ELNS1_3repE0EEENS1_30default_config_static_selectorELNS0_4arch9wavefront6targetE0EEEvT1_,"axG",@progbits,_ZN7rocprim17ROCPRIM_400000_NS6detail17trampoline_kernelINS0_14default_configENS1_25partition_config_selectorILNS1_17partition_subalgoE9EllbEEZZNS1_14partition_implILS5_9ELb0ES3_jPlS8_PNS0_10empty_typeENS0_5tupleIJS8_S9_EEENSB_IJS8_SA_EEENS0_18inequality_wrapperIZN2at6native12_GLOBAL__N_124unique_dim_cuda_templateIaEESt5tupleIJNSF_6TensorESK_SK_EERKSK_lbbbEUlllE0_EEPmJS9_EEE10hipError_tPvRmT3_T4_T5_T6_T7_T9_mT8_P12ihipStream_tbDpT10_ENKUlT_T0_E_clISt17integral_constantIbLb0EES1A_EEDaS15_S16_EUlS15_E_NS1_11comp_targetILNS1_3genE9ELNS1_11target_archE1100ELNS1_3gpuE3ELNS1_3repE0EEENS1_30default_config_static_selectorELNS0_4arch9wavefront6targetE0EEEvT1_,comdat
	.globl	_ZN7rocprim17ROCPRIM_400000_NS6detail17trampoline_kernelINS0_14default_configENS1_25partition_config_selectorILNS1_17partition_subalgoE9EllbEEZZNS1_14partition_implILS5_9ELb0ES3_jPlS8_PNS0_10empty_typeENS0_5tupleIJS8_S9_EEENSB_IJS8_SA_EEENS0_18inequality_wrapperIZN2at6native12_GLOBAL__N_124unique_dim_cuda_templateIaEESt5tupleIJNSF_6TensorESK_SK_EERKSK_lbbbEUlllE0_EEPmJS9_EEE10hipError_tPvRmT3_T4_T5_T6_T7_T9_mT8_P12ihipStream_tbDpT10_ENKUlT_T0_E_clISt17integral_constantIbLb0EES1A_EEDaS15_S16_EUlS15_E_NS1_11comp_targetILNS1_3genE9ELNS1_11target_archE1100ELNS1_3gpuE3ELNS1_3repE0EEENS1_30default_config_static_selectorELNS0_4arch9wavefront6targetE0EEEvT1_ ; -- Begin function _ZN7rocprim17ROCPRIM_400000_NS6detail17trampoline_kernelINS0_14default_configENS1_25partition_config_selectorILNS1_17partition_subalgoE9EllbEEZZNS1_14partition_implILS5_9ELb0ES3_jPlS8_PNS0_10empty_typeENS0_5tupleIJS8_S9_EEENSB_IJS8_SA_EEENS0_18inequality_wrapperIZN2at6native12_GLOBAL__N_124unique_dim_cuda_templateIaEESt5tupleIJNSF_6TensorESK_SK_EERKSK_lbbbEUlllE0_EEPmJS9_EEE10hipError_tPvRmT3_T4_T5_T6_T7_T9_mT8_P12ihipStream_tbDpT10_ENKUlT_T0_E_clISt17integral_constantIbLb0EES1A_EEDaS15_S16_EUlS15_E_NS1_11comp_targetILNS1_3genE9ELNS1_11target_archE1100ELNS1_3gpuE3ELNS1_3repE0EEENS1_30default_config_static_selectorELNS0_4arch9wavefront6targetE0EEEvT1_
	.p2align	8
	.type	_ZN7rocprim17ROCPRIM_400000_NS6detail17trampoline_kernelINS0_14default_configENS1_25partition_config_selectorILNS1_17partition_subalgoE9EllbEEZZNS1_14partition_implILS5_9ELb0ES3_jPlS8_PNS0_10empty_typeENS0_5tupleIJS8_S9_EEENSB_IJS8_SA_EEENS0_18inequality_wrapperIZN2at6native12_GLOBAL__N_124unique_dim_cuda_templateIaEESt5tupleIJNSF_6TensorESK_SK_EERKSK_lbbbEUlllE0_EEPmJS9_EEE10hipError_tPvRmT3_T4_T5_T6_T7_T9_mT8_P12ihipStream_tbDpT10_ENKUlT_T0_E_clISt17integral_constantIbLb0EES1A_EEDaS15_S16_EUlS15_E_NS1_11comp_targetILNS1_3genE9ELNS1_11target_archE1100ELNS1_3gpuE3ELNS1_3repE0EEENS1_30default_config_static_selectorELNS0_4arch9wavefront6targetE0EEEvT1_,@function
_ZN7rocprim17ROCPRIM_400000_NS6detail17trampoline_kernelINS0_14default_configENS1_25partition_config_selectorILNS1_17partition_subalgoE9EllbEEZZNS1_14partition_implILS5_9ELb0ES3_jPlS8_PNS0_10empty_typeENS0_5tupleIJS8_S9_EEENSB_IJS8_SA_EEENS0_18inequality_wrapperIZN2at6native12_GLOBAL__N_124unique_dim_cuda_templateIaEESt5tupleIJNSF_6TensorESK_SK_EERKSK_lbbbEUlllE0_EEPmJS9_EEE10hipError_tPvRmT3_T4_T5_T6_T7_T9_mT8_P12ihipStream_tbDpT10_ENKUlT_T0_E_clISt17integral_constantIbLb0EES1A_EEDaS15_S16_EUlS15_E_NS1_11comp_targetILNS1_3genE9ELNS1_11target_archE1100ELNS1_3gpuE3ELNS1_3repE0EEENS1_30default_config_static_selectorELNS0_4arch9wavefront6targetE0EEEvT1_: ; @_ZN7rocprim17ROCPRIM_400000_NS6detail17trampoline_kernelINS0_14default_configENS1_25partition_config_selectorILNS1_17partition_subalgoE9EllbEEZZNS1_14partition_implILS5_9ELb0ES3_jPlS8_PNS0_10empty_typeENS0_5tupleIJS8_S9_EEENSB_IJS8_SA_EEENS0_18inequality_wrapperIZN2at6native12_GLOBAL__N_124unique_dim_cuda_templateIaEESt5tupleIJNSF_6TensorESK_SK_EERKSK_lbbbEUlllE0_EEPmJS9_EEE10hipError_tPvRmT3_T4_T5_T6_T7_T9_mT8_P12ihipStream_tbDpT10_ENKUlT_T0_E_clISt17integral_constantIbLb0EES1A_EEDaS15_S16_EUlS15_E_NS1_11comp_targetILNS1_3genE9ELNS1_11target_archE1100ELNS1_3gpuE3ELNS1_3repE0EEENS1_30default_config_static_selectorELNS0_4arch9wavefront6targetE0EEEvT1_
; %bb.0:
	.section	.rodata,"a",@progbits
	.p2align	6, 0x0
	.amdhsa_kernel _ZN7rocprim17ROCPRIM_400000_NS6detail17trampoline_kernelINS0_14default_configENS1_25partition_config_selectorILNS1_17partition_subalgoE9EllbEEZZNS1_14partition_implILS5_9ELb0ES3_jPlS8_PNS0_10empty_typeENS0_5tupleIJS8_S9_EEENSB_IJS8_SA_EEENS0_18inequality_wrapperIZN2at6native12_GLOBAL__N_124unique_dim_cuda_templateIaEESt5tupleIJNSF_6TensorESK_SK_EERKSK_lbbbEUlllE0_EEPmJS9_EEE10hipError_tPvRmT3_T4_T5_T6_T7_T9_mT8_P12ihipStream_tbDpT10_ENKUlT_T0_E_clISt17integral_constantIbLb0EES1A_EEDaS15_S16_EUlS15_E_NS1_11comp_targetILNS1_3genE9ELNS1_11target_archE1100ELNS1_3gpuE3ELNS1_3repE0EEENS1_30default_config_static_selectorELNS0_4arch9wavefront6targetE0EEEvT1_
		.amdhsa_group_segment_fixed_size 0
		.amdhsa_private_segment_fixed_size 0
		.amdhsa_kernarg_size 120
		.amdhsa_user_sgpr_count 2
		.amdhsa_user_sgpr_dispatch_ptr 0
		.amdhsa_user_sgpr_queue_ptr 0
		.amdhsa_user_sgpr_kernarg_segment_ptr 1
		.amdhsa_user_sgpr_dispatch_id 0
		.amdhsa_user_sgpr_kernarg_preload_length 0
		.amdhsa_user_sgpr_kernarg_preload_offset 0
		.amdhsa_user_sgpr_private_segment_size 0
		.amdhsa_wavefront_size32 1
		.amdhsa_uses_dynamic_stack 0
		.amdhsa_enable_private_segment 0
		.amdhsa_system_sgpr_workgroup_id_x 1
		.amdhsa_system_sgpr_workgroup_id_y 0
		.amdhsa_system_sgpr_workgroup_id_z 0
		.amdhsa_system_sgpr_workgroup_info 0
		.amdhsa_system_vgpr_workitem_id 0
		.amdhsa_next_free_vgpr 1
		.amdhsa_next_free_sgpr 1
		.amdhsa_named_barrier_count 0
		.amdhsa_reserve_vcc 0
		.amdhsa_float_round_mode_32 0
		.amdhsa_float_round_mode_16_64 0
		.amdhsa_float_denorm_mode_32 3
		.amdhsa_float_denorm_mode_16_64 3
		.amdhsa_fp16_overflow 0
		.amdhsa_memory_ordered 1
		.amdhsa_forward_progress 1
		.amdhsa_inst_pref_size 0
		.amdhsa_round_robin_scheduling 0
		.amdhsa_exception_fp_ieee_invalid_op 0
		.amdhsa_exception_fp_denorm_src 0
		.amdhsa_exception_fp_ieee_div_zero 0
		.amdhsa_exception_fp_ieee_overflow 0
		.amdhsa_exception_fp_ieee_underflow 0
		.amdhsa_exception_fp_ieee_inexact 0
		.amdhsa_exception_int_div_zero 0
	.end_amdhsa_kernel
	.section	.text._ZN7rocprim17ROCPRIM_400000_NS6detail17trampoline_kernelINS0_14default_configENS1_25partition_config_selectorILNS1_17partition_subalgoE9EllbEEZZNS1_14partition_implILS5_9ELb0ES3_jPlS8_PNS0_10empty_typeENS0_5tupleIJS8_S9_EEENSB_IJS8_SA_EEENS0_18inequality_wrapperIZN2at6native12_GLOBAL__N_124unique_dim_cuda_templateIaEESt5tupleIJNSF_6TensorESK_SK_EERKSK_lbbbEUlllE0_EEPmJS9_EEE10hipError_tPvRmT3_T4_T5_T6_T7_T9_mT8_P12ihipStream_tbDpT10_ENKUlT_T0_E_clISt17integral_constantIbLb0EES1A_EEDaS15_S16_EUlS15_E_NS1_11comp_targetILNS1_3genE9ELNS1_11target_archE1100ELNS1_3gpuE3ELNS1_3repE0EEENS1_30default_config_static_selectorELNS0_4arch9wavefront6targetE0EEEvT1_,"axG",@progbits,_ZN7rocprim17ROCPRIM_400000_NS6detail17trampoline_kernelINS0_14default_configENS1_25partition_config_selectorILNS1_17partition_subalgoE9EllbEEZZNS1_14partition_implILS5_9ELb0ES3_jPlS8_PNS0_10empty_typeENS0_5tupleIJS8_S9_EEENSB_IJS8_SA_EEENS0_18inequality_wrapperIZN2at6native12_GLOBAL__N_124unique_dim_cuda_templateIaEESt5tupleIJNSF_6TensorESK_SK_EERKSK_lbbbEUlllE0_EEPmJS9_EEE10hipError_tPvRmT3_T4_T5_T6_T7_T9_mT8_P12ihipStream_tbDpT10_ENKUlT_T0_E_clISt17integral_constantIbLb0EES1A_EEDaS15_S16_EUlS15_E_NS1_11comp_targetILNS1_3genE9ELNS1_11target_archE1100ELNS1_3gpuE3ELNS1_3repE0EEENS1_30default_config_static_selectorELNS0_4arch9wavefront6targetE0EEEvT1_,comdat
.Lfunc_end357:
	.size	_ZN7rocprim17ROCPRIM_400000_NS6detail17trampoline_kernelINS0_14default_configENS1_25partition_config_selectorILNS1_17partition_subalgoE9EllbEEZZNS1_14partition_implILS5_9ELb0ES3_jPlS8_PNS0_10empty_typeENS0_5tupleIJS8_S9_EEENSB_IJS8_SA_EEENS0_18inequality_wrapperIZN2at6native12_GLOBAL__N_124unique_dim_cuda_templateIaEESt5tupleIJNSF_6TensorESK_SK_EERKSK_lbbbEUlllE0_EEPmJS9_EEE10hipError_tPvRmT3_T4_T5_T6_T7_T9_mT8_P12ihipStream_tbDpT10_ENKUlT_T0_E_clISt17integral_constantIbLb0EES1A_EEDaS15_S16_EUlS15_E_NS1_11comp_targetILNS1_3genE9ELNS1_11target_archE1100ELNS1_3gpuE3ELNS1_3repE0EEENS1_30default_config_static_selectorELNS0_4arch9wavefront6targetE0EEEvT1_, .Lfunc_end357-_ZN7rocprim17ROCPRIM_400000_NS6detail17trampoline_kernelINS0_14default_configENS1_25partition_config_selectorILNS1_17partition_subalgoE9EllbEEZZNS1_14partition_implILS5_9ELb0ES3_jPlS8_PNS0_10empty_typeENS0_5tupleIJS8_S9_EEENSB_IJS8_SA_EEENS0_18inequality_wrapperIZN2at6native12_GLOBAL__N_124unique_dim_cuda_templateIaEESt5tupleIJNSF_6TensorESK_SK_EERKSK_lbbbEUlllE0_EEPmJS9_EEE10hipError_tPvRmT3_T4_T5_T6_T7_T9_mT8_P12ihipStream_tbDpT10_ENKUlT_T0_E_clISt17integral_constantIbLb0EES1A_EEDaS15_S16_EUlS15_E_NS1_11comp_targetILNS1_3genE9ELNS1_11target_archE1100ELNS1_3gpuE3ELNS1_3repE0EEENS1_30default_config_static_selectorELNS0_4arch9wavefront6targetE0EEEvT1_
                                        ; -- End function
	.set _ZN7rocprim17ROCPRIM_400000_NS6detail17trampoline_kernelINS0_14default_configENS1_25partition_config_selectorILNS1_17partition_subalgoE9EllbEEZZNS1_14partition_implILS5_9ELb0ES3_jPlS8_PNS0_10empty_typeENS0_5tupleIJS8_S9_EEENSB_IJS8_SA_EEENS0_18inequality_wrapperIZN2at6native12_GLOBAL__N_124unique_dim_cuda_templateIaEESt5tupleIJNSF_6TensorESK_SK_EERKSK_lbbbEUlllE0_EEPmJS9_EEE10hipError_tPvRmT3_T4_T5_T6_T7_T9_mT8_P12ihipStream_tbDpT10_ENKUlT_T0_E_clISt17integral_constantIbLb0EES1A_EEDaS15_S16_EUlS15_E_NS1_11comp_targetILNS1_3genE9ELNS1_11target_archE1100ELNS1_3gpuE3ELNS1_3repE0EEENS1_30default_config_static_selectorELNS0_4arch9wavefront6targetE0EEEvT1_.num_vgpr, 0
	.set _ZN7rocprim17ROCPRIM_400000_NS6detail17trampoline_kernelINS0_14default_configENS1_25partition_config_selectorILNS1_17partition_subalgoE9EllbEEZZNS1_14partition_implILS5_9ELb0ES3_jPlS8_PNS0_10empty_typeENS0_5tupleIJS8_S9_EEENSB_IJS8_SA_EEENS0_18inequality_wrapperIZN2at6native12_GLOBAL__N_124unique_dim_cuda_templateIaEESt5tupleIJNSF_6TensorESK_SK_EERKSK_lbbbEUlllE0_EEPmJS9_EEE10hipError_tPvRmT3_T4_T5_T6_T7_T9_mT8_P12ihipStream_tbDpT10_ENKUlT_T0_E_clISt17integral_constantIbLb0EES1A_EEDaS15_S16_EUlS15_E_NS1_11comp_targetILNS1_3genE9ELNS1_11target_archE1100ELNS1_3gpuE3ELNS1_3repE0EEENS1_30default_config_static_selectorELNS0_4arch9wavefront6targetE0EEEvT1_.num_agpr, 0
	.set _ZN7rocprim17ROCPRIM_400000_NS6detail17trampoline_kernelINS0_14default_configENS1_25partition_config_selectorILNS1_17partition_subalgoE9EllbEEZZNS1_14partition_implILS5_9ELb0ES3_jPlS8_PNS0_10empty_typeENS0_5tupleIJS8_S9_EEENSB_IJS8_SA_EEENS0_18inequality_wrapperIZN2at6native12_GLOBAL__N_124unique_dim_cuda_templateIaEESt5tupleIJNSF_6TensorESK_SK_EERKSK_lbbbEUlllE0_EEPmJS9_EEE10hipError_tPvRmT3_T4_T5_T6_T7_T9_mT8_P12ihipStream_tbDpT10_ENKUlT_T0_E_clISt17integral_constantIbLb0EES1A_EEDaS15_S16_EUlS15_E_NS1_11comp_targetILNS1_3genE9ELNS1_11target_archE1100ELNS1_3gpuE3ELNS1_3repE0EEENS1_30default_config_static_selectorELNS0_4arch9wavefront6targetE0EEEvT1_.numbered_sgpr, 0
	.set _ZN7rocprim17ROCPRIM_400000_NS6detail17trampoline_kernelINS0_14default_configENS1_25partition_config_selectorILNS1_17partition_subalgoE9EllbEEZZNS1_14partition_implILS5_9ELb0ES3_jPlS8_PNS0_10empty_typeENS0_5tupleIJS8_S9_EEENSB_IJS8_SA_EEENS0_18inequality_wrapperIZN2at6native12_GLOBAL__N_124unique_dim_cuda_templateIaEESt5tupleIJNSF_6TensorESK_SK_EERKSK_lbbbEUlllE0_EEPmJS9_EEE10hipError_tPvRmT3_T4_T5_T6_T7_T9_mT8_P12ihipStream_tbDpT10_ENKUlT_T0_E_clISt17integral_constantIbLb0EES1A_EEDaS15_S16_EUlS15_E_NS1_11comp_targetILNS1_3genE9ELNS1_11target_archE1100ELNS1_3gpuE3ELNS1_3repE0EEENS1_30default_config_static_selectorELNS0_4arch9wavefront6targetE0EEEvT1_.num_named_barrier, 0
	.set _ZN7rocprim17ROCPRIM_400000_NS6detail17trampoline_kernelINS0_14default_configENS1_25partition_config_selectorILNS1_17partition_subalgoE9EllbEEZZNS1_14partition_implILS5_9ELb0ES3_jPlS8_PNS0_10empty_typeENS0_5tupleIJS8_S9_EEENSB_IJS8_SA_EEENS0_18inequality_wrapperIZN2at6native12_GLOBAL__N_124unique_dim_cuda_templateIaEESt5tupleIJNSF_6TensorESK_SK_EERKSK_lbbbEUlllE0_EEPmJS9_EEE10hipError_tPvRmT3_T4_T5_T6_T7_T9_mT8_P12ihipStream_tbDpT10_ENKUlT_T0_E_clISt17integral_constantIbLb0EES1A_EEDaS15_S16_EUlS15_E_NS1_11comp_targetILNS1_3genE9ELNS1_11target_archE1100ELNS1_3gpuE3ELNS1_3repE0EEENS1_30default_config_static_selectorELNS0_4arch9wavefront6targetE0EEEvT1_.private_seg_size, 0
	.set _ZN7rocprim17ROCPRIM_400000_NS6detail17trampoline_kernelINS0_14default_configENS1_25partition_config_selectorILNS1_17partition_subalgoE9EllbEEZZNS1_14partition_implILS5_9ELb0ES3_jPlS8_PNS0_10empty_typeENS0_5tupleIJS8_S9_EEENSB_IJS8_SA_EEENS0_18inequality_wrapperIZN2at6native12_GLOBAL__N_124unique_dim_cuda_templateIaEESt5tupleIJNSF_6TensorESK_SK_EERKSK_lbbbEUlllE0_EEPmJS9_EEE10hipError_tPvRmT3_T4_T5_T6_T7_T9_mT8_P12ihipStream_tbDpT10_ENKUlT_T0_E_clISt17integral_constantIbLb0EES1A_EEDaS15_S16_EUlS15_E_NS1_11comp_targetILNS1_3genE9ELNS1_11target_archE1100ELNS1_3gpuE3ELNS1_3repE0EEENS1_30default_config_static_selectorELNS0_4arch9wavefront6targetE0EEEvT1_.uses_vcc, 0
	.set _ZN7rocprim17ROCPRIM_400000_NS6detail17trampoline_kernelINS0_14default_configENS1_25partition_config_selectorILNS1_17partition_subalgoE9EllbEEZZNS1_14partition_implILS5_9ELb0ES3_jPlS8_PNS0_10empty_typeENS0_5tupleIJS8_S9_EEENSB_IJS8_SA_EEENS0_18inequality_wrapperIZN2at6native12_GLOBAL__N_124unique_dim_cuda_templateIaEESt5tupleIJNSF_6TensorESK_SK_EERKSK_lbbbEUlllE0_EEPmJS9_EEE10hipError_tPvRmT3_T4_T5_T6_T7_T9_mT8_P12ihipStream_tbDpT10_ENKUlT_T0_E_clISt17integral_constantIbLb0EES1A_EEDaS15_S16_EUlS15_E_NS1_11comp_targetILNS1_3genE9ELNS1_11target_archE1100ELNS1_3gpuE3ELNS1_3repE0EEENS1_30default_config_static_selectorELNS0_4arch9wavefront6targetE0EEEvT1_.uses_flat_scratch, 0
	.set _ZN7rocprim17ROCPRIM_400000_NS6detail17trampoline_kernelINS0_14default_configENS1_25partition_config_selectorILNS1_17partition_subalgoE9EllbEEZZNS1_14partition_implILS5_9ELb0ES3_jPlS8_PNS0_10empty_typeENS0_5tupleIJS8_S9_EEENSB_IJS8_SA_EEENS0_18inequality_wrapperIZN2at6native12_GLOBAL__N_124unique_dim_cuda_templateIaEESt5tupleIJNSF_6TensorESK_SK_EERKSK_lbbbEUlllE0_EEPmJS9_EEE10hipError_tPvRmT3_T4_T5_T6_T7_T9_mT8_P12ihipStream_tbDpT10_ENKUlT_T0_E_clISt17integral_constantIbLb0EES1A_EEDaS15_S16_EUlS15_E_NS1_11comp_targetILNS1_3genE9ELNS1_11target_archE1100ELNS1_3gpuE3ELNS1_3repE0EEENS1_30default_config_static_selectorELNS0_4arch9wavefront6targetE0EEEvT1_.has_dyn_sized_stack, 0
	.set _ZN7rocprim17ROCPRIM_400000_NS6detail17trampoline_kernelINS0_14default_configENS1_25partition_config_selectorILNS1_17partition_subalgoE9EllbEEZZNS1_14partition_implILS5_9ELb0ES3_jPlS8_PNS0_10empty_typeENS0_5tupleIJS8_S9_EEENSB_IJS8_SA_EEENS0_18inequality_wrapperIZN2at6native12_GLOBAL__N_124unique_dim_cuda_templateIaEESt5tupleIJNSF_6TensorESK_SK_EERKSK_lbbbEUlllE0_EEPmJS9_EEE10hipError_tPvRmT3_T4_T5_T6_T7_T9_mT8_P12ihipStream_tbDpT10_ENKUlT_T0_E_clISt17integral_constantIbLb0EES1A_EEDaS15_S16_EUlS15_E_NS1_11comp_targetILNS1_3genE9ELNS1_11target_archE1100ELNS1_3gpuE3ELNS1_3repE0EEENS1_30default_config_static_selectorELNS0_4arch9wavefront6targetE0EEEvT1_.has_recursion, 0
	.set _ZN7rocprim17ROCPRIM_400000_NS6detail17trampoline_kernelINS0_14default_configENS1_25partition_config_selectorILNS1_17partition_subalgoE9EllbEEZZNS1_14partition_implILS5_9ELb0ES3_jPlS8_PNS0_10empty_typeENS0_5tupleIJS8_S9_EEENSB_IJS8_SA_EEENS0_18inequality_wrapperIZN2at6native12_GLOBAL__N_124unique_dim_cuda_templateIaEESt5tupleIJNSF_6TensorESK_SK_EERKSK_lbbbEUlllE0_EEPmJS9_EEE10hipError_tPvRmT3_T4_T5_T6_T7_T9_mT8_P12ihipStream_tbDpT10_ENKUlT_T0_E_clISt17integral_constantIbLb0EES1A_EEDaS15_S16_EUlS15_E_NS1_11comp_targetILNS1_3genE9ELNS1_11target_archE1100ELNS1_3gpuE3ELNS1_3repE0EEENS1_30default_config_static_selectorELNS0_4arch9wavefront6targetE0EEEvT1_.has_indirect_call, 0
	.section	.AMDGPU.csdata,"",@progbits
; Kernel info:
; codeLenInByte = 0
; TotalNumSgprs: 0
; NumVgprs: 0
; ScratchSize: 0
; MemoryBound: 0
; FloatMode: 240
; IeeeMode: 1
; LDSByteSize: 0 bytes/workgroup (compile time only)
; SGPRBlocks: 0
; VGPRBlocks: 0
; NumSGPRsForWavesPerEU: 1
; NumVGPRsForWavesPerEU: 1
; NamedBarCnt: 0
; Occupancy: 16
; WaveLimiterHint : 0
; COMPUTE_PGM_RSRC2:SCRATCH_EN: 0
; COMPUTE_PGM_RSRC2:USER_SGPR: 2
; COMPUTE_PGM_RSRC2:TRAP_HANDLER: 0
; COMPUTE_PGM_RSRC2:TGID_X_EN: 1
; COMPUTE_PGM_RSRC2:TGID_Y_EN: 0
; COMPUTE_PGM_RSRC2:TGID_Z_EN: 0
; COMPUTE_PGM_RSRC2:TIDIG_COMP_CNT: 0
	.section	.text._ZN7rocprim17ROCPRIM_400000_NS6detail17trampoline_kernelINS0_14default_configENS1_25partition_config_selectorILNS1_17partition_subalgoE9EllbEEZZNS1_14partition_implILS5_9ELb0ES3_jPlS8_PNS0_10empty_typeENS0_5tupleIJS8_S9_EEENSB_IJS8_SA_EEENS0_18inequality_wrapperIZN2at6native12_GLOBAL__N_124unique_dim_cuda_templateIaEESt5tupleIJNSF_6TensorESK_SK_EERKSK_lbbbEUlllE0_EEPmJS9_EEE10hipError_tPvRmT3_T4_T5_T6_T7_T9_mT8_P12ihipStream_tbDpT10_ENKUlT_T0_E_clISt17integral_constantIbLb0EES1A_EEDaS15_S16_EUlS15_E_NS1_11comp_targetILNS1_3genE8ELNS1_11target_archE1030ELNS1_3gpuE2ELNS1_3repE0EEENS1_30default_config_static_selectorELNS0_4arch9wavefront6targetE0EEEvT1_,"axG",@progbits,_ZN7rocprim17ROCPRIM_400000_NS6detail17trampoline_kernelINS0_14default_configENS1_25partition_config_selectorILNS1_17partition_subalgoE9EllbEEZZNS1_14partition_implILS5_9ELb0ES3_jPlS8_PNS0_10empty_typeENS0_5tupleIJS8_S9_EEENSB_IJS8_SA_EEENS0_18inequality_wrapperIZN2at6native12_GLOBAL__N_124unique_dim_cuda_templateIaEESt5tupleIJNSF_6TensorESK_SK_EERKSK_lbbbEUlllE0_EEPmJS9_EEE10hipError_tPvRmT3_T4_T5_T6_T7_T9_mT8_P12ihipStream_tbDpT10_ENKUlT_T0_E_clISt17integral_constantIbLb0EES1A_EEDaS15_S16_EUlS15_E_NS1_11comp_targetILNS1_3genE8ELNS1_11target_archE1030ELNS1_3gpuE2ELNS1_3repE0EEENS1_30default_config_static_selectorELNS0_4arch9wavefront6targetE0EEEvT1_,comdat
	.globl	_ZN7rocprim17ROCPRIM_400000_NS6detail17trampoline_kernelINS0_14default_configENS1_25partition_config_selectorILNS1_17partition_subalgoE9EllbEEZZNS1_14partition_implILS5_9ELb0ES3_jPlS8_PNS0_10empty_typeENS0_5tupleIJS8_S9_EEENSB_IJS8_SA_EEENS0_18inequality_wrapperIZN2at6native12_GLOBAL__N_124unique_dim_cuda_templateIaEESt5tupleIJNSF_6TensorESK_SK_EERKSK_lbbbEUlllE0_EEPmJS9_EEE10hipError_tPvRmT3_T4_T5_T6_T7_T9_mT8_P12ihipStream_tbDpT10_ENKUlT_T0_E_clISt17integral_constantIbLb0EES1A_EEDaS15_S16_EUlS15_E_NS1_11comp_targetILNS1_3genE8ELNS1_11target_archE1030ELNS1_3gpuE2ELNS1_3repE0EEENS1_30default_config_static_selectorELNS0_4arch9wavefront6targetE0EEEvT1_ ; -- Begin function _ZN7rocprim17ROCPRIM_400000_NS6detail17trampoline_kernelINS0_14default_configENS1_25partition_config_selectorILNS1_17partition_subalgoE9EllbEEZZNS1_14partition_implILS5_9ELb0ES3_jPlS8_PNS0_10empty_typeENS0_5tupleIJS8_S9_EEENSB_IJS8_SA_EEENS0_18inequality_wrapperIZN2at6native12_GLOBAL__N_124unique_dim_cuda_templateIaEESt5tupleIJNSF_6TensorESK_SK_EERKSK_lbbbEUlllE0_EEPmJS9_EEE10hipError_tPvRmT3_T4_T5_T6_T7_T9_mT8_P12ihipStream_tbDpT10_ENKUlT_T0_E_clISt17integral_constantIbLb0EES1A_EEDaS15_S16_EUlS15_E_NS1_11comp_targetILNS1_3genE8ELNS1_11target_archE1030ELNS1_3gpuE2ELNS1_3repE0EEENS1_30default_config_static_selectorELNS0_4arch9wavefront6targetE0EEEvT1_
	.p2align	8
	.type	_ZN7rocprim17ROCPRIM_400000_NS6detail17trampoline_kernelINS0_14default_configENS1_25partition_config_selectorILNS1_17partition_subalgoE9EllbEEZZNS1_14partition_implILS5_9ELb0ES3_jPlS8_PNS0_10empty_typeENS0_5tupleIJS8_S9_EEENSB_IJS8_SA_EEENS0_18inequality_wrapperIZN2at6native12_GLOBAL__N_124unique_dim_cuda_templateIaEESt5tupleIJNSF_6TensorESK_SK_EERKSK_lbbbEUlllE0_EEPmJS9_EEE10hipError_tPvRmT3_T4_T5_T6_T7_T9_mT8_P12ihipStream_tbDpT10_ENKUlT_T0_E_clISt17integral_constantIbLb0EES1A_EEDaS15_S16_EUlS15_E_NS1_11comp_targetILNS1_3genE8ELNS1_11target_archE1030ELNS1_3gpuE2ELNS1_3repE0EEENS1_30default_config_static_selectorELNS0_4arch9wavefront6targetE0EEEvT1_,@function
_ZN7rocprim17ROCPRIM_400000_NS6detail17trampoline_kernelINS0_14default_configENS1_25partition_config_selectorILNS1_17partition_subalgoE9EllbEEZZNS1_14partition_implILS5_9ELb0ES3_jPlS8_PNS0_10empty_typeENS0_5tupleIJS8_S9_EEENSB_IJS8_SA_EEENS0_18inequality_wrapperIZN2at6native12_GLOBAL__N_124unique_dim_cuda_templateIaEESt5tupleIJNSF_6TensorESK_SK_EERKSK_lbbbEUlllE0_EEPmJS9_EEE10hipError_tPvRmT3_T4_T5_T6_T7_T9_mT8_P12ihipStream_tbDpT10_ENKUlT_T0_E_clISt17integral_constantIbLb0EES1A_EEDaS15_S16_EUlS15_E_NS1_11comp_targetILNS1_3genE8ELNS1_11target_archE1030ELNS1_3gpuE2ELNS1_3repE0EEENS1_30default_config_static_selectorELNS0_4arch9wavefront6targetE0EEEvT1_: ; @_ZN7rocprim17ROCPRIM_400000_NS6detail17trampoline_kernelINS0_14default_configENS1_25partition_config_selectorILNS1_17partition_subalgoE9EllbEEZZNS1_14partition_implILS5_9ELb0ES3_jPlS8_PNS0_10empty_typeENS0_5tupleIJS8_S9_EEENSB_IJS8_SA_EEENS0_18inequality_wrapperIZN2at6native12_GLOBAL__N_124unique_dim_cuda_templateIaEESt5tupleIJNSF_6TensorESK_SK_EERKSK_lbbbEUlllE0_EEPmJS9_EEE10hipError_tPvRmT3_T4_T5_T6_T7_T9_mT8_P12ihipStream_tbDpT10_ENKUlT_T0_E_clISt17integral_constantIbLb0EES1A_EEDaS15_S16_EUlS15_E_NS1_11comp_targetILNS1_3genE8ELNS1_11target_archE1030ELNS1_3gpuE2ELNS1_3repE0EEENS1_30default_config_static_selectorELNS0_4arch9wavefront6targetE0EEEvT1_
; %bb.0:
	.section	.rodata,"a",@progbits
	.p2align	6, 0x0
	.amdhsa_kernel _ZN7rocprim17ROCPRIM_400000_NS6detail17trampoline_kernelINS0_14default_configENS1_25partition_config_selectorILNS1_17partition_subalgoE9EllbEEZZNS1_14partition_implILS5_9ELb0ES3_jPlS8_PNS0_10empty_typeENS0_5tupleIJS8_S9_EEENSB_IJS8_SA_EEENS0_18inequality_wrapperIZN2at6native12_GLOBAL__N_124unique_dim_cuda_templateIaEESt5tupleIJNSF_6TensorESK_SK_EERKSK_lbbbEUlllE0_EEPmJS9_EEE10hipError_tPvRmT3_T4_T5_T6_T7_T9_mT8_P12ihipStream_tbDpT10_ENKUlT_T0_E_clISt17integral_constantIbLb0EES1A_EEDaS15_S16_EUlS15_E_NS1_11comp_targetILNS1_3genE8ELNS1_11target_archE1030ELNS1_3gpuE2ELNS1_3repE0EEENS1_30default_config_static_selectorELNS0_4arch9wavefront6targetE0EEEvT1_
		.amdhsa_group_segment_fixed_size 0
		.amdhsa_private_segment_fixed_size 0
		.amdhsa_kernarg_size 120
		.amdhsa_user_sgpr_count 2
		.amdhsa_user_sgpr_dispatch_ptr 0
		.amdhsa_user_sgpr_queue_ptr 0
		.amdhsa_user_sgpr_kernarg_segment_ptr 1
		.amdhsa_user_sgpr_dispatch_id 0
		.amdhsa_user_sgpr_kernarg_preload_length 0
		.amdhsa_user_sgpr_kernarg_preload_offset 0
		.amdhsa_user_sgpr_private_segment_size 0
		.amdhsa_wavefront_size32 1
		.amdhsa_uses_dynamic_stack 0
		.amdhsa_enable_private_segment 0
		.amdhsa_system_sgpr_workgroup_id_x 1
		.amdhsa_system_sgpr_workgroup_id_y 0
		.amdhsa_system_sgpr_workgroup_id_z 0
		.amdhsa_system_sgpr_workgroup_info 0
		.amdhsa_system_vgpr_workitem_id 0
		.amdhsa_next_free_vgpr 1
		.amdhsa_next_free_sgpr 1
		.amdhsa_named_barrier_count 0
		.amdhsa_reserve_vcc 0
		.amdhsa_float_round_mode_32 0
		.amdhsa_float_round_mode_16_64 0
		.amdhsa_float_denorm_mode_32 3
		.amdhsa_float_denorm_mode_16_64 3
		.amdhsa_fp16_overflow 0
		.amdhsa_memory_ordered 1
		.amdhsa_forward_progress 1
		.amdhsa_inst_pref_size 0
		.amdhsa_round_robin_scheduling 0
		.amdhsa_exception_fp_ieee_invalid_op 0
		.amdhsa_exception_fp_denorm_src 0
		.amdhsa_exception_fp_ieee_div_zero 0
		.amdhsa_exception_fp_ieee_overflow 0
		.amdhsa_exception_fp_ieee_underflow 0
		.amdhsa_exception_fp_ieee_inexact 0
		.amdhsa_exception_int_div_zero 0
	.end_amdhsa_kernel
	.section	.text._ZN7rocprim17ROCPRIM_400000_NS6detail17trampoline_kernelINS0_14default_configENS1_25partition_config_selectorILNS1_17partition_subalgoE9EllbEEZZNS1_14partition_implILS5_9ELb0ES3_jPlS8_PNS0_10empty_typeENS0_5tupleIJS8_S9_EEENSB_IJS8_SA_EEENS0_18inequality_wrapperIZN2at6native12_GLOBAL__N_124unique_dim_cuda_templateIaEESt5tupleIJNSF_6TensorESK_SK_EERKSK_lbbbEUlllE0_EEPmJS9_EEE10hipError_tPvRmT3_T4_T5_T6_T7_T9_mT8_P12ihipStream_tbDpT10_ENKUlT_T0_E_clISt17integral_constantIbLb0EES1A_EEDaS15_S16_EUlS15_E_NS1_11comp_targetILNS1_3genE8ELNS1_11target_archE1030ELNS1_3gpuE2ELNS1_3repE0EEENS1_30default_config_static_selectorELNS0_4arch9wavefront6targetE0EEEvT1_,"axG",@progbits,_ZN7rocprim17ROCPRIM_400000_NS6detail17trampoline_kernelINS0_14default_configENS1_25partition_config_selectorILNS1_17partition_subalgoE9EllbEEZZNS1_14partition_implILS5_9ELb0ES3_jPlS8_PNS0_10empty_typeENS0_5tupleIJS8_S9_EEENSB_IJS8_SA_EEENS0_18inequality_wrapperIZN2at6native12_GLOBAL__N_124unique_dim_cuda_templateIaEESt5tupleIJNSF_6TensorESK_SK_EERKSK_lbbbEUlllE0_EEPmJS9_EEE10hipError_tPvRmT3_T4_T5_T6_T7_T9_mT8_P12ihipStream_tbDpT10_ENKUlT_T0_E_clISt17integral_constantIbLb0EES1A_EEDaS15_S16_EUlS15_E_NS1_11comp_targetILNS1_3genE8ELNS1_11target_archE1030ELNS1_3gpuE2ELNS1_3repE0EEENS1_30default_config_static_selectorELNS0_4arch9wavefront6targetE0EEEvT1_,comdat
.Lfunc_end358:
	.size	_ZN7rocprim17ROCPRIM_400000_NS6detail17trampoline_kernelINS0_14default_configENS1_25partition_config_selectorILNS1_17partition_subalgoE9EllbEEZZNS1_14partition_implILS5_9ELb0ES3_jPlS8_PNS0_10empty_typeENS0_5tupleIJS8_S9_EEENSB_IJS8_SA_EEENS0_18inequality_wrapperIZN2at6native12_GLOBAL__N_124unique_dim_cuda_templateIaEESt5tupleIJNSF_6TensorESK_SK_EERKSK_lbbbEUlllE0_EEPmJS9_EEE10hipError_tPvRmT3_T4_T5_T6_T7_T9_mT8_P12ihipStream_tbDpT10_ENKUlT_T0_E_clISt17integral_constantIbLb0EES1A_EEDaS15_S16_EUlS15_E_NS1_11comp_targetILNS1_3genE8ELNS1_11target_archE1030ELNS1_3gpuE2ELNS1_3repE0EEENS1_30default_config_static_selectorELNS0_4arch9wavefront6targetE0EEEvT1_, .Lfunc_end358-_ZN7rocprim17ROCPRIM_400000_NS6detail17trampoline_kernelINS0_14default_configENS1_25partition_config_selectorILNS1_17partition_subalgoE9EllbEEZZNS1_14partition_implILS5_9ELb0ES3_jPlS8_PNS0_10empty_typeENS0_5tupleIJS8_S9_EEENSB_IJS8_SA_EEENS0_18inequality_wrapperIZN2at6native12_GLOBAL__N_124unique_dim_cuda_templateIaEESt5tupleIJNSF_6TensorESK_SK_EERKSK_lbbbEUlllE0_EEPmJS9_EEE10hipError_tPvRmT3_T4_T5_T6_T7_T9_mT8_P12ihipStream_tbDpT10_ENKUlT_T0_E_clISt17integral_constantIbLb0EES1A_EEDaS15_S16_EUlS15_E_NS1_11comp_targetILNS1_3genE8ELNS1_11target_archE1030ELNS1_3gpuE2ELNS1_3repE0EEENS1_30default_config_static_selectorELNS0_4arch9wavefront6targetE0EEEvT1_
                                        ; -- End function
	.set _ZN7rocprim17ROCPRIM_400000_NS6detail17trampoline_kernelINS0_14default_configENS1_25partition_config_selectorILNS1_17partition_subalgoE9EllbEEZZNS1_14partition_implILS5_9ELb0ES3_jPlS8_PNS0_10empty_typeENS0_5tupleIJS8_S9_EEENSB_IJS8_SA_EEENS0_18inequality_wrapperIZN2at6native12_GLOBAL__N_124unique_dim_cuda_templateIaEESt5tupleIJNSF_6TensorESK_SK_EERKSK_lbbbEUlllE0_EEPmJS9_EEE10hipError_tPvRmT3_T4_T5_T6_T7_T9_mT8_P12ihipStream_tbDpT10_ENKUlT_T0_E_clISt17integral_constantIbLb0EES1A_EEDaS15_S16_EUlS15_E_NS1_11comp_targetILNS1_3genE8ELNS1_11target_archE1030ELNS1_3gpuE2ELNS1_3repE0EEENS1_30default_config_static_selectorELNS0_4arch9wavefront6targetE0EEEvT1_.num_vgpr, 0
	.set _ZN7rocprim17ROCPRIM_400000_NS6detail17trampoline_kernelINS0_14default_configENS1_25partition_config_selectorILNS1_17partition_subalgoE9EllbEEZZNS1_14partition_implILS5_9ELb0ES3_jPlS8_PNS0_10empty_typeENS0_5tupleIJS8_S9_EEENSB_IJS8_SA_EEENS0_18inequality_wrapperIZN2at6native12_GLOBAL__N_124unique_dim_cuda_templateIaEESt5tupleIJNSF_6TensorESK_SK_EERKSK_lbbbEUlllE0_EEPmJS9_EEE10hipError_tPvRmT3_T4_T5_T6_T7_T9_mT8_P12ihipStream_tbDpT10_ENKUlT_T0_E_clISt17integral_constantIbLb0EES1A_EEDaS15_S16_EUlS15_E_NS1_11comp_targetILNS1_3genE8ELNS1_11target_archE1030ELNS1_3gpuE2ELNS1_3repE0EEENS1_30default_config_static_selectorELNS0_4arch9wavefront6targetE0EEEvT1_.num_agpr, 0
	.set _ZN7rocprim17ROCPRIM_400000_NS6detail17trampoline_kernelINS0_14default_configENS1_25partition_config_selectorILNS1_17partition_subalgoE9EllbEEZZNS1_14partition_implILS5_9ELb0ES3_jPlS8_PNS0_10empty_typeENS0_5tupleIJS8_S9_EEENSB_IJS8_SA_EEENS0_18inequality_wrapperIZN2at6native12_GLOBAL__N_124unique_dim_cuda_templateIaEESt5tupleIJNSF_6TensorESK_SK_EERKSK_lbbbEUlllE0_EEPmJS9_EEE10hipError_tPvRmT3_T4_T5_T6_T7_T9_mT8_P12ihipStream_tbDpT10_ENKUlT_T0_E_clISt17integral_constantIbLb0EES1A_EEDaS15_S16_EUlS15_E_NS1_11comp_targetILNS1_3genE8ELNS1_11target_archE1030ELNS1_3gpuE2ELNS1_3repE0EEENS1_30default_config_static_selectorELNS0_4arch9wavefront6targetE0EEEvT1_.numbered_sgpr, 0
	.set _ZN7rocprim17ROCPRIM_400000_NS6detail17trampoline_kernelINS0_14default_configENS1_25partition_config_selectorILNS1_17partition_subalgoE9EllbEEZZNS1_14partition_implILS5_9ELb0ES3_jPlS8_PNS0_10empty_typeENS0_5tupleIJS8_S9_EEENSB_IJS8_SA_EEENS0_18inequality_wrapperIZN2at6native12_GLOBAL__N_124unique_dim_cuda_templateIaEESt5tupleIJNSF_6TensorESK_SK_EERKSK_lbbbEUlllE0_EEPmJS9_EEE10hipError_tPvRmT3_T4_T5_T6_T7_T9_mT8_P12ihipStream_tbDpT10_ENKUlT_T0_E_clISt17integral_constantIbLb0EES1A_EEDaS15_S16_EUlS15_E_NS1_11comp_targetILNS1_3genE8ELNS1_11target_archE1030ELNS1_3gpuE2ELNS1_3repE0EEENS1_30default_config_static_selectorELNS0_4arch9wavefront6targetE0EEEvT1_.num_named_barrier, 0
	.set _ZN7rocprim17ROCPRIM_400000_NS6detail17trampoline_kernelINS0_14default_configENS1_25partition_config_selectorILNS1_17partition_subalgoE9EllbEEZZNS1_14partition_implILS5_9ELb0ES3_jPlS8_PNS0_10empty_typeENS0_5tupleIJS8_S9_EEENSB_IJS8_SA_EEENS0_18inequality_wrapperIZN2at6native12_GLOBAL__N_124unique_dim_cuda_templateIaEESt5tupleIJNSF_6TensorESK_SK_EERKSK_lbbbEUlllE0_EEPmJS9_EEE10hipError_tPvRmT3_T4_T5_T6_T7_T9_mT8_P12ihipStream_tbDpT10_ENKUlT_T0_E_clISt17integral_constantIbLb0EES1A_EEDaS15_S16_EUlS15_E_NS1_11comp_targetILNS1_3genE8ELNS1_11target_archE1030ELNS1_3gpuE2ELNS1_3repE0EEENS1_30default_config_static_selectorELNS0_4arch9wavefront6targetE0EEEvT1_.private_seg_size, 0
	.set _ZN7rocprim17ROCPRIM_400000_NS6detail17trampoline_kernelINS0_14default_configENS1_25partition_config_selectorILNS1_17partition_subalgoE9EllbEEZZNS1_14partition_implILS5_9ELb0ES3_jPlS8_PNS0_10empty_typeENS0_5tupleIJS8_S9_EEENSB_IJS8_SA_EEENS0_18inequality_wrapperIZN2at6native12_GLOBAL__N_124unique_dim_cuda_templateIaEESt5tupleIJNSF_6TensorESK_SK_EERKSK_lbbbEUlllE0_EEPmJS9_EEE10hipError_tPvRmT3_T4_T5_T6_T7_T9_mT8_P12ihipStream_tbDpT10_ENKUlT_T0_E_clISt17integral_constantIbLb0EES1A_EEDaS15_S16_EUlS15_E_NS1_11comp_targetILNS1_3genE8ELNS1_11target_archE1030ELNS1_3gpuE2ELNS1_3repE0EEENS1_30default_config_static_selectorELNS0_4arch9wavefront6targetE0EEEvT1_.uses_vcc, 0
	.set _ZN7rocprim17ROCPRIM_400000_NS6detail17trampoline_kernelINS0_14default_configENS1_25partition_config_selectorILNS1_17partition_subalgoE9EllbEEZZNS1_14partition_implILS5_9ELb0ES3_jPlS8_PNS0_10empty_typeENS0_5tupleIJS8_S9_EEENSB_IJS8_SA_EEENS0_18inequality_wrapperIZN2at6native12_GLOBAL__N_124unique_dim_cuda_templateIaEESt5tupleIJNSF_6TensorESK_SK_EERKSK_lbbbEUlllE0_EEPmJS9_EEE10hipError_tPvRmT3_T4_T5_T6_T7_T9_mT8_P12ihipStream_tbDpT10_ENKUlT_T0_E_clISt17integral_constantIbLb0EES1A_EEDaS15_S16_EUlS15_E_NS1_11comp_targetILNS1_3genE8ELNS1_11target_archE1030ELNS1_3gpuE2ELNS1_3repE0EEENS1_30default_config_static_selectorELNS0_4arch9wavefront6targetE0EEEvT1_.uses_flat_scratch, 0
	.set _ZN7rocprim17ROCPRIM_400000_NS6detail17trampoline_kernelINS0_14default_configENS1_25partition_config_selectorILNS1_17partition_subalgoE9EllbEEZZNS1_14partition_implILS5_9ELb0ES3_jPlS8_PNS0_10empty_typeENS0_5tupleIJS8_S9_EEENSB_IJS8_SA_EEENS0_18inequality_wrapperIZN2at6native12_GLOBAL__N_124unique_dim_cuda_templateIaEESt5tupleIJNSF_6TensorESK_SK_EERKSK_lbbbEUlllE0_EEPmJS9_EEE10hipError_tPvRmT3_T4_T5_T6_T7_T9_mT8_P12ihipStream_tbDpT10_ENKUlT_T0_E_clISt17integral_constantIbLb0EES1A_EEDaS15_S16_EUlS15_E_NS1_11comp_targetILNS1_3genE8ELNS1_11target_archE1030ELNS1_3gpuE2ELNS1_3repE0EEENS1_30default_config_static_selectorELNS0_4arch9wavefront6targetE0EEEvT1_.has_dyn_sized_stack, 0
	.set _ZN7rocprim17ROCPRIM_400000_NS6detail17trampoline_kernelINS0_14default_configENS1_25partition_config_selectorILNS1_17partition_subalgoE9EllbEEZZNS1_14partition_implILS5_9ELb0ES3_jPlS8_PNS0_10empty_typeENS0_5tupleIJS8_S9_EEENSB_IJS8_SA_EEENS0_18inequality_wrapperIZN2at6native12_GLOBAL__N_124unique_dim_cuda_templateIaEESt5tupleIJNSF_6TensorESK_SK_EERKSK_lbbbEUlllE0_EEPmJS9_EEE10hipError_tPvRmT3_T4_T5_T6_T7_T9_mT8_P12ihipStream_tbDpT10_ENKUlT_T0_E_clISt17integral_constantIbLb0EES1A_EEDaS15_S16_EUlS15_E_NS1_11comp_targetILNS1_3genE8ELNS1_11target_archE1030ELNS1_3gpuE2ELNS1_3repE0EEENS1_30default_config_static_selectorELNS0_4arch9wavefront6targetE0EEEvT1_.has_recursion, 0
	.set _ZN7rocprim17ROCPRIM_400000_NS6detail17trampoline_kernelINS0_14default_configENS1_25partition_config_selectorILNS1_17partition_subalgoE9EllbEEZZNS1_14partition_implILS5_9ELb0ES3_jPlS8_PNS0_10empty_typeENS0_5tupleIJS8_S9_EEENSB_IJS8_SA_EEENS0_18inequality_wrapperIZN2at6native12_GLOBAL__N_124unique_dim_cuda_templateIaEESt5tupleIJNSF_6TensorESK_SK_EERKSK_lbbbEUlllE0_EEPmJS9_EEE10hipError_tPvRmT3_T4_T5_T6_T7_T9_mT8_P12ihipStream_tbDpT10_ENKUlT_T0_E_clISt17integral_constantIbLb0EES1A_EEDaS15_S16_EUlS15_E_NS1_11comp_targetILNS1_3genE8ELNS1_11target_archE1030ELNS1_3gpuE2ELNS1_3repE0EEENS1_30default_config_static_selectorELNS0_4arch9wavefront6targetE0EEEvT1_.has_indirect_call, 0
	.section	.AMDGPU.csdata,"",@progbits
; Kernel info:
; codeLenInByte = 0
; TotalNumSgprs: 0
; NumVgprs: 0
; ScratchSize: 0
; MemoryBound: 0
; FloatMode: 240
; IeeeMode: 1
; LDSByteSize: 0 bytes/workgroup (compile time only)
; SGPRBlocks: 0
; VGPRBlocks: 0
; NumSGPRsForWavesPerEU: 1
; NumVGPRsForWavesPerEU: 1
; NamedBarCnt: 0
; Occupancy: 16
; WaveLimiterHint : 0
; COMPUTE_PGM_RSRC2:SCRATCH_EN: 0
; COMPUTE_PGM_RSRC2:USER_SGPR: 2
; COMPUTE_PGM_RSRC2:TRAP_HANDLER: 0
; COMPUTE_PGM_RSRC2:TGID_X_EN: 1
; COMPUTE_PGM_RSRC2:TGID_Y_EN: 0
; COMPUTE_PGM_RSRC2:TGID_Z_EN: 0
; COMPUTE_PGM_RSRC2:TIDIG_COMP_CNT: 0
	.section	.text._ZN7rocprim17ROCPRIM_400000_NS6detail17trampoline_kernelINS0_14default_configENS1_25partition_config_selectorILNS1_17partition_subalgoE9EllbEEZZNS1_14partition_implILS5_9ELb0ES3_jPlS8_PNS0_10empty_typeENS0_5tupleIJS8_S9_EEENSB_IJS8_SA_EEENS0_18inequality_wrapperIZN2at6native12_GLOBAL__N_124unique_dim_cuda_templateIaEESt5tupleIJNSF_6TensorESK_SK_EERKSK_lbbbEUlllE0_EEPmJS9_EEE10hipError_tPvRmT3_T4_T5_T6_T7_T9_mT8_P12ihipStream_tbDpT10_ENKUlT_T0_E_clISt17integral_constantIbLb1EES1A_EEDaS15_S16_EUlS15_E_NS1_11comp_targetILNS1_3genE0ELNS1_11target_archE4294967295ELNS1_3gpuE0ELNS1_3repE0EEENS1_30default_config_static_selectorELNS0_4arch9wavefront6targetE0EEEvT1_,"axG",@progbits,_ZN7rocprim17ROCPRIM_400000_NS6detail17trampoline_kernelINS0_14default_configENS1_25partition_config_selectorILNS1_17partition_subalgoE9EllbEEZZNS1_14partition_implILS5_9ELb0ES3_jPlS8_PNS0_10empty_typeENS0_5tupleIJS8_S9_EEENSB_IJS8_SA_EEENS0_18inequality_wrapperIZN2at6native12_GLOBAL__N_124unique_dim_cuda_templateIaEESt5tupleIJNSF_6TensorESK_SK_EERKSK_lbbbEUlllE0_EEPmJS9_EEE10hipError_tPvRmT3_T4_T5_T6_T7_T9_mT8_P12ihipStream_tbDpT10_ENKUlT_T0_E_clISt17integral_constantIbLb1EES1A_EEDaS15_S16_EUlS15_E_NS1_11comp_targetILNS1_3genE0ELNS1_11target_archE4294967295ELNS1_3gpuE0ELNS1_3repE0EEENS1_30default_config_static_selectorELNS0_4arch9wavefront6targetE0EEEvT1_,comdat
	.globl	_ZN7rocprim17ROCPRIM_400000_NS6detail17trampoline_kernelINS0_14default_configENS1_25partition_config_selectorILNS1_17partition_subalgoE9EllbEEZZNS1_14partition_implILS5_9ELb0ES3_jPlS8_PNS0_10empty_typeENS0_5tupleIJS8_S9_EEENSB_IJS8_SA_EEENS0_18inequality_wrapperIZN2at6native12_GLOBAL__N_124unique_dim_cuda_templateIaEESt5tupleIJNSF_6TensorESK_SK_EERKSK_lbbbEUlllE0_EEPmJS9_EEE10hipError_tPvRmT3_T4_T5_T6_T7_T9_mT8_P12ihipStream_tbDpT10_ENKUlT_T0_E_clISt17integral_constantIbLb1EES1A_EEDaS15_S16_EUlS15_E_NS1_11comp_targetILNS1_3genE0ELNS1_11target_archE4294967295ELNS1_3gpuE0ELNS1_3repE0EEENS1_30default_config_static_selectorELNS0_4arch9wavefront6targetE0EEEvT1_ ; -- Begin function _ZN7rocprim17ROCPRIM_400000_NS6detail17trampoline_kernelINS0_14default_configENS1_25partition_config_selectorILNS1_17partition_subalgoE9EllbEEZZNS1_14partition_implILS5_9ELb0ES3_jPlS8_PNS0_10empty_typeENS0_5tupleIJS8_S9_EEENSB_IJS8_SA_EEENS0_18inequality_wrapperIZN2at6native12_GLOBAL__N_124unique_dim_cuda_templateIaEESt5tupleIJNSF_6TensorESK_SK_EERKSK_lbbbEUlllE0_EEPmJS9_EEE10hipError_tPvRmT3_T4_T5_T6_T7_T9_mT8_P12ihipStream_tbDpT10_ENKUlT_T0_E_clISt17integral_constantIbLb1EES1A_EEDaS15_S16_EUlS15_E_NS1_11comp_targetILNS1_3genE0ELNS1_11target_archE4294967295ELNS1_3gpuE0ELNS1_3repE0EEENS1_30default_config_static_selectorELNS0_4arch9wavefront6targetE0EEEvT1_
	.p2align	8
	.type	_ZN7rocprim17ROCPRIM_400000_NS6detail17trampoline_kernelINS0_14default_configENS1_25partition_config_selectorILNS1_17partition_subalgoE9EllbEEZZNS1_14partition_implILS5_9ELb0ES3_jPlS8_PNS0_10empty_typeENS0_5tupleIJS8_S9_EEENSB_IJS8_SA_EEENS0_18inequality_wrapperIZN2at6native12_GLOBAL__N_124unique_dim_cuda_templateIaEESt5tupleIJNSF_6TensorESK_SK_EERKSK_lbbbEUlllE0_EEPmJS9_EEE10hipError_tPvRmT3_T4_T5_T6_T7_T9_mT8_P12ihipStream_tbDpT10_ENKUlT_T0_E_clISt17integral_constantIbLb1EES1A_EEDaS15_S16_EUlS15_E_NS1_11comp_targetILNS1_3genE0ELNS1_11target_archE4294967295ELNS1_3gpuE0ELNS1_3repE0EEENS1_30default_config_static_selectorELNS0_4arch9wavefront6targetE0EEEvT1_,@function
_ZN7rocprim17ROCPRIM_400000_NS6detail17trampoline_kernelINS0_14default_configENS1_25partition_config_selectorILNS1_17partition_subalgoE9EllbEEZZNS1_14partition_implILS5_9ELb0ES3_jPlS8_PNS0_10empty_typeENS0_5tupleIJS8_S9_EEENSB_IJS8_SA_EEENS0_18inequality_wrapperIZN2at6native12_GLOBAL__N_124unique_dim_cuda_templateIaEESt5tupleIJNSF_6TensorESK_SK_EERKSK_lbbbEUlllE0_EEPmJS9_EEE10hipError_tPvRmT3_T4_T5_T6_T7_T9_mT8_P12ihipStream_tbDpT10_ENKUlT_T0_E_clISt17integral_constantIbLb1EES1A_EEDaS15_S16_EUlS15_E_NS1_11comp_targetILNS1_3genE0ELNS1_11target_archE4294967295ELNS1_3gpuE0ELNS1_3repE0EEENS1_30default_config_static_selectorELNS0_4arch9wavefront6targetE0EEEvT1_: ; @_ZN7rocprim17ROCPRIM_400000_NS6detail17trampoline_kernelINS0_14default_configENS1_25partition_config_selectorILNS1_17partition_subalgoE9EllbEEZZNS1_14partition_implILS5_9ELb0ES3_jPlS8_PNS0_10empty_typeENS0_5tupleIJS8_S9_EEENSB_IJS8_SA_EEENS0_18inequality_wrapperIZN2at6native12_GLOBAL__N_124unique_dim_cuda_templateIaEESt5tupleIJNSF_6TensorESK_SK_EERKSK_lbbbEUlllE0_EEPmJS9_EEE10hipError_tPvRmT3_T4_T5_T6_T7_T9_mT8_P12ihipStream_tbDpT10_ENKUlT_T0_E_clISt17integral_constantIbLb1EES1A_EEDaS15_S16_EUlS15_E_NS1_11comp_targetILNS1_3genE0ELNS1_11target_archE4294967295ELNS1_3gpuE0ELNS1_3repE0EEENS1_30default_config_static_selectorELNS0_4arch9wavefront6targetE0EEEvT1_
; %bb.0:
	s_endpgm
	.section	.rodata,"a",@progbits
	.p2align	6, 0x0
	.amdhsa_kernel _ZN7rocprim17ROCPRIM_400000_NS6detail17trampoline_kernelINS0_14default_configENS1_25partition_config_selectorILNS1_17partition_subalgoE9EllbEEZZNS1_14partition_implILS5_9ELb0ES3_jPlS8_PNS0_10empty_typeENS0_5tupleIJS8_S9_EEENSB_IJS8_SA_EEENS0_18inequality_wrapperIZN2at6native12_GLOBAL__N_124unique_dim_cuda_templateIaEESt5tupleIJNSF_6TensorESK_SK_EERKSK_lbbbEUlllE0_EEPmJS9_EEE10hipError_tPvRmT3_T4_T5_T6_T7_T9_mT8_P12ihipStream_tbDpT10_ENKUlT_T0_E_clISt17integral_constantIbLb1EES1A_EEDaS15_S16_EUlS15_E_NS1_11comp_targetILNS1_3genE0ELNS1_11target_archE4294967295ELNS1_3gpuE0ELNS1_3repE0EEENS1_30default_config_static_selectorELNS0_4arch9wavefront6targetE0EEEvT1_
		.amdhsa_group_segment_fixed_size 0
		.amdhsa_private_segment_fixed_size 0
		.amdhsa_kernarg_size 136
		.amdhsa_user_sgpr_count 2
		.amdhsa_user_sgpr_dispatch_ptr 0
		.amdhsa_user_sgpr_queue_ptr 0
		.amdhsa_user_sgpr_kernarg_segment_ptr 1
		.amdhsa_user_sgpr_dispatch_id 0
		.amdhsa_user_sgpr_kernarg_preload_length 0
		.amdhsa_user_sgpr_kernarg_preload_offset 0
		.amdhsa_user_sgpr_private_segment_size 0
		.amdhsa_wavefront_size32 1
		.amdhsa_uses_dynamic_stack 0
		.amdhsa_enable_private_segment 0
		.amdhsa_system_sgpr_workgroup_id_x 1
		.amdhsa_system_sgpr_workgroup_id_y 0
		.amdhsa_system_sgpr_workgroup_id_z 0
		.amdhsa_system_sgpr_workgroup_info 0
		.amdhsa_system_vgpr_workitem_id 0
		.amdhsa_next_free_vgpr 1
		.amdhsa_next_free_sgpr 1
		.amdhsa_named_barrier_count 0
		.amdhsa_reserve_vcc 0
		.amdhsa_float_round_mode_32 0
		.amdhsa_float_round_mode_16_64 0
		.amdhsa_float_denorm_mode_32 3
		.amdhsa_float_denorm_mode_16_64 3
		.amdhsa_fp16_overflow 0
		.amdhsa_memory_ordered 1
		.amdhsa_forward_progress 1
		.amdhsa_inst_pref_size 1
		.amdhsa_round_robin_scheduling 0
		.amdhsa_exception_fp_ieee_invalid_op 0
		.amdhsa_exception_fp_denorm_src 0
		.amdhsa_exception_fp_ieee_div_zero 0
		.amdhsa_exception_fp_ieee_overflow 0
		.amdhsa_exception_fp_ieee_underflow 0
		.amdhsa_exception_fp_ieee_inexact 0
		.amdhsa_exception_int_div_zero 0
	.end_amdhsa_kernel
	.section	.text._ZN7rocprim17ROCPRIM_400000_NS6detail17trampoline_kernelINS0_14default_configENS1_25partition_config_selectorILNS1_17partition_subalgoE9EllbEEZZNS1_14partition_implILS5_9ELb0ES3_jPlS8_PNS0_10empty_typeENS0_5tupleIJS8_S9_EEENSB_IJS8_SA_EEENS0_18inequality_wrapperIZN2at6native12_GLOBAL__N_124unique_dim_cuda_templateIaEESt5tupleIJNSF_6TensorESK_SK_EERKSK_lbbbEUlllE0_EEPmJS9_EEE10hipError_tPvRmT3_T4_T5_T6_T7_T9_mT8_P12ihipStream_tbDpT10_ENKUlT_T0_E_clISt17integral_constantIbLb1EES1A_EEDaS15_S16_EUlS15_E_NS1_11comp_targetILNS1_3genE0ELNS1_11target_archE4294967295ELNS1_3gpuE0ELNS1_3repE0EEENS1_30default_config_static_selectorELNS0_4arch9wavefront6targetE0EEEvT1_,"axG",@progbits,_ZN7rocprim17ROCPRIM_400000_NS6detail17trampoline_kernelINS0_14default_configENS1_25partition_config_selectorILNS1_17partition_subalgoE9EllbEEZZNS1_14partition_implILS5_9ELb0ES3_jPlS8_PNS0_10empty_typeENS0_5tupleIJS8_S9_EEENSB_IJS8_SA_EEENS0_18inequality_wrapperIZN2at6native12_GLOBAL__N_124unique_dim_cuda_templateIaEESt5tupleIJNSF_6TensorESK_SK_EERKSK_lbbbEUlllE0_EEPmJS9_EEE10hipError_tPvRmT3_T4_T5_T6_T7_T9_mT8_P12ihipStream_tbDpT10_ENKUlT_T0_E_clISt17integral_constantIbLb1EES1A_EEDaS15_S16_EUlS15_E_NS1_11comp_targetILNS1_3genE0ELNS1_11target_archE4294967295ELNS1_3gpuE0ELNS1_3repE0EEENS1_30default_config_static_selectorELNS0_4arch9wavefront6targetE0EEEvT1_,comdat
.Lfunc_end359:
	.size	_ZN7rocprim17ROCPRIM_400000_NS6detail17trampoline_kernelINS0_14default_configENS1_25partition_config_selectorILNS1_17partition_subalgoE9EllbEEZZNS1_14partition_implILS5_9ELb0ES3_jPlS8_PNS0_10empty_typeENS0_5tupleIJS8_S9_EEENSB_IJS8_SA_EEENS0_18inequality_wrapperIZN2at6native12_GLOBAL__N_124unique_dim_cuda_templateIaEESt5tupleIJNSF_6TensorESK_SK_EERKSK_lbbbEUlllE0_EEPmJS9_EEE10hipError_tPvRmT3_T4_T5_T6_T7_T9_mT8_P12ihipStream_tbDpT10_ENKUlT_T0_E_clISt17integral_constantIbLb1EES1A_EEDaS15_S16_EUlS15_E_NS1_11comp_targetILNS1_3genE0ELNS1_11target_archE4294967295ELNS1_3gpuE0ELNS1_3repE0EEENS1_30default_config_static_selectorELNS0_4arch9wavefront6targetE0EEEvT1_, .Lfunc_end359-_ZN7rocprim17ROCPRIM_400000_NS6detail17trampoline_kernelINS0_14default_configENS1_25partition_config_selectorILNS1_17partition_subalgoE9EllbEEZZNS1_14partition_implILS5_9ELb0ES3_jPlS8_PNS0_10empty_typeENS0_5tupleIJS8_S9_EEENSB_IJS8_SA_EEENS0_18inequality_wrapperIZN2at6native12_GLOBAL__N_124unique_dim_cuda_templateIaEESt5tupleIJNSF_6TensorESK_SK_EERKSK_lbbbEUlllE0_EEPmJS9_EEE10hipError_tPvRmT3_T4_T5_T6_T7_T9_mT8_P12ihipStream_tbDpT10_ENKUlT_T0_E_clISt17integral_constantIbLb1EES1A_EEDaS15_S16_EUlS15_E_NS1_11comp_targetILNS1_3genE0ELNS1_11target_archE4294967295ELNS1_3gpuE0ELNS1_3repE0EEENS1_30default_config_static_selectorELNS0_4arch9wavefront6targetE0EEEvT1_
                                        ; -- End function
	.set _ZN7rocprim17ROCPRIM_400000_NS6detail17trampoline_kernelINS0_14default_configENS1_25partition_config_selectorILNS1_17partition_subalgoE9EllbEEZZNS1_14partition_implILS5_9ELb0ES3_jPlS8_PNS0_10empty_typeENS0_5tupleIJS8_S9_EEENSB_IJS8_SA_EEENS0_18inequality_wrapperIZN2at6native12_GLOBAL__N_124unique_dim_cuda_templateIaEESt5tupleIJNSF_6TensorESK_SK_EERKSK_lbbbEUlllE0_EEPmJS9_EEE10hipError_tPvRmT3_T4_T5_T6_T7_T9_mT8_P12ihipStream_tbDpT10_ENKUlT_T0_E_clISt17integral_constantIbLb1EES1A_EEDaS15_S16_EUlS15_E_NS1_11comp_targetILNS1_3genE0ELNS1_11target_archE4294967295ELNS1_3gpuE0ELNS1_3repE0EEENS1_30default_config_static_selectorELNS0_4arch9wavefront6targetE0EEEvT1_.num_vgpr, 0
	.set _ZN7rocprim17ROCPRIM_400000_NS6detail17trampoline_kernelINS0_14default_configENS1_25partition_config_selectorILNS1_17partition_subalgoE9EllbEEZZNS1_14partition_implILS5_9ELb0ES3_jPlS8_PNS0_10empty_typeENS0_5tupleIJS8_S9_EEENSB_IJS8_SA_EEENS0_18inequality_wrapperIZN2at6native12_GLOBAL__N_124unique_dim_cuda_templateIaEESt5tupleIJNSF_6TensorESK_SK_EERKSK_lbbbEUlllE0_EEPmJS9_EEE10hipError_tPvRmT3_T4_T5_T6_T7_T9_mT8_P12ihipStream_tbDpT10_ENKUlT_T0_E_clISt17integral_constantIbLb1EES1A_EEDaS15_S16_EUlS15_E_NS1_11comp_targetILNS1_3genE0ELNS1_11target_archE4294967295ELNS1_3gpuE0ELNS1_3repE0EEENS1_30default_config_static_selectorELNS0_4arch9wavefront6targetE0EEEvT1_.num_agpr, 0
	.set _ZN7rocprim17ROCPRIM_400000_NS6detail17trampoline_kernelINS0_14default_configENS1_25partition_config_selectorILNS1_17partition_subalgoE9EllbEEZZNS1_14partition_implILS5_9ELb0ES3_jPlS8_PNS0_10empty_typeENS0_5tupleIJS8_S9_EEENSB_IJS8_SA_EEENS0_18inequality_wrapperIZN2at6native12_GLOBAL__N_124unique_dim_cuda_templateIaEESt5tupleIJNSF_6TensorESK_SK_EERKSK_lbbbEUlllE0_EEPmJS9_EEE10hipError_tPvRmT3_T4_T5_T6_T7_T9_mT8_P12ihipStream_tbDpT10_ENKUlT_T0_E_clISt17integral_constantIbLb1EES1A_EEDaS15_S16_EUlS15_E_NS1_11comp_targetILNS1_3genE0ELNS1_11target_archE4294967295ELNS1_3gpuE0ELNS1_3repE0EEENS1_30default_config_static_selectorELNS0_4arch9wavefront6targetE0EEEvT1_.numbered_sgpr, 0
	.set _ZN7rocprim17ROCPRIM_400000_NS6detail17trampoline_kernelINS0_14default_configENS1_25partition_config_selectorILNS1_17partition_subalgoE9EllbEEZZNS1_14partition_implILS5_9ELb0ES3_jPlS8_PNS0_10empty_typeENS0_5tupleIJS8_S9_EEENSB_IJS8_SA_EEENS0_18inequality_wrapperIZN2at6native12_GLOBAL__N_124unique_dim_cuda_templateIaEESt5tupleIJNSF_6TensorESK_SK_EERKSK_lbbbEUlllE0_EEPmJS9_EEE10hipError_tPvRmT3_T4_T5_T6_T7_T9_mT8_P12ihipStream_tbDpT10_ENKUlT_T0_E_clISt17integral_constantIbLb1EES1A_EEDaS15_S16_EUlS15_E_NS1_11comp_targetILNS1_3genE0ELNS1_11target_archE4294967295ELNS1_3gpuE0ELNS1_3repE0EEENS1_30default_config_static_selectorELNS0_4arch9wavefront6targetE0EEEvT1_.num_named_barrier, 0
	.set _ZN7rocprim17ROCPRIM_400000_NS6detail17trampoline_kernelINS0_14default_configENS1_25partition_config_selectorILNS1_17partition_subalgoE9EllbEEZZNS1_14partition_implILS5_9ELb0ES3_jPlS8_PNS0_10empty_typeENS0_5tupleIJS8_S9_EEENSB_IJS8_SA_EEENS0_18inequality_wrapperIZN2at6native12_GLOBAL__N_124unique_dim_cuda_templateIaEESt5tupleIJNSF_6TensorESK_SK_EERKSK_lbbbEUlllE0_EEPmJS9_EEE10hipError_tPvRmT3_T4_T5_T6_T7_T9_mT8_P12ihipStream_tbDpT10_ENKUlT_T0_E_clISt17integral_constantIbLb1EES1A_EEDaS15_S16_EUlS15_E_NS1_11comp_targetILNS1_3genE0ELNS1_11target_archE4294967295ELNS1_3gpuE0ELNS1_3repE0EEENS1_30default_config_static_selectorELNS0_4arch9wavefront6targetE0EEEvT1_.private_seg_size, 0
	.set _ZN7rocprim17ROCPRIM_400000_NS6detail17trampoline_kernelINS0_14default_configENS1_25partition_config_selectorILNS1_17partition_subalgoE9EllbEEZZNS1_14partition_implILS5_9ELb0ES3_jPlS8_PNS0_10empty_typeENS0_5tupleIJS8_S9_EEENSB_IJS8_SA_EEENS0_18inequality_wrapperIZN2at6native12_GLOBAL__N_124unique_dim_cuda_templateIaEESt5tupleIJNSF_6TensorESK_SK_EERKSK_lbbbEUlllE0_EEPmJS9_EEE10hipError_tPvRmT3_T4_T5_T6_T7_T9_mT8_P12ihipStream_tbDpT10_ENKUlT_T0_E_clISt17integral_constantIbLb1EES1A_EEDaS15_S16_EUlS15_E_NS1_11comp_targetILNS1_3genE0ELNS1_11target_archE4294967295ELNS1_3gpuE0ELNS1_3repE0EEENS1_30default_config_static_selectorELNS0_4arch9wavefront6targetE0EEEvT1_.uses_vcc, 0
	.set _ZN7rocprim17ROCPRIM_400000_NS6detail17trampoline_kernelINS0_14default_configENS1_25partition_config_selectorILNS1_17partition_subalgoE9EllbEEZZNS1_14partition_implILS5_9ELb0ES3_jPlS8_PNS0_10empty_typeENS0_5tupleIJS8_S9_EEENSB_IJS8_SA_EEENS0_18inequality_wrapperIZN2at6native12_GLOBAL__N_124unique_dim_cuda_templateIaEESt5tupleIJNSF_6TensorESK_SK_EERKSK_lbbbEUlllE0_EEPmJS9_EEE10hipError_tPvRmT3_T4_T5_T6_T7_T9_mT8_P12ihipStream_tbDpT10_ENKUlT_T0_E_clISt17integral_constantIbLb1EES1A_EEDaS15_S16_EUlS15_E_NS1_11comp_targetILNS1_3genE0ELNS1_11target_archE4294967295ELNS1_3gpuE0ELNS1_3repE0EEENS1_30default_config_static_selectorELNS0_4arch9wavefront6targetE0EEEvT1_.uses_flat_scratch, 0
	.set _ZN7rocprim17ROCPRIM_400000_NS6detail17trampoline_kernelINS0_14default_configENS1_25partition_config_selectorILNS1_17partition_subalgoE9EllbEEZZNS1_14partition_implILS5_9ELb0ES3_jPlS8_PNS0_10empty_typeENS0_5tupleIJS8_S9_EEENSB_IJS8_SA_EEENS0_18inequality_wrapperIZN2at6native12_GLOBAL__N_124unique_dim_cuda_templateIaEESt5tupleIJNSF_6TensorESK_SK_EERKSK_lbbbEUlllE0_EEPmJS9_EEE10hipError_tPvRmT3_T4_T5_T6_T7_T9_mT8_P12ihipStream_tbDpT10_ENKUlT_T0_E_clISt17integral_constantIbLb1EES1A_EEDaS15_S16_EUlS15_E_NS1_11comp_targetILNS1_3genE0ELNS1_11target_archE4294967295ELNS1_3gpuE0ELNS1_3repE0EEENS1_30default_config_static_selectorELNS0_4arch9wavefront6targetE0EEEvT1_.has_dyn_sized_stack, 0
	.set _ZN7rocprim17ROCPRIM_400000_NS6detail17trampoline_kernelINS0_14default_configENS1_25partition_config_selectorILNS1_17partition_subalgoE9EllbEEZZNS1_14partition_implILS5_9ELb0ES3_jPlS8_PNS0_10empty_typeENS0_5tupleIJS8_S9_EEENSB_IJS8_SA_EEENS0_18inequality_wrapperIZN2at6native12_GLOBAL__N_124unique_dim_cuda_templateIaEESt5tupleIJNSF_6TensorESK_SK_EERKSK_lbbbEUlllE0_EEPmJS9_EEE10hipError_tPvRmT3_T4_T5_T6_T7_T9_mT8_P12ihipStream_tbDpT10_ENKUlT_T0_E_clISt17integral_constantIbLb1EES1A_EEDaS15_S16_EUlS15_E_NS1_11comp_targetILNS1_3genE0ELNS1_11target_archE4294967295ELNS1_3gpuE0ELNS1_3repE0EEENS1_30default_config_static_selectorELNS0_4arch9wavefront6targetE0EEEvT1_.has_recursion, 0
	.set _ZN7rocprim17ROCPRIM_400000_NS6detail17trampoline_kernelINS0_14default_configENS1_25partition_config_selectorILNS1_17partition_subalgoE9EllbEEZZNS1_14partition_implILS5_9ELb0ES3_jPlS8_PNS0_10empty_typeENS0_5tupleIJS8_S9_EEENSB_IJS8_SA_EEENS0_18inequality_wrapperIZN2at6native12_GLOBAL__N_124unique_dim_cuda_templateIaEESt5tupleIJNSF_6TensorESK_SK_EERKSK_lbbbEUlllE0_EEPmJS9_EEE10hipError_tPvRmT3_T4_T5_T6_T7_T9_mT8_P12ihipStream_tbDpT10_ENKUlT_T0_E_clISt17integral_constantIbLb1EES1A_EEDaS15_S16_EUlS15_E_NS1_11comp_targetILNS1_3genE0ELNS1_11target_archE4294967295ELNS1_3gpuE0ELNS1_3repE0EEENS1_30default_config_static_selectorELNS0_4arch9wavefront6targetE0EEEvT1_.has_indirect_call, 0
	.section	.AMDGPU.csdata,"",@progbits
; Kernel info:
; codeLenInByte = 4
; TotalNumSgprs: 0
; NumVgprs: 0
; ScratchSize: 0
; MemoryBound: 0
; FloatMode: 240
; IeeeMode: 1
; LDSByteSize: 0 bytes/workgroup (compile time only)
; SGPRBlocks: 0
; VGPRBlocks: 0
; NumSGPRsForWavesPerEU: 1
; NumVGPRsForWavesPerEU: 1
; NamedBarCnt: 0
; Occupancy: 16
; WaveLimiterHint : 0
; COMPUTE_PGM_RSRC2:SCRATCH_EN: 0
; COMPUTE_PGM_RSRC2:USER_SGPR: 2
; COMPUTE_PGM_RSRC2:TRAP_HANDLER: 0
; COMPUTE_PGM_RSRC2:TGID_X_EN: 1
; COMPUTE_PGM_RSRC2:TGID_Y_EN: 0
; COMPUTE_PGM_RSRC2:TGID_Z_EN: 0
; COMPUTE_PGM_RSRC2:TIDIG_COMP_CNT: 0
	.section	.text._ZN7rocprim17ROCPRIM_400000_NS6detail17trampoline_kernelINS0_14default_configENS1_25partition_config_selectorILNS1_17partition_subalgoE9EllbEEZZNS1_14partition_implILS5_9ELb0ES3_jPlS8_PNS0_10empty_typeENS0_5tupleIJS8_S9_EEENSB_IJS8_SA_EEENS0_18inequality_wrapperIZN2at6native12_GLOBAL__N_124unique_dim_cuda_templateIaEESt5tupleIJNSF_6TensorESK_SK_EERKSK_lbbbEUlllE0_EEPmJS9_EEE10hipError_tPvRmT3_T4_T5_T6_T7_T9_mT8_P12ihipStream_tbDpT10_ENKUlT_T0_E_clISt17integral_constantIbLb1EES1A_EEDaS15_S16_EUlS15_E_NS1_11comp_targetILNS1_3genE5ELNS1_11target_archE942ELNS1_3gpuE9ELNS1_3repE0EEENS1_30default_config_static_selectorELNS0_4arch9wavefront6targetE0EEEvT1_,"axG",@progbits,_ZN7rocprim17ROCPRIM_400000_NS6detail17trampoline_kernelINS0_14default_configENS1_25partition_config_selectorILNS1_17partition_subalgoE9EllbEEZZNS1_14partition_implILS5_9ELb0ES3_jPlS8_PNS0_10empty_typeENS0_5tupleIJS8_S9_EEENSB_IJS8_SA_EEENS0_18inequality_wrapperIZN2at6native12_GLOBAL__N_124unique_dim_cuda_templateIaEESt5tupleIJNSF_6TensorESK_SK_EERKSK_lbbbEUlllE0_EEPmJS9_EEE10hipError_tPvRmT3_T4_T5_T6_T7_T9_mT8_P12ihipStream_tbDpT10_ENKUlT_T0_E_clISt17integral_constantIbLb1EES1A_EEDaS15_S16_EUlS15_E_NS1_11comp_targetILNS1_3genE5ELNS1_11target_archE942ELNS1_3gpuE9ELNS1_3repE0EEENS1_30default_config_static_selectorELNS0_4arch9wavefront6targetE0EEEvT1_,comdat
	.globl	_ZN7rocprim17ROCPRIM_400000_NS6detail17trampoline_kernelINS0_14default_configENS1_25partition_config_selectorILNS1_17partition_subalgoE9EllbEEZZNS1_14partition_implILS5_9ELb0ES3_jPlS8_PNS0_10empty_typeENS0_5tupleIJS8_S9_EEENSB_IJS8_SA_EEENS0_18inequality_wrapperIZN2at6native12_GLOBAL__N_124unique_dim_cuda_templateIaEESt5tupleIJNSF_6TensorESK_SK_EERKSK_lbbbEUlllE0_EEPmJS9_EEE10hipError_tPvRmT3_T4_T5_T6_T7_T9_mT8_P12ihipStream_tbDpT10_ENKUlT_T0_E_clISt17integral_constantIbLb1EES1A_EEDaS15_S16_EUlS15_E_NS1_11comp_targetILNS1_3genE5ELNS1_11target_archE942ELNS1_3gpuE9ELNS1_3repE0EEENS1_30default_config_static_selectorELNS0_4arch9wavefront6targetE0EEEvT1_ ; -- Begin function _ZN7rocprim17ROCPRIM_400000_NS6detail17trampoline_kernelINS0_14default_configENS1_25partition_config_selectorILNS1_17partition_subalgoE9EllbEEZZNS1_14partition_implILS5_9ELb0ES3_jPlS8_PNS0_10empty_typeENS0_5tupleIJS8_S9_EEENSB_IJS8_SA_EEENS0_18inequality_wrapperIZN2at6native12_GLOBAL__N_124unique_dim_cuda_templateIaEESt5tupleIJNSF_6TensorESK_SK_EERKSK_lbbbEUlllE0_EEPmJS9_EEE10hipError_tPvRmT3_T4_T5_T6_T7_T9_mT8_P12ihipStream_tbDpT10_ENKUlT_T0_E_clISt17integral_constantIbLb1EES1A_EEDaS15_S16_EUlS15_E_NS1_11comp_targetILNS1_3genE5ELNS1_11target_archE942ELNS1_3gpuE9ELNS1_3repE0EEENS1_30default_config_static_selectorELNS0_4arch9wavefront6targetE0EEEvT1_
	.p2align	8
	.type	_ZN7rocprim17ROCPRIM_400000_NS6detail17trampoline_kernelINS0_14default_configENS1_25partition_config_selectorILNS1_17partition_subalgoE9EllbEEZZNS1_14partition_implILS5_9ELb0ES3_jPlS8_PNS0_10empty_typeENS0_5tupleIJS8_S9_EEENSB_IJS8_SA_EEENS0_18inequality_wrapperIZN2at6native12_GLOBAL__N_124unique_dim_cuda_templateIaEESt5tupleIJNSF_6TensorESK_SK_EERKSK_lbbbEUlllE0_EEPmJS9_EEE10hipError_tPvRmT3_T4_T5_T6_T7_T9_mT8_P12ihipStream_tbDpT10_ENKUlT_T0_E_clISt17integral_constantIbLb1EES1A_EEDaS15_S16_EUlS15_E_NS1_11comp_targetILNS1_3genE5ELNS1_11target_archE942ELNS1_3gpuE9ELNS1_3repE0EEENS1_30default_config_static_selectorELNS0_4arch9wavefront6targetE0EEEvT1_,@function
_ZN7rocprim17ROCPRIM_400000_NS6detail17trampoline_kernelINS0_14default_configENS1_25partition_config_selectorILNS1_17partition_subalgoE9EllbEEZZNS1_14partition_implILS5_9ELb0ES3_jPlS8_PNS0_10empty_typeENS0_5tupleIJS8_S9_EEENSB_IJS8_SA_EEENS0_18inequality_wrapperIZN2at6native12_GLOBAL__N_124unique_dim_cuda_templateIaEESt5tupleIJNSF_6TensorESK_SK_EERKSK_lbbbEUlllE0_EEPmJS9_EEE10hipError_tPvRmT3_T4_T5_T6_T7_T9_mT8_P12ihipStream_tbDpT10_ENKUlT_T0_E_clISt17integral_constantIbLb1EES1A_EEDaS15_S16_EUlS15_E_NS1_11comp_targetILNS1_3genE5ELNS1_11target_archE942ELNS1_3gpuE9ELNS1_3repE0EEENS1_30default_config_static_selectorELNS0_4arch9wavefront6targetE0EEEvT1_: ; @_ZN7rocprim17ROCPRIM_400000_NS6detail17trampoline_kernelINS0_14default_configENS1_25partition_config_selectorILNS1_17partition_subalgoE9EllbEEZZNS1_14partition_implILS5_9ELb0ES3_jPlS8_PNS0_10empty_typeENS0_5tupleIJS8_S9_EEENSB_IJS8_SA_EEENS0_18inequality_wrapperIZN2at6native12_GLOBAL__N_124unique_dim_cuda_templateIaEESt5tupleIJNSF_6TensorESK_SK_EERKSK_lbbbEUlllE0_EEPmJS9_EEE10hipError_tPvRmT3_T4_T5_T6_T7_T9_mT8_P12ihipStream_tbDpT10_ENKUlT_T0_E_clISt17integral_constantIbLb1EES1A_EEDaS15_S16_EUlS15_E_NS1_11comp_targetILNS1_3genE5ELNS1_11target_archE942ELNS1_3gpuE9ELNS1_3repE0EEENS1_30default_config_static_selectorELNS0_4arch9wavefront6targetE0EEEvT1_
; %bb.0:
	.section	.rodata,"a",@progbits
	.p2align	6, 0x0
	.amdhsa_kernel _ZN7rocprim17ROCPRIM_400000_NS6detail17trampoline_kernelINS0_14default_configENS1_25partition_config_selectorILNS1_17partition_subalgoE9EllbEEZZNS1_14partition_implILS5_9ELb0ES3_jPlS8_PNS0_10empty_typeENS0_5tupleIJS8_S9_EEENSB_IJS8_SA_EEENS0_18inequality_wrapperIZN2at6native12_GLOBAL__N_124unique_dim_cuda_templateIaEESt5tupleIJNSF_6TensorESK_SK_EERKSK_lbbbEUlllE0_EEPmJS9_EEE10hipError_tPvRmT3_T4_T5_T6_T7_T9_mT8_P12ihipStream_tbDpT10_ENKUlT_T0_E_clISt17integral_constantIbLb1EES1A_EEDaS15_S16_EUlS15_E_NS1_11comp_targetILNS1_3genE5ELNS1_11target_archE942ELNS1_3gpuE9ELNS1_3repE0EEENS1_30default_config_static_selectorELNS0_4arch9wavefront6targetE0EEEvT1_
		.amdhsa_group_segment_fixed_size 0
		.amdhsa_private_segment_fixed_size 0
		.amdhsa_kernarg_size 136
		.amdhsa_user_sgpr_count 2
		.amdhsa_user_sgpr_dispatch_ptr 0
		.amdhsa_user_sgpr_queue_ptr 0
		.amdhsa_user_sgpr_kernarg_segment_ptr 1
		.amdhsa_user_sgpr_dispatch_id 0
		.amdhsa_user_sgpr_kernarg_preload_length 0
		.amdhsa_user_sgpr_kernarg_preload_offset 0
		.amdhsa_user_sgpr_private_segment_size 0
		.amdhsa_wavefront_size32 1
		.amdhsa_uses_dynamic_stack 0
		.amdhsa_enable_private_segment 0
		.amdhsa_system_sgpr_workgroup_id_x 1
		.amdhsa_system_sgpr_workgroup_id_y 0
		.amdhsa_system_sgpr_workgroup_id_z 0
		.amdhsa_system_sgpr_workgroup_info 0
		.amdhsa_system_vgpr_workitem_id 0
		.amdhsa_next_free_vgpr 1
		.amdhsa_next_free_sgpr 1
		.amdhsa_named_barrier_count 0
		.amdhsa_reserve_vcc 0
		.amdhsa_float_round_mode_32 0
		.amdhsa_float_round_mode_16_64 0
		.amdhsa_float_denorm_mode_32 3
		.amdhsa_float_denorm_mode_16_64 3
		.amdhsa_fp16_overflow 0
		.amdhsa_memory_ordered 1
		.amdhsa_forward_progress 1
		.amdhsa_inst_pref_size 0
		.amdhsa_round_robin_scheduling 0
		.amdhsa_exception_fp_ieee_invalid_op 0
		.amdhsa_exception_fp_denorm_src 0
		.amdhsa_exception_fp_ieee_div_zero 0
		.amdhsa_exception_fp_ieee_overflow 0
		.amdhsa_exception_fp_ieee_underflow 0
		.amdhsa_exception_fp_ieee_inexact 0
		.amdhsa_exception_int_div_zero 0
	.end_amdhsa_kernel
	.section	.text._ZN7rocprim17ROCPRIM_400000_NS6detail17trampoline_kernelINS0_14default_configENS1_25partition_config_selectorILNS1_17partition_subalgoE9EllbEEZZNS1_14partition_implILS5_9ELb0ES3_jPlS8_PNS0_10empty_typeENS0_5tupleIJS8_S9_EEENSB_IJS8_SA_EEENS0_18inequality_wrapperIZN2at6native12_GLOBAL__N_124unique_dim_cuda_templateIaEESt5tupleIJNSF_6TensorESK_SK_EERKSK_lbbbEUlllE0_EEPmJS9_EEE10hipError_tPvRmT3_T4_T5_T6_T7_T9_mT8_P12ihipStream_tbDpT10_ENKUlT_T0_E_clISt17integral_constantIbLb1EES1A_EEDaS15_S16_EUlS15_E_NS1_11comp_targetILNS1_3genE5ELNS1_11target_archE942ELNS1_3gpuE9ELNS1_3repE0EEENS1_30default_config_static_selectorELNS0_4arch9wavefront6targetE0EEEvT1_,"axG",@progbits,_ZN7rocprim17ROCPRIM_400000_NS6detail17trampoline_kernelINS0_14default_configENS1_25partition_config_selectorILNS1_17partition_subalgoE9EllbEEZZNS1_14partition_implILS5_9ELb0ES3_jPlS8_PNS0_10empty_typeENS0_5tupleIJS8_S9_EEENSB_IJS8_SA_EEENS0_18inequality_wrapperIZN2at6native12_GLOBAL__N_124unique_dim_cuda_templateIaEESt5tupleIJNSF_6TensorESK_SK_EERKSK_lbbbEUlllE0_EEPmJS9_EEE10hipError_tPvRmT3_T4_T5_T6_T7_T9_mT8_P12ihipStream_tbDpT10_ENKUlT_T0_E_clISt17integral_constantIbLb1EES1A_EEDaS15_S16_EUlS15_E_NS1_11comp_targetILNS1_3genE5ELNS1_11target_archE942ELNS1_3gpuE9ELNS1_3repE0EEENS1_30default_config_static_selectorELNS0_4arch9wavefront6targetE0EEEvT1_,comdat
.Lfunc_end360:
	.size	_ZN7rocprim17ROCPRIM_400000_NS6detail17trampoline_kernelINS0_14default_configENS1_25partition_config_selectorILNS1_17partition_subalgoE9EllbEEZZNS1_14partition_implILS5_9ELb0ES3_jPlS8_PNS0_10empty_typeENS0_5tupleIJS8_S9_EEENSB_IJS8_SA_EEENS0_18inequality_wrapperIZN2at6native12_GLOBAL__N_124unique_dim_cuda_templateIaEESt5tupleIJNSF_6TensorESK_SK_EERKSK_lbbbEUlllE0_EEPmJS9_EEE10hipError_tPvRmT3_T4_T5_T6_T7_T9_mT8_P12ihipStream_tbDpT10_ENKUlT_T0_E_clISt17integral_constantIbLb1EES1A_EEDaS15_S16_EUlS15_E_NS1_11comp_targetILNS1_3genE5ELNS1_11target_archE942ELNS1_3gpuE9ELNS1_3repE0EEENS1_30default_config_static_selectorELNS0_4arch9wavefront6targetE0EEEvT1_, .Lfunc_end360-_ZN7rocprim17ROCPRIM_400000_NS6detail17trampoline_kernelINS0_14default_configENS1_25partition_config_selectorILNS1_17partition_subalgoE9EllbEEZZNS1_14partition_implILS5_9ELb0ES3_jPlS8_PNS0_10empty_typeENS0_5tupleIJS8_S9_EEENSB_IJS8_SA_EEENS0_18inequality_wrapperIZN2at6native12_GLOBAL__N_124unique_dim_cuda_templateIaEESt5tupleIJNSF_6TensorESK_SK_EERKSK_lbbbEUlllE0_EEPmJS9_EEE10hipError_tPvRmT3_T4_T5_T6_T7_T9_mT8_P12ihipStream_tbDpT10_ENKUlT_T0_E_clISt17integral_constantIbLb1EES1A_EEDaS15_S16_EUlS15_E_NS1_11comp_targetILNS1_3genE5ELNS1_11target_archE942ELNS1_3gpuE9ELNS1_3repE0EEENS1_30default_config_static_selectorELNS0_4arch9wavefront6targetE0EEEvT1_
                                        ; -- End function
	.set _ZN7rocprim17ROCPRIM_400000_NS6detail17trampoline_kernelINS0_14default_configENS1_25partition_config_selectorILNS1_17partition_subalgoE9EllbEEZZNS1_14partition_implILS5_9ELb0ES3_jPlS8_PNS0_10empty_typeENS0_5tupleIJS8_S9_EEENSB_IJS8_SA_EEENS0_18inequality_wrapperIZN2at6native12_GLOBAL__N_124unique_dim_cuda_templateIaEESt5tupleIJNSF_6TensorESK_SK_EERKSK_lbbbEUlllE0_EEPmJS9_EEE10hipError_tPvRmT3_T4_T5_T6_T7_T9_mT8_P12ihipStream_tbDpT10_ENKUlT_T0_E_clISt17integral_constantIbLb1EES1A_EEDaS15_S16_EUlS15_E_NS1_11comp_targetILNS1_3genE5ELNS1_11target_archE942ELNS1_3gpuE9ELNS1_3repE0EEENS1_30default_config_static_selectorELNS0_4arch9wavefront6targetE0EEEvT1_.num_vgpr, 0
	.set _ZN7rocprim17ROCPRIM_400000_NS6detail17trampoline_kernelINS0_14default_configENS1_25partition_config_selectorILNS1_17partition_subalgoE9EllbEEZZNS1_14partition_implILS5_9ELb0ES3_jPlS8_PNS0_10empty_typeENS0_5tupleIJS8_S9_EEENSB_IJS8_SA_EEENS0_18inequality_wrapperIZN2at6native12_GLOBAL__N_124unique_dim_cuda_templateIaEESt5tupleIJNSF_6TensorESK_SK_EERKSK_lbbbEUlllE0_EEPmJS9_EEE10hipError_tPvRmT3_T4_T5_T6_T7_T9_mT8_P12ihipStream_tbDpT10_ENKUlT_T0_E_clISt17integral_constantIbLb1EES1A_EEDaS15_S16_EUlS15_E_NS1_11comp_targetILNS1_3genE5ELNS1_11target_archE942ELNS1_3gpuE9ELNS1_3repE0EEENS1_30default_config_static_selectorELNS0_4arch9wavefront6targetE0EEEvT1_.num_agpr, 0
	.set _ZN7rocprim17ROCPRIM_400000_NS6detail17trampoline_kernelINS0_14default_configENS1_25partition_config_selectorILNS1_17partition_subalgoE9EllbEEZZNS1_14partition_implILS5_9ELb0ES3_jPlS8_PNS0_10empty_typeENS0_5tupleIJS8_S9_EEENSB_IJS8_SA_EEENS0_18inequality_wrapperIZN2at6native12_GLOBAL__N_124unique_dim_cuda_templateIaEESt5tupleIJNSF_6TensorESK_SK_EERKSK_lbbbEUlllE0_EEPmJS9_EEE10hipError_tPvRmT3_T4_T5_T6_T7_T9_mT8_P12ihipStream_tbDpT10_ENKUlT_T0_E_clISt17integral_constantIbLb1EES1A_EEDaS15_S16_EUlS15_E_NS1_11comp_targetILNS1_3genE5ELNS1_11target_archE942ELNS1_3gpuE9ELNS1_3repE0EEENS1_30default_config_static_selectorELNS0_4arch9wavefront6targetE0EEEvT1_.numbered_sgpr, 0
	.set _ZN7rocprim17ROCPRIM_400000_NS6detail17trampoline_kernelINS0_14default_configENS1_25partition_config_selectorILNS1_17partition_subalgoE9EllbEEZZNS1_14partition_implILS5_9ELb0ES3_jPlS8_PNS0_10empty_typeENS0_5tupleIJS8_S9_EEENSB_IJS8_SA_EEENS0_18inequality_wrapperIZN2at6native12_GLOBAL__N_124unique_dim_cuda_templateIaEESt5tupleIJNSF_6TensorESK_SK_EERKSK_lbbbEUlllE0_EEPmJS9_EEE10hipError_tPvRmT3_T4_T5_T6_T7_T9_mT8_P12ihipStream_tbDpT10_ENKUlT_T0_E_clISt17integral_constantIbLb1EES1A_EEDaS15_S16_EUlS15_E_NS1_11comp_targetILNS1_3genE5ELNS1_11target_archE942ELNS1_3gpuE9ELNS1_3repE0EEENS1_30default_config_static_selectorELNS0_4arch9wavefront6targetE0EEEvT1_.num_named_barrier, 0
	.set _ZN7rocprim17ROCPRIM_400000_NS6detail17trampoline_kernelINS0_14default_configENS1_25partition_config_selectorILNS1_17partition_subalgoE9EllbEEZZNS1_14partition_implILS5_9ELb0ES3_jPlS8_PNS0_10empty_typeENS0_5tupleIJS8_S9_EEENSB_IJS8_SA_EEENS0_18inequality_wrapperIZN2at6native12_GLOBAL__N_124unique_dim_cuda_templateIaEESt5tupleIJNSF_6TensorESK_SK_EERKSK_lbbbEUlllE0_EEPmJS9_EEE10hipError_tPvRmT3_T4_T5_T6_T7_T9_mT8_P12ihipStream_tbDpT10_ENKUlT_T0_E_clISt17integral_constantIbLb1EES1A_EEDaS15_S16_EUlS15_E_NS1_11comp_targetILNS1_3genE5ELNS1_11target_archE942ELNS1_3gpuE9ELNS1_3repE0EEENS1_30default_config_static_selectorELNS0_4arch9wavefront6targetE0EEEvT1_.private_seg_size, 0
	.set _ZN7rocprim17ROCPRIM_400000_NS6detail17trampoline_kernelINS0_14default_configENS1_25partition_config_selectorILNS1_17partition_subalgoE9EllbEEZZNS1_14partition_implILS5_9ELb0ES3_jPlS8_PNS0_10empty_typeENS0_5tupleIJS8_S9_EEENSB_IJS8_SA_EEENS0_18inequality_wrapperIZN2at6native12_GLOBAL__N_124unique_dim_cuda_templateIaEESt5tupleIJNSF_6TensorESK_SK_EERKSK_lbbbEUlllE0_EEPmJS9_EEE10hipError_tPvRmT3_T4_T5_T6_T7_T9_mT8_P12ihipStream_tbDpT10_ENKUlT_T0_E_clISt17integral_constantIbLb1EES1A_EEDaS15_S16_EUlS15_E_NS1_11comp_targetILNS1_3genE5ELNS1_11target_archE942ELNS1_3gpuE9ELNS1_3repE0EEENS1_30default_config_static_selectorELNS0_4arch9wavefront6targetE0EEEvT1_.uses_vcc, 0
	.set _ZN7rocprim17ROCPRIM_400000_NS6detail17trampoline_kernelINS0_14default_configENS1_25partition_config_selectorILNS1_17partition_subalgoE9EllbEEZZNS1_14partition_implILS5_9ELb0ES3_jPlS8_PNS0_10empty_typeENS0_5tupleIJS8_S9_EEENSB_IJS8_SA_EEENS0_18inequality_wrapperIZN2at6native12_GLOBAL__N_124unique_dim_cuda_templateIaEESt5tupleIJNSF_6TensorESK_SK_EERKSK_lbbbEUlllE0_EEPmJS9_EEE10hipError_tPvRmT3_T4_T5_T6_T7_T9_mT8_P12ihipStream_tbDpT10_ENKUlT_T0_E_clISt17integral_constantIbLb1EES1A_EEDaS15_S16_EUlS15_E_NS1_11comp_targetILNS1_3genE5ELNS1_11target_archE942ELNS1_3gpuE9ELNS1_3repE0EEENS1_30default_config_static_selectorELNS0_4arch9wavefront6targetE0EEEvT1_.uses_flat_scratch, 0
	.set _ZN7rocprim17ROCPRIM_400000_NS6detail17trampoline_kernelINS0_14default_configENS1_25partition_config_selectorILNS1_17partition_subalgoE9EllbEEZZNS1_14partition_implILS5_9ELb0ES3_jPlS8_PNS0_10empty_typeENS0_5tupleIJS8_S9_EEENSB_IJS8_SA_EEENS0_18inequality_wrapperIZN2at6native12_GLOBAL__N_124unique_dim_cuda_templateIaEESt5tupleIJNSF_6TensorESK_SK_EERKSK_lbbbEUlllE0_EEPmJS9_EEE10hipError_tPvRmT3_T4_T5_T6_T7_T9_mT8_P12ihipStream_tbDpT10_ENKUlT_T0_E_clISt17integral_constantIbLb1EES1A_EEDaS15_S16_EUlS15_E_NS1_11comp_targetILNS1_3genE5ELNS1_11target_archE942ELNS1_3gpuE9ELNS1_3repE0EEENS1_30default_config_static_selectorELNS0_4arch9wavefront6targetE0EEEvT1_.has_dyn_sized_stack, 0
	.set _ZN7rocprim17ROCPRIM_400000_NS6detail17trampoline_kernelINS0_14default_configENS1_25partition_config_selectorILNS1_17partition_subalgoE9EllbEEZZNS1_14partition_implILS5_9ELb0ES3_jPlS8_PNS0_10empty_typeENS0_5tupleIJS8_S9_EEENSB_IJS8_SA_EEENS0_18inequality_wrapperIZN2at6native12_GLOBAL__N_124unique_dim_cuda_templateIaEESt5tupleIJNSF_6TensorESK_SK_EERKSK_lbbbEUlllE0_EEPmJS9_EEE10hipError_tPvRmT3_T4_T5_T6_T7_T9_mT8_P12ihipStream_tbDpT10_ENKUlT_T0_E_clISt17integral_constantIbLb1EES1A_EEDaS15_S16_EUlS15_E_NS1_11comp_targetILNS1_3genE5ELNS1_11target_archE942ELNS1_3gpuE9ELNS1_3repE0EEENS1_30default_config_static_selectorELNS0_4arch9wavefront6targetE0EEEvT1_.has_recursion, 0
	.set _ZN7rocprim17ROCPRIM_400000_NS6detail17trampoline_kernelINS0_14default_configENS1_25partition_config_selectorILNS1_17partition_subalgoE9EllbEEZZNS1_14partition_implILS5_9ELb0ES3_jPlS8_PNS0_10empty_typeENS0_5tupleIJS8_S9_EEENSB_IJS8_SA_EEENS0_18inequality_wrapperIZN2at6native12_GLOBAL__N_124unique_dim_cuda_templateIaEESt5tupleIJNSF_6TensorESK_SK_EERKSK_lbbbEUlllE0_EEPmJS9_EEE10hipError_tPvRmT3_T4_T5_T6_T7_T9_mT8_P12ihipStream_tbDpT10_ENKUlT_T0_E_clISt17integral_constantIbLb1EES1A_EEDaS15_S16_EUlS15_E_NS1_11comp_targetILNS1_3genE5ELNS1_11target_archE942ELNS1_3gpuE9ELNS1_3repE0EEENS1_30default_config_static_selectorELNS0_4arch9wavefront6targetE0EEEvT1_.has_indirect_call, 0
	.section	.AMDGPU.csdata,"",@progbits
; Kernel info:
; codeLenInByte = 0
; TotalNumSgprs: 0
; NumVgprs: 0
; ScratchSize: 0
; MemoryBound: 0
; FloatMode: 240
; IeeeMode: 1
; LDSByteSize: 0 bytes/workgroup (compile time only)
; SGPRBlocks: 0
; VGPRBlocks: 0
; NumSGPRsForWavesPerEU: 1
; NumVGPRsForWavesPerEU: 1
; NamedBarCnt: 0
; Occupancy: 16
; WaveLimiterHint : 0
; COMPUTE_PGM_RSRC2:SCRATCH_EN: 0
; COMPUTE_PGM_RSRC2:USER_SGPR: 2
; COMPUTE_PGM_RSRC2:TRAP_HANDLER: 0
; COMPUTE_PGM_RSRC2:TGID_X_EN: 1
; COMPUTE_PGM_RSRC2:TGID_Y_EN: 0
; COMPUTE_PGM_RSRC2:TGID_Z_EN: 0
; COMPUTE_PGM_RSRC2:TIDIG_COMP_CNT: 0
	.section	.text._ZN7rocprim17ROCPRIM_400000_NS6detail17trampoline_kernelINS0_14default_configENS1_25partition_config_selectorILNS1_17partition_subalgoE9EllbEEZZNS1_14partition_implILS5_9ELb0ES3_jPlS8_PNS0_10empty_typeENS0_5tupleIJS8_S9_EEENSB_IJS8_SA_EEENS0_18inequality_wrapperIZN2at6native12_GLOBAL__N_124unique_dim_cuda_templateIaEESt5tupleIJNSF_6TensorESK_SK_EERKSK_lbbbEUlllE0_EEPmJS9_EEE10hipError_tPvRmT3_T4_T5_T6_T7_T9_mT8_P12ihipStream_tbDpT10_ENKUlT_T0_E_clISt17integral_constantIbLb1EES1A_EEDaS15_S16_EUlS15_E_NS1_11comp_targetILNS1_3genE4ELNS1_11target_archE910ELNS1_3gpuE8ELNS1_3repE0EEENS1_30default_config_static_selectorELNS0_4arch9wavefront6targetE0EEEvT1_,"axG",@progbits,_ZN7rocprim17ROCPRIM_400000_NS6detail17trampoline_kernelINS0_14default_configENS1_25partition_config_selectorILNS1_17partition_subalgoE9EllbEEZZNS1_14partition_implILS5_9ELb0ES3_jPlS8_PNS0_10empty_typeENS0_5tupleIJS8_S9_EEENSB_IJS8_SA_EEENS0_18inequality_wrapperIZN2at6native12_GLOBAL__N_124unique_dim_cuda_templateIaEESt5tupleIJNSF_6TensorESK_SK_EERKSK_lbbbEUlllE0_EEPmJS9_EEE10hipError_tPvRmT3_T4_T5_T6_T7_T9_mT8_P12ihipStream_tbDpT10_ENKUlT_T0_E_clISt17integral_constantIbLb1EES1A_EEDaS15_S16_EUlS15_E_NS1_11comp_targetILNS1_3genE4ELNS1_11target_archE910ELNS1_3gpuE8ELNS1_3repE0EEENS1_30default_config_static_selectorELNS0_4arch9wavefront6targetE0EEEvT1_,comdat
	.globl	_ZN7rocprim17ROCPRIM_400000_NS6detail17trampoline_kernelINS0_14default_configENS1_25partition_config_selectorILNS1_17partition_subalgoE9EllbEEZZNS1_14partition_implILS5_9ELb0ES3_jPlS8_PNS0_10empty_typeENS0_5tupleIJS8_S9_EEENSB_IJS8_SA_EEENS0_18inequality_wrapperIZN2at6native12_GLOBAL__N_124unique_dim_cuda_templateIaEESt5tupleIJNSF_6TensorESK_SK_EERKSK_lbbbEUlllE0_EEPmJS9_EEE10hipError_tPvRmT3_T4_T5_T6_T7_T9_mT8_P12ihipStream_tbDpT10_ENKUlT_T0_E_clISt17integral_constantIbLb1EES1A_EEDaS15_S16_EUlS15_E_NS1_11comp_targetILNS1_3genE4ELNS1_11target_archE910ELNS1_3gpuE8ELNS1_3repE0EEENS1_30default_config_static_selectorELNS0_4arch9wavefront6targetE0EEEvT1_ ; -- Begin function _ZN7rocprim17ROCPRIM_400000_NS6detail17trampoline_kernelINS0_14default_configENS1_25partition_config_selectorILNS1_17partition_subalgoE9EllbEEZZNS1_14partition_implILS5_9ELb0ES3_jPlS8_PNS0_10empty_typeENS0_5tupleIJS8_S9_EEENSB_IJS8_SA_EEENS0_18inequality_wrapperIZN2at6native12_GLOBAL__N_124unique_dim_cuda_templateIaEESt5tupleIJNSF_6TensorESK_SK_EERKSK_lbbbEUlllE0_EEPmJS9_EEE10hipError_tPvRmT3_T4_T5_T6_T7_T9_mT8_P12ihipStream_tbDpT10_ENKUlT_T0_E_clISt17integral_constantIbLb1EES1A_EEDaS15_S16_EUlS15_E_NS1_11comp_targetILNS1_3genE4ELNS1_11target_archE910ELNS1_3gpuE8ELNS1_3repE0EEENS1_30default_config_static_selectorELNS0_4arch9wavefront6targetE0EEEvT1_
	.p2align	8
	.type	_ZN7rocprim17ROCPRIM_400000_NS6detail17trampoline_kernelINS0_14default_configENS1_25partition_config_selectorILNS1_17partition_subalgoE9EllbEEZZNS1_14partition_implILS5_9ELb0ES3_jPlS8_PNS0_10empty_typeENS0_5tupleIJS8_S9_EEENSB_IJS8_SA_EEENS0_18inequality_wrapperIZN2at6native12_GLOBAL__N_124unique_dim_cuda_templateIaEESt5tupleIJNSF_6TensorESK_SK_EERKSK_lbbbEUlllE0_EEPmJS9_EEE10hipError_tPvRmT3_T4_T5_T6_T7_T9_mT8_P12ihipStream_tbDpT10_ENKUlT_T0_E_clISt17integral_constantIbLb1EES1A_EEDaS15_S16_EUlS15_E_NS1_11comp_targetILNS1_3genE4ELNS1_11target_archE910ELNS1_3gpuE8ELNS1_3repE0EEENS1_30default_config_static_selectorELNS0_4arch9wavefront6targetE0EEEvT1_,@function
_ZN7rocprim17ROCPRIM_400000_NS6detail17trampoline_kernelINS0_14default_configENS1_25partition_config_selectorILNS1_17partition_subalgoE9EllbEEZZNS1_14partition_implILS5_9ELb0ES3_jPlS8_PNS0_10empty_typeENS0_5tupleIJS8_S9_EEENSB_IJS8_SA_EEENS0_18inequality_wrapperIZN2at6native12_GLOBAL__N_124unique_dim_cuda_templateIaEESt5tupleIJNSF_6TensorESK_SK_EERKSK_lbbbEUlllE0_EEPmJS9_EEE10hipError_tPvRmT3_T4_T5_T6_T7_T9_mT8_P12ihipStream_tbDpT10_ENKUlT_T0_E_clISt17integral_constantIbLb1EES1A_EEDaS15_S16_EUlS15_E_NS1_11comp_targetILNS1_3genE4ELNS1_11target_archE910ELNS1_3gpuE8ELNS1_3repE0EEENS1_30default_config_static_selectorELNS0_4arch9wavefront6targetE0EEEvT1_: ; @_ZN7rocprim17ROCPRIM_400000_NS6detail17trampoline_kernelINS0_14default_configENS1_25partition_config_selectorILNS1_17partition_subalgoE9EllbEEZZNS1_14partition_implILS5_9ELb0ES3_jPlS8_PNS0_10empty_typeENS0_5tupleIJS8_S9_EEENSB_IJS8_SA_EEENS0_18inequality_wrapperIZN2at6native12_GLOBAL__N_124unique_dim_cuda_templateIaEESt5tupleIJNSF_6TensorESK_SK_EERKSK_lbbbEUlllE0_EEPmJS9_EEE10hipError_tPvRmT3_T4_T5_T6_T7_T9_mT8_P12ihipStream_tbDpT10_ENKUlT_T0_E_clISt17integral_constantIbLb1EES1A_EEDaS15_S16_EUlS15_E_NS1_11comp_targetILNS1_3genE4ELNS1_11target_archE910ELNS1_3gpuE8ELNS1_3repE0EEENS1_30default_config_static_selectorELNS0_4arch9wavefront6targetE0EEEvT1_
; %bb.0:
	.section	.rodata,"a",@progbits
	.p2align	6, 0x0
	.amdhsa_kernel _ZN7rocprim17ROCPRIM_400000_NS6detail17trampoline_kernelINS0_14default_configENS1_25partition_config_selectorILNS1_17partition_subalgoE9EllbEEZZNS1_14partition_implILS5_9ELb0ES3_jPlS8_PNS0_10empty_typeENS0_5tupleIJS8_S9_EEENSB_IJS8_SA_EEENS0_18inequality_wrapperIZN2at6native12_GLOBAL__N_124unique_dim_cuda_templateIaEESt5tupleIJNSF_6TensorESK_SK_EERKSK_lbbbEUlllE0_EEPmJS9_EEE10hipError_tPvRmT3_T4_T5_T6_T7_T9_mT8_P12ihipStream_tbDpT10_ENKUlT_T0_E_clISt17integral_constantIbLb1EES1A_EEDaS15_S16_EUlS15_E_NS1_11comp_targetILNS1_3genE4ELNS1_11target_archE910ELNS1_3gpuE8ELNS1_3repE0EEENS1_30default_config_static_selectorELNS0_4arch9wavefront6targetE0EEEvT1_
		.amdhsa_group_segment_fixed_size 0
		.amdhsa_private_segment_fixed_size 0
		.amdhsa_kernarg_size 136
		.amdhsa_user_sgpr_count 2
		.amdhsa_user_sgpr_dispatch_ptr 0
		.amdhsa_user_sgpr_queue_ptr 0
		.amdhsa_user_sgpr_kernarg_segment_ptr 1
		.amdhsa_user_sgpr_dispatch_id 0
		.amdhsa_user_sgpr_kernarg_preload_length 0
		.amdhsa_user_sgpr_kernarg_preload_offset 0
		.amdhsa_user_sgpr_private_segment_size 0
		.amdhsa_wavefront_size32 1
		.amdhsa_uses_dynamic_stack 0
		.amdhsa_enable_private_segment 0
		.amdhsa_system_sgpr_workgroup_id_x 1
		.amdhsa_system_sgpr_workgroup_id_y 0
		.amdhsa_system_sgpr_workgroup_id_z 0
		.amdhsa_system_sgpr_workgroup_info 0
		.amdhsa_system_vgpr_workitem_id 0
		.amdhsa_next_free_vgpr 1
		.amdhsa_next_free_sgpr 1
		.amdhsa_named_barrier_count 0
		.amdhsa_reserve_vcc 0
		.amdhsa_float_round_mode_32 0
		.amdhsa_float_round_mode_16_64 0
		.amdhsa_float_denorm_mode_32 3
		.amdhsa_float_denorm_mode_16_64 3
		.amdhsa_fp16_overflow 0
		.amdhsa_memory_ordered 1
		.amdhsa_forward_progress 1
		.amdhsa_inst_pref_size 0
		.amdhsa_round_robin_scheduling 0
		.amdhsa_exception_fp_ieee_invalid_op 0
		.amdhsa_exception_fp_denorm_src 0
		.amdhsa_exception_fp_ieee_div_zero 0
		.amdhsa_exception_fp_ieee_overflow 0
		.amdhsa_exception_fp_ieee_underflow 0
		.amdhsa_exception_fp_ieee_inexact 0
		.amdhsa_exception_int_div_zero 0
	.end_amdhsa_kernel
	.section	.text._ZN7rocprim17ROCPRIM_400000_NS6detail17trampoline_kernelINS0_14default_configENS1_25partition_config_selectorILNS1_17partition_subalgoE9EllbEEZZNS1_14partition_implILS5_9ELb0ES3_jPlS8_PNS0_10empty_typeENS0_5tupleIJS8_S9_EEENSB_IJS8_SA_EEENS0_18inequality_wrapperIZN2at6native12_GLOBAL__N_124unique_dim_cuda_templateIaEESt5tupleIJNSF_6TensorESK_SK_EERKSK_lbbbEUlllE0_EEPmJS9_EEE10hipError_tPvRmT3_T4_T5_T6_T7_T9_mT8_P12ihipStream_tbDpT10_ENKUlT_T0_E_clISt17integral_constantIbLb1EES1A_EEDaS15_S16_EUlS15_E_NS1_11comp_targetILNS1_3genE4ELNS1_11target_archE910ELNS1_3gpuE8ELNS1_3repE0EEENS1_30default_config_static_selectorELNS0_4arch9wavefront6targetE0EEEvT1_,"axG",@progbits,_ZN7rocprim17ROCPRIM_400000_NS6detail17trampoline_kernelINS0_14default_configENS1_25partition_config_selectorILNS1_17partition_subalgoE9EllbEEZZNS1_14partition_implILS5_9ELb0ES3_jPlS8_PNS0_10empty_typeENS0_5tupleIJS8_S9_EEENSB_IJS8_SA_EEENS0_18inequality_wrapperIZN2at6native12_GLOBAL__N_124unique_dim_cuda_templateIaEESt5tupleIJNSF_6TensorESK_SK_EERKSK_lbbbEUlllE0_EEPmJS9_EEE10hipError_tPvRmT3_T4_T5_T6_T7_T9_mT8_P12ihipStream_tbDpT10_ENKUlT_T0_E_clISt17integral_constantIbLb1EES1A_EEDaS15_S16_EUlS15_E_NS1_11comp_targetILNS1_3genE4ELNS1_11target_archE910ELNS1_3gpuE8ELNS1_3repE0EEENS1_30default_config_static_selectorELNS0_4arch9wavefront6targetE0EEEvT1_,comdat
.Lfunc_end361:
	.size	_ZN7rocprim17ROCPRIM_400000_NS6detail17trampoline_kernelINS0_14default_configENS1_25partition_config_selectorILNS1_17partition_subalgoE9EllbEEZZNS1_14partition_implILS5_9ELb0ES3_jPlS8_PNS0_10empty_typeENS0_5tupleIJS8_S9_EEENSB_IJS8_SA_EEENS0_18inequality_wrapperIZN2at6native12_GLOBAL__N_124unique_dim_cuda_templateIaEESt5tupleIJNSF_6TensorESK_SK_EERKSK_lbbbEUlllE0_EEPmJS9_EEE10hipError_tPvRmT3_T4_T5_T6_T7_T9_mT8_P12ihipStream_tbDpT10_ENKUlT_T0_E_clISt17integral_constantIbLb1EES1A_EEDaS15_S16_EUlS15_E_NS1_11comp_targetILNS1_3genE4ELNS1_11target_archE910ELNS1_3gpuE8ELNS1_3repE0EEENS1_30default_config_static_selectorELNS0_4arch9wavefront6targetE0EEEvT1_, .Lfunc_end361-_ZN7rocprim17ROCPRIM_400000_NS6detail17trampoline_kernelINS0_14default_configENS1_25partition_config_selectorILNS1_17partition_subalgoE9EllbEEZZNS1_14partition_implILS5_9ELb0ES3_jPlS8_PNS0_10empty_typeENS0_5tupleIJS8_S9_EEENSB_IJS8_SA_EEENS0_18inequality_wrapperIZN2at6native12_GLOBAL__N_124unique_dim_cuda_templateIaEESt5tupleIJNSF_6TensorESK_SK_EERKSK_lbbbEUlllE0_EEPmJS9_EEE10hipError_tPvRmT3_T4_T5_T6_T7_T9_mT8_P12ihipStream_tbDpT10_ENKUlT_T0_E_clISt17integral_constantIbLb1EES1A_EEDaS15_S16_EUlS15_E_NS1_11comp_targetILNS1_3genE4ELNS1_11target_archE910ELNS1_3gpuE8ELNS1_3repE0EEENS1_30default_config_static_selectorELNS0_4arch9wavefront6targetE0EEEvT1_
                                        ; -- End function
	.set _ZN7rocprim17ROCPRIM_400000_NS6detail17trampoline_kernelINS0_14default_configENS1_25partition_config_selectorILNS1_17partition_subalgoE9EllbEEZZNS1_14partition_implILS5_9ELb0ES3_jPlS8_PNS0_10empty_typeENS0_5tupleIJS8_S9_EEENSB_IJS8_SA_EEENS0_18inequality_wrapperIZN2at6native12_GLOBAL__N_124unique_dim_cuda_templateIaEESt5tupleIJNSF_6TensorESK_SK_EERKSK_lbbbEUlllE0_EEPmJS9_EEE10hipError_tPvRmT3_T4_T5_T6_T7_T9_mT8_P12ihipStream_tbDpT10_ENKUlT_T0_E_clISt17integral_constantIbLb1EES1A_EEDaS15_S16_EUlS15_E_NS1_11comp_targetILNS1_3genE4ELNS1_11target_archE910ELNS1_3gpuE8ELNS1_3repE0EEENS1_30default_config_static_selectorELNS0_4arch9wavefront6targetE0EEEvT1_.num_vgpr, 0
	.set _ZN7rocprim17ROCPRIM_400000_NS6detail17trampoline_kernelINS0_14default_configENS1_25partition_config_selectorILNS1_17partition_subalgoE9EllbEEZZNS1_14partition_implILS5_9ELb0ES3_jPlS8_PNS0_10empty_typeENS0_5tupleIJS8_S9_EEENSB_IJS8_SA_EEENS0_18inequality_wrapperIZN2at6native12_GLOBAL__N_124unique_dim_cuda_templateIaEESt5tupleIJNSF_6TensorESK_SK_EERKSK_lbbbEUlllE0_EEPmJS9_EEE10hipError_tPvRmT3_T4_T5_T6_T7_T9_mT8_P12ihipStream_tbDpT10_ENKUlT_T0_E_clISt17integral_constantIbLb1EES1A_EEDaS15_S16_EUlS15_E_NS1_11comp_targetILNS1_3genE4ELNS1_11target_archE910ELNS1_3gpuE8ELNS1_3repE0EEENS1_30default_config_static_selectorELNS0_4arch9wavefront6targetE0EEEvT1_.num_agpr, 0
	.set _ZN7rocprim17ROCPRIM_400000_NS6detail17trampoline_kernelINS0_14default_configENS1_25partition_config_selectorILNS1_17partition_subalgoE9EllbEEZZNS1_14partition_implILS5_9ELb0ES3_jPlS8_PNS0_10empty_typeENS0_5tupleIJS8_S9_EEENSB_IJS8_SA_EEENS0_18inequality_wrapperIZN2at6native12_GLOBAL__N_124unique_dim_cuda_templateIaEESt5tupleIJNSF_6TensorESK_SK_EERKSK_lbbbEUlllE0_EEPmJS9_EEE10hipError_tPvRmT3_T4_T5_T6_T7_T9_mT8_P12ihipStream_tbDpT10_ENKUlT_T0_E_clISt17integral_constantIbLb1EES1A_EEDaS15_S16_EUlS15_E_NS1_11comp_targetILNS1_3genE4ELNS1_11target_archE910ELNS1_3gpuE8ELNS1_3repE0EEENS1_30default_config_static_selectorELNS0_4arch9wavefront6targetE0EEEvT1_.numbered_sgpr, 0
	.set _ZN7rocprim17ROCPRIM_400000_NS6detail17trampoline_kernelINS0_14default_configENS1_25partition_config_selectorILNS1_17partition_subalgoE9EllbEEZZNS1_14partition_implILS5_9ELb0ES3_jPlS8_PNS0_10empty_typeENS0_5tupleIJS8_S9_EEENSB_IJS8_SA_EEENS0_18inequality_wrapperIZN2at6native12_GLOBAL__N_124unique_dim_cuda_templateIaEESt5tupleIJNSF_6TensorESK_SK_EERKSK_lbbbEUlllE0_EEPmJS9_EEE10hipError_tPvRmT3_T4_T5_T6_T7_T9_mT8_P12ihipStream_tbDpT10_ENKUlT_T0_E_clISt17integral_constantIbLb1EES1A_EEDaS15_S16_EUlS15_E_NS1_11comp_targetILNS1_3genE4ELNS1_11target_archE910ELNS1_3gpuE8ELNS1_3repE0EEENS1_30default_config_static_selectorELNS0_4arch9wavefront6targetE0EEEvT1_.num_named_barrier, 0
	.set _ZN7rocprim17ROCPRIM_400000_NS6detail17trampoline_kernelINS0_14default_configENS1_25partition_config_selectorILNS1_17partition_subalgoE9EllbEEZZNS1_14partition_implILS5_9ELb0ES3_jPlS8_PNS0_10empty_typeENS0_5tupleIJS8_S9_EEENSB_IJS8_SA_EEENS0_18inequality_wrapperIZN2at6native12_GLOBAL__N_124unique_dim_cuda_templateIaEESt5tupleIJNSF_6TensorESK_SK_EERKSK_lbbbEUlllE0_EEPmJS9_EEE10hipError_tPvRmT3_T4_T5_T6_T7_T9_mT8_P12ihipStream_tbDpT10_ENKUlT_T0_E_clISt17integral_constantIbLb1EES1A_EEDaS15_S16_EUlS15_E_NS1_11comp_targetILNS1_3genE4ELNS1_11target_archE910ELNS1_3gpuE8ELNS1_3repE0EEENS1_30default_config_static_selectorELNS0_4arch9wavefront6targetE0EEEvT1_.private_seg_size, 0
	.set _ZN7rocprim17ROCPRIM_400000_NS6detail17trampoline_kernelINS0_14default_configENS1_25partition_config_selectorILNS1_17partition_subalgoE9EllbEEZZNS1_14partition_implILS5_9ELb0ES3_jPlS8_PNS0_10empty_typeENS0_5tupleIJS8_S9_EEENSB_IJS8_SA_EEENS0_18inequality_wrapperIZN2at6native12_GLOBAL__N_124unique_dim_cuda_templateIaEESt5tupleIJNSF_6TensorESK_SK_EERKSK_lbbbEUlllE0_EEPmJS9_EEE10hipError_tPvRmT3_T4_T5_T6_T7_T9_mT8_P12ihipStream_tbDpT10_ENKUlT_T0_E_clISt17integral_constantIbLb1EES1A_EEDaS15_S16_EUlS15_E_NS1_11comp_targetILNS1_3genE4ELNS1_11target_archE910ELNS1_3gpuE8ELNS1_3repE0EEENS1_30default_config_static_selectorELNS0_4arch9wavefront6targetE0EEEvT1_.uses_vcc, 0
	.set _ZN7rocprim17ROCPRIM_400000_NS6detail17trampoline_kernelINS0_14default_configENS1_25partition_config_selectorILNS1_17partition_subalgoE9EllbEEZZNS1_14partition_implILS5_9ELb0ES3_jPlS8_PNS0_10empty_typeENS0_5tupleIJS8_S9_EEENSB_IJS8_SA_EEENS0_18inequality_wrapperIZN2at6native12_GLOBAL__N_124unique_dim_cuda_templateIaEESt5tupleIJNSF_6TensorESK_SK_EERKSK_lbbbEUlllE0_EEPmJS9_EEE10hipError_tPvRmT3_T4_T5_T6_T7_T9_mT8_P12ihipStream_tbDpT10_ENKUlT_T0_E_clISt17integral_constantIbLb1EES1A_EEDaS15_S16_EUlS15_E_NS1_11comp_targetILNS1_3genE4ELNS1_11target_archE910ELNS1_3gpuE8ELNS1_3repE0EEENS1_30default_config_static_selectorELNS0_4arch9wavefront6targetE0EEEvT1_.uses_flat_scratch, 0
	.set _ZN7rocprim17ROCPRIM_400000_NS6detail17trampoline_kernelINS0_14default_configENS1_25partition_config_selectorILNS1_17partition_subalgoE9EllbEEZZNS1_14partition_implILS5_9ELb0ES3_jPlS8_PNS0_10empty_typeENS0_5tupleIJS8_S9_EEENSB_IJS8_SA_EEENS0_18inequality_wrapperIZN2at6native12_GLOBAL__N_124unique_dim_cuda_templateIaEESt5tupleIJNSF_6TensorESK_SK_EERKSK_lbbbEUlllE0_EEPmJS9_EEE10hipError_tPvRmT3_T4_T5_T6_T7_T9_mT8_P12ihipStream_tbDpT10_ENKUlT_T0_E_clISt17integral_constantIbLb1EES1A_EEDaS15_S16_EUlS15_E_NS1_11comp_targetILNS1_3genE4ELNS1_11target_archE910ELNS1_3gpuE8ELNS1_3repE0EEENS1_30default_config_static_selectorELNS0_4arch9wavefront6targetE0EEEvT1_.has_dyn_sized_stack, 0
	.set _ZN7rocprim17ROCPRIM_400000_NS6detail17trampoline_kernelINS0_14default_configENS1_25partition_config_selectorILNS1_17partition_subalgoE9EllbEEZZNS1_14partition_implILS5_9ELb0ES3_jPlS8_PNS0_10empty_typeENS0_5tupleIJS8_S9_EEENSB_IJS8_SA_EEENS0_18inequality_wrapperIZN2at6native12_GLOBAL__N_124unique_dim_cuda_templateIaEESt5tupleIJNSF_6TensorESK_SK_EERKSK_lbbbEUlllE0_EEPmJS9_EEE10hipError_tPvRmT3_T4_T5_T6_T7_T9_mT8_P12ihipStream_tbDpT10_ENKUlT_T0_E_clISt17integral_constantIbLb1EES1A_EEDaS15_S16_EUlS15_E_NS1_11comp_targetILNS1_3genE4ELNS1_11target_archE910ELNS1_3gpuE8ELNS1_3repE0EEENS1_30default_config_static_selectorELNS0_4arch9wavefront6targetE0EEEvT1_.has_recursion, 0
	.set _ZN7rocprim17ROCPRIM_400000_NS6detail17trampoline_kernelINS0_14default_configENS1_25partition_config_selectorILNS1_17partition_subalgoE9EllbEEZZNS1_14partition_implILS5_9ELb0ES3_jPlS8_PNS0_10empty_typeENS0_5tupleIJS8_S9_EEENSB_IJS8_SA_EEENS0_18inequality_wrapperIZN2at6native12_GLOBAL__N_124unique_dim_cuda_templateIaEESt5tupleIJNSF_6TensorESK_SK_EERKSK_lbbbEUlllE0_EEPmJS9_EEE10hipError_tPvRmT3_T4_T5_T6_T7_T9_mT8_P12ihipStream_tbDpT10_ENKUlT_T0_E_clISt17integral_constantIbLb1EES1A_EEDaS15_S16_EUlS15_E_NS1_11comp_targetILNS1_3genE4ELNS1_11target_archE910ELNS1_3gpuE8ELNS1_3repE0EEENS1_30default_config_static_selectorELNS0_4arch9wavefront6targetE0EEEvT1_.has_indirect_call, 0
	.section	.AMDGPU.csdata,"",@progbits
; Kernel info:
; codeLenInByte = 0
; TotalNumSgprs: 0
; NumVgprs: 0
; ScratchSize: 0
; MemoryBound: 0
; FloatMode: 240
; IeeeMode: 1
; LDSByteSize: 0 bytes/workgroup (compile time only)
; SGPRBlocks: 0
; VGPRBlocks: 0
; NumSGPRsForWavesPerEU: 1
; NumVGPRsForWavesPerEU: 1
; NamedBarCnt: 0
; Occupancy: 16
; WaveLimiterHint : 0
; COMPUTE_PGM_RSRC2:SCRATCH_EN: 0
; COMPUTE_PGM_RSRC2:USER_SGPR: 2
; COMPUTE_PGM_RSRC2:TRAP_HANDLER: 0
; COMPUTE_PGM_RSRC2:TGID_X_EN: 1
; COMPUTE_PGM_RSRC2:TGID_Y_EN: 0
; COMPUTE_PGM_RSRC2:TGID_Z_EN: 0
; COMPUTE_PGM_RSRC2:TIDIG_COMP_CNT: 0
	.section	.text._ZN7rocprim17ROCPRIM_400000_NS6detail17trampoline_kernelINS0_14default_configENS1_25partition_config_selectorILNS1_17partition_subalgoE9EllbEEZZNS1_14partition_implILS5_9ELb0ES3_jPlS8_PNS0_10empty_typeENS0_5tupleIJS8_S9_EEENSB_IJS8_SA_EEENS0_18inequality_wrapperIZN2at6native12_GLOBAL__N_124unique_dim_cuda_templateIaEESt5tupleIJNSF_6TensorESK_SK_EERKSK_lbbbEUlllE0_EEPmJS9_EEE10hipError_tPvRmT3_T4_T5_T6_T7_T9_mT8_P12ihipStream_tbDpT10_ENKUlT_T0_E_clISt17integral_constantIbLb1EES1A_EEDaS15_S16_EUlS15_E_NS1_11comp_targetILNS1_3genE3ELNS1_11target_archE908ELNS1_3gpuE7ELNS1_3repE0EEENS1_30default_config_static_selectorELNS0_4arch9wavefront6targetE0EEEvT1_,"axG",@progbits,_ZN7rocprim17ROCPRIM_400000_NS6detail17trampoline_kernelINS0_14default_configENS1_25partition_config_selectorILNS1_17partition_subalgoE9EllbEEZZNS1_14partition_implILS5_9ELb0ES3_jPlS8_PNS0_10empty_typeENS0_5tupleIJS8_S9_EEENSB_IJS8_SA_EEENS0_18inequality_wrapperIZN2at6native12_GLOBAL__N_124unique_dim_cuda_templateIaEESt5tupleIJNSF_6TensorESK_SK_EERKSK_lbbbEUlllE0_EEPmJS9_EEE10hipError_tPvRmT3_T4_T5_T6_T7_T9_mT8_P12ihipStream_tbDpT10_ENKUlT_T0_E_clISt17integral_constantIbLb1EES1A_EEDaS15_S16_EUlS15_E_NS1_11comp_targetILNS1_3genE3ELNS1_11target_archE908ELNS1_3gpuE7ELNS1_3repE0EEENS1_30default_config_static_selectorELNS0_4arch9wavefront6targetE0EEEvT1_,comdat
	.globl	_ZN7rocprim17ROCPRIM_400000_NS6detail17trampoline_kernelINS0_14default_configENS1_25partition_config_selectorILNS1_17partition_subalgoE9EllbEEZZNS1_14partition_implILS5_9ELb0ES3_jPlS8_PNS0_10empty_typeENS0_5tupleIJS8_S9_EEENSB_IJS8_SA_EEENS0_18inequality_wrapperIZN2at6native12_GLOBAL__N_124unique_dim_cuda_templateIaEESt5tupleIJNSF_6TensorESK_SK_EERKSK_lbbbEUlllE0_EEPmJS9_EEE10hipError_tPvRmT3_T4_T5_T6_T7_T9_mT8_P12ihipStream_tbDpT10_ENKUlT_T0_E_clISt17integral_constantIbLb1EES1A_EEDaS15_S16_EUlS15_E_NS1_11comp_targetILNS1_3genE3ELNS1_11target_archE908ELNS1_3gpuE7ELNS1_3repE0EEENS1_30default_config_static_selectorELNS0_4arch9wavefront6targetE0EEEvT1_ ; -- Begin function _ZN7rocprim17ROCPRIM_400000_NS6detail17trampoline_kernelINS0_14default_configENS1_25partition_config_selectorILNS1_17partition_subalgoE9EllbEEZZNS1_14partition_implILS5_9ELb0ES3_jPlS8_PNS0_10empty_typeENS0_5tupleIJS8_S9_EEENSB_IJS8_SA_EEENS0_18inequality_wrapperIZN2at6native12_GLOBAL__N_124unique_dim_cuda_templateIaEESt5tupleIJNSF_6TensorESK_SK_EERKSK_lbbbEUlllE0_EEPmJS9_EEE10hipError_tPvRmT3_T4_T5_T6_T7_T9_mT8_P12ihipStream_tbDpT10_ENKUlT_T0_E_clISt17integral_constantIbLb1EES1A_EEDaS15_S16_EUlS15_E_NS1_11comp_targetILNS1_3genE3ELNS1_11target_archE908ELNS1_3gpuE7ELNS1_3repE0EEENS1_30default_config_static_selectorELNS0_4arch9wavefront6targetE0EEEvT1_
	.p2align	8
	.type	_ZN7rocprim17ROCPRIM_400000_NS6detail17trampoline_kernelINS0_14default_configENS1_25partition_config_selectorILNS1_17partition_subalgoE9EllbEEZZNS1_14partition_implILS5_9ELb0ES3_jPlS8_PNS0_10empty_typeENS0_5tupleIJS8_S9_EEENSB_IJS8_SA_EEENS0_18inequality_wrapperIZN2at6native12_GLOBAL__N_124unique_dim_cuda_templateIaEESt5tupleIJNSF_6TensorESK_SK_EERKSK_lbbbEUlllE0_EEPmJS9_EEE10hipError_tPvRmT3_T4_T5_T6_T7_T9_mT8_P12ihipStream_tbDpT10_ENKUlT_T0_E_clISt17integral_constantIbLb1EES1A_EEDaS15_S16_EUlS15_E_NS1_11comp_targetILNS1_3genE3ELNS1_11target_archE908ELNS1_3gpuE7ELNS1_3repE0EEENS1_30default_config_static_selectorELNS0_4arch9wavefront6targetE0EEEvT1_,@function
_ZN7rocprim17ROCPRIM_400000_NS6detail17trampoline_kernelINS0_14default_configENS1_25partition_config_selectorILNS1_17partition_subalgoE9EllbEEZZNS1_14partition_implILS5_9ELb0ES3_jPlS8_PNS0_10empty_typeENS0_5tupleIJS8_S9_EEENSB_IJS8_SA_EEENS0_18inequality_wrapperIZN2at6native12_GLOBAL__N_124unique_dim_cuda_templateIaEESt5tupleIJNSF_6TensorESK_SK_EERKSK_lbbbEUlllE0_EEPmJS9_EEE10hipError_tPvRmT3_T4_T5_T6_T7_T9_mT8_P12ihipStream_tbDpT10_ENKUlT_T0_E_clISt17integral_constantIbLb1EES1A_EEDaS15_S16_EUlS15_E_NS1_11comp_targetILNS1_3genE3ELNS1_11target_archE908ELNS1_3gpuE7ELNS1_3repE0EEENS1_30default_config_static_selectorELNS0_4arch9wavefront6targetE0EEEvT1_: ; @_ZN7rocprim17ROCPRIM_400000_NS6detail17trampoline_kernelINS0_14default_configENS1_25partition_config_selectorILNS1_17partition_subalgoE9EllbEEZZNS1_14partition_implILS5_9ELb0ES3_jPlS8_PNS0_10empty_typeENS0_5tupleIJS8_S9_EEENSB_IJS8_SA_EEENS0_18inequality_wrapperIZN2at6native12_GLOBAL__N_124unique_dim_cuda_templateIaEESt5tupleIJNSF_6TensorESK_SK_EERKSK_lbbbEUlllE0_EEPmJS9_EEE10hipError_tPvRmT3_T4_T5_T6_T7_T9_mT8_P12ihipStream_tbDpT10_ENKUlT_T0_E_clISt17integral_constantIbLb1EES1A_EEDaS15_S16_EUlS15_E_NS1_11comp_targetILNS1_3genE3ELNS1_11target_archE908ELNS1_3gpuE7ELNS1_3repE0EEENS1_30default_config_static_selectorELNS0_4arch9wavefront6targetE0EEEvT1_
; %bb.0:
	.section	.rodata,"a",@progbits
	.p2align	6, 0x0
	.amdhsa_kernel _ZN7rocprim17ROCPRIM_400000_NS6detail17trampoline_kernelINS0_14default_configENS1_25partition_config_selectorILNS1_17partition_subalgoE9EllbEEZZNS1_14partition_implILS5_9ELb0ES3_jPlS8_PNS0_10empty_typeENS0_5tupleIJS8_S9_EEENSB_IJS8_SA_EEENS0_18inequality_wrapperIZN2at6native12_GLOBAL__N_124unique_dim_cuda_templateIaEESt5tupleIJNSF_6TensorESK_SK_EERKSK_lbbbEUlllE0_EEPmJS9_EEE10hipError_tPvRmT3_T4_T5_T6_T7_T9_mT8_P12ihipStream_tbDpT10_ENKUlT_T0_E_clISt17integral_constantIbLb1EES1A_EEDaS15_S16_EUlS15_E_NS1_11comp_targetILNS1_3genE3ELNS1_11target_archE908ELNS1_3gpuE7ELNS1_3repE0EEENS1_30default_config_static_selectorELNS0_4arch9wavefront6targetE0EEEvT1_
		.amdhsa_group_segment_fixed_size 0
		.amdhsa_private_segment_fixed_size 0
		.amdhsa_kernarg_size 136
		.amdhsa_user_sgpr_count 2
		.amdhsa_user_sgpr_dispatch_ptr 0
		.amdhsa_user_sgpr_queue_ptr 0
		.amdhsa_user_sgpr_kernarg_segment_ptr 1
		.amdhsa_user_sgpr_dispatch_id 0
		.amdhsa_user_sgpr_kernarg_preload_length 0
		.amdhsa_user_sgpr_kernarg_preload_offset 0
		.amdhsa_user_sgpr_private_segment_size 0
		.amdhsa_wavefront_size32 1
		.amdhsa_uses_dynamic_stack 0
		.amdhsa_enable_private_segment 0
		.amdhsa_system_sgpr_workgroup_id_x 1
		.amdhsa_system_sgpr_workgroup_id_y 0
		.amdhsa_system_sgpr_workgroup_id_z 0
		.amdhsa_system_sgpr_workgroup_info 0
		.amdhsa_system_vgpr_workitem_id 0
		.amdhsa_next_free_vgpr 1
		.amdhsa_next_free_sgpr 1
		.amdhsa_named_barrier_count 0
		.amdhsa_reserve_vcc 0
		.amdhsa_float_round_mode_32 0
		.amdhsa_float_round_mode_16_64 0
		.amdhsa_float_denorm_mode_32 3
		.amdhsa_float_denorm_mode_16_64 3
		.amdhsa_fp16_overflow 0
		.amdhsa_memory_ordered 1
		.amdhsa_forward_progress 1
		.amdhsa_inst_pref_size 0
		.amdhsa_round_robin_scheduling 0
		.amdhsa_exception_fp_ieee_invalid_op 0
		.amdhsa_exception_fp_denorm_src 0
		.amdhsa_exception_fp_ieee_div_zero 0
		.amdhsa_exception_fp_ieee_overflow 0
		.amdhsa_exception_fp_ieee_underflow 0
		.amdhsa_exception_fp_ieee_inexact 0
		.amdhsa_exception_int_div_zero 0
	.end_amdhsa_kernel
	.section	.text._ZN7rocprim17ROCPRIM_400000_NS6detail17trampoline_kernelINS0_14default_configENS1_25partition_config_selectorILNS1_17partition_subalgoE9EllbEEZZNS1_14partition_implILS5_9ELb0ES3_jPlS8_PNS0_10empty_typeENS0_5tupleIJS8_S9_EEENSB_IJS8_SA_EEENS0_18inequality_wrapperIZN2at6native12_GLOBAL__N_124unique_dim_cuda_templateIaEESt5tupleIJNSF_6TensorESK_SK_EERKSK_lbbbEUlllE0_EEPmJS9_EEE10hipError_tPvRmT3_T4_T5_T6_T7_T9_mT8_P12ihipStream_tbDpT10_ENKUlT_T0_E_clISt17integral_constantIbLb1EES1A_EEDaS15_S16_EUlS15_E_NS1_11comp_targetILNS1_3genE3ELNS1_11target_archE908ELNS1_3gpuE7ELNS1_3repE0EEENS1_30default_config_static_selectorELNS0_4arch9wavefront6targetE0EEEvT1_,"axG",@progbits,_ZN7rocprim17ROCPRIM_400000_NS6detail17trampoline_kernelINS0_14default_configENS1_25partition_config_selectorILNS1_17partition_subalgoE9EllbEEZZNS1_14partition_implILS5_9ELb0ES3_jPlS8_PNS0_10empty_typeENS0_5tupleIJS8_S9_EEENSB_IJS8_SA_EEENS0_18inequality_wrapperIZN2at6native12_GLOBAL__N_124unique_dim_cuda_templateIaEESt5tupleIJNSF_6TensorESK_SK_EERKSK_lbbbEUlllE0_EEPmJS9_EEE10hipError_tPvRmT3_T4_T5_T6_T7_T9_mT8_P12ihipStream_tbDpT10_ENKUlT_T0_E_clISt17integral_constantIbLb1EES1A_EEDaS15_S16_EUlS15_E_NS1_11comp_targetILNS1_3genE3ELNS1_11target_archE908ELNS1_3gpuE7ELNS1_3repE0EEENS1_30default_config_static_selectorELNS0_4arch9wavefront6targetE0EEEvT1_,comdat
.Lfunc_end362:
	.size	_ZN7rocprim17ROCPRIM_400000_NS6detail17trampoline_kernelINS0_14default_configENS1_25partition_config_selectorILNS1_17partition_subalgoE9EllbEEZZNS1_14partition_implILS5_9ELb0ES3_jPlS8_PNS0_10empty_typeENS0_5tupleIJS8_S9_EEENSB_IJS8_SA_EEENS0_18inequality_wrapperIZN2at6native12_GLOBAL__N_124unique_dim_cuda_templateIaEESt5tupleIJNSF_6TensorESK_SK_EERKSK_lbbbEUlllE0_EEPmJS9_EEE10hipError_tPvRmT3_T4_T5_T6_T7_T9_mT8_P12ihipStream_tbDpT10_ENKUlT_T0_E_clISt17integral_constantIbLb1EES1A_EEDaS15_S16_EUlS15_E_NS1_11comp_targetILNS1_3genE3ELNS1_11target_archE908ELNS1_3gpuE7ELNS1_3repE0EEENS1_30default_config_static_selectorELNS0_4arch9wavefront6targetE0EEEvT1_, .Lfunc_end362-_ZN7rocprim17ROCPRIM_400000_NS6detail17trampoline_kernelINS0_14default_configENS1_25partition_config_selectorILNS1_17partition_subalgoE9EllbEEZZNS1_14partition_implILS5_9ELb0ES3_jPlS8_PNS0_10empty_typeENS0_5tupleIJS8_S9_EEENSB_IJS8_SA_EEENS0_18inequality_wrapperIZN2at6native12_GLOBAL__N_124unique_dim_cuda_templateIaEESt5tupleIJNSF_6TensorESK_SK_EERKSK_lbbbEUlllE0_EEPmJS9_EEE10hipError_tPvRmT3_T4_T5_T6_T7_T9_mT8_P12ihipStream_tbDpT10_ENKUlT_T0_E_clISt17integral_constantIbLb1EES1A_EEDaS15_S16_EUlS15_E_NS1_11comp_targetILNS1_3genE3ELNS1_11target_archE908ELNS1_3gpuE7ELNS1_3repE0EEENS1_30default_config_static_selectorELNS0_4arch9wavefront6targetE0EEEvT1_
                                        ; -- End function
	.set _ZN7rocprim17ROCPRIM_400000_NS6detail17trampoline_kernelINS0_14default_configENS1_25partition_config_selectorILNS1_17partition_subalgoE9EllbEEZZNS1_14partition_implILS5_9ELb0ES3_jPlS8_PNS0_10empty_typeENS0_5tupleIJS8_S9_EEENSB_IJS8_SA_EEENS0_18inequality_wrapperIZN2at6native12_GLOBAL__N_124unique_dim_cuda_templateIaEESt5tupleIJNSF_6TensorESK_SK_EERKSK_lbbbEUlllE0_EEPmJS9_EEE10hipError_tPvRmT3_T4_T5_T6_T7_T9_mT8_P12ihipStream_tbDpT10_ENKUlT_T0_E_clISt17integral_constantIbLb1EES1A_EEDaS15_S16_EUlS15_E_NS1_11comp_targetILNS1_3genE3ELNS1_11target_archE908ELNS1_3gpuE7ELNS1_3repE0EEENS1_30default_config_static_selectorELNS0_4arch9wavefront6targetE0EEEvT1_.num_vgpr, 0
	.set _ZN7rocprim17ROCPRIM_400000_NS6detail17trampoline_kernelINS0_14default_configENS1_25partition_config_selectorILNS1_17partition_subalgoE9EllbEEZZNS1_14partition_implILS5_9ELb0ES3_jPlS8_PNS0_10empty_typeENS0_5tupleIJS8_S9_EEENSB_IJS8_SA_EEENS0_18inequality_wrapperIZN2at6native12_GLOBAL__N_124unique_dim_cuda_templateIaEESt5tupleIJNSF_6TensorESK_SK_EERKSK_lbbbEUlllE0_EEPmJS9_EEE10hipError_tPvRmT3_T4_T5_T6_T7_T9_mT8_P12ihipStream_tbDpT10_ENKUlT_T0_E_clISt17integral_constantIbLb1EES1A_EEDaS15_S16_EUlS15_E_NS1_11comp_targetILNS1_3genE3ELNS1_11target_archE908ELNS1_3gpuE7ELNS1_3repE0EEENS1_30default_config_static_selectorELNS0_4arch9wavefront6targetE0EEEvT1_.num_agpr, 0
	.set _ZN7rocprim17ROCPRIM_400000_NS6detail17trampoline_kernelINS0_14default_configENS1_25partition_config_selectorILNS1_17partition_subalgoE9EllbEEZZNS1_14partition_implILS5_9ELb0ES3_jPlS8_PNS0_10empty_typeENS0_5tupleIJS8_S9_EEENSB_IJS8_SA_EEENS0_18inequality_wrapperIZN2at6native12_GLOBAL__N_124unique_dim_cuda_templateIaEESt5tupleIJNSF_6TensorESK_SK_EERKSK_lbbbEUlllE0_EEPmJS9_EEE10hipError_tPvRmT3_T4_T5_T6_T7_T9_mT8_P12ihipStream_tbDpT10_ENKUlT_T0_E_clISt17integral_constantIbLb1EES1A_EEDaS15_S16_EUlS15_E_NS1_11comp_targetILNS1_3genE3ELNS1_11target_archE908ELNS1_3gpuE7ELNS1_3repE0EEENS1_30default_config_static_selectorELNS0_4arch9wavefront6targetE0EEEvT1_.numbered_sgpr, 0
	.set _ZN7rocprim17ROCPRIM_400000_NS6detail17trampoline_kernelINS0_14default_configENS1_25partition_config_selectorILNS1_17partition_subalgoE9EllbEEZZNS1_14partition_implILS5_9ELb0ES3_jPlS8_PNS0_10empty_typeENS0_5tupleIJS8_S9_EEENSB_IJS8_SA_EEENS0_18inequality_wrapperIZN2at6native12_GLOBAL__N_124unique_dim_cuda_templateIaEESt5tupleIJNSF_6TensorESK_SK_EERKSK_lbbbEUlllE0_EEPmJS9_EEE10hipError_tPvRmT3_T4_T5_T6_T7_T9_mT8_P12ihipStream_tbDpT10_ENKUlT_T0_E_clISt17integral_constantIbLb1EES1A_EEDaS15_S16_EUlS15_E_NS1_11comp_targetILNS1_3genE3ELNS1_11target_archE908ELNS1_3gpuE7ELNS1_3repE0EEENS1_30default_config_static_selectorELNS0_4arch9wavefront6targetE0EEEvT1_.num_named_barrier, 0
	.set _ZN7rocprim17ROCPRIM_400000_NS6detail17trampoline_kernelINS0_14default_configENS1_25partition_config_selectorILNS1_17partition_subalgoE9EllbEEZZNS1_14partition_implILS5_9ELb0ES3_jPlS8_PNS0_10empty_typeENS0_5tupleIJS8_S9_EEENSB_IJS8_SA_EEENS0_18inequality_wrapperIZN2at6native12_GLOBAL__N_124unique_dim_cuda_templateIaEESt5tupleIJNSF_6TensorESK_SK_EERKSK_lbbbEUlllE0_EEPmJS9_EEE10hipError_tPvRmT3_T4_T5_T6_T7_T9_mT8_P12ihipStream_tbDpT10_ENKUlT_T0_E_clISt17integral_constantIbLb1EES1A_EEDaS15_S16_EUlS15_E_NS1_11comp_targetILNS1_3genE3ELNS1_11target_archE908ELNS1_3gpuE7ELNS1_3repE0EEENS1_30default_config_static_selectorELNS0_4arch9wavefront6targetE0EEEvT1_.private_seg_size, 0
	.set _ZN7rocprim17ROCPRIM_400000_NS6detail17trampoline_kernelINS0_14default_configENS1_25partition_config_selectorILNS1_17partition_subalgoE9EllbEEZZNS1_14partition_implILS5_9ELb0ES3_jPlS8_PNS0_10empty_typeENS0_5tupleIJS8_S9_EEENSB_IJS8_SA_EEENS0_18inequality_wrapperIZN2at6native12_GLOBAL__N_124unique_dim_cuda_templateIaEESt5tupleIJNSF_6TensorESK_SK_EERKSK_lbbbEUlllE0_EEPmJS9_EEE10hipError_tPvRmT3_T4_T5_T6_T7_T9_mT8_P12ihipStream_tbDpT10_ENKUlT_T0_E_clISt17integral_constantIbLb1EES1A_EEDaS15_S16_EUlS15_E_NS1_11comp_targetILNS1_3genE3ELNS1_11target_archE908ELNS1_3gpuE7ELNS1_3repE0EEENS1_30default_config_static_selectorELNS0_4arch9wavefront6targetE0EEEvT1_.uses_vcc, 0
	.set _ZN7rocprim17ROCPRIM_400000_NS6detail17trampoline_kernelINS0_14default_configENS1_25partition_config_selectorILNS1_17partition_subalgoE9EllbEEZZNS1_14partition_implILS5_9ELb0ES3_jPlS8_PNS0_10empty_typeENS0_5tupleIJS8_S9_EEENSB_IJS8_SA_EEENS0_18inequality_wrapperIZN2at6native12_GLOBAL__N_124unique_dim_cuda_templateIaEESt5tupleIJNSF_6TensorESK_SK_EERKSK_lbbbEUlllE0_EEPmJS9_EEE10hipError_tPvRmT3_T4_T5_T6_T7_T9_mT8_P12ihipStream_tbDpT10_ENKUlT_T0_E_clISt17integral_constantIbLb1EES1A_EEDaS15_S16_EUlS15_E_NS1_11comp_targetILNS1_3genE3ELNS1_11target_archE908ELNS1_3gpuE7ELNS1_3repE0EEENS1_30default_config_static_selectorELNS0_4arch9wavefront6targetE0EEEvT1_.uses_flat_scratch, 0
	.set _ZN7rocprim17ROCPRIM_400000_NS6detail17trampoline_kernelINS0_14default_configENS1_25partition_config_selectorILNS1_17partition_subalgoE9EllbEEZZNS1_14partition_implILS5_9ELb0ES3_jPlS8_PNS0_10empty_typeENS0_5tupleIJS8_S9_EEENSB_IJS8_SA_EEENS0_18inequality_wrapperIZN2at6native12_GLOBAL__N_124unique_dim_cuda_templateIaEESt5tupleIJNSF_6TensorESK_SK_EERKSK_lbbbEUlllE0_EEPmJS9_EEE10hipError_tPvRmT3_T4_T5_T6_T7_T9_mT8_P12ihipStream_tbDpT10_ENKUlT_T0_E_clISt17integral_constantIbLb1EES1A_EEDaS15_S16_EUlS15_E_NS1_11comp_targetILNS1_3genE3ELNS1_11target_archE908ELNS1_3gpuE7ELNS1_3repE0EEENS1_30default_config_static_selectorELNS0_4arch9wavefront6targetE0EEEvT1_.has_dyn_sized_stack, 0
	.set _ZN7rocprim17ROCPRIM_400000_NS6detail17trampoline_kernelINS0_14default_configENS1_25partition_config_selectorILNS1_17partition_subalgoE9EllbEEZZNS1_14partition_implILS5_9ELb0ES3_jPlS8_PNS0_10empty_typeENS0_5tupleIJS8_S9_EEENSB_IJS8_SA_EEENS0_18inequality_wrapperIZN2at6native12_GLOBAL__N_124unique_dim_cuda_templateIaEESt5tupleIJNSF_6TensorESK_SK_EERKSK_lbbbEUlllE0_EEPmJS9_EEE10hipError_tPvRmT3_T4_T5_T6_T7_T9_mT8_P12ihipStream_tbDpT10_ENKUlT_T0_E_clISt17integral_constantIbLb1EES1A_EEDaS15_S16_EUlS15_E_NS1_11comp_targetILNS1_3genE3ELNS1_11target_archE908ELNS1_3gpuE7ELNS1_3repE0EEENS1_30default_config_static_selectorELNS0_4arch9wavefront6targetE0EEEvT1_.has_recursion, 0
	.set _ZN7rocprim17ROCPRIM_400000_NS6detail17trampoline_kernelINS0_14default_configENS1_25partition_config_selectorILNS1_17partition_subalgoE9EllbEEZZNS1_14partition_implILS5_9ELb0ES3_jPlS8_PNS0_10empty_typeENS0_5tupleIJS8_S9_EEENSB_IJS8_SA_EEENS0_18inequality_wrapperIZN2at6native12_GLOBAL__N_124unique_dim_cuda_templateIaEESt5tupleIJNSF_6TensorESK_SK_EERKSK_lbbbEUlllE0_EEPmJS9_EEE10hipError_tPvRmT3_T4_T5_T6_T7_T9_mT8_P12ihipStream_tbDpT10_ENKUlT_T0_E_clISt17integral_constantIbLb1EES1A_EEDaS15_S16_EUlS15_E_NS1_11comp_targetILNS1_3genE3ELNS1_11target_archE908ELNS1_3gpuE7ELNS1_3repE0EEENS1_30default_config_static_selectorELNS0_4arch9wavefront6targetE0EEEvT1_.has_indirect_call, 0
	.section	.AMDGPU.csdata,"",@progbits
; Kernel info:
; codeLenInByte = 0
; TotalNumSgprs: 0
; NumVgprs: 0
; ScratchSize: 0
; MemoryBound: 0
; FloatMode: 240
; IeeeMode: 1
; LDSByteSize: 0 bytes/workgroup (compile time only)
; SGPRBlocks: 0
; VGPRBlocks: 0
; NumSGPRsForWavesPerEU: 1
; NumVGPRsForWavesPerEU: 1
; NamedBarCnt: 0
; Occupancy: 16
; WaveLimiterHint : 0
; COMPUTE_PGM_RSRC2:SCRATCH_EN: 0
; COMPUTE_PGM_RSRC2:USER_SGPR: 2
; COMPUTE_PGM_RSRC2:TRAP_HANDLER: 0
; COMPUTE_PGM_RSRC2:TGID_X_EN: 1
; COMPUTE_PGM_RSRC2:TGID_Y_EN: 0
; COMPUTE_PGM_RSRC2:TGID_Z_EN: 0
; COMPUTE_PGM_RSRC2:TIDIG_COMP_CNT: 0
	.section	.text._ZN7rocprim17ROCPRIM_400000_NS6detail17trampoline_kernelINS0_14default_configENS1_25partition_config_selectorILNS1_17partition_subalgoE9EllbEEZZNS1_14partition_implILS5_9ELb0ES3_jPlS8_PNS0_10empty_typeENS0_5tupleIJS8_S9_EEENSB_IJS8_SA_EEENS0_18inequality_wrapperIZN2at6native12_GLOBAL__N_124unique_dim_cuda_templateIaEESt5tupleIJNSF_6TensorESK_SK_EERKSK_lbbbEUlllE0_EEPmJS9_EEE10hipError_tPvRmT3_T4_T5_T6_T7_T9_mT8_P12ihipStream_tbDpT10_ENKUlT_T0_E_clISt17integral_constantIbLb1EES1A_EEDaS15_S16_EUlS15_E_NS1_11comp_targetILNS1_3genE2ELNS1_11target_archE906ELNS1_3gpuE6ELNS1_3repE0EEENS1_30default_config_static_selectorELNS0_4arch9wavefront6targetE0EEEvT1_,"axG",@progbits,_ZN7rocprim17ROCPRIM_400000_NS6detail17trampoline_kernelINS0_14default_configENS1_25partition_config_selectorILNS1_17partition_subalgoE9EllbEEZZNS1_14partition_implILS5_9ELb0ES3_jPlS8_PNS0_10empty_typeENS0_5tupleIJS8_S9_EEENSB_IJS8_SA_EEENS0_18inequality_wrapperIZN2at6native12_GLOBAL__N_124unique_dim_cuda_templateIaEESt5tupleIJNSF_6TensorESK_SK_EERKSK_lbbbEUlllE0_EEPmJS9_EEE10hipError_tPvRmT3_T4_T5_T6_T7_T9_mT8_P12ihipStream_tbDpT10_ENKUlT_T0_E_clISt17integral_constantIbLb1EES1A_EEDaS15_S16_EUlS15_E_NS1_11comp_targetILNS1_3genE2ELNS1_11target_archE906ELNS1_3gpuE6ELNS1_3repE0EEENS1_30default_config_static_selectorELNS0_4arch9wavefront6targetE0EEEvT1_,comdat
	.globl	_ZN7rocprim17ROCPRIM_400000_NS6detail17trampoline_kernelINS0_14default_configENS1_25partition_config_selectorILNS1_17partition_subalgoE9EllbEEZZNS1_14partition_implILS5_9ELb0ES3_jPlS8_PNS0_10empty_typeENS0_5tupleIJS8_S9_EEENSB_IJS8_SA_EEENS0_18inequality_wrapperIZN2at6native12_GLOBAL__N_124unique_dim_cuda_templateIaEESt5tupleIJNSF_6TensorESK_SK_EERKSK_lbbbEUlllE0_EEPmJS9_EEE10hipError_tPvRmT3_T4_T5_T6_T7_T9_mT8_P12ihipStream_tbDpT10_ENKUlT_T0_E_clISt17integral_constantIbLb1EES1A_EEDaS15_S16_EUlS15_E_NS1_11comp_targetILNS1_3genE2ELNS1_11target_archE906ELNS1_3gpuE6ELNS1_3repE0EEENS1_30default_config_static_selectorELNS0_4arch9wavefront6targetE0EEEvT1_ ; -- Begin function _ZN7rocprim17ROCPRIM_400000_NS6detail17trampoline_kernelINS0_14default_configENS1_25partition_config_selectorILNS1_17partition_subalgoE9EllbEEZZNS1_14partition_implILS5_9ELb0ES3_jPlS8_PNS0_10empty_typeENS0_5tupleIJS8_S9_EEENSB_IJS8_SA_EEENS0_18inequality_wrapperIZN2at6native12_GLOBAL__N_124unique_dim_cuda_templateIaEESt5tupleIJNSF_6TensorESK_SK_EERKSK_lbbbEUlllE0_EEPmJS9_EEE10hipError_tPvRmT3_T4_T5_T6_T7_T9_mT8_P12ihipStream_tbDpT10_ENKUlT_T0_E_clISt17integral_constantIbLb1EES1A_EEDaS15_S16_EUlS15_E_NS1_11comp_targetILNS1_3genE2ELNS1_11target_archE906ELNS1_3gpuE6ELNS1_3repE0EEENS1_30default_config_static_selectorELNS0_4arch9wavefront6targetE0EEEvT1_
	.p2align	8
	.type	_ZN7rocprim17ROCPRIM_400000_NS6detail17trampoline_kernelINS0_14default_configENS1_25partition_config_selectorILNS1_17partition_subalgoE9EllbEEZZNS1_14partition_implILS5_9ELb0ES3_jPlS8_PNS0_10empty_typeENS0_5tupleIJS8_S9_EEENSB_IJS8_SA_EEENS0_18inequality_wrapperIZN2at6native12_GLOBAL__N_124unique_dim_cuda_templateIaEESt5tupleIJNSF_6TensorESK_SK_EERKSK_lbbbEUlllE0_EEPmJS9_EEE10hipError_tPvRmT3_T4_T5_T6_T7_T9_mT8_P12ihipStream_tbDpT10_ENKUlT_T0_E_clISt17integral_constantIbLb1EES1A_EEDaS15_S16_EUlS15_E_NS1_11comp_targetILNS1_3genE2ELNS1_11target_archE906ELNS1_3gpuE6ELNS1_3repE0EEENS1_30default_config_static_selectorELNS0_4arch9wavefront6targetE0EEEvT1_,@function
_ZN7rocprim17ROCPRIM_400000_NS6detail17trampoline_kernelINS0_14default_configENS1_25partition_config_selectorILNS1_17partition_subalgoE9EllbEEZZNS1_14partition_implILS5_9ELb0ES3_jPlS8_PNS0_10empty_typeENS0_5tupleIJS8_S9_EEENSB_IJS8_SA_EEENS0_18inequality_wrapperIZN2at6native12_GLOBAL__N_124unique_dim_cuda_templateIaEESt5tupleIJNSF_6TensorESK_SK_EERKSK_lbbbEUlllE0_EEPmJS9_EEE10hipError_tPvRmT3_T4_T5_T6_T7_T9_mT8_P12ihipStream_tbDpT10_ENKUlT_T0_E_clISt17integral_constantIbLb1EES1A_EEDaS15_S16_EUlS15_E_NS1_11comp_targetILNS1_3genE2ELNS1_11target_archE906ELNS1_3gpuE6ELNS1_3repE0EEENS1_30default_config_static_selectorELNS0_4arch9wavefront6targetE0EEEvT1_: ; @_ZN7rocprim17ROCPRIM_400000_NS6detail17trampoline_kernelINS0_14default_configENS1_25partition_config_selectorILNS1_17partition_subalgoE9EllbEEZZNS1_14partition_implILS5_9ELb0ES3_jPlS8_PNS0_10empty_typeENS0_5tupleIJS8_S9_EEENSB_IJS8_SA_EEENS0_18inequality_wrapperIZN2at6native12_GLOBAL__N_124unique_dim_cuda_templateIaEESt5tupleIJNSF_6TensorESK_SK_EERKSK_lbbbEUlllE0_EEPmJS9_EEE10hipError_tPvRmT3_T4_T5_T6_T7_T9_mT8_P12ihipStream_tbDpT10_ENKUlT_T0_E_clISt17integral_constantIbLb1EES1A_EEDaS15_S16_EUlS15_E_NS1_11comp_targetILNS1_3genE2ELNS1_11target_archE906ELNS1_3gpuE6ELNS1_3repE0EEENS1_30default_config_static_selectorELNS0_4arch9wavefront6targetE0EEEvT1_
; %bb.0:
	.section	.rodata,"a",@progbits
	.p2align	6, 0x0
	.amdhsa_kernel _ZN7rocprim17ROCPRIM_400000_NS6detail17trampoline_kernelINS0_14default_configENS1_25partition_config_selectorILNS1_17partition_subalgoE9EllbEEZZNS1_14partition_implILS5_9ELb0ES3_jPlS8_PNS0_10empty_typeENS0_5tupleIJS8_S9_EEENSB_IJS8_SA_EEENS0_18inequality_wrapperIZN2at6native12_GLOBAL__N_124unique_dim_cuda_templateIaEESt5tupleIJNSF_6TensorESK_SK_EERKSK_lbbbEUlllE0_EEPmJS9_EEE10hipError_tPvRmT3_T4_T5_T6_T7_T9_mT8_P12ihipStream_tbDpT10_ENKUlT_T0_E_clISt17integral_constantIbLb1EES1A_EEDaS15_S16_EUlS15_E_NS1_11comp_targetILNS1_3genE2ELNS1_11target_archE906ELNS1_3gpuE6ELNS1_3repE0EEENS1_30default_config_static_selectorELNS0_4arch9wavefront6targetE0EEEvT1_
		.amdhsa_group_segment_fixed_size 0
		.amdhsa_private_segment_fixed_size 0
		.amdhsa_kernarg_size 136
		.amdhsa_user_sgpr_count 2
		.amdhsa_user_sgpr_dispatch_ptr 0
		.amdhsa_user_sgpr_queue_ptr 0
		.amdhsa_user_sgpr_kernarg_segment_ptr 1
		.amdhsa_user_sgpr_dispatch_id 0
		.amdhsa_user_sgpr_kernarg_preload_length 0
		.amdhsa_user_sgpr_kernarg_preload_offset 0
		.amdhsa_user_sgpr_private_segment_size 0
		.amdhsa_wavefront_size32 1
		.amdhsa_uses_dynamic_stack 0
		.amdhsa_enable_private_segment 0
		.amdhsa_system_sgpr_workgroup_id_x 1
		.amdhsa_system_sgpr_workgroup_id_y 0
		.amdhsa_system_sgpr_workgroup_id_z 0
		.amdhsa_system_sgpr_workgroup_info 0
		.amdhsa_system_vgpr_workitem_id 0
		.amdhsa_next_free_vgpr 1
		.amdhsa_next_free_sgpr 1
		.amdhsa_named_barrier_count 0
		.amdhsa_reserve_vcc 0
		.amdhsa_float_round_mode_32 0
		.amdhsa_float_round_mode_16_64 0
		.amdhsa_float_denorm_mode_32 3
		.amdhsa_float_denorm_mode_16_64 3
		.amdhsa_fp16_overflow 0
		.amdhsa_memory_ordered 1
		.amdhsa_forward_progress 1
		.amdhsa_inst_pref_size 0
		.amdhsa_round_robin_scheduling 0
		.amdhsa_exception_fp_ieee_invalid_op 0
		.amdhsa_exception_fp_denorm_src 0
		.amdhsa_exception_fp_ieee_div_zero 0
		.amdhsa_exception_fp_ieee_overflow 0
		.amdhsa_exception_fp_ieee_underflow 0
		.amdhsa_exception_fp_ieee_inexact 0
		.amdhsa_exception_int_div_zero 0
	.end_amdhsa_kernel
	.section	.text._ZN7rocprim17ROCPRIM_400000_NS6detail17trampoline_kernelINS0_14default_configENS1_25partition_config_selectorILNS1_17partition_subalgoE9EllbEEZZNS1_14partition_implILS5_9ELb0ES3_jPlS8_PNS0_10empty_typeENS0_5tupleIJS8_S9_EEENSB_IJS8_SA_EEENS0_18inequality_wrapperIZN2at6native12_GLOBAL__N_124unique_dim_cuda_templateIaEESt5tupleIJNSF_6TensorESK_SK_EERKSK_lbbbEUlllE0_EEPmJS9_EEE10hipError_tPvRmT3_T4_T5_T6_T7_T9_mT8_P12ihipStream_tbDpT10_ENKUlT_T0_E_clISt17integral_constantIbLb1EES1A_EEDaS15_S16_EUlS15_E_NS1_11comp_targetILNS1_3genE2ELNS1_11target_archE906ELNS1_3gpuE6ELNS1_3repE0EEENS1_30default_config_static_selectorELNS0_4arch9wavefront6targetE0EEEvT1_,"axG",@progbits,_ZN7rocprim17ROCPRIM_400000_NS6detail17trampoline_kernelINS0_14default_configENS1_25partition_config_selectorILNS1_17partition_subalgoE9EllbEEZZNS1_14partition_implILS5_9ELb0ES3_jPlS8_PNS0_10empty_typeENS0_5tupleIJS8_S9_EEENSB_IJS8_SA_EEENS0_18inequality_wrapperIZN2at6native12_GLOBAL__N_124unique_dim_cuda_templateIaEESt5tupleIJNSF_6TensorESK_SK_EERKSK_lbbbEUlllE0_EEPmJS9_EEE10hipError_tPvRmT3_T4_T5_T6_T7_T9_mT8_P12ihipStream_tbDpT10_ENKUlT_T0_E_clISt17integral_constantIbLb1EES1A_EEDaS15_S16_EUlS15_E_NS1_11comp_targetILNS1_3genE2ELNS1_11target_archE906ELNS1_3gpuE6ELNS1_3repE0EEENS1_30default_config_static_selectorELNS0_4arch9wavefront6targetE0EEEvT1_,comdat
.Lfunc_end363:
	.size	_ZN7rocprim17ROCPRIM_400000_NS6detail17trampoline_kernelINS0_14default_configENS1_25partition_config_selectorILNS1_17partition_subalgoE9EllbEEZZNS1_14partition_implILS5_9ELb0ES3_jPlS8_PNS0_10empty_typeENS0_5tupleIJS8_S9_EEENSB_IJS8_SA_EEENS0_18inequality_wrapperIZN2at6native12_GLOBAL__N_124unique_dim_cuda_templateIaEESt5tupleIJNSF_6TensorESK_SK_EERKSK_lbbbEUlllE0_EEPmJS9_EEE10hipError_tPvRmT3_T4_T5_T6_T7_T9_mT8_P12ihipStream_tbDpT10_ENKUlT_T0_E_clISt17integral_constantIbLb1EES1A_EEDaS15_S16_EUlS15_E_NS1_11comp_targetILNS1_3genE2ELNS1_11target_archE906ELNS1_3gpuE6ELNS1_3repE0EEENS1_30default_config_static_selectorELNS0_4arch9wavefront6targetE0EEEvT1_, .Lfunc_end363-_ZN7rocprim17ROCPRIM_400000_NS6detail17trampoline_kernelINS0_14default_configENS1_25partition_config_selectorILNS1_17partition_subalgoE9EllbEEZZNS1_14partition_implILS5_9ELb0ES3_jPlS8_PNS0_10empty_typeENS0_5tupleIJS8_S9_EEENSB_IJS8_SA_EEENS0_18inequality_wrapperIZN2at6native12_GLOBAL__N_124unique_dim_cuda_templateIaEESt5tupleIJNSF_6TensorESK_SK_EERKSK_lbbbEUlllE0_EEPmJS9_EEE10hipError_tPvRmT3_T4_T5_T6_T7_T9_mT8_P12ihipStream_tbDpT10_ENKUlT_T0_E_clISt17integral_constantIbLb1EES1A_EEDaS15_S16_EUlS15_E_NS1_11comp_targetILNS1_3genE2ELNS1_11target_archE906ELNS1_3gpuE6ELNS1_3repE0EEENS1_30default_config_static_selectorELNS0_4arch9wavefront6targetE0EEEvT1_
                                        ; -- End function
	.set _ZN7rocprim17ROCPRIM_400000_NS6detail17trampoline_kernelINS0_14default_configENS1_25partition_config_selectorILNS1_17partition_subalgoE9EllbEEZZNS1_14partition_implILS5_9ELb0ES3_jPlS8_PNS0_10empty_typeENS0_5tupleIJS8_S9_EEENSB_IJS8_SA_EEENS0_18inequality_wrapperIZN2at6native12_GLOBAL__N_124unique_dim_cuda_templateIaEESt5tupleIJNSF_6TensorESK_SK_EERKSK_lbbbEUlllE0_EEPmJS9_EEE10hipError_tPvRmT3_T4_T5_T6_T7_T9_mT8_P12ihipStream_tbDpT10_ENKUlT_T0_E_clISt17integral_constantIbLb1EES1A_EEDaS15_S16_EUlS15_E_NS1_11comp_targetILNS1_3genE2ELNS1_11target_archE906ELNS1_3gpuE6ELNS1_3repE0EEENS1_30default_config_static_selectorELNS0_4arch9wavefront6targetE0EEEvT1_.num_vgpr, 0
	.set _ZN7rocprim17ROCPRIM_400000_NS6detail17trampoline_kernelINS0_14default_configENS1_25partition_config_selectorILNS1_17partition_subalgoE9EllbEEZZNS1_14partition_implILS5_9ELb0ES3_jPlS8_PNS0_10empty_typeENS0_5tupleIJS8_S9_EEENSB_IJS8_SA_EEENS0_18inequality_wrapperIZN2at6native12_GLOBAL__N_124unique_dim_cuda_templateIaEESt5tupleIJNSF_6TensorESK_SK_EERKSK_lbbbEUlllE0_EEPmJS9_EEE10hipError_tPvRmT3_T4_T5_T6_T7_T9_mT8_P12ihipStream_tbDpT10_ENKUlT_T0_E_clISt17integral_constantIbLb1EES1A_EEDaS15_S16_EUlS15_E_NS1_11comp_targetILNS1_3genE2ELNS1_11target_archE906ELNS1_3gpuE6ELNS1_3repE0EEENS1_30default_config_static_selectorELNS0_4arch9wavefront6targetE0EEEvT1_.num_agpr, 0
	.set _ZN7rocprim17ROCPRIM_400000_NS6detail17trampoline_kernelINS0_14default_configENS1_25partition_config_selectorILNS1_17partition_subalgoE9EllbEEZZNS1_14partition_implILS5_9ELb0ES3_jPlS8_PNS0_10empty_typeENS0_5tupleIJS8_S9_EEENSB_IJS8_SA_EEENS0_18inequality_wrapperIZN2at6native12_GLOBAL__N_124unique_dim_cuda_templateIaEESt5tupleIJNSF_6TensorESK_SK_EERKSK_lbbbEUlllE0_EEPmJS9_EEE10hipError_tPvRmT3_T4_T5_T6_T7_T9_mT8_P12ihipStream_tbDpT10_ENKUlT_T0_E_clISt17integral_constantIbLb1EES1A_EEDaS15_S16_EUlS15_E_NS1_11comp_targetILNS1_3genE2ELNS1_11target_archE906ELNS1_3gpuE6ELNS1_3repE0EEENS1_30default_config_static_selectorELNS0_4arch9wavefront6targetE0EEEvT1_.numbered_sgpr, 0
	.set _ZN7rocprim17ROCPRIM_400000_NS6detail17trampoline_kernelINS0_14default_configENS1_25partition_config_selectorILNS1_17partition_subalgoE9EllbEEZZNS1_14partition_implILS5_9ELb0ES3_jPlS8_PNS0_10empty_typeENS0_5tupleIJS8_S9_EEENSB_IJS8_SA_EEENS0_18inequality_wrapperIZN2at6native12_GLOBAL__N_124unique_dim_cuda_templateIaEESt5tupleIJNSF_6TensorESK_SK_EERKSK_lbbbEUlllE0_EEPmJS9_EEE10hipError_tPvRmT3_T4_T5_T6_T7_T9_mT8_P12ihipStream_tbDpT10_ENKUlT_T0_E_clISt17integral_constantIbLb1EES1A_EEDaS15_S16_EUlS15_E_NS1_11comp_targetILNS1_3genE2ELNS1_11target_archE906ELNS1_3gpuE6ELNS1_3repE0EEENS1_30default_config_static_selectorELNS0_4arch9wavefront6targetE0EEEvT1_.num_named_barrier, 0
	.set _ZN7rocprim17ROCPRIM_400000_NS6detail17trampoline_kernelINS0_14default_configENS1_25partition_config_selectorILNS1_17partition_subalgoE9EllbEEZZNS1_14partition_implILS5_9ELb0ES3_jPlS8_PNS0_10empty_typeENS0_5tupleIJS8_S9_EEENSB_IJS8_SA_EEENS0_18inequality_wrapperIZN2at6native12_GLOBAL__N_124unique_dim_cuda_templateIaEESt5tupleIJNSF_6TensorESK_SK_EERKSK_lbbbEUlllE0_EEPmJS9_EEE10hipError_tPvRmT3_T4_T5_T6_T7_T9_mT8_P12ihipStream_tbDpT10_ENKUlT_T0_E_clISt17integral_constantIbLb1EES1A_EEDaS15_S16_EUlS15_E_NS1_11comp_targetILNS1_3genE2ELNS1_11target_archE906ELNS1_3gpuE6ELNS1_3repE0EEENS1_30default_config_static_selectorELNS0_4arch9wavefront6targetE0EEEvT1_.private_seg_size, 0
	.set _ZN7rocprim17ROCPRIM_400000_NS6detail17trampoline_kernelINS0_14default_configENS1_25partition_config_selectorILNS1_17partition_subalgoE9EllbEEZZNS1_14partition_implILS5_9ELb0ES3_jPlS8_PNS0_10empty_typeENS0_5tupleIJS8_S9_EEENSB_IJS8_SA_EEENS0_18inequality_wrapperIZN2at6native12_GLOBAL__N_124unique_dim_cuda_templateIaEESt5tupleIJNSF_6TensorESK_SK_EERKSK_lbbbEUlllE0_EEPmJS9_EEE10hipError_tPvRmT3_T4_T5_T6_T7_T9_mT8_P12ihipStream_tbDpT10_ENKUlT_T0_E_clISt17integral_constantIbLb1EES1A_EEDaS15_S16_EUlS15_E_NS1_11comp_targetILNS1_3genE2ELNS1_11target_archE906ELNS1_3gpuE6ELNS1_3repE0EEENS1_30default_config_static_selectorELNS0_4arch9wavefront6targetE0EEEvT1_.uses_vcc, 0
	.set _ZN7rocprim17ROCPRIM_400000_NS6detail17trampoline_kernelINS0_14default_configENS1_25partition_config_selectorILNS1_17partition_subalgoE9EllbEEZZNS1_14partition_implILS5_9ELb0ES3_jPlS8_PNS0_10empty_typeENS0_5tupleIJS8_S9_EEENSB_IJS8_SA_EEENS0_18inequality_wrapperIZN2at6native12_GLOBAL__N_124unique_dim_cuda_templateIaEESt5tupleIJNSF_6TensorESK_SK_EERKSK_lbbbEUlllE0_EEPmJS9_EEE10hipError_tPvRmT3_T4_T5_T6_T7_T9_mT8_P12ihipStream_tbDpT10_ENKUlT_T0_E_clISt17integral_constantIbLb1EES1A_EEDaS15_S16_EUlS15_E_NS1_11comp_targetILNS1_3genE2ELNS1_11target_archE906ELNS1_3gpuE6ELNS1_3repE0EEENS1_30default_config_static_selectorELNS0_4arch9wavefront6targetE0EEEvT1_.uses_flat_scratch, 0
	.set _ZN7rocprim17ROCPRIM_400000_NS6detail17trampoline_kernelINS0_14default_configENS1_25partition_config_selectorILNS1_17partition_subalgoE9EllbEEZZNS1_14partition_implILS5_9ELb0ES3_jPlS8_PNS0_10empty_typeENS0_5tupleIJS8_S9_EEENSB_IJS8_SA_EEENS0_18inequality_wrapperIZN2at6native12_GLOBAL__N_124unique_dim_cuda_templateIaEESt5tupleIJNSF_6TensorESK_SK_EERKSK_lbbbEUlllE0_EEPmJS9_EEE10hipError_tPvRmT3_T4_T5_T6_T7_T9_mT8_P12ihipStream_tbDpT10_ENKUlT_T0_E_clISt17integral_constantIbLb1EES1A_EEDaS15_S16_EUlS15_E_NS1_11comp_targetILNS1_3genE2ELNS1_11target_archE906ELNS1_3gpuE6ELNS1_3repE0EEENS1_30default_config_static_selectorELNS0_4arch9wavefront6targetE0EEEvT1_.has_dyn_sized_stack, 0
	.set _ZN7rocprim17ROCPRIM_400000_NS6detail17trampoline_kernelINS0_14default_configENS1_25partition_config_selectorILNS1_17partition_subalgoE9EllbEEZZNS1_14partition_implILS5_9ELb0ES3_jPlS8_PNS0_10empty_typeENS0_5tupleIJS8_S9_EEENSB_IJS8_SA_EEENS0_18inequality_wrapperIZN2at6native12_GLOBAL__N_124unique_dim_cuda_templateIaEESt5tupleIJNSF_6TensorESK_SK_EERKSK_lbbbEUlllE0_EEPmJS9_EEE10hipError_tPvRmT3_T4_T5_T6_T7_T9_mT8_P12ihipStream_tbDpT10_ENKUlT_T0_E_clISt17integral_constantIbLb1EES1A_EEDaS15_S16_EUlS15_E_NS1_11comp_targetILNS1_3genE2ELNS1_11target_archE906ELNS1_3gpuE6ELNS1_3repE0EEENS1_30default_config_static_selectorELNS0_4arch9wavefront6targetE0EEEvT1_.has_recursion, 0
	.set _ZN7rocprim17ROCPRIM_400000_NS6detail17trampoline_kernelINS0_14default_configENS1_25partition_config_selectorILNS1_17partition_subalgoE9EllbEEZZNS1_14partition_implILS5_9ELb0ES3_jPlS8_PNS0_10empty_typeENS0_5tupleIJS8_S9_EEENSB_IJS8_SA_EEENS0_18inequality_wrapperIZN2at6native12_GLOBAL__N_124unique_dim_cuda_templateIaEESt5tupleIJNSF_6TensorESK_SK_EERKSK_lbbbEUlllE0_EEPmJS9_EEE10hipError_tPvRmT3_T4_T5_T6_T7_T9_mT8_P12ihipStream_tbDpT10_ENKUlT_T0_E_clISt17integral_constantIbLb1EES1A_EEDaS15_S16_EUlS15_E_NS1_11comp_targetILNS1_3genE2ELNS1_11target_archE906ELNS1_3gpuE6ELNS1_3repE0EEENS1_30default_config_static_selectorELNS0_4arch9wavefront6targetE0EEEvT1_.has_indirect_call, 0
	.section	.AMDGPU.csdata,"",@progbits
; Kernel info:
; codeLenInByte = 0
; TotalNumSgprs: 0
; NumVgprs: 0
; ScratchSize: 0
; MemoryBound: 0
; FloatMode: 240
; IeeeMode: 1
; LDSByteSize: 0 bytes/workgroup (compile time only)
; SGPRBlocks: 0
; VGPRBlocks: 0
; NumSGPRsForWavesPerEU: 1
; NumVGPRsForWavesPerEU: 1
; NamedBarCnt: 0
; Occupancy: 16
; WaveLimiterHint : 0
; COMPUTE_PGM_RSRC2:SCRATCH_EN: 0
; COMPUTE_PGM_RSRC2:USER_SGPR: 2
; COMPUTE_PGM_RSRC2:TRAP_HANDLER: 0
; COMPUTE_PGM_RSRC2:TGID_X_EN: 1
; COMPUTE_PGM_RSRC2:TGID_Y_EN: 0
; COMPUTE_PGM_RSRC2:TGID_Z_EN: 0
; COMPUTE_PGM_RSRC2:TIDIG_COMP_CNT: 0
	.section	.text._ZN7rocprim17ROCPRIM_400000_NS6detail17trampoline_kernelINS0_14default_configENS1_25partition_config_selectorILNS1_17partition_subalgoE9EllbEEZZNS1_14partition_implILS5_9ELb0ES3_jPlS8_PNS0_10empty_typeENS0_5tupleIJS8_S9_EEENSB_IJS8_SA_EEENS0_18inequality_wrapperIZN2at6native12_GLOBAL__N_124unique_dim_cuda_templateIaEESt5tupleIJNSF_6TensorESK_SK_EERKSK_lbbbEUlllE0_EEPmJS9_EEE10hipError_tPvRmT3_T4_T5_T6_T7_T9_mT8_P12ihipStream_tbDpT10_ENKUlT_T0_E_clISt17integral_constantIbLb1EES1A_EEDaS15_S16_EUlS15_E_NS1_11comp_targetILNS1_3genE10ELNS1_11target_archE1200ELNS1_3gpuE4ELNS1_3repE0EEENS1_30default_config_static_selectorELNS0_4arch9wavefront6targetE0EEEvT1_,"axG",@progbits,_ZN7rocprim17ROCPRIM_400000_NS6detail17trampoline_kernelINS0_14default_configENS1_25partition_config_selectorILNS1_17partition_subalgoE9EllbEEZZNS1_14partition_implILS5_9ELb0ES3_jPlS8_PNS0_10empty_typeENS0_5tupleIJS8_S9_EEENSB_IJS8_SA_EEENS0_18inequality_wrapperIZN2at6native12_GLOBAL__N_124unique_dim_cuda_templateIaEESt5tupleIJNSF_6TensorESK_SK_EERKSK_lbbbEUlllE0_EEPmJS9_EEE10hipError_tPvRmT3_T4_T5_T6_T7_T9_mT8_P12ihipStream_tbDpT10_ENKUlT_T0_E_clISt17integral_constantIbLb1EES1A_EEDaS15_S16_EUlS15_E_NS1_11comp_targetILNS1_3genE10ELNS1_11target_archE1200ELNS1_3gpuE4ELNS1_3repE0EEENS1_30default_config_static_selectorELNS0_4arch9wavefront6targetE0EEEvT1_,comdat
	.globl	_ZN7rocprim17ROCPRIM_400000_NS6detail17trampoline_kernelINS0_14default_configENS1_25partition_config_selectorILNS1_17partition_subalgoE9EllbEEZZNS1_14partition_implILS5_9ELb0ES3_jPlS8_PNS0_10empty_typeENS0_5tupleIJS8_S9_EEENSB_IJS8_SA_EEENS0_18inequality_wrapperIZN2at6native12_GLOBAL__N_124unique_dim_cuda_templateIaEESt5tupleIJNSF_6TensorESK_SK_EERKSK_lbbbEUlllE0_EEPmJS9_EEE10hipError_tPvRmT3_T4_T5_T6_T7_T9_mT8_P12ihipStream_tbDpT10_ENKUlT_T0_E_clISt17integral_constantIbLb1EES1A_EEDaS15_S16_EUlS15_E_NS1_11comp_targetILNS1_3genE10ELNS1_11target_archE1200ELNS1_3gpuE4ELNS1_3repE0EEENS1_30default_config_static_selectorELNS0_4arch9wavefront6targetE0EEEvT1_ ; -- Begin function _ZN7rocprim17ROCPRIM_400000_NS6detail17trampoline_kernelINS0_14default_configENS1_25partition_config_selectorILNS1_17partition_subalgoE9EllbEEZZNS1_14partition_implILS5_9ELb0ES3_jPlS8_PNS0_10empty_typeENS0_5tupleIJS8_S9_EEENSB_IJS8_SA_EEENS0_18inequality_wrapperIZN2at6native12_GLOBAL__N_124unique_dim_cuda_templateIaEESt5tupleIJNSF_6TensorESK_SK_EERKSK_lbbbEUlllE0_EEPmJS9_EEE10hipError_tPvRmT3_T4_T5_T6_T7_T9_mT8_P12ihipStream_tbDpT10_ENKUlT_T0_E_clISt17integral_constantIbLb1EES1A_EEDaS15_S16_EUlS15_E_NS1_11comp_targetILNS1_3genE10ELNS1_11target_archE1200ELNS1_3gpuE4ELNS1_3repE0EEENS1_30default_config_static_selectorELNS0_4arch9wavefront6targetE0EEEvT1_
	.p2align	8
	.type	_ZN7rocprim17ROCPRIM_400000_NS6detail17trampoline_kernelINS0_14default_configENS1_25partition_config_selectorILNS1_17partition_subalgoE9EllbEEZZNS1_14partition_implILS5_9ELb0ES3_jPlS8_PNS0_10empty_typeENS0_5tupleIJS8_S9_EEENSB_IJS8_SA_EEENS0_18inequality_wrapperIZN2at6native12_GLOBAL__N_124unique_dim_cuda_templateIaEESt5tupleIJNSF_6TensorESK_SK_EERKSK_lbbbEUlllE0_EEPmJS9_EEE10hipError_tPvRmT3_T4_T5_T6_T7_T9_mT8_P12ihipStream_tbDpT10_ENKUlT_T0_E_clISt17integral_constantIbLb1EES1A_EEDaS15_S16_EUlS15_E_NS1_11comp_targetILNS1_3genE10ELNS1_11target_archE1200ELNS1_3gpuE4ELNS1_3repE0EEENS1_30default_config_static_selectorELNS0_4arch9wavefront6targetE0EEEvT1_,@function
_ZN7rocprim17ROCPRIM_400000_NS6detail17trampoline_kernelINS0_14default_configENS1_25partition_config_selectorILNS1_17partition_subalgoE9EllbEEZZNS1_14partition_implILS5_9ELb0ES3_jPlS8_PNS0_10empty_typeENS0_5tupleIJS8_S9_EEENSB_IJS8_SA_EEENS0_18inequality_wrapperIZN2at6native12_GLOBAL__N_124unique_dim_cuda_templateIaEESt5tupleIJNSF_6TensorESK_SK_EERKSK_lbbbEUlllE0_EEPmJS9_EEE10hipError_tPvRmT3_T4_T5_T6_T7_T9_mT8_P12ihipStream_tbDpT10_ENKUlT_T0_E_clISt17integral_constantIbLb1EES1A_EEDaS15_S16_EUlS15_E_NS1_11comp_targetILNS1_3genE10ELNS1_11target_archE1200ELNS1_3gpuE4ELNS1_3repE0EEENS1_30default_config_static_selectorELNS0_4arch9wavefront6targetE0EEEvT1_: ; @_ZN7rocprim17ROCPRIM_400000_NS6detail17trampoline_kernelINS0_14default_configENS1_25partition_config_selectorILNS1_17partition_subalgoE9EllbEEZZNS1_14partition_implILS5_9ELb0ES3_jPlS8_PNS0_10empty_typeENS0_5tupleIJS8_S9_EEENSB_IJS8_SA_EEENS0_18inequality_wrapperIZN2at6native12_GLOBAL__N_124unique_dim_cuda_templateIaEESt5tupleIJNSF_6TensorESK_SK_EERKSK_lbbbEUlllE0_EEPmJS9_EEE10hipError_tPvRmT3_T4_T5_T6_T7_T9_mT8_P12ihipStream_tbDpT10_ENKUlT_T0_E_clISt17integral_constantIbLb1EES1A_EEDaS15_S16_EUlS15_E_NS1_11comp_targetILNS1_3genE10ELNS1_11target_archE1200ELNS1_3gpuE4ELNS1_3repE0EEENS1_30default_config_static_selectorELNS0_4arch9wavefront6targetE0EEEvT1_
; %bb.0:
	.section	.rodata,"a",@progbits
	.p2align	6, 0x0
	.amdhsa_kernel _ZN7rocprim17ROCPRIM_400000_NS6detail17trampoline_kernelINS0_14default_configENS1_25partition_config_selectorILNS1_17partition_subalgoE9EllbEEZZNS1_14partition_implILS5_9ELb0ES3_jPlS8_PNS0_10empty_typeENS0_5tupleIJS8_S9_EEENSB_IJS8_SA_EEENS0_18inequality_wrapperIZN2at6native12_GLOBAL__N_124unique_dim_cuda_templateIaEESt5tupleIJNSF_6TensorESK_SK_EERKSK_lbbbEUlllE0_EEPmJS9_EEE10hipError_tPvRmT3_T4_T5_T6_T7_T9_mT8_P12ihipStream_tbDpT10_ENKUlT_T0_E_clISt17integral_constantIbLb1EES1A_EEDaS15_S16_EUlS15_E_NS1_11comp_targetILNS1_3genE10ELNS1_11target_archE1200ELNS1_3gpuE4ELNS1_3repE0EEENS1_30default_config_static_selectorELNS0_4arch9wavefront6targetE0EEEvT1_
		.amdhsa_group_segment_fixed_size 0
		.amdhsa_private_segment_fixed_size 0
		.amdhsa_kernarg_size 136
		.amdhsa_user_sgpr_count 2
		.amdhsa_user_sgpr_dispatch_ptr 0
		.amdhsa_user_sgpr_queue_ptr 0
		.amdhsa_user_sgpr_kernarg_segment_ptr 1
		.amdhsa_user_sgpr_dispatch_id 0
		.amdhsa_user_sgpr_kernarg_preload_length 0
		.amdhsa_user_sgpr_kernarg_preload_offset 0
		.amdhsa_user_sgpr_private_segment_size 0
		.amdhsa_wavefront_size32 1
		.amdhsa_uses_dynamic_stack 0
		.amdhsa_enable_private_segment 0
		.amdhsa_system_sgpr_workgroup_id_x 1
		.amdhsa_system_sgpr_workgroup_id_y 0
		.amdhsa_system_sgpr_workgroup_id_z 0
		.amdhsa_system_sgpr_workgroup_info 0
		.amdhsa_system_vgpr_workitem_id 0
		.amdhsa_next_free_vgpr 1
		.amdhsa_next_free_sgpr 1
		.amdhsa_named_barrier_count 0
		.amdhsa_reserve_vcc 0
		.amdhsa_float_round_mode_32 0
		.amdhsa_float_round_mode_16_64 0
		.amdhsa_float_denorm_mode_32 3
		.amdhsa_float_denorm_mode_16_64 3
		.amdhsa_fp16_overflow 0
		.amdhsa_memory_ordered 1
		.amdhsa_forward_progress 1
		.amdhsa_inst_pref_size 0
		.amdhsa_round_robin_scheduling 0
		.amdhsa_exception_fp_ieee_invalid_op 0
		.amdhsa_exception_fp_denorm_src 0
		.amdhsa_exception_fp_ieee_div_zero 0
		.amdhsa_exception_fp_ieee_overflow 0
		.amdhsa_exception_fp_ieee_underflow 0
		.amdhsa_exception_fp_ieee_inexact 0
		.amdhsa_exception_int_div_zero 0
	.end_amdhsa_kernel
	.section	.text._ZN7rocprim17ROCPRIM_400000_NS6detail17trampoline_kernelINS0_14default_configENS1_25partition_config_selectorILNS1_17partition_subalgoE9EllbEEZZNS1_14partition_implILS5_9ELb0ES3_jPlS8_PNS0_10empty_typeENS0_5tupleIJS8_S9_EEENSB_IJS8_SA_EEENS0_18inequality_wrapperIZN2at6native12_GLOBAL__N_124unique_dim_cuda_templateIaEESt5tupleIJNSF_6TensorESK_SK_EERKSK_lbbbEUlllE0_EEPmJS9_EEE10hipError_tPvRmT3_T4_T5_T6_T7_T9_mT8_P12ihipStream_tbDpT10_ENKUlT_T0_E_clISt17integral_constantIbLb1EES1A_EEDaS15_S16_EUlS15_E_NS1_11comp_targetILNS1_3genE10ELNS1_11target_archE1200ELNS1_3gpuE4ELNS1_3repE0EEENS1_30default_config_static_selectorELNS0_4arch9wavefront6targetE0EEEvT1_,"axG",@progbits,_ZN7rocprim17ROCPRIM_400000_NS6detail17trampoline_kernelINS0_14default_configENS1_25partition_config_selectorILNS1_17partition_subalgoE9EllbEEZZNS1_14partition_implILS5_9ELb0ES3_jPlS8_PNS0_10empty_typeENS0_5tupleIJS8_S9_EEENSB_IJS8_SA_EEENS0_18inequality_wrapperIZN2at6native12_GLOBAL__N_124unique_dim_cuda_templateIaEESt5tupleIJNSF_6TensorESK_SK_EERKSK_lbbbEUlllE0_EEPmJS9_EEE10hipError_tPvRmT3_T4_T5_T6_T7_T9_mT8_P12ihipStream_tbDpT10_ENKUlT_T0_E_clISt17integral_constantIbLb1EES1A_EEDaS15_S16_EUlS15_E_NS1_11comp_targetILNS1_3genE10ELNS1_11target_archE1200ELNS1_3gpuE4ELNS1_3repE0EEENS1_30default_config_static_selectorELNS0_4arch9wavefront6targetE0EEEvT1_,comdat
.Lfunc_end364:
	.size	_ZN7rocprim17ROCPRIM_400000_NS6detail17trampoline_kernelINS0_14default_configENS1_25partition_config_selectorILNS1_17partition_subalgoE9EllbEEZZNS1_14partition_implILS5_9ELb0ES3_jPlS8_PNS0_10empty_typeENS0_5tupleIJS8_S9_EEENSB_IJS8_SA_EEENS0_18inequality_wrapperIZN2at6native12_GLOBAL__N_124unique_dim_cuda_templateIaEESt5tupleIJNSF_6TensorESK_SK_EERKSK_lbbbEUlllE0_EEPmJS9_EEE10hipError_tPvRmT3_T4_T5_T6_T7_T9_mT8_P12ihipStream_tbDpT10_ENKUlT_T0_E_clISt17integral_constantIbLb1EES1A_EEDaS15_S16_EUlS15_E_NS1_11comp_targetILNS1_3genE10ELNS1_11target_archE1200ELNS1_3gpuE4ELNS1_3repE0EEENS1_30default_config_static_selectorELNS0_4arch9wavefront6targetE0EEEvT1_, .Lfunc_end364-_ZN7rocprim17ROCPRIM_400000_NS6detail17trampoline_kernelINS0_14default_configENS1_25partition_config_selectorILNS1_17partition_subalgoE9EllbEEZZNS1_14partition_implILS5_9ELb0ES3_jPlS8_PNS0_10empty_typeENS0_5tupleIJS8_S9_EEENSB_IJS8_SA_EEENS0_18inequality_wrapperIZN2at6native12_GLOBAL__N_124unique_dim_cuda_templateIaEESt5tupleIJNSF_6TensorESK_SK_EERKSK_lbbbEUlllE0_EEPmJS9_EEE10hipError_tPvRmT3_T4_T5_T6_T7_T9_mT8_P12ihipStream_tbDpT10_ENKUlT_T0_E_clISt17integral_constantIbLb1EES1A_EEDaS15_S16_EUlS15_E_NS1_11comp_targetILNS1_3genE10ELNS1_11target_archE1200ELNS1_3gpuE4ELNS1_3repE0EEENS1_30default_config_static_selectorELNS0_4arch9wavefront6targetE0EEEvT1_
                                        ; -- End function
	.set _ZN7rocprim17ROCPRIM_400000_NS6detail17trampoline_kernelINS0_14default_configENS1_25partition_config_selectorILNS1_17partition_subalgoE9EllbEEZZNS1_14partition_implILS5_9ELb0ES3_jPlS8_PNS0_10empty_typeENS0_5tupleIJS8_S9_EEENSB_IJS8_SA_EEENS0_18inequality_wrapperIZN2at6native12_GLOBAL__N_124unique_dim_cuda_templateIaEESt5tupleIJNSF_6TensorESK_SK_EERKSK_lbbbEUlllE0_EEPmJS9_EEE10hipError_tPvRmT3_T4_T5_T6_T7_T9_mT8_P12ihipStream_tbDpT10_ENKUlT_T0_E_clISt17integral_constantIbLb1EES1A_EEDaS15_S16_EUlS15_E_NS1_11comp_targetILNS1_3genE10ELNS1_11target_archE1200ELNS1_3gpuE4ELNS1_3repE0EEENS1_30default_config_static_selectorELNS0_4arch9wavefront6targetE0EEEvT1_.num_vgpr, 0
	.set _ZN7rocprim17ROCPRIM_400000_NS6detail17trampoline_kernelINS0_14default_configENS1_25partition_config_selectorILNS1_17partition_subalgoE9EllbEEZZNS1_14partition_implILS5_9ELb0ES3_jPlS8_PNS0_10empty_typeENS0_5tupleIJS8_S9_EEENSB_IJS8_SA_EEENS0_18inequality_wrapperIZN2at6native12_GLOBAL__N_124unique_dim_cuda_templateIaEESt5tupleIJNSF_6TensorESK_SK_EERKSK_lbbbEUlllE0_EEPmJS9_EEE10hipError_tPvRmT3_T4_T5_T6_T7_T9_mT8_P12ihipStream_tbDpT10_ENKUlT_T0_E_clISt17integral_constantIbLb1EES1A_EEDaS15_S16_EUlS15_E_NS1_11comp_targetILNS1_3genE10ELNS1_11target_archE1200ELNS1_3gpuE4ELNS1_3repE0EEENS1_30default_config_static_selectorELNS0_4arch9wavefront6targetE0EEEvT1_.num_agpr, 0
	.set _ZN7rocprim17ROCPRIM_400000_NS6detail17trampoline_kernelINS0_14default_configENS1_25partition_config_selectorILNS1_17partition_subalgoE9EllbEEZZNS1_14partition_implILS5_9ELb0ES3_jPlS8_PNS0_10empty_typeENS0_5tupleIJS8_S9_EEENSB_IJS8_SA_EEENS0_18inequality_wrapperIZN2at6native12_GLOBAL__N_124unique_dim_cuda_templateIaEESt5tupleIJNSF_6TensorESK_SK_EERKSK_lbbbEUlllE0_EEPmJS9_EEE10hipError_tPvRmT3_T4_T5_T6_T7_T9_mT8_P12ihipStream_tbDpT10_ENKUlT_T0_E_clISt17integral_constantIbLb1EES1A_EEDaS15_S16_EUlS15_E_NS1_11comp_targetILNS1_3genE10ELNS1_11target_archE1200ELNS1_3gpuE4ELNS1_3repE0EEENS1_30default_config_static_selectorELNS0_4arch9wavefront6targetE0EEEvT1_.numbered_sgpr, 0
	.set _ZN7rocprim17ROCPRIM_400000_NS6detail17trampoline_kernelINS0_14default_configENS1_25partition_config_selectorILNS1_17partition_subalgoE9EllbEEZZNS1_14partition_implILS5_9ELb0ES3_jPlS8_PNS0_10empty_typeENS0_5tupleIJS8_S9_EEENSB_IJS8_SA_EEENS0_18inequality_wrapperIZN2at6native12_GLOBAL__N_124unique_dim_cuda_templateIaEESt5tupleIJNSF_6TensorESK_SK_EERKSK_lbbbEUlllE0_EEPmJS9_EEE10hipError_tPvRmT3_T4_T5_T6_T7_T9_mT8_P12ihipStream_tbDpT10_ENKUlT_T0_E_clISt17integral_constantIbLb1EES1A_EEDaS15_S16_EUlS15_E_NS1_11comp_targetILNS1_3genE10ELNS1_11target_archE1200ELNS1_3gpuE4ELNS1_3repE0EEENS1_30default_config_static_selectorELNS0_4arch9wavefront6targetE0EEEvT1_.num_named_barrier, 0
	.set _ZN7rocprim17ROCPRIM_400000_NS6detail17trampoline_kernelINS0_14default_configENS1_25partition_config_selectorILNS1_17partition_subalgoE9EllbEEZZNS1_14partition_implILS5_9ELb0ES3_jPlS8_PNS0_10empty_typeENS0_5tupleIJS8_S9_EEENSB_IJS8_SA_EEENS0_18inequality_wrapperIZN2at6native12_GLOBAL__N_124unique_dim_cuda_templateIaEESt5tupleIJNSF_6TensorESK_SK_EERKSK_lbbbEUlllE0_EEPmJS9_EEE10hipError_tPvRmT3_T4_T5_T6_T7_T9_mT8_P12ihipStream_tbDpT10_ENKUlT_T0_E_clISt17integral_constantIbLb1EES1A_EEDaS15_S16_EUlS15_E_NS1_11comp_targetILNS1_3genE10ELNS1_11target_archE1200ELNS1_3gpuE4ELNS1_3repE0EEENS1_30default_config_static_selectorELNS0_4arch9wavefront6targetE0EEEvT1_.private_seg_size, 0
	.set _ZN7rocprim17ROCPRIM_400000_NS6detail17trampoline_kernelINS0_14default_configENS1_25partition_config_selectorILNS1_17partition_subalgoE9EllbEEZZNS1_14partition_implILS5_9ELb0ES3_jPlS8_PNS0_10empty_typeENS0_5tupleIJS8_S9_EEENSB_IJS8_SA_EEENS0_18inequality_wrapperIZN2at6native12_GLOBAL__N_124unique_dim_cuda_templateIaEESt5tupleIJNSF_6TensorESK_SK_EERKSK_lbbbEUlllE0_EEPmJS9_EEE10hipError_tPvRmT3_T4_T5_T6_T7_T9_mT8_P12ihipStream_tbDpT10_ENKUlT_T0_E_clISt17integral_constantIbLb1EES1A_EEDaS15_S16_EUlS15_E_NS1_11comp_targetILNS1_3genE10ELNS1_11target_archE1200ELNS1_3gpuE4ELNS1_3repE0EEENS1_30default_config_static_selectorELNS0_4arch9wavefront6targetE0EEEvT1_.uses_vcc, 0
	.set _ZN7rocprim17ROCPRIM_400000_NS6detail17trampoline_kernelINS0_14default_configENS1_25partition_config_selectorILNS1_17partition_subalgoE9EllbEEZZNS1_14partition_implILS5_9ELb0ES3_jPlS8_PNS0_10empty_typeENS0_5tupleIJS8_S9_EEENSB_IJS8_SA_EEENS0_18inequality_wrapperIZN2at6native12_GLOBAL__N_124unique_dim_cuda_templateIaEESt5tupleIJNSF_6TensorESK_SK_EERKSK_lbbbEUlllE0_EEPmJS9_EEE10hipError_tPvRmT3_T4_T5_T6_T7_T9_mT8_P12ihipStream_tbDpT10_ENKUlT_T0_E_clISt17integral_constantIbLb1EES1A_EEDaS15_S16_EUlS15_E_NS1_11comp_targetILNS1_3genE10ELNS1_11target_archE1200ELNS1_3gpuE4ELNS1_3repE0EEENS1_30default_config_static_selectorELNS0_4arch9wavefront6targetE0EEEvT1_.uses_flat_scratch, 0
	.set _ZN7rocprim17ROCPRIM_400000_NS6detail17trampoline_kernelINS0_14default_configENS1_25partition_config_selectorILNS1_17partition_subalgoE9EllbEEZZNS1_14partition_implILS5_9ELb0ES3_jPlS8_PNS0_10empty_typeENS0_5tupleIJS8_S9_EEENSB_IJS8_SA_EEENS0_18inequality_wrapperIZN2at6native12_GLOBAL__N_124unique_dim_cuda_templateIaEESt5tupleIJNSF_6TensorESK_SK_EERKSK_lbbbEUlllE0_EEPmJS9_EEE10hipError_tPvRmT3_T4_T5_T6_T7_T9_mT8_P12ihipStream_tbDpT10_ENKUlT_T0_E_clISt17integral_constantIbLb1EES1A_EEDaS15_S16_EUlS15_E_NS1_11comp_targetILNS1_3genE10ELNS1_11target_archE1200ELNS1_3gpuE4ELNS1_3repE0EEENS1_30default_config_static_selectorELNS0_4arch9wavefront6targetE0EEEvT1_.has_dyn_sized_stack, 0
	.set _ZN7rocprim17ROCPRIM_400000_NS6detail17trampoline_kernelINS0_14default_configENS1_25partition_config_selectorILNS1_17partition_subalgoE9EllbEEZZNS1_14partition_implILS5_9ELb0ES3_jPlS8_PNS0_10empty_typeENS0_5tupleIJS8_S9_EEENSB_IJS8_SA_EEENS0_18inequality_wrapperIZN2at6native12_GLOBAL__N_124unique_dim_cuda_templateIaEESt5tupleIJNSF_6TensorESK_SK_EERKSK_lbbbEUlllE0_EEPmJS9_EEE10hipError_tPvRmT3_T4_T5_T6_T7_T9_mT8_P12ihipStream_tbDpT10_ENKUlT_T0_E_clISt17integral_constantIbLb1EES1A_EEDaS15_S16_EUlS15_E_NS1_11comp_targetILNS1_3genE10ELNS1_11target_archE1200ELNS1_3gpuE4ELNS1_3repE0EEENS1_30default_config_static_selectorELNS0_4arch9wavefront6targetE0EEEvT1_.has_recursion, 0
	.set _ZN7rocprim17ROCPRIM_400000_NS6detail17trampoline_kernelINS0_14default_configENS1_25partition_config_selectorILNS1_17partition_subalgoE9EllbEEZZNS1_14partition_implILS5_9ELb0ES3_jPlS8_PNS0_10empty_typeENS0_5tupleIJS8_S9_EEENSB_IJS8_SA_EEENS0_18inequality_wrapperIZN2at6native12_GLOBAL__N_124unique_dim_cuda_templateIaEESt5tupleIJNSF_6TensorESK_SK_EERKSK_lbbbEUlllE0_EEPmJS9_EEE10hipError_tPvRmT3_T4_T5_T6_T7_T9_mT8_P12ihipStream_tbDpT10_ENKUlT_T0_E_clISt17integral_constantIbLb1EES1A_EEDaS15_S16_EUlS15_E_NS1_11comp_targetILNS1_3genE10ELNS1_11target_archE1200ELNS1_3gpuE4ELNS1_3repE0EEENS1_30default_config_static_selectorELNS0_4arch9wavefront6targetE0EEEvT1_.has_indirect_call, 0
	.section	.AMDGPU.csdata,"",@progbits
; Kernel info:
; codeLenInByte = 0
; TotalNumSgprs: 0
; NumVgprs: 0
; ScratchSize: 0
; MemoryBound: 0
; FloatMode: 240
; IeeeMode: 1
; LDSByteSize: 0 bytes/workgroup (compile time only)
; SGPRBlocks: 0
; VGPRBlocks: 0
; NumSGPRsForWavesPerEU: 1
; NumVGPRsForWavesPerEU: 1
; NamedBarCnt: 0
; Occupancy: 16
; WaveLimiterHint : 0
; COMPUTE_PGM_RSRC2:SCRATCH_EN: 0
; COMPUTE_PGM_RSRC2:USER_SGPR: 2
; COMPUTE_PGM_RSRC2:TRAP_HANDLER: 0
; COMPUTE_PGM_RSRC2:TGID_X_EN: 1
; COMPUTE_PGM_RSRC2:TGID_Y_EN: 0
; COMPUTE_PGM_RSRC2:TGID_Z_EN: 0
; COMPUTE_PGM_RSRC2:TIDIG_COMP_CNT: 0
	.section	.text._ZN7rocprim17ROCPRIM_400000_NS6detail17trampoline_kernelINS0_14default_configENS1_25partition_config_selectorILNS1_17partition_subalgoE9EllbEEZZNS1_14partition_implILS5_9ELb0ES3_jPlS8_PNS0_10empty_typeENS0_5tupleIJS8_S9_EEENSB_IJS8_SA_EEENS0_18inequality_wrapperIZN2at6native12_GLOBAL__N_124unique_dim_cuda_templateIaEESt5tupleIJNSF_6TensorESK_SK_EERKSK_lbbbEUlllE0_EEPmJS9_EEE10hipError_tPvRmT3_T4_T5_T6_T7_T9_mT8_P12ihipStream_tbDpT10_ENKUlT_T0_E_clISt17integral_constantIbLb1EES1A_EEDaS15_S16_EUlS15_E_NS1_11comp_targetILNS1_3genE9ELNS1_11target_archE1100ELNS1_3gpuE3ELNS1_3repE0EEENS1_30default_config_static_selectorELNS0_4arch9wavefront6targetE0EEEvT1_,"axG",@progbits,_ZN7rocprim17ROCPRIM_400000_NS6detail17trampoline_kernelINS0_14default_configENS1_25partition_config_selectorILNS1_17partition_subalgoE9EllbEEZZNS1_14partition_implILS5_9ELb0ES3_jPlS8_PNS0_10empty_typeENS0_5tupleIJS8_S9_EEENSB_IJS8_SA_EEENS0_18inequality_wrapperIZN2at6native12_GLOBAL__N_124unique_dim_cuda_templateIaEESt5tupleIJNSF_6TensorESK_SK_EERKSK_lbbbEUlllE0_EEPmJS9_EEE10hipError_tPvRmT3_T4_T5_T6_T7_T9_mT8_P12ihipStream_tbDpT10_ENKUlT_T0_E_clISt17integral_constantIbLb1EES1A_EEDaS15_S16_EUlS15_E_NS1_11comp_targetILNS1_3genE9ELNS1_11target_archE1100ELNS1_3gpuE3ELNS1_3repE0EEENS1_30default_config_static_selectorELNS0_4arch9wavefront6targetE0EEEvT1_,comdat
	.globl	_ZN7rocprim17ROCPRIM_400000_NS6detail17trampoline_kernelINS0_14default_configENS1_25partition_config_selectorILNS1_17partition_subalgoE9EllbEEZZNS1_14partition_implILS5_9ELb0ES3_jPlS8_PNS0_10empty_typeENS0_5tupleIJS8_S9_EEENSB_IJS8_SA_EEENS0_18inequality_wrapperIZN2at6native12_GLOBAL__N_124unique_dim_cuda_templateIaEESt5tupleIJNSF_6TensorESK_SK_EERKSK_lbbbEUlllE0_EEPmJS9_EEE10hipError_tPvRmT3_T4_T5_T6_T7_T9_mT8_P12ihipStream_tbDpT10_ENKUlT_T0_E_clISt17integral_constantIbLb1EES1A_EEDaS15_S16_EUlS15_E_NS1_11comp_targetILNS1_3genE9ELNS1_11target_archE1100ELNS1_3gpuE3ELNS1_3repE0EEENS1_30default_config_static_selectorELNS0_4arch9wavefront6targetE0EEEvT1_ ; -- Begin function _ZN7rocprim17ROCPRIM_400000_NS6detail17trampoline_kernelINS0_14default_configENS1_25partition_config_selectorILNS1_17partition_subalgoE9EllbEEZZNS1_14partition_implILS5_9ELb0ES3_jPlS8_PNS0_10empty_typeENS0_5tupleIJS8_S9_EEENSB_IJS8_SA_EEENS0_18inequality_wrapperIZN2at6native12_GLOBAL__N_124unique_dim_cuda_templateIaEESt5tupleIJNSF_6TensorESK_SK_EERKSK_lbbbEUlllE0_EEPmJS9_EEE10hipError_tPvRmT3_T4_T5_T6_T7_T9_mT8_P12ihipStream_tbDpT10_ENKUlT_T0_E_clISt17integral_constantIbLb1EES1A_EEDaS15_S16_EUlS15_E_NS1_11comp_targetILNS1_3genE9ELNS1_11target_archE1100ELNS1_3gpuE3ELNS1_3repE0EEENS1_30default_config_static_selectorELNS0_4arch9wavefront6targetE0EEEvT1_
	.p2align	8
	.type	_ZN7rocprim17ROCPRIM_400000_NS6detail17trampoline_kernelINS0_14default_configENS1_25partition_config_selectorILNS1_17partition_subalgoE9EllbEEZZNS1_14partition_implILS5_9ELb0ES3_jPlS8_PNS0_10empty_typeENS0_5tupleIJS8_S9_EEENSB_IJS8_SA_EEENS0_18inequality_wrapperIZN2at6native12_GLOBAL__N_124unique_dim_cuda_templateIaEESt5tupleIJNSF_6TensorESK_SK_EERKSK_lbbbEUlllE0_EEPmJS9_EEE10hipError_tPvRmT3_T4_T5_T6_T7_T9_mT8_P12ihipStream_tbDpT10_ENKUlT_T0_E_clISt17integral_constantIbLb1EES1A_EEDaS15_S16_EUlS15_E_NS1_11comp_targetILNS1_3genE9ELNS1_11target_archE1100ELNS1_3gpuE3ELNS1_3repE0EEENS1_30default_config_static_selectorELNS0_4arch9wavefront6targetE0EEEvT1_,@function
_ZN7rocprim17ROCPRIM_400000_NS6detail17trampoline_kernelINS0_14default_configENS1_25partition_config_selectorILNS1_17partition_subalgoE9EllbEEZZNS1_14partition_implILS5_9ELb0ES3_jPlS8_PNS0_10empty_typeENS0_5tupleIJS8_S9_EEENSB_IJS8_SA_EEENS0_18inequality_wrapperIZN2at6native12_GLOBAL__N_124unique_dim_cuda_templateIaEESt5tupleIJNSF_6TensorESK_SK_EERKSK_lbbbEUlllE0_EEPmJS9_EEE10hipError_tPvRmT3_T4_T5_T6_T7_T9_mT8_P12ihipStream_tbDpT10_ENKUlT_T0_E_clISt17integral_constantIbLb1EES1A_EEDaS15_S16_EUlS15_E_NS1_11comp_targetILNS1_3genE9ELNS1_11target_archE1100ELNS1_3gpuE3ELNS1_3repE0EEENS1_30default_config_static_selectorELNS0_4arch9wavefront6targetE0EEEvT1_: ; @_ZN7rocprim17ROCPRIM_400000_NS6detail17trampoline_kernelINS0_14default_configENS1_25partition_config_selectorILNS1_17partition_subalgoE9EllbEEZZNS1_14partition_implILS5_9ELb0ES3_jPlS8_PNS0_10empty_typeENS0_5tupleIJS8_S9_EEENSB_IJS8_SA_EEENS0_18inequality_wrapperIZN2at6native12_GLOBAL__N_124unique_dim_cuda_templateIaEESt5tupleIJNSF_6TensorESK_SK_EERKSK_lbbbEUlllE0_EEPmJS9_EEE10hipError_tPvRmT3_T4_T5_T6_T7_T9_mT8_P12ihipStream_tbDpT10_ENKUlT_T0_E_clISt17integral_constantIbLb1EES1A_EEDaS15_S16_EUlS15_E_NS1_11comp_targetILNS1_3genE9ELNS1_11target_archE1100ELNS1_3gpuE3ELNS1_3repE0EEENS1_30default_config_static_selectorELNS0_4arch9wavefront6targetE0EEEvT1_
; %bb.0:
	.section	.rodata,"a",@progbits
	.p2align	6, 0x0
	.amdhsa_kernel _ZN7rocprim17ROCPRIM_400000_NS6detail17trampoline_kernelINS0_14default_configENS1_25partition_config_selectorILNS1_17partition_subalgoE9EllbEEZZNS1_14partition_implILS5_9ELb0ES3_jPlS8_PNS0_10empty_typeENS0_5tupleIJS8_S9_EEENSB_IJS8_SA_EEENS0_18inequality_wrapperIZN2at6native12_GLOBAL__N_124unique_dim_cuda_templateIaEESt5tupleIJNSF_6TensorESK_SK_EERKSK_lbbbEUlllE0_EEPmJS9_EEE10hipError_tPvRmT3_T4_T5_T6_T7_T9_mT8_P12ihipStream_tbDpT10_ENKUlT_T0_E_clISt17integral_constantIbLb1EES1A_EEDaS15_S16_EUlS15_E_NS1_11comp_targetILNS1_3genE9ELNS1_11target_archE1100ELNS1_3gpuE3ELNS1_3repE0EEENS1_30default_config_static_selectorELNS0_4arch9wavefront6targetE0EEEvT1_
		.amdhsa_group_segment_fixed_size 0
		.amdhsa_private_segment_fixed_size 0
		.amdhsa_kernarg_size 136
		.amdhsa_user_sgpr_count 2
		.amdhsa_user_sgpr_dispatch_ptr 0
		.amdhsa_user_sgpr_queue_ptr 0
		.amdhsa_user_sgpr_kernarg_segment_ptr 1
		.amdhsa_user_sgpr_dispatch_id 0
		.amdhsa_user_sgpr_kernarg_preload_length 0
		.amdhsa_user_sgpr_kernarg_preload_offset 0
		.amdhsa_user_sgpr_private_segment_size 0
		.amdhsa_wavefront_size32 1
		.amdhsa_uses_dynamic_stack 0
		.amdhsa_enable_private_segment 0
		.amdhsa_system_sgpr_workgroup_id_x 1
		.amdhsa_system_sgpr_workgroup_id_y 0
		.amdhsa_system_sgpr_workgroup_id_z 0
		.amdhsa_system_sgpr_workgroup_info 0
		.amdhsa_system_vgpr_workitem_id 0
		.amdhsa_next_free_vgpr 1
		.amdhsa_next_free_sgpr 1
		.amdhsa_named_barrier_count 0
		.amdhsa_reserve_vcc 0
		.amdhsa_float_round_mode_32 0
		.amdhsa_float_round_mode_16_64 0
		.amdhsa_float_denorm_mode_32 3
		.amdhsa_float_denorm_mode_16_64 3
		.amdhsa_fp16_overflow 0
		.amdhsa_memory_ordered 1
		.amdhsa_forward_progress 1
		.amdhsa_inst_pref_size 0
		.amdhsa_round_robin_scheduling 0
		.amdhsa_exception_fp_ieee_invalid_op 0
		.amdhsa_exception_fp_denorm_src 0
		.amdhsa_exception_fp_ieee_div_zero 0
		.amdhsa_exception_fp_ieee_overflow 0
		.amdhsa_exception_fp_ieee_underflow 0
		.amdhsa_exception_fp_ieee_inexact 0
		.amdhsa_exception_int_div_zero 0
	.end_amdhsa_kernel
	.section	.text._ZN7rocprim17ROCPRIM_400000_NS6detail17trampoline_kernelINS0_14default_configENS1_25partition_config_selectorILNS1_17partition_subalgoE9EllbEEZZNS1_14partition_implILS5_9ELb0ES3_jPlS8_PNS0_10empty_typeENS0_5tupleIJS8_S9_EEENSB_IJS8_SA_EEENS0_18inequality_wrapperIZN2at6native12_GLOBAL__N_124unique_dim_cuda_templateIaEESt5tupleIJNSF_6TensorESK_SK_EERKSK_lbbbEUlllE0_EEPmJS9_EEE10hipError_tPvRmT3_T4_T5_T6_T7_T9_mT8_P12ihipStream_tbDpT10_ENKUlT_T0_E_clISt17integral_constantIbLb1EES1A_EEDaS15_S16_EUlS15_E_NS1_11comp_targetILNS1_3genE9ELNS1_11target_archE1100ELNS1_3gpuE3ELNS1_3repE0EEENS1_30default_config_static_selectorELNS0_4arch9wavefront6targetE0EEEvT1_,"axG",@progbits,_ZN7rocprim17ROCPRIM_400000_NS6detail17trampoline_kernelINS0_14default_configENS1_25partition_config_selectorILNS1_17partition_subalgoE9EllbEEZZNS1_14partition_implILS5_9ELb0ES3_jPlS8_PNS0_10empty_typeENS0_5tupleIJS8_S9_EEENSB_IJS8_SA_EEENS0_18inequality_wrapperIZN2at6native12_GLOBAL__N_124unique_dim_cuda_templateIaEESt5tupleIJNSF_6TensorESK_SK_EERKSK_lbbbEUlllE0_EEPmJS9_EEE10hipError_tPvRmT3_T4_T5_T6_T7_T9_mT8_P12ihipStream_tbDpT10_ENKUlT_T0_E_clISt17integral_constantIbLb1EES1A_EEDaS15_S16_EUlS15_E_NS1_11comp_targetILNS1_3genE9ELNS1_11target_archE1100ELNS1_3gpuE3ELNS1_3repE0EEENS1_30default_config_static_selectorELNS0_4arch9wavefront6targetE0EEEvT1_,comdat
.Lfunc_end365:
	.size	_ZN7rocprim17ROCPRIM_400000_NS6detail17trampoline_kernelINS0_14default_configENS1_25partition_config_selectorILNS1_17partition_subalgoE9EllbEEZZNS1_14partition_implILS5_9ELb0ES3_jPlS8_PNS0_10empty_typeENS0_5tupleIJS8_S9_EEENSB_IJS8_SA_EEENS0_18inequality_wrapperIZN2at6native12_GLOBAL__N_124unique_dim_cuda_templateIaEESt5tupleIJNSF_6TensorESK_SK_EERKSK_lbbbEUlllE0_EEPmJS9_EEE10hipError_tPvRmT3_T4_T5_T6_T7_T9_mT8_P12ihipStream_tbDpT10_ENKUlT_T0_E_clISt17integral_constantIbLb1EES1A_EEDaS15_S16_EUlS15_E_NS1_11comp_targetILNS1_3genE9ELNS1_11target_archE1100ELNS1_3gpuE3ELNS1_3repE0EEENS1_30default_config_static_selectorELNS0_4arch9wavefront6targetE0EEEvT1_, .Lfunc_end365-_ZN7rocprim17ROCPRIM_400000_NS6detail17trampoline_kernelINS0_14default_configENS1_25partition_config_selectorILNS1_17partition_subalgoE9EllbEEZZNS1_14partition_implILS5_9ELb0ES3_jPlS8_PNS0_10empty_typeENS0_5tupleIJS8_S9_EEENSB_IJS8_SA_EEENS0_18inequality_wrapperIZN2at6native12_GLOBAL__N_124unique_dim_cuda_templateIaEESt5tupleIJNSF_6TensorESK_SK_EERKSK_lbbbEUlllE0_EEPmJS9_EEE10hipError_tPvRmT3_T4_T5_T6_T7_T9_mT8_P12ihipStream_tbDpT10_ENKUlT_T0_E_clISt17integral_constantIbLb1EES1A_EEDaS15_S16_EUlS15_E_NS1_11comp_targetILNS1_3genE9ELNS1_11target_archE1100ELNS1_3gpuE3ELNS1_3repE0EEENS1_30default_config_static_selectorELNS0_4arch9wavefront6targetE0EEEvT1_
                                        ; -- End function
	.set _ZN7rocprim17ROCPRIM_400000_NS6detail17trampoline_kernelINS0_14default_configENS1_25partition_config_selectorILNS1_17partition_subalgoE9EllbEEZZNS1_14partition_implILS5_9ELb0ES3_jPlS8_PNS0_10empty_typeENS0_5tupleIJS8_S9_EEENSB_IJS8_SA_EEENS0_18inequality_wrapperIZN2at6native12_GLOBAL__N_124unique_dim_cuda_templateIaEESt5tupleIJNSF_6TensorESK_SK_EERKSK_lbbbEUlllE0_EEPmJS9_EEE10hipError_tPvRmT3_T4_T5_T6_T7_T9_mT8_P12ihipStream_tbDpT10_ENKUlT_T0_E_clISt17integral_constantIbLb1EES1A_EEDaS15_S16_EUlS15_E_NS1_11comp_targetILNS1_3genE9ELNS1_11target_archE1100ELNS1_3gpuE3ELNS1_3repE0EEENS1_30default_config_static_selectorELNS0_4arch9wavefront6targetE0EEEvT1_.num_vgpr, 0
	.set _ZN7rocprim17ROCPRIM_400000_NS6detail17trampoline_kernelINS0_14default_configENS1_25partition_config_selectorILNS1_17partition_subalgoE9EllbEEZZNS1_14partition_implILS5_9ELb0ES3_jPlS8_PNS0_10empty_typeENS0_5tupleIJS8_S9_EEENSB_IJS8_SA_EEENS0_18inequality_wrapperIZN2at6native12_GLOBAL__N_124unique_dim_cuda_templateIaEESt5tupleIJNSF_6TensorESK_SK_EERKSK_lbbbEUlllE0_EEPmJS9_EEE10hipError_tPvRmT3_T4_T5_T6_T7_T9_mT8_P12ihipStream_tbDpT10_ENKUlT_T0_E_clISt17integral_constantIbLb1EES1A_EEDaS15_S16_EUlS15_E_NS1_11comp_targetILNS1_3genE9ELNS1_11target_archE1100ELNS1_3gpuE3ELNS1_3repE0EEENS1_30default_config_static_selectorELNS0_4arch9wavefront6targetE0EEEvT1_.num_agpr, 0
	.set _ZN7rocprim17ROCPRIM_400000_NS6detail17trampoline_kernelINS0_14default_configENS1_25partition_config_selectorILNS1_17partition_subalgoE9EllbEEZZNS1_14partition_implILS5_9ELb0ES3_jPlS8_PNS0_10empty_typeENS0_5tupleIJS8_S9_EEENSB_IJS8_SA_EEENS0_18inequality_wrapperIZN2at6native12_GLOBAL__N_124unique_dim_cuda_templateIaEESt5tupleIJNSF_6TensorESK_SK_EERKSK_lbbbEUlllE0_EEPmJS9_EEE10hipError_tPvRmT3_T4_T5_T6_T7_T9_mT8_P12ihipStream_tbDpT10_ENKUlT_T0_E_clISt17integral_constantIbLb1EES1A_EEDaS15_S16_EUlS15_E_NS1_11comp_targetILNS1_3genE9ELNS1_11target_archE1100ELNS1_3gpuE3ELNS1_3repE0EEENS1_30default_config_static_selectorELNS0_4arch9wavefront6targetE0EEEvT1_.numbered_sgpr, 0
	.set _ZN7rocprim17ROCPRIM_400000_NS6detail17trampoline_kernelINS0_14default_configENS1_25partition_config_selectorILNS1_17partition_subalgoE9EllbEEZZNS1_14partition_implILS5_9ELb0ES3_jPlS8_PNS0_10empty_typeENS0_5tupleIJS8_S9_EEENSB_IJS8_SA_EEENS0_18inequality_wrapperIZN2at6native12_GLOBAL__N_124unique_dim_cuda_templateIaEESt5tupleIJNSF_6TensorESK_SK_EERKSK_lbbbEUlllE0_EEPmJS9_EEE10hipError_tPvRmT3_T4_T5_T6_T7_T9_mT8_P12ihipStream_tbDpT10_ENKUlT_T0_E_clISt17integral_constantIbLb1EES1A_EEDaS15_S16_EUlS15_E_NS1_11comp_targetILNS1_3genE9ELNS1_11target_archE1100ELNS1_3gpuE3ELNS1_3repE0EEENS1_30default_config_static_selectorELNS0_4arch9wavefront6targetE0EEEvT1_.num_named_barrier, 0
	.set _ZN7rocprim17ROCPRIM_400000_NS6detail17trampoline_kernelINS0_14default_configENS1_25partition_config_selectorILNS1_17partition_subalgoE9EllbEEZZNS1_14partition_implILS5_9ELb0ES3_jPlS8_PNS0_10empty_typeENS0_5tupleIJS8_S9_EEENSB_IJS8_SA_EEENS0_18inequality_wrapperIZN2at6native12_GLOBAL__N_124unique_dim_cuda_templateIaEESt5tupleIJNSF_6TensorESK_SK_EERKSK_lbbbEUlllE0_EEPmJS9_EEE10hipError_tPvRmT3_T4_T5_T6_T7_T9_mT8_P12ihipStream_tbDpT10_ENKUlT_T0_E_clISt17integral_constantIbLb1EES1A_EEDaS15_S16_EUlS15_E_NS1_11comp_targetILNS1_3genE9ELNS1_11target_archE1100ELNS1_3gpuE3ELNS1_3repE0EEENS1_30default_config_static_selectorELNS0_4arch9wavefront6targetE0EEEvT1_.private_seg_size, 0
	.set _ZN7rocprim17ROCPRIM_400000_NS6detail17trampoline_kernelINS0_14default_configENS1_25partition_config_selectorILNS1_17partition_subalgoE9EllbEEZZNS1_14partition_implILS5_9ELb0ES3_jPlS8_PNS0_10empty_typeENS0_5tupleIJS8_S9_EEENSB_IJS8_SA_EEENS0_18inequality_wrapperIZN2at6native12_GLOBAL__N_124unique_dim_cuda_templateIaEESt5tupleIJNSF_6TensorESK_SK_EERKSK_lbbbEUlllE0_EEPmJS9_EEE10hipError_tPvRmT3_T4_T5_T6_T7_T9_mT8_P12ihipStream_tbDpT10_ENKUlT_T0_E_clISt17integral_constantIbLb1EES1A_EEDaS15_S16_EUlS15_E_NS1_11comp_targetILNS1_3genE9ELNS1_11target_archE1100ELNS1_3gpuE3ELNS1_3repE0EEENS1_30default_config_static_selectorELNS0_4arch9wavefront6targetE0EEEvT1_.uses_vcc, 0
	.set _ZN7rocprim17ROCPRIM_400000_NS6detail17trampoline_kernelINS0_14default_configENS1_25partition_config_selectorILNS1_17partition_subalgoE9EllbEEZZNS1_14partition_implILS5_9ELb0ES3_jPlS8_PNS0_10empty_typeENS0_5tupleIJS8_S9_EEENSB_IJS8_SA_EEENS0_18inequality_wrapperIZN2at6native12_GLOBAL__N_124unique_dim_cuda_templateIaEESt5tupleIJNSF_6TensorESK_SK_EERKSK_lbbbEUlllE0_EEPmJS9_EEE10hipError_tPvRmT3_T4_T5_T6_T7_T9_mT8_P12ihipStream_tbDpT10_ENKUlT_T0_E_clISt17integral_constantIbLb1EES1A_EEDaS15_S16_EUlS15_E_NS1_11comp_targetILNS1_3genE9ELNS1_11target_archE1100ELNS1_3gpuE3ELNS1_3repE0EEENS1_30default_config_static_selectorELNS0_4arch9wavefront6targetE0EEEvT1_.uses_flat_scratch, 0
	.set _ZN7rocprim17ROCPRIM_400000_NS6detail17trampoline_kernelINS0_14default_configENS1_25partition_config_selectorILNS1_17partition_subalgoE9EllbEEZZNS1_14partition_implILS5_9ELb0ES3_jPlS8_PNS0_10empty_typeENS0_5tupleIJS8_S9_EEENSB_IJS8_SA_EEENS0_18inequality_wrapperIZN2at6native12_GLOBAL__N_124unique_dim_cuda_templateIaEESt5tupleIJNSF_6TensorESK_SK_EERKSK_lbbbEUlllE0_EEPmJS9_EEE10hipError_tPvRmT3_T4_T5_T6_T7_T9_mT8_P12ihipStream_tbDpT10_ENKUlT_T0_E_clISt17integral_constantIbLb1EES1A_EEDaS15_S16_EUlS15_E_NS1_11comp_targetILNS1_3genE9ELNS1_11target_archE1100ELNS1_3gpuE3ELNS1_3repE0EEENS1_30default_config_static_selectorELNS0_4arch9wavefront6targetE0EEEvT1_.has_dyn_sized_stack, 0
	.set _ZN7rocprim17ROCPRIM_400000_NS6detail17trampoline_kernelINS0_14default_configENS1_25partition_config_selectorILNS1_17partition_subalgoE9EllbEEZZNS1_14partition_implILS5_9ELb0ES3_jPlS8_PNS0_10empty_typeENS0_5tupleIJS8_S9_EEENSB_IJS8_SA_EEENS0_18inequality_wrapperIZN2at6native12_GLOBAL__N_124unique_dim_cuda_templateIaEESt5tupleIJNSF_6TensorESK_SK_EERKSK_lbbbEUlllE0_EEPmJS9_EEE10hipError_tPvRmT3_T4_T5_T6_T7_T9_mT8_P12ihipStream_tbDpT10_ENKUlT_T0_E_clISt17integral_constantIbLb1EES1A_EEDaS15_S16_EUlS15_E_NS1_11comp_targetILNS1_3genE9ELNS1_11target_archE1100ELNS1_3gpuE3ELNS1_3repE0EEENS1_30default_config_static_selectorELNS0_4arch9wavefront6targetE0EEEvT1_.has_recursion, 0
	.set _ZN7rocprim17ROCPRIM_400000_NS6detail17trampoline_kernelINS0_14default_configENS1_25partition_config_selectorILNS1_17partition_subalgoE9EllbEEZZNS1_14partition_implILS5_9ELb0ES3_jPlS8_PNS0_10empty_typeENS0_5tupleIJS8_S9_EEENSB_IJS8_SA_EEENS0_18inequality_wrapperIZN2at6native12_GLOBAL__N_124unique_dim_cuda_templateIaEESt5tupleIJNSF_6TensorESK_SK_EERKSK_lbbbEUlllE0_EEPmJS9_EEE10hipError_tPvRmT3_T4_T5_T6_T7_T9_mT8_P12ihipStream_tbDpT10_ENKUlT_T0_E_clISt17integral_constantIbLb1EES1A_EEDaS15_S16_EUlS15_E_NS1_11comp_targetILNS1_3genE9ELNS1_11target_archE1100ELNS1_3gpuE3ELNS1_3repE0EEENS1_30default_config_static_selectorELNS0_4arch9wavefront6targetE0EEEvT1_.has_indirect_call, 0
	.section	.AMDGPU.csdata,"",@progbits
; Kernel info:
; codeLenInByte = 0
; TotalNumSgprs: 0
; NumVgprs: 0
; ScratchSize: 0
; MemoryBound: 0
; FloatMode: 240
; IeeeMode: 1
; LDSByteSize: 0 bytes/workgroup (compile time only)
; SGPRBlocks: 0
; VGPRBlocks: 0
; NumSGPRsForWavesPerEU: 1
; NumVGPRsForWavesPerEU: 1
; NamedBarCnt: 0
; Occupancy: 16
; WaveLimiterHint : 0
; COMPUTE_PGM_RSRC2:SCRATCH_EN: 0
; COMPUTE_PGM_RSRC2:USER_SGPR: 2
; COMPUTE_PGM_RSRC2:TRAP_HANDLER: 0
; COMPUTE_PGM_RSRC2:TGID_X_EN: 1
; COMPUTE_PGM_RSRC2:TGID_Y_EN: 0
; COMPUTE_PGM_RSRC2:TGID_Z_EN: 0
; COMPUTE_PGM_RSRC2:TIDIG_COMP_CNT: 0
	.section	.text._ZN7rocprim17ROCPRIM_400000_NS6detail17trampoline_kernelINS0_14default_configENS1_25partition_config_selectorILNS1_17partition_subalgoE9EllbEEZZNS1_14partition_implILS5_9ELb0ES3_jPlS8_PNS0_10empty_typeENS0_5tupleIJS8_S9_EEENSB_IJS8_SA_EEENS0_18inequality_wrapperIZN2at6native12_GLOBAL__N_124unique_dim_cuda_templateIaEESt5tupleIJNSF_6TensorESK_SK_EERKSK_lbbbEUlllE0_EEPmJS9_EEE10hipError_tPvRmT3_T4_T5_T6_T7_T9_mT8_P12ihipStream_tbDpT10_ENKUlT_T0_E_clISt17integral_constantIbLb1EES1A_EEDaS15_S16_EUlS15_E_NS1_11comp_targetILNS1_3genE8ELNS1_11target_archE1030ELNS1_3gpuE2ELNS1_3repE0EEENS1_30default_config_static_selectorELNS0_4arch9wavefront6targetE0EEEvT1_,"axG",@progbits,_ZN7rocprim17ROCPRIM_400000_NS6detail17trampoline_kernelINS0_14default_configENS1_25partition_config_selectorILNS1_17partition_subalgoE9EllbEEZZNS1_14partition_implILS5_9ELb0ES3_jPlS8_PNS0_10empty_typeENS0_5tupleIJS8_S9_EEENSB_IJS8_SA_EEENS0_18inequality_wrapperIZN2at6native12_GLOBAL__N_124unique_dim_cuda_templateIaEESt5tupleIJNSF_6TensorESK_SK_EERKSK_lbbbEUlllE0_EEPmJS9_EEE10hipError_tPvRmT3_T4_T5_T6_T7_T9_mT8_P12ihipStream_tbDpT10_ENKUlT_T0_E_clISt17integral_constantIbLb1EES1A_EEDaS15_S16_EUlS15_E_NS1_11comp_targetILNS1_3genE8ELNS1_11target_archE1030ELNS1_3gpuE2ELNS1_3repE0EEENS1_30default_config_static_selectorELNS0_4arch9wavefront6targetE0EEEvT1_,comdat
	.globl	_ZN7rocprim17ROCPRIM_400000_NS6detail17trampoline_kernelINS0_14default_configENS1_25partition_config_selectorILNS1_17partition_subalgoE9EllbEEZZNS1_14partition_implILS5_9ELb0ES3_jPlS8_PNS0_10empty_typeENS0_5tupleIJS8_S9_EEENSB_IJS8_SA_EEENS0_18inequality_wrapperIZN2at6native12_GLOBAL__N_124unique_dim_cuda_templateIaEESt5tupleIJNSF_6TensorESK_SK_EERKSK_lbbbEUlllE0_EEPmJS9_EEE10hipError_tPvRmT3_T4_T5_T6_T7_T9_mT8_P12ihipStream_tbDpT10_ENKUlT_T0_E_clISt17integral_constantIbLb1EES1A_EEDaS15_S16_EUlS15_E_NS1_11comp_targetILNS1_3genE8ELNS1_11target_archE1030ELNS1_3gpuE2ELNS1_3repE0EEENS1_30default_config_static_selectorELNS0_4arch9wavefront6targetE0EEEvT1_ ; -- Begin function _ZN7rocprim17ROCPRIM_400000_NS6detail17trampoline_kernelINS0_14default_configENS1_25partition_config_selectorILNS1_17partition_subalgoE9EllbEEZZNS1_14partition_implILS5_9ELb0ES3_jPlS8_PNS0_10empty_typeENS0_5tupleIJS8_S9_EEENSB_IJS8_SA_EEENS0_18inequality_wrapperIZN2at6native12_GLOBAL__N_124unique_dim_cuda_templateIaEESt5tupleIJNSF_6TensorESK_SK_EERKSK_lbbbEUlllE0_EEPmJS9_EEE10hipError_tPvRmT3_T4_T5_T6_T7_T9_mT8_P12ihipStream_tbDpT10_ENKUlT_T0_E_clISt17integral_constantIbLb1EES1A_EEDaS15_S16_EUlS15_E_NS1_11comp_targetILNS1_3genE8ELNS1_11target_archE1030ELNS1_3gpuE2ELNS1_3repE0EEENS1_30default_config_static_selectorELNS0_4arch9wavefront6targetE0EEEvT1_
	.p2align	8
	.type	_ZN7rocprim17ROCPRIM_400000_NS6detail17trampoline_kernelINS0_14default_configENS1_25partition_config_selectorILNS1_17partition_subalgoE9EllbEEZZNS1_14partition_implILS5_9ELb0ES3_jPlS8_PNS0_10empty_typeENS0_5tupleIJS8_S9_EEENSB_IJS8_SA_EEENS0_18inequality_wrapperIZN2at6native12_GLOBAL__N_124unique_dim_cuda_templateIaEESt5tupleIJNSF_6TensorESK_SK_EERKSK_lbbbEUlllE0_EEPmJS9_EEE10hipError_tPvRmT3_T4_T5_T6_T7_T9_mT8_P12ihipStream_tbDpT10_ENKUlT_T0_E_clISt17integral_constantIbLb1EES1A_EEDaS15_S16_EUlS15_E_NS1_11comp_targetILNS1_3genE8ELNS1_11target_archE1030ELNS1_3gpuE2ELNS1_3repE0EEENS1_30default_config_static_selectorELNS0_4arch9wavefront6targetE0EEEvT1_,@function
_ZN7rocprim17ROCPRIM_400000_NS6detail17trampoline_kernelINS0_14default_configENS1_25partition_config_selectorILNS1_17partition_subalgoE9EllbEEZZNS1_14partition_implILS5_9ELb0ES3_jPlS8_PNS0_10empty_typeENS0_5tupleIJS8_S9_EEENSB_IJS8_SA_EEENS0_18inequality_wrapperIZN2at6native12_GLOBAL__N_124unique_dim_cuda_templateIaEESt5tupleIJNSF_6TensorESK_SK_EERKSK_lbbbEUlllE0_EEPmJS9_EEE10hipError_tPvRmT3_T4_T5_T6_T7_T9_mT8_P12ihipStream_tbDpT10_ENKUlT_T0_E_clISt17integral_constantIbLb1EES1A_EEDaS15_S16_EUlS15_E_NS1_11comp_targetILNS1_3genE8ELNS1_11target_archE1030ELNS1_3gpuE2ELNS1_3repE0EEENS1_30default_config_static_selectorELNS0_4arch9wavefront6targetE0EEEvT1_: ; @_ZN7rocprim17ROCPRIM_400000_NS6detail17trampoline_kernelINS0_14default_configENS1_25partition_config_selectorILNS1_17partition_subalgoE9EllbEEZZNS1_14partition_implILS5_9ELb0ES3_jPlS8_PNS0_10empty_typeENS0_5tupleIJS8_S9_EEENSB_IJS8_SA_EEENS0_18inequality_wrapperIZN2at6native12_GLOBAL__N_124unique_dim_cuda_templateIaEESt5tupleIJNSF_6TensorESK_SK_EERKSK_lbbbEUlllE0_EEPmJS9_EEE10hipError_tPvRmT3_T4_T5_T6_T7_T9_mT8_P12ihipStream_tbDpT10_ENKUlT_T0_E_clISt17integral_constantIbLb1EES1A_EEDaS15_S16_EUlS15_E_NS1_11comp_targetILNS1_3genE8ELNS1_11target_archE1030ELNS1_3gpuE2ELNS1_3repE0EEENS1_30default_config_static_selectorELNS0_4arch9wavefront6targetE0EEEvT1_
; %bb.0:
	.section	.rodata,"a",@progbits
	.p2align	6, 0x0
	.amdhsa_kernel _ZN7rocprim17ROCPRIM_400000_NS6detail17trampoline_kernelINS0_14default_configENS1_25partition_config_selectorILNS1_17partition_subalgoE9EllbEEZZNS1_14partition_implILS5_9ELb0ES3_jPlS8_PNS0_10empty_typeENS0_5tupleIJS8_S9_EEENSB_IJS8_SA_EEENS0_18inequality_wrapperIZN2at6native12_GLOBAL__N_124unique_dim_cuda_templateIaEESt5tupleIJNSF_6TensorESK_SK_EERKSK_lbbbEUlllE0_EEPmJS9_EEE10hipError_tPvRmT3_T4_T5_T6_T7_T9_mT8_P12ihipStream_tbDpT10_ENKUlT_T0_E_clISt17integral_constantIbLb1EES1A_EEDaS15_S16_EUlS15_E_NS1_11comp_targetILNS1_3genE8ELNS1_11target_archE1030ELNS1_3gpuE2ELNS1_3repE0EEENS1_30default_config_static_selectorELNS0_4arch9wavefront6targetE0EEEvT1_
		.amdhsa_group_segment_fixed_size 0
		.amdhsa_private_segment_fixed_size 0
		.amdhsa_kernarg_size 136
		.amdhsa_user_sgpr_count 2
		.amdhsa_user_sgpr_dispatch_ptr 0
		.amdhsa_user_sgpr_queue_ptr 0
		.amdhsa_user_sgpr_kernarg_segment_ptr 1
		.amdhsa_user_sgpr_dispatch_id 0
		.amdhsa_user_sgpr_kernarg_preload_length 0
		.amdhsa_user_sgpr_kernarg_preload_offset 0
		.amdhsa_user_sgpr_private_segment_size 0
		.amdhsa_wavefront_size32 1
		.amdhsa_uses_dynamic_stack 0
		.amdhsa_enable_private_segment 0
		.amdhsa_system_sgpr_workgroup_id_x 1
		.amdhsa_system_sgpr_workgroup_id_y 0
		.amdhsa_system_sgpr_workgroup_id_z 0
		.amdhsa_system_sgpr_workgroup_info 0
		.amdhsa_system_vgpr_workitem_id 0
		.amdhsa_next_free_vgpr 1
		.amdhsa_next_free_sgpr 1
		.amdhsa_named_barrier_count 0
		.amdhsa_reserve_vcc 0
		.amdhsa_float_round_mode_32 0
		.amdhsa_float_round_mode_16_64 0
		.amdhsa_float_denorm_mode_32 3
		.amdhsa_float_denorm_mode_16_64 3
		.amdhsa_fp16_overflow 0
		.amdhsa_memory_ordered 1
		.amdhsa_forward_progress 1
		.amdhsa_inst_pref_size 0
		.amdhsa_round_robin_scheduling 0
		.amdhsa_exception_fp_ieee_invalid_op 0
		.amdhsa_exception_fp_denorm_src 0
		.amdhsa_exception_fp_ieee_div_zero 0
		.amdhsa_exception_fp_ieee_overflow 0
		.amdhsa_exception_fp_ieee_underflow 0
		.amdhsa_exception_fp_ieee_inexact 0
		.amdhsa_exception_int_div_zero 0
	.end_amdhsa_kernel
	.section	.text._ZN7rocprim17ROCPRIM_400000_NS6detail17trampoline_kernelINS0_14default_configENS1_25partition_config_selectorILNS1_17partition_subalgoE9EllbEEZZNS1_14partition_implILS5_9ELb0ES3_jPlS8_PNS0_10empty_typeENS0_5tupleIJS8_S9_EEENSB_IJS8_SA_EEENS0_18inequality_wrapperIZN2at6native12_GLOBAL__N_124unique_dim_cuda_templateIaEESt5tupleIJNSF_6TensorESK_SK_EERKSK_lbbbEUlllE0_EEPmJS9_EEE10hipError_tPvRmT3_T4_T5_T6_T7_T9_mT8_P12ihipStream_tbDpT10_ENKUlT_T0_E_clISt17integral_constantIbLb1EES1A_EEDaS15_S16_EUlS15_E_NS1_11comp_targetILNS1_3genE8ELNS1_11target_archE1030ELNS1_3gpuE2ELNS1_3repE0EEENS1_30default_config_static_selectorELNS0_4arch9wavefront6targetE0EEEvT1_,"axG",@progbits,_ZN7rocprim17ROCPRIM_400000_NS6detail17trampoline_kernelINS0_14default_configENS1_25partition_config_selectorILNS1_17partition_subalgoE9EllbEEZZNS1_14partition_implILS5_9ELb0ES3_jPlS8_PNS0_10empty_typeENS0_5tupleIJS8_S9_EEENSB_IJS8_SA_EEENS0_18inequality_wrapperIZN2at6native12_GLOBAL__N_124unique_dim_cuda_templateIaEESt5tupleIJNSF_6TensorESK_SK_EERKSK_lbbbEUlllE0_EEPmJS9_EEE10hipError_tPvRmT3_T4_T5_T6_T7_T9_mT8_P12ihipStream_tbDpT10_ENKUlT_T0_E_clISt17integral_constantIbLb1EES1A_EEDaS15_S16_EUlS15_E_NS1_11comp_targetILNS1_3genE8ELNS1_11target_archE1030ELNS1_3gpuE2ELNS1_3repE0EEENS1_30default_config_static_selectorELNS0_4arch9wavefront6targetE0EEEvT1_,comdat
.Lfunc_end366:
	.size	_ZN7rocprim17ROCPRIM_400000_NS6detail17trampoline_kernelINS0_14default_configENS1_25partition_config_selectorILNS1_17partition_subalgoE9EllbEEZZNS1_14partition_implILS5_9ELb0ES3_jPlS8_PNS0_10empty_typeENS0_5tupleIJS8_S9_EEENSB_IJS8_SA_EEENS0_18inequality_wrapperIZN2at6native12_GLOBAL__N_124unique_dim_cuda_templateIaEESt5tupleIJNSF_6TensorESK_SK_EERKSK_lbbbEUlllE0_EEPmJS9_EEE10hipError_tPvRmT3_T4_T5_T6_T7_T9_mT8_P12ihipStream_tbDpT10_ENKUlT_T0_E_clISt17integral_constantIbLb1EES1A_EEDaS15_S16_EUlS15_E_NS1_11comp_targetILNS1_3genE8ELNS1_11target_archE1030ELNS1_3gpuE2ELNS1_3repE0EEENS1_30default_config_static_selectorELNS0_4arch9wavefront6targetE0EEEvT1_, .Lfunc_end366-_ZN7rocprim17ROCPRIM_400000_NS6detail17trampoline_kernelINS0_14default_configENS1_25partition_config_selectorILNS1_17partition_subalgoE9EllbEEZZNS1_14partition_implILS5_9ELb0ES3_jPlS8_PNS0_10empty_typeENS0_5tupleIJS8_S9_EEENSB_IJS8_SA_EEENS0_18inequality_wrapperIZN2at6native12_GLOBAL__N_124unique_dim_cuda_templateIaEESt5tupleIJNSF_6TensorESK_SK_EERKSK_lbbbEUlllE0_EEPmJS9_EEE10hipError_tPvRmT3_T4_T5_T6_T7_T9_mT8_P12ihipStream_tbDpT10_ENKUlT_T0_E_clISt17integral_constantIbLb1EES1A_EEDaS15_S16_EUlS15_E_NS1_11comp_targetILNS1_3genE8ELNS1_11target_archE1030ELNS1_3gpuE2ELNS1_3repE0EEENS1_30default_config_static_selectorELNS0_4arch9wavefront6targetE0EEEvT1_
                                        ; -- End function
	.set _ZN7rocprim17ROCPRIM_400000_NS6detail17trampoline_kernelINS0_14default_configENS1_25partition_config_selectorILNS1_17partition_subalgoE9EllbEEZZNS1_14partition_implILS5_9ELb0ES3_jPlS8_PNS0_10empty_typeENS0_5tupleIJS8_S9_EEENSB_IJS8_SA_EEENS0_18inequality_wrapperIZN2at6native12_GLOBAL__N_124unique_dim_cuda_templateIaEESt5tupleIJNSF_6TensorESK_SK_EERKSK_lbbbEUlllE0_EEPmJS9_EEE10hipError_tPvRmT3_T4_T5_T6_T7_T9_mT8_P12ihipStream_tbDpT10_ENKUlT_T0_E_clISt17integral_constantIbLb1EES1A_EEDaS15_S16_EUlS15_E_NS1_11comp_targetILNS1_3genE8ELNS1_11target_archE1030ELNS1_3gpuE2ELNS1_3repE0EEENS1_30default_config_static_selectorELNS0_4arch9wavefront6targetE0EEEvT1_.num_vgpr, 0
	.set _ZN7rocprim17ROCPRIM_400000_NS6detail17trampoline_kernelINS0_14default_configENS1_25partition_config_selectorILNS1_17partition_subalgoE9EllbEEZZNS1_14partition_implILS5_9ELb0ES3_jPlS8_PNS0_10empty_typeENS0_5tupleIJS8_S9_EEENSB_IJS8_SA_EEENS0_18inequality_wrapperIZN2at6native12_GLOBAL__N_124unique_dim_cuda_templateIaEESt5tupleIJNSF_6TensorESK_SK_EERKSK_lbbbEUlllE0_EEPmJS9_EEE10hipError_tPvRmT3_T4_T5_T6_T7_T9_mT8_P12ihipStream_tbDpT10_ENKUlT_T0_E_clISt17integral_constantIbLb1EES1A_EEDaS15_S16_EUlS15_E_NS1_11comp_targetILNS1_3genE8ELNS1_11target_archE1030ELNS1_3gpuE2ELNS1_3repE0EEENS1_30default_config_static_selectorELNS0_4arch9wavefront6targetE0EEEvT1_.num_agpr, 0
	.set _ZN7rocprim17ROCPRIM_400000_NS6detail17trampoline_kernelINS0_14default_configENS1_25partition_config_selectorILNS1_17partition_subalgoE9EllbEEZZNS1_14partition_implILS5_9ELb0ES3_jPlS8_PNS0_10empty_typeENS0_5tupleIJS8_S9_EEENSB_IJS8_SA_EEENS0_18inequality_wrapperIZN2at6native12_GLOBAL__N_124unique_dim_cuda_templateIaEESt5tupleIJNSF_6TensorESK_SK_EERKSK_lbbbEUlllE0_EEPmJS9_EEE10hipError_tPvRmT3_T4_T5_T6_T7_T9_mT8_P12ihipStream_tbDpT10_ENKUlT_T0_E_clISt17integral_constantIbLb1EES1A_EEDaS15_S16_EUlS15_E_NS1_11comp_targetILNS1_3genE8ELNS1_11target_archE1030ELNS1_3gpuE2ELNS1_3repE0EEENS1_30default_config_static_selectorELNS0_4arch9wavefront6targetE0EEEvT1_.numbered_sgpr, 0
	.set _ZN7rocprim17ROCPRIM_400000_NS6detail17trampoline_kernelINS0_14default_configENS1_25partition_config_selectorILNS1_17partition_subalgoE9EllbEEZZNS1_14partition_implILS5_9ELb0ES3_jPlS8_PNS0_10empty_typeENS0_5tupleIJS8_S9_EEENSB_IJS8_SA_EEENS0_18inequality_wrapperIZN2at6native12_GLOBAL__N_124unique_dim_cuda_templateIaEESt5tupleIJNSF_6TensorESK_SK_EERKSK_lbbbEUlllE0_EEPmJS9_EEE10hipError_tPvRmT3_T4_T5_T6_T7_T9_mT8_P12ihipStream_tbDpT10_ENKUlT_T0_E_clISt17integral_constantIbLb1EES1A_EEDaS15_S16_EUlS15_E_NS1_11comp_targetILNS1_3genE8ELNS1_11target_archE1030ELNS1_3gpuE2ELNS1_3repE0EEENS1_30default_config_static_selectorELNS0_4arch9wavefront6targetE0EEEvT1_.num_named_barrier, 0
	.set _ZN7rocprim17ROCPRIM_400000_NS6detail17trampoline_kernelINS0_14default_configENS1_25partition_config_selectorILNS1_17partition_subalgoE9EllbEEZZNS1_14partition_implILS5_9ELb0ES3_jPlS8_PNS0_10empty_typeENS0_5tupleIJS8_S9_EEENSB_IJS8_SA_EEENS0_18inequality_wrapperIZN2at6native12_GLOBAL__N_124unique_dim_cuda_templateIaEESt5tupleIJNSF_6TensorESK_SK_EERKSK_lbbbEUlllE0_EEPmJS9_EEE10hipError_tPvRmT3_T4_T5_T6_T7_T9_mT8_P12ihipStream_tbDpT10_ENKUlT_T0_E_clISt17integral_constantIbLb1EES1A_EEDaS15_S16_EUlS15_E_NS1_11comp_targetILNS1_3genE8ELNS1_11target_archE1030ELNS1_3gpuE2ELNS1_3repE0EEENS1_30default_config_static_selectorELNS0_4arch9wavefront6targetE0EEEvT1_.private_seg_size, 0
	.set _ZN7rocprim17ROCPRIM_400000_NS6detail17trampoline_kernelINS0_14default_configENS1_25partition_config_selectorILNS1_17partition_subalgoE9EllbEEZZNS1_14partition_implILS5_9ELb0ES3_jPlS8_PNS0_10empty_typeENS0_5tupleIJS8_S9_EEENSB_IJS8_SA_EEENS0_18inequality_wrapperIZN2at6native12_GLOBAL__N_124unique_dim_cuda_templateIaEESt5tupleIJNSF_6TensorESK_SK_EERKSK_lbbbEUlllE0_EEPmJS9_EEE10hipError_tPvRmT3_T4_T5_T6_T7_T9_mT8_P12ihipStream_tbDpT10_ENKUlT_T0_E_clISt17integral_constantIbLb1EES1A_EEDaS15_S16_EUlS15_E_NS1_11comp_targetILNS1_3genE8ELNS1_11target_archE1030ELNS1_3gpuE2ELNS1_3repE0EEENS1_30default_config_static_selectorELNS0_4arch9wavefront6targetE0EEEvT1_.uses_vcc, 0
	.set _ZN7rocprim17ROCPRIM_400000_NS6detail17trampoline_kernelINS0_14default_configENS1_25partition_config_selectorILNS1_17partition_subalgoE9EllbEEZZNS1_14partition_implILS5_9ELb0ES3_jPlS8_PNS0_10empty_typeENS0_5tupleIJS8_S9_EEENSB_IJS8_SA_EEENS0_18inequality_wrapperIZN2at6native12_GLOBAL__N_124unique_dim_cuda_templateIaEESt5tupleIJNSF_6TensorESK_SK_EERKSK_lbbbEUlllE0_EEPmJS9_EEE10hipError_tPvRmT3_T4_T5_T6_T7_T9_mT8_P12ihipStream_tbDpT10_ENKUlT_T0_E_clISt17integral_constantIbLb1EES1A_EEDaS15_S16_EUlS15_E_NS1_11comp_targetILNS1_3genE8ELNS1_11target_archE1030ELNS1_3gpuE2ELNS1_3repE0EEENS1_30default_config_static_selectorELNS0_4arch9wavefront6targetE0EEEvT1_.uses_flat_scratch, 0
	.set _ZN7rocprim17ROCPRIM_400000_NS6detail17trampoline_kernelINS0_14default_configENS1_25partition_config_selectorILNS1_17partition_subalgoE9EllbEEZZNS1_14partition_implILS5_9ELb0ES3_jPlS8_PNS0_10empty_typeENS0_5tupleIJS8_S9_EEENSB_IJS8_SA_EEENS0_18inequality_wrapperIZN2at6native12_GLOBAL__N_124unique_dim_cuda_templateIaEESt5tupleIJNSF_6TensorESK_SK_EERKSK_lbbbEUlllE0_EEPmJS9_EEE10hipError_tPvRmT3_T4_T5_T6_T7_T9_mT8_P12ihipStream_tbDpT10_ENKUlT_T0_E_clISt17integral_constantIbLb1EES1A_EEDaS15_S16_EUlS15_E_NS1_11comp_targetILNS1_3genE8ELNS1_11target_archE1030ELNS1_3gpuE2ELNS1_3repE0EEENS1_30default_config_static_selectorELNS0_4arch9wavefront6targetE0EEEvT1_.has_dyn_sized_stack, 0
	.set _ZN7rocprim17ROCPRIM_400000_NS6detail17trampoline_kernelINS0_14default_configENS1_25partition_config_selectorILNS1_17partition_subalgoE9EllbEEZZNS1_14partition_implILS5_9ELb0ES3_jPlS8_PNS0_10empty_typeENS0_5tupleIJS8_S9_EEENSB_IJS8_SA_EEENS0_18inequality_wrapperIZN2at6native12_GLOBAL__N_124unique_dim_cuda_templateIaEESt5tupleIJNSF_6TensorESK_SK_EERKSK_lbbbEUlllE0_EEPmJS9_EEE10hipError_tPvRmT3_T4_T5_T6_T7_T9_mT8_P12ihipStream_tbDpT10_ENKUlT_T0_E_clISt17integral_constantIbLb1EES1A_EEDaS15_S16_EUlS15_E_NS1_11comp_targetILNS1_3genE8ELNS1_11target_archE1030ELNS1_3gpuE2ELNS1_3repE0EEENS1_30default_config_static_selectorELNS0_4arch9wavefront6targetE0EEEvT1_.has_recursion, 0
	.set _ZN7rocprim17ROCPRIM_400000_NS6detail17trampoline_kernelINS0_14default_configENS1_25partition_config_selectorILNS1_17partition_subalgoE9EllbEEZZNS1_14partition_implILS5_9ELb0ES3_jPlS8_PNS0_10empty_typeENS0_5tupleIJS8_S9_EEENSB_IJS8_SA_EEENS0_18inequality_wrapperIZN2at6native12_GLOBAL__N_124unique_dim_cuda_templateIaEESt5tupleIJNSF_6TensorESK_SK_EERKSK_lbbbEUlllE0_EEPmJS9_EEE10hipError_tPvRmT3_T4_T5_T6_T7_T9_mT8_P12ihipStream_tbDpT10_ENKUlT_T0_E_clISt17integral_constantIbLb1EES1A_EEDaS15_S16_EUlS15_E_NS1_11comp_targetILNS1_3genE8ELNS1_11target_archE1030ELNS1_3gpuE2ELNS1_3repE0EEENS1_30default_config_static_selectorELNS0_4arch9wavefront6targetE0EEEvT1_.has_indirect_call, 0
	.section	.AMDGPU.csdata,"",@progbits
; Kernel info:
; codeLenInByte = 0
; TotalNumSgprs: 0
; NumVgprs: 0
; ScratchSize: 0
; MemoryBound: 0
; FloatMode: 240
; IeeeMode: 1
; LDSByteSize: 0 bytes/workgroup (compile time only)
; SGPRBlocks: 0
; VGPRBlocks: 0
; NumSGPRsForWavesPerEU: 1
; NumVGPRsForWavesPerEU: 1
; NamedBarCnt: 0
; Occupancy: 16
; WaveLimiterHint : 0
; COMPUTE_PGM_RSRC2:SCRATCH_EN: 0
; COMPUTE_PGM_RSRC2:USER_SGPR: 2
; COMPUTE_PGM_RSRC2:TRAP_HANDLER: 0
; COMPUTE_PGM_RSRC2:TGID_X_EN: 1
; COMPUTE_PGM_RSRC2:TGID_Y_EN: 0
; COMPUTE_PGM_RSRC2:TGID_Z_EN: 0
; COMPUTE_PGM_RSRC2:TIDIG_COMP_CNT: 0
	.section	.text._ZN7rocprim17ROCPRIM_400000_NS6detail17trampoline_kernelINS0_14default_configENS1_25partition_config_selectorILNS1_17partition_subalgoE9EllbEEZZNS1_14partition_implILS5_9ELb0ES3_jPlS8_PNS0_10empty_typeENS0_5tupleIJS8_S9_EEENSB_IJS8_SA_EEENS0_18inequality_wrapperIZN2at6native12_GLOBAL__N_124unique_dim_cuda_templateIaEESt5tupleIJNSF_6TensorESK_SK_EERKSK_lbbbEUlllE0_EEPmJS9_EEE10hipError_tPvRmT3_T4_T5_T6_T7_T9_mT8_P12ihipStream_tbDpT10_ENKUlT_T0_E_clISt17integral_constantIbLb1EES19_IbLb0EEEEDaS15_S16_EUlS15_E_NS1_11comp_targetILNS1_3genE0ELNS1_11target_archE4294967295ELNS1_3gpuE0ELNS1_3repE0EEENS1_30default_config_static_selectorELNS0_4arch9wavefront6targetE0EEEvT1_,"axG",@progbits,_ZN7rocprim17ROCPRIM_400000_NS6detail17trampoline_kernelINS0_14default_configENS1_25partition_config_selectorILNS1_17partition_subalgoE9EllbEEZZNS1_14partition_implILS5_9ELb0ES3_jPlS8_PNS0_10empty_typeENS0_5tupleIJS8_S9_EEENSB_IJS8_SA_EEENS0_18inequality_wrapperIZN2at6native12_GLOBAL__N_124unique_dim_cuda_templateIaEESt5tupleIJNSF_6TensorESK_SK_EERKSK_lbbbEUlllE0_EEPmJS9_EEE10hipError_tPvRmT3_T4_T5_T6_T7_T9_mT8_P12ihipStream_tbDpT10_ENKUlT_T0_E_clISt17integral_constantIbLb1EES19_IbLb0EEEEDaS15_S16_EUlS15_E_NS1_11comp_targetILNS1_3genE0ELNS1_11target_archE4294967295ELNS1_3gpuE0ELNS1_3repE0EEENS1_30default_config_static_selectorELNS0_4arch9wavefront6targetE0EEEvT1_,comdat
	.globl	_ZN7rocprim17ROCPRIM_400000_NS6detail17trampoline_kernelINS0_14default_configENS1_25partition_config_selectorILNS1_17partition_subalgoE9EllbEEZZNS1_14partition_implILS5_9ELb0ES3_jPlS8_PNS0_10empty_typeENS0_5tupleIJS8_S9_EEENSB_IJS8_SA_EEENS0_18inequality_wrapperIZN2at6native12_GLOBAL__N_124unique_dim_cuda_templateIaEESt5tupleIJNSF_6TensorESK_SK_EERKSK_lbbbEUlllE0_EEPmJS9_EEE10hipError_tPvRmT3_T4_T5_T6_T7_T9_mT8_P12ihipStream_tbDpT10_ENKUlT_T0_E_clISt17integral_constantIbLb1EES19_IbLb0EEEEDaS15_S16_EUlS15_E_NS1_11comp_targetILNS1_3genE0ELNS1_11target_archE4294967295ELNS1_3gpuE0ELNS1_3repE0EEENS1_30default_config_static_selectorELNS0_4arch9wavefront6targetE0EEEvT1_ ; -- Begin function _ZN7rocprim17ROCPRIM_400000_NS6detail17trampoline_kernelINS0_14default_configENS1_25partition_config_selectorILNS1_17partition_subalgoE9EllbEEZZNS1_14partition_implILS5_9ELb0ES3_jPlS8_PNS0_10empty_typeENS0_5tupleIJS8_S9_EEENSB_IJS8_SA_EEENS0_18inequality_wrapperIZN2at6native12_GLOBAL__N_124unique_dim_cuda_templateIaEESt5tupleIJNSF_6TensorESK_SK_EERKSK_lbbbEUlllE0_EEPmJS9_EEE10hipError_tPvRmT3_T4_T5_T6_T7_T9_mT8_P12ihipStream_tbDpT10_ENKUlT_T0_E_clISt17integral_constantIbLb1EES19_IbLb0EEEEDaS15_S16_EUlS15_E_NS1_11comp_targetILNS1_3genE0ELNS1_11target_archE4294967295ELNS1_3gpuE0ELNS1_3repE0EEENS1_30default_config_static_selectorELNS0_4arch9wavefront6targetE0EEEvT1_
	.p2align	8
	.type	_ZN7rocprim17ROCPRIM_400000_NS6detail17trampoline_kernelINS0_14default_configENS1_25partition_config_selectorILNS1_17partition_subalgoE9EllbEEZZNS1_14partition_implILS5_9ELb0ES3_jPlS8_PNS0_10empty_typeENS0_5tupleIJS8_S9_EEENSB_IJS8_SA_EEENS0_18inequality_wrapperIZN2at6native12_GLOBAL__N_124unique_dim_cuda_templateIaEESt5tupleIJNSF_6TensorESK_SK_EERKSK_lbbbEUlllE0_EEPmJS9_EEE10hipError_tPvRmT3_T4_T5_T6_T7_T9_mT8_P12ihipStream_tbDpT10_ENKUlT_T0_E_clISt17integral_constantIbLb1EES19_IbLb0EEEEDaS15_S16_EUlS15_E_NS1_11comp_targetILNS1_3genE0ELNS1_11target_archE4294967295ELNS1_3gpuE0ELNS1_3repE0EEENS1_30default_config_static_selectorELNS0_4arch9wavefront6targetE0EEEvT1_,@function
_ZN7rocprim17ROCPRIM_400000_NS6detail17trampoline_kernelINS0_14default_configENS1_25partition_config_selectorILNS1_17partition_subalgoE9EllbEEZZNS1_14partition_implILS5_9ELb0ES3_jPlS8_PNS0_10empty_typeENS0_5tupleIJS8_S9_EEENSB_IJS8_SA_EEENS0_18inequality_wrapperIZN2at6native12_GLOBAL__N_124unique_dim_cuda_templateIaEESt5tupleIJNSF_6TensorESK_SK_EERKSK_lbbbEUlllE0_EEPmJS9_EEE10hipError_tPvRmT3_T4_T5_T6_T7_T9_mT8_P12ihipStream_tbDpT10_ENKUlT_T0_E_clISt17integral_constantIbLb1EES19_IbLb0EEEEDaS15_S16_EUlS15_E_NS1_11comp_targetILNS1_3genE0ELNS1_11target_archE4294967295ELNS1_3gpuE0ELNS1_3repE0EEENS1_30default_config_static_selectorELNS0_4arch9wavefront6targetE0EEEvT1_: ; @_ZN7rocprim17ROCPRIM_400000_NS6detail17trampoline_kernelINS0_14default_configENS1_25partition_config_selectorILNS1_17partition_subalgoE9EllbEEZZNS1_14partition_implILS5_9ELb0ES3_jPlS8_PNS0_10empty_typeENS0_5tupleIJS8_S9_EEENSB_IJS8_SA_EEENS0_18inequality_wrapperIZN2at6native12_GLOBAL__N_124unique_dim_cuda_templateIaEESt5tupleIJNSF_6TensorESK_SK_EERKSK_lbbbEUlllE0_EEPmJS9_EEE10hipError_tPvRmT3_T4_T5_T6_T7_T9_mT8_P12ihipStream_tbDpT10_ENKUlT_T0_E_clISt17integral_constantIbLb1EES19_IbLb0EEEEDaS15_S16_EUlS15_E_NS1_11comp_targetILNS1_3genE0ELNS1_11target_archE4294967295ELNS1_3gpuE0ELNS1_3repE0EEENS1_30default_config_static_selectorELNS0_4arch9wavefront6targetE0EEEvT1_
; %bb.0:
	s_endpgm
	.section	.rodata,"a",@progbits
	.p2align	6, 0x0
	.amdhsa_kernel _ZN7rocprim17ROCPRIM_400000_NS6detail17trampoline_kernelINS0_14default_configENS1_25partition_config_selectorILNS1_17partition_subalgoE9EllbEEZZNS1_14partition_implILS5_9ELb0ES3_jPlS8_PNS0_10empty_typeENS0_5tupleIJS8_S9_EEENSB_IJS8_SA_EEENS0_18inequality_wrapperIZN2at6native12_GLOBAL__N_124unique_dim_cuda_templateIaEESt5tupleIJNSF_6TensorESK_SK_EERKSK_lbbbEUlllE0_EEPmJS9_EEE10hipError_tPvRmT3_T4_T5_T6_T7_T9_mT8_P12ihipStream_tbDpT10_ENKUlT_T0_E_clISt17integral_constantIbLb1EES19_IbLb0EEEEDaS15_S16_EUlS15_E_NS1_11comp_targetILNS1_3genE0ELNS1_11target_archE4294967295ELNS1_3gpuE0ELNS1_3repE0EEENS1_30default_config_static_selectorELNS0_4arch9wavefront6targetE0EEEvT1_
		.amdhsa_group_segment_fixed_size 0
		.amdhsa_private_segment_fixed_size 0
		.amdhsa_kernarg_size 120
		.amdhsa_user_sgpr_count 2
		.amdhsa_user_sgpr_dispatch_ptr 0
		.amdhsa_user_sgpr_queue_ptr 0
		.amdhsa_user_sgpr_kernarg_segment_ptr 1
		.amdhsa_user_sgpr_dispatch_id 0
		.amdhsa_user_sgpr_kernarg_preload_length 0
		.amdhsa_user_sgpr_kernarg_preload_offset 0
		.amdhsa_user_sgpr_private_segment_size 0
		.amdhsa_wavefront_size32 1
		.amdhsa_uses_dynamic_stack 0
		.amdhsa_enable_private_segment 0
		.amdhsa_system_sgpr_workgroup_id_x 1
		.amdhsa_system_sgpr_workgroup_id_y 0
		.amdhsa_system_sgpr_workgroup_id_z 0
		.amdhsa_system_sgpr_workgroup_info 0
		.amdhsa_system_vgpr_workitem_id 0
		.amdhsa_next_free_vgpr 1
		.amdhsa_next_free_sgpr 1
		.amdhsa_named_barrier_count 0
		.amdhsa_reserve_vcc 0
		.amdhsa_float_round_mode_32 0
		.amdhsa_float_round_mode_16_64 0
		.amdhsa_float_denorm_mode_32 3
		.amdhsa_float_denorm_mode_16_64 3
		.amdhsa_fp16_overflow 0
		.amdhsa_memory_ordered 1
		.amdhsa_forward_progress 1
		.amdhsa_inst_pref_size 1
		.amdhsa_round_robin_scheduling 0
		.amdhsa_exception_fp_ieee_invalid_op 0
		.amdhsa_exception_fp_denorm_src 0
		.amdhsa_exception_fp_ieee_div_zero 0
		.amdhsa_exception_fp_ieee_overflow 0
		.amdhsa_exception_fp_ieee_underflow 0
		.amdhsa_exception_fp_ieee_inexact 0
		.amdhsa_exception_int_div_zero 0
	.end_amdhsa_kernel
	.section	.text._ZN7rocprim17ROCPRIM_400000_NS6detail17trampoline_kernelINS0_14default_configENS1_25partition_config_selectorILNS1_17partition_subalgoE9EllbEEZZNS1_14partition_implILS5_9ELb0ES3_jPlS8_PNS0_10empty_typeENS0_5tupleIJS8_S9_EEENSB_IJS8_SA_EEENS0_18inequality_wrapperIZN2at6native12_GLOBAL__N_124unique_dim_cuda_templateIaEESt5tupleIJNSF_6TensorESK_SK_EERKSK_lbbbEUlllE0_EEPmJS9_EEE10hipError_tPvRmT3_T4_T5_T6_T7_T9_mT8_P12ihipStream_tbDpT10_ENKUlT_T0_E_clISt17integral_constantIbLb1EES19_IbLb0EEEEDaS15_S16_EUlS15_E_NS1_11comp_targetILNS1_3genE0ELNS1_11target_archE4294967295ELNS1_3gpuE0ELNS1_3repE0EEENS1_30default_config_static_selectorELNS0_4arch9wavefront6targetE0EEEvT1_,"axG",@progbits,_ZN7rocprim17ROCPRIM_400000_NS6detail17trampoline_kernelINS0_14default_configENS1_25partition_config_selectorILNS1_17partition_subalgoE9EllbEEZZNS1_14partition_implILS5_9ELb0ES3_jPlS8_PNS0_10empty_typeENS0_5tupleIJS8_S9_EEENSB_IJS8_SA_EEENS0_18inequality_wrapperIZN2at6native12_GLOBAL__N_124unique_dim_cuda_templateIaEESt5tupleIJNSF_6TensorESK_SK_EERKSK_lbbbEUlllE0_EEPmJS9_EEE10hipError_tPvRmT3_T4_T5_T6_T7_T9_mT8_P12ihipStream_tbDpT10_ENKUlT_T0_E_clISt17integral_constantIbLb1EES19_IbLb0EEEEDaS15_S16_EUlS15_E_NS1_11comp_targetILNS1_3genE0ELNS1_11target_archE4294967295ELNS1_3gpuE0ELNS1_3repE0EEENS1_30default_config_static_selectorELNS0_4arch9wavefront6targetE0EEEvT1_,comdat
.Lfunc_end367:
	.size	_ZN7rocprim17ROCPRIM_400000_NS6detail17trampoline_kernelINS0_14default_configENS1_25partition_config_selectorILNS1_17partition_subalgoE9EllbEEZZNS1_14partition_implILS5_9ELb0ES3_jPlS8_PNS0_10empty_typeENS0_5tupleIJS8_S9_EEENSB_IJS8_SA_EEENS0_18inequality_wrapperIZN2at6native12_GLOBAL__N_124unique_dim_cuda_templateIaEESt5tupleIJNSF_6TensorESK_SK_EERKSK_lbbbEUlllE0_EEPmJS9_EEE10hipError_tPvRmT3_T4_T5_T6_T7_T9_mT8_P12ihipStream_tbDpT10_ENKUlT_T0_E_clISt17integral_constantIbLb1EES19_IbLb0EEEEDaS15_S16_EUlS15_E_NS1_11comp_targetILNS1_3genE0ELNS1_11target_archE4294967295ELNS1_3gpuE0ELNS1_3repE0EEENS1_30default_config_static_selectorELNS0_4arch9wavefront6targetE0EEEvT1_, .Lfunc_end367-_ZN7rocprim17ROCPRIM_400000_NS6detail17trampoline_kernelINS0_14default_configENS1_25partition_config_selectorILNS1_17partition_subalgoE9EllbEEZZNS1_14partition_implILS5_9ELb0ES3_jPlS8_PNS0_10empty_typeENS0_5tupleIJS8_S9_EEENSB_IJS8_SA_EEENS0_18inequality_wrapperIZN2at6native12_GLOBAL__N_124unique_dim_cuda_templateIaEESt5tupleIJNSF_6TensorESK_SK_EERKSK_lbbbEUlllE0_EEPmJS9_EEE10hipError_tPvRmT3_T4_T5_T6_T7_T9_mT8_P12ihipStream_tbDpT10_ENKUlT_T0_E_clISt17integral_constantIbLb1EES19_IbLb0EEEEDaS15_S16_EUlS15_E_NS1_11comp_targetILNS1_3genE0ELNS1_11target_archE4294967295ELNS1_3gpuE0ELNS1_3repE0EEENS1_30default_config_static_selectorELNS0_4arch9wavefront6targetE0EEEvT1_
                                        ; -- End function
	.set _ZN7rocprim17ROCPRIM_400000_NS6detail17trampoline_kernelINS0_14default_configENS1_25partition_config_selectorILNS1_17partition_subalgoE9EllbEEZZNS1_14partition_implILS5_9ELb0ES3_jPlS8_PNS0_10empty_typeENS0_5tupleIJS8_S9_EEENSB_IJS8_SA_EEENS0_18inequality_wrapperIZN2at6native12_GLOBAL__N_124unique_dim_cuda_templateIaEESt5tupleIJNSF_6TensorESK_SK_EERKSK_lbbbEUlllE0_EEPmJS9_EEE10hipError_tPvRmT3_T4_T5_T6_T7_T9_mT8_P12ihipStream_tbDpT10_ENKUlT_T0_E_clISt17integral_constantIbLb1EES19_IbLb0EEEEDaS15_S16_EUlS15_E_NS1_11comp_targetILNS1_3genE0ELNS1_11target_archE4294967295ELNS1_3gpuE0ELNS1_3repE0EEENS1_30default_config_static_selectorELNS0_4arch9wavefront6targetE0EEEvT1_.num_vgpr, 0
	.set _ZN7rocprim17ROCPRIM_400000_NS6detail17trampoline_kernelINS0_14default_configENS1_25partition_config_selectorILNS1_17partition_subalgoE9EllbEEZZNS1_14partition_implILS5_9ELb0ES3_jPlS8_PNS0_10empty_typeENS0_5tupleIJS8_S9_EEENSB_IJS8_SA_EEENS0_18inequality_wrapperIZN2at6native12_GLOBAL__N_124unique_dim_cuda_templateIaEESt5tupleIJNSF_6TensorESK_SK_EERKSK_lbbbEUlllE0_EEPmJS9_EEE10hipError_tPvRmT3_T4_T5_T6_T7_T9_mT8_P12ihipStream_tbDpT10_ENKUlT_T0_E_clISt17integral_constantIbLb1EES19_IbLb0EEEEDaS15_S16_EUlS15_E_NS1_11comp_targetILNS1_3genE0ELNS1_11target_archE4294967295ELNS1_3gpuE0ELNS1_3repE0EEENS1_30default_config_static_selectorELNS0_4arch9wavefront6targetE0EEEvT1_.num_agpr, 0
	.set _ZN7rocprim17ROCPRIM_400000_NS6detail17trampoline_kernelINS0_14default_configENS1_25partition_config_selectorILNS1_17partition_subalgoE9EllbEEZZNS1_14partition_implILS5_9ELb0ES3_jPlS8_PNS0_10empty_typeENS0_5tupleIJS8_S9_EEENSB_IJS8_SA_EEENS0_18inequality_wrapperIZN2at6native12_GLOBAL__N_124unique_dim_cuda_templateIaEESt5tupleIJNSF_6TensorESK_SK_EERKSK_lbbbEUlllE0_EEPmJS9_EEE10hipError_tPvRmT3_T4_T5_T6_T7_T9_mT8_P12ihipStream_tbDpT10_ENKUlT_T0_E_clISt17integral_constantIbLb1EES19_IbLb0EEEEDaS15_S16_EUlS15_E_NS1_11comp_targetILNS1_3genE0ELNS1_11target_archE4294967295ELNS1_3gpuE0ELNS1_3repE0EEENS1_30default_config_static_selectorELNS0_4arch9wavefront6targetE0EEEvT1_.numbered_sgpr, 0
	.set _ZN7rocprim17ROCPRIM_400000_NS6detail17trampoline_kernelINS0_14default_configENS1_25partition_config_selectorILNS1_17partition_subalgoE9EllbEEZZNS1_14partition_implILS5_9ELb0ES3_jPlS8_PNS0_10empty_typeENS0_5tupleIJS8_S9_EEENSB_IJS8_SA_EEENS0_18inequality_wrapperIZN2at6native12_GLOBAL__N_124unique_dim_cuda_templateIaEESt5tupleIJNSF_6TensorESK_SK_EERKSK_lbbbEUlllE0_EEPmJS9_EEE10hipError_tPvRmT3_T4_T5_T6_T7_T9_mT8_P12ihipStream_tbDpT10_ENKUlT_T0_E_clISt17integral_constantIbLb1EES19_IbLb0EEEEDaS15_S16_EUlS15_E_NS1_11comp_targetILNS1_3genE0ELNS1_11target_archE4294967295ELNS1_3gpuE0ELNS1_3repE0EEENS1_30default_config_static_selectorELNS0_4arch9wavefront6targetE0EEEvT1_.num_named_barrier, 0
	.set _ZN7rocprim17ROCPRIM_400000_NS6detail17trampoline_kernelINS0_14default_configENS1_25partition_config_selectorILNS1_17partition_subalgoE9EllbEEZZNS1_14partition_implILS5_9ELb0ES3_jPlS8_PNS0_10empty_typeENS0_5tupleIJS8_S9_EEENSB_IJS8_SA_EEENS0_18inequality_wrapperIZN2at6native12_GLOBAL__N_124unique_dim_cuda_templateIaEESt5tupleIJNSF_6TensorESK_SK_EERKSK_lbbbEUlllE0_EEPmJS9_EEE10hipError_tPvRmT3_T4_T5_T6_T7_T9_mT8_P12ihipStream_tbDpT10_ENKUlT_T0_E_clISt17integral_constantIbLb1EES19_IbLb0EEEEDaS15_S16_EUlS15_E_NS1_11comp_targetILNS1_3genE0ELNS1_11target_archE4294967295ELNS1_3gpuE0ELNS1_3repE0EEENS1_30default_config_static_selectorELNS0_4arch9wavefront6targetE0EEEvT1_.private_seg_size, 0
	.set _ZN7rocprim17ROCPRIM_400000_NS6detail17trampoline_kernelINS0_14default_configENS1_25partition_config_selectorILNS1_17partition_subalgoE9EllbEEZZNS1_14partition_implILS5_9ELb0ES3_jPlS8_PNS0_10empty_typeENS0_5tupleIJS8_S9_EEENSB_IJS8_SA_EEENS0_18inequality_wrapperIZN2at6native12_GLOBAL__N_124unique_dim_cuda_templateIaEESt5tupleIJNSF_6TensorESK_SK_EERKSK_lbbbEUlllE0_EEPmJS9_EEE10hipError_tPvRmT3_T4_T5_T6_T7_T9_mT8_P12ihipStream_tbDpT10_ENKUlT_T0_E_clISt17integral_constantIbLb1EES19_IbLb0EEEEDaS15_S16_EUlS15_E_NS1_11comp_targetILNS1_3genE0ELNS1_11target_archE4294967295ELNS1_3gpuE0ELNS1_3repE0EEENS1_30default_config_static_selectorELNS0_4arch9wavefront6targetE0EEEvT1_.uses_vcc, 0
	.set _ZN7rocprim17ROCPRIM_400000_NS6detail17trampoline_kernelINS0_14default_configENS1_25partition_config_selectorILNS1_17partition_subalgoE9EllbEEZZNS1_14partition_implILS5_9ELb0ES3_jPlS8_PNS0_10empty_typeENS0_5tupleIJS8_S9_EEENSB_IJS8_SA_EEENS0_18inequality_wrapperIZN2at6native12_GLOBAL__N_124unique_dim_cuda_templateIaEESt5tupleIJNSF_6TensorESK_SK_EERKSK_lbbbEUlllE0_EEPmJS9_EEE10hipError_tPvRmT3_T4_T5_T6_T7_T9_mT8_P12ihipStream_tbDpT10_ENKUlT_T0_E_clISt17integral_constantIbLb1EES19_IbLb0EEEEDaS15_S16_EUlS15_E_NS1_11comp_targetILNS1_3genE0ELNS1_11target_archE4294967295ELNS1_3gpuE0ELNS1_3repE0EEENS1_30default_config_static_selectorELNS0_4arch9wavefront6targetE0EEEvT1_.uses_flat_scratch, 0
	.set _ZN7rocprim17ROCPRIM_400000_NS6detail17trampoline_kernelINS0_14default_configENS1_25partition_config_selectorILNS1_17partition_subalgoE9EllbEEZZNS1_14partition_implILS5_9ELb0ES3_jPlS8_PNS0_10empty_typeENS0_5tupleIJS8_S9_EEENSB_IJS8_SA_EEENS0_18inequality_wrapperIZN2at6native12_GLOBAL__N_124unique_dim_cuda_templateIaEESt5tupleIJNSF_6TensorESK_SK_EERKSK_lbbbEUlllE0_EEPmJS9_EEE10hipError_tPvRmT3_T4_T5_T6_T7_T9_mT8_P12ihipStream_tbDpT10_ENKUlT_T0_E_clISt17integral_constantIbLb1EES19_IbLb0EEEEDaS15_S16_EUlS15_E_NS1_11comp_targetILNS1_3genE0ELNS1_11target_archE4294967295ELNS1_3gpuE0ELNS1_3repE0EEENS1_30default_config_static_selectorELNS0_4arch9wavefront6targetE0EEEvT1_.has_dyn_sized_stack, 0
	.set _ZN7rocprim17ROCPRIM_400000_NS6detail17trampoline_kernelINS0_14default_configENS1_25partition_config_selectorILNS1_17partition_subalgoE9EllbEEZZNS1_14partition_implILS5_9ELb0ES3_jPlS8_PNS0_10empty_typeENS0_5tupleIJS8_S9_EEENSB_IJS8_SA_EEENS0_18inequality_wrapperIZN2at6native12_GLOBAL__N_124unique_dim_cuda_templateIaEESt5tupleIJNSF_6TensorESK_SK_EERKSK_lbbbEUlllE0_EEPmJS9_EEE10hipError_tPvRmT3_T4_T5_T6_T7_T9_mT8_P12ihipStream_tbDpT10_ENKUlT_T0_E_clISt17integral_constantIbLb1EES19_IbLb0EEEEDaS15_S16_EUlS15_E_NS1_11comp_targetILNS1_3genE0ELNS1_11target_archE4294967295ELNS1_3gpuE0ELNS1_3repE0EEENS1_30default_config_static_selectorELNS0_4arch9wavefront6targetE0EEEvT1_.has_recursion, 0
	.set _ZN7rocprim17ROCPRIM_400000_NS6detail17trampoline_kernelINS0_14default_configENS1_25partition_config_selectorILNS1_17partition_subalgoE9EllbEEZZNS1_14partition_implILS5_9ELb0ES3_jPlS8_PNS0_10empty_typeENS0_5tupleIJS8_S9_EEENSB_IJS8_SA_EEENS0_18inequality_wrapperIZN2at6native12_GLOBAL__N_124unique_dim_cuda_templateIaEESt5tupleIJNSF_6TensorESK_SK_EERKSK_lbbbEUlllE0_EEPmJS9_EEE10hipError_tPvRmT3_T4_T5_T6_T7_T9_mT8_P12ihipStream_tbDpT10_ENKUlT_T0_E_clISt17integral_constantIbLb1EES19_IbLb0EEEEDaS15_S16_EUlS15_E_NS1_11comp_targetILNS1_3genE0ELNS1_11target_archE4294967295ELNS1_3gpuE0ELNS1_3repE0EEENS1_30default_config_static_selectorELNS0_4arch9wavefront6targetE0EEEvT1_.has_indirect_call, 0
	.section	.AMDGPU.csdata,"",@progbits
; Kernel info:
; codeLenInByte = 4
; TotalNumSgprs: 0
; NumVgprs: 0
; ScratchSize: 0
; MemoryBound: 0
; FloatMode: 240
; IeeeMode: 1
; LDSByteSize: 0 bytes/workgroup (compile time only)
; SGPRBlocks: 0
; VGPRBlocks: 0
; NumSGPRsForWavesPerEU: 1
; NumVGPRsForWavesPerEU: 1
; NamedBarCnt: 0
; Occupancy: 16
; WaveLimiterHint : 0
; COMPUTE_PGM_RSRC2:SCRATCH_EN: 0
; COMPUTE_PGM_RSRC2:USER_SGPR: 2
; COMPUTE_PGM_RSRC2:TRAP_HANDLER: 0
; COMPUTE_PGM_RSRC2:TGID_X_EN: 1
; COMPUTE_PGM_RSRC2:TGID_Y_EN: 0
; COMPUTE_PGM_RSRC2:TGID_Z_EN: 0
; COMPUTE_PGM_RSRC2:TIDIG_COMP_CNT: 0
	.section	.text._ZN7rocprim17ROCPRIM_400000_NS6detail17trampoline_kernelINS0_14default_configENS1_25partition_config_selectorILNS1_17partition_subalgoE9EllbEEZZNS1_14partition_implILS5_9ELb0ES3_jPlS8_PNS0_10empty_typeENS0_5tupleIJS8_S9_EEENSB_IJS8_SA_EEENS0_18inequality_wrapperIZN2at6native12_GLOBAL__N_124unique_dim_cuda_templateIaEESt5tupleIJNSF_6TensorESK_SK_EERKSK_lbbbEUlllE0_EEPmJS9_EEE10hipError_tPvRmT3_T4_T5_T6_T7_T9_mT8_P12ihipStream_tbDpT10_ENKUlT_T0_E_clISt17integral_constantIbLb1EES19_IbLb0EEEEDaS15_S16_EUlS15_E_NS1_11comp_targetILNS1_3genE5ELNS1_11target_archE942ELNS1_3gpuE9ELNS1_3repE0EEENS1_30default_config_static_selectorELNS0_4arch9wavefront6targetE0EEEvT1_,"axG",@progbits,_ZN7rocprim17ROCPRIM_400000_NS6detail17trampoline_kernelINS0_14default_configENS1_25partition_config_selectorILNS1_17partition_subalgoE9EllbEEZZNS1_14partition_implILS5_9ELb0ES3_jPlS8_PNS0_10empty_typeENS0_5tupleIJS8_S9_EEENSB_IJS8_SA_EEENS0_18inequality_wrapperIZN2at6native12_GLOBAL__N_124unique_dim_cuda_templateIaEESt5tupleIJNSF_6TensorESK_SK_EERKSK_lbbbEUlllE0_EEPmJS9_EEE10hipError_tPvRmT3_T4_T5_T6_T7_T9_mT8_P12ihipStream_tbDpT10_ENKUlT_T0_E_clISt17integral_constantIbLb1EES19_IbLb0EEEEDaS15_S16_EUlS15_E_NS1_11comp_targetILNS1_3genE5ELNS1_11target_archE942ELNS1_3gpuE9ELNS1_3repE0EEENS1_30default_config_static_selectorELNS0_4arch9wavefront6targetE0EEEvT1_,comdat
	.globl	_ZN7rocprim17ROCPRIM_400000_NS6detail17trampoline_kernelINS0_14default_configENS1_25partition_config_selectorILNS1_17partition_subalgoE9EllbEEZZNS1_14partition_implILS5_9ELb0ES3_jPlS8_PNS0_10empty_typeENS0_5tupleIJS8_S9_EEENSB_IJS8_SA_EEENS0_18inequality_wrapperIZN2at6native12_GLOBAL__N_124unique_dim_cuda_templateIaEESt5tupleIJNSF_6TensorESK_SK_EERKSK_lbbbEUlllE0_EEPmJS9_EEE10hipError_tPvRmT3_T4_T5_T6_T7_T9_mT8_P12ihipStream_tbDpT10_ENKUlT_T0_E_clISt17integral_constantIbLb1EES19_IbLb0EEEEDaS15_S16_EUlS15_E_NS1_11comp_targetILNS1_3genE5ELNS1_11target_archE942ELNS1_3gpuE9ELNS1_3repE0EEENS1_30default_config_static_selectorELNS0_4arch9wavefront6targetE0EEEvT1_ ; -- Begin function _ZN7rocprim17ROCPRIM_400000_NS6detail17trampoline_kernelINS0_14default_configENS1_25partition_config_selectorILNS1_17partition_subalgoE9EllbEEZZNS1_14partition_implILS5_9ELb0ES3_jPlS8_PNS0_10empty_typeENS0_5tupleIJS8_S9_EEENSB_IJS8_SA_EEENS0_18inequality_wrapperIZN2at6native12_GLOBAL__N_124unique_dim_cuda_templateIaEESt5tupleIJNSF_6TensorESK_SK_EERKSK_lbbbEUlllE0_EEPmJS9_EEE10hipError_tPvRmT3_T4_T5_T6_T7_T9_mT8_P12ihipStream_tbDpT10_ENKUlT_T0_E_clISt17integral_constantIbLb1EES19_IbLb0EEEEDaS15_S16_EUlS15_E_NS1_11comp_targetILNS1_3genE5ELNS1_11target_archE942ELNS1_3gpuE9ELNS1_3repE0EEENS1_30default_config_static_selectorELNS0_4arch9wavefront6targetE0EEEvT1_
	.p2align	8
	.type	_ZN7rocprim17ROCPRIM_400000_NS6detail17trampoline_kernelINS0_14default_configENS1_25partition_config_selectorILNS1_17partition_subalgoE9EllbEEZZNS1_14partition_implILS5_9ELb0ES3_jPlS8_PNS0_10empty_typeENS0_5tupleIJS8_S9_EEENSB_IJS8_SA_EEENS0_18inequality_wrapperIZN2at6native12_GLOBAL__N_124unique_dim_cuda_templateIaEESt5tupleIJNSF_6TensorESK_SK_EERKSK_lbbbEUlllE0_EEPmJS9_EEE10hipError_tPvRmT3_T4_T5_T6_T7_T9_mT8_P12ihipStream_tbDpT10_ENKUlT_T0_E_clISt17integral_constantIbLb1EES19_IbLb0EEEEDaS15_S16_EUlS15_E_NS1_11comp_targetILNS1_3genE5ELNS1_11target_archE942ELNS1_3gpuE9ELNS1_3repE0EEENS1_30default_config_static_selectorELNS0_4arch9wavefront6targetE0EEEvT1_,@function
_ZN7rocprim17ROCPRIM_400000_NS6detail17trampoline_kernelINS0_14default_configENS1_25partition_config_selectorILNS1_17partition_subalgoE9EllbEEZZNS1_14partition_implILS5_9ELb0ES3_jPlS8_PNS0_10empty_typeENS0_5tupleIJS8_S9_EEENSB_IJS8_SA_EEENS0_18inequality_wrapperIZN2at6native12_GLOBAL__N_124unique_dim_cuda_templateIaEESt5tupleIJNSF_6TensorESK_SK_EERKSK_lbbbEUlllE0_EEPmJS9_EEE10hipError_tPvRmT3_T4_T5_T6_T7_T9_mT8_P12ihipStream_tbDpT10_ENKUlT_T0_E_clISt17integral_constantIbLb1EES19_IbLb0EEEEDaS15_S16_EUlS15_E_NS1_11comp_targetILNS1_3genE5ELNS1_11target_archE942ELNS1_3gpuE9ELNS1_3repE0EEENS1_30default_config_static_selectorELNS0_4arch9wavefront6targetE0EEEvT1_: ; @_ZN7rocprim17ROCPRIM_400000_NS6detail17trampoline_kernelINS0_14default_configENS1_25partition_config_selectorILNS1_17partition_subalgoE9EllbEEZZNS1_14partition_implILS5_9ELb0ES3_jPlS8_PNS0_10empty_typeENS0_5tupleIJS8_S9_EEENSB_IJS8_SA_EEENS0_18inequality_wrapperIZN2at6native12_GLOBAL__N_124unique_dim_cuda_templateIaEESt5tupleIJNSF_6TensorESK_SK_EERKSK_lbbbEUlllE0_EEPmJS9_EEE10hipError_tPvRmT3_T4_T5_T6_T7_T9_mT8_P12ihipStream_tbDpT10_ENKUlT_T0_E_clISt17integral_constantIbLb1EES19_IbLb0EEEEDaS15_S16_EUlS15_E_NS1_11comp_targetILNS1_3genE5ELNS1_11target_archE942ELNS1_3gpuE9ELNS1_3repE0EEENS1_30default_config_static_selectorELNS0_4arch9wavefront6targetE0EEEvT1_
; %bb.0:
	.section	.rodata,"a",@progbits
	.p2align	6, 0x0
	.amdhsa_kernel _ZN7rocprim17ROCPRIM_400000_NS6detail17trampoline_kernelINS0_14default_configENS1_25partition_config_selectorILNS1_17partition_subalgoE9EllbEEZZNS1_14partition_implILS5_9ELb0ES3_jPlS8_PNS0_10empty_typeENS0_5tupleIJS8_S9_EEENSB_IJS8_SA_EEENS0_18inequality_wrapperIZN2at6native12_GLOBAL__N_124unique_dim_cuda_templateIaEESt5tupleIJNSF_6TensorESK_SK_EERKSK_lbbbEUlllE0_EEPmJS9_EEE10hipError_tPvRmT3_T4_T5_T6_T7_T9_mT8_P12ihipStream_tbDpT10_ENKUlT_T0_E_clISt17integral_constantIbLb1EES19_IbLb0EEEEDaS15_S16_EUlS15_E_NS1_11comp_targetILNS1_3genE5ELNS1_11target_archE942ELNS1_3gpuE9ELNS1_3repE0EEENS1_30default_config_static_selectorELNS0_4arch9wavefront6targetE0EEEvT1_
		.amdhsa_group_segment_fixed_size 0
		.amdhsa_private_segment_fixed_size 0
		.amdhsa_kernarg_size 120
		.amdhsa_user_sgpr_count 2
		.amdhsa_user_sgpr_dispatch_ptr 0
		.amdhsa_user_sgpr_queue_ptr 0
		.amdhsa_user_sgpr_kernarg_segment_ptr 1
		.amdhsa_user_sgpr_dispatch_id 0
		.amdhsa_user_sgpr_kernarg_preload_length 0
		.amdhsa_user_sgpr_kernarg_preload_offset 0
		.amdhsa_user_sgpr_private_segment_size 0
		.amdhsa_wavefront_size32 1
		.amdhsa_uses_dynamic_stack 0
		.amdhsa_enable_private_segment 0
		.amdhsa_system_sgpr_workgroup_id_x 1
		.amdhsa_system_sgpr_workgroup_id_y 0
		.amdhsa_system_sgpr_workgroup_id_z 0
		.amdhsa_system_sgpr_workgroup_info 0
		.amdhsa_system_vgpr_workitem_id 0
		.amdhsa_next_free_vgpr 1
		.amdhsa_next_free_sgpr 1
		.amdhsa_named_barrier_count 0
		.amdhsa_reserve_vcc 0
		.amdhsa_float_round_mode_32 0
		.amdhsa_float_round_mode_16_64 0
		.amdhsa_float_denorm_mode_32 3
		.amdhsa_float_denorm_mode_16_64 3
		.amdhsa_fp16_overflow 0
		.amdhsa_memory_ordered 1
		.amdhsa_forward_progress 1
		.amdhsa_inst_pref_size 0
		.amdhsa_round_robin_scheduling 0
		.amdhsa_exception_fp_ieee_invalid_op 0
		.amdhsa_exception_fp_denorm_src 0
		.amdhsa_exception_fp_ieee_div_zero 0
		.amdhsa_exception_fp_ieee_overflow 0
		.amdhsa_exception_fp_ieee_underflow 0
		.amdhsa_exception_fp_ieee_inexact 0
		.amdhsa_exception_int_div_zero 0
	.end_amdhsa_kernel
	.section	.text._ZN7rocprim17ROCPRIM_400000_NS6detail17trampoline_kernelINS0_14default_configENS1_25partition_config_selectorILNS1_17partition_subalgoE9EllbEEZZNS1_14partition_implILS5_9ELb0ES3_jPlS8_PNS0_10empty_typeENS0_5tupleIJS8_S9_EEENSB_IJS8_SA_EEENS0_18inequality_wrapperIZN2at6native12_GLOBAL__N_124unique_dim_cuda_templateIaEESt5tupleIJNSF_6TensorESK_SK_EERKSK_lbbbEUlllE0_EEPmJS9_EEE10hipError_tPvRmT3_T4_T5_T6_T7_T9_mT8_P12ihipStream_tbDpT10_ENKUlT_T0_E_clISt17integral_constantIbLb1EES19_IbLb0EEEEDaS15_S16_EUlS15_E_NS1_11comp_targetILNS1_3genE5ELNS1_11target_archE942ELNS1_3gpuE9ELNS1_3repE0EEENS1_30default_config_static_selectorELNS0_4arch9wavefront6targetE0EEEvT1_,"axG",@progbits,_ZN7rocprim17ROCPRIM_400000_NS6detail17trampoline_kernelINS0_14default_configENS1_25partition_config_selectorILNS1_17partition_subalgoE9EllbEEZZNS1_14partition_implILS5_9ELb0ES3_jPlS8_PNS0_10empty_typeENS0_5tupleIJS8_S9_EEENSB_IJS8_SA_EEENS0_18inequality_wrapperIZN2at6native12_GLOBAL__N_124unique_dim_cuda_templateIaEESt5tupleIJNSF_6TensorESK_SK_EERKSK_lbbbEUlllE0_EEPmJS9_EEE10hipError_tPvRmT3_T4_T5_T6_T7_T9_mT8_P12ihipStream_tbDpT10_ENKUlT_T0_E_clISt17integral_constantIbLb1EES19_IbLb0EEEEDaS15_S16_EUlS15_E_NS1_11comp_targetILNS1_3genE5ELNS1_11target_archE942ELNS1_3gpuE9ELNS1_3repE0EEENS1_30default_config_static_selectorELNS0_4arch9wavefront6targetE0EEEvT1_,comdat
.Lfunc_end368:
	.size	_ZN7rocprim17ROCPRIM_400000_NS6detail17trampoline_kernelINS0_14default_configENS1_25partition_config_selectorILNS1_17partition_subalgoE9EllbEEZZNS1_14partition_implILS5_9ELb0ES3_jPlS8_PNS0_10empty_typeENS0_5tupleIJS8_S9_EEENSB_IJS8_SA_EEENS0_18inequality_wrapperIZN2at6native12_GLOBAL__N_124unique_dim_cuda_templateIaEESt5tupleIJNSF_6TensorESK_SK_EERKSK_lbbbEUlllE0_EEPmJS9_EEE10hipError_tPvRmT3_T4_T5_T6_T7_T9_mT8_P12ihipStream_tbDpT10_ENKUlT_T0_E_clISt17integral_constantIbLb1EES19_IbLb0EEEEDaS15_S16_EUlS15_E_NS1_11comp_targetILNS1_3genE5ELNS1_11target_archE942ELNS1_3gpuE9ELNS1_3repE0EEENS1_30default_config_static_selectorELNS0_4arch9wavefront6targetE0EEEvT1_, .Lfunc_end368-_ZN7rocprim17ROCPRIM_400000_NS6detail17trampoline_kernelINS0_14default_configENS1_25partition_config_selectorILNS1_17partition_subalgoE9EllbEEZZNS1_14partition_implILS5_9ELb0ES3_jPlS8_PNS0_10empty_typeENS0_5tupleIJS8_S9_EEENSB_IJS8_SA_EEENS0_18inequality_wrapperIZN2at6native12_GLOBAL__N_124unique_dim_cuda_templateIaEESt5tupleIJNSF_6TensorESK_SK_EERKSK_lbbbEUlllE0_EEPmJS9_EEE10hipError_tPvRmT3_T4_T5_T6_T7_T9_mT8_P12ihipStream_tbDpT10_ENKUlT_T0_E_clISt17integral_constantIbLb1EES19_IbLb0EEEEDaS15_S16_EUlS15_E_NS1_11comp_targetILNS1_3genE5ELNS1_11target_archE942ELNS1_3gpuE9ELNS1_3repE0EEENS1_30default_config_static_selectorELNS0_4arch9wavefront6targetE0EEEvT1_
                                        ; -- End function
	.set _ZN7rocprim17ROCPRIM_400000_NS6detail17trampoline_kernelINS0_14default_configENS1_25partition_config_selectorILNS1_17partition_subalgoE9EllbEEZZNS1_14partition_implILS5_9ELb0ES3_jPlS8_PNS0_10empty_typeENS0_5tupleIJS8_S9_EEENSB_IJS8_SA_EEENS0_18inequality_wrapperIZN2at6native12_GLOBAL__N_124unique_dim_cuda_templateIaEESt5tupleIJNSF_6TensorESK_SK_EERKSK_lbbbEUlllE0_EEPmJS9_EEE10hipError_tPvRmT3_T4_T5_T6_T7_T9_mT8_P12ihipStream_tbDpT10_ENKUlT_T0_E_clISt17integral_constantIbLb1EES19_IbLb0EEEEDaS15_S16_EUlS15_E_NS1_11comp_targetILNS1_3genE5ELNS1_11target_archE942ELNS1_3gpuE9ELNS1_3repE0EEENS1_30default_config_static_selectorELNS0_4arch9wavefront6targetE0EEEvT1_.num_vgpr, 0
	.set _ZN7rocprim17ROCPRIM_400000_NS6detail17trampoline_kernelINS0_14default_configENS1_25partition_config_selectorILNS1_17partition_subalgoE9EllbEEZZNS1_14partition_implILS5_9ELb0ES3_jPlS8_PNS0_10empty_typeENS0_5tupleIJS8_S9_EEENSB_IJS8_SA_EEENS0_18inequality_wrapperIZN2at6native12_GLOBAL__N_124unique_dim_cuda_templateIaEESt5tupleIJNSF_6TensorESK_SK_EERKSK_lbbbEUlllE0_EEPmJS9_EEE10hipError_tPvRmT3_T4_T5_T6_T7_T9_mT8_P12ihipStream_tbDpT10_ENKUlT_T0_E_clISt17integral_constantIbLb1EES19_IbLb0EEEEDaS15_S16_EUlS15_E_NS1_11comp_targetILNS1_3genE5ELNS1_11target_archE942ELNS1_3gpuE9ELNS1_3repE0EEENS1_30default_config_static_selectorELNS0_4arch9wavefront6targetE0EEEvT1_.num_agpr, 0
	.set _ZN7rocprim17ROCPRIM_400000_NS6detail17trampoline_kernelINS0_14default_configENS1_25partition_config_selectorILNS1_17partition_subalgoE9EllbEEZZNS1_14partition_implILS5_9ELb0ES3_jPlS8_PNS0_10empty_typeENS0_5tupleIJS8_S9_EEENSB_IJS8_SA_EEENS0_18inequality_wrapperIZN2at6native12_GLOBAL__N_124unique_dim_cuda_templateIaEESt5tupleIJNSF_6TensorESK_SK_EERKSK_lbbbEUlllE0_EEPmJS9_EEE10hipError_tPvRmT3_T4_T5_T6_T7_T9_mT8_P12ihipStream_tbDpT10_ENKUlT_T0_E_clISt17integral_constantIbLb1EES19_IbLb0EEEEDaS15_S16_EUlS15_E_NS1_11comp_targetILNS1_3genE5ELNS1_11target_archE942ELNS1_3gpuE9ELNS1_3repE0EEENS1_30default_config_static_selectorELNS0_4arch9wavefront6targetE0EEEvT1_.numbered_sgpr, 0
	.set _ZN7rocprim17ROCPRIM_400000_NS6detail17trampoline_kernelINS0_14default_configENS1_25partition_config_selectorILNS1_17partition_subalgoE9EllbEEZZNS1_14partition_implILS5_9ELb0ES3_jPlS8_PNS0_10empty_typeENS0_5tupleIJS8_S9_EEENSB_IJS8_SA_EEENS0_18inequality_wrapperIZN2at6native12_GLOBAL__N_124unique_dim_cuda_templateIaEESt5tupleIJNSF_6TensorESK_SK_EERKSK_lbbbEUlllE0_EEPmJS9_EEE10hipError_tPvRmT3_T4_T5_T6_T7_T9_mT8_P12ihipStream_tbDpT10_ENKUlT_T0_E_clISt17integral_constantIbLb1EES19_IbLb0EEEEDaS15_S16_EUlS15_E_NS1_11comp_targetILNS1_3genE5ELNS1_11target_archE942ELNS1_3gpuE9ELNS1_3repE0EEENS1_30default_config_static_selectorELNS0_4arch9wavefront6targetE0EEEvT1_.num_named_barrier, 0
	.set _ZN7rocprim17ROCPRIM_400000_NS6detail17trampoline_kernelINS0_14default_configENS1_25partition_config_selectorILNS1_17partition_subalgoE9EllbEEZZNS1_14partition_implILS5_9ELb0ES3_jPlS8_PNS0_10empty_typeENS0_5tupleIJS8_S9_EEENSB_IJS8_SA_EEENS0_18inequality_wrapperIZN2at6native12_GLOBAL__N_124unique_dim_cuda_templateIaEESt5tupleIJNSF_6TensorESK_SK_EERKSK_lbbbEUlllE0_EEPmJS9_EEE10hipError_tPvRmT3_T4_T5_T6_T7_T9_mT8_P12ihipStream_tbDpT10_ENKUlT_T0_E_clISt17integral_constantIbLb1EES19_IbLb0EEEEDaS15_S16_EUlS15_E_NS1_11comp_targetILNS1_3genE5ELNS1_11target_archE942ELNS1_3gpuE9ELNS1_3repE0EEENS1_30default_config_static_selectorELNS0_4arch9wavefront6targetE0EEEvT1_.private_seg_size, 0
	.set _ZN7rocprim17ROCPRIM_400000_NS6detail17trampoline_kernelINS0_14default_configENS1_25partition_config_selectorILNS1_17partition_subalgoE9EllbEEZZNS1_14partition_implILS5_9ELb0ES3_jPlS8_PNS0_10empty_typeENS0_5tupleIJS8_S9_EEENSB_IJS8_SA_EEENS0_18inequality_wrapperIZN2at6native12_GLOBAL__N_124unique_dim_cuda_templateIaEESt5tupleIJNSF_6TensorESK_SK_EERKSK_lbbbEUlllE0_EEPmJS9_EEE10hipError_tPvRmT3_T4_T5_T6_T7_T9_mT8_P12ihipStream_tbDpT10_ENKUlT_T0_E_clISt17integral_constantIbLb1EES19_IbLb0EEEEDaS15_S16_EUlS15_E_NS1_11comp_targetILNS1_3genE5ELNS1_11target_archE942ELNS1_3gpuE9ELNS1_3repE0EEENS1_30default_config_static_selectorELNS0_4arch9wavefront6targetE0EEEvT1_.uses_vcc, 0
	.set _ZN7rocprim17ROCPRIM_400000_NS6detail17trampoline_kernelINS0_14default_configENS1_25partition_config_selectorILNS1_17partition_subalgoE9EllbEEZZNS1_14partition_implILS5_9ELb0ES3_jPlS8_PNS0_10empty_typeENS0_5tupleIJS8_S9_EEENSB_IJS8_SA_EEENS0_18inequality_wrapperIZN2at6native12_GLOBAL__N_124unique_dim_cuda_templateIaEESt5tupleIJNSF_6TensorESK_SK_EERKSK_lbbbEUlllE0_EEPmJS9_EEE10hipError_tPvRmT3_T4_T5_T6_T7_T9_mT8_P12ihipStream_tbDpT10_ENKUlT_T0_E_clISt17integral_constantIbLb1EES19_IbLb0EEEEDaS15_S16_EUlS15_E_NS1_11comp_targetILNS1_3genE5ELNS1_11target_archE942ELNS1_3gpuE9ELNS1_3repE0EEENS1_30default_config_static_selectorELNS0_4arch9wavefront6targetE0EEEvT1_.uses_flat_scratch, 0
	.set _ZN7rocprim17ROCPRIM_400000_NS6detail17trampoline_kernelINS0_14default_configENS1_25partition_config_selectorILNS1_17partition_subalgoE9EllbEEZZNS1_14partition_implILS5_9ELb0ES3_jPlS8_PNS0_10empty_typeENS0_5tupleIJS8_S9_EEENSB_IJS8_SA_EEENS0_18inequality_wrapperIZN2at6native12_GLOBAL__N_124unique_dim_cuda_templateIaEESt5tupleIJNSF_6TensorESK_SK_EERKSK_lbbbEUlllE0_EEPmJS9_EEE10hipError_tPvRmT3_T4_T5_T6_T7_T9_mT8_P12ihipStream_tbDpT10_ENKUlT_T0_E_clISt17integral_constantIbLb1EES19_IbLb0EEEEDaS15_S16_EUlS15_E_NS1_11comp_targetILNS1_3genE5ELNS1_11target_archE942ELNS1_3gpuE9ELNS1_3repE0EEENS1_30default_config_static_selectorELNS0_4arch9wavefront6targetE0EEEvT1_.has_dyn_sized_stack, 0
	.set _ZN7rocprim17ROCPRIM_400000_NS6detail17trampoline_kernelINS0_14default_configENS1_25partition_config_selectorILNS1_17partition_subalgoE9EllbEEZZNS1_14partition_implILS5_9ELb0ES3_jPlS8_PNS0_10empty_typeENS0_5tupleIJS8_S9_EEENSB_IJS8_SA_EEENS0_18inequality_wrapperIZN2at6native12_GLOBAL__N_124unique_dim_cuda_templateIaEESt5tupleIJNSF_6TensorESK_SK_EERKSK_lbbbEUlllE0_EEPmJS9_EEE10hipError_tPvRmT3_T4_T5_T6_T7_T9_mT8_P12ihipStream_tbDpT10_ENKUlT_T0_E_clISt17integral_constantIbLb1EES19_IbLb0EEEEDaS15_S16_EUlS15_E_NS1_11comp_targetILNS1_3genE5ELNS1_11target_archE942ELNS1_3gpuE9ELNS1_3repE0EEENS1_30default_config_static_selectorELNS0_4arch9wavefront6targetE0EEEvT1_.has_recursion, 0
	.set _ZN7rocprim17ROCPRIM_400000_NS6detail17trampoline_kernelINS0_14default_configENS1_25partition_config_selectorILNS1_17partition_subalgoE9EllbEEZZNS1_14partition_implILS5_9ELb0ES3_jPlS8_PNS0_10empty_typeENS0_5tupleIJS8_S9_EEENSB_IJS8_SA_EEENS0_18inequality_wrapperIZN2at6native12_GLOBAL__N_124unique_dim_cuda_templateIaEESt5tupleIJNSF_6TensorESK_SK_EERKSK_lbbbEUlllE0_EEPmJS9_EEE10hipError_tPvRmT3_T4_T5_T6_T7_T9_mT8_P12ihipStream_tbDpT10_ENKUlT_T0_E_clISt17integral_constantIbLb1EES19_IbLb0EEEEDaS15_S16_EUlS15_E_NS1_11comp_targetILNS1_3genE5ELNS1_11target_archE942ELNS1_3gpuE9ELNS1_3repE0EEENS1_30default_config_static_selectorELNS0_4arch9wavefront6targetE0EEEvT1_.has_indirect_call, 0
	.section	.AMDGPU.csdata,"",@progbits
; Kernel info:
; codeLenInByte = 0
; TotalNumSgprs: 0
; NumVgprs: 0
; ScratchSize: 0
; MemoryBound: 0
; FloatMode: 240
; IeeeMode: 1
; LDSByteSize: 0 bytes/workgroup (compile time only)
; SGPRBlocks: 0
; VGPRBlocks: 0
; NumSGPRsForWavesPerEU: 1
; NumVGPRsForWavesPerEU: 1
; NamedBarCnt: 0
; Occupancy: 16
; WaveLimiterHint : 0
; COMPUTE_PGM_RSRC2:SCRATCH_EN: 0
; COMPUTE_PGM_RSRC2:USER_SGPR: 2
; COMPUTE_PGM_RSRC2:TRAP_HANDLER: 0
; COMPUTE_PGM_RSRC2:TGID_X_EN: 1
; COMPUTE_PGM_RSRC2:TGID_Y_EN: 0
; COMPUTE_PGM_RSRC2:TGID_Z_EN: 0
; COMPUTE_PGM_RSRC2:TIDIG_COMP_CNT: 0
	.section	.text._ZN7rocprim17ROCPRIM_400000_NS6detail17trampoline_kernelINS0_14default_configENS1_25partition_config_selectorILNS1_17partition_subalgoE9EllbEEZZNS1_14partition_implILS5_9ELb0ES3_jPlS8_PNS0_10empty_typeENS0_5tupleIJS8_S9_EEENSB_IJS8_SA_EEENS0_18inequality_wrapperIZN2at6native12_GLOBAL__N_124unique_dim_cuda_templateIaEESt5tupleIJNSF_6TensorESK_SK_EERKSK_lbbbEUlllE0_EEPmJS9_EEE10hipError_tPvRmT3_T4_T5_T6_T7_T9_mT8_P12ihipStream_tbDpT10_ENKUlT_T0_E_clISt17integral_constantIbLb1EES19_IbLb0EEEEDaS15_S16_EUlS15_E_NS1_11comp_targetILNS1_3genE4ELNS1_11target_archE910ELNS1_3gpuE8ELNS1_3repE0EEENS1_30default_config_static_selectorELNS0_4arch9wavefront6targetE0EEEvT1_,"axG",@progbits,_ZN7rocprim17ROCPRIM_400000_NS6detail17trampoline_kernelINS0_14default_configENS1_25partition_config_selectorILNS1_17partition_subalgoE9EllbEEZZNS1_14partition_implILS5_9ELb0ES3_jPlS8_PNS0_10empty_typeENS0_5tupleIJS8_S9_EEENSB_IJS8_SA_EEENS0_18inequality_wrapperIZN2at6native12_GLOBAL__N_124unique_dim_cuda_templateIaEESt5tupleIJNSF_6TensorESK_SK_EERKSK_lbbbEUlllE0_EEPmJS9_EEE10hipError_tPvRmT3_T4_T5_T6_T7_T9_mT8_P12ihipStream_tbDpT10_ENKUlT_T0_E_clISt17integral_constantIbLb1EES19_IbLb0EEEEDaS15_S16_EUlS15_E_NS1_11comp_targetILNS1_3genE4ELNS1_11target_archE910ELNS1_3gpuE8ELNS1_3repE0EEENS1_30default_config_static_selectorELNS0_4arch9wavefront6targetE0EEEvT1_,comdat
	.globl	_ZN7rocprim17ROCPRIM_400000_NS6detail17trampoline_kernelINS0_14default_configENS1_25partition_config_selectorILNS1_17partition_subalgoE9EllbEEZZNS1_14partition_implILS5_9ELb0ES3_jPlS8_PNS0_10empty_typeENS0_5tupleIJS8_S9_EEENSB_IJS8_SA_EEENS0_18inequality_wrapperIZN2at6native12_GLOBAL__N_124unique_dim_cuda_templateIaEESt5tupleIJNSF_6TensorESK_SK_EERKSK_lbbbEUlllE0_EEPmJS9_EEE10hipError_tPvRmT3_T4_T5_T6_T7_T9_mT8_P12ihipStream_tbDpT10_ENKUlT_T0_E_clISt17integral_constantIbLb1EES19_IbLb0EEEEDaS15_S16_EUlS15_E_NS1_11comp_targetILNS1_3genE4ELNS1_11target_archE910ELNS1_3gpuE8ELNS1_3repE0EEENS1_30default_config_static_selectorELNS0_4arch9wavefront6targetE0EEEvT1_ ; -- Begin function _ZN7rocprim17ROCPRIM_400000_NS6detail17trampoline_kernelINS0_14default_configENS1_25partition_config_selectorILNS1_17partition_subalgoE9EllbEEZZNS1_14partition_implILS5_9ELb0ES3_jPlS8_PNS0_10empty_typeENS0_5tupleIJS8_S9_EEENSB_IJS8_SA_EEENS0_18inequality_wrapperIZN2at6native12_GLOBAL__N_124unique_dim_cuda_templateIaEESt5tupleIJNSF_6TensorESK_SK_EERKSK_lbbbEUlllE0_EEPmJS9_EEE10hipError_tPvRmT3_T4_T5_T6_T7_T9_mT8_P12ihipStream_tbDpT10_ENKUlT_T0_E_clISt17integral_constantIbLb1EES19_IbLb0EEEEDaS15_S16_EUlS15_E_NS1_11comp_targetILNS1_3genE4ELNS1_11target_archE910ELNS1_3gpuE8ELNS1_3repE0EEENS1_30default_config_static_selectorELNS0_4arch9wavefront6targetE0EEEvT1_
	.p2align	8
	.type	_ZN7rocprim17ROCPRIM_400000_NS6detail17trampoline_kernelINS0_14default_configENS1_25partition_config_selectorILNS1_17partition_subalgoE9EllbEEZZNS1_14partition_implILS5_9ELb0ES3_jPlS8_PNS0_10empty_typeENS0_5tupleIJS8_S9_EEENSB_IJS8_SA_EEENS0_18inequality_wrapperIZN2at6native12_GLOBAL__N_124unique_dim_cuda_templateIaEESt5tupleIJNSF_6TensorESK_SK_EERKSK_lbbbEUlllE0_EEPmJS9_EEE10hipError_tPvRmT3_T4_T5_T6_T7_T9_mT8_P12ihipStream_tbDpT10_ENKUlT_T0_E_clISt17integral_constantIbLb1EES19_IbLb0EEEEDaS15_S16_EUlS15_E_NS1_11comp_targetILNS1_3genE4ELNS1_11target_archE910ELNS1_3gpuE8ELNS1_3repE0EEENS1_30default_config_static_selectorELNS0_4arch9wavefront6targetE0EEEvT1_,@function
_ZN7rocprim17ROCPRIM_400000_NS6detail17trampoline_kernelINS0_14default_configENS1_25partition_config_selectorILNS1_17partition_subalgoE9EllbEEZZNS1_14partition_implILS5_9ELb0ES3_jPlS8_PNS0_10empty_typeENS0_5tupleIJS8_S9_EEENSB_IJS8_SA_EEENS0_18inequality_wrapperIZN2at6native12_GLOBAL__N_124unique_dim_cuda_templateIaEESt5tupleIJNSF_6TensorESK_SK_EERKSK_lbbbEUlllE0_EEPmJS9_EEE10hipError_tPvRmT3_T4_T5_T6_T7_T9_mT8_P12ihipStream_tbDpT10_ENKUlT_T0_E_clISt17integral_constantIbLb1EES19_IbLb0EEEEDaS15_S16_EUlS15_E_NS1_11comp_targetILNS1_3genE4ELNS1_11target_archE910ELNS1_3gpuE8ELNS1_3repE0EEENS1_30default_config_static_selectorELNS0_4arch9wavefront6targetE0EEEvT1_: ; @_ZN7rocprim17ROCPRIM_400000_NS6detail17trampoline_kernelINS0_14default_configENS1_25partition_config_selectorILNS1_17partition_subalgoE9EllbEEZZNS1_14partition_implILS5_9ELb0ES3_jPlS8_PNS0_10empty_typeENS0_5tupleIJS8_S9_EEENSB_IJS8_SA_EEENS0_18inequality_wrapperIZN2at6native12_GLOBAL__N_124unique_dim_cuda_templateIaEESt5tupleIJNSF_6TensorESK_SK_EERKSK_lbbbEUlllE0_EEPmJS9_EEE10hipError_tPvRmT3_T4_T5_T6_T7_T9_mT8_P12ihipStream_tbDpT10_ENKUlT_T0_E_clISt17integral_constantIbLb1EES19_IbLb0EEEEDaS15_S16_EUlS15_E_NS1_11comp_targetILNS1_3genE4ELNS1_11target_archE910ELNS1_3gpuE8ELNS1_3repE0EEENS1_30default_config_static_selectorELNS0_4arch9wavefront6targetE0EEEvT1_
; %bb.0:
	.section	.rodata,"a",@progbits
	.p2align	6, 0x0
	.amdhsa_kernel _ZN7rocprim17ROCPRIM_400000_NS6detail17trampoline_kernelINS0_14default_configENS1_25partition_config_selectorILNS1_17partition_subalgoE9EllbEEZZNS1_14partition_implILS5_9ELb0ES3_jPlS8_PNS0_10empty_typeENS0_5tupleIJS8_S9_EEENSB_IJS8_SA_EEENS0_18inequality_wrapperIZN2at6native12_GLOBAL__N_124unique_dim_cuda_templateIaEESt5tupleIJNSF_6TensorESK_SK_EERKSK_lbbbEUlllE0_EEPmJS9_EEE10hipError_tPvRmT3_T4_T5_T6_T7_T9_mT8_P12ihipStream_tbDpT10_ENKUlT_T0_E_clISt17integral_constantIbLb1EES19_IbLb0EEEEDaS15_S16_EUlS15_E_NS1_11comp_targetILNS1_3genE4ELNS1_11target_archE910ELNS1_3gpuE8ELNS1_3repE0EEENS1_30default_config_static_selectorELNS0_4arch9wavefront6targetE0EEEvT1_
		.amdhsa_group_segment_fixed_size 0
		.amdhsa_private_segment_fixed_size 0
		.amdhsa_kernarg_size 120
		.amdhsa_user_sgpr_count 2
		.amdhsa_user_sgpr_dispatch_ptr 0
		.amdhsa_user_sgpr_queue_ptr 0
		.amdhsa_user_sgpr_kernarg_segment_ptr 1
		.amdhsa_user_sgpr_dispatch_id 0
		.amdhsa_user_sgpr_kernarg_preload_length 0
		.amdhsa_user_sgpr_kernarg_preload_offset 0
		.amdhsa_user_sgpr_private_segment_size 0
		.amdhsa_wavefront_size32 1
		.amdhsa_uses_dynamic_stack 0
		.amdhsa_enable_private_segment 0
		.amdhsa_system_sgpr_workgroup_id_x 1
		.amdhsa_system_sgpr_workgroup_id_y 0
		.amdhsa_system_sgpr_workgroup_id_z 0
		.amdhsa_system_sgpr_workgroup_info 0
		.amdhsa_system_vgpr_workitem_id 0
		.amdhsa_next_free_vgpr 1
		.amdhsa_next_free_sgpr 1
		.amdhsa_named_barrier_count 0
		.amdhsa_reserve_vcc 0
		.amdhsa_float_round_mode_32 0
		.amdhsa_float_round_mode_16_64 0
		.amdhsa_float_denorm_mode_32 3
		.amdhsa_float_denorm_mode_16_64 3
		.amdhsa_fp16_overflow 0
		.amdhsa_memory_ordered 1
		.amdhsa_forward_progress 1
		.amdhsa_inst_pref_size 0
		.amdhsa_round_robin_scheduling 0
		.amdhsa_exception_fp_ieee_invalid_op 0
		.amdhsa_exception_fp_denorm_src 0
		.amdhsa_exception_fp_ieee_div_zero 0
		.amdhsa_exception_fp_ieee_overflow 0
		.amdhsa_exception_fp_ieee_underflow 0
		.amdhsa_exception_fp_ieee_inexact 0
		.amdhsa_exception_int_div_zero 0
	.end_amdhsa_kernel
	.section	.text._ZN7rocprim17ROCPRIM_400000_NS6detail17trampoline_kernelINS0_14default_configENS1_25partition_config_selectorILNS1_17partition_subalgoE9EllbEEZZNS1_14partition_implILS5_9ELb0ES3_jPlS8_PNS0_10empty_typeENS0_5tupleIJS8_S9_EEENSB_IJS8_SA_EEENS0_18inequality_wrapperIZN2at6native12_GLOBAL__N_124unique_dim_cuda_templateIaEESt5tupleIJNSF_6TensorESK_SK_EERKSK_lbbbEUlllE0_EEPmJS9_EEE10hipError_tPvRmT3_T4_T5_T6_T7_T9_mT8_P12ihipStream_tbDpT10_ENKUlT_T0_E_clISt17integral_constantIbLb1EES19_IbLb0EEEEDaS15_S16_EUlS15_E_NS1_11comp_targetILNS1_3genE4ELNS1_11target_archE910ELNS1_3gpuE8ELNS1_3repE0EEENS1_30default_config_static_selectorELNS0_4arch9wavefront6targetE0EEEvT1_,"axG",@progbits,_ZN7rocprim17ROCPRIM_400000_NS6detail17trampoline_kernelINS0_14default_configENS1_25partition_config_selectorILNS1_17partition_subalgoE9EllbEEZZNS1_14partition_implILS5_9ELb0ES3_jPlS8_PNS0_10empty_typeENS0_5tupleIJS8_S9_EEENSB_IJS8_SA_EEENS0_18inequality_wrapperIZN2at6native12_GLOBAL__N_124unique_dim_cuda_templateIaEESt5tupleIJNSF_6TensorESK_SK_EERKSK_lbbbEUlllE0_EEPmJS9_EEE10hipError_tPvRmT3_T4_T5_T6_T7_T9_mT8_P12ihipStream_tbDpT10_ENKUlT_T0_E_clISt17integral_constantIbLb1EES19_IbLb0EEEEDaS15_S16_EUlS15_E_NS1_11comp_targetILNS1_3genE4ELNS1_11target_archE910ELNS1_3gpuE8ELNS1_3repE0EEENS1_30default_config_static_selectorELNS0_4arch9wavefront6targetE0EEEvT1_,comdat
.Lfunc_end369:
	.size	_ZN7rocprim17ROCPRIM_400000_NS6detail17trampoline_kernelINS0_14default_configENS1_25partition_config_selectorILNS1_17partition_subalgoE9EllbEEZZNS1_14partition_implILS5_9ELb0ES3_jPlS8_PNS0_10empty_typeENS0_5tupleIJS8_S9_EEENSB_IJS8_SA_EEENS0_18inequality_wrapperIZN2at6native12_GLOBAL__N_124unique_dim_cuda_templateIaEESt5tupleIJNSF_6TensorESK_SK_EERKSK_lbbbEUlllE0_EEPmJS9_EEE10hipError_tPvRmT3_T4_T5_T6_T7_T9_mT8_P12ihipStream_tbDpT10_ENKUlT_T0_E_clISt17integral_constantIbLb1EES19_IbLb0EEEEDaS15_S16_EUlS15_E_NS1_11comp_targetILNS1_3genE4ELNS1_11target_archE910ELNS1_3gpuE8ELNS1_3repE0EEENS1_30default_config_static_selectorELNS0_4arch9wavefront6targetE0EEEvT1_, .Lfunc_end369-_ZN7rocprim17ROCPRIM_400000_NS6detail17trampoline_kernelINS0_14default_configENS1_25partition_config_selectorILNS1_17partition_subalgoE9EllbEEZZNS1_14partition_implILS5_9ELb0ES3_jPlS8_PNS0_10empty_typeENS0_5tupleIJS8_S9_EEENSB_IJS8_SA_EEENS0_18inequality_wrapperIZN2at6native12_GLOBAL__N_124unique_dim_cuda_templateIaEESt5tupleIJNSF_6TensorESK_SK_EERKSK_lbbbEUlllE0_EEPmJS9_EEE10hipError_tPvRmT3_T4_T5_T6_T7_T9_mT8_P12ihipStream_tbDpT10_ENKUlT_T0_E_clISt17integral_constantIbLb1EES19_IbLb0EEEEDaS15_S16_EUlS15_E_NS1_11comp_targetILNS1_3genE4ELNS1_11target_archE910ELNS1_3gpuE8ELNS1_3repE0EEENS1_30default_config_static_selectorELNS0_4arch9wavefront6targetE0EEEvT1_
                                        ; -- End function
	.set _ZN7rocprim17ROCPRIM_400000_NS6detail17trampoline_kernelINS0_14default_configENS1_25partition_config_selectorILNS1_17partition_subalgoE9EllbEEZZNS1_14partition_implILS5_9ELb0ES3_jPlS8_PNS0_10empty_typeENS0_5tupleIJS8_S9_EEENSB_IJS8_SA_EEENS0_18inequality_wrapperIZN2at6native12_GLOBAL__N_124unique_dim_cuda_templateIaEESt5tupleIJNSF_6TensorESK_SK_EERKSK_lbbbEUlllE0_EEPmJS9_EEE10hipError_tPvRmT3_T4_T5_T6_T7_T9_mT8_P12ihipStream_tbDpT10_ENKUlT_T0_E_clISt17integral_constantIbLb1EES19_IbLb0EEEEDaS15_S16_EUlS15_E_NS1_11comp_targetILNS1_3genE4ELNS1_11target_archE910ELNS1_3gpuE8ELNS1_3repE0EEENS1_30default_config_static_selectorELNS0_4arch9wavefront6targetE0EEEvT1_.num_vgpr, 0
	.set _ZN7rocprim17ROCPRIM_400000_NS6detail17trampoline_kernelINS0_14default_configENS1_25partition_config_selectorILNS1_17partition_subalgoE9EllbEEZZNS1_14partition_implILS5_9ELb0ES3_jPlS8_PNS0_10empty_typeENS0_5tupleIJS8_S9_EEENSB_IJS8_SA_EEENS0_18inequality_wrapperIZN2at6native12_GLOBAL__N_124unique_dim_cuda_templateIaEESt5tupleIJNSF_6TensorESK_SK_EERKSK_lbbbEUlllE0_EEPmJS9_EEE10hipError_tPvRmT3_T4_T5_T6_T7_T9_mT8_P12ihipStream_tbDpT10_ENKUlT_T0_E_clISt17integral_constantIbLb1EES19_IbLb0EEEEDaS15_S16_EUlS15_E_NS1_11comp_targetILNS1_3genE4ELNS1_11target_archE910ELNS1_3gpuE8ELNS1_3repE0EEENS1_30default_config_static_selectorELNS0_4arch9wavefront6targetE0EEEvT1_.num_agpr, 0
	.set _ZN7rocprim17ROCPRIM_400000_NS6detail17trampoline_kernelINS0_14default_configENS1_25partition_config_selectorILNS1_17partition_subalgoE9EllbEEZZNS1_14partition_implILS5_9ELb0ES3_jPlS8_PNS0_10empty_typeENS0_5tupleIJS8_S9_EEENSB_IJS8_SA_EEENS0_18inequality_wrapperIZN2at6native12_GLOBAL__N_124unique_dim_cuda_templateIaEESt5tupleIJNSF_6TensorESK_SK_EERKSK_lbbbEUlllE0_EEPmJS9_EEE10hipError_tPvRmT3_T4_T5_T6_T7_T9_mT8_P12ihipStream_tbDpT10_ENKUlT_T0_E_clISt17integral_constantIbLb1EES19_IbLb0EEEEDaS15_S16_EUlS15_E_NS1_11comp_targetILNS1_3genE4ELNS1_11target_archE910ELNS1_3gpuE8ELNS1_3repE0EEENS1_30default_config_static_selectorELNS0_4arch9wavefront6targetE0EEEvT1_.numbered_sgpr, 0
	.set _ZN7rocprim17ROCPRIM_400000_NS6detail17trampoline_kernelINS0_14default_configENS1_25partition_config_selectorILNS1_17partition_subalgoE9EllbEEZZNS1_14partition_implILS5_9ELb0ES3_jPlS8_PNS0_10empty_typeENS0_5tupleIJS8_S9_EEENSB_IJS8_SA_EEENS0_18inequality_wrapperIZN2at6native12_GLOBAL__N_124unique_dim_cuda_templateIaEESt5tupleIJNSF_6TensorESK_SK_EERKSK_lbbbEUlllE0_EEPmJS9_EEE10hipError_tPvRmT3_T4_T5_T6_T7_T9_mT8_P12ihipStream_tbDpT10_ENKUlT_T0_E_clISt17integral_constantIbLb1EES19_IbLb0EEEEDaS15_S16_EUlS15_E_NS1_11comp_targetILNS1_3genE4ELNS1_11target_archE910ELNS1_3gpuE8ELNS1_3repE0EEENS1_30default_config_static_selectorELNS0_4arch9wavefront6targetE0EEEvT1_.num_named_barrier, 0
	.set _ZN7rocprim17ROCPRIM_400000_NS6detail17trampoline_kernelINS0_14default_configENS1_25partition_config_selectorILNS1_17partition_subalgoE9EllbEEZZNS1_14partition_implILS5_9ELb0ES3_jPlS8_PNS0_10empty_typeENS0_5tupleIJS8_S9_EEENSB_IJS8_SA_EEENS0_18inequality_wrapperIZN2at6native12_GLOBAL__N_124unique_dim_cuda_templateIaEESt5tupleIJNSF_6TensorESK_SK_EERKSK_lbbbEUlllE0_EEPmJS9_EEE10hipError_tPvRmT3_T4_T5_T6_T7_T9_mT8_P12ihipStream_tbDpT10_ENKUlT_T0_E_clISt17integral_constantIbLb1EES19_IbLb0EEEEDaS15_S16_EUlS15_E_NS1_11comp_targetILNS1_3genE4ELNS1_11target_archE910ELNS1_3gpuE8ELNS1_3repE0EEENS1_30default_config_static_selectorELNS0_4arch9wavefront6targetE0EEEvT1_.private_seg_size, 0
	.set _ZN7rocprim17ROCPRIM_400000_NS6detail17trampoline_kernelINS0_14default_configENS1_25partition_config_selectorILNS1_17partition_subalgoE9EllbEEZZNS1_14partition_implILS5_9ELb0ES3_jPlS8_PNS0_10empty_typeENS0_5tupleIJS8_S9_EEENSB_IJS8_SA_EEENS0_18inequality_wrapperIZN2at6native12_GLOBAL__N_124unique_dim_cuda_templateIaEESt5tupleIJNSF_6TensorESK_SK_EERKSK_lbbbEUlllE0_EEPmJS9_EEE10hipError_tPvRmT3_T4_T5_T6_T7_T9_mT8_P12ihipStream_tbDpT10_ENKUlT_T0_E_clISt17integral_constantIbLb1EES19_IbLb0EEEEDaS15_S16_EUlS15_E_NS1_11comp_targetILNS1_3genE4ELNS1_11target_archE910ELNS1_3gpuE8ELNS1_3repE0EEENS1_30default_config_static_selectorELNS0_4arch9wavefront6targetE0EEEvT1_.uses_vcc, 0
	.set _ZN7rocprim17ROCPRIM_400000_NS6detail17trampoline_kernelINS0_14default_configENS1_25partition_config_selectorILNS1_17partition_subalgoE9EllbEEZZNS1_14partition_implILS5_9ELb0ES3_jPlS8_PNS0_10empty_typeENS0_5tupleIJS8_S9_EEENSB_IJS8_SA_EEENS0_18inequality_wrapperIZN2at6native12_GLOBAL__N_124unique_dim_cuda_templateIaEESt5tupleIJNSF_6TensorESK_SK_EERKSK_lbbbEUlllE0_EEPmJS9_EEE10hipError_tPvRmT3_T4_T5_T6_T7_T9_mT8_P12ihipStream_tbDpT10_ENKUlT_T0_E_clISt17integral_constantIbLb1EES19_IbLb0EEEEDaS15_S16_EUlS15_E_NS1_11comp_targetILNS1_3genE4ELNS1_11target_archE910ELNS1_3gpuE8ELNS1_3repE0EEENS1_30default_config_static_selectorELNS0_4arch9wavefront6targetE0EEEvT1_.uses_flat_scratch, 0
	.set _ZN7rocprim17ROCPRIM_400000_NS6detail17trampoline_kernelINS0_14default_configENS1_25partition_config_selectorILNS1_17partition_subalgoE9EllbEEZZNS1_14partition_implILS5_9ELb0ES3_jPlS8_PNS0_10empty_typeENS0_5tupleIJS8_S9_EEENSB_IJS8_SA_EEENS0_18inequality_wrapperIZN2at6native12_GLOBAL__N_124unique_dim_cuda_templateIaEESt5tupleIJNSF_6TensorESK_SK_EERKSK_lbbbEUlllE0_EEPmJS9_EEE10hipError_tPvRmT3_T4_T5_T6_T7_T9_mT8_P12ihipStream_tbDpT10_ENKUlT_T0_E_clISt17integral_constantIbLb1EES19_IbLb0EEEEDaS15_S16_EUlS15_E_NS1_11comp_targetILNS1_3genE4ELNS1_11target_archE910ELNS1_3gpuE8ELNS1_3repE0EEENS1_30default_config_static_selectorELNS0_4arch9wavefront6targetE0EEEvT1_.has_dyn_sized_stack, 0
	.set _ZN7rocprim17ROCPRIM_400000_NS6detail17trampoline_kernelINS0_14default_configENS1_25partition_config_selectorILNS1_17partition_subalgoE9EllbEEZZNS1_14partition_implILS5_9ELb0ES3_jPlS8_PNS0_10empty_typeENS0_5tupleIJS8_S9_EEENSB_IJS8_SA_EEENS0_18inequality_wrapperIZN2at6native12_GLOBAL__N_124unique_dim_cuda_templateIaEESt5tupleIJNSF_6TensorESK_SK_EERKSK_lbbbEUlllE0_EEPmJS9_EEE10hipError_tPvRmT3_T4_T5_T6_T7_T9_mT8_P12ihipStream_tbDpT10_ENKUlT_T0_E_clISt17integral_constantIbLb1EES19_IbLb0EEEEDaS15_S16_EUlS15_E_NS1_11comp_targetILNS1_3genE4ELNS1_11target_archE910ELNS1_3gpuE8ELNS1_3repE0EEENS1_30default_config_static_selectorELNS0_4arch9wavefront6targetE0EEEvT1_.has_recursion, 0
	.set _ZN7rocprim17ROCPRIM_400000_NS6detail17trampoline_kernelINS0_14default_configENS1_25partition_config_selectorILNS1_17partition_subalgoE9EllbEEZZNS1_14partition_implILS5_9ELb0ES3_jPlS8_PNS0_10empty_typeENS0_5tupleIJS8_S9_EEENSB_IJS8_SA_EEENS0_18inequality_wrapperIZN2at6native12_GLOBAL__N_124unique_dim_cuda_templateIaEESt5tupleIJNSF_6TensorESK_SK_EERKSK_lbbbEUlllE0_EEPmJS9_EEE10hipError_tPvRmT3_T4_T5_T6_T7_T9_mT8_P12ihipStream_tbDpT10_ENKUlT_T0_E_clISt17integral_constantIbLb1EES19_IbLb0EEEEDaS15_S16_EUlS15_E_NS1_11comp_targetILNS1_3genE4ELNS1_11target_archE910ELNS1_3gpuE8ELNS1_3repE0EEENS1_30default_config_static_selectorELNS0_4arch9wavefront6targetE0EEEvT1_.has_indirect_call, 0
	.section	.AMDGPU.csdata,"",@progbits
; Kernel info:
; codeLenInByte = 0
; TotalNumSgprs: 0
; NumVgprs: 0
; ScratchSize: 0
; MemoryBound: 0
; FloatMode: 240
; IeeeMode: 1
; LDSByteSize: 0 bytes/workgroup (compile time only)
; SGPRBlocks: 0
; VGPRBlocks: 0
; NumSGPRsForWavesPerEU: 1
; NumVGPRsForWavesPerEU: 1
; NamedBarCnt: 0
; Occupancy: 16
; WaveLimiterHint : 0
; COMPUTE_PGM_RSRC2:SCRATCH_EN: 0
; COMPUTE_PGM_RSRC2:USER_SGPR: 2
; COMPUTE_PGM_RSRC2:TRAP_HANDLER: 0
; COMPUTE_PGM_RSRC2:TGID_X_EN: 1
; COMPUTE_PGM_RSRC2:TGID_Y_EN: 0
; COMPUTE_PGM_RSRC2:TGID_Z_EN: 0
; COMPUTE_PGM_RSRC2:TIDIG_COMP_CNT: 0
	.section	.text._ZN7rocprim17ROCPRIM_400000_NS6detail17trampoline_kernelINS0_14default_configENS1_25partition_config_selectorILNS1_17partition_subalgoE9EllbEEZZNS1_14partition_implILS5_9ELb0ES3_jPlS8_PNS0_10empty_typeENS0_5tupleIJS8_S9_EEENSB_IJS8_SA_EEENS0_18inequality_wrapperIZN2at6native12_GLOBAL__N_124unique_dim_cuda_templateIaEESt5tupleIJNSF_6TensorESK_SK_EERKSK_lbbbEUlllE0_EEPmJS9_EEE10hipError_tPvRmT3_T4_T5_T6_T7_T9_mT8_P12ihipStream_tbDpT10_ENKUlT_T0_E_clISt17integral_constantIbLb1EES19_IbLb0EEEEDaS15_S16_EUlS15_E_NS1_11comp_targetILNS1_3genE3ELNS1_11target_archE908ELNS1_3gpuE7ELNS1_3repE0EEENS1_30default_config_static_selectorELNS0_4arch9wavefront6targetE0EEEvT1_,"axG",@progbits,_ZN7rocprim17ROCPRIM_400000_NS6detail17trampoline_kernelINS0_14default_configENS1_25partition_config_selectorILNS1_17partition_subalgoE9EllbEEZZNS1_14partition_implILS5_9ELb0ES3_jPlS8_PNS0_10empty_typeENS0_5tupleIJS8_S9_EEENSB_IJS8_SA_EEENS0_18inequality_wrapperIZN2at6native12_GLOBAL__N_124unique_dim_cuda_templateIaEESt5tupleIJNSF_6TensorESK_SK_EERKSK_lbbbEUlllE0_EEPmJS9_EEE10hipError_tPvRmT3_T4_T5_T6_T7_T9_mT8_P12ihipStream_tbDpT10_ENKUlT_T0_E_clISt17integral_constantIbLb1EES19_IbLb0EEEEDaS15_S16_EUlS15_E_NS1_11comp_targetILNS1_3genE3ELNS1_11target_archE908ELNS1_3gpuE7ELNS1_3repE0EEENS1_30default_config_static_selectorELNS0_4arch9wavefront6targetE0EEEvT1_,comdat
	.globl	_ZN7rocprim17ROCPRIM_400000_NS6detail17trampoline_kernelINS0_14default_configENS1_25partition_config_selectorILNS1_17partition_subalgoE9EllbEEZZNS1_14partition_implILS5_9ELb0ES3_jPlS8_PNS0_10empty_typeENS0_5tupleIJS8_S9_EEENSB_IJS8_SA_EEENS0_18inequality_wrapperIZN2at6native12_GLOBAL__N_124unique_dim_cuda_templateIaEESt5tupleIJNSF_6TensorESK_SK_EERKSK_lbbbEUlllE0_EEPmJS9_EEE10hipError_tPvRmT3_T4_T5_T6_T7_T9_mT8_P12ihipStream_tbDpT10_ENKUlT_T0_E_clISt17integral_constantIbLb1EES19_IbLb0EEEEDaS15_S16_EUlS15_E_NS1_11comp_targetILNS1_3genE3ELNS1_11target_archE908ELNS1_3gpuE7ELNS1_3repE0EEENS1_30default_config_static_selectorELNS0_4arch9wavefront6targetE0EEEvT1_ ; -- Begin function _ZN7rocprim17ROCPRIM_400000_NS6detail17trampoline_kernelINS0_14default_configENS1_25partition_config_selectorILNS1_17partition_subalgoE9EllbEEZZNS1_14partition_implILS5_9ELb0ES3_jPlS8_PNS0_10empty_typeENS0_5tupleIJS8_S9_EEENSB_IJS8_SA_EEENS0_18inequality_wrapperIZN2at6native12_GLOBAL__N_124unique_dim_cuda_templateIaEESt5tupleIJNSF_6TensorESK_SK_EERKSK_lbbbEUlllE0_EEPmJS9_EEE10hipError_tPvRmT3_T4_T5_T6_T7_T9_mT8_P12ihipStream_tbDpT10_ENKUlT_T0_E_clISt17integral_constantIbLb1EES19_IbLb0EEEEDaS15_S16_EUlS15_E_NS1_11comp_targetILNS1_3genE3ELNS1_11target_archE908ELNS1_3gpuE7ELNS1_3repE0EEENS1_30default_config_static_selectorELNS0_4arch9wavefront6targetE0EEEvT1_
	.p2align	8
	.type	_ZN7rocprim17ROCPRIM_400000_NS6detail17trampoline_kernelINS0_14default_configENS1_25partition_config_selectorILNS1_17partition_subalgoE9EllbEEZZNS1_14partition_implILS5_9ELb0ES3_jPlS8_PNS0_10empty_typeENS0_5tupleIJS8_S9_EEENSB_IJS8_SA_EEENS0_18inequality_wrapperIZN2at6native12_GLOBAL__N_124unique_dim_cuda_templateIaEESt5tupleIJNSF_6TensorESK_SK_EERKSK_lbbbEUlllE0_EEPmJS9_EEE10hipError_tPvRmT3_T4_T5_T6_T7_T9_mT8_P12ihipStream_tbDpT10_ENKUlT_T0_E_clISt17integral_constantIbLb1EES19_IbLb0EEEEDaS15_S16_EUlS15_E_NS1_11comp_targetILNS1_3genE3ELNS1_11target_archE908ELNS1_3gpuE7ELNS1_3repE0EEENS1_30default_config_static_selectorELNS0_4arch9wavefront6targetE0EEEvT1_,@function
_ZN7rocprim17ROCPRIM_400000_NS6detail17trampoline_kernelINS0_14default_configENS1_25partition_config_selectorILNS1_17partition_subalgoE9EllbEEZZNS1_14partition_implILS5_9ELb0ES3_jPlS8_PNS0_10empty_typeENS0_5tupleIJS8_S9_EEENSB_IJS8_SA_EEENS0_18inequality_wrapperIZN2at6native12_GLOBAL__N_124unique_dim_cuda_templateIaEESt5tupleIJNSF_6TensorESK_SK_EERKSK_lbbbEUlllE0_EEPmJS9_EEE10hipError_tPvRmT3_T4_T5_T6_T7_T9_mT8_P12ihipStream_tbDpT10_ENKUlT_T0_E_clISt17integral_constantIbLb1EES19_IbLb0EEEEDaS15_S16_EUlS15_E_NS1_11comp_targetILNS1_3genE3ELNS1_11target_archE908ELNS1_3gpuE7ELNS1_3repE0EEENS1_30default_config_static_selectorELNS0_4arch9wavefront6targetE0EEEvT1_: ; @_ZN7rocprim17ROCPRIM_400000_NS6detail17trampoline_kernelINS0_14default_configENS1_25partition_config_selectorILNS1_17partition_subalgoE9EllbEEZZNS1_14partition_implILS5_9ELb0ES3_jPlS8_PNS0_10empty_typeENS0_5tupleIJS8_S9_EEENSB_IJS8_SA_EEENS0_18inequality_wrapperIZN2at6native12_GLOBAL__N_124unique_dim_cuda_templateIaEESt5tupleIJNSF_6TensorESK_SK_EERKSK_lbbbEUlllE0_EEPmJS9_EEE10hipError_tPvRmT3_T4_T5_T6_T7_T9_mT8_P12ihipStream_tbDpT10_ENKUlT_T0_E_clISt17integral_constantIbLb1EES19_IbLb0EEEEDaS15_S16_EUlS15_E_NS1_11comp_targetILNS1_3genE3ELNS1_11target_archE908ELNS1_3gpuE7ELNS1_3repE0EEENS1_30default_config_static_selectorELNS0_4arch9wavefront6targetE0EEEvT1_
; %bb.0:
	.section	.rodata,"a",@progbits
	.p2align	6, 0x0
	.amdhsa_kernel _ZN7rocprim17ROCPRIM_400000_NS6detail17trampoline_kernelINS0_14default_configENS1_25partition_config_selectorILNS1_17partition_subalgoE9EllbEEZZNS1_14partition_implILS5_9ELb0ES3_jPlS8_PNS0_10empty_typeENS0_5tupleIJS8_S9_EEENSB_IJS8_SA_EEENS0_18inequality_wrapperIZN2at6native12_GLOBAL__N_124unique_dim_cuda_templateIaEESt5tupleIJNSF_6TensorESK_SK_EERKSK_lbbbEUlllE0_EEPmJS9_EEE10hipError_tPvRmT3_T4_T5_T6_T7_T9_mT8_P12ihipStream_tbDpT10_ENKUlT_T0_E_clISt17integral_constantIbLb1EES19_IbLb0EEEEDaS15_S16_EUlS15_E_NS1_11comp_targetILNS1_3genE3ELNS1_11target_archE908ELNS1_3gpuE7ELNS1_3repE0EEENS1_30default_config_static_selectorELNS0_4arch9wavefront6targetE0EEEvT1_
		.amdhsa_group_segment_fixed_size 0
		.amdhsa_private_segment_fixed_size 0
		.amdhsa_kernarg_size 120
		.amdhsa_user_sgpr_count 2
		.amdhsa_user_sgpr_dispatch_ptr 0
		.amdhsa_user_sgpr_queue_ptr 0
		.amdhsa_user_sgpr_kernarg_segment_ptr 1
		.amdhsa_user_sgpr_dispatch_id 0
		.amdhsa_user_sgpr_kernarg_preload_length 0
		.amdhsa_user_sgpr_kernarg_preload_offset 0
		.amdhsa_user_sgpr_private_segment_size 0
		.amdhsa_wavefront_size32 1
		.amdhsa_uses_dynamic_stack 0
		.amdhsa_enable_private_segment 0
		.amdhsa_system_sgpr_workgroup_id_x 1
		.amdhsa_system_sgpr_workgroup_id_y 0
		.amdhsa_system_sgpr_workgroup_id_z 0
		.amdhsa_system_sgpr_workgroup_info 0
		.amdhsa_system_vgpr_workitem_id 0
		.amdhsa_next_free_vgpr 1
		.amdhsa_next_free_sgpr 1
		.amdhsa_named_barrier_count 0
		.amdhsa_reserve_vcc 0
		.amdhsa_float_round_mode_32 0
		.amdhsa_float_round_mode_16_64 0
		.amdhsa_float_denorm_mode_32 3
		.amdhsa_float_denorm_mode_16_64 3
		.amdhsa_fp16_overflow 0
		.amdhsa_memory_ordered 1
		.amdhsa_forward_progress 1
		.amdhsa_inst_pref_size 0
		.amdhsa_round_robin_scheduling 0
		.amdhsa_exception_fp_ieee_invalid_op 0
		.amdhsa_exception_fp_denorm_src 0
		.amdhsa_exception_fp_ieee_div_zero 0
		.amdhsa_exception_fp_ieee_overflow 0
		.amdhsa_exception_fp_ieee_underflow 0
		.amdhsa_exception_fp_ieee_inexact 0
		.amdhsa_exception_int_div_zero 0
	.end_amdhsa_kernel
	.section	.text._ZN7rocprim17ROCPRIM_400000_NS6detail17trampoline_kernelINS0_14default_configENS1_25partition_config_selectorILNS1_17partition_subalgoE9EllbEEZZNS1_14partition_implILS5_9ELb0ES3_jPlS8_PNS0_10empty_typeENS0_5tupleIJS8_S9_EEENSB_IJS8_SA_EEENS0_18inequality_wrapperIZN2at6native12_GLOBAL__N_124unique_dim_cuda_templateIaEESt5tupleIJNSF_6TensorESK_SK_EERKSK_lbbbEUlllE0_EEPmJS9_EEE10hipError_tPvRmT3_T4_T5_T6_T7_T9_mT8_P12ihipStream_tbDpT10_ENKUlT_T0_E_clISt17integral_constantIbLb1EES19_IbLb0EEEEDaS15_S16_EUlS15_E_NS1_11comp_targetILNS1_3genE3ELNS1_11target_archE908ELNS1_3gpuE7ELNS1_3repE0EEENS1_30default_config_static_selectorELNS0_4arch9wavefront6targetE0EEEvT1_,"axG",@progbits,_ZN7rocprim17ROCPRIM_400000_NS6detail17trampoline_kernelINS0_14default_configENS1_25partition_config_selectorILNS1_17partition_subalgoE9EllbEEZZNS1_14partition_implILS5_9ELb0ES3_jPlS8_PNS0_10empty_typeENS0_5tupleIJS8_S9_EEENSB_IJS8_SA_EEENS0_18inequality_wrapperIZN2at6native12_GLOBAL__N_124unique_dim_cuda_templateIaEESt5tupleIJNSF_6TensorESK_SK_EERKSK_lbbbEUlllE0_EEPmJS9_EEE10hipError_tPvRmT3_T4_T5_T6_T7_T9_mT8_P12ihipStream_tbDpT10_ENKUlT_T0_E_clISt17integral_constantIbLb1EES19_IbLb0EEEEDaS15_S16_EUlS15_E_NS1_11comp_targetILNS1_3genE3ELNS1_11target_archE908ELNS1_3gpuE7ELNS1_3repE0EEENS1_30default_config_static_selectorELNS0_4arch9wavefront6targetE0EEEvT1_,comdat
.Lfunc_end370:
	.size	_ZN7rocprim17ROCPRIM_400000_NS6detail17trampoline_kernelINS0_14default_configENS1_25partition_config_selectorILNS1_17partition_subalgoE9EllbEEZZNS1_14partition_implILS5_9ELb0ES3_jPlS8_PNS0_10empty_typeENS0_5tupleIJS8_S9_EEENSB_IJS8_SA_EEENS0_18inequality_wrapperIZN2at6native12_GLOBAL__N_124unique_dim_cuda_templateIaEESt5tupleIJNSF_6TensorESK_SK_EERKSK_lbbbEUlllE0_EEPmJS9_EEE10hipError_tPvRmT3_T4_T5_T6_T7_T9_mT8_P12ihipStream_tbDpT10_ENKUlT_T0_E_clISt17integral_constantIbLb1EES19_IbLb0EEEEDaS15_S16_EUlS15_E_NS1_11comp_targetILNS1_3genE3ELNS1_11target_archE908ELNS1_3gpuE7ELNS1_3repE0EEENS1_30default_config_static_selectorELNS0_4arch9wavefront6targetE0EEEvT1_, .Lfunc_end370-_ZN7rocprim17ROCPRIM_400000_NS6detail17trampoline_kernelINS0_14default_configENS1_25partition_config_selectorILNS1_17partition_subalgoE9EllbEEZZNS1_14partition_implILS5_9ELb0ES3_jPlS8_PNS0_10empty_typeENS0_5tupleIJS8_S9_EEENSB_IJS8_SA_EEENS0_18inequality_wrapperIZN2at6native12_GLOBAL__N_124unique_dim_cuda_templateIaEESt5tupleIJNSF_6TensorESK_SK_EERKSK_lbbbEUlllE0_EEPmJS9_EEE10hipError_tPvRmT3_T4_T5_T6_T7_T9_mT8_P12ihipStream_tbDpT10_ENKUlT_T0_E_clISt17integral_constantIbLb1EES19_IbLb0EEEEDaS15_S16_EUlS15_E_NS1_11comp_targetILNS1_3genE3ELNS1_11target_archE908ELNS1_3gpuE7ELNS1_3repE0EEENS1_30default_config_static_selectorELNS0_4arch9wavefront6targetE0EEEvT1_
                                        ; -- End function
	.set _ZN7rocprim17ROCPRIM_400000_NS6detail17trampoline_kernelINS0_14default_configENS1_25partition_config_selectorILNS1_17partition_subalgoE9EllbEEZZNS1_14partition_implILS5_9ELb0ES3_jPlS8_PNS0_10empty_typeENS0_5tupleIJS8_S9_EEENSB_IJS8_SA_EEENS0_18inequality_wrapperIZN2at6native12_GLOBAL__N_124unique_dim_cuda_templateIaEESt5tupleIJNSF_6TensorESK_SK_EERKSK_lbbbEUlllE0_EEPmJS9_EEE10hipError_tPvRmT3_T4_T5_T6_T7_T9_mT8_P12ihipStream_tbDpT10_ENKUlT_T0_E_clISt17integral_constantIbLb1EES19_IbLb0EEEEDaS15_S16_EUlS15_E_NS1_11comp_targetILNS1_3genE3ELNS1_11target_archE908ELNS1_3gpuE7ELNS1_3repE0EEENS1_30default_config_static_selectorELNS0_4arch9wavefront6targetE0EEEvT1_.num_vgpr, 0
	.set _ZN7rocprim17ROCPRIM_400000_NS6detail17trampoline_kernelINS0_14default_configENS1_25partition_config_selectorILNS1_17partition_subalgoE9EllbEEZZNS1_14partition_implILS5_9ELb0ES3_jPlS8_PNS0_10empty_typeENS0_5tupleIJS8_S9_EEENSB_IJS8_SA_EEENS0_18inequality_wrapperIZN2at6native12_GLOBAL__N_124unique_dim_cuda_templateIaEESt5tupleIJNSF_6TensorESK_SK_EERKSK_lbbbEUlllE0_EEPmJS9_EEE10hipError_tPvRmT3_T4_T5_T6_T7_T9_mT8_P12ihipStream_tbDpT10_ENKUlT_T0_E_clISt17integral_constantIbLb1EES19_IbLb0EEEEDaS15_S16_EUlS15_E_NS1_11comp_targetILNS1_3genE3ELNS1_11target_archE908ELNS1_3gpuE7ELNS1_3repE0EEENS1_30default_config_static_selectorELNS0_4arch9wavefront6targetE0EEEvT1_.num_agpr, 0
	.set _ZN7rocprim17ROCPRIM_400000_NS6detail17trampoline_kernelINS0_14default_configENS1_25partition_config_selectorILNS1_17partition_subalgoE9EllbEEZZNS1_14partition_implILS5_9ELb0ES3_jPlS8_PNS0_10empty_typeENS0_5tupleIJS8_S9_EEENSB_IJS8_SA_EEENS0_18inequality_wrapperIZN2at6native12_GLOBAL__N_124unique_dim_cuda_templateIaEESt5tupleIJNSF_6TensorESK_SK_EERKSK_lbbbEUlllE0_EEPmJS9_EEE10hipError_tPvRmT3_T4_T5_T6_T7_T9_mT8_P12ihipStream_tbDpT10_ENKUlT_T0_E_clISt17integral_constantIbLb1EES19_IbLb0EEEEDaS15_S16_EUlS15_E_NS1_11comp_targetILNS1_3genE3ELNS1_11target_archE908ELNS1_3gpuE7ELNS1_3repE0EEENS1_30default_config_static_selectorELNS0_4arch9wavefront6targetE0EEEvT1_.numbered_sgpr, 0
	.set _ZN7rocprim17ROCPRIM_400000_NS6detail17trampoline_kernelINS0_14default_configENS1_25partition_config_selectorILNS1_17partition_subalgoE9EllbEEZZNS1_14partition_implILS5_9ELb0ES3_jPlS8_PNS0_10empty_typeENS0_5tupleIJS8_S9_EEENSB_IJS8_SA_EEENS0_18inequality_wrapperIZN2at6native12_GLOBAL__N_124unique_dim_cuda_templateIaEESt5tupleIJNSF_6TensorESK_SK_EERKSK_lbbbEUlllE0_EEPmJS9_EEE10hipError_tPvRmT3_T4_T5_T6_T7_T9_mT8_P12ihipStream_tbDpT10_ENKUlT_T0_E_clISt17integral_constantIbLb1EES19_IbLb0EEEEDaS15_S16_EUlS15_E_NS1_11comp_targetILNS1_3genE3ELNS1_11target_archE908ELNS1_3gpuE7ELNS1_3repE0EEENS1_30default_config_static_selectorELNS0_4arch9wavefront6targetE0EEEvT1_.num_named_barrier, 0
	.set _ZN7rocprim17ROCPRIM_400000_NS6detail17trampoline_kernelINS0_14default_configENS1_25partition_config_selectorILNS1_17partition_subalgoE9EllbEEZZNS1_14partition_implILS5_9ELb0ES3_jPlS8_PNS0_10empty_typeENS0_5tupleIJS8_S9_EEENSB_IJS8_SA_EEENS0_18inequality_wrapperIZN2at6native12_GLOBAL__N_124unique_dim_cuda_templateIaEESt5tupleIJNSF_6TensorESK_SK_EERKSK_lbbbEUlllE0_EEPmJS9_EEE10hipError_tPvRmT3_T4_T5_T6_T7_T9_mT8_P12ihipStream_tbDpT10_ENKUlT_T0_E_clISt17integral_constantIbLb1EES19_IbLb0EEEEDaS15_S16_EUlS15_E_NS1_11comp_targetILNS1_3genE3ELNS1_11target_archE908ELNS1_3gpuE7ELNS1_3repE0EEENS1_30default_config_static_selectorELNS0_4arch9wavefront6targetE0EEEvT1_.private_seg_size, 0
	.set _ZN7rocprim17ROCPRIM_400000_NS6detail17trampoline_kernelINS0_14default_configENS1_25partition_config_selectorILNS1_17partition_subalgoE9EllbEEZZNS1_14partition_implILS5_9ELb0ES3_jPlS8_PNS0_10empty_typeENS0_5tupleIJS8_S9_EEENSB_IJS8_SA_EEENS0_18inequality_wrapperIZN2at6native12_GLOBAL__N_124unique_dim_cuda_templateIaEESt5tupleIJNSF_6TensorESK_SK_EERKSK_lbbbEUlllE0_EEPmJS9_EEE10hipError_tPvRmT3_T4_T5_T6_T7_T9_mT8_P12ihipStream_tbDpT10_ENKUlT_T0_E_clISt17integral_constantIbLb1EES19_IbLb0EEEEDaS15_S16_EUlS15_E_NS1_11comp_targetILNS1_3genE3ELNS1_11target_archE908ELNS1_3gpuE7ELNS1_3repE0EEENS1_30default_config_static_selectorELNS0_4arch9wavefront6targetE0EEEvT1_.uses_vcc, 0
	.set _ZN7rocprim17ROCPRIM_400000_NS6detail17trampoline_kernelINS0_14default_configENS1_25partition_config_selectorILNS1_17partition_subalgoE9EllbEEZZNS1_14partition_implILS5_9ELb0ES3_jPlS8_PNS0_10empty_typeENS0_5tupleIJS8_S9_EEENSB_IJS8_SA_EEENS0_18inequality_wrapperIZN2at6native12_GLOBAL__N_124unique_dim_cuda_templateIaEESt5tupleIJNSF_6TensorESK_SK_EERKSK_lbbbEUlllE0_EEPmJS9_EEE10hipError_tPvRmT3_T4_T5_T6_T7_T9_mT8_P12ihipStream_tbDpT10_ENKUlT_T0_E_clISt17integral_constantIbLb1EES19_IbLb0EEEEDaS15_S16_EUlS15_E_NS1_11comp_targetILNS1_3genE3ELNS1_11target_archE908ELNS1_3gpuE7ELNS1_3repE0EEENS1_30default_config_static_selectorELNS0_4arch9wavefront6targetE0EEEvT1_.uses_flat_scratch, 0
	.set _ZN7rocprim17ROCPRIM_400000_NS6detail17trampoline_kernelINS0_14default_configENS1_25partition_config_selectorILNS1_17partition_subalgoE9EllbEEZZNS1_14partition_implILS5_9ELb0ES3_jPlS8_PNS0_10empty_typeENS0_5tupleIJS8_S9_EEENSB_IJS8_SA_EEENS0_18inequality_wrapperIZN2at6native12_GLOBAL__N_124unique_dim_cuda_templateIaEESt5tupleIJNSF_6TensorESK_SK_EERKSK_lbbbEUlllE0_EEPmJS9_EEE10hipError_tPvRmT3_T4_T5_T6_T7_T9_mT8_P12ihipStream_tbDpT10_ENKUlT_T0_E_clISt17integral_constantIbLb1EES19_IbLb0EEEEDaS15_S16_EUlS15_E_NS1_11comp_targetILNS1_3genE3ELNS1_11target_archE908ELNS1_3gpuE7ELNS1_3repE0EEENS1_30default_config_static_selectorELNS0_4arch9wavefront6targetE0EEEvT1_.has_dyn_sized_stack, 0
	.set _ZN7rocprim17ROCPRIM_400000_NS6detail17trampoline_kernelINS0_14default_configENS1_25partition_config_selectorILNS1_17partition_subalgoE9EllbEEZZNS1_14partition_implILS5_9ELb0ES3_jPlS8_PNS0_10empty_typeENS0_5tupleIJS8_S9_EEENSB_IJS8_SA_EEENS0_18inequality_wrapperIZN2at6native12_GLOBAL__N_124unique_dim_cuda_templateIaEESt5tupleIJNSF_6TensorESK_SK_EERKSK_lbbbEUlllE0_EEPmJS9_EEE10hipError_tPvRmT3_T4_T5_T6_T7_T9_mT8_P12ihipStream_tbDpT10_ENKUlT_T0_E_clISt17integral_constantIbLb1EES19_IbLb0EEEEDaS15_S16_EUlS15_E_NS1_11comp_targetILNS1_3genE3ELNS1_11target_archE908ELNS1_3gpuE7ELNS1_3repE0EEENS1_30default_config_static_selectorELNS0_4arch9wavefront6targetE0EEEvT1_.has_recursion, 0
	.set _ZN7rocprim17ROCPRIM_400000_NS6detail17trampoline_kernelINS0_14default_configENS1_25partition_config_selectorILNS1_17partition_subalgoE9EllbEEZZNS1_14partition_implILS5_9ELb0ES3_jPlS8_PNS0_10empty_typeENS0_5tupleIJS8_S9_EEENSB_IJS8_SA_EEENS0_18inequality_wrapperIZN2at6native12_GLOBAL__N_124unique_dim_cuda_templateIaEESt5tupleIJNSF_6TensorESK_SK_EERKSK_lbbbEUlllE0_EEPmJS9_EEE10hipError_tPvRmT3_T4_T5_T6_T7_T9_mT8_P12ihipStream_tbDpT10_ENKUlT_T0_E_clISt17integral_constantIbLb1EES19_IbLb0EEEEDaS15_S16_EUlS15_E_NS1_11comp_targetILNS1_3genE3ELNS1_11target_archE908ELNS1_3gpuE7ELNS1_3repE0EEENS1_30default_config_static_selectorELNS0_4arch9wavefront6targetE0EEEvT1_.has_indirect_call, 0
	.section	.AMDGPU.csdata,"",@progbits
; Kernel info:
; codeLenInByte = 0
; TotalNumSgprs: 0
; NumVgprs: 0
; ScratchSize: 0
; MemoryBound: 0
; FloatMode: 240
; IeeeMode: 1
; LDSByteSize: 0 bytes/workgroup (compile time only)
; SGPRBlocks: 0
; VGPRBlocks: 0
; NumSGPRsForWavesPerEU: 1
; NumVGPRsForWavesPerEU: 1
; NamedBarCnt: 0
; Occupancy: 16
; WaveLimiterHint : 0
; COMPUTE_PGM_RSRC2:SCRATCH_EN: 0
; COMPUTE_PGM_RSRC2:USER_SGPR: 2
; COMPUTE_PGM_RSRC2:TRAP_HANDLER: 0
; COMPUTE_PGM_RSRC2:TGID_X_EN: 1
; COMPUTE_PGM_RSRC2:TGID_Y_EN: 0
; COMPUTE_PGM_RSRC2:TGID_Z_EN: 0
; COMPUTE_PGM_RSRC2:TIDIG_COMP_CNT: 0
	.section	.text._ZN7rocprim17ROCPRIM_400000_NS6detail17trampoline_kernelINS0_14default_configENS1_25partition_config_selectorILNS1_17partition_subalgoE9EllbEEZZNS1_14partition_implILS5_9ELb0ES3_jPlS8_PNS0_10empty_typeENS0_5tupleIJS8_S9_EEENSB_IJS8_SA_EEENS0_18inequality_wrapperIZN2at6native12_GLOBAL__N_124unique_dim_cuda_templateIaEESt5tupleIJNSF_6TensorESK_SK_EERKSK_lbbbEUlllE0_EEPmJS9_EEE10hipError_tPvRmT3_T4_T5_T6_T7_T9_mT8_P12ihipStream_tbDpT10_ENKUlT_T0_E_clISt17integral_constantIbLb1EES19_IbLb0EEEEDaS15_S16_EUlS15_E_NS1_11comp_targetILNS1_3genE2ELNS1_11target_archE906ELNS1_3gpuE6ELNS1_3repE0EEENS1_30default_config_static_selectorELNS0_4arch9wavefront6targetE0EEEvT1_,"axG",@progbits,_ZN7rocprim17ROCPRIM_400000_NS6detail17trampoline_kernelINS0_14default_configENS1_25partition_config_selectorILNS1_17partition_subalgoE9EllbEEZZNS1_14partition_implILS5_9ELb0ES3_jPlS8_PNS0_10empty_typeENS0_5tupleIJS8_S9_EEENSB_IJS8_SA_EEENS0_18inequality_wrapperIZN2at6native12_GLOBAL__N_124unique_dim_cuda_templateIaEESt5tupleIJNSF_6TensorESK_SK_EERKSK_lbbbEUlllE0_EEPmJS9_EEE10hipError_tPvRmT3_T4_T5_T6_T7_T9_mT8_P12ihipStream_tbDpT10_ENKUlT_T0_E_clISt17integral_constantIbLb1EES19_IbLb0EEEEDaS15_S16_EUlS15_E_NS1_11comp_targetILNS1_3genE2ELNS1_11target_archE906ELNS1_3gpuE6ELNS1_3repE0EEENS1_30default_config_static_selectorELNS0_4arch9wavefront6targetE0EEEvT1_,comdat
	.globl	_ZN7rocprim17ROCPRIM_400000_NS6detail17trampoline_kernelINS0_14default_configENS1_25partition_config_selectorILNS1_17partition_subalgoE9EllbEEZZNS1_14partition_implILS5_9ELb0ES3_jPlS8_PNS0_10empty_typeENS0_5tupleIJS8_S9_EEENSB_IJS8_SA_EEENS0_18inequality_wrapperIZN2at6native12_GLOBAL__N_124unique_dim_cuda_templateIaEESt5tupleIJNSF_6TensorESK_SK_EERKSK_lbbbEUlllE0_EEPmJS9_EEE10hipError_tPvRmT3_T4_T5_T6_T7_T9_mT8_P12ihipStream_tbDpT10_ENKUlT_T0_E_clISt17integral_constantIbLb1EES19_IbLb0EEEEDaS15_S16_EUlS15_E_NS1_11comp_targetILNS1_3genE2ELNS1_11target_archE906ELNS1_3gpuE6ELNS1_3repE0EEENS1_30default_config_static_selectorELNS0_4arch9wavefront6targetE0EEEvT1_ ; -- Begin function _ZN7rocprim17ROCPRIM_400000_NS6detail17trampoline_kernelINS0_14default_configENS1_25partition_config_selectorILNS1_17partition_subalgoE9EllbEEZZNS1_14partition_implILS5_9ELb0ES3_jPlS8_PNS0_10empty_typeENS0_5tupleIJS8_S9_EEENSB_IJS8_SA_EEENS0_18inequality_wrapperIZN2at6native12_GLOBAL__N_124unique_dim_cuda_templateIaEESt5tupleIJNSF_6TensorESK_SK_EERKSK_lbbbEUlllE0_EEPmJS9_EEE10hipError_tPvRmT3_T4_T5_T6_T7_T9_mT8_P12ihipStream_tbDpT10_ENKUlT_T0_E_clISt17integral_constantIbLb1EES19_IbLb0EEEEDaS15_S16_EUlS15_E_NS1_11comp_targetILNS1_3genE2ELNS1_11target_archE906ELNS1_3gpuE6ELNS1_3repE0EEENS1_30default_config_static_selectorELNS0_4arch9wavefront6targetE0EEEvT1_
	.p2align	8
	.type	_ZN7rocprim17ROCPRIM_400000_NS6detail17trampoline_kernelINS0_14default_configENS1_25partition_config_selectorILNS1_17partition_subalgoE9EllbEEZZNS1_14partition_implILS5_9ELb0ES3_jPlS8_PNS0_10empty_typeENS0_5tupleIJS8_S9_EEENSB_IJS8_SA_EEENS0_18inequality_wrapperIZN2at6native12_GLOBAL__N_124unique_dim_cuda_templateIaEESt5tupleIJNSF_6TensorESK_SK_EERKSK_lbbbEUlllE0_EEPmJS9_EEE10hipError_tPvRmT3_T4_T5_T6_T7_T9_mT8_P12ihipStream_tbDpT10_ENKUlT_T0_E_clISt17integral_constantIbLb1EES19_IbLb0EEEEDaS15_S16_EUlS15_E_NS1_11comp_targetILNS1_3genE2ELNS1_11target_archE906ELNS1_3gpuE6ELNS1_3repE0EEENS1_30default_config_static_selectorELNS0_4arch9wavefront6targetE0EEEvT1_,@function
_ZN7rocprim17ROCPRIM_400000_NS6detail17trampoline_kernelINS0_14default_configENS1_25partition_config_selectorILNS1_17partition_subalgoE9EllbEEZZNS1_14partition_implILS5_9ELb0ES3_jPlS8_PNS0_10empty_typeENS0_5tupleIJS8_S9_EEENSB_IJS8_SA_EEENS0_18inequality_wrapperIZN2at6native12_GLOBAL__N_124unique_dim_cuda_templateIaEESt5tupleIJNSF_6TensorESK_SK_EERKSK_lbbbEUlllE0_EEPmJS9_EEE10hipError_tPvRmT3_T4_T5_T6_T7_T9_mT8_P12ihipStream_tbDpT10_ENKUlT_T0_E_clISt17integral_constantIbLb1EES19_IbLb0EEEEDaS15_S16_EUlS15_E_NS1_11comp_targetILNS1_3genE2ELNS1_11target_archE906ELNS1_3gpuE6ELNS1_3repE0EEENS1_30default_config_static_selectorELNS0_4arch9wavefront6targetE0EEEvT1_: ; @_ZN7rocprim17ROCPRIM_400000_NS6detail17trampoline_kernelINS0_14default_configENS1_25partition_config_selectorILNS1_17partition_subalgoE9EllbEEZZNS1_14partition_implILS5_9ELb0ES3_jPlS8_PNS0_10empty_typeENS0_5tupleIJS8_S9_EEENSB_IJS8_SA_EEENS0_18inequality_wrapperIZN2at6native12_GLOBAL__N_124unique_dim_cuda_templateIaEESt5tupleIJNSF_6TensorESK_SK_EERKSK_lbbbEUlllE0_EEPmJS9_EEE10hipError_tPvRmT3_T4_T5_T6_T7_T9_mT8_P12ihipStream_tbDpT10_ENKUlT_T0_E_clISt17integral_constantIbLb1EES19_IbLb0EEEEDaS15_S16_EUlS15_E_NS1_11comp_targetILNS1_3genE2ELNS1_11target_archE906ELNS1_3gpuE6ELNS1_3repE0EEENS1_30default_config_static_selectorELNS0_4arch9wavefront6targetE0EEEvT1_
; %bb.0:
	.section	.rodata,"a",@progbits
	.p2align	6, 0x0
	.amdhsa_kernel _ZN7rocprim17ROCPRIM_400000_NS6detail17trampoline_kernelINS0_14default_configENS1_25partition_config_selectorILNS1_17partition_subalgoE9EllbEEZZNS1_14partition_implILS5_9ELb0ES3_jPlS8_PNS0_10empty_typeENS0_5tupleIJS8_S9_EEENSB_IJS8_SA_EEENS0_18inequality_wrapperIZN2at6native12_GLOBAL__N_124unique_dim_cuda_templateIaEESt5tupleIJNSF_6TensorESK_SK_EERKSK_lbbbEUlllE0_EEPmJS9_EEE10hipError_tPvRmT3_T4_T5_T6_T7_T9_mT8_P12ihipStream_tbDpT10_ENKUlT_T0_E_clISt17integral_constantIbLb1EES19_IbLb0EEEEDaS15_S16_EUlS15_E_NS1_11comp_targetILNS1_3genE2ELNS1_11target_archE906ELNS1_3gpuE6ELNS1_3repE0EEENS1_30default_config_static_selectorELNS0_4arch9wavefront6targetE0EEEvT1_
		.amdhsa_group_segment_fixed_size 0
		.amdhsa_private_segment_fixed_size 0
		.amdhsa_kernarg_size 120
		.amdhsa_user_sgpr_count 2
		.amdhsa_user_sgpr_dispatch_ptr 0
		.amdhsa_user_sgpr_queue_ptr 0
		.amdhsa_user_sgpr_kernarg_segment_ptr 1
		.amdhsa_user_sgpr_dispatch_id 0
		.amdhsa_user_sgpr_kernarg_preload_length 0
		.amdhsa_user_sgpr_kernarg_preload_offset 0
		.amdhsa_user_sgpr_private_segment_size 0
		.amdhsa_wavefront_size32 1
		.amdhsa_uses_dynamic_stack 0
		.amdhsa_enable_private_segment 0
		.amdhsa_system_sgpr_workgroup_id_x 1
		.amdhsa_system_sgpr_workgroup_id_y 0
		.amdhsa_system_sgpr_workgroup_id_z 0
		.amdhsa_system_sgpr_workgroup_info 0
		.amdhsa_system_vgpr_workitem_id 0
		.amdhsa_next_free_vgpr 1
		.amdhsa_next_free_sgpr 1
		.amdhsa_named_barrier_count 0
		.amdhsa_reserve_vcc 0
		.amdhsa_float_round_mode_32 0
		.amdhsa_float_round_mode_16_64 0
		.amdhsa_float_denorm_mode_32 3
		.amdhsa_float_denorm_mode_16_64 3
		.amdhsa_fp16_overflow 0
		.amdhsa_memory_ordered 1
		.amdhsa_forward_progress 1
		.amdhsa_inst_pref_size 0
		.amdhsa_round_robin_scheduling 0
		.amdhsa_exception_fp_ieee_invalid_op 0
		.amdhsa_exception_fp_denorm_src 0
		.amdhsa_exception_fp_ieee_div_zero 0
		.amdhsa_exception_fp_ieee_overflow 0
		.amdhsa_exception_fp_ieee_underflow 0
		.amdhsa_exception_fp_ieee_inexact 0
		.amdhsa_exception_int_div_zero 0
	.end_amdhsa_kernel
	.section	.text._ZN7rocprim17ROCPRIM_400000_NS6detail17trampoline_kernelINS0_14default_configENS1_25partition_config_selectorILNS1_17partition_subalgoE9EllbEEZZNS1_14partition_implILS5_9ELb0ES3_jPlS8_PNS0_10empty_typeENS0_5tupleIJS8_S9_EEENSB_IJS8_SA_EEENS0_18inequality_wrapperIZN2at6native12_GLOBAL__N_124unique_dim_cuda_templateIaEESt5tupleIJNSF_6TensorESK_SK_EERKSK_lbbbEUlllE0_EEPmJS9_EEE10hipError_tPvRmT3_T4_T5_T6_T7_T9_mT8_P12ihipStream_tbDpT10_ENKUlT_T0_E_clISt17integral_constantIbLb1EES19_IbLb0EEEEDaS15_S16_EUlS15_E_NS1_11comp_targetILNS1_3genE2ELNS1_11target_archE906ELNS1_3gpuE6ELNS1_3repE0EEENS1_30default_config_static_selectorELNS0_4arch9wavefront6targetE0EEEvT1_,"axG",@progbits,_ZN7rocprim17ROCPRIM_400000_NS6detail17trampoline_kernelINS0_14default_configENS1_25partition_config_selectorILNS1_17partition_subalgoE9EllbEEZZNS1_14partition_implILS5_9ELb0ES3_jPlS8_PNS0_10empty_typeENS0_5tupleIJS8_S9_EEENSB_IJS8_SA_EEENS0_18inequality_wrapperIZN2at6native12_GLOBAL__N_124unique_dim_cuda_templateIaEESt5tupleIJNSF_6TensorESK_SK_EERKSK_lbbbEUlllE0_EEPmJS9_EEE10hipError_tPvRmT3_T4_T5_T6_T7_T9_mT8_P12ihipStream_tbDpT10_ENKUlT_T0_E_clISt17integral_constantIbLb1EES19_IbLb0EEEEDaS15_S16_EUlS15_E_NS1_11comp_targetILNS1_3genE2ELNS1_11target_archE906ELNS1_3gpuE6ELNS1_3repE0EEENS1_30default_config_static_selectorELNS0_4arch9wavefront6targetE0EEEvT1_,comdat
.Lfunc_end371:
	.size	_ZN7rocprim17ROCPRIM_400000_NS6detail17trampoline_kernelINS0_14default_configENS1_25partition_config_selectorILNS1_17partition_subalgoE9EllbEEZZNS1_14partition_implILS5_9ELb0ES3_jPlS8_PNS0_10empty_typeENS0_5tupleIJS8_S9_EEENSB_IJS8_SA_EEENS0_18inequality_wrapperIZN2at6native12_GLOBAL__N_124unique_dim_cuda_templateIaEESt5tupleIJNSF_6TensorESK_SK_EERKSK_lbbbEUlllE0_EEPmJS9_EEE10hipError_tPvRmT3_T4_T5_T6_T7_T9_mT8_P12ihipStream_tbDpT10_ENKUlT_T0_E_clISt17integral_constantIbLb1EES19_IbLb0EEEEDaS15_S16_EUlS15_E_NS1_11comp_targetILNS1_3genE2ELNS1_11target_archE906ELNS1_3gpuE6ELNS1_3repE0EEENS1_30default_config_static_selectorELNS0_4arch9wavefront6targetE0EEEvT1_, .Lfunc_end371-_ZN7rocprim17ROCPRIM_400000_NS6detail17trampoline_kernelINS0_14default_configENS1_25partition_config_selectorILNS1_17partition_subalgoE9EllbEEZZNS1_14partition_implILS5_9ELb0ES3_jPlS8_PNS0_10empty_typeENS0_5tupleIJS8_S9_EEENSB_IJS8_SA_EEENS0_18inequality_wrapperIZN2at6native12_GLOBAL__N_124unique_dim_cuda_templateIaEESt5tupleIJNSF_6TensorESK_SK_EERKSK_lbbbEUlllE0_EEPmJS9_EEE10hipError_tPvRmT3_T4_T5_T6_T7_T9_mT8_P12ihipStream_tbDpT10_ENKUlT_T0_E_clISt17integral_constantIbLb1EES19_IbLb0EEEEDaS15_S16_EUlS15_E_NS1_11comp_targetILNS1_3genE2ELNS1_11target_archE906ELNS1_3gpuE6ELNS1_3repE0EEENS1_30default_config_static_selectorELNS0_4arch9wavefront6targetE0EEEvT1_
                                        ; -- End function
	.set _ZN7rocprim17ROCPRIM_400000_NS6detail17trampoline_kernelINS0_14default_configENS1_25partition_config_selectorILNS1_17partition_subalgoE9EllbEEZZNS1_14partition_implILS5_9ELb0ES3_jPlS8_PNS0_10empty_typeENS0_5tupleIJS8_S9_EEENSB_IJS8_SA_EEENS0_18inequality_wrapperIZN2at6native12_GLOBAL__N_124unique_dim_cuda_templateIaEESt5tupleIJNSF_6TensorESK_SK_EERKSK_lbbbEUlllE0_EEPmJS9_EEE10hipError_tPvRmT3_T4_T5_T6_T7_T9_mT8_P12ihipStream_tbDpT10_ENKUlT_T0_E_clISt17integral_constantIbLb1EES19_IbLb0EEEEDaS15_S16_EUlS15_E_NS1_11comp_targetILNS1_3genE2ELNS1_11target_archE906ELNS1_3gpuE6ELNS1_3repE0EEENS1_30default_config_static_selectorELNS0_4arch9wavefront6targetE0EEEvT1_.num_vgpr, 0
	.set _ZN7rocprim17ROCPRIM_400000_NS6detail17trampoline_kernelINS0_14default_configENS1_25partition_config_selectorILNS1_17partition_subalgoE9EllbEEZZNS1_14partition_implILS5_9ELb0ES3_jPlS8_PNS0_10empty_typeENS0_5tupleIJS8_S9_EEENSB_IJS8_SA_EEENS0_18inequality_wrapperIZN2at6native12_GLOBAL__N_124unique_dim_cuda_templateIaEESt5tupleIJNSF_6TensorESK_SK_EERKSK_lbbbEUlllE0_EEPmJS9_EEE10hipError_tPvRmT3_T4_T5_T6_T7_T9_mT8_P12ihipStream_tbDpT10_ENKUlT_T0_E_clISt17integral_constantIbLb1EES19_IbLb0EEEEDaS15_S16_EUlS15_E_NS1_11comp_targetILNS1_3genE2ELNS1_11target_archE906ELNS1_3gpuE6ELNS1_3repE0EEENS1_30default_config_static_selectorELNS0_4arch9wavefront6targetE0EEEvT1_.num_agpr, 0
	.set _ZN7rocprim17ROCPRIM_400000_NS6detail17trampoline_kernelINS0_14default_configENS1_25partition_config_selectorILNS1_17partition_subalgoE9EllbEEZZNS1_14partition_implILS5_9ELb0ES3_jPlS8_PNS0_10empty_typeENS0_5tupleIJS8_S9_EEENSB_IJS8_SA_EEENS0_18inequality_wrapperIZN2at6native12_GLOBAL__N_124unique_dim_cuda_templateIaEESt5tupleIJNSF_6TensorESK_SK_EERKSK_lbbbEUlllE0_EEPmJS9_EEE10hipError_tPvRmT3_T4_T5_T6_T7_T9_mT8_P12ihipStream_tbDpT10_ENKUlT_T0_E_clISt17integral_constantIbLb1EES19_IbLb0EEEEDaS15_S16_EUlS15_E_NS1_11comp_targetILNS1_3genE2ELNS1_11target_archE906ELNS1_3gpuE6ELNS1_3repE0EEENS1_30default_config_static_selectorELNS0_4arch9wavefront6targetE0EEEvT1_.numbered_sgpr, 0
	.set _ZN7rocprim17ROCPRIM_400000_NS6detail17trampoline_kernelINS0_14default_configENS1_25partition_config_selectorILNS1_17partition_subalgoE9EllbEEZZNS1_14partition_implILS5_9ELb0ES3_jPlS8_PNS0_10empty_typeENS0_5tupleIJS8_S9_EEENSB_IJS8_SA_EEENS0_18inequality_wrapperIZN2at6native12_GLOBAL__N_124unique_dim_cuda_templateIaEESt5tupleIJNSF_6TensorESK_SK_EERKSK_lbbbEUlllE0_EEPmJS9_EEE10hipError_tPvRmT3_T4_T5_T6_T7_T9_mT8_P12ihipStream_tbDpT10_ENKUlT_T0_E_clISt17integral_constantIbLb1EES19_IbLb0EEEEDaS15_S16_EUlS15_E_NS1_11comp_targetILNS1_3genE2ELNS1_11target_archE906ELNS1_3gpuE6ELNS1_3repE0EEENS1_30default_config_static_selectorELNS0_4arch9wavefront6targetE0EEEvT1_.num_named_barrier, 0
	.set _ZN7rocprim17ROCPRIM_400000_NS6detail17trampoline_kernelINS0_14default_configENS1_25partition_config_selectorILNS1_17partition_subalgoE9EllbEEZZNS1_14partition_implILS5_9ELb0ES3_jPlS8_PNS0_10empty_typeENS0_5tupleIJS8_S9_EEENSB_IJS8_SA_EEENS0_18inequality_wrapperIZN2at6native12_GLOBAL__N_124unique_dim_cuda_templateIaEESt5tupleIJNSF_6TensorESK_SK_EERKSK_lbbbEUlllE0_EEPmJS9_EEE10hipError_tPvRmT3_T4_T5_T6_T7_T9_mT8_P12ihipStream_tbDpT10_ENKUlT_T0_E_clISt17integral_constantIbLb1EES19_IbLb0EEEEDaS15_S16_EUlS15_E_NS1_11comp_targetILNS1_3genE2ELNS1_11target_archE906ELNS1_3gpuE6ELNS1_3repE0EEENS1_30default_config_static_selectorELNS0_4arch9wavefront6targetE0EEEvT1_.private_seg_size, 0
	.set _ZN7rocprim17ROCPRIM_400000_NS6detail17trampoline_kernelINS0_14default_configENS1_25partition_config_selectorILNS1_17partition_subalgoE9EllbEEZZNS1_14partition_implILS5_9ELb0ES3_jPlS8_PNS0_10empty_typeENS0_5tupleIJS8_S9_EEENSB_IJS8_SA_EEENS0_18inequality_wrapperIZN2at6native12_GLOBAL__N_124unique_dim_cuda_templateIaEESt5tupleIJNSF_6TensorESK_SK_EERKSK_lbbbEUlllE0_EEPmJS9_EEE10hipError_tPvRmT3_T4_T5_T6_T7_T9_mT8_P12ihipStream_tbDpT10_ENKUlT_T0_E_clISt17integral_constantIbLb1EES19_IbLb0EEEEDaS15_S16_EUlS15_E_NS1_11comp_targetILNS1_3genE2ELNS1_11target_archE906ELNS1_3gpuE6ELNS1_3repE0EEENS1_30default_config_static_selectorELNS0_4arch9wavefront6targetE0EEEvT1_.uses_vcc, 0
	.set _ZN7rocprim17ROCPRIM_400000_NS6detail17trampoline_kernelINS0_14default_configENS1_25partition_config_selectorILNS1_17partition_subalgoE9EllbEEZZNS1_14partition_implILS5_9ELb0ES3_jPlS8_PNS0_10empty_typeENS0_5tupleIJS8_S9_EEENSB_IJS8_SA_EEENS0_18inequality_wrapperIZN2at6native12_GLOBAL__N_124unique_dim_cuda_templateIaEESt5tupleIJNSF_6TensorESK_SK_EERKSK_lbbbEUlllE0_EEPmJS9_EEE10hipError_tPvRmT3_T4_T5_T6_T7_T9_mT8_P12ihipStream_tbDpT10_ENKUlT_T0_E_clISt17integral_constantIbLb1EES19_IbLb0EEEEDaS15_S16_EUlS15_E_NS1_11comp_targetILNS1_3genE2ELNS1_11target_archE906ELNS1_3gpuE6ELNS1_3repE0EEENS1_30default_config_static_selectorELNS0_4arch9wavefront6targetE0EEEvT1_.uses_flat_scratch, 0
	.set _ZN7rocprim17ROCPRIM_400000_NS6detail17trampoline_kernelINS0_14default_configENS1_25partition_config_selectorILNS1_17partition_subalgoE9EllbEEZZNS1_14partition_implILS5_9ELb0ES3_jPlS8_PNS0_10empty_typeENS0_5tupleIJS8_S9_EEENSB_IJS8_SA_EEENS0_18inequality_wrapperIZN2at6native12_GLOBAL__N_124unique_dim_cuda_templateIaEESt5tupleIJNSF_6TensorESK_SK_EERKSK_lbbbEUlllE0_EEPmJS9_EEE10hipError_tPvRmT3_T4_T5_T6_T7_T9_mT8_P12ihipStream_tbDpT10_ENKUlT_T0_E_clISt17integral_constantIbLb1EES19_IbLb0EEEEDaS15_S16_EUlS15_E_NS1_11comp_targetILNS1_3genE2ELNS1_11target_archE906ELNS1_3gpuE6ELNS1_3repE0EEENS1_30default_config_static_selectorELNS0_4arch9wavefront6targetE0EEEvT1_.has_dyn_sized_stack, 0
	.set _ZN7rocprim17ROCPRIM_400000_NS6detail17trampoline_kernelINS0_14default_configENS1_25partition_config_selectorILNS1_17partition_subalgoE9EllbEEZZNS1_14partition_implILS5_9ELb0ES3_jPlS8_PNS0_10empty_typeENS0_5tupleIJS8_S9_EEENSB_IJS8_SA_EEENS0_18inequality_wrapperIZN2at6native12_GLOBAL__N_124unique_dim_cuda_templateIaEESt5tupleIJNSF_6TensorESK_SK_EERKSK_lbbbEUlllE0_EEPmJS9_EEE10hipError_tPvRmT3_T4_T5_T6_T7_T9_mT8_P12ihipStream_tbDpT10_ENKUlT_T0_E_clISt17integral_constantIbLb1EES19_IbLb0EEEEDaS15_S16_EUlS15_E_NS1_11comp_targetILNS1_3genE2ELNS1_11target_archE906ELNS1_3gpuE6ELNS1_3repE0EEENS1_30default_config_static_selectorELNS0_4arch9wavefront6targetE0EEEvT1_.has_recursion, 0
	.set _ZN7rocprim17ROCPRIM_400000_NS6detail17trampoline_kernelINS0_14default_configENS1_25partition_config_selectorILNS1_17partition_subalgoE9EllbEEZZNS1_14partition_implILS5_9ELb0ES3_jPlS8_PNS0_10empty_typeENS0_5tupleIJS8_S9_EEENSB_IJS8_SA_EEENS0_18inequality_wrapperIZN2at6native12_GLOBAL__N_124unique_dim_cuda_templateIaEESt5tupleIJNSF_6TensorESK_SK_EERKSK_lbbbEUlllE0_EEPmJS9_EEE10hipError_tPvRmT3_T4_T5_T6_T7_T9_mT8_P12ihipStream_tbDpT10_ENKUlT_T0_E_clISt17integral_constantIbLb1EES19_IbLb0EEEEDaS15_S16_EUlS15_E_NS1_11comp_targetILNS1_3genE2ELNS1_11target_archE906ELNS1_3gpuE6ELNS1_3repE0EEENS1_30default_config_static_selectorELNS0_4arch9wavefront6targetE0EEEvT1_.has_indirect_call, 0
	.section	.AMDGPU.csdata,"",@progbits
; Kernel info:
; codeLenInByte = 0
; TotalNumSgprs: 0
; NumVgprs: 0
; ScratchSize: 0
; MemoryBound: 0
; FloatMode: 240
; IeeeMode: 1
; LDSByteSize: 0 bytes/workgroup (compile time only)
; SGPRBlocks: 0
; VGPRBlocks: 0
; NumSGPRsForWavesPerEU: 1
; NumVGPRsForWavesPerEU: 1
; NamedBarCnt: 0
; Occupancy: 16
; WaveLimiterHint : 0
; COMPUTE_PGM_RSRC2:SCRATCH_EN: 0
; COMPUTE_PGM_RSRC2:USER_SGPR: 2
; COMPUTE_PGM_RSRC2:TRAP_HANDLER: 0
; COMPUTE_PGM_RSRC2:TGID_X_EN: 1
; COMPUTE_PGM_RSRC2:TGID_Y_EN: 0
; COMPUTE_PGM_RSRC2:TGID_Z_EN: 0
; COMPUTE_PGM_RSRC2:TIDIG_COMP_CNT: 0
	.section	.text._ZN7rocprim17ROCPRIM_400000_NS6detail17trampoline_kernelINS0_14default_configENS1_25partition_config_selectorILNS1_17partition_subalgoE9EllbEEZZNS1_14partition_implILS5_9ELb0ES3_jPlS8_PNS0_10empty_typeENS0_5tupleIJS8_S9_EEENSB_IJS8_SA_EEENS0_18inequality_wrapperIZN2at6native12_GLOBAL__N_124unique_dim_cuda_templateIaEESt5tupleIJNSF_6TensorESK_SK_EERKSK_lbbbEUlllE0_EEPmJS9_EEE10hipError_tPvRmT3_T4_T5_T6_T7_T9_mT8_P12ihipStream_tbDpT10_ENKUlT_T0_E_clISt17integral_constantIbLb1EES19_IbLb0EEEEDaS15_S16_EUlS15_E_NS1_11comp_targetILNS1_3genE10ELNS1_11target_archE1200ELNS1_3gpuE4ELNS1_3repE0EEENS1_30default_config_static_selectorELNS0_4arch9wavefront6targetE0EEEvT1_,"axG",@progbits,_ZN7rocprim17ROCPRIM_400000_NS6detail17trampoline_kernelINS0_14default_configENS1_25partition_config_selectorILNS1_17partition_subalgoE9EllbEEZZNS1_14partition_implILS5_9ELb0ES3_jPlS8_PNS0_10empty_typeENS0_5tupleIJS8_S9_EEENSB_IJS8_SA_EEENS0_18inequality_wrapperIZN2at6native12_GLOBAL__N_124unique_dim_cuda_templateIaEESt5tupleIJNSF_6TensorESK_SK_EERKSK_lbbbEUlllE0_EEPmJS9_EEE10hipError_tPvRmT3_T4_T5_T6_T7_T9_mT8_P12ihipStream_tbDpT10_ENKUlT_T0_E_clISt17integral_constantIbLb1EES19_IbLb0EEEEDaS15_S16_EUlS15_E_NS1_11comp_targetILNS1_3genE10ELNS1_11target_archE1200ELNS1_3gpuE4ELNS1_3repE0EEENS1_30default_config_static_selectorELNS0_4arch9wavefront6targetE0EEEvT1_,comdat
	.globl	_ZN7rocprim17ROCPRIM_400000_NS6detail17trampoline_kernelINS0_14default_configENS1_25partition_config_selectorILNS1_17partition_subalgoE9EllbEEZZNS1_14partition_implILS5_9ELb0ES3_jPlS8_PNS0_10empty_typeENS0_5tupleIJS8_S9_EEENSB_IJS8_SA_EEENS0_18inequality_wrapperIZN2at6native12_GLOBAL__N_124unique_dim_cuda_templateIaEESt5tupleIJNSF_6TensorESK_SK_EERKSK_lbbbEUlllE0_EEPmJS9_EEE10hipError_tPvRmT3_T4_T5_T6_T7_T9_mT8_P12ihipStream_tbDpT10_ENKUlT_T0_E_clISt17integral_constantIbLb1EES19_IbLb0EEEEDaS15_S16_EUlS15_E_NS1_11comp_targetILNS1_3genE10ELNS1_11target_archE1200ELNS1_3gpuE4ELNS1_3repE0EEENS1_30default_config_static_selectorELNS0_4arch9wavefront6targetE0EEEvT1_ ; -- Begin function _ZN7rocprim17ROCPRIM_400000_NS6detail17trampoline_kernelINS0_14default_configENS1_25partition_config_selectorILNS1_17partition_subalgoE9EllbEEZZNS1_14partition_implILS5_9ELb0ES3_jPlS8_PNS0_10empty_typeENS0_5tupleIJS8_S9_EEENSB_IJS8_SA_EEENS0_18inequality_wrapperIZN2at6native12_GLOBAL__N_124unique_dim_cuda_templateIaEESt5tupleIJNSF_6TensorESK_SK_EERKSK_lbbbEUlllE0_EEPmJS9_EEE10hipError_tPvRmT3_T4_T5_T6_T7_T9_mT8_P12ihipStream_tbDpT10_ENKUlT_T0_E_clISt17integral_constantIbLb1EES19_IbLb0EEEEDaS15_S16_EUlS15_E_NS1_11comp_targetILNS1_3genE10ELNS1_11target_archE1200ELNS1_3gpuE4ELNS1_3repE0EEENS1_30default_config_static_selectorELNS0_4arch9wavefront6targetE0EEEvT1_
	.p2align	8
	.type	_ZN7rocprim17ROCPRIM_400000_NS6detail17trampoline_kernelINS0_14default_configENS1_25partition_config_selectorILNS1_17partition_subalgoE9EllbEEZZNS1_14partition_implILS5_9ELb0ES3_jPlS8_PNS0_10empty_typeENS0_5tupleIJS8_S9_EEENSB_IJS8_SA_EEENS0_18inequality_wrapperIZN2at6native12_GLOBAL__N_124unique_dim_cuda_templateIaEESt5tupleIJNSF_6TensorESK_SK_EERKSK_lbbbEUlllE0_EEPmJS9_EEE10hipError_tPvRmT3_T4_T5_T6_T7_T9_mT8_P12ihipStream_tbDpT10_ENKUlT_T0_E_clISt17integral_constantIbLb1EES19_IbLb0EEEEDaS15_S16_EUlS15_E_NS1_11comp_targetILNS1_3genE10ELNS1_11target_archE1200ELNS1_3gpuE4ELNS1_3repE0EEENS1_30default_config_static_selectorELNS0_4arch9wavefront6targetE0EEEvT1_,@function
_ZN7rocprim17ROCPRIM_400000_NS6detail17trampoline_kernelINS0_14default_configENS1_25partition_config_selectorILNS1_17partition_subalgoE9EllbEEZZNS1_14partition_implILS5_9ELb0ES3_jPlS8_PNS0_10empty_typeENS0_5tupleIJS8_S9_EEENSB_IJS8_SA_EEENS0_18inequality_wrapperIZN2at6native12_GLOBAL__N_124unique_dim_cuda_templateIaEESt5tupleIJNSF_6TensorESK_SK_EERKSK_lbbbEUlllE0_EEPmJS9_EEE10hipError_tPvRmT3_T4_T5_T6_T7_T9_mT8_P12ihipStream_tbDpT10_ENKUlT_T0_E_clISt17integral_constantIbLb1EES19_IbLb0EEEEDaS15_S16_EUlS15_E_NS1_11comp_targetILNS1_3genE10ELNS1_11target_archE1200ELNS1_3gpuE4ELNS1_3repE0EEENS1_30default_config_static_selectorELNS0_4arch9wavefront6targetE0EEEvT1_: ; @_ZN7rocprim17ROCPRIM_400000_NS6detail17trampoline_kernelINS0_14default_configENS1_25partition_config_selectorILNS1_17partition_subalgoE9EllbEEZZNS1_14partition_implILS5_9ELb0ES3_jPlS8_PNS0_10empty_typeENS0_5tupleIJS8_S9_EEENSB_IJS8_SA_EEENS0_18inequality_wrapperIZN2at6native12_GLOBAL__N_124unique_dim_cuda_templateIaEESt5tupleIJNSF_6TensorESK_SK_EERKSK_lbbbEUlllE0_EEPmJS9_EEE10hipError_tPvRmT3_T4_T5_T6_T7_T9_mT8_P12ihipStream_tbDpT10_ENKUlT_T0_E_clISt17integral_constantIbLb1EES19_IbLb0EEEEDaS15_S16_EUlS15_E_NS1_11comp_targetILNS1_3genE10ELNS1_11target_archE1200ELNS1_3gpuE4ELNS1_3repE0EEENS1_30default_config_static_selectorELNS0_4arch9wavefront6targetE0EEEvT1_
; %bb.0:
	.section	.rodata,"a",@progbits
	.p2align	6, 0x0
	.amdhsa_kernel _ZN7rocprim17ROCPRIM_400000_NS6detail17trampoline_kernelINS0_14default_configENS1_25partition_config_selectorILNS1_17partition_subalgoE9EllbEEZZNS1_14partition_implILS5_9ELb0ES3_jPlS8_PNS0_10empty_typeENS0_5tupleIJS8_S9_EEENSB_IJS8_SA_EEENS0_18inequality_wrapperIZN2at6native12_GLOBAL__N_124unique_dim_cuda_templateIaEESt5tupleIJNSF_6TensorESK_SK_EERKSK_lbbbEUlllE0_EEPmJS9_EEE10hipError_tPvRmT3_T4_T5_T6_T7_T9_mT8_P12ihipStream_tbDpT10_ENKUlT_T0_E_clISt17integral_constantIbLb1EES19_IbLb0EEEEDaS15_S16_EUlS15_E_NS1_11comp_targetILNS1_3genE10ELNS1_11target_archE1200ELNS1_3gpuE4ELNS1_3repE0EEENS1_30default_config_static_selectorELNS0_4arch9wavefront6targetE0EEEvT1_
		.amdhsa_group_segment_fixed_size 0
		.amdhsa_private_segment_fixed_size 0
		.amdhsa_kernarg_size 120
		.amdhsa_user_sgpr_count 2
		.amdhsa_user_sgpr_dispatch_ptr 0
		.amdhsa_user_sgpr_queue_ptr 0
		.amdhsa_user_sgpr_kernarg_segment_ptr 1
		.amdhsa_user_sgpr_dispatch_id 0
		.amdhsa_user_sgpr_kernarg_preload_length 0
		.amdhsa_user_sgpr_kernarg_preload_offset 0
		.amdhsa_user_sgpr_private_segment_size 0
		.amdhsa_wavefront_size32 1
		.amdhsa_uses_dynamic_stack 0
		.amdhsa_enable_private_segment 0
		.amdhsa_system_sgpr_workgroup_id_x 1
		.amdhsa_system_sgpr_workgroup_id_y 0
		.amdhsa_system_sgpr_workgroup_id_z 0
		.amdhsa_system_sgpr_workgroup_info 0
		.amdhsa_system_vgpr_workitem_id 0
		.amdhsa_next_free_vgpr 1
		.amdhsa_next_free_sgpr 1
		.amdhsa_named_barrier_count 0
		.amdhsa_reserve_vcc 0
		.amdhsa_float_round_mode_32 0
		.amdhsa_float_round_mode_16_64 0
		.amdhsa_float_denorm_mode_32 3
		.amdhsa_float_denorm_mode_16_64 3
		.amdhsa_fp16_overflow 0
		.amdhsa_memory_ordered 1
		.amdhsa_forward_progress 1
		.amdhsa_inst_pref_size 0
		.amdhsa_round_robin_scheduling 0
		.amdhsa_exception_fp_ieee_invalid_op 0
		.amdhsa_exception_fp_denorm_src 0
		.amdhsa_exception_fp_ieee_div_zero 0
		.amdhsa_exception_fp_ieee_overflow 0
		.amdhsa_exception_fp_ieee_underflow 0
		.amdhsa_exception_fp_ieee_inexact 0
		.amdhsa_exception_int_div_zero 0
	.end_amdhsa_kernel
	.section	.text._ZN7rocprim17ROCPRIM_400000_NS6detail17trampoline_kernelINS0_14default_configENS1_25partition_config_selectorILNS1_17partition_subalgoE9EllbEEZZNS1_14partition_implILS5_9ELb0ES3_jPlS8_PNS0_10empty_typeENS0_5tupleIJS8_S9_EEENSB_IJS8_SA_EEENS0_18inequality_wrapperIZN2at6native12_GLOBAL__N_124unique_dim_cuda_templateIaEESt5tupleIJNSF_6TensorESK_SK_EERKSK_lbbbEUlllE0_EEPmJS9_EEE10hipError_tPvRmT3_T4_T5_T6_T7_T9_mT8_P12ihipStream_tbDpT10_ENKUlT_T0_E_clISt17integral_constantIbLb1EES19_IbLb0EEEEDaS15_S16_EUlS15_E_NS1_11comp_targetILNS1_3genE10ELNS1_11target_archE1200ELNS1_3gpuE4ELNS1_3repE0EEENS1_30default_config_static_selectorELNS0_4arch9wavefront6targetE0EEEvT1_,"axG",@progbits,_ZN7rocprim17ROCPRIM_400000_NS6detail17trampoline_kernelINS0_14default_configENS1_25partition_config_selectorILNS1_17partition_subalgoE9EllbEEZZNS1_14partition_implILS5_9ELb0ES3_jPlS8_PNS0_10empty_typeENS0_5tupleIJS8_S9_EEENSB_IJS8_SA_EEENS0_18inequality_wrapperIZN2at6native12_GLOBAL__N_124unique_dim_cuda_templateIaEESt5tupleIJNSF_6TensorESK_SK_EERKSK_lbbbEUlllE0_EEPmJS9_EEE10hipError_tPvRmT3_T4_T5_T6_T7_T9_mT8_P12ihipStream_tbDpT10_ENKUlT_T0_E_clISt17integral_constantIbLb1EES19_IbLb0EEEEDaS15_S16_EUlS15_E_NS1_11comp_targetILNS1_3genE10ELNS1_11target_archE1200ELNS1_3gpuE4ELNS1_3repE0EEENS1_30default_config_static_selectorELNS0_4arch9wavefront6targetE0EEEvT1_,comdat
.Lfunc_end372:
	.size	_ZN7rocprim17ROCPRIM_400000_NS6detail17trampoline_kernelINS0_14default_configENS1_25partition_config_selectorILNS1_17partition_subalgoE9EllbEEZZNS1_14partition_implILS5_9ELb0ES3_jPlS8_PNS0_10empty_typeENS0_5tupleIJS8_S9_EEENSB_IJS8_SA_EEENS0_18inequality_wrapperIZN2at6native12_GLOBAL__N_124unique_dim_cuda_templateIaEESt5tupleIJNSF_6TensorESK_SK_EERKSK_lbbbEUlllE0_EEPmJS9_EEE10hipError_tPvRmT3_T4_T5_T6_T7_T9_mT8_P12ihipStream_tbDpT10_ENKUlT_T0_E_clISt17integral_constantIbLb1EES19_IbLb0EEEEDaS15_S16_EUlS15_E_NS1_11comp_targetILNS1_3genE10ELNS1_11target_archE1200ELNS1_3gpuE4ELNS1_3repE0EEENS1_30default_config_static_selectorELNS0_4arch9wavefront6targetE0EEEvT1_, .Lfunc_end372-_ZN7rocprim17ROCPRIM_400000_NS6detail17trampoline_kernelINS0_14default_configENS1_25partition_config_selectorILNS1_17partition_subalgoE9EllbEEZZNS1_14partition_implILS5_9ELb0ES3_jPlS8_PNS0_10empty_typeENS0_5tupleIJS8_S9_EEENSB_IJS8_SA_EEENS0_18inequality_wrapperIZN2at6native12_GLOBAL__N_124unique_dim_cuda_templateIaEESt5tupleIJNSF_6TensorESK_SK_EERKSK_lbbbEUlllE0_EEPmJS9_EEE10hipError_tPvRmT3_T4_T5_T6_T7_T9_mT8_P12ihipStream_tbDpT10_ENKUlT_T0_E_clISt17integral_constantIbLb1EES19_IbLb0EEEEDaS15_S16_EUlS15_E_NS1_11comp_targetILNS1_3genE10ELNS1_11target_archE1200ELNS1_3gpuE4ELNS1_3repE0EEENS1_30default_config_static_selectorELNS0_4arch9wavefront6targetE0EEEvT1_
                                        ; -- End function
	.set _ZN7rocprim17ROCPRIM_400000_NS6detail17trampoline_kernelINS0_14default_configENS1_25partition_config_selectorILNS1_17partition_subalgoE9EllbEEZZNS1_14partition_implILS5_9ELb0ES3_jPlS8_PNS0_10empty_typeENS0_5tupleIJS8_S9_EEENSB_IJS8_SA_EEENS0_18inequality_wrapperIZN2at6native12_GLOBAL__N_124unique_dim_cuda_templateIaEESt5tupleIJNSF_6TensorESK_SK_EERKSK_lbbbEUlllE0_EEPmJS9_EEE10hipError_tPvRmT3_T4_T5_T6_T7_T9_mT8_P12ihipStream_tbDpT10_ENKUlT_T0_E_clISt17integral_constantIbLb1EES19_IbLb0EEEEDaS15_S16_EUlS15_E_NS1_11comp_targetILNS1_3genE10ELNS1_11target_archE1200ELNS1_3gpuE4ELNS1_3repE0EEENS1_30default_config_static_selectorELNS0_4arch9wavefront6targetE0EEEvT1_.num_vgpr, 0
	.set _ZN7rocprim17ROCPRIM_400000_NS6detail17trampoline_kernelINS0_14default_configENS1_25partition_config_selectorILNS1_17partition_subalgoE9EllbEEZZNS1_14partition_implILS5_9ELb0ES3_jPlS8_PNS0_10empty_typeENS0_5tupleIJS8_S9_EEENSB_IJS8_SA_EEENS0_18inequality_wrapperIZN2at6native12_GLOBAL__N_124unique_dim_cuda_templateIaEESt5tupleIJNSF_6TensorESK_SK_EERKSK_lbbbEUlllE0_EEPmJS9_EEE10hipError_tPvRmT3_T4_T5_T6_T7_T9_mT8_P12ihipStream_tbDpT10_ENKUlT_T0_E_clISt17integral_constantIbLb1EES19_IbLb0EEEEDaS15_S16_EUlS15_E_NS1_11comp_targetILNS1_3genE10ELNS1_11target_archE1200ELNS1_3gpuE4ELNS1_3repE0EEENS1_30default_config_static_selectorELNS0_4arch9wavefront6targetE0EEEvT1_.num_agpr, 0
	.set _ZN7rocprim17ROCPRIM_400000_NS6detail17trampoline_kernelINS0_14default_configENS1_25partition_config_selectorILNS1_17partition_subalgoE9EllbEEZZNS1_14partition_implILS5_9ELb0ES3_jPlS8_PNS0_10empty_typeENS0_5tupleIJS8_S9_EEENSB_IJS8_SA_EEENS0_18inequality_wrapperIZN2at6native12_GLOBAL__N_124unique_dim_cuda_templateIaEESt5tupleIJNSF_6TensorESK_SK_EERKSK_lbbbEUlllE0_EEPmJS9_EEE10hipError_tPvRmT3_T4_T5_T6_T7_T9_mT8_P12ihipStream_tbDpT10_ENKUlT_T0_E_clISt17integral_constantIbLb1EES19_IbLb0EEEEDaS15_S16_EUlS15_E_NS1_11comp_targetILNS1_3genE10ELNS1_11target_archE1200ELNS1_3gpuE4ELNS1_3repE0EEENS1_30default_config_static_selectorELNS0_4arch9wavefront6targetE0EEEvT1_.numbered_sgpr, 0
	.set _ZN7rocprim17ROCPRIM_400000_NS6detail17trampoline_kernelINS0_14default_configENS1_25partition_config_selectorILNS1_17partition_subalgoE9EllbEEZZNS1_14partition_implILS5_9ELb0ES3_jPlS8_PNS0_10empty_typeENS0_5tupleIJS8_S9_EEENSB_IJS8_SA_EEENS0_18inequality_wrapperIZN2at6native12_GLOBAL__N_124unique_dim_cuda_templateIaEESt5tupleIJNSF_6TensorESK_SK_EERKSK_lbbbEUlllE0_EEPmJS9_EEE10hipError_tPvRmT3_T4_T5_T6_T7_T9_mT8_P12ihipStream_tbDpT10_ENKUlT_T0_E_clISt17integral_constantIbLb1EES19_IbLb0EEEEDaS15_S16_EUlS15_E_NS1_11comp_targetILNS1_3genE10ELNS1_11target_archE1200ELNS1_3gpuE4ELNS1_3repE0EEENS1_30default_config_static_selectorELNS0_4arch9wavefront6targetE0EEEvT1_.num_named_barrier, 0
	.set _ZN7rocprim17ROCPRIM_400000_NS6detail17trampoline_kernelINS0_14default_configENS1_25partition_config_selectorILNS1_17partition_subalgoE9EllbEEZZNS1_14partition_implILS5_9ELb0ES3_jPlS8_PNS0_10empty_typeENS0_5tupleIJS8_S9_EEENSB_IJS8_SA_EEENS0_18inequality_wrapperIZN2at6native12_GLOBAL__N_124unique_dim_cuda_templateIaEESt5tupleIJNSF_6TensorESK_SK_EERKSK_lbbbEUlllE0_EEPmJS9_EEE10hipError_tPvRmT3_T4_T5_T6_T7_T9_mT8_P12ihipStream_tbDpT10_ENKUlT_T0_E_clISt17integral_constantIbLb1EES19_IbLb0EEEEDaS15_S16_EUlS15_E_NS1_11comp_targetILNS1_3genE10ELNS1_11target_archE1200ELNS1_3gpuE4ELNS1_3repE0EEENS1_30default_config_static_selectorELNS0_4arch9wavefront6targetE0EEEvT1_.private_seg_size, 0
	.set _ZN7rocprim17ROCPRIM_400000_NS6detail17trampoline_kernelINS0_14default_configENS1_25partition_config_selectorILNS1_17partition_subalgoE9EllbEEZZNS1_14partition_implILS5_9ELb0ES3_jPlS8_PNS0_10empty_typeENS0_5tupleIJS8_S9_EEENSB_IJS8_SA_EEENS0_18inequality_wrapperIZN2at6native12_GLOBAL__N_124unique_dim_cuda_templateIaEESt5tupleIJNSF_6TensorESK_SK_EERKSK_lbbbEUlllE0_EEPmJS9_EEE10hipError_tPvRmT3_T4_T5_T6_T7_T9_mT8_P12ihipStream_tbDpT10_ENKUlT_T0_E_clISt17integral_constantIbLb1EES19_IbLb0EEEEDaS15_S16_EUlS15_E_NS1_11comp_targetILNS1_3genE10ELNS1_11target_archE1200ELNS1_3gpuE4ELNS1_3repE0EEENS1_30default_config_static_selectorELNS0_4arch9wavefront6targetE0EEEvT1_.uses_vcc, 0
	.set _ZN7rocprim17ROCPRIM_400000_NS6detail17trampoline_kernelINS0_14default_configENS1_25partition_config_selectorILNS1_17partition_subalgoE9EllbEEZZNS1_14partition_implILS5_9ELb0ES3_jPlS8_PNS0_10empty_typeENS0_5tupleIJS8_S9_EEENSB_IJS8_SA_EEENS0_18inequality_wrapperIZN2at6native12_GLOBAL__N_124unique_dim_cuda_templateIaEESt5tupleIJNSF_6TensorESK_SK_EERKSK_lbbbEUlllE0_EEPmJS9_EEE10hipError_tPvRmT3_T4_T5_T6_T7_T9_mT8_P12ihipStream_tbDpT10_ENKUlT_T0_E_clISt17integral_constantIbLb1EES19_IbLb0EEEEDaS15_S16_EUlS15_E_NS1_11comp_targetILNS1_3genE10ELNS1_11target_archE1200ELNS1_3gpuE4ELNS1_3repE0EEENS1_30default_config_static_selectorELNS0_4arch9wavefront6targetE0EEEvT1_.uses_flat_scratch, 0
	.set _ZN7rocprim17ROCPRIM_400000_NS6detail17trampoline_kernelINS0_14default_configENS1_25partition_config_selectorILNS1_17partition_subalgoE9EllbEEZZNS1_14partition_implILS5_9ELb0ES3_jPlS8_PNS0_10empty_typeENS0_5tupleIJS8_S9_EEENSB_IJS8_SA_EEENS0_18inequality_wrapperIZN2at6native12_GLOBAL__N_124unique_dim_cuda_templateIaEESt5tupleIJNSF_6TensorESK_SK_EERKSK_lbbbEUlllE0_EEPmJS9_EEE10hipError_tPvRmT3_T4_T5_T6_T7_T9_mT8_P12ihipStream_tbDpT10_ENKUlT_T0_E_clISt17integral_constantIbLb1EES19_IbLb0EEEEDaS15_S16_EUlS15_E_NS1_11comp_targetILNS1_3genE10ELNS1_11target_archE1200ELNS1_3gpuE4ELNS1_3repE0EEENS1_30default_config_static_selectorELNS0_4arch9wavefront6targetE0EEEvT1_.has_dyn_sized_stack, 0
	.set _ZN7rocprim17ROCPRIM_400000_NS6detail17trampoline_kernelINS0_14default_configENS1_25partition_config_selectorILNS1_17partition_subalgoE9EllbEEZZNS1_14partition_implILS5_9ELb0ES3_jPlS8_PNS0_10empty_typeENS0_5tupleIJS8_S9_EEENSB_IJS8_SA_EEENS0_18inequality_wrapperIZN2at6native12_GLOBAL__N_124unique_dim_cuda_templateIaEESt5tupleIJNSF_6TensorESK_SK_EERKSK_lbbbEUlllE0_EEPmJS9_EEE10hipError_tPvRmT3_T4_T5_T6_T7_T9_mT8_P12ihipStream_tbDpT10_ENKUlT_T0_E_clISt17integral_constantIbLb1EES19_IbLb0EEEEDaS15_S16_EUlS15_E_NS1_11comp_targetILNS1_3genE10ELNS1_11target_archE1200ELNS1_3gpuE4ELNS1_3repE0EEENS1_30default_config_static_selectorELNS0_4arch9wavefront6targetE0EEEvT1_.has_recursion, 0
	.set _ZN7rocprim17ROCPRIM_400000_NS6detail17trampoline_kernelINS0_14default_configENS1_25partition_config_selectorILNS1_17partition_subalgoE9EllbEEZZNS1_14partition_implILS5_9ELb0ES3_jPlS8_PNS0_10empty_typeENS0_5tupleIJS8_S9_EEENSB_IJS8_SA_EEENS0_18inequality_wrapperIZN2at6native12_GLOBAL__N_124unique_dim_cuda_templateIaEESt5tupleIJNSF_6TensorESK_SK_EERKSK_lbbbEUlllE0_EEPmJS9_EEE10hipError_tPvRmT3_T4_T5_T6_T7_T9_mT8_P12ihipStream_tbDpT10_ENKUlT_T0_E_clISt17integral_constantIbLb1EES19_IbLb0EEEEDaS15_S16_EUlS15_E_NS1_11comp_targetILNS1_3genE10ELNS1_11target_archE1200ELNS1_3gpuE4ELNS1_3repE0EEENS1_30default_config_static_selectorELNS0_4arch9wavefront6targetE0EEEvT1_.has_indirect_call, 0
	.section	.AMDGPU.csdata,"",@progbits
; Kernel info:
; codeLenInByte = 0
; TotalNumSgprs: 0
; NumVgprs: 0
; ScratchSize: 0
; MemoryBound: 0
; FloatMode: 240
; IeeeMode: 1
; LDSByteSize: 0 bytes/workgroup (compile time only)
; SGPRBlocks: 0
; VGPRBlocks: 0
; NumSGPRsForWavesPerEU: 1
; NumVGPRsForWavesPerEU: 1
; NamedBarCnt: 0
; Occupancy: 16
; WaveLimiterHint : 0
; COMPUTE_PGM_RSRC2:SCRATCH_EN: 0
; COMPUTE_PGM_RSRC2:USER_SGPR: 2
; COMPUTE_PGM_RSRC2:TRAP_HANDLER: 0
; COMPUTE_PGM_RSRC2:TGID_X_EN: 1
; COMPUTE_PGM_RSRC2:TGID_Y_EN: 0
; COMPUTE_PGM_RSRC2:TGID_Z_EN: 0
; COMPUTE_PGM_RSRC2:TIDIG_COMP_CNT: 0
	.section	.text._ZN7rocprim17ROCPRIM_400000_NS6detail17trampoline_kernelINS0_14default_configENS1_25partition_config_selectorILNS1_17partition_subalgoE9EllbEEZZNS1_14partition_implILS5_9ELb0ES3_jPlS8_PNS0_10empty_typeENS0_5tupleIJS8_S9_EEENSB_IJS8_SA_EEENS0_18inequality_wrapperIZN2at6native12_GLOBAL__N_124unique_dim_cuda_templateIaEESt5tupleIJNSF_6TensorESK_SK_EERKSK_lbbbEUlllE0_EEPmJS9_EEE10hipError_tPvRmT3_T4_T5_T6_T7_T9_mT8_P12ihipStream_tbDpT10_ENKUlT_T0_E_clISt17integral_constantIbLb1EES19_IbLb0EEEEDaS15_S16_EUlS15_E_NS1_11comp_targetILNS1_3genE9ELNS1_11target_archE1100ELNS1_3gpuE3ELNS1_3repE0EEENS1_30default_config_static_selectorELNS0_4arch9wavefront6targetE0EEEvT1_,"axG",@progbits,_ZN7rocprim17ROCPRIM_400000_NS6detail17trampoline_kernelINS0_14default_configENS1_25partition_config_selectorILNS1_17partition_subalgoE9EllbEEZZNS1_14partition_implILS5_9ELb0ES3_jPlS8_PNS0_10empty_typeENS0_5tupleIJS8_S9_EEENSB_IJS8_SA_EEENS0_18inequality_wrapperIZN2at6native12_GLOBAL__N_124unique_dim_cuda_templateIaEESt5tupleIJNSF_6TensorESK_SK_EERKSK_lbbbEUlllE0_EEPmJS9_EEE10hipError_tPvRmT3_T4_T5_T6_T7_T9_mT8_P12ihipStream_tbDpT10_ENKUlT_T0_E_clISt17integral_constantIbLb1EES19_IbLb0EEEEDaS15_S16_EUlS15_E_NS1_11comp_targetILNS1_3genE9ELNS1_11target_archE1100ELNS1_3gpuE3ELNS1_3repE0EEENS1_30default_config_static_selectorELNS0_4arch9wavefront6targetE0EEEvT1_,comdat
	.globl	_ZN7rocprim17ROCPRIM_400000_NS6detail17trampoline_kernelINS0_14default_configENS1_25partition_config_selectorILNS1_17partition_subalgoE9EllbEEZZNS1_14partition_implILS5_9ELb0ES3_jPlS8_PNS0_10empty_typeENS0_5tupleIJS8_S9_EEENSB_IJS8_SA_EEENS0_18inequality_wrapperIZN2at6native12_GLOBAL__N_124unique_dim_cuda_templateIaEESt5tupleIJNSF_6TensorESK_SK_EERKSK_lbbbEUlllE0_EEPmJS9_EEE10hipError_tPvRmT3_T4_T5_T6_T7_T9_mT8_P12ihipStream_tbDpT10_ENKUlT_T0_E_clISt17integral_constantIbLb1EES19_IbLb0EEEEDaS15_S16_EUlS15_E_NS1_11comp_targetILNS1_3genE9ELNS1_11target_archE1100ELNS1_3gpuE3ELNS1_3repE0EEENS1_30default_config_static_selectorELNS0_4arch9wavefront6targetE0EEEvT1_ ; -- Begin function _ZN7rocprim17ROCPRIM_400000_NS6detail17trampoline_kernelINS0_14default_configENS1_25partition_config_selectorILNS1_17partition_subalgoE9EllbEEZZNS1_14partition_implILS5_9ELb0ES3_jPlS8_PNS0_10empty_typeENS0_5tupleIJS8_S9_EEENSB_IJS8_SA_EEENS0_18inequality_wrapperIZN2at6native12_GLOBAL__N_124unique_dim_cuda_templateIaEESt5tupleIJNSF_6TensorESK_SK_EERKSK_lbbbEUlllE0_EEPmJS9_EEE10hipError_tPvRmT3_T4_T5_T6_T7_T9_mT8_P12ihipStream_tbDpT10_ENKUlT_T0_E_clISt17integral_constantIbLb1EES19_IbLb0EEEEDaS15_S16_EUlS15_E_NS1_11comp_targetILNS1_3genE9ELNS1_11target_archE1100ELNS1_3gpuE3ELNS1_3repE0EEENS1_30default_config_static_selectorELNS0_4arch9wavefront6targetE0EEEvT1_
	.p2align	8
	.type	_ZN7rocprim17ROCPRIM_400000_NS6detail17trampoline_kernelINS0_14default_configENS1_25partition_config_selectorILNS1_17partition_subalgoE9EllbEEZZNS1_14partition_implILS5_9ELb0ES3_jPlS8_PNS0_10empty_typeENS0_5tupleIJS8_S9_EEENSB_IJS8_SA_EEENS0_18inequality_wrapperIZN2at6native12_GLOBAL__N_124unique_dim_cuda_templateIaEESt5tupleIJNSF_6TensorESK_SK_EERKSK_lbbbEUlllE0_EEPmJS9_EEE10hipError_tPvRmT3_T4_T5_T6_T7_T9_mT8_P12ihipStream_tbDpT10_ENKUlT_T0_E_clISt17integral_constantIbLb1EES19_IbLb0EEEEDaS15_S16_EUlS15_E_NS1_11comp_targetILNS1_3genE9ELNS1_11target_archE1100ELNS1_3gpuE3ELNS1_3repE0EEENS1_30default_config_static_selectorELNS0_4arch9wavefront6targetE0EEEvT1_,@function
_ZN7rocprim17ROCPRIM_400000_NS6detail17trampoline_kernelINS0_14default_configENS1_25partition_config_selectorILNS1_17partition_subalgoE9EllbEEZZNS1_14partition_implILS5_9ELb0ES3_jPlS8_PNS0_10empty_typeENS0_5tupleIJS8_S9_EEENSB_IJS8_SA_EEENS0_18inequality_wrapperIZN2at6native12_GLOBAL__N_124unique_dim_cuda_templateIaEESt5tupleIJNSF_6TensorESK_SK_EERKSK_lbbbEUlllE0_EEPmJS9_EEE10hipError_tPvRmT3_T4_T5_T6_T7_T9_mT8_P12ihipStream_tbDpT10_ENKUlT_T0_E_clISt17integral_constantIbLb1EES19_IbLb0EEEEDaS15_S16_EUlS15_E_NS1_11comp_targetILNS1_3genE9ELNS1_11target_archE1100ELNS1_3gpuE3ELNS1_3repE0EEENS1_30default_config_static_selectorELNS0_4arch9wavefront6targetE0EEEvT1_: ; @_ZN7rocprim17ROCPRIM_400000_NS6detail17trampoline_kernelINS0_14default_configENS1_25partition_config_selectorILNS1_17partition_subalgoE9EllbEEZZNS1_14partition_implILS5_9ELb0ES3_jPlS8_PNS0_10empty_typeENS0_5tupleIJS8_S9_EEENSB_IJS8_SA_EEENS0_18inequality_wrapperIZN2at6native12_GLOBAL__N_124unique_dim_cuda_templateIaEESt5tupleIJNSF_6TensorESK_SK_EERKSK_lbbbEUlllE0_EEPmJS9_EEE10hipError_tPvRmT3_T4_T5_T6_T7_T9_mT8_P12ihipStream_tbDpT10_ENKUlT_T0_E_clISt17integral_constantIbLb1EES19_IbLb0EEEEDaS15_S16_EUlS15_E_NS1_11comp_targetILNS1_3genE9ELNS1_11target_archE1100ELNS1_3gpuE3ELNS1_3repE0EEENS1_30default_config_static_selectorELNS0_4arch9wavefront6targetE0EEEvT1_
; %bb.0:
	.section	.rodata,"a",@progbits
	.p2align	6, 0x0
	.amdhsa_kernel _ZN7rocprim17ROCPRIM_400000_NS6detail17trampoline_kernelINS0_14default_configENS1_25partition_config_selectorILNS1_17partition_subalgoE9EllbEEZZNS1_14partition_implILS5_9ELb0ES3_jPlS8_PNS0_10empty_typeENS0_5tupleIJS8_S9_EEENSB_IJS8_SA_EEENS0_18inequality_wrapperIZN2at6native12_GLOBAL__N_124unique_dim_cuda_templateIaEESt5tupleIJNSF_6TensorESK_SK_EERKSK_lbbbEUlllE0_EEPmJS9_EEE10hipError_tPvRmT3_T4_T5_T6_T7_T9_mT8_P12ihipStream_tbDpT10_ENKUlT_T0_E_clISt17integral_constantIbLb1EES19_IbLb0EEEEDaS15_S16_EUlS15_E_NS1_11comp_targetILNS1_3genE9ELNS1_11target_archE1100ELNS1_3gpuE3ELNS1_3repE0EEENS1_30default_config_static_selectorELNS0_4arch9wavefront6targetE0EEEvT1_
		.amdhsa_group_segment_fixed_size 0
		.amdhsa_private_segment_fixed_size 0
		.amdhsa_kernarg_size 120
		.amdhsa_user_sgpr_count 2
		.amdhsa_user_sgpr_dispatch_ptr 0
		.amdhsa_user_sgpr_queue_ptr 0
		.amdhsa_user_sgpr_kernarg_segment_ptr 1
		.amdhsa_user_sgpr_dispatch_id 0
		.amdhsa_user_sgpr_kernarg_preload_length 0
		.amdhsa_user_sgpr_kernarg_preload_offset 0
		.amdhsa_user_sgpr_private_segment_size 0
		.amdhsa_wavefront_size32 1
		.amdhsa_uses_dynamic_stack 0
		.amdhsa_enable_private_segment 0
		.amdhsa_system_sgpr_workgroup_id_x 1
		.amdhsa_system_sgpr_workgroup_id_y 0
		.amdhsa_system_sgpr_workgroup_id_z 0
		.amdhsa_system_sgpr_workgroup_info 0
		.amdhsa_system_vgpr_workitem_id 0
		.amdhsa_next_free_vgpr 1
		.amdhsa_next_free_sgpr 1
		.amdhsa_named_barrier_count 0
		.amdhsa_reserve_vcc 0
		.amdhsa_float_round_mode_32 0
		.amdhsa_float_round_mode_16_64 0
		.amdhsa_float_denorm_mode_32 3
		.amdhsa_float_denorm_mode_16_64 3
		.amdhsa_fp16_overflow 0
		.amdhsa_memory_ordered 1
		.amdhsa_forward_progress 1
		.amdhsa_inst_pref_size 0
		.amdhsa_round_robin_scheduling 0
		.amdhsa_exception_fp_ieee_invalid_op 0
		.amdhsa_exception_fp_denorm_src 0
		.amdhsa_exception_fp_ieee_div_zero 0
		.amdhsa_exception_fp_ieee_overflow 0
		.amdhsa_exception_fp_ieee_underflow 0
		.amdhsa_exception_fp_ieee_inexact 0
		.amdhsa_exception_int_div_zero 0
	.end_amdhsa_kernel
	.section	.text._ZN7rocprim17ROCPRIM_400000_NS6detail17trampoline_kernelINS0_14default_configENS1_25partition_config_selectorILNS1_17partition_subalgoE9EllbEEZZNS1_14partition_implILS5_9ELb0ES3_jPlS8_PNS0_10empty_typeENS0_5tupleIJS8_S9_EEENSB_IJS8_SA_EEENS0_18inequality_wrapperIZN2at6native12_GLOBAL__N_124unique_dim_cuda_templateIaEESt5tupleIJNSF_6TensorESK_SK_EERKSK_lbbbEUlllE0_EEPmJS9_EEE10hipError_tPvRmT3_T4_T5_T6_T7_T9_mT8_P12ihipStream_tbDpT10_ENKUlT_T0_E_clISt17integral_constantIbLb1EES19_IbLb0EEEEDaS15_S16_EUlS15_E_NS1_11comp_targetILNS1_3genE9ELNS1_11target_archE1100ELNS1_3gpuE3ELNS1_3repE0EEENS1_30default_config_static_selectorELNS0_4arch9wavefront6targetE0EEEvT1_,"axG",@progbits,_ZN7rocprim17ROCPRIM_400000_NS6detail17trampoline_kernelINS0_14default_configENS1_25partition_config_selectorILNS1_17partition_subalgoE9EllbEEZZNS1_14partition_implILS5_9ELb0ES3_jPlS8_PNS0_10empty_typeENS0_5tupleIJS8_S9_EEENSB_IJS8_SA_EEENS0_18inequality_wrapperIZN2at6native12_GLOBAL__N_124unique_dim_cuda_templateIaEESt5tupleIJNSF_6TensorESK_SK_EERKSK_lbbbEUlllE0_EEPmJS9_EEE10hipError_tPvRmT3_T4_T5_T6_T7_T9_mT8_P12ihipStream_tbDpT10_ENKUlT_T0_E_clISt17integral_constantIbLb1EES19_IbLb0EEEEDaS15_S16_EUlS15_E_NS1_11comp_targetILNS1_3genE9ELNS1_11target_archE1100ELNS1_3gpuE3ELNS1_3repE0EEENS1_30default_config_static_selectorELNS0_4arch9wavefront6targetE0EEEvT1_,comdat
.Lfunc_end373:
	.size	_ZN7rocprim17ROCPRIM_400000_NS6detail17trampoline_kernelINS0_14default_configENS1_25partition_config_selectorILNS1_17partition_subalgoE9EllbEEZZNS1_14partition_implILS5_9ELb0ES3_jPlS8_PNS0_10empty_typeENS0_5tupleIJS8_S9_EEENSB_IJS8_SA_EEENS0_18inequality_wrapperIZN2at6native12_GLOBAL__N_124unique_dim_cuda_templateIaEESt5tupleIJNSF_6TensorESK_SK_EERKSK_lbbbEUlllE0_EEPmJS9_EEE10hipError_tPvRmT3_T4_T5_T6_T7_T9_mT8_P12ihipStream_tbDpT10_ENKUlT_T0_E_clISt17integral_constantIbLb1EES19_IbLb0EEEEDaS15_S16_EUlS15_E_NS1_11comp_targetILNS1_3genE9ELNS1_11target_archE1100ELNS1_3gpuE3ELNS1_3repE0EEENS1_30default_config_static_selectorELNS0_4arch9wavefront6targetE0EEEvT1_, .Lfunc_end373-_ZN7rocprim17ROCPRIM_400000_NS6detail17trampoline_kernelINS0_14default_configENS1_25partition_config_selectorILNS1_17partition_subalgoE9EllbEEZZNS1_14partition_implILS5_9ELb0ES3_jPlS8_PNS0_10empty_typeENS0_5tupleIJS8_S9_EEENSB_IJS8_SA_EEENS0_18inequality_wrapperIZN2at6native12_GLOBAL__N_124unique_dim_cuda_templateIaEESt5tupleIJNSF_6TensorESK_SK_EERKSK_lbbbEUlllE0_EEPmJS9_EEE10hipError_tPvRmT3_T4_T5_T6_T7_T9_mT8_P12ihipStream_tbDpT10_ENKUlT_T0_E_clISt17integral_constantIbLb1EES19_IbLb0EEEEDaS15_S16_EUlS15_E_NS1_11comp_targetILNS1_3genE9ELNS1_11target_archE1100ELNS1_3gpuE3ELNS1_3repE0EEENS1_30default_config_static_selectorELNS0_4arch9wavefront6targetE0EEEvT1_
                                        ; -- End function
	.set _ZN7rocprim17ROCPRIM_400000_NS6detail17trampoline_kernelINS0_14default_configENS1_25partition_config_selectorILNS1_17partition_subalgoE9EllbEEZZNS1_14partition_implILS5_9ELb0ES3_jPlS8_PNS0_10empty_typeENS0_5tupleIJS8_S9_EEENSB_IJS8_SA_EEENS0_18inequality_wrapperIZN2at6native12_GLOBAL__N_124unique_dim_cuda_templateIaEESt5tupleIJNSF_6TensorESK_SK_EERKSK_lbbbEUlllE0_EEPmJS9_EEE10hipError_tPvRmT3_T4_T5_T6_T7_T9_mT8_P12ihipStream_tbDpT10_ENKUlT_T0_E_clISt17integral_constantIbLb1EES19_IbLb0EEEEDaS15_S16_EUlS15_E_NS1_11comp_targetILNS1_3genE9ELNS1_11target_archE1100ELNS1_3gpuE3ELNS1_3repE0EEENS1_30default_config_static_selectorELNS0_4arch9wavefront6targetE0EEEvT1_.num_vgpr, 0
	.set _ZN7rocprim17ROCPRIM_400000_NS6detail17trampoline_kernelINS0_14default_configENS1_25partition_config_selectorILNS1_17partition_subalgoE9EllbEEZZNS1_14partition_implILS5_9ELb0ES3_jPlS8_PNS0_10empty_typeENS0_5tupleIJS8_S9_EEENSB_IJS8_SA_EEENS0_18inequality_wrapperIZN2at6native12_GLOBAL__N_124unique_dim_cuda_templateIaEESt5tupleIJNSF_6TensorESK_SK_EERKSK_lbbbEUlllE0_EEPmJS9_EEE10hipError_tPvRmT3_T4_T5_T6_T7_T9_mT8_P12ihipStream_tbDpT10_ENKUlT_T0_E_clISt17integral_constantIbLb1EES19_IbLb0EEEEDaS15_S16_EUlS15_E_NS1_11comp_targetILNS1_3genE9ELNS1_11target_archE1100ELNS1_3gpuE3ELNS1_3repE0EEENS1_30default_config_static_selectorELNS0_4arch9wavefront6targetE0EEEvT1_.num_agpr, 0
	.set _ZN7rocprim17ROCPRIM_400000_NS6detail17trampoline_kernelINS0_14default_configENS1_25partition_config_selectorILNS1_17partition_subalgoE9EllbEEZZNS1_14partition_implILS5_9ELb0ES3_jPlS8_PNS0_10empty_typeENS0_5tupleIJS8_S9_EEENSB_IJS8_SA_EEENS0_18inequality_wrapperIZN2at6native12_GLOBAL__N_124unique_dim_cuda_templateIaEESt5tupleIJNSF_6TensorESK_SK_EERKSK_lbbbEUlllE0_EEPmJS9_EEE10hipError_tPvRmT3_T4_T5_T6_T7_T9_mT8_P12ihipStream_tbDpT10_ENKUlT_T0_E_clISt17integral_constantIbLb1EES19_IbLb0EEEEDaS15_S16_EUlS15_E_NS1_11comp_targetILNS1_3genE9ELNS1_11target_archE1100ELNS1_3gpuE3ELNS1_3repE0EEENS1_30default_config_static_selectorELNS0_4arch9wavefront6targetE0EEEvT1_.numbered_sgpr, 0
	.set _ZN7rocprim17ROCPRIM_400000_NS6detail17trampoline_kernelINS0_14default_configENS1_25partition_config_selectorILNS1_17partition_subalgoE9EllbEEZZNS1_14partition_implILS5_9ELb0ES3_jPlS8_PNS0_10empty_typeENS0_5tupleIJS8_S9_EEENSB_IJS8_SA_EEENS0_18inequality_wrapperIZN2at6native12_GLOBAL__N_124unique_dim_cuda_templateIaEESt5tupleIJNSF_6TensorESK_SK_EERKSK_lbbbEUlllE0_EEPmJS9_EEE10hipError_tPvRmT3_T4_T5_T6_T7_T9_mT8_P12ihipStream_tbDpT10_ENKUlT_T0_E_clISt17integral_constantIbLb1EES19_IbLb0EEEEDaS15_S16_EUlS15_E_NS1_11comp_targetILNS1_3genE9ELNS1_11target_archE1100ELNS1_3gpuE3ELNS1_3repE0EEENS1_30default_config_static_selectorELNS0_4arch9wavefront6targetE0EEEvT1_.num_named_barrier, 0
	.set _ZN7rocprim17ROCPRIM_400000_NS6detail17trampoline_kernelINS0_14default_configENS1_25partition_config_selectorILNS1_17partition_subalgoE9EllbEEZZNS1_14partition_implILS5_9ELb0ES3_jPlS8_PNS0_10empty_typeENS0_5tupleIJS8_S9_EEENSB_IJS8_SA_EEENS0_18inequality_wrapperIZN2at6native12_GLOBAL__N_124unique_dim_cuda_templateIaEESt5tupleIJNSF_6TensorESK_SK_EERKSK_lbbbEUlllE0_EEPmJS9_EEE10hipError_tPvRmT3_T4_T5_T6_T7_T9_mT8_P12ihipStream_tbDpT10_ENKUlT_T0_E_clISt17integral_constantIbLb1EES19_IbLb0EEEEDaS15_S16_EUlS15_E_NS1_11comp_targetILNS1_3genE9ELNS1_11target_archE1100ELNS1_3gpuE3ELNS1_3repE0EEENS1_30default_config_static_selectorELNS0_4arch9wavefront6targetE0EEEvT1_.private_seg_size, 0
	.set _ZN7rocprim17ROCPRIM_400000_NS6detail17trampoline_kernelINS0_14default_configENS1_25partition_config_selectorILNS1_17partition_subalgoE9EllbEEZZNS1_14partition_implILS5_9ELb0ES3_jPlS8_PNS0_10empty_typeENS0_5tupleIJS8_S9_EEENSB_IJS8_SA_EEENS0_18inequality_wrapperIZN2at6native12_GLOBAL__N_124unique_dim_cuda_templateIaEESt5tupleIJNSF_6TensorESK_SK_EERKSK_lbbbEUlllE0_EEPmJS9_EEE10hipError_tPvRmT3_T4_T5_T6_T7_T9_mT8_P12ihipStream_tbDpT10_ENKUlT_T0_E_clISt17integral_constantIbLb1EES19_IbLb0EEEEDaS15_S16_EUlS15_E_NS1_11comp_targetILNS1_3genE9ELNS1_11target_archE1100ELNS1_3gpuE3ELNS1_3repE0EEENS1_30default_config_static_selectorELNS0_4arch9wavefront6targetE0EEEvT1_.uses_vcc, 0
	.set _ZN7rocprim17ROCPRIM_400000_NS6detail17trampoline_kernelINS0_14default_configENS1_25partition_config_selectorILNS1_17partition_subalgoE9EllbEEZZNS1_14partition_implILS5_9ELb0ES3_jPlS8_PNS0_10empty_typeENS0_5tupleIJS8_S9_EEENSB_IJS8_SA_EEENS0_18inequality_wrapperIZN2at6native12_GLOBAL__N_124unique_dim_cuda_templateIaEESt5tupleIJNSF_6TensorESK_SK_EERKSK_lbbbEUlllE0_EEPmJS9_EEE10hipError_tPvRmT3_T4_T5_T6_T7_T9_mT8_P12ihipStream_tbDpT10_ENKUlT_T0_E_clISt17integral_constantIbLb1EES19_IbLb0EEEEDaS15_S16_EUlS15_E_NS1_11comp_targetILNS1_3genE9ELNS1_11target_archE1100ELNS1_3gpuE3ELNS1_3repE0EEENS1_30default_config_static_selectorELNS0_4arch9wavefront6targetE0EEEvT1_.uses_flat_scratch, 0
	.set _ZN7rocprim17ROCPRIM_400000_NS6detail17trampoline_kernelINS0_14default_configENS1_25partition_config_selectorILNS1_17partition_subalgoE9EllbEEZZNS1_14partition_implILS5_9ELb0ES3_jPlS8_PNS0_10empty_typeENS0_5tupleIJS8_S9_EEENSB_IJS8_SA_EEENS0_18inequality_wrapperIZN2at6native12_GLOBAL__N_124unique_dim_cuda_templateIaEESt5tupleIJNSF_6TensorESK_SK_EERKSK_lbbbEUlllE0_EEPmJS9_EEE10hipError_tPvRmT3_T4_T5_T6_T7_T9_mT8_P12ihipStream_tbDpT10_ENKUlT_T0_E_clISt17integral_constantIbLb1EES19_IbLb0EEEEDaS15_S16_EUlS15_E_NS1_11comp_targetILNS1_3genE9ELNS1_11target_archE1100ELNS1_3gpuE3ELNS1_3repE0EEENS1_30default_config_static_selectorELNS0_4arch9wavefront6targetE0EEEvT1_.has_dyn_sized_stack, 0
	.set _ZN7rocprim17ROCPRIM_400000_NS6detail17trampoline_kernelINS0_14default_configENS1_25partition_config_selectorILNS1_17partition_subalgoE9EllbEEZZNS1_14partition_implILS5_9ELb0ES3_jPlS8_PNS0_10empty_typeENS0_5tupleIJS8_S9_EEENSB_IJS8_SA_EEENS0_18inequality_wrapperIZN2at6native12_GLOBAL__N_124unique_dim_cuda_templateIaEESt5tupleIJNSF_6TensorESK_SK_EERKSK_lbbbEUlllE0_EEPmJS9_EEE10hipError_tPvRmT3_T4_T5_T6_T7_T9_mT8_P12ihipStream_tbDpT10_ENKUlT_T0_E_clISt17integral_constantIbLb1EES19_IbLb0EEEEDaS15_S16_EUlS15_E_NS1_11comp_targetILNS1_3genE9ELNS1_11target_archE1100ELNS1_3gpuE3ELNS1_3repE0EEENS1_30default_config_static_selectorELNS0_4arch9wavefront6targetE0EEEvT1_.has_recursion, 0
	.set _ZN7rocprim17ROCPRIM_400000_NS6detail17trampoline_kernelINS0_14default_configENS1_25partition_config_selectorILNS1_17partition_subalgoE9EllbEEZZNS1_14partition_implILS5_9ELb0ES3_jPlS8_PNS0_10empty_typeENS0_5tupleIJS8_S9_EEENSB_IJS8_SA_EEENS0_18inequality_wrapperIZN2at6native12_GLOBAL__N_124unique_dim_cuda_templateIaEESt5tupleIJNSF_6TensorESK_SK_EERKSK_lbbbEUlllE0_EEPmJS9_EEE10hipError_tPvRmT3_T4_T5_T6_T7_T9_mT8_P12ihipStream_tbDpT10_ENKUlT_T0_E_clISt17integral_constantIbLb1EES19_IbLb0EEEEDaS15_S16_EUlS15_E_NS1_11comp_targetILNS1_3genE9ELNS1_11target_archE1100ELNS1_3gpuE3ELNS1_3repE0EEENS1_30default_config_static_selectorELNS0_4arch9wavefront6targetE0EEEvT1_.has_indirect_call, 0
	.section	.AMDGPU.csdata,"",@progbits
; Kernel info:
; codeLenInByte = 0
; TotalNumSgprs: 0
; NumVgprs: 0
; ScratchSize: 0
; MemoryBound: 0
; FloatMode: 240
; IeeeMode: 1
; LDSByteSize: 0 bytes/workgroup (compile time only)
; SGPRBlocks: 0
; VGPRBlocks: 0
; NumSGPRsForWavesPerEU: 1
; NumVGPRsForWavesPerEU: 1
; NamedBarCnt: 0
; Occupancy: 16
; WaveLimiterHint : 0
; COMPUTE_PGM_RSRC2:SCRATCH_EN: 0
; COMPUTE_PGM_RSRC2:USER_SGPR: 2
; COMPUTE_PGM_RSRC2:TRAP_HANDLER: 0
; COMPUTE_PGM_RSRC2:TGID_X_EN: 1
; COMPUTE_PGM_RSRC2:TGID_Y_EN: 0
; COMPUTE_PGM_RSRC2:TGID_Z_EN: 0
; COMPUTE_PGM_RSRC2:TIDIG_COMP_CNT: 0
	.section	.text._ZN7rocprim17ROCPRIM_400000_NS6detail17trampoline_kernelINS0_14default_configENS1_25partition_config_selectorILNS1_17partition_subalgoE9EllbEEZZNS1_14partition_implILS5_9ELb0ES3_jPlS8_PNS0_10empty_typeENS0_5tupleIJS8_S9_EEENSB_IJS8_SA_EEENS0_18inequality_wrapperIZN2at6native12_GLOBAL__N_124unique_dim_cuda_templateIaEESt5tupleIJNSF_6TensorESK_SK_EERKSK_lbbbEUlllE0_EEPmJS9_EEE10hipError_tPvRmT3_T4_T5_T6_T7_T9_mT8_P12ihipStream_tbDpT10_ENKUlT_T0_E_clISt17integral_constantIbLb1EES19_IbLb0EEEEDaS15_S16_EUlS15_E_NS1_11comp_targetILNS1_3genE8ELNS1_11target_archE1030ELNS1_3gpuE2ELNS1_3repE0EEENS1_30default_config_static_selectorELNS0_4arch9wavefront6targetE0EEEvT1_,"axG",@progbits,_ZN7rocprim17ROCPRIM_400000_NS6detail17trampoline_kernelINS0_14default_configENS1_25partition_config_selectorILNS1_17partition_subalgoE9EllbEEZZNS1_14partition_implILS5_9ELb0ES3_jPlS8_PNS0_10empty_typeENS0_5tupleIJS8_S9_EEENSB_IJS8_SA_EEENS0_18inequality_wrapperIZN2at6native12_GLOBAL__N_124unique_dim_cuda_templateIaEESt5tupleIJNSF_6TensorESK_SK_EERKSK_lbbbEUlllE0_EEPmJS9_EEE10hipError_tPvRmT3_T4_T5_T6_T7_T9_mT8_P12ihipStream_tbDpT10_ENKUlT_T0_E_clISt17integral_constantIbLb1EES19_IbLb0EEEEDaS15_S16_EUlS15_E_NS1_11comp_targetILNS1_3genE8ELNS1_11target_archE1030ELNS1_3gpuE2ELNS1_3repE0EEENS1_30default_config_static_selectorELNS0_4arch9wavefront6targetE0EEEvT1_,comdat
	.globl	_ZN7rocprim17ROCPRIM_400000_NS6detail17trampoline_kernelINS0_14default_configENS1_25partition_config_selectorILNS1_17partition_subalgoE9EllbEEZZNS1_14partition_implILS5_9ELb0ES3_jPlS8_PNS0_10empty_typeENS0_5tupleIJS8_S9_EEENSB_IJS8_SA_EEENS0_18inequality_wrapperIZN2at6native12_GLOBAL__N_124unique_dim_cuda_templateIaEESt5tupleIJNSF_6TensorESK_SK_EERKSK_lbbbEUlllE0_EEPmJS9_EEE10hipError_tPvRmT3_T4_T5_T6_T7_T9_mT8_P12ihipStream_tbDpT10_ENKUlT_T0_E_clISt17integral_constantIbLb1EES19_IbLb0EEEEDaS15_S16_EUlS15_E_NS1_11comp_targetILNS1_3genE8ELNS1_11target_archE1030ELNS1_3gpuE2ELNS1_3repE0EEENS1_30default_config_static_selectorELNS0_4arch9wavefront6targetE0EEEvT1_ ; -- Begin function _ZN7rocprim17ROCPRIM_400000_NS6detail17trampoline_kernelINS0_14default_configENS1_25partition_config_selectorILNS1_17partition_subalgoE9EllbEEZZNS1_14partition_implILS5_9ELb0ES3_jPlS8_PNS0_10empty_typeENS0_5tupleIJS8_S9_EEENSB_IJS8_SA_EEENS0_18inequality_wrapperIZN2at6native12_GLOBAL__N_124unique_dim_cuda_templateIaEESt5tupleIJNSF_6TensorESK_SK_EERKSK_lbbbEUlllE0_EEPmJS9_EEE10hipError_tPvRmT3_T4_T5_T6_T7_T9_mT8_P12ihipStream_tbDpT10_ENKUlT_T0_E_clISt17integral_constantIbLb1EES19_IbLb0EEEEDaS15_S16_EUlS15_E_NS1_11comp_targetILNS1_3genE8ELNS1_11target_archE1030ELNS1_3gpuE2ELNS1_3repE0EEENS1_30default_config_static_selectorELNS0_4arch9wavefront6targetE0EEEvT1_
	.p2align	8
	.type	_ZN7rocprim17ROCPRIM_400000_NS6detail17trampoline_kernelINS0_14default_configENS1_25partition_config_selectorILNS1_17partition_subalgoE9EllbEEZZNS1_14partition_implILS5_9ELb0ES3_jPlS8_PNS0_10empty_typeENS0_5tupleIJS8_S9_EEENSB_IJS8_SA_EEENS0_18inequality_wrapperIZN2at6native12_GLOBAL__N_124unique_dim_cuda_templateIaEESt5tupleIJNSF_6TensorESK_SK_EERKSK_lbbbEUlllE0_EEPmJS9_EEE10hipError_tPvRmT3_T4_T5_T6_T7_T9_mT8_P12ihipStream_tbDpT10_ENKUlT_T0_E_clISt17integral_constantIbLb1EES19_IbLb0EEEEDaS15_S16_EUlS15_E_NS1_11comp_targetILNS1_3genE8ELNS1_11target_archE1030ELNS1_3gpuE2ELNS1_3repE0EEENS1_30default_config_static_selectorELNS0_4arch9wavefront6targetE0EEEvT1_,@function
_ZN7rocprim17ROCPRIM_400000_NS6detail17trampoline_kernelINS0_14default_configENS1_25partition_config_selectorILNS1_17partition_subalgoE9EllbEEZZNS1_14partition_implILS5_9ELb0ES3_jPlS8_PNS0_10empty_typeENS0_5tupleIJS8_S9_EEENSB_IJS8_SA_EEENS0_18inequality_wrapperIZN2at6native12_GLOBAL__N_124unique_dim_cuda_templateIaEESt5tupleIJNSF_6TensorESK_SK_EERKSK_lbbbEUlllE0_EEPmJS9_EEE10hipError_tPvRmT3_T4_T5_T6_T7_T9_mT8_P12ihipStream_tbDpT10_ENKUlT_T0_E_clISt17integral_constantIbLb1EES19_IbLb0EEEEDaS15_S16_EUlS15_E_NS1_11comp_targetILNS1_3genE8ELNS1_11target_archE1030ELNS1_3gpuE2ELNS1_3repE0EEENS1_30default_config_static_selectorELNS0_4arch9wavefront6targetE0EEEvT1_: ; @_ZN7rocprim17ROCPRIM_400000_NS6detail17trampoline_kernelINS0_14default_configENS1_25partition_config_selectorILNS1_17partition_subalgoE9EllbEEZZNS1_14partition_implILS5_9ELb0ES3_jPlS8_PNS0_10empty_typeENS0_5tupleIJS8_S9_EEENSB_IJS8_SA_EEENS0_18inequality_wrapperIZN2at6native12_GLOBAL__N_124unique_dim_cuda_templateIaEESt5tupleIJNSF_6TensorESK_SK_EERKSK_lbbbEUlllE0_EEPmJS9_EEE10hipError_tPvRmT3_T4_T5_T6_T7_T9_mT8_P12ihipStream_tbDpT10_ENKUlT_T0_E_clISt17integral_constantIbLb1EES19_IbLb0EEEEDaS15_S16_EUlS15_E_NS1_11comp_targetILNS1_3genE8ELNS1_11target_archE1030ELNS1_3gpuE2ELNS1_3repE0EEENS1_30default_config_static_selectorELNS0_4arch9wavefront6targetE0EEEvT1_
; %bb.0:
	.section	.rodata,"a",@progbits
	.p2align	6, 0x0
	.amdhsa_kernel _ZN7rocprim17ROCPRIM_400000_NS6detail17trampoline_kernelINS0_14default_configENS1_25partition_config_selectorILNS1_17partition_subalgoE9EllbEEZZNS1_14partition_implILS5_9ELb0ES3_jPlS8_PNS0_10empty_typeENS0_5tupleIJS8_S9_EEENSB_IJS8_SA_EEENS0_18inequality_wrapperIZN2at6native12_GLOBAL__N_124unique_dim_cuda_templateIaEESt5tupleIJNSF_6TensorESK_SK_EERKSK_lbbbEUlllE0_EEPmJS9_EEE10hipError_tPvRmT3_T4_T5_T6_T7_T9_mT8_P12ihipStream_tbDpT10_ENKUlT_T0_E_clISt17integral_constantIbLb1EES19_IbLb0EEEEDaS15_S16_EUlS15_E_NS1_11comp_targetILNS1_3genE8ELNS1_11target_archE1030ELNS1_3gpuE2ELNS1_3repE0EEENS1_30default_config_static_selectorELNS0_4arch9wavefront6targetE0EEEvT1_
		.amdhsa_group_segment_fixed_size 0
		.amdhsa_private_segment_fixed_size 0
		.amdhsa_kernarg_size 120
		.amdhsa_user_sgpr_count 2
		.amdhsa_user_sgpr_dispatch_ptr 0
		.amdhsa_user_sgpr_queue_ptr 0
		.amdhsa_user_sgpr_kernarg_segment_ptr 1
		.amdhsa_user_sgpr_dispatch_id 0
		.amdhsa_user_sgpr_kernarg_preload_length 0
		.amdhsa_user_sgpr_kernarg_preload_offset 0
		.amdhsa_user_sgpr_private_segment_size 0
		.amdhsa_wavefront_size32 1
		.amdhsa_uses_dynamic_stack 0
		.amdhsa_enable_private_segment 0
		.amdhsa_system_sgpr_workgroup_id_x 1
		.amdhsa_system_sgpr_workgroup_id_y 0
		.amdhsa_system_sgpr_workgroup_id_z 0
		.amdhsa_system_sgpr_workgroup_info 0
		.amdhsa_system_vgpr_workitem_id 0
		.amdhsa_next_free_vgpr 1
		.amdhsa_next_free_sgpr 1
		.amdhsa_named_barrier_count 0
		.amdhsa_reserve_vcc 0
		.amdhsa_float_round_mode_32 0
		.amdhsa_float_round_mode_16_64 0
		.amdhsa_float_denorm_mode_32 3
		.amdhsa_float_denorm_mode_16_64 3
		.amdhsa_fp16_overflow 0
		.amdhsa_memory_ordered 1
		.amdhsa_forward_progress 1
		.amdhsa_inst_pref_size 0
		.amdhsa_round_robin_scheduling 0
		.amdhsa_exception_fp_ieee_invalid_op 0
		.amdhsa_exception_fp_denorm_src 0
		.amdhsa_exception_fp_ieee_div_zero 0
		.amdhsa_exception_fp_ieee_overflow 0
		.amdhsa_exception_fp_ieee_underflow 0
		.amdhsa_exception_fp_ieee_inexact 0
		.amdhsa_exception_int_div_zero 0
	.end_amdhsa_kernel
	.section	.text._ZN7rocprim17ROCPRIM_400000_NS6detail17trampoline_kernelINS0_14default_configENS1_25partition_config_selectorILNS1_17partition_subalgoE9EllbEEZZNS1_14partition_implILS5_9ELb0ES3_jPlS8_PNS0_10empty_typeENS0_5tupleIJS8_S9_EEENSB_IJS8_SA_EEENS0_18inequality_wrapperIZN2at6native12_GLOBAL__N_124unique_dim_cuda_templateIaEESt5tupleIJNSF_6TensorESK_SK_EERKSK_lbbbEUlllE0_EEPmJS9_EEE10hipError_tPvRmT3_T4_T5_T6_T7_T9_mT8_P12ihipStream_tbDpT10_ENKUlT_T0_E_clISt17integral_constantIbLb1EES19_IbLb0EEEEDaS15_S16_EUlS15_E_NS1_11comp_targetILNS1_3genE8ELNS1_11target_archE1030ELNS1_3gpuE2ELNS1_3repE0EEENS1_30default_config_static_selectorELNS0_4arch9wavefront6targetE0EEEvT1_,"axG",@progbits,_ZN7rocprim17ROCPRIM_400000_NS6detail17trampoline_kernelINS0_14default_configENS1_25partition_config_selectorILNS1_17partition_subalgoE9EllbEEZZNS1_14partition_implILS5_9ELb0ES3_jPlS8_PNS0_10empty_typeENS0_5tupleIJS8_S9_EEENSB_IJS8_SA_EEENS0_18inequality_wrapperIZN2at6native12_GLOBAL__N_124unique_dim_cuda_templateIaEESt5tupleIJNSF_6TensorESK_SK_EERKSK_lbbbEUlllE0_EEPmJS9_EEE10hipError_tPvRmT3_T4_T5_T6_T7_T9_mT8_P12ihipStream_tbDpT10_ENKUlT_T0_E_clISt17integral_constantIbLb1EES19_IbLb0EEEEDaS15_S16_EUlS15_E_NS1_11comp_targetILNS1_3genE8ELNS1_11target_archE1030ELNS1_3gpuE2ELNS1_3repE0EEENS1_30default_config_static_selectorELNS0_4arch9wavefront6targetE0EEEvT1_,comdat
.Lfunc_end374:
	.size	_ZN7rocprim17ROCPRIM_400000_NS6detail17trampoline_kernelINS0_14default_configENS1_25partition_config_selectorILNS1_17partition_subalgoE9EllbEEZZNS1_14partition_implILS5_9ELb0ES3_jPlS8_PNS0_10empty_typeENS0_5tupleIJS8_S9_EEENSB_IJS8_SA_EEENS0_18inequality_wrapperIZN2at6native12_GLOBAL__N_124unique_dim_cuda_templateIaEESt5tupleIJNSF_6TensorESK_SK_EERKSK_lbbbEUlllE0_EEPmJS9_EEE10hipError_tPvRmT3_T4_T5_T6_T7_T9_mT8_P12ihipStream_tbDpT10_ENKUlT_T0_E_clISt17integral_constantIbLb1EES19_IbLb0EEEEDaS15_S16_EUlS15_E_NS1_11comp_targetILNS1_3genE8ELNS1_11target_archE1030ELNS1_3gpuE2ELNS1_3repE0EEENS1_30default_config_static_selectorELNS0_4arch9wavefront6targetE0EEEvT1_, .Lfunc_end374-_ZN7rocprim17ROCPRIM_400000_NS6detail17trampoline_kernelINS0_14default_configENS1_25partition_config_selectorILNS1_17partition_subalgoE9EllbEEZZNS1_14partition_implILS5_9ELb0ES3_jPlS8_PNS0_10empty_typeENS0_5tupleIJS8_S9_EEENSB_IJS8_SA_EEENS0_18inequality_wrapperIZN2at6native12_GLOBAL__N_124unique_dim_cuda_templateIaEESt5tupleIJNSF_6TensorESK_SK_EERKSK_lbbbEUlllE0_EEPmJS9_EEE10hipError_tPvRmT3_T4_T5_T6_T7_T9_mT8_P12ihipStream_tbDpT10_ENKUlT_T0_E_clISt17integral_constantIbLb1EES19_IbLb0EEEEDaS15_S16_EUlS15_E_NS1_11comp_targetILNS1_3genE8ELNS1_11target_archE1030ELNS1_3gpuE2ELNS1_3repE0EEENS1_30default_config_static_selectorELNS0_4arch9wavefront6targetE0EEEvT1_
                                        ; -- End function
	.set _ZN7rocprim17ROCPRIM_400000_NS6detail17trampoline_kernelINS0_14default_configENS1_25partition_config_selectorILNS1_17partition_subalgoE9EllbEEZZNS1_14partition_implILS5_9ELb0ES3_jPlS8_PNS0_10empty_typeENS0_5tupleIJS8_S9_EEENSB_IJS8_SA_EEENS0_18inequality_wrapperIZN2at6native12_GLOBAL__N_124unique_dim_cuda_templateIaEESt5tupleIJNSF_6TensorESK_SK_EERKSK_lbbbEUlllE0_EEPmJS9_EEE10hipError_tPvRmT3_T4_T5_T6_T7_T9_mT8_P12ihipStream_tbDpT10_ENKUlT_T0_E_clISt17integral_constantIbLb1EES19_IbLb0EEEEDaS15_S16_EUlS15_E_NS1_11comp_targetILNS1_3genE8ELNS1_11target_archE1030ELNS1_3gpuE2ELNS1_3repE0EEENS1_30default_config_static_selectorELNS0_4arch9wavefront6targetE0EEEvT1_.num_vgpr, 0
	.set _ZN7rocprim17ROCPRIM_400000_NS6detail17trampoline_kernelINS0_14default_configENS1_25partition_config_selectorILNS1_17partition_subalgoE9EllbEEZZNS1_14partition_implILS5_9ELb0ES3_jPlS8_PNS0_10empty_typeENS0_5tupleIJS8_S9_EEENSB_IJS8_SA_EEENS0_18inequality_wrapperIZN2at6native12_GLOBAL__N_124unique_dim_cuda_templateIaEESt5tupleIJNSF_6TensorESK_SK_EERKSK_lbbbEUlllE0_EEPmJS9_EEE10hipError_tPvRmT3_T4_T5_T6_T7_T9_mT8_P12ihipStream_tbDpT10_ENKUlT_T0_E_clISt17integral_constantIbLb1EES19_IbLb0EEEEDaS15_S16_EUlS15_E_NS1_11comp_targetILNS1_3genE8ELNS1_11target_archE1030ELNS1_3gpuE2ELNS1_3repE0EEENS1_30default_config_static_selectorELNS0_4arch9wavefront6targetE0EEEvT1_.num_agpr, 0
	.set _ZN7rocprim17ROCPRIM_400000_NS6detail17trampoline_kernelINS0_14default_configENS1_25partition_config_selectorILNS1_17partition_subalgoE9EllbEEZZNS1_14partition_implILS5_9ELb0ES3_jPlS8_PNS0_10empty_typeENS0_5tupleIJS8_S9_EEENSB_IJS8_SA_EEENS0_18inequality_wrapperIZN2at6native12_GLOBAL__N_124unique_dim_cuda_templateIaEESt5tupleIJNSF_6TensorESK_SK_EERKSK_lbbbEUlllE0_EEPmJS9_EEE10hipError_tPvRmT3_T4_T5_T6_T7_T9_mT8_P12ihipStream_tbDpT10_ENKUlT_T0_E_clISt17integral_constantIbLb1EES19_IbLb0EEEEDaS15_S16_EUlS15_E_NS1_11comp_targetILNS1_3genE8ELNS1_11target_archE1030ELNS1_3gpuE2ELNS1_3repE0EEENS1_30default_config_static_selectorELNS0_4arch9wavefront6targetE0EEEvT1_.numbered_sgpr, 0
	.set _ZN7rocprim17ROCPRIM_400000_NS6detail17trampoline_kernelINS0_14default_configENS1_25partition_config_selectorILNS1_17partition_subalgoE9EllbEEZZNS1_14partition_implILS5_9ELb0ES3_jPlS8_PNS0_10empty_typeENS0_5tupleIJS8_S9_EEENSB_IJS8_SA_EEENS0_18inequality_wrapperIZN2at6native12_GLOBAL__N_124unique_dim_cuda_templateIaEESt5tupleIJNSF_6TensorESK_SK_EERKSK_lbbbEUlllE0_EEPmJS9_EEE10hipError_tPvRmT3_T4_T5_T6_T7_T9_mT8_P12ihipStream_tbDpT10_ENKUlT_T0_E_clISt17integral_constantIbLb1EES19_IbLb0EEEEDaS15_S16_EUlS15_E_NS1_11comp_targetILNS1_3genE8ELNS1_11target_archE1030ELNS1_3gpuE2ELNS1_3repE0EEENS1_30default_config_static_selectorELNS0_4arch9wavefront6targetE0EEEvT1_.num_named_barrier, 0
	.set _ZN7rocprim17ROCPRIM_400000_NS6detail17trampoline_kernelINS0_14default_configENS1_25partition_config_selectorILNS1_17partition_subalgoE9EllbEEZZNS1_14partition_implILS5_9ELb0ES3_jPlS8_PNS0_10empty_typeENS0_5tupleIJS8_S9_EEENSB_IJS8_SA_EEENS0_18inequality_wrapperIZN2at6native12_GLOBAL__N_124unique_dim_cuda_templateIaEESt5tupleIJNSF_6TensorESK_SK_EERKSK_lbbbEUlllE0_EEPmJS9_EEE10hipError_tPvRmT3_T4_T5_T6_T7_T9_mT8_P12ihipStream_tbDpT10_ENKUlT_T0_E_clISt17integral_constantIbLb1EES19_IbLb0EEEEDaS15_S16_EUlS15_E_NS1_11comp_targetILNS1_3genE8ELNS1_11target_archE1030ELNS1_3gpuE2ELNS1_3repE0EEENS1_30default_config_static_selectorELNS0_4arch9wavefront6targetE0EEEvT1_.private_seg_size, 0
	.set _ZN7rocprim17ROCPRIM_400000_NS6detail17trampoline_kernelINS0_14default_configENS1_25partition_config_selectorILNS1_17partition_subalgoE9EllbEEZZNS1_14partition_implILS5_9ELb0ES3_jPlS8_PNS0_10empty_typeENS0_5tupleIJS8_S9_EEENSB_IJS8_SA_EEENS0_18inequality_wrapperIZN2at6native12_GLOBAL__N_124unique_dim_cuda_templateIaEESt5tupleIJNSF_6TensorESK_SK_EERKSK_lbbbEUlllE0_EEPmJS9_EEE10hipError_tPvRmT3_T4_T5_T6_T7_T9_mT8_P12ihipStream_tbDpT10_ENKUlT_T0_E_clISt17integral_constantIbLb1EES19_IbLb0EEEEDaS15_S16_EUlS15_E_NS1_11comp_targetILNS1_3genE8ELNS1_11target_archE1030ELNS1_3gpuE2ELNS1_3repE0EEENS1_30default_config_static_selectorELNS0_4arch9wavefront6targetE0EEEvT1_.uses_vcc, 0
	.set _ZN7rocprim17ROCPRIM_400000_NS6detail17trampoline_kernelINS0_14default_configENS1_25partition_config_selectorILNS1_17partition_subalgoE9EllbEEZZNS1_14partition_implILS5_9ELb0ES3_jPlS8_PNS0_10empty_typeENS0_5tupleIJS8_S9_EEENSB_IJS8_SA_EEENS0_18inequality_wrapperIZN2at6native12_GLOBAL__N_124unique_dim_cuda_templateIaEESt5tupleIJNSF_6TensorESK_SK_EERKSK_lbbbEUlllE0_EEPmJS9_EEE10hipError_tPvRmT3_T4_T5_T6_T7_T9_mT8_P12ihipStream_tbDpT10_ENKUlT_T0_E_clISt17integral_constantIbLb1EES19_IbLb0EEEEDaS15_S16_EUlS15_E_NS1_11comp_targetILNS1_3genE8ELNS1_11target_archE1030ELNS1_3gpuE2ELNS1_3repE0EEENS1_30default_config_static_selectorELNS0_4arch9wavefront6targetE0EEEvT1_.uses_flat_scratch, 0
	.set _ZN7rocprim17ROCPRIM_400000_NS6detail17trampoline_kernelINS0_14default_configENS1_25partition_config_selectorILNS1_17partition_subalgoE9EllbEEZZNS1_14partition_implILS5_9ELb0ES3_jPlS8_PNS0_10empty_typeENS0_5tupleIJS8_S9_EEENSB_IJS8_SA_EEENS0_18inequality_wrapperIZN2at6native12_GLOBAL__N_124unique_dim_cuda_templateIaEESt5tupleIJNSF_6TensorESK_SK_EERKSK_lbbbEUlllE0_EEPmJS9_EEE10hipError_tPvRmT3_T4_T5_T6_T7_T9_mT8_P12ihipStream_tbDpT10_ENKUlT_T0_E_clISt17integral_constantIbLb1EES19_IbLb0EEEEDaS15_S16_EUlS15_E_NS1_11comp_targetILNS1_3genE8ELNS1_11target_archE1030ELNS1_3gpuE2ELNS1_3repE0EEENS1_30default_config_static_selectorELNS0_4arch9wavefront6targetE0EEEvT1_.has_dyn_sized_stack, 0
	.set _ZN7rocprim17ROCPRIM_400000_NS6detail17trampoline_kernelINS0_14default_configENS1_25partition_config_selectorILNS1_17partition_subalgoE9EllbEEZZNS1_14partition_implILS5_9ELb0ES3_jPlS8_PNS0_10empty_typeENS0_5tupleIJS8_S9_EEENSB_IJS8_SA_EEENS0_18inequality_wrapperIZN2at6native12_GLOBAL__N_124unique_dim_cuda_templateIaEESt5tupleIJNSF_6TensorESK_SK_EERKSK_lbbbEUlllE0_EEPmJS9_EEE10hipError_tPvRmT3_T4_T5_T6_T7_T9_mT8_P12ihipStream_tbDpT10_ENKUlT_T0_E_clISt17integral_constantIbLb1EES19_IbLb0EEEEDaS15_S16_EUlS15_E_NS1_11comp_targetILNS1_3genE8ELNS1_11target_archE1030ELNS1_3gpuE2ELNS1_3repE0EEENS1_30default_config_static_selectorELNS0_4arch9wavefront6targetE0EEEvT1_.has_recursion, 0
	.set _ZN7rocprim17ROCPRIM_400000_NS6detail17trampoline_kernelINS0_14default_configENS1_25partition_config_selectorILNS1_17partition_subalgoE9EllbEEZZNS1_14partition_implILS5_9ELb0ES3_jPlS8_PNS0_10empty_typeENS0_5tupleIJS8_S9_EEENSB_IJS8_SA_EEENS0_18inequality_wrapperIZN2at6native12_GLOBAL__N_124unique_dim_cuda_templateIaEESt5tupleIJNSF_6TensorESK_SK_EERKSK_lbbbEUlllE0_EEPmJS9_EEE10hipError_tPvRmT3_T4_T5_T6_T7_T9_mT8_P12ihipStream_tbDpT10_ENKUlT_T0_E_clISt17integral_constantIbLb1EES19_IbLb0EEEEDaS15_S16_EUlS15_E_NS1_11comp_targetILNS1_3genE8ELNS1_11target_archE1030ELNS1_3gpuE2ELNS1_3repE0EEENS1_30default_config_static_selectorELNS0_4arch9wavefront6targetE0EEEvT1_.has_indirect_call, 0
	.section	.AMDGPU.csdata,"",@progbits
; Kernel info:
; codeLenInByte = 0
; TotalNumSgprs: 0
; NumVgprs: 0
; ScratchSize: 0
; MemoryBound: 0
; FloatMode: 240
; IeeeMode: 1
; LDSByteSize: 0 bytes/workgroup (compile time only)
; SGPRBlocks: 0
; VGPRBlocks: 0
; NumSGPRsForWavesPerEU: 1
; NumVGPRsForWavesPerEU: 1
; NamedBarCnt: 0
; Occupancy: 16
; WaveLimiterHint : 0
; COMPUTE_PGM_RSRC2:SCRATCH_EN: 0
; COMPUTE_PGM_RSRC2:USER_SGPR: 2
; COMPUTE_PGM_RSRC2:TRAP_HANDLER: 0
; COMPUTE_PGM_RSRC2:TGID_X_EN: 1
; COMPUTE_PGM_RSRC2:TGID_Y_EN: 0
; COMPUTE_PGM_RSRC2:TGID_Z_EN: 0
; COMPUTE_PGM_RSRC2:TIDIG_COMP_CNT: 0
	.section	.text._ZN7rocprim17ROCPRIM_400000_NS6detail17trampoline_kernelINS0_14default_configENS1_25partition_config_selectorILNS1_17partition_subalgoE9EllbEEZZNS1_14partition_implILS5_9ELb0ES3_jPlS8_PNS0_10empty_typeENS0_5tupleIJS8_S9_EEENSB_IJS8_SA_EEENS0_18inequality_wrapperIZN2at6native12_GLOBAL__N_124unique_dim_cuda_templateIaEESt5tupleIJNSF_6TensorESK_SK_EERKSK_lbbbEUlllE0_EEPmJS9_EEE10hipError_tPvRmT3_T4_T5_T6_T7_T9_mT8_P12ihipStream_tbDpT10_ENKUlT_T0_E_clISt17integral_constantIbLb0EES19_IbLb1EEEEDaS15_S16_EUlS15_E_NS1_11comp_targetILNS1_3genE0ELNS1_11target_archE4294967295ELNS1_3gpuE0ELNS1_3repE0EEENS1_30default_config_static_selectorELNS0_4arch9wavefront6targetE0EEEvT1_,"axG",@progbits,_ZN7rocprim17ROCPRIM_400000_NS6detail17trampoline_kernelINS0_14default_configENS1_25partition_config_selectorILNS1_17partition_subalgoE9EllbEEZZNS1_14partition_implILS5_9ELb0ES3_jPlS8_PNS0_10empty_typeENS0_5tupleIJS8_S9_EEENSB_IJS8_SA_EEENS0_18inequality_wrapperIZN2at6native12_GLOBAL__N_124unique_dim_cuda_templateIaEESt5tupleIJNSF_6TensorESK_SK_EERKSK_lbbbEUlllE0_EEPmJS9_EEE10hipError_tPvRmT3_T4_T5_T6_T7_T9_mT8_P12ihipStream_tbDpT10_ENKUlT_T0_E_clISt17integral_constantIbLb0EES19_IbLb1EEEEDaS15_S16_EUlS15_E_NS1_11comp_targetILNS1_3genE0ELNS1_11target_archE4294967295ELNS1_3gpuE0ELNS1_3repE0EEENS1_30default_config_static_selectorELNS0_4arch9wavefront6targetE0EEEvT1_,comdat
	.globl	_ZN7rocprim17ROCPRIM_400000_NS6detail17trampoline_kernelINS0_14default_configENS1_25partition_config_selectorILNS1_17partition_subalgoE9EllbEEZZNS1_14partition_implILS5_9ELb0ES3_jPlS8_PNS0_10empty_typeENS0_5tupleIJS8_S9_EEENSB_IJS8_SA_EEENS0_18inequality_wrapperIZN2at6native12_GLOBAL__N_124unique_dim_cuda_templateIaEESt5tupleIJNSF_6TensorESK_SK_EERKSK_lbbbEUlllE0_EEPmJS9_EEE10hipError_tPvRmT3_T4_T5_T6_T7_T9_mT8_P12ihipStream_tbDpT10_ENKUlT_T0_E_clISt17integral_constantIbLb0EES19_IbLb1EEEEDaS15_S16_EUlS15_E_NS1_11comp_targetILNS1_3genE0ELNS1_11target_archE4294967295ELNS1_3gpuE0ELNS1_3repE0EEENS1_30default_config_static_selectorELNS0_4arch9wavefront6targetE0EEEvT1_ ; -- Begin function _ZN7rocprim17ROCPRIM_400000_NS6detail17trampoline_kernelINS0_14default_configENS1_25partition_config_selectorILNS1_17partition_subalgoE9EllbEEZZNS1_14partition_implILS5_9ELb0ES3_jPlS8_PNS0_10empty_typeENS0_5tupleIJS8_S9_EEENSB_IJS8_SA_EEENS0_18inequality_wrapperIZN2at6native12_GLOBAL__N_124unique_dim_cuda_templateIaEESt5tupleIJNSF_6TensorESK_SK_EERKSK_lbbbEUlllE0_EEPmJS9_EEE10hipError_tPvRmT3_T4_T5_T6_T7_T9_mT8_P12ihipStream_tbDpT10_ENKUlT_T0_E_clISt17integral_constantIbLb0EES19_IbLb1EEEEDaS15_S16_EUlS15_E_NS1_11comp_targetILNS1_3genE0ELNS1_11target_archE4294967295ELNS1_3gpuE0ELNS1_3repE0EEENS1_30default_config_static_selectorELNS0_4arch9wavefront6targetE0EEEvT1_
	.p2align	8
	.type	_ZN7rocprim17ROCPRIM_400000_NS6detail17trampoline_kernelINS0_14default_configENS1_25partition_config_selectorILNS1_17partition_subalgoE9EllbEEZZNS1_14partition_implILS5_9ELb0ES3_jPlS8_PNS0_10empty_typeENS0_5tupleIJS8_S9_EEENSB_IJS8_SA_EEENS0_18inequality_wrapperIZN2at6native12_GLOBAL__N_124unique_dim_cuda_templateIaEESt5tupleIJNSF_6TensorESK_SK_EERKSK_lbbbEUlllE0_EEPmJS9_EEE10hipError_tPvRmT3_T4_T5_T6_T7_T9_mT8_P12ihipStream_tbDpT10_ENKUlT_T0_E_clISt17integral_constantIbLb0EES19_IbLb1EEEEDaS15_S16_EUlS15_E_NS1_11comp_targetILNS1_3genE0ELNS1_11target_archE4294967295ELNS1_3gpuE0ELNS1_3repE0EEENS1_30default_config_static_selectorELNS0_4arch9wavefront6targetE0EEEvT1_,@function
_ZN7rocprim17ROCPRIM_400000_NS6detail17trampoline_kernelINS0_14default_configENS1_25partition_config_selectorILNS1_17partition_subalgoE9EllbEEZZNS1_14partition_implILS5_9ELb0ES3_jPlS8_PNS0_10empty_typeENS0_5tupleIJS8_S9_EEENSB_IJS8_SA_EEENS0_18inequality_wrapperIZN2at6native12_GLOBAL__N_124unique_dim_cuda_templateIaEESt5tupleIJNSF_6TensorESK_SK_EERKSK_lbbbEUlllE0_EEPmJS9_EEE10hipError_tPvRmT3_T4_T5_T6_T7_T9_mT8_P12ihipStream_tbDpT10_ENKUlT_T0_E_clISt17integral_constantIbLb0EES19_IbLb1EEEEDaS15_S16_EUlS15_E_NS1_11comp_targetILNS1_3genE0ELNS1_11target_archE4294967295ELNS1_3gpuE0ELNS1_3repE0EEENS1_30default_config_static_selectorELNS0_4arch9wavefront6targetE0EEEvT1_: ; @_ZN7rocprim17ROCPRIM_400000_NS6detail17trampoline_kernelINS0_14default_configENS1_25partition_config_selectorILNS1_17partition_subalgoE9EllbEEZZNS1_14partition_implILS5_9ELb0ES3_jPlS8_PNS0_10empty_typeENS0_5tupleIJS8_S9_EEENSB_IJS8_SA_EEENS0_18inequality_wrapperIZN2at6native12_GLOBAL__N_124unique_dim_cuda_templateIaEESt5tupleIJNSF_6TensorESK_SK_EERKSK_lbbbEUlllE0_EEPmJS9_EEE10hipError_tPvRmT3_T4_T5_T6_T7_T9_mT8_P12ihipStream_tbDpT10_ENKUlT_T0_E_clISt17integral_constantIbLb0EES19_IbLb1EEEEDaS15_S16_EUlS15_E_NS1_11comp_targetILNS1_3genE0ELNS1_11target_archE4294967295ELNS1_3gpuE0ELNS1_3repE0EEENS1_30default_config_static_selectorELNS0_4arch9wavefront6targetE0EEEvT1_
; %bb.0:
	s_clause 0x3
	s_load_b128 s[4:7], s[0:1], 0x8
	s_load_b64 s[24:25], s[0:1], 0x18
	s_load_b256 s[12:19], s[0:1], 0x40
	s_load_b128 s[8:11], s[0:1], 0x60
	v_cmp_ne_u32_e64 s3, 0, v0
	v_cmp_eq_u32_e64 s2, 0, v0
	s_and_saveexec_b32 s20, s2
	s_cbranch_execz .LBB375_4
; %bb.1:
	s_mov_b32 s22, exec_lo
	s_mov_b32 s21, exec_lo
	v_mbcnt_lo_u32_b32 v1, s22, 0
                                        ; implicit-def: $vgpr2
	s_delay_alu instid0(VALU_DEP_1)
	v_cmpx_eq_u32_e32 0, v1
	s_cbranch_execz .LBB375_3
; %bb.2:
	s_load_b64 s[26:27], s[0:1], 0x78
	s_bcnt1_i32_b32 s22, s22
	s_delay_alu instid0(SALU_CYCLE_1)
	v_dual_mov_b32 v2, 0 :: v_dual_mov_b32 v3, s22
	s_wait_xcnt 0x0
	s_wait_kmcnt 0x0
	global_atomic_add_u32 v2, v2, v3, s[26:27] th:TH_ATOMIC_RETURN scope:SCOPE_DEV
.LBB375_3:
	s_wait_xcnt 0x0
	s_or_b32 exec_lo, exec_lo, s21
	s_wait_loadcnt 0x0
	v_readfirstlane_b32 s21, v2
	s_delay_alu instid0(VALU_DEP_1)
	v_dual_mov_b32 v2, 0 :: v_dual_add_nc_u32 v1, s21, v1
	ds_store_b32 v2, v1
.LBB375_4:
	s_or_b32 exec_lo, exec_lo, s20
	v_mov_b32_e32 v1, 0
	s_clause 0x1
	s_load_b128 s[20:23], s[0:1], 0x28
	s_load_b32 s28, s[0:1], 0x70
	s_wait_dscnt 0x0
	s_barrier_signal -1
	s_barrier_wait -1
	ds_load_b32 v4, v1
	s_wait_dscnt 0x0
	s_barrier_signal -1
	s_barrier_wait -1
	s_wait_kmcnt 0x0
	global_load_b64 v[2:3], v1, s[14:15]
	s_wait_xcnt 0x0
	s_mov_b32 s15, 0
	s_lshl_b64 s[26:27], s[6:7], 3
	v_lshlrev_b32_e32 v1, 3, v0
	s_add_nc_u64 s[4:5], s[4:5], s[26:27]
	s_mov_b32 s1, -1
	s_mul_i32 s14, s28, 0x280
	s_add_co_i32 s28, s28, -1
	s_add_co_i32 s0, s14, s6
	s_add_nc_u64 s[34:35], s[6:7], s[14:15]
	s_sub_co_i32 s31, s16, s0
	v_readfirstlane_b32 s30, v4
	v_cmp_le_u64_e64 s0, s[16:17], s[34:35]
	s_addk_co_i32 s31, 0x280
	s_cmp_eq_u32 s30, s28
	s_mul_i32 s14, s30, 0x280
	s_cselect_b32 s28, -1, 0
	s_lshl_b64 s[16:17], s[14:15], 3
	s_and_b32 s33, s0, s28
	s_add_nc_u64 s[4:5], s[4:5], s[16:17]
	s_xor_b32 s29, s33, -1
	s_delay_alu instid0(SALU_CYCLE_1)
	s_and_b32 vcc_lo, exec_lo, s29
	s_wait_loadcnt 0x0
	v_readfirstlane_b32 s14, v2
	v_readfirstlane_b32 s15, v3
	s_cbranch_vccz .LBB375_6
; %bb.5:
	s_clause 0x4
	global_load_b64 v[2:3], v0, s[4:5] scale_offset
	global_load_b64 v[4:5], v0, s[4:5] offset:1024 scale_offset
	global_load_b64 v[6:7], v0, s[4:5] offset:2048 scale_offset
	;; [unrolled: 1-line block ×4, first 2 shown]
	v_lshlrev_b32_e32 v12, 3, v0
	s_mov_b32 s1, 0
	s_wait_loadcnt 0x3
	ds_store_2addr_stride64_b64 v12, v[2:3], v[4:5] offset1:2
	s_wait_loadcnt 0x1
	ds_store_2addr_stride64_b64 v12, v[6:7], v[8:9] offset0:4 offset1:6
	s_wait_loadcnt 0x0
	ds_store_b64 v12, v[10:11] offset:4096
	s_wait_dscnt 0x0
	s_barrier_signal -1
	s_barrier_wait -1
.LBB375_6:
	v_cmp_gt_u32_e64 s0, s31, v0
	s_and_not1_b32 vcc_lo, exec_lo, s1
	s_cbranch_vccnz .LBB375_18
; %bb.7:
	v_mov_b32_e32 v2, 0
	s_delay_alu instid0(VALU_DEP_1)
	v_dual_mov_b32 v3, v2 :: v_dual_mov_b32 v4, v2
	v_dual_mov_b32 v5, v2 :: v_dual_mov_b32 v6, v2
	;; [unrolled: 1-line block ×4, first 2 shown]
	v_mov_b32_e32 v11, v2
	s_and_saveexec_b32 s1, s0
	s_cbranch_execz .LBB375_9
; %bb.8:
	global_load_b64 v[4:5], v0, s[4:5] scale_offset
	v_dual_mov_b32 v6, v2 :: v_dual_mov_b32 v7, v2
	v_dual_mov_b32 v8, v2 :: v_dual_mov_b32 v9, v2
	;; [unrolled: 1-line block ×4, first 2 shown]
	s_wait_loadcnt 0x0
	v_mov_b64_e32 v[2:3], v[4:5]
	v_mov_b64_e32 v[4:5], v[6:7]
	;; [unrolled: 1-line block ×8, first 2 shown]
.LBB375_9:
	s_or_b32 exec_lo, exec_lo, s1
	v_or_b32_e32 v12, 0x80, v0
	s_mov_b32 s0, exec_lo
	s_delay_alu instid0(VALU_DEP_1)
	v_cmpx_gt_u32_e64 s31, v12
	s_cbranch_execz .LBB375_11
; %bb.10:
	global_load_b64 v[4:5], v0, s[4:5] offset:1024 scale_offset
.LBB375_11:
	s_wait_xcnt 0x0
	s_or_b32 exec_lo, exec_lo, s0
	v_or_b32_e32 v12, 0x100, v0
	s_mov_b32 s0, exec_lo
	s_delay_alu instid0(VALU_DEP_1)
	v_cmpx_gt_u32_e64 s31, v12
	s_cbranch_execz .LBB375_13
; %bb.12:
	global_load_b64 v[6:7], v0, s[4:5] offset:2048 scale_offset
.LBB375_13:
	s_wait_xcnt 0x0
	;; [unrolled: 10-line block ×4, first 2 shown]
	s_or_b32 exec_lo, exec_lo, s0
	v_lshlrev_b32_e32 v12, 3, v0
	s_wait_loadcnt 0x0
	ds_store_2addr_stride64_b64 v12, v[2:3], v[4:5] offset1:2
	ds_store_2addr_stride64_b64 v12, v[6:7], v[8:9] offset0:4 offset1:6
	ds_store_b64 v12, v[10:11] offset:4096
	s_wait_dscnt 0x0
	s_barrier_signal -1
	s_barrier_wait -1
.LBB375_18:
	v_mul_u32_u24_e32 v30, 5, v0
	s_add_nc_u64 s[0:1], s[24:25], s[26:27]
	s_and_b32 vcc_lo, exec_lo, s29
	s_add_nc_u64 s[0:1], s[0:1], s[16:17]
	s_delay_alu instid0(VALU_DEP_1)
	v_lshlrev_b32_e32 v31, 3, v30
	s_mov_b32 s16, -1
	ds_load_2addr_b64 v[14:17], v31 offset1:1
	ds_load_2addr_b64 v[10:13], v31 offset0:2 offset1:3
	ds_load_b64 v[20:21], v31 offset:32
	s_wait_dscnt 0x0
	s_barrier_signal -1
	s_barrier_wait -1
	s_cbranch_vccz .LBB375_20
; %bb.19:
	s_clause 0x4
	global_load_b64 v[2:3], v0, s[0:1] scale_offset
	global_load_b64 v[4:5], v0, s[0:1] offset:1024 scale_offset
	global_load_b64 v[6:7], v0, s[0:1] offset:2048 scale_offset
	;; [unrolled: 1-line block ×4, first 2 shown]
	v_lshlrev_b32_e32 v22, 3, v0
	s_mov_b32 s16, 0
	s_wait_loadcnt 0x3
	ds_store_2addr_stride64_b64 v22, v[2:3], v[4:5] offset1:2
	s_wait_loadcnt 0x1
	ds_store_2addr_stride64_b64 v22, v[6:7], v[8:9] offset0:4 offset1:6
	s_wait_loadcnt 0x0
	ds_store_b64 v22, v[18:19] offset:4096
	s_wait_dscnt 0x0
	s_barrier_signal -1
	s_barrier_wait -1
.LBB375_20:
	s_and_not1_b32 vcc_lo, exec_lo, s16
	s_cbranch_vccnz .LBB375_32
; %bb.21:
	s_mov_b32 s16, exec_lo
                                        ; implicit-def: $vgpr2_vgpr3
	v_cmpx_gt_u32_e64 s31, v0
	s_cbranch_execz .LBB375_23
; %bb.22:
	global_load_b64 v[2:3], v0, s[0:1] scale_offset
.LBB375_23:
	s_wait_xcnt 0x0
	s_or_b32 exec_lo, exec_lo, s16
	v_or_b32_e32 v4, 0x80, v0
	s_delay_alu instid0(VALU_DEP_1)
	v_cmp_gt_u32_e32 vcc_lo, s31, v4
                                        ; implicit-def: $vgpr4_vgpr5
	s_and_saveexec_b32 s16, vcc_lo
	s_cbranch_execz .LBB375_25
; %bb.24:
	global_load_b64 v[4:5], v0, s[0:1] offset:1024 scale_offset
.LBB375_25:
	s_wait_xcnt 0x0
	s_or_b32 exec_lo, exec_lo, s16
	v_or_b32_e32 v6, 0x100, v0
	s_delay_alu instid0(VALU_DEP_1)
	v_cmp_gt_u32_e32 vcc_lo, s31, v6
                                        ; implicit-def: $vgpr6_vgpr7
	s_and_saveexec_b32 s16, vcc_lo
	s_cbranch_execz .LBB375_27
; %bb.26:
	global_load_b64 v[6:7], v0, s[0:1] offset:2048 scale_offset
.LBB375_27:
	s_wait_xcnt 0x0
	s_or_b32 exec_lo, exec_lo, s16
	v_or_b32_e32 v8, 0x180, v0
	s_delay_alu instid0(VALU_DEP_1)
	v_cmp_gt_u32_e32 vcc_lo, s31, v8
                                        ; implicit-def: $vgpr8_vgpr9
	s_and_saveexec_b32 s16, vcc_lo
	s_cbranch_execz .LBB375_29
; %bb.28:
	global_load_b64 v[8:9], v0, s[0:1] offset:3072 scale_offset
.LBB375_29:
	s_wait_xcnt 0x0
	s_or_b32 exec_lo, exec_lo, s16
	v_or_b32_e32 v18, 0x200, v0
	s_delay_alu instid0(VALU_DEP_1)
	v_cmp_gt_u32_e32 vcc_lo, s31, v18
                                        ; implicit-def: $vgpr18_vgpr19
	s_and_saveexec_b32 s16, vcc_lo
	s_cbranch_execz .LBB375_31
; %bb.30:
	global_load_b64 v[18:19], v0, s[0:1] offset:4096 scale_offset
.LBB375_31:
	s_wait_xcnt 0x0
	s_or_b32 exec_lo, exec_lo, s16
	v_lshlrev_b32_e32 v22, 5, v0
	s_delay_alu instid0(VALU_DEP_1)
	v_sub_nc_u32_e32 v22, v31, v22
	s_wait_loadcnt 0x0
	ds_store_2addr_stride64_b64 v22, v[2:3], v[4:5] offset1:2
	ds_store_2addr_stride64_b64 v22, v[6:7], v[8:9] offset0:4 offset1:6
	ds_store_b64 v22, v[18:19] offset:4096
	s_wait_dscnt 0x0
	s_barrier_signal -1
	s_barrier_wait -1
.LBB375_32:
	ds_load_b64 v[18:19], v31 offset:32
	ds_load_2addr_b64 v[2:5], v31 offset0:2 offset1:3
	ds_load_2addr_b64 v[6:9], v31 offset1:1
	s_cmp_lg_u32 s30, 0
	s_wait_dscnt 0x0
	s_cselect_b32 s16, -1, 0
	s_cmp_lg_u64 s[6:7], 0
	v_cmp_gt_i64_e64 s7, s[18:19], 0
	s_cselect_b32 s0, -1, 0
	s_mov_b32 s6, 0
	s_or_b32 s0, s0, s16
	s_barrier_signal -1
	s_and_b32 vcc_lo, exec_lo, s0
	s_barrier_wait -1
	s_cbranch_vccz .LBB375_44
; %bb.33:
	v_dual_mov_b32 v24, 0 :: v_dual_lshlrev_b32 v33, 3, v0
	v_cndmask_b32_e64 v32, 0, 1, s7
	s_and_b32 vcc_lo, exec_lo, s29
	global_load_b64 v[22:23], v24, s[4:5] offset:-8
	ds_store_b64 v33, v[20:21]
	v_cmp_ne_u32_e64 s0, 1, v32
	s_cbranch_vccz .LBB375_46
; %bb.34:
	s_and_b32 vcc_lo, exec_lo, s0
	s_cbranch_vccnz .LBB375_47
; %bb.35:
	s_wait_xcnt 0x0
	v_mad_nc_u64_u32 v[24:25], v12, s18, s[8:9]
	v_mad_nc_u64_u32 v[26:27], v20, s18, s[8:9]
	s_add_nc_u64 s[4:5], s[18:19], -1
	s_mov_b32 s17, 0
	s_mov_b64 s[0:1], s[4:5]
                                        ; implicit-def: $sgpr6
	s_delay_alu instid0(VALU_DEP_2) | instskip(NEXT) | instid1(VALU_DEP_2)
	v_mad_u32 v25, v13, s18, v25
	v_mad_u32 v27, v21, s18, v27
	s_delay_alu instid0(VALU_DEP_2) | instskip(NEXT) | instid1(VALU_DEP_2)
	v_mad_u32 v25, v12, s19, v25
	v_mad_u32 v27, v20, s19, v27
	s_delay_alu instid0(VALU_DEP_2)
	v_mov_b64_e32 v[28:29], v[24:25]
.LBB375_36:                             ; =>This Inner Loop Header: Depth=1
	global_load_u8 v34, v[28:29], off
	global_load_u8 v35, v[26:27], off
	s_cmp_eq_u64 s[0:1], 0
	s_add_nc_u64 s[24:25], s[0:1], -1
	s_cselect_b32 s1, -1, 0
	s_wait_xcnt 0x1
	v_add_nc_u64_e32 v[28:29], 1, v[28:29]
	s_wait_xcnt 0x0
	v_add_nc_u64_e32 v[26:27], 1, v[26:27]
	s_wait_loadcnt 0x0
	v_cmp_ne_u16_e32 vcc_lo, v34, v35
	v_cmp_eq_u16_e64 s0, v34, v35
	s_or_b32 s1, vcc_lo, s1
	s_delay_alu instid0(SALU_CYCLE_1) | instskip(NEXT) | instid1(SALU_CYCLE_1)
	s_and_b32 s1, exec_lo, s1
	s_or_b32 s17, s1, s17
	s_and_not1_b32 s6, s6, exec_lo
	s_and_b32 s26, s0, exec_lo
	s_mov_b64 s[0:1], s[24:25]
	s_or_b32 s6, s6, s26
	s_and_not1_b32 exec_lo, exec_lo, s17
	s_cbranch_execnz .LBB375_36
; %bb.37:
	s_or_b32 exec_lo, exec_lo, s17
	v_mad_nc_u64_u32 v[26:27], v10, s18, s[8:9]
	s_mov_b32 s24, 0
	s_mov_b64 s[0:1], s[4:5]
                                        ; implicit-def: $sgpr17
	s_delay_alu instid0(VALU_DEP_1) | instskip(NEXT) | instid1(VALU_DEP_1)
	v_mad_u32 v27, v11, s18, v27
	v_mad_u32 v27, v10, s19, v27
	s_delay_alu instid0(VALU_DEP_1)
	v_mov_b64_e32 v[28:29], v[26:27]
.LBB375_38:                             ; =>This Inner Loop Header: Depth=1
	global_load_u8 v34, v[28:29], off
	global_load_u8 v35, v[24:25], off
	s_cmp_eq_u64 s[0:1], 0
	s_add_nc_u64 s[26:27], s[0:1], -1
	s_cselect_b32 s1, -1, 0
	s_wait_xcnt 0x1
	v_add_nc_u64_e32 v[28:29], 1, v[28:29]
	s_wait_xcnt 0x0
	v_add_nc_u64_e32 v[24:25], 1, v[24:25]
	s_wait_loadcnt 0x0
	v_cmp_ne_u16_e32 vcc_lo, v34, v35
	v_cmp_eq_u16_e64 s0, v34, v35
	s_or_b32 s1, vcc_lo, s1
	s_delay_alu instid0(SALU_CYCLE_1) | instskip(NEXT) | instid1(SALU_CYCLE_1)
	s_and_b32 s1, exec_lo, s1
	s_or_b32 s24, s1, s24
	s_and_not1_b32 s17, s17, exec_lo
	s_and_b32 s25, s0, exec_lo
	s_mov_b64 s[0:1], s[26:27]
	s_or_b32 s17, s17, s25
	s_and_not1_b32 exec_lo, exec_lo, s24
	s_cbranch_execnz .LBB375_38
; %bb.39:
	s_or_b32 exec_lo, exec_lo, s24
	v_mad_nc_u64_u32 v[24:25], v16, s18, s[8:9]
	s_mov_b32 s25, 0
	s_mov_b64 s[0:1], s[4:5]
                                        ; implicit-def: $sgpr24
	s_delay_alu instid0(VALU_DEP_1) | instskip(NEXT) | instid1(VALU_DEP_1)
	v_mad_u32 v25, v17, s18, v25
	v_mad_u32 v25, v16, s19, v25
	s_delay_alu instid0(VALU_DEP_1)
	v_mov_b64_e32 v[28:29], v[24:25]
.LBB375_40:                             ; =>This Inner Loop Header: Depth=1
	global_load_u8 v34, v[28:29], off
	global_load_u8 v35, v[26:27], off
	s_cmp_eq_u64 s[0:1], 0
	s_add_nc_u64 s[26:27], s[0:1], -1
	s_cselect_b32 s1, -1, 0
	s_wait_xcnt 0x1
	v_add_nc_u64_e32 v[28:29], 1, v[28:29]
	s_wait_xcnt 0x0
	v_add_nc_u64_e32 v[26:27], 1, v[26:27]
	s_wait_loadcnt 0x0
	v_cmp_ne_u16_e32 vcc_lo, v34, v35
	v_cmp_eq_u16_e64 s0, v34, v35
	s_or_b32 s1, vcc_lo, s1
	s_delay_alu instid0(SALU_CYCLE_1) | instskip(NEXT) | instid1(SALU_CYCLE_1)
	s_and_b32 s1, exec_lo, s1
	s_or_b32 s25, s1, s25
	s_and_not1_b32 s24, s24, exec_lo
	s_and_b32 s34, s0, exec_lo
	s_mov_b64 s[0:1], s[26:27]
	s_or_b32 s24, s24, s34
	s_and_not1_b32 exec_lo, exec_lo, s25
	s_cbranch_execnz .LBB375_40
; %bb.41:
	s_or_b32 exec_lo, exec_lo, s25
	v_mad_nc_u64_u32 v[26:27], v14, s18, s[8:9]
	s_mov_b32 s25, 0
                                        ; implicit-def: $sgpr1
	s_delay_alu instid0(VALU_DEP_1) | instskip(NEXT) | instid1(VALU_DEP_1)
	v_mad_u32 v27, v15, s18, v27
	v_mad_u32 v27, v14, s19, v27
.LBB375_42:                             ; =>This Inner Loop Header: Depth=1
	global_load_u8 v28, v[26:27], off
	global_load_u8 v29, v[24:25], off
	s_cmp_eq_u64 s[4:5], 0
	s_add_nc_u64 s[26:27], s[4:5], -1
	s_cselect_b32 s4, -1, 0
	s_wait_xcnt 0x1
	v_add_nc_u64_e32 v[26:27], 1, v[26:27]
	s_wait_xcnt 0x0
	v_add_nc_u64_e32 v[24:25], 1, v[24:25]
	s_wait_loadcnt 0x0
	v_cmp_ne_u16_e32 vcc_lo, v28, v29
	v_cmp_eq_u16_e64 s0, v28, v29
	s_or_b32 s4, vcc_lo, s4
	s_delay_alu instid0(SALU_CYCLE_1) | instskip(NEXT) | instid1(SALU_CYCLE_1)
	s_and_b32 s4, exec_lo, s4
	s_or_b32 s25, s4, s25
	s_and_not1_b32 s1, s1, exec_lo
	s_and_b32 s0, s0, exec_lo
	s_mov_b64 s[4:5], s[26:27]
	s_or_b32 s1, s1, s0
	s_and_not1_b32 exec_lo, exec_lo, s25
	s_cbranch_execnz .LBB375_42
; %bb.43:
	s_or_b32 exec_lo, exec_lo, s25
	s_xor_b32 s0, s17, -1
	s_delay_alu instid0(SALU_CYCLE_1) | instskip(SKIP_1) | instid1(SALU_CYCLE_1)
	v_cndmask_b32_e64 v24, 0, 1, s0
	s_xor_b32 s0, s24, -1
	v_cndmask_b32_e64 v25, 0, 1, s0
	s_xor_b32 s0, s6, -1
	s_delay_alu instid0(VALU_DEP_2) | instskip(SKIP_2) | instid1(VALU_DEP_2)
	v_lshlrev_b16 v24, 8, v24
	v_cndmask_b32_e64 v34, 0, 1, s0
	s_xor_b32 s0, s1, -1
	v_lshrrev_b32_e32 v24, 8, v24
	s_delay_alu instid0(VALU_DEP_1) | instskip(NEXT) | instid1(VALU_DEP_1)
	v_lshlrev_b16 v24, 8, v24
	v_or_b32_e32 v24, v25, v24
	s_delay_alu instid0(VALU_DEP_1)
	v_lshlrev_b32_e32 v24, 16, v24
	s_branch .LBB375_48
.LBB375_44:
                                        ; implicit-def: $sgpr0
                                        ; implicit-def: $vgpr34
                                        ; implicit-def: $vgpr25
	s_branch .LBB375_89
.LBB375_45:
                                        ; implicit-def: $vgpr24
                                        ; implicit-def: $vgpr23
                                        ; implicit-def: $vgpr35
                                        ; implicit-def: $vgpr22
	s_branch .LBB375_142
.LBB375_46:
	s_wait_xcnt 0x0
                                        ; implicit-def: $sgpr0
                                        ; implicit-def: $vgpr34
                                        ; implicit-def: $vgpr25
	s_cbranch_execnz .LBB375_55
	s_branch .LBB375_88
.LBB375_47:
	v_mov_b32_e32 v34, 0
	s_mov_b32 s0, 0
.LBB375_48:
	s_wait_loadcnt 0x0
	v_mov_b64_e32 v[28:29], v[22:23]
	s_wait_dscnt 0x0
	s_barrier_signal -1
	s_barrier_wait -1
	s_and_saveexec_b32 s1, s3
; %bb.49:
	v_add_nc_u32_e32 v25, -8, v33
	ds_load_b64 v[28:29], v25
; %bb.50:
	s_or_b32 exec_lo, exec_lo, s1
	v_cndmask_b32_e64 v25, 0, 1, s0
	v_lshrrev_b32_e32 v26, 16, v24
	s_mov_b32 s4, 0
	s_and_not1_b32 vcc_lo, exec_lo, s7
	s_mov_b32 s0, 0
	v_lshlrev_b16 v25, 8, v25
	v_perm_b32 v35, v26, v24, 0xc0c0304
	s_delay_alu instid0(VALU_DEP_2) | instskip(NEXT) | instid1(VALU_DEP_1)
	v_bitop3_b16 v25, v24, v25, 0xff bitop3:0xec
	v_and_b32_e32 v36, 0xffff, v25
	s_cbranch_vccnz .LBB375_54
; %bb.51:
	s_wait_dscnt 0x0
	v_mad_nc_u64_u32 v[24:25], v28, s18, s[8:9]
	v_mad_nc_u64_u32 v[26:27], v14, s18, s[8:9]
	s_add_nc_u64 s[0:1], s[18:19], -1
	s_mov_b32 s5, 0
                                        ; implicit-def: $sgpr6
	s_delay_alu instid0(VALU_DEP_2) | instskip(NEXT) | instid1(VALU_DEP_2)
	v_mad_u32 v25, v29, s18, v25
	v_mad_u32 v27, v15, s18, v27
	s_delay_alu instid0(VALU_DEP_2) | instskip(NEXT) | instid1(VALU_DEP_2)
	v_mad_u32 v25, v28, s19, v25
	v_mad_u32 v27, v14, s19, v27
.LBB375_52:                             ; =>This Inner Loop Header: Depth=1
	global_load_u8 v28, v[24:25], off
	global_load_u8 v29, v[26:27], off
	s_cmp_eq_u64 s[0:1], 0
	s_add_nc_u64 s[24:25], s[0:1], -1
	s_cselect_b32 s1, -1, 0
	s_wait_xcnt 0x1
	v_add_nc_u64_e32 v[24:25], 1, v[24:25]
	s_wait_xcnt 0x0
	v_add_nc_u64_e32 v[26:27], 1, v[26:27]
	s_wait_loadcnt 0x0
	v_cmp_ne_u16_e32 vcc_lo, v28, v29
	v_cmp_eq_u16_e64 s0, v28, v29
	s_or_b32 s1, vcc_lo, s1
	s_delay_alu instid0(SALU_CYCLE_1) | instskip(NEXT) | instid1(SALU_CYCLE_1)
	s_and_b32 s1, exec_lo, s1
	s_or_b32 s5, s1, s5
	s_and_not1_b32 s6, s6, exec_lo
	s_and_b32 s17, s0, exec_lo
	s_mov_b64 s[0:1], s[24:25]
	s_or_b32 s6, s6, s17
	s_and_not1_b32 exec_lo, exec_lo, s5
	s_cbranch_execnz .LBB375_52
; %bb.53:
	s_or_b32 exec_lo, exec_lo, s5
	s_xor_b32 s0, s6, -1
.LBB375_54:
	s_delay_alu instid0(VALU_DEP_1)
	v_lshl_or_b32 v25, v35, 16, v36
	s_and_b32 vcc_lo, exec_lo, s4
	s_cbranch_vccz .LBB375_88
.LBB375_55:
	v_add_nc_u32_e32 v24, 4, v30
	s_mov_b32 s5, 0
	s_mov_b32 s4, 0
	s_mov_b32 s6, exec_lo
	s_delay_alu instid0(VALU_DEP_1)
	v_cmpx_gt_u32_e64 s31, v24
	s_cbranch_execz .LBB375_61
; %bb.56:
	s_and_not1_b32 vcc_lo, exec_lo, s7
	s_mov_b32 s0, 0
	s_cbranch_vccnz .LBB375_60
; %bb.57:
	v_mad_nc_u64_u32 v[24:25], v12, s18, s[8:9]
	v_mad_nc_u64_u32 v[26:27], v20, s18, s[8:9]
	s_add_nc_u64 s[0:1], s[18:19], -1
                                        ; implicit-def: $sgpr7
	s_delay_alu instid0(VALU_DEP_2) | instskip(NEXT) | instid1(VALU_DEP_2)
	v_mad_u32 v25, v13, s18, v25
	v_mad_u32 v27, v21, s18, v27
	s_delay_alu instid0(VALU_DEP_2) | instskip(NEXT) | instid1(VALU_DEP_2)
	v_mad_u32 v25, v12, s19, v25
	v_mad_u32 v27, v20, s19, v27
.LBB375_58:                             ; =>This Inner Loop Header: Depth=1
	s_wait_dscnt 0x0
	global_load_u8 v28, v[24:25], off
	global_load_u8 v29, v[26:27], off
	s_cmp_eq_u64 s[0:1], 0
	s_add_nc_u64 s[24:25], s[0:1], -1
	s_cselect_b32 s1, -1, 0
	s_wait_xcnt 0x1
	v_add_nc_u64_e32 v[24:25], 1, v[24:25]
	s_wait_xcnt 0x0
	v_add_nc_u64_e32 v[26:27], 1, v[26:27]
	s_wait_loadcnt 0x0
	v_cmp_ne_u16_e32 vcc_lo, v28, v29
	v_cmp_eq_u16_e64 s0, v28, v29
	s_or_b32 s1, vcc_lo, s1
	s_delay_alu instid0(SALU_CYCLE_1) | instskip(NEXT) | instid1(SALU_CYCLE_1)
	s_and_b32 s1, exec_lo, s1
	s_or_b32 s4, s1, s4
	s_and_not1_b32 s7, s7, exec_lo
	s_and_b32 s17, s0, exec_lo
	s_mov_b64 s[0:1], s[24:25]
	s_or_b32 s7, s7, s17
	s_and_not1_b32 exec_lo, exec_lo, s4
	s_cbranch_execnz .LBB375_58
; %bb.59:
	s_or_b32 exec_lo, exec_lo, s4
	s_xor_b32 s0, s7, -1
.LBB375_60:
	s_delay_alu instid0(SALU_CYCLE_1)
	s_and_b32 s4, s0, exec_lo
.LBB375_61:
	s_or_b32 exec_lo, exec_lo, s6
	v_add_nc_u32_e32 v24, 3, v30
	s_mov_b32 s6, exec_lo
	s_delay_alu instid0(VALU_DEP_1)
	v_cmpx_gt_u32_e64 s31, v24
	s_cbranch_execz .LBB375_67
; %bb.62:
	v_cmp_ne_u32_e32 vcc_lo, 1, v32
	s_mov_b32 s0, 0
	s_cbranch_vccnz .LBB375_66
; %bb.63:
	v_mad_nc_u64_u32 v[24:25], v10, s18, s[8:9]
	v_mad_nc_u64_u32 v[26:27], v12, s18, s[8:9]
	s_add_nc_u64 s[0:1], s[18:19], -1
	s_mov_b32 s5, 0
                                        ; implicit-def: $sgpr7
	s_delay_alu instid0(VALU_DEP_2) | instskip(NEXT) | instid1(VALU_DEP_2)
	v_mad_u32 v25, v11, s18, v25
	v_mad_u32 v27, v13, s18, v27
	s_delay_alu instid0(VALU_DEP_2) | instskip(NEXT) | instid1(VALU_DEP_2)
	v_mad_u32 v25, v10, s19, v25
	v_mad_u32 v27, v12, s19, v27
.LBB375_64:                             ; =>This Inner Loop Header: Depth=1
	s_wait_dscnt 0x0
	global_load_u8 v28, v[24:25], off
	global_load_u8 v29, v[26:27], off
	s_cmp_eq_u64 s[0:1], 0
	s_add_nc_u64 s[24:25], s[0:1], -1
	s_cselect_b32 s1, -1, 0
	s_wait_xcnt 0x1
	v_add_nc_u64_e32 v[24:25], 1, v[24:25]
	s_wait_xcnt 0x0
	v_add_nc_u64_e32 v[26:27], 1, v[26:27]
	s_wait_loadcnt 0x0
	v_cmp_ne_u16_e32 vcc_lo, v28, v29
	v_cmp_eq_u16_e64 s0, v28, v29
	s_or_b32 s1, vcc_lo, s1
	s_delay_alu instid0(SALU_CYCLE_1) | instskip(NEXT) | instid1(SALU_CYCLE_1)
	s_and_b32 s1, exec_lo, s1
	s_or_b32 s5, s1, s5
	s_and_not1_b32 s7, s7, exec_lo
	s_and_b32 s17, s0, exec_lo
	s_mov_b64 s[0:1], s[24:25]
	s_or_b32 s7, s7, s17
	s_and_not1_b32 exec_lo, exec_lo, s5
	s_cbranch_execnz .LBB375_64
; %bb.65:
	s_or_b32 exec_lo, exec_lo, s5
	s_xor_b32 s0, s7, -1
.LBB375_66:
	s_delay_alu instid0(SALU_CYCLE_1)
	s_and_b32 s5, s0, exec_lo
.LBB375_67:
	s_or_b32 exec_lo, exec_lo, s6
	v_add_nc_u32_e32 v24, 2, v30
	s_mov_b32 s6, 0
	s_mov_b32 s7, 0
	s_mov_b32 s17, exec_lo
	s_delay_alu instid0(VALU_DEP_1)
	v_cmpx_gt_u32_e64 s31, v24
	s_cbranch_execz .LBB375_73
; %bb.68:
	v_cmp_ne_u32_e32 vcc_lo, 1, v32
	s_mov_b32 s0, 0
	s_cbranch_vccnz .LBB375_72
; %bb.69:
	v_mad_nc_u64_u32 v[24:25], v16, s18, s[8:9]
	v_mad_nc_u64_u32 v[26:27], v10, s18, s[8:9]
	s_add_nc_u64 s[0:1], s[18:19], -1
                                        ; implicit-def: $sgpr24
	s_delay_alu instid0(VALU_DEP_2) | instskip(NEXT) | instid1(VALU_DEP_2)
	v_mad_u32 v25, v17, s18, v25
	v_mad_u32 v27, v11, s18, v27
	s_delay_alu instid0(VALU_DEP_2) | instskip(NEXT) | instid1(VALU_DEP_2)
	v_mad_u32 v25, v16, s19, v25
	v_mad_u32 v27, v10, s19, v27
.LBB375_70:                             ; =>This Inner Loop Header: Depth=1
	s_wait_dscnt 0x0
	global_load_u8 v28, v[24:25], off
	global_load_u8 v29, v[26:27], off
	s_cmp_eq_u64 s[0:1], 0
	s_add_nc_u64 s[26:27], s[0:1], -1
	s_cselect_b32 s1, -1, 0
	s_wait_xcnt 0x1
	v_add_nc_u64_e32 v[24:25], 1, v[24:25]
	s_wait_xcnt 0x0
	v_add_nc_u64_e32 v[26:27], 1, v[26:27]
	s_wait_loadcnt 0x0
	v_cmp_ne_u16_e32 vcc_lo, v28, v29
	v_cmp_eq_u16_e64 s0, v28, v29
	s_or_b32 s1, vcc_lo, s1
	s_delay_alu instid0(SALU_CYCLE_1) | instskip(NEXT) | instid1(SALU_CYCLE_1)
	s_and_b32 s1, exec_lo, s1
	s_or_b32 s7, s1, s7
	s_and_not1_b32 s24, s24, exec_lo
	s_and_b32 s25, s0, exec_lo
	s_mov_b64 s[0:1], s[26:27]
	s_or_b32 s24, s24, s25
	s_and_not1_b32 exec_lo, exec_lo, s7
	s_cbranch_execnz .LBB375_70
; %bb.71:
	s_or_b32 exec_lo, exec_lo, s7
	s_xor_b32 s0, s24, -1
.LBB375_72:
	s_delay_alu instid0(SALU_CYCLE_1)
	s_and_b32 s7, s0, exec_lo
.LBB375_73:
	s_or_b32 exec_lo, exec_lo, s17
	v_add_nc_u32_e32 v24, 1, v30
	s_mov_b32 s17, exec_lo
	s_delay_alu instid0(VALU_DEP_1)
	v_cmpx_gt_u32_e64 s31, v24
	s_cbranch_execz .LBB375_79
; %bb.74:
	v_cmp_ne_u32_e32 vcc_lo, 1, v32
	s_mov_b32 s0, 0
	s_cbranch_vccnz .LBB375_78
; %bb.75:
	v_mad_nc_u64_u32 v[24:25], v14, s18, s[8:9]
	v_mad_nc_u64_u32 v[26:27], v16, s18, s[8:9]
	s_add_nc_u64 s[0:1], s[18:19], -1
	s_mov_b32 s6, 0
                                        ; implicit-def: $sgpr24
	s_delay_alu instid0(VALU_DEP_2) | instskip(NEXT) | instid1(VALU_DEP_2)
	v_mad_u32 v25, v15, s18, v25
	v_mad_u32 v27, v17, s18, v27
	s_delay_alu instid0(VALU_DEP_2) | instskip(NEXT) | instid1(VALU_DEP_2)
	v_mad_u32 v25, v14, s19, v25
	v_mad_u32 v27, v16, s19, v27
.LBB375_76:                             ; =>This Inner Loop Header: Depth=1
	s_wait_dscnt 0x0
	global_load_u8 v28, v[24:25], off
	global_load_u8 v29, v[26:27], off
	s_cmp_eq_u64 s[0:1], 0
	s_add_nc_u64 s[26:27], s[0:1], -1
	s_cselect_b32 s1, -1, 0
	s_wait_xcnt 0x1
	v_add_nc_u64_e32 v[24:25], 1, v[24:25]
	s_wait_xcnt 0x0
	v_add_nc_u64_e32 v[26:27], 1, v[26:27]
	s_wait_loadcnt 0x0
	v_cmp_ne_u16_e32 vcc_lo, v28, v29
	v_cmp_eq_u16_e64 s0, v28, v29
	s_or_b32 s1, vcc_lo, s1
	s_delay_alu instid0(SALU_CYCLE_1) | instskip(NEXT) | instid1(SALU_CYCLE_1)
	s_and_b32 s1, exec_lo, s1
	s_or_b32 s6, s1, s6
	s_and_not1_b32 s24, s24, exec_lo
	s_and_b32 s25, s0, exec_lo
	s_mov_b64 s[0:1], s[26:27]
	s_or_b32 s24, s24, s25
	s_and_not1_b32 exec_lo, exec_lo, s6
	s_cbranch_execnz .LBB375_76
; %bb.77:
	s_or_b32 exec_lo, exec_lo, s6
	s_xor_b32 s0, s24, -1
.LBB375_78:
	s_delay_alu instid0(SALU_CYCLE_1)
	s_and_b32 s6, s0, exec_lo
.LBB375_79:
	s_or_b32 exec_lo, exec_lo, s17
	s_wait_loadcnt_dscnt 0x0
	s_barrier_signal -1
	s_barrier_wait -1
	s_and_saveexec_b32 s0, s3
; %bb.80:
	v_add_nc_u32_e32 v22, -8, v33
	ds_load_b64 v[22:23], v22
; %bb.81:
	s_or_b32 exec_lo, exec_lo, s0
	v_cndmask_b32_e64 v24, 0, 1, s5
	v_cndmask_b32_e64 v25, 0, 1, s7
	;; [unrolled: 1-line block ×3, first 2 shown]
	s_mov_b32 s0, 0
	s_mov_b32 s5, exec_lo
	v_lshlrev_b16 v24, 8, v24
	s_delay_alu instid0(VALU_DEP_2) | instskip(NEXT) | instid1(VALU_DEP_2)
	v_lshlrev_b16 v26, 8, v26
	v_or_b32_e32 v24, v25, v24
	s_delay_alu instid0(VALU_DEP_2) | instskip(NEXT) | instid1(VALU_DEP_2)
	v_and_b32_e32 v28, 0xffff, v26
	v_lshlrev_b32_e32 v29, 16, v24
	v_cmpx_gt_u32_e64 s31, v30
	s_cbranch_execz .LBB375_87
; %bb.82:
	v_cmp_ne_u32_e32 vcc_lo, 1, v32
	s_cbranch_vccnz .LBB375_86
; %bb.83:
	s_wait_dscnt 0x0
	v_mad_nc_u64_u32 v[24:25], v22, s18, s[8:9]
	v_mad_nc_u64_u32 v[26:27], v14, s18, s[8:9]
	s_add_nc_u64 s[0:1], s[18:19], -1
	s_mov_b32 s6, 0
                                        ; implicit-def: $sgpr7
	s_delay_alu instid0(VALU_DEP_2) | instskip(NEXT) | instid1(VALU_DEP_2)
	v_mad_u32 v23, v23, s18, v25
	v_mad_u32 v27, v15, s18, v27
	s_delay_alu instid0(VALU_DEP_2) | instskip(NEXT) | instid1(VALU_DEP_2)
	v_mad_u32 v25, v22, s19, v23
	v_mad_u32 v27, v14, s19, v27
.LBB375_84:                             ; =>This Inner Loop Header: Depth=1
	global_load_u8 v22, v[24:25], off
	global_load_u8 v23, v[26:27], off
	s_cmp_eq_u64 s[0:1], 0
	s_add_nc_u64 s[24:25], s[0:1], -1
	s_cselect_b32 s1, -1, 0
	s_wait_xcnt 0x1
	v_add_nc_u64_e32 v[24:25], 1, v[24:25]
	s_wait_xcnt 0x0
	v_add_nc_u64_e32 v[26:27], 1, v[26:27]
	s_wait_loadcnt 0x0
	v_cmp_ne_u16_e32 vcc_lo, v22, v23
	v_cmp_eq_u16_e64 s0, v22, v23
	s_or_b32 s1, vcc_lo, s1
	s_delay_alu instid0(SALU_CYCLE_1) | instskip(NEXT) | instid1(SALU_CYCLE_1)
	s_and_b32 s1, exec_lo, s1
	s_or_b32 s6, s1, s6
	s_and_not1_b32 s7, s7, exec_lo
	s_and_b32 s17, s0, exec_lo
	s_mov_b64 s[0:1], s[24:25]
	s_or_b32 s7, s7, s17
	s_and_not1_b32 exec_lo, exec_lo, s6
	s_cbranch_execnz .LBB375_84
; %bb.85:
	s_or_b32 exec_lo, exec_lo, s6
	s_xor_b32 s0, s7, -1
.LBB375_86:
	s_delay_alu instid0(SALU_CYCLE_1)
	s_and_b32 s0, s0, exec_lo
.LBB375_87:
	s_or_b32 exec_lo, exec_lo, s5
	v_cndmask_b32_e64 v34, 0, 1, s4
	v_or_b32_e32 v25, v28, v29
.LBB375_88:
	s_mov_b32 s6, -1
	s_cbranch_execnz .LBB375_45
.LBB375_89:
	s_wait_loadcnt_dscnt 0x0
	v_lshlrev_b32_e32 v22, 5, v0
	v_cmp_gt_i64_e64 s7, s[18:19], 0
	s_and_b32 vcc_lo, exec_lo, s29
	v_sub_nc_u32_e32 v31, v31, v22
	ds_store_b64 v31, v[20:21]
	s_cbranch_vccz .LBB375_100
; %bb.90:
	s_and_not1_b32 vcc_lo, exec_lo, s7
	s_cbranch_vccnz .LBB375_101
; %bb.91:
	v_mad_nc_u64_u32 v[22:23], v12, s18, s[8:9]
	v_mad_nc_u64_u32 v[24:25], v20, s18, s[8:9]
	s_add_nc_u64 s[4:5], s[18:19], -1
	s_mov_b32 s24, 0
	s_mov_b64 s[0:1], s[4:5]
                                        ; implicit-def: $sgpr17
	s_delay_alu instid0(VALU_DEP_2) | instskip(NEXT) | instid1(VALU_DEP_2)
	v_mad_u32 v23, v13, s18, v23
	v_mad_u32 v25, v21, s18, v25
	s_delay_alu instid0(VALU_DEP_2) | instskip(NEXT) | instid1(VALU_DEP_2)
	v_mad_u32 v23, v12, s19, v23
	v_mad_u32 v25, v20, s19, v25
	s_delay_alu instid0(VALU_DEP_2)
	v_mov_b64_e32 v[26:27], v[22:23]
.LBB375_92:                             ; =>This Inner Loop Header: Depth=1
	global_load_u8 v28, v[26:27], off
	global_load_u8 v29, v[24:25], off
	s_cmp_eq_u64 s[0:1], 0
	s_add_nc_u64 s[26:27], s[0:1], -1
	s_cselect_b32 s1, -1, 0
	s_wait_xcnt 0x1
	v_add_nc_u64_e32 v[26:27], 1, v[26:27]
	s_wait_xcnt 0x0
	v_add_nc_u64_e32 v[24:25], 1, v[24:25]
	s_wait_loadcnt 0x0
	v_cmp_ne_u16_e32 vcc_lo, v28, v29
	v_cmp_eq_u16_e64 s0, v28, v29
	s_or_b32 s1, vcc_lo, s1
	s_delay_alu instid0(SALU_CYCLE_1) | instskip(NEXT) | instid1(SALU_CYCLE_1)
	s_and_b32 s1, exec_lo, s1
	s_or_b32 s24, s1, s24
	s_and_not1_b32 s17, s17, exec_lo
	s_and_b32 s25, s0, exec_lo
	s_mov_b64 s[0:1], s[26:27]
	s_or_b32 s17, s17, s25
	s_and_not1_b32 exec_lo, exec_lo, s24
	s_cbranch_execnz .LBB375_92
; %bb.93:
	s_or_b32 exec_lo, exec_lo, s24
	v_mad_nc_u64_u32 v[24:25], v10, s18, s[8:9]
	s_mov_b32 s25, 0
	s_mov_b64 s[0:1], s[4:5]
                                        ; implicit-def: $sgpr24
	s_delay_alu instid0(VALU_DEP_1) | instskip(NEXT) | instid1(VALU_DEP_1)
	v_mad_u32 v25, v11, s18, v25
	v_mad_u32 v25, v10, s19, v25
	s_delay_alu instid0(VALU_DEP_1)
	v_mov_b64_e32 v[26:27], v[24:25]
.LBB375_94:                             ; =>This Inner Loop Header: Depth=1
	global_load_u8 v28, v[26:27], off
	global_load_u8 v29, v[22:23], off
	s_cmp_eq_u64 s[0:1], 0
	s_add_nc_u64 s[26:27], s[0:1], -1
	s_cselect_b32 s1, -1, 0
	s_wait_xcnt 0x1
	v_add_nc_u64_e32 v[26:27], 1, v[26:27]
	s_wait_xcnt 0x0
	v_add_nc_u64_e32 v[22:23], 1, v[22:23]
	s_wait_loadcnt 0x0
	v_cmp_ne_u16_e32 vcc_lo, v28, v29
	v_cmp_eq_u16_e64 s0, v28, v29
	s_or_b32 s1, vcc_lo, s1
	s_delay_alu instid0(SALU_CYCLE_1) | instskip(NEXT) | instid1(SALU_CYCLE_1)
	s_and_b32 s1, exec_lo, s1
	s_or_b32 s25, s1, s25
	s_and_not1_b32 s24, s24, exec_lo
	s_and_b32 s34, s0, exec_lo
	s_mov_b64 s[0:1], s[26:27]
	s_or_b32 s24, s24, s34
	s_and_not1_b32 exec_lo, exec_lo, s25
	s_cbranch_execnz .LBB375_94
; %bb.95:
	s_or_b32 exec_lo, exec_lo, s25
	v_mad_nc_u64_u32 v[22:23], v16, s18, s[8:9]
	s_mov_b32 s26, 0
	s_mov_b64 s[0:1], s[4:5]
                                        ; implicit-def: $sgpr25
	s_delay_alu instid0(VALU_DEP_1) | instskip(NEXT) | instid1(VALU_DEP_1)
	v_mad_u32 v23, v17, s18, v23
	v_mad_u32 v23, v16, s19, v23
	s_delay_alu instid0(VALU_DEP_1)
	v_mov_b64_e32 v[26:27], v[22:23]
.LBB375_96:                             ; =>This Inner Loop Header: Depth=1
	global_load_u8 v28, v[26:27], off
	global_load_u8 v29, v[24:25], off
	s_cmp_eq_u64 s[0:1], 0
	s_add_nc_u64 s[34:35], s[0:1], -1
	s_cselect_b32 s1, -1, 0
	s_wait_xcnt 0x1
	v_add_nc_u64_e32 v[26:27], 1, v[26:27]
	s_wait_xcnt 0x0
	v_add_nc_u64_e32 v[24:25], 1, v[24:25]
	s_wait_loadcnt 0x0
	v_cmp_ne_u16_e32 vcc_lo, v28, v29
	v_cmp_eq_u16_e64 s0, v28, v29
	s_or_b32 s1, vcc_lo, s1
	s_delay_alu instid0(SALU_CYCLE_1) | instskip(NEXT) | instid1(SALU_CYCLE_1)
	s_and_b32 s1, exec_lo, s1
	s_or_b32 s26, s1, s26
	s_and_not1_b32 s25, s25, exec_lo
	s_and_b32 s27, s0, exec_lo
	s_mov_b64 s[0:1], s[34:35]
	s_or_b32 s25, s25, s27
	s_and_not1_b32 exec_lo, exec_lo, s26
	s_cbranch_execnz .LBB375_96
; %bb.97:
	s_or_b32 exec_lo, exec_lo, s26
	v_mad_nc_u64_u32 v[24:25], v14, s18, s[8:9]
	s_mov_b32 s26, 0
                                        ; implicit-def: $sgpr1
	s_delay_alu instid0(VALU_DEP_1) | instskip(NEXT) | instid1(VALU_DEP_1)
	v_mad_u32 v25, v15, s18, v25
	v_mad_u32 v25, v14, s19, v25
.LBB375_98:                             ; =>This Inner Loop Header: Depth=1
	global_load_u8 v26, v[24:25], off
	global_load_u8 v27, v[22:23], off
	s_cmp_eq_u64 s[4:5], 0
	s_add_nc_u64 s[34:35], s[4:5], -1
	s_cselect_b32 s4, -1, 0
	s_wait_xcnt 0x1
	v_add_nc_u64_e32 v[24:25], 1, v[24:25]
	s_wait_xcnt 0x0
	v_add_nc_u64_e32 v[22:23], 1, v[22:23]
	s_wait_loadcnt 0x0
	v_cmp_ne_u16_e32 vcc_lo, v26, v27
	v_cmp_eq_u16_e64 s0, v26, v27
	s_or_b32 s4, vcc_lo, s4
	s_delay_alu instid0(SALU_CYCLE_1) | instskip(NEXT) | instid1(SALU_CYCLE_1)
	s_and_b32 s4, exec_lo, s4
	s_or_b32 s26, s4, s26
	s_and_not1_b32 s1, s1, exec_lo
	s_and_b32 s0, s0, exec_lo
	s_mov_b64 s[4:5], s[34:35]
	s_or_b32 s1, s1, s0
	s_and_not1_b32 exec_lo, exec_lo, s26
	s_cbranch_execnz .LBB375_98
; %bb.99:
	s_or_b32 exec_lo, exec_lo, s26
	s_xor_b32 s0, s24, -1
	s_delay_alu instid0(SALU_CYCLE_1) | instskip(SKIP_1) | instid1(SALU_CYCLE_1)
	v_cndmask_b32_e64 v22, 0, 1, s0
	s_xor_b32 s0, s25, -1
	v_cndmask_b32_e64 v23, 0, 1, s0
	s_xor_b32 s0, s17, -1
	s_delay_alu instid0(VALU_DEP_2) | instskip(SKIP_2) | instid1(VALU_DEP_2)
	v_lshlrev_b16 v22, 8, v22
	v_cndmask_b32_e64 v34, 0, 1, s0
	s_xor_b32 s0, s1, -1
	v_lshrrev_b32_e32 v22, 8, v22
	s_delay_alu instid0(VALU_DEP_1) | instskip(NEXT) | instid1(VALU_DEP_1)
	v_lshlrev_b16 v22, 8, v22
	v_or_b32_e32 v22, v23, v22
	s_delay_alu instid0(VALU_DEP_1)
	v_lshlrev_b32_e32 v22, 16, v22
	s_branch .LBB375_102
.LBB375_100:
                                        ; implicit-def: $sgpr0
                                        ; implicit-def: $vgpr34
                                        ; implicit-def: $vgpr25
                                        ; implicit-def: $vgpr24
                                        ; implicit-def: $vgpr23
                                        ; implicit-def: $vgpr35
                                        ; implicit-def: $vgpr22
	s_cbranch_execnz .LBB375_109
	s_branch .LBB375_142
.LBB375_101:
	v_dual_mov_b32 v22, 0 :: v_dual_mov_b32 v34, 0
	s_mov_b32 s0, 0
.LBB375_102:
	s_delay_alu instid0(VALU_DEP_1)
	v_dual_lshrrev_b32 v35, 16, v22 :: v_dual_lshrrev_b32 v22, 24, v22
	v_cndmask_b32_e64 v23, 0, 1, s0
	v_mov_b32_e32 v24, 1
	s_wait_dscnt 0x0
	s_barrier_signal -1
	s_barrier_wait -1
                                        ; implicit-def: $sgpr0
                                        ; implicit-def: $vgpr25
	s_and_saveexec_b32 s1, s3
	s_delay_alu instid0(SALU_CYCLE_1)
	s_xor_b32 s4, exec_lo, s1
	s_cbranch_execz .LBB375_108
; %bb.103:
	v_lshlrev_b16 v25, 8, v22
	v_lshlrev_b16 v26, 8, v23
	s_and_not1_b32 vcc_lo, exec_lo, s7
	s_mov_b32 s0, 0
	s_delay_alu instid0(VALU_DEP_2) | instskip(NEXT) | instid1(VALU_DEP_1)
	v_bitop3_b16 v25, v35, v25, 0xff bitop3:0xec
	v_dual_lshlrev_b32 v25, 16, v25 :: v_dual_bitop2_b32 v26, 1, v26 bitop3:0x54
	s_delay_alu instid0(VALU_DEP_1) | instskip(NEXT) | instid1(VALU_DEP_1)
	v_and_b32_e32 v26, 0xffff, v26
	v_or_b32_e32 v25, v26, v25
	s_cbranch_vccnz .LBB375_107
; %bb.104:
	v_add_nc_u32_e32 v26, -8, v31
	v_mad_nc_u64_u32 v[28:29], v14, s18, s[8:9]
	s_add_nc_u64 s[0:1], s[18:19], -1
	s_mov_b32 s5, 0
                                        ; implicit-def: $sgpr17
	ds_load_b64 v[32:33], v26
	v_mad_u32 v29, v15, s18, v29
	s_delay_alu instid0(VALU_DEP_1) | instskip(SKIP_2) | instid1(VALU_DEP_1)
	v_mad_u32 v29, v14, s19, v29
	s_wait_dscnt 0x0
	v_mad_nc_u64_u32 v[26:27], v32, s18, s[8:9]
	v_mad_u32 v27, v33, s18, v27
	s_delay_alu instid0(VALU_DEP_1)
	v_mad_u32 v27, v32, s19, v27
.LBB375_105:                            ; =>This Inner Loop Header: Depth=1
	global_load_u8 v32, v[26:27], off
	global_load_u8 v33, v[28:29], off
	s_cmp_eq_u64 s[0:1], 0
	s_add_nc_u64 s[24:25], s[0:1], -1
	s_cselect_b32 s1, -1, 0
	s_wait_xcnt 0x1
	v_add_nc_u64_e32 v[26:27], 1, v[26:27]
	s_wait_xcnt 0x0
	v_add_nc_u64_e32 v[28:29], 1, v[28:29]
	s_wait_loadcnt 0x0
	v_cmp_ne_u16_e32 vcc_lo, v32, v33
	v_cmp_eq_u16_e64 s0, v32, v33
	s_or_b32 s1, vcc_lo, s1
	s_delay_alu instid0(SALU_CYCLE_1) | instskip(NEXT) | instid1(SALU_CYCLE_1)
	s_and_b32 s1, exec_lo, s1
	s_or_b32 s5, s1, s5
	s_and_not1_b32 s17, s17, exec_lo
	s_and_b32 s26, s0, exec_lo
	s_mov_b64 s[0:1], s[24:25]
	s_or_b32 s17, s17, s26
	s_and_not1_b32 exec_lo, exec_lo, s5
	s_cbranch_execnz .LBB375_105
; %bb.106:
	s_or_b32 exec_lo, exec_lo, s5
	s_xor_b32 s0, s17, -1
.LBB375_107:
	s_delay_alu instid0(VALU_DEP_1)
	v_perm_b32 v25, v25, v25, 0x3020104
	s_or_b32 s6, s6, exec_lo
.LBB375_108:
	s_or_b32 exec_lo, exec_lo, s4
	s_branch .LBB375_142
.LBB375_109:
	v_add_nc_u32_e32 v22, 4, v30
	s_mov_b32 s4, 0
	s_mov_b32 s5, 0
	s_mov_b32 s17, exec_lo
	s_delay_alu instid0(VALU_DEP_1)
	v_cmpx_gt_u32_e64 s31, v22
	s_cbranch_execz .LBB375_115
; %bb.110:
	s_and_not1_b32 vcc_lo, exec_lo, s7
	s_mov_b32 s0, 0
	s_cbranch_vccnz .LBB375_114
; %bb.111:
	v_mad_nc_u64_u32 v[22:23], v12, s18, s[8:9]
	v_mad_nc_u64_u32 v[24:25], v20, s18, s[8:9]
	s_add_nc_u64 s[0:1], s[18:19], -1
                                        ; implicit-def: $sgpr24
	s_delay_alu instid0(VALU_DEP_2) | instskip(NEXT) | instid1(VALU_DEP_2)
	v_mad_u32 v23, v13, s18, v23
	v_mad_u32 v25, v21, s18, v25
	s_delay_alu instid0(VALU_DEP_2) | instskip(NEXT) | instid1(VALU_DEP_2)
	v_mad_u32 v23, v12, s19, v23
	v_mad_u32 v25, v20, s19, v25
.LBB375_112:                            ; =>This Inner Loop Header: Depth=1
	global_load_u8 v26, v[22:23], off
	global_load_u8 v27, v[24:25], off
	s_cmp_eq_u64 s[0:1], 0
	s_add_nc_u64 s[26:27], s[0:1], -1
	s_cselect_b32 s1, -1, 0
	s_wait_xcnt 0x1
	v_add_nc_u64_e32 v[22:23], 1, v[22:23]
	s_wait_xcnt 0x0
	v_add_nc_u64_e32 v[24:25], 1, v[24:25]
	s_wait_loadcnt 0x0
	v_cmp_ne_u16_e32 vcc_lo, v26, v27
	v_cmp_eq_u16_e64 s0, v26, v27
	s_or_b32 s1, vcc_lo, s1
	s_delay_alu instid0(SALU_CYCLE_1) | instskip(NEXT) | instid1(SALU_CYCLE_1)
	s_and_b32 s1, exec_lo, s1
	s_or_b32 s5, s1, s5
	s_and_not1_b32 s24, s24, exec_lo
	s_and_b32 s25, s0, exec_lo
	s_mov_b64 s[0:1], s[26:27]
	s_or_b32 s24, s24, s25
	s_and_not1_b32 exec_lo, exec_lo, s5
	s_cbranch_execnz .LBB375_112
; %bb.113:
	s_or_b32 exec_lo, exec_lo, s5
	s_xor_b32 s0, s24, -1
.LBB375_114:
	s_delay_alu instid0(SALU_CYCLE_1)
	s_and_b32 s5, s0, exec_lo
.LBB375_115:
	s_or_b32 exec_lo, exec_lo, s17
	v_add_nc_u32_e32 v22, 3, v30
	s_mov_b32 s17, exec_lo
	s_delay_alu instid0(VALU_DEP_1)
	v_cmpx_gt_u32_e64 s31, v22
	s_cbranch_execz .LBB375_121
; %bb.116:
	s_and_not1_b32 vcc_lo, exec_lo, s7
	s_mov_b32 s0, 0
	s_cbranch_vccnz .LBB375_120
; %bb.117:
	v_mad_nc_u64_u32 v[22:23], v10, s18, s[8:9]
	v_mad_nc_u64_u32 v[24:25], v12, s18, s[8:9]
	s_add_nc_u64 s[0:1], s[18:19], -1
	s_mov_b32 s4, 0
                                        ; implicit-def: $sgpr24
	s_delay_alu instid0(VALU_DEP_2) | instskip(NEXT) | instid1(VALU_DEP_2)
	v_mad_u32 v23, v11, s18, v23
	v_mad_u32 v25, v13, s18, v25
	s_delay_alu instid0(VALU_DEP_2) | instskip(NEXT) | instid1(VALU_DEP_2)
	v_mad_u32 v23, v10, s19, v23
	v_mad_u32 v25, v12, s19, v25
.LBB375_118:                            ; =>This Inner Loop Header: Depth=1
	global_load_u8 v26, v[22:23], off
	global_load_u8 v27, v[24:25], off
	s_cmp_eq_u64 s[0:1], 0
	s_add_nc_u64 s[26:27], s[0:1], -1
	s_cselect_b32 s1, -1, 0
	s_wait_xcnt 0x1
	v_add_nc_u64_e32 v[22:23], 1, v[22:23]
	s_wait_xcnt 0x0
	v_add_nc_u64_e32 v[24:25], 1, v[24:25]
	s_wait_loadcnt 0x0
	v_cmp_ne_u16_e32 vcc_lo, v26, v27
	v_cmp_eq_u16_e64 s0, v26, v27
	s_or_b32 s1, vcc_lo, s1
	s_delay_alu instid0(SALU_CYCLE_1) | instskip(NEXT) | instid1(SALU_CYCLE_1)
	s_and_b32 s1, exec_lo, s1
	s_or_b32 s4, s1, s4
	s_and_not1_b32 s24, s24, exec_lo
	s_and_b32 s25, s0, exec_lo
	s_mov_b64 s[0:1], s[26:27]
	s_or_b32 s24, s24, s25
	s_and_not1_b32 exec_lo, exec_lo, s4
	s_cbranch_execnz .LBB375_118
; %bb.119:
	s_or_b32 exec_lo, exec_lo, s4
	s_xor_b32 s0, s24, -1
.LBB375_120:
	s_delay_alu instid0(SALU_CYCLE_1)
	s_and_b32 s4, s0, exec_lo
.LBB375_121:
	s_or_b32 exec_lo, exec_lo, s17
	v_add_nc_u32_e32 v22, 2, v30
	s_mov_b32 s17, 0
	s_mov_b32 s24, 0
	s_mov_b32 s25, exec_lo
	s_delay_alu instid0(VALU_DEP_1)
	v_cmpx_gt_u32_e64 s31, v22
	s_cbranch_execz .LBB375_127
; %bb.122:
	s_and_not1_b32 vcc_lo, exec_lo, s7
	s_mov_b32 s0, 0
	s_cbranch_vccnz .LBB375_126
; %bb.123:
	v_mad_nc_u64_u32 v[22:23], v16, s18, s[8:9]
	v_mad_nc_u64_u32 v[24:25], v10, s18, s[8:9]
	s_add_nc_u64 s[0:1], s[18:19], -1
                                        ; implicit-def: $sgpr26
	s_delay_alu instid0(VALU_DEP_2) | instskip(NEXT) | instid1(VALU_DEP_2)
	v_mad_u32 v23, v17, s18, v23
	v_mad_u32 v25, v11, s18, v25
	s_delay_alu instid0(VALU_DEP_2) | instskip(NEXT) | instid1(VALU_DEP_2)
	v_mad_u32 v23, v16, s19, v23
	v_mad_u32 v25, v10, s19, v25
.LBB375_124:                            ; =>This Inner Loop Header: Depth=1
	global_load_u8 v26, v[22:23], off
	global_load_u8 v27, v[24:25], off
	s_cmp_eq_u64 s[0:1], 0
	s_add_nc_u64 s[34:35], s[0:1], -1
	s_cselect_b32 s1, -1, 0
	s_wait_xcnt 0x1
	v_add_nc_u64_e32 v[22:23], 1, v[22:23]
	s_wait_xcnt 0x0
	v_add_nc_u64_e32 v[24:25], 1, v[24:25]
	s_wait_loadcnt 0x0
	v_cmp_ne_u16_e32 vcc_lo, v26, v27
	v_cmp_eq_u16_e64 s0, v26, v27
	s_or_b32 s1, vcc_lo, s1
	s_delay_alu instid0(SALU_CYCLE_1) | instskip(NEXT) | instid1(SALU_CYCLE_1)
	s_and_b32 s1, exec_lo, s1
	s_or_b32 s24, s1, s24
	s_and_not1_b32 s26, s26, exec_lo
	s_and_b32 s27, s0, exec_lo
	s_mov_b64 s[0:1], s[34:35]
	s_or_b32 s26, s26, s27
	s_and_not1_b32 exec_lo, exec_lo, s24
	s_cbranch_execnz .LBB375_124
; %bb.125:
	s_or_b32 exec_lo, exec_lo, s24
	s_xor_b32 s0, s26, -1
.LBB375_126:
	s_delay_alu instid0(SALU_CYCLE_1)
	s_and_b32 s24, s0, exec_lo
.LBB375_127:
	s_or_b32 exec_lo, exec_lo, s25
	v_add_nc_u32_e32 v22, 1, v30
	s_mov_b32 s25, exec_lo
	s_delay_alu instid0(VALU_DEP_1)
	v_cmpx_gt_u32_e64 s31, v22
	s_cbranch_execz .LBB375_133
; %bb.128:
	s_and_not1_b32 vcc_lo, exec_lo, s7
	s_mov_b32 s0, 0
	s_cbranch_vccnz .LBB375_132
; %bb.129:
	v_mad_nc_u64_u32 v[22:23], v14, s18, s[8:9]
	v_mad_nc_u64_u32 v[24:25], v16, s18, s[8:9]
	s_add_nc_u64 s[0:1], s[18:19], -1
	s_mov_b32 s17, 0
                                        ; implicit-def: $sgpr26
	s_delay_alu instid0(VALU_DEP_2) | instskip(NEXT) | instid1(VALU_DEP_2)
	v_mad_u32 v23, v15, s18, v23
	v_mad_u32 v25, v17, s18, v25
	s_delay_alu instid0(VALU_DEP_2) | instskip(NEXT) | instid1(VALU_DEP_2)
	v_mad_u32 v23, v14, s19, v23
	v_mad_u32 v25, v16, s19, v25
.LBB375_130:                            ; =>This Inner Loop Header: Depth=1
	global_load_u8 v26, v[22:23], off
	global_load_u8 v27, v[24:25], off
	s_cmp_eq_u64 s[0:1], 0
	s_add_nc_u64 s[34:35], s[0:1], -1
	s_cselect_b32 s1, -1, 0
	s_wait_xcnt 0x1
	v_add_nc_u64_e32 v[22:23], 1, v[22:23]
	s_wait_xcnt 0x0
	v_add_nc_u64_e32 v[24:25], 1, v[24:25]
	s_wait_loadcnt 0x0
	v_cmp_ne_u16_e32 vcc_lo, v26, v27
	v_cmp_eq_u16_e64 s0, v26, v27
	s_or_b32 s1, vcc_lo, s1
	s_delay_alu instid0(SALU_CYCLE_1) | instskip(NEXT) | instid1(SALU_CYCLE_1)
	s_and_b32 s1, exec_lo, s1
	s_or_b32 s17, s1, s17
	s_and_not1_b32 s26, s26, exec_lo
	s_and_b32 s27, s0, exec_lo
	s_mov_b64 s[0:1], s[34:35]
	s_or_b32 s26, s26, s27
	s_and_not1_b32 exec_lo, exec_lo, s17
	s_cbranch_execnz .LBB375_130
; %bb.131:
	s_or_b32 exec_lo, exec_lo, s17
	s_xor_b32 s0, s26, -1
.LBB375_132:
	s_delay_alu instid0(SALU_CYCLE_1)
	s_and_b32 s17, s0, exec_lo
.LBB375_133:
	s_or_b32 exec_lo, exec_lo, s25
	v_cndmask_b32_e64 v34, 0, 1, s5
	v_cndmask_b32_e64 v35, 0, 1, s24
	;; [unrolled: 1-line block ×4, first 2 shown]
	v_mov_b32_e32 v24, 1
	s_wait_dscnt 0x0
	s_barrier_signal -1
	s_barrier_wait -1
                                        ; implicit-def: $sgpr0
                                        ; implicit-def: $vgpr25
	s_and_saveexec_b32 s4, s3
	s_cbranch_execz .LBB375_141
; %bb.134:
	v_lshlrev_b16 v25, 8, v23
	v_lshlrev_b16 v26, 8, v22
	s_mov_b32 s0, 0
	s_mov_b32 s3, exec_lo
	s_delay_alu instid0(VALU_DEP_1) | instskip(NEXT) | instid1(VALU_DEP_1)
	v_or_b32_e32 v26, v35, v26
	v_dual_lshlrev_b32 v26, 16, v26 :: v_dual_bitop2_b32 v25, 1, v25 bitop3:0x54
	s_delay_alu instid0(VALU_DEP_1) | instskip(NEXT) | instid1(VALU_DEP_1)
	v_and_b32_e32 v25, 0xffff, v25
	v_or_b32_e32 v25, v25, v26
	v_cmpx_gt_u32_e64 s31, v30
	s_cbranch_execz .LBB375_140
; %bb.135:
	s_and_not1_b32 vcc_lo, exec_lo, s7
	s_cbranch_vccnz .LBB375_139
; %bb.136:
	v_add_nc_u32_e32 v26, -8, v31
	v_mad_nc_u64_u32 v[28:29], v14, s18, s[8:9]
	s_add_nc_u64 s[0:1], s[18:19], -1
	s_mov_b32 s5, 0
                                        ; implicit-def: $sgpr7
	ds_load_b64 v[32:33], v26
	v_mad_u32 v29, v15, s18, v29
	s_delay_alu instid0(VALU_DEP_1) | instskip(SKIP_2) | instid1(VALU_DEP_1)
	v_mad_u32 v29, v14, s19, v29
	s_wait_dscnt 0x0
	v_mad_nc_u64_u32 v[26:27], v32, s18, s[8:9]
	v_mad_u32 v27, v33, s18, v27
	s_delay_alu instid0(VALU_DEP_1)
	v_mad_u32 v27, v32, s19, v27
.LBB375_137:                            ; =>This Inner Loop Header: Depth=1
	global_load_u8 v31, v[26:27], off
	global_load_u8 v32, v[28:29], off
	s_cmp_eq_u64 s[0:1], 0
	s_add_nc_u64 s[8:9], s[0:1], -1
	s_cselect_b32 s1, -1, 0
	s_wait_xcnt 0x1
	v_add_nc_u64_e32 v[26:27], 1, v[26:27]
	s_wait_xcnt 0x0
	v_add_nc_u64_e32 v[28:29], 1, v[28:29]
	s_wait_loadcnt 0x0
	v_cmp_ne_u16_e32 vcc_lo, v31, v32
	v_cmp_eq_u16_e64 s0, v31, v32
	s_or_b32 s1, vcc_lo, s1
	s_delay_alu instid0(SALU_CYCLE_1) | instskip(NEXT) | instid1(SALU_CYCLE_1)
	s_and_b32 s1, exec_lo, s1
	s_or_b32 s5, s1, s5
	s_and_not1_b32 s7, s7, exec_lo
	s_and_b32 s17, s0, exec_lo
	s_mov_b64 s[0:1], s[8:9]
	s_or_b32 s7, s7, s17
	s_and_not1_b32 exec_lo, exec_lo, s5
	s_cbranch_execnz .LBB375_137
; %bb.138:
	s_or_b32 exec_lo, exec_lo, s5
	s_xor_b32 s0, s7, -1
.LBB375_139:
	s_delay_alu instid0(SALU_CYCLE_1)
	s_and_b32 s0, s0, exec_lo
.LBB375_140:
	s_or_b32 exec_lo, exec_lo, s3
	s_delay_alu instid0(VALU_DEP_2)
	v_perm_b32 v25, v25, v25, 0x3020104
	s_or_b32 s6, s6, exec_lo
.LBB375_141:
	s_or_b32 exec_lo, exec_lo, s4
.LBB375_142:
	s_and_saveexec_b32 s1, s6
	s_cbranch_execz .LBB375_144
; %bb.143:
	s_wait_loadcnt_dscnt 0x0
	v_dual_lshrrev_b32 v22, 24, v25 :: v_dual_lshrrev_b32 v35, 16, v25
	v_lshrrev_b32_e32 v23, 8, v25
	v_cndmask_b32_e64 v24, 0, 1, s0
.LBB375_144:
	s_or_b32 exec_lo, exec_lo, s1
	s_delay_alu instid0(SALU_CYCLE_1)
	s_and_not1_b32 vcc_lo, exec_lo, s33
	s_cbranch_vccnz .LBB375_148
; %bb.145:
	s_wait_loadcnt_dscnt 0x0
	v_perm_b32 v23, v24, v23, 0xc0c0004
	v_perm_b32 v22, v35, v22, 0xc0c0004
	v_cmp_gt_u32_e32 vcc_lo, s31, v30
	v_dual_add_nc_u32 v24, 1, v30 :: v_dual_add_nc_u32 v26, 4, v30
	v_and_b32_e32 v34, 0xff, v34
	s_delay_alu instid0(VALU_DEP_4) | instskip(SKIP_1) | instid1(VALU_DEP_2)
	v_lshl_or_b32 v22, v22, 16, v23
	s_mov_b32 s0, exec_lo
	v_and_b32_e32 v25, 0xffff, v34
	s_delay_alu instid0(VALU_DEP_2) | instskip(SKIP_2) | instid1(VALU_DEP_3)
	v_cndmask_b32_e32 v23, 0, v22, vcc_lo
	v_cmp_gt_u32_e32 vcc_lo, s31, v24
	v_add_nc_u32_e32 v24, 2, v30
	v_and_b32_e32 v23, 0xff, v23
	s_delay_alu instid0(VALU_DEP_1) | instskip(NEXT) | instid1(VALU_DEP_3)
	v_cndmask_b32_e32 v23, v23, v22, vcc_lo
	v_cmp_gt_u32_e32 vcc_lo, s31, v24
	v_add_nc_u32_e32 v24, 3, v30
	s_delay_alu instid0(VALU_DEP_3) | instskip(NEXT) | instid1(VALU_DEP_1)
	v_and_b32_e32 v23, 0xffff, v23
	v_cndmask_b32_e32 v23, v23, v22, vcc_lo
	s_delay_alu instid0(VALU_DEP_3) | instskip(NEXT) | instid1(VALU_DEP_2)
	v_cmp_gt_u32_e32 vcc_lo, s31, v24
	v_and_b32_e32 v23, 0xffffff, v23
	s_delay_alu instid0(VALU_DEP_1) | instskip(NEXT) | instid1(VALU_DEP_1)
	v_cndmask_b32_e32 v24, v23, v22, vcc_lo
	v_lshrrev_b64 v[22:23], 24, v[24:25]
	v_dual_lshrrev_b32 v35, 16, v24 :: v_dual_lshrrev_b32 v23, 8, v24
	v_cmpx_le_u32_e64 s31, v26
; %bb.146:
	v_mov_b32_e32 v34, 0
; %bb.147:
	s_or_b32 exec_lo, exec_lo, s0
.LBB375_148:
	s_delay_alu instid0(VALU_DEP_1)
	v_and_b32_e32 v25, 0xff, v24
	s_wait_loadcnt_dscnt 0x0
	v_and_b32_e32 v36, 0xff, v23
	v_and_b32_e32 v37, 0xff, v35
	v_mbcnt_lo_u32_b32 v39, -1, 0
	v_and_b32_e32 v38, 0xff, v22
	v_and_b32_e32 v26, 0xff, v34
	v_lshrrev_b32_e32 v40, 5, v0
	v_add3_u32 v27, v36, v25, v37
	v_and_b32_e32 v28, 15, v39
	s_and_b32 vcc_lo, exec_lo, s16
	s_mov_b32 s7, -1
	s_delay_alu instid0(VALU_DEP_2)
	v_add3_u32 v41, v27, v38, v26
	v_and_b32_e32 v26, 16, v39
	v_or_b32_e32 v27, 31, v0
	v_cmp_eq_u32_e64 s3, 0, v28
	v_cmp_lt_u32_e64 s5, 1, v28
	v_cmp_lt_u32_e64 s6, 3, v28
	;; [unrolled: 1-line block ×3, first 2 shown]
	v_cmp_eq_u32_e64 s1, 0, v26
	v_cmp_eq_u32_e64 s0, v0, v27
	s_barrier_signal -1
	s_barrier_wait -1
                                        ; implicit-def: $vgpr30
                                        ; implicit-def: $vgpr31
                                        ; implicit-def: $vgpr32
                                        ; implicit-def: $vgpr33
                                        ; implicit-def: $vgpr42
                                        ; implicit-def: $vgpr28
                                        ; implicit-def: $vgpr26
	s_cbranch_vccz .LBB375_175
; %bb.149:
	v_mov_b32_dpp v26, v41 row_shr:1 row_mask:0xf bank_mask:0xf
	s_delay_alu instid0(VALU_DEP_1) | instskip(NEXT) | instid1(VALU_DEP_1)
	v_cndmask_b32_e64 v26, v26, 0, s3
	v_add_nc_u32_e32 v26, v26, v41
	s_delay_alu instid0(VALU_DEP_1) | instskip(NEXT) | instid1(VALU_DEP_1)
	v_mov_b32_dpp v27, v26 row_shr:2 row_mask:0xf bank_mask:0xf
	v_cndmask_b32_e64 v27, 0, v27, s5
	s_delay_alu instid0(VALU_DEP_1) | instskip(NEXT) | instid1(VALU_DEP_1)
	v_add_nc_u32_e32 v26, v26, v27
	v_mov_b32_dpp v27, v26 row_shr:4 row_mask:0xf bank_mask:0xf
	s_delay_alu instid0(VALU_DEP_1) | instskip(NEXT) | instid1(VALU_DEP_1)
	v_cndmask_b32_e64 v27, 0, v27, s6
	v_add_nc_u32_e32 v26, v26, v27
	s_delay_alu instid0(VALU_DEP_1) | instskip(NEXT) | instid1(VALU_DEP_1)
	v_mov_b32_dpp v27, v26 row_shr:8 row_mask:0xf bank_mask:0xf
	v_cndmask_b32_e64 v27, 0, v27, s4
	s_delay_alu instid0(VALU_DEP_1) | instskip(SKIP_3) | instid1(VALU_DEP_1)
	v_add_nc_u32_e32 v26, v26, v27
	ds_swizzle_b32 v27, v26 offset:swizzle(BROADCAST,32,15)
	s_wait_dscnt 0x0
	v_cndmask_b32_e64 v27, v27, 0, s1
	v_add_nc_u32_e32 v26, v26, v27
	s_and_saveexec_b32 s7, s0
; %bb.150:
	v_lshlrev_b32_e32 v27, 2, v40
	ds_store_b32 v27, v26
; %bb.151:
	s_or_b32 exec_lo, exec_lo, s7
	s_delay_alu instid0(SALU_CYCLE_1)
	s_mov_b32 s7, exec_lo
	s_wait_dscnt 0x0
	s_barrier_signal -1
	s_barrier_wait -1
	v_cmpx_gt_u32_e32 4, v0
	s_cbranch_execz .LBB375_153
; %bb.152:
	v_dual_lshlrev_b32 v27, 2, v0 :: v_dual_bitop2_b32 v29, 3, v39 bitop3:0x40
	ds_load_b32 v28, v27
	v_cmp_ne_u32_e32 vcc_lo, 0, v29
	s_wait_dscnt 0x0
	v_mov_b32_dpp v30, v28 row_shr:1 row_mask:0xf bank_mask:0xf
	s_delay_alu instid0(VALU_DEP_1) | instskip(SKIP_1) | instid1(VALU_DEP_2)
	v_cndmask_b32_e32 v30, 0, v30, vcc_lo
	v_cmp_lt_u32_e32 vcc_lo, 1, v29
	v_add_nc_u32_e32 v28, v30, v28
	s_delay_alu instid0(VALU_DEP_1) | instskip(NEXT) | instid1(VALU_DEP_1)
	v_mov_b32_dpp v30, v28 row_shr:2 row_mask:0xf bank_mask:0xf
	v_cndmask_b32_e32 v29, 0, v30, vcc_lo
	s_delay_alu instid0(VALU_DEP_1)
	v_add_nc_u32_e32 v28, v28, v29
	ds_store_b32 v27, v28
.LBB375_153:
	s_or_b32 exec_lo, exec_lo, s7
	s_delay_alu instid0(SALU_CYCLE_1)
	s_mov_b32 s8, exec_lo
	v_cmp_gt_u32_e32 vcc_lo, 32, v0
	s_wait_dscnt 0x0
	s_barrier_signal -1
	s_barrier_wait -1
                                        ; implicit-def: $vgpr42
	v_cmpx_lt_u32_e32 31, v0
	s_cbranch_execz .LBB375_155
; %bb.154:
	v_lshl_add_u32 v27, v40, 2, -4
	ds_load_b32 v42, v27
	s_wait_dscnt 0x0
	v_add_nc_u32_e32 v26, v42, v26
.LBB375_155:
	s_or_b32 exec_lo, exec_lo, s8
	v_sub_co_u32 v27, s7, v39, 1
	s_delay_alu instid0(VALU_DEP_1) | instskip(NEXT) | instid1(VALU_DEP_1)
	v_cmp_gt_i32_e64 s8, 0, v27
	v_cndmask_b32_e64 v27, v27, v39, s8
	s_delay_alu instid0(VALU_DEP_1)
	v_lshlrev_b32_e32 v27, 2, v27
	ds_bpermute_b32 v43, v27, v26
	s_and_saveexec_b32 s8, vcc_lo
	s_cbranch_execz .LBB375_174
; %bb.156:
	v_mov_b32_e32 v33, 0
	ds_load_b32 v26, v33 offset:12
	s_and_saveexec_b32 s9, s7
	s_cbranch_execz .LBB375_158
; %bb.157:
	s_add_co_i32 s16, s30, 32
	s_delay_alu instid0(SALU_CYCLE_1)
	v_dual_mov_b32 v27, 1 :: v_dual_mov_b32 v28, s16
	s_wait_dscnt 0x0
	global_store_b64 v28, v[26:27], s[10:11] scale_offset scope:SCOPE_DEV
.LBB375_158:
	s_wait_xcnt 0x0
	s_or_b32 exec_lo, exec_lo, s9
	v_xad_u32 v28, v39, -1, s30
	s_mov_b32 s16, 0
	s_mov_b32 s9, exec_lo
	s_delay_alu instid0(VALU_DEP_1) | instskip(SKIP_4) | instid1(VALU_DEP_1)
	v_add_nc_u32_e32 v32, 32, v28
	global_load_b64 v[30:31], v32, s[10:11] scale_offset scope:SCOPE_DEV
	s_wait_loadcnt 0x0
	v_and_b32_e32 v27, 0xff, v31
	s_wait_xcnt 0x0
	v_cmpx_eq_u16_e32 0, v27
	s_cbranch_execz .LBB375_162
; %bb.159:
	v_lshl_add_u64 v[32:33], v[32:33], 3, s[10:11]
.LBB375_160:                            ; =>This Inner Loop Header: Depth=1
	global_load_b64 v[30:31], v[32:33], off scope:SCOPE_DEV
	s_wait_loadcnt 0x0
	v_and_b32_e32 v27, 0xff, v31
	s_delay_alu instid0(VALU_DEP_1)
	v_cmp_ne_u16_e32 vcc_lo, 0, v27
	s_or_b32 s16, vcc_lo, s16
	s_wait_xcnt 0x0
	s_and_not1_b32 exec_lo, exec_lo, s16
	s_cbranch_execnz .LBB375_160
; %bb.161:
	s_or_b32 exec_lo, exec_lo, s16
.LBB375_162:
	s_delay_alu instid0(SALU_CYCLE_1)
	s_or_b32 exec_lo, exec_lo, s9
	v_cmp_ne_u32_e32 vcc_lo, 31, v39
	v_lshlrev_b32_e64 v45, v39, -1
	v_lshl_or_b32 v52, v39, 2, 64
	v_dual_add_nc_u32 v47, 2, v39 :: v_dual_add_nc_u32 v49, 4, v39
	v_add_co_ci_u32_e64 v27, null, 0, v39, vcc_lo
	v_dual_add_nc_u32 v51, 8, v39 :: v_dual_add_nc_u32 v53, 16, v39
	s_delay_alu instid0(VALU_DEP_2)
	v_lshlrev_b32_e32 v44, 2, v27
	v_and_b32_e32 v27, 0xff, v31
	ds_bpermute_b32 v29, v44, v30
	v_cmp_eq_u16_e32 vcc_lo, 2, v27
	v_and_or_b32 v27, vcc_lo, v45, 0x80000000
	v_cmp_gt_u32_e32 vcc_lo, 30, v39
	s_delay_alu instid0(VALU_DEP_2) | instskip(SKIP_1) | instid1(VALU_DEP_2)
	v_ctz_i32_b32_e32 v27, v27
	v_cndmask_b32_e64 v32, 0, 2, vcc_lo
	v_cmp_lt_u32_e32 vcc_lo, v39, v27
	s_delay_alu instid0(VALU_DEP_2) | instskip(SKIP_3) | instid1(VALU_DEP_2)
	v_add_lshl_u32 v46, v32, v39, 2
	s_wait_dscnt 0x0
	v_cndmask_b32_e32 v29, 0, v29, vcc_lo
	v_cmp_gt_u32_e32 vcc_lo, 28, v39
	v_add_nc_u32_e32 v29, v29, v30
	v_cndmask_b32_e64 v32, 0, 4, vcc_lo
	v_cmp_le_u32_e32 vcc_lo, v47, v27
	ds_bpermute_b32 v30, v46, v29
	v_add_lshl_u32 v48, v32, v39, 2
	s_wait_dscnt 0x0
	v_cndmask_b32_e32 v30, 0, v30, vcc_lo
	v_cmp_gt_u32_e32 vcc_lo, 24, v39
	v_cndmask_b32_e64 v32, 0, 8, vcc_lo
	v_cmp_le_u32_e32 vcc_lo, v49, v27
	s_delay_alu instid0(VALU_DEP_4) | instskip(NEXT) | instid1(VALU_DEP_3)
	v_add_nc_u32_e32 v29, v29, v30
	v_add_lshl_u32 v50, v32, v39, 2
	ds_bpermute_b32 v30, v48, v29
	s_wait_dscnt 0x0
	v_cndmask_b32_e32 v30, 0, v30, vcc_lo
	v_cmp_le_u32_e32 vcc_lo, v51, v27
	s_delay_alu instid0(VALU_DEP_2) | instskip(SKIP_4) | instid1(VALU_DEP_2)
	v_add_nc_u32_e32 v29, v29, v30
	ds_bpermute_b32 v30, v50, v29
	s_wait_dscnt 0x0
	v_cndmask_b32_e32 v30, 0, v30, vcc_lo
	v_cmp_le_u32_e32 vcc_lo, v53, v27
	v_add_nc_u32_e32 v29, v29, v30
	ds_bpermute_b32 v30, v52, v29
	s_wait_dscnt 0x0
	v_cndmask_b32_e32 v27, 0, v30, vcc_lo
	s_delay_alu instid0(VALU_DEP_1)
	v_dual_mov_b32 v29, 0 :: v_dual_add_nc_u32 v30, v29, v27
	s_branch .LBB375_165
.LBB375_163:                            ;   in Loop: Header=BB375_165 Depth=1
	s_or_b32 exec_lo, exec_lo, s9
	v_and_b32_e32 v32, 0xff, v31
	ds_bpermute_b32 v33, v44, v30
	v_subrev_nc_u32_e32 v28, 32, v28
	s_mov_b32 s9, 0
	v_cmp_eq_u16_e32 vcc_lo, 2, v32
	v_and_or_b32 v32, vcc_lo, v45, 0x80000000
	s_delay_alu instid0(VALU_DEP_1) | instskip(NEXT) | instid1(VALU_DEP_1)
	v_ctz_i32_b32_e32 v32, v32
	v_cmp_lt_u32_e32 vcc_lo, v39, v32
	s_wait_dscnt 0x0
	v_cndmask_b32_e32 v33, 0, v33, vcc_lo
	v_cmp_le_u32_e32 vcc_lo, v47, v32
	s_delay_alu instid0(VALU_DEP_2) | instskip(SKIP_4) | instid1(VALU_DEP_2)
	v_add_nc_u32_e32 v30, v33, v30
	ds_bpermute_b32 v33, v46, v30
	s_wait_dscnt 0x0
	v_cndmask_b32_e32 v33, 0, v33, vcc_lo
	v_cmp_le_u32_e32 vcc_lo, v49, v32
	v_add_nc_u32_e32 v30, v30, v33
	ds_bpermute_b32 v33, v48, v30
	s_wait_dscnt 0x0
	v_cndmask_b32_e32 v33, 0, v33, vcc_lo
	v_cmp_le_u32_e32 vcc_lo, v51, v32
	s_delay_alu instid0(VALU_DEP_2) | instskip(SKIP_4) | instid1(VALU_DEP_2)
	v_add_nc_u32_e32 v30, v30, v33
	ds_bpermute_b32 v33, v50, v30
	s_wait_dscnt 0x0
	v_cndmask_b32_e32 v33, 0, v33, vcc_lo
	v_cmp_le_u32_e32 vcc_lo, v53, v32
	v_add_nc_u32_e32 v30, v30, v33
	ds_bpermute_b32 v33, v52, v30
	s_wait_dscnt 0x0
	v_cndmask_b32_e32 v32, 0, v33, vcc_lo
	s_delay_alu instid0(VALU_DEP_1)
	v_add3_u32 v30, v32, v27, v30
.LBB375_164:                            ;   in Loop: Header=BB375_165 Depth=1
	s_and_b32 vcc_lo, exec_lo, s9
	s_cbranch_vccnz .LBB375_170
.LBB375_165:                            ; =>This Loop Header: Depth=1
                                        ;     Child Loop BB375_168 Depth 2
	v_and_b32_e32 v27, 0xff, v31
	s_mov_b32 s9, -1
                                        ; implicit-def: $vgpr31
	s_delay_alu instid0(VALU_DEP_1)
	v_cmp_ne_u16_e32 vcc_lo, 2, v27
	v_mov_b32_e32 v27, v30
                                        ; implicit-def: $vgpr30
	s_cmp_lg_u32 vcc_lo, exec_lo
	s_cbranch_scc1 .LBB375_164
; %bb.166:                              ;   in Loop: Header=BB375_165 Depth=1
	global_load_b64 v[30:31], v28, s[10:11] scale_offset scope:SCOPE_DEV
	s_mov_b32 s9, exec_lo
	s_wait_loadcnt 0x0
	v_and_b32_e32 v32, 0xff, v31
	s_wait_xcnt 0x0
	s_delay_alu instid0(VALU_DEP_1)
	v_cmpx_eq_u16_e32 0, v32
	s_cbranch_execz .LBB375_163
; %bb.167:                              ;   in Loop: Header=BB375_165 Depth=1
	v_lshl_add_u64 v[32:33], v[28:29], 3, s[10:11]
	s_mov_b32 s16, 0
.LBB375_168:                            ;   Parent Loop BB375_165 Depth=1
                                        ; =>  This Inner Loop Header: Depth=2
	global_load_b64 v[30:31], v[32:33], off scope:SCOPE_DEV
	s_wait_loadcnt 0x0
	v_and_b32_e32 v54, 0xff, v31
	s_delay_alu instid0(VALU_DEP_1)
	v_cmp_ne_u16_e32 vcc_lo, 0, v54
	s_or_b32 s16, vcc_lo, s16
	s_wait_xcnt 0x0
	s_and_not1_b32 exec_lo, exec_lo, s16
	s_cbranch_execnz .LBB375_168
; %bb.169:                              ;   in Loop: Header=BB375_165 Depth=1
	s_or_b32 exec_lo, exec_lo, s16
	s_branch .LBB375_163
.LBB375_170:
	s_and_saveexec_b32 s9, s7
	s_cbranch_execz .LBB375_172
; %bb.171:
	s_add_co_i32 s16, s30, 32
	v_dual_mov_b32 v29, 2 :: v_dual_add_nc_u32 v28, v27, v26
	v_dual_mov_b32 v30, s16 :: v_dual_mov_b32 v31, 0
	global_store_b64 v30, v[28:29], s[10:11] scale_offset scope:SCOPE_DEV
	ds_store_b64 v31, v[26:27] offset:5120
.LBB375_172:
	s_wait_xcnt 0x0
	s_or_b32 exec_lo, exec_lo, s9
	s_delay_alu instid0(SALU_CYCLE_1)
	s_and_b32 exec_lo, exec_lo, s2
; %bb.173:
	v_mov_b32_e32 v26, 0
	ds_store_b32 v26, v27 offset:12
.LBB375_174:
	s_or_b32 exec_lo, exec_lo, s8
	s_wait_dscnt 0x0
	v_dual_mov_b32 v26, 0 :: v_dual_cndmask_b32 v28, v43, v42, s7
	s_wait_storecnt 0x0
	s_barrier_signal -1
	s_barrier_wait -1
	ds_load_b32 v27, v26 offset:12
	v_cndmask_b32_e64 v28, v28, 0, s2
	s_wait_dscnt 0x0
	s_barrier_signal -1
	s_barrier_wait -1
	s_mov_b32 s7, 0
	v_add_nc_u32_e32 v42, v27, v28
	ds_load_b64 v[26:27], v26 offset:5120
	v_add_nc_u32_e32 v33, v42, v25
	s_wait_dscnt 0x0
	s_delay_alu instid0(VALU_DEP_1) | instskip(NEXT) | instid1(VALU_DEP_1)
	v_dual_add_nc_u32 v32, v33, v36 :: v_dual_mov_b32 v28, v27
	v_add_nc_u32_e32 v31, v32, v37
	s_delay_alu instid0(VALU_DEP_1)
	v_add_nc_u32_e32 v30, v31, v38
.LBB375_175:
	s_and_b32 vcc_lo, exec_lo, s7
	s_cbranch_vccz .LBB375_185
; %bb.176:
	v_mov_b32_dpp v26, v41 row_shr:1 row_mask:0xf bank_mask:0xf
	s_delay_alu instid0(VALU_DEP_1) | instskip(NEXT) | instid1(VALU_DEP_1)
	v_cndmask_b32_e64 v26, v26, 0, s3
	v_add_nc_u32_e32 v26, v26, v41
	s_delay_alu instid0(VALU_DEP_1) | instskip(NEXT) | instid1(VALU_DEP_1)
	v_mov_b32_dpp v27, v26 row_shr:2 row_mask:0xf bank_mask:0xf
	v_cndmask_b32_e64 v27, 0, v27, s5
	s_delay_alu instid0(VALU_DEP_1) | instskip(NEXT) | instid1(VALU_DEP_1)
	v_add_nc_u32_e32 v26, v26, v27
	v_mov_b32_dpp v27, v26 row_shr:4 row_mask:0xf bank_mask:0xf
	s_delay_alu instid0(VALU_DEP_1) | instskip(NEXT) | instid1(VALU_DEP_1)
	v_cndmask_b32_e64 v27, 0, v27, s6
	v_add_nc_u32_e32 v26, v26, v27
	s_delay_alu instid0(VALU_DEP_1) | instskip(NEXT) | instid1(VALU_DEP_1)
	v_mov_b32_dpp v27, v26 row_shr:8 row_mask:0xf bank_mask:0xf
	v_cndmask_b32_e64 v27, 0, v27, s4
	s_delay_alu instid0(VALU_DEP_1) | instskip(SKIP_3) | instid1(VALU_DEP_1)
	v_add_nc_u32_e32 v26, v26, v27
	ds_swizzle_b32 v27, v26 offset:swizzle(BROADCAST,32,15)
	s_wait_dscnt 0x0
	v_cndmask_b32_e64 v27, v27, 0, s1
	v_add_nc_u32_e32 v26, v26, v27
	s_and_saveexec_b32 s1, s0
; %bb.177:
	v_lshlrev_b32_e32 v27, 2, v40
	ds_store_b32 v27, v26
; %bb.178:
	s_or_b32 exec_lo, exec_lo, s1
	s_delay_alu instid0(SALU_CYCLE_1)
	s_mov_b32 s0, exec_lo
	s_wait_dscnt 0x0
	s_barrier_signal -1
	s_barrier_wait -1
	v_cmpx_gt_u32_e32 4, v0
	s_cbranch_execz .LBB375_180
; %bb.179:
	v_dual_lshlrev_b32 v27, 2, v0 :: v_dual_bitop2_b32 v29, 3, v39 bitop3:0x40
	ds_load_b32 v28, v27
	v_cmp_ne_u32_e32 vcc_lo, 0, v29
	s_wait_dscnt 0x0
	v_mov_b32_dpp v30, v28 row_shr:1 row_mask:0xf bank_mask:0xf
	s_delay_alu instid0(VALU_DEP_1) | instskip(SKIP_1) | instid1(VALU_DEP_2)
	v_cndmask_b32_e32 v30, 0, v30, vcc_lo
	v_cmp_lt_u32_e32 vcc_lo, 1, v29
	v_add_nc_u32_e32 v28, v30, v28
	s_delay_alu instid0(VALU_DEP_1) | instskip(NEXT) | instid1(VALU_DEP_1)
	v_mov_b32_dpp v30, v28 row_shr:2 row_mask:0xf bank_mask:0xf
	v_cndmask_b32_e32 v29, 0, v30, vcc_lo
	s_delay_alu instid0(VALU_DEP_1)
	v_add_nc_u32_e32 v28, v28, v29
	ds_store_b32 v27, v28
.LBB375_180:
	s_or_b32 exec_lo, exec_lo, s0
	v_dual_mov_b32 v27, 0 :: v_dual_mov_b32 v28, 0
	s_mov_b32 s0, exec_lo
	s_wait_dscnt 0x0
	s_barrier_signal -1
	s_barrier_wait -1
	v_cmpx_lt_u32_e32 31, v0
; %bb.181:
	v_lshl_add_u32 v28, v40, 2, -4
	ds_load_b32 v28, v28
; %bb.182:
	s_or_b32 exec_lo, exec_lo, s0
	v_sub_co_u32 v29, vcc_lo, v39, 1
	s_wait_dscnt 0x0
	v_add_nc_u32_e32 v26, v28, v26
	s_delay_alu instid0(VALU_DEP_2) | instskip(NEXT) | instid1(VALU_DEP_1)
	v_cmp_gt_i32_e64 s0, 0, v29
	v_cndmask_b32_e64 v29, v29, v39, s0
	s_delay_alu instid0(VALU_DEP_1)
	v_lshlrev_b32_e32 v29, 2, v29
	ds_bpermute_b32 v29, v29, v26
	ds_load_b32 v26, v27 offset:12
	s_and_saveexec_b32 s0, s2
	s_cbranch_execz .LBB375_184
; %bb.183:
	v_dual_mov_b32 v30, 0 :: v_dual_mov_b32 v27, 2
	s_wait_dscnt 0x0
	global_store_b64 v30, v[26:27], s[10:11] offset:256 scope:SCOPE_DEV
.LBB375_184:
	s_wait_xcnt 0x0
	s_or_b32 exec_lo, exec_lo, s0
	s_wait_dscnt 0x1
	v_cndmask_b32_e32 v27, v29, v28, vcc_lo
	s_wait_storecnt_dscnt 0x0
	s_barrier_signal -1
	s_barrier_wait -1
	s_delay_alu instid0(VALU_DEP_1) | instskip(NEXT) | instid1(VALU_DEP_1)
	v_cndmask_b32_e64 v42, v27, 0, s2
	v_dual_mov_b32 v28, 0 :: v_dual_add_nc_u32 v33, v42, v25
	s_delay_alu instid0(VALU_DEP_1) | instskip(NEXT) | instid1(VALU_DEP_1)
	v_add_nc_u32_e32 v32, v33, v36
	v_add_nc_u32_e32 v31, v32, v37
	s_delay_alu instid0(VALU_DEP_1)
	v_add_nc_u32_e32 v30, v31, v38
.LBB375_185:
	s_delay_alu instid0(VALU_DEP_4)
	v_dual_add_nc_u32 v25, v28, v26 :: v_dual_bitop2_b32 v24, 1, v24 bitop3:0x40
	v_cmp_gt_u32_e64 s0, 0x81, v26
	s_mov_b32 s4, -1
	v_cmp_lt_u32_e64 s1, v42, v25
	v_cmp_eq_u32_e64 s3, 1, v24
	s_and_b32 vcc_lo, exec_lo, s0
	s_cbranch_vccz .LBB375_197
; %bb.186:
	s_or_b32 s1, s29, s1
	s_delay_alu instid0(SALU_CYCLE_1) | instskip(NEXT) | instid1(SALU_CYCLE_1)
	s_and_b32 s3, s1, s3
	s_and_saveexec_b32 s1, s3
	s_cbranch_execz .LBB375_188
; %bb.187:
	s_lshl_b64 s[4:5], s[14:15], 3
	s_delay_alu instid0(SALU_CYCLE_1)
	s_add_nc_u64 s[4:5], s[20:21], s[4:5]
	global_store_b64 v42, v[14:15], s[4:5] scale_offset
.LBB375_188:
	s_wait_xcnt 0x0
	s_or_b32 exec_lo, exec_lo, s1
	v_and_b32_e32 v27, 1, v23
	v_cmp_lt_u32_e32 vcc_lo, v33, v25
	s_delay_alu instid0(VALU_DEP_2) | instskip(SKIP_1) | instid1(SALU_CYCLE_1)
	v_cmp_eq_u32_e64 s1, 1, v27
	s_or_b32 s3, s29, vcc_lo
	s_and_b32 s3, s3, s1
	s_delay_alu instid0(SALU_CYCLE_1)
	s_and_saveexec_b32 s1, s3
	s_cbranch_execz .LBB375_190
; %bb.189:
	s_lshl_b64 s[4:5], s[14:15], 3
	s_delay_alu instid0(SALU_CYCLE_1)
	s_add_nc_u64 s[4:5], s[20:21], s[4:5]
	global_store_b64 v33, v[16:17], s[4:5] scale_offset
.LBB375_190:
	s_wait_xcnt 0x0
	s_or_b32 exec_lo, exec_lo, s1
	v_and_b32_e32 v27, 1, v35
	v_cmp_lt_u32_e32 vcc_lo, v32, v25
	s_delay_alu instid0(VALU_DEP_2) | instskip(SKIP_1) | instid1(SALU_CYCLE_1)
	v_cmp_eq_u32_e64 s1, 1, v27
	s_or_b32 s3, s29, vcc_lo
	s_and_b32 s3, s3, s1
	s_delay_alu instid0(SALU_CYCLE_1)
	;; [unrolled: 17-line block ×4, first 2 shown]
	s_and_saveexec_b32 s1, s3
	s_cbranch_execz .LBB375_196
; %bb.195:
	s_lshl_b64 s[4:5], s[14:15], 3
	s_delay_alu instid0(SALU_CYCLE_1)
	s_add_nc_u64 s[4:5], s[20:21], s[4:5]
	global_store_b64 v30, v[20:21], s[4:5] scale_offset
.LBB375_196:
	s_wait_xcnt 0x0
	s_or_b32 exec_lo, exec_lo, s1
	s_mov_b32 s4, 0
.LBB375_197:
	s_delay_alu instid0(SALU_CYCLE_1)
	s_and_b32 vcc_lo, exec_lo, s4
	s_cbranch_vccz .LBB375_211
; %bb.198:
	s_mov_b32 s1, exec_lo
	v_cmpx_eq_u32_e32 1, v24
; %bb.199:
	v_sub_nc_u32_e32 v27, v42, v28
	s_delay_alu instid0(VALU_DEP_1)
	v_lshlrev_b32_e32 v27, 3, v27
	ds_store_b64 v27, v[14:15]
; %bb.200:
	s_or_b32 exec_lo, exec_lo, s1
	v_and_b32_e32 v14, 1, v23
	s_mov_b32 s1, exec_lo
	s_delay_alu instid0(VALU_DEP_1)
	v_cmpx_eq_u32_e32 1, v14
; %bb.201:
	v_sub_nc_u32_e32 v14, v33, v28
	s_delay_alu instid0(VALU_DEP_1)
	v_lshlrev_b32_e32 v14, 3, v14
	ds_store_b64 v14, v[16:17]
; %bb.202:
	s_or_b32 exec_lo, exec_lo, s1
	v_and_b32_e32 v14, 1, v35
	s_mov_b32 s1, exec_lo
	s_delay_alu instid0(VALU_DEP_1)
	;; [unrolled: 11-line block ×4, first 2 shown]
	v_cmpx_eq_u32_e32 1, v10
; %bb.207:
	v_sub_nc_u32_e32 v10, v30, v28
	s_delay_alu instid0(VALU_DEP_1)
	v_lshlrev_b32_e32 v10, 3, v10
	ds_store_b64 v10, v[20:21]
; %bb.208:
	s_or_b32 exec_lo, exec_lo, s1
	v_dual_mov_b32 v29, 0 :: v_dual_lshlrev_b32 v12, 3, v0
	s_lshl_b64 s[4:5], s[14:15], 3
	v_mov_b32_e32 v13, v0
	s_mov_b32 s1, 0
	s_delay_alu instid0(VALU_DEP_2) | instskip(SKIP_3) | instid1(VALU_DEP_1)
	v_lshlrev_b64_e32 v[10:11], 3, v[28:29]
	s_wait_storecnt_dscnt 0x0
	s_barrier_signal -1
	s_barrier_wait -1
	v_add_nc_u64_e32 v[10:11], s[20:21], v[10:11]
	s_delay_alu instid0(VALU_DEP_1)
	v_add_nc_u64_e32 v[10:11], s[4:5], v[10:11]
.LBB375_209:                            ; =>This Inner Loop Header: Depth=1
	ds_load_b64 v[14:15], v12
	v_readfirstlane_b32 s4, v10
	v_readfirstlane_b32 s5, v11
	v_add_nc_u32_e32 v12, 0x400, v12
	s_wait_dscnt 0x0
	global_store_b64 v13, v[14:15], s[4:5] scale_offset
	s_wait_xcnt 0x0
	v_add_nc_u32_e32 v13, 0x80, v13
	s_delay_alu instid0(VALU_DEP_1) | instskip(SKIP_1) | instid1(SALU_CYCLE_1)
	v_cmp_ge_u32_e32 vcc_lo, v13, v26
	s_or_b32 s1, vcc_lo, s1
	s_and_not1_b32 exec_lo, exec_lo, s1
	s_cbranch_execnz .LBB375_209
; %bb.210:
	s_or_b32 exec_lo, exec_lo, s1
.LBB375_211:
	s_delay_alu instid0(SALU_CYCLE_1)
	s_and_b32 vcc_lo, exec_lo, s0
	s_mov_b32 s0, -1
	s_wait_storecnt 0x0
	s_barrier_signal -1
	s_barrier_wait -1
	s_cbranch_vccnz .LBB375_215
; %bb.212:
	s_and_b32 vcc_lo, exec_lo, s0
	s_cbranch_vccnz .LBB375_226
.LBB375_213:
	s_and_b32 s0, s2, s28
	s_delay_alu instid0(SALU_CYCLE_1)
	s_and_saveexec_b32 s1, s0
	s_cbranch_execnz .LBB375_239
.LBB375_214:
	s_endpgm
.LBB375_215:
	v_cmp_lt_u32_e32 vcc_lo, v42, v25
	v_cmp_eq_u32_e64 s0, 1, v24
	s_or_b32 s1, s29, vcc_lo
	s_delay_alu instid0(SALU_CYCLE_1) | instskip(NEXT) | instid1(SALU_CYCLE_1)
	s_and_b32 s1, s1, s0
	s_and_saveexec_b32 s0, s1
	s_cbranch_execz .LBB375_217
; %bb.216:
	s_lshl_b64 s[4:5], s[14:15], 3
	s_delay_alu instid0(SALU_CYCLE_1)
	s_add_nc_u64 s[4:5], s[22:23], s[4:5]
	global_store_b64 v42, v[6:7], s[4:5] scale_offset
.LBB375_217:
	s_wait_xcnt 0x0
	s_or_b32 exec_lo, exec_lo, s0
	v_and_b32_e32 v10, 1, v23
	v_cmp_lt_u32_e32 vcc_lo, v33, v25
	s_delay_alu instid0(VALU_DEP_2) | instskip(SKIP_1) | instid1(SALU_CYCLE_1)
	v_cmp_eq_u32_e64 s0, 1, v10
	s_or_b32 s1, s29, vcc_lo
	s_and_b32 s1, s1, s0
	s_delay_alu instid0(SALU_CYCLE_1)
	s_and_saveexec_b32 s0, s1
	s_cbranch_execz .LBB375_219
; %bb.218:
	s_lshl_b64 s[4:5], s[14:15], 3
	s_delay_alu instid0(SALU_CYCLE_1)
	s_add_nc_u64 s[4:5], s[22:23], s[4:5]
	global_store_b64 v33, v[8:9], s[4:5] scale_offset
.LBB375_219:
	s_wait_xcnt 0x0
	s_or_b32 exec_lo, exec_lo, s0
	v_and_b32_e32 v10, 1, v35
	v_cmp_lt_u32_e32 vcc_lo, v32, v25
	s_delay_alu instid0(VALU_DEP_2) | instskip(SKIP_1) | instid1(SALU_CYCLE_1)
	v_cmp_eq_u32_e64 s0, 1, v10
	s_or_b32 s1, s29, vcc_lo
	s_and_b32 s1, s1, s0
	s_delay_alu instid0(SALU_CYCLE_1)
	;; [unrolled: 17-line block ×4, first 2 shown]
	s_and_saveexec_b32 s0, s1
	s_cbranch_execz .LBB375_225
; %bb.224:
	s_lshl_b64 s[4:5], s[14:15], 3
	s_delay_alu instid0(SALU_CYCLE_1)
	s_add_nc_u64 s[4:5], s[22:23], s[4:5]
	global_store_b64 v30, v[18:19], s[4:5] scale_offset
.LBB375_225:
	s_wait_xcnt 0x0
	s_or_b32 exec_lo, exec_lo, s0
	s_branch .LBB375_213
.LBB375_226:
	s_mov_b32 s0, exec_lo
	v_cmpx_eq_u32_e32 1, v24
; %bb.227:
	v_sub_nc_u32_e32 v10, v42, v28
	s_delay_alu instid0(VALU_DEP_1)
	v_lshlrev_b32_e32 v10, 3, v10
	ds_store_b64 v10, v[6:7]
; %bb.228:
	s_or_b32 exec_lo, exec_lo, s0
	v_and_b32_e32 v6, 1, v23
	s_mov_b32 s0, exec_lo
	s_delay_alu instid0(VALU_DEP_1)
	v_cmpx_eq_u32_e32 1, v6
; %bb.229:
	v_sub_nc_u32_e32 v6, v33, v28
	s_delay_alu instid0(VALU_DEP_1)
	v_lshlrev_b32_e32 v6, 3, v6
	ds_store_b64 v6, v[8:9]
; %bb.230:
	s_or_b32 exec_lo, exec_lo, s0
	v_and_b32_e32 v6, 1, v35
	s_mov_b32 s0, exec_lo
	s_delay_alu instid0(VALU_DEP_1)
	;; [unrolled: 11-line block ×4, first 2 shown]
	v_cmpx_eq_u32_e32 1, v2
; %bb.235:
	v_sub_nc_u32_e32 v2, v30, v28
	s_delay_alu instid0(VALU_DEP_1)
	v_lshlrev_b32_e32 v2, 3, v2
	ds_store_b64 v2, v[18:19]
; %bb.236:
	s_or_b32 exec_lo, exec_lo, s0
	v_mov_b32_e32 v29, 0
	s_lshl_b64 s[0:1], s[14:15], 3
	s_wait_storecnt_dscnt 0x0
	s_barrier_signal -1
	s_barrier_wait -1
	v_lshlrev_b64_e32 v[2:3], 3, v[28:29]
	s_delay_alu instid0(VALU_DEP_1) | instskip(NEXT) | instid1(VALU_DEP_1)
	v_add_nc_u64_e32 v[2:3], s[22:23], v[2:3]
	v_add_nc_u64_e32 v[2:3], s[0:1], v[2:3]
	s_mov_b32 s0, 0
.LBB375_237:                            ; =>This Inner Loop Header: Depth=1
	ds_load_b64 v[4:5], v1
	v_readfirstlane_b32 s4, v2
	v_readfirstlane_b32 s5, v3
	v_add_nc_u32_e32 v1, 0x400, v1
	s_wait_dscnt 0x0
	global_store_b64 v0, v[4:5], s[4:5] scale_offset
	s_wait_xcnt 0x0
	v_add_nc_u32_e32 v0, 0x80, v0
	s_delay_alu instid0(VALU_DEP_1) | instskip(SKIP_1) | instid1(SALU_CYCLE_1)
	v_cmp_ge_u32_e32 vcc_lo, v0, v26
	s_or_b32 s0, vcc_lo, s0
	s_and_not1_b32 exec_lo, exec_lo, s0
	s_cbranch_execnz .LBB375_237
; %bb.238:
	s_or_b32 exec_lo, exec_lo, s0
	s_and_b32 s0, s2, s28
	s_delay_alu instid0(SALU_CYCLE_1)
	s_and_saveexec_b32 s1, s0
	s_cbranch_execz .LBB375_214
.LBB375_239:
	v_mov_b32_e32 v27, 0
	s_delay_alu instid0(VALU_DEP_1) | instskip(SKIP_1) | instid1(VALU_DEP_1)
	v_add_nc_u64_e32 v[0:1], s[14:15], v[26:27]
	v_mov_b32_e32 v29, v27
	v_add_nc_u64_e32 v[0:1], v[0:1], v[28:29]
	global_store_b64 v27, v[0:1], s[12:13]
	s_endpgm
	.section	.rodata,"a",@progbits
	.p2align	6, 0x0
	.amdhsa_kernel _ZN7rocprim17ROCPRIM_400000_NS6detail17trampoline_kernelINS0_14default_configENS1_25partition_config_selectorILNS1_17partition_subalgoE9EllbEEZZNS1_14partition_implILS5_9ELb0ES3_jPlS8_PNS0_10empty_typeENS0_5tupleIJS8_S9_EEENSB_IJS8_SA_EEENS0_18inequality_wrapperIZN2at6native12_GLOBAL__N_124unique_dim_cuda_templateIaEESt5tupleIJNSF_6TensorESK_SK_EERKSK_lbbbEUlllE0_EEPmJS9_EEE10hipError_tPvRmT3_T4_T5_T6_T7_T9_mT8_P12ihipStream_tbDpT10_ENKUlT_T0_E_clISt17integral_constantIbLb0EES19_IbLb1EEEEDaS15_S16_EUlS15_E_NS1_11comp_targetILNS1_3genE0ELNS1_11target_archE4294967295ELNS1_3gpuE0ELNS1_3repE0EEENS1_30default_config_static_selectorELNS0_4arch9wavefront6targetE0EEEvT1_
		.amdhsa_group_segment_fixed_size 5128
		.amdhsa_private_segment_fixed_size 0
		.amdhsa_kernarg_size 136
		.amdhsa_user_sgpr_count 2
		.amdhsa_user_sgpr_dispatch_ptr 0
		.amdhsa_user_sgpr_queue_ptr 0
		.amdhsa_user_sgpr_kernarg_segment_ptr 1
		.amdhsa_user_sgpr_dispatch_id 0
		.amdhsa_user_sgpr_kernarg_preload_length 0
		.amdhsa_user_sgpr_kernarg_preload_offset 0
		.amdhsa_user_sgpr_private_segment_size 0
		.amdhsa_wavefront_size32 1
		.amdhsa_uses_dynamic_stack 0
		.amdhsa_enable_private_segment 0
		.amdhsa_system_sgpr_workgroup_id_x 1
		.amdhsa_system_sgpr_workgroup_id_y 0
		.amdhsa_system_sgpr_workgroup_id_z 0
		.amdhsa_system_sgpr_workgroup_info 0
		.amdhsa_system_vgpr_workitem_id 0
		.amdhsa_next_free_vgpr 55
		.amdhsa_next_free_sgpr 36
		.amdhsa_named_barrier_count 0
		.amdhsa_reserve_vcc 1
		.amdhsa_float_round_mode_32 0
		.amdhsa_float_round_mode_16_64 0
		.amdhsa_float_denorm_mode_32 3
		.amdhsa_float_denorm_mode_16_64 3
		.amdhsa_fp16_overflow 0
		.amdhsa_memory_ordered 1
		.amdhsa_forward_progress 1
		.amdhsa_inst_pref_size 79
		.amdhsa_round_robin_scheduling 0
		.amdhsa_exception_fp_ieee_invalid_op 0
		.amdhsa_exception_fp_denorm_src 0
		.amdhsa_exception_fp_ieee_div_zero 0
		.amdhsa_exception_fp_ieee_overflow 0
		.amdhsa_exception_fp_ieee_underflow 0
		.amdhsa_exception_fp_ieee_inexact 0
		.amdhsa_exception_int_div_zero 0
	.end_amdhsa_kernel
	.section	.text._ZN7rocprim17ROCPRIM_400000_NS6detail17trampoline_kernelINS0_14default_configENS1_25partition_config_selectorILNS1_17partition_subalgoE9EllbEEZZNS1_14partition_implILS5_9ELb0ES3_jPlS8_PNS0_10empty_typeENS0_5tupleIJS8_S9_EEENSB_IJS8_SA_EEENS0_18inequality_wrapperIZN2at6native12_GLOBAL__N_124unique_dim_cuda_templateIaEESt5tupleIJNSF_6TensorESK_SK_EERKSK_lbbbEUlllE0_EEPmJS9_EEE10hipError_tPvRmT3_T4_T5_T6_T7_T9_mT8_P12ihipStream_tbDpT10_ENKUlT_T0_E_clISt17integral_constantIbLb0EES19_IbLb1EEEEDaS15_S16_EUlS15_E_NS1_11comp_targetILNS1_3genE0ELNS1_11target_archE4294967295ELNS1_3gpuE0ELNS1_3repE0EEENS1_30default_config_static_selectorELNS0_4arch9wavefront6targetE0EEEvT1_,"axG",@progbits,_ZN7rocprim17ROCPRIM_400000_NS6detail17trampoline_kernelINS0_14default_configENS1_25partition_config_selectorILNS1_17partition_subalgoE9EllbEEZZNS1_14partition_implILS5_9ELb0ES3_jPlS8_PNS0_10empty_typeENS0_5tupleIJS8_S9_EEENSB_IJS8_SA_EEENS0_18inequality_wrapperIZN2at6native12_GLOBAL__N_124unique_dim_cuda_templateIaEESt5tupleIJNSF_6TensorESK_SK_EERKSK_lbbbEUlllE0_EEPmJS9_EEE10hipError_tPvRmT3_T4_T5_T6_T7_T9_mT8_P12ihipStream_tbDpT10_ENKUlT_T0_E_clISt17integral_constantIbLb0EES19_IbLb1EEEEDaS15_S16_EUlS15_E_NS1_11comp_targetILNS1_3genE0ELNS1_11target_archE4294967295ELNS1_3gpuE0ELNS1_3repE0EEENS1_30default_config_static_selectorELNS0_4arch9wavefront6targetE0EEEvT1_,comdat
.Lfunc_end375:
	.size	_ZN7rocprim17ROCPRIM_400000_NS6detail17trampoline_kernelINS0_14default_configENS1_25partition_config_selectorILNS1_17partition_subalgoE9EllbEEZZNS1_14partition_implILS5_9ELb0ES3_jPlS8_PNS0_10empty_typeENS0_5tupleIJS8_S9_EEENSB_IJS8_SA_EEENS0_18inequality_wrapperIZN2at6native12_GLOBAL__N_124unique_dim_cuda_templateIaEESt5tupleIJNSF_6TensorESK_SK_EERKSK_lbbbEUlllE0_EEPmJS9_EEE10hipError_tPvRmT3_T4_T5_T6_T7_T9_mT8_P12ihipStream_tbDpT10_ENKUlT_T0_E_clISt17integral_constantIbLb0EES19_IbLb1EEEEDaS15_S16_EUlS15_E_NS1_11comp_targetILNS1_3genE0ELNS1_11target_archE4294967295ELNS1_3gpuE0ELNS1_3repE0EEENS1_30default_config_static_selectorELNS0_4arch9wavefront6targetE0EEEvT1_, .Lfunc_end375-_ZN7rocprim17ROCPRIM_400000_NS6detail17trampoline_kernelINS0_14default_configENS1_25partition_config_selectorILNS1_17partition_subalgoE9EllbEEZZNS1_14partition_implILS5_9ELb0ES3_jPlS8_PNS0_10empty_typeENS0_5tupleIJS8_S9_EEENSB_IJS8_SA_EEENS0_18inequality_wrapperIZN2at6native12_GLOBAL__N_124unique_dim_cuda_templateIaEESt5tupleIJNSF_6TensorESK_SK_EERKSK_lbbbEUlllE0_EEPmJS9_EEE10hipError_tPvRmT3_T4_T5_T6_T7_T9_mT8_P12ihipStream_tbDpT10_ENKUlT_T0_E_clISt17integral_constantIbLb0EES19_IbLb1EEEEDaS15_S16_EUlS15_E_NS1_11comp_targetILNS1_3genE0ELNS1_11target_archE4294967295ELNS1_3gpuE0ELNS1_3repE0EEENS1_30default_config_static_selectorELNS0_4arch9wavefront6targetE0EEEvT1_
                                        ; -- End function
	.set _ZN7rocprim17ROCPRIM_400000_NS6detail17trampoline_kernelINS0_14default_configENS1_25partition_config_selectorILNS1_17partition_subalgoE9EllbEEZZNS1_14partition_implILS5_9ELb0ES3_jPlS8_PNS0_10empty_typeENS0_5tupleIJS8_S9_EEENSB_IJS8_SA_EEENS0_18inequality_wrapperIZN2at6native12_GLOBAL__N_124unique_dim_cuda_templateIaEESt5tupleIJNSF_6TensorESK_SK_EERKSK_lbbbEUlllE0_EEPmJS9_EEE10hipError_tPvRmT3_T4_T5_T6_T7_T9_mT8_P12ihipStream_tbDpT10_ENKUlT_T0_E_clISt17integral_constantIbLb0EES19_IbLb1EEEEDaS15_S16_EUlS15_E_NS1_11comp_targetILNS1_3genE0ELNS1_11target_archE4294967295ELNS1_3gpuE0ELNS1_3repE0EEENS1_30default_config_static_selectorELNS0_4arch9wavefront6targetE0EEEvT1_.num_vgpr, 55
	.set _ZN7rocprim17ROCPRIM_400000_NS6detail17trampoline_kernelINS0_14default_configENS1_25partition_config_selectorILNS1_17partition_subalgoE9EllbEEZZNS1_14partition_implILS5_9ELb0ES3_jPlS8_PNS0_10empty_typeENS0_5tupleIJS8_S9_EEENSB_IJS8_SA_EEENS0_18inequality_wrapperIZN2at6native12_GLOBAL__N_124unique_dim_cuda_templateIaEESt5tupleIJNSF_6TensorESK_SK_EERKSK_lbbbEUlllE0_EEPmJS9_EEE10hipError_tPvRmT3_T4_T5_T6_T7_T9_mT8_P12ihipStream_tbDpT10_ENKUlT_T0_E_clISt17integral_constantIbLb0EES19_IbLb1EEEEDaS15_S16_EUlS15_E_NS1_11comp_targetILNS1_3genE0ELNS1_11target_archE4294967295ELNS1_3gpuE0ELNS1_3repE0EEENS1_30default_config_static_selectorELNS0_4arch9wavefront6targetE0EEEvT1_.num_agpr, 0
	.set _ZN7rocprim17ROCPRIM_400000_NS6detail17trampoline_kernelINS0_14default_configENS1_25partition_config_selectorILNS1_17partition_subalgoE9EllbEEZZNS1_14partition_implILS5_9ELb0ES3_jPlS8_PNS0_10empty_typeENS0_5tupleIJS8_S9_EEENSB_IJS8_SA_EEENS0_18inequality_wrapperIZN2at6native12_GLOBAL__N_124unique_dim_cuda_templateIaEESt5tupleIJNSF_6TensorESK_SK_EERKSK_lbbbEUlllE0_EEPmJS9_EEE10hipError_tPvRmT3_T4_T5_T6_T7_T9_mT8_P12ihipStream_tbDpT10_ENKUlT_T0_E_clISt17integral_constantIbLb0EES19_IbLb1EEEEDaS15_S16_EUlS15_E_NS1_11comp_targetILNS1_3genE0ELNS1_11target_archE4294967295ELNS1_3gpuE0ELNS1_3repE0EEENS1_30default_config_static_selectorELNS0_4arch9wavefront6targetE0EEEvT1_.numbered_sgpr, 36
	.set _ZN7rocprim17ROCPRIM_400000_NS6detail17trampoline_kernelINS0_14default_configENS1_25partition_config_selectorILNS1_17partition_subalgoE9EllbEEZZNS1_14partition_implILS5_9ELb0ES3_jPlS8_PNS0_10empty_typeENS0_5tupleIJS8_S9_EEENSB_IJS8_SA_EEENS0_18inequality_wrapperIZN2at6native12_GLOBAL__N_124unique_dim_cuda_templateIaEESt5tupleIJNSF_6TensorESK_SK_EERKSK_lbbbEUlllE0_EEPmJS9_EEE10hipError_tPvRmT3_T4_T5_T6_T7_T9_mT8_P12ihipStream_tbDpT10_ENKUlT_T0_E_clISt17integral_constantIbLb0EES19_IbLb1EEEEDaS15_S16_EUlS15_E_NS1_11comp_targetILNS1_3genE0ELNS1_11target_archE4294967295ELNS1_3gpuE0ELNS1_3repE0EEENS1_30default_config_static_selectorELNS0_4arch9wavefront6targetE0EEEvT1_.num_named_barrier, 0
	.set _ZN7rocprim17ROCPRIM_400000_NS6detail17trampoline_kernelINS0_14default_configENS1_25partition_config_selectorILNS1_17partition_subalgoE9EllbEEZZNS1_14partition_implILS5_9ELb0ES3_jPlS8_PNS0_10empty_typeENS0_5tupleIJS8_S9_EEENSB_IJS8_SA_EEENS0_18inequality_wrapperIZN2at6native12_GLOBAL__N_124unique_dim_cuda_templateIaEESt5tupleIJNSF_6TensorESK_SK_EERKSK_lbbbEUlllE0_EEPmJS9_EEE10hipError_tPvRmT3_T4_T5_T6_T7_T9_mT8_P12ihipStream_tbDpT10_ENKUlT_T0_E_clISt17integral_constantIbLb0EES19_IbLb1EEEEDaS15_S16_EUlS15_E_NS1_11comp_targetILNS1_3genE0ELNS1_11target_archE4294967295ELNS1_3gpuE0ELNS1_3repE0EEENS1_30default_config_static_selectorELNS0_4arch9wavefront6targetE0EEEvT1_.private_seg_size, 0
	.set _ZN7rocprim17ROCPRIM_400000_NS6detail17trampoline_kernelINS0_14default_configENS1_25partition_config_selectorILNS1_17partition_subalgoE9EllbEEZZNS1_14partition_implILS5_9ELb0ES3_jPlS8_PNS0_10empty_typeENS0_5tupleIJS8_S9_EEENSB_IJS8_SA_EEENS0_18inequality_wrapperIZN2at6native12_GLOBAL__N_124unique_dim_cuda_templateIaEESt5tupleIJNSF_6TensorESK_SK_EERKSK_lbbbEUlllE0_EEPmJS9_EEE10hipError_tPvRmT3_T4_T5_T6_T7_T9_mT8_P12ihipStream_tbDpT10_ENKUlT_T0_E_clISt17integral_constantIbLb0EES19_IbLb1EEEEDaS15_S16_EUlS15_E_NS1_11comp_targetILNS1_3genE0ELNS1_11target_archE4294967295ELNS1_3gpuE0ELNS1_3repE0EEENS1_30default_config_static_selectorELNS0_4arch9wavefront6targetE0EEEvT1_.uses_vcc, 1
	.set _ZN7rocprim17ROCPRIM_400000_NS6detail17trampoline_kernelINS0_14default_configENS1_25partition_config_selectorILNS1_17partition_subalgoE9EllbEEZZNS1_14partition_implILS5_9ELb0ES3_jPlS8_PNS0_10empty_typeENS0_5tupleIJS8_S9_EEENSB_IJS8_SA_EEENS0_18inequality_wrapperIZN2at6native12_GLOBAL__N_124unique_dim_cuda_templateIaEESt5tupleIJNSF_6TensorESK_SK_EERKSK_lbbbEUlllE0_EEPmJS9_EEE10hipError_tPvRmT3_T4_T5_T6_T7_T9_mT8_P12ihipStream_tbDpT10_ENKUlT_T0_E_clISt17integral_constantIbLb0EES19_IbLb1EEEEDaS15_S16_EUlS15_E_NS1_11comp_targetILNS1_3genE0ELNS1_11target_archE4294967295ELNS1_3gpuE0ELNS1_3repE0EEENS1_30default_config_static_selectorELNS0_4arch9wavefront6targetE0EEEvT1_.uses_flat_scratch, 0
	.set _ZN7rocprim17ROCPRIM_400000_NS6detail17trampoline_kernelINS0_14default_configENS1_25partition_config_selectorILNS1_17partition_subalgoE9EllbEEZZNS1_14partition_implILS5_9ELb0ES3_jPlS8_PNS0_10empty_typeENS0_5tupleIJS8_S9_EEENSB_IJS8_SA_EEENS0_18inequality_wrapperIZN2at6native12_GLOBAL__N_124unique_dim_cuda_templateIaEESt5tupleIJNSF_6TensorESK_SK_EERKSK_lbbbEUlllE0_EEPmJS9_EEE10hipError_tPvRmT3_T4_T5_T6_T7_T9_mT8_P12ihipStream_tbDpT10_ENKUlT_T0_E_clISt17integral_constantIbLb0EES19_IbLb1EEEEDaS15_S16_EUlS15_E_NS1_11comp_targetILNS1_3genE0ELNS1_11target_archE4294967295ELNS1_3gpuE0ELNS1_3repE0EEENS1_30default_config_static_selectorELNS0_4arch9wavefront6targetE0EEEvT1_.has_dyn_sized_stack, 0
	.set _ZN7rocprim17ROCPRIM_400000_NS6detail17trampoline_kernelINS0_14default_configENS1_25partition_config_selectorILNS1_17partition_subalgoE9EllbEEZZNS1_14partition_implILS5_9ELb0ES3_jPlS8_PNS0_10empty_typeENS0_5tupleIJS8_S9_EEENSB_IJS8_SA_EEENS0_18inequality_wrapperIZN2at6native12_GLOBAL__N_124unique_dim_cuda_templateIaEESt5tupleIJNSF_6TensorESK_SK_EERKSK_lbbbEUlllE0_EEPmJS9_EEE10hipError_tPvRmT3_T4_T5_T6_T7_T9_mT8_P12ihipStream_tbDpT10_ENKUlT_T0_E_clISt17integral_constantIbLb0EES19_IbLb1EEEEDaS15_S16_EUlS15_E_NS1_11comp_targetILNS1_3genE0ELNS1_11target_archE4294967295ELNS1_3gpuE0ELNS1_3repE0EEENS1_30default_config_static_selectorELNS0_4arch9wavefront6targetE0EEEvT1_.has_recursion, 0
	.set _ZN7rocprim17ROCPRIM_400000_NS6detail17trampoline_kernelINS0_14default_configENS1_25partition_config_selectorILNS1_17partition_subalgoE9EllbEEZZNS1_14partition_implILS5_9ELb0ES3_jPlS8_PNS0_10empty_typeENS0_5tupleIJS8_S9_EEENSB_IJS8_SA_EEENS0_18inequality_wrapperIZN2at6native12_GLOBAL__N_124unique_dim_cuda_templateIaEESt5tupleIJNSF_6TensorESK_SK_EERKSK_lbbbEUlllE0_EEPmJS9_EEE10hipError_tPvRmT3_T4_T5_T6_T7_T9_mT8_P12ihipStream_tbDpT10_ENKUlT_T0_E_clISt17integral_constantIbLb0EES19_IbLb1EEEEDaS15_S16_EUlS15_E_NS1_11comp_targetILNS1_3genE0ELNS1_11target_archE4294967295ELNS1_3gpuE0ELNS1_3repE0EEENS1_30default_config_static_selectorELNS0_4arch9wavefront6targetE0EEEvT1_.has_indirect_call, 0
	.section	.AMDGPU.csdata,"",@progbits
; Kernel info:
; codeLenInByte = 10032
; TotalNumSgprs: 38
; NumVgprs: 55
; ScratchSize: 0
; MemoryBound: 0
; FloatMode: 240
; IeeeMode: 1
; LDSByteSize: 5128 bytes/workgroup (compile time only)
; SGPRBlocks: 0
; VGPRBlocks: 3
; NumSGPRsForWavesPerEU: 38
; NumVGPRsForWavesPerEU: 55
; NamedBarCnt: 0
; Occupancy: 16
; WaveLimiterHint : 1
; COMPUTE_PGM_RSRC2:SCRATCH_EN: 0
; COMPUTE_PGM_RSRC2:USER_SGPR: 2
; COMPUTE_PGM_RSRC2:TRAP_HANDLER: 0
; COMPUTE_PGM_RSRC2:TGID_X_EN: 1
; COMPUTE_PGM_RSRC2:TGID_Y_EN: 0
; COMPUTE_PGM_RSRC2:TGID_Z_EN: 0
; COMPUTE_PGM_RSRC2:TIDIG_COMP_CNT: 0
	.section	.text._ZN7rocprim17ROCPRIM_400000_NS6detail17trampoline_kernelINS0_14default_configENS1_25partition_config_selectorILNS1_17partition_subalgoE9EllbEEZZNS1_14partition_implILS5_9ELb0ES3_jPlS8_PNS0_10empty_typeENS0_5tupleIJS8_S9_EEENSB_IJS8_SA_EEENS0_18inequality_wrapperIZN2at6native12_GLOBAL__N_124unique_dim_cuda_templateIaEESt5tupleIJNSF_6TensorESK_SK_EERKSK_lbbbEUlllE0_EEPmJS9_EEE10hipError_tPvRmT3_T4_T5_T6_T7_T9_mT8_P12ihipStream_tbDpT10_ENKUlT_T0_E_clISt17integral_constantIbLb0EES19_IbLb1EEEEDaS15_S16_EUlS15_E_NS1_11comp_targetILNS1_3genE5ELNS1_11target_archE942ELNS1_3gpuE9ELNS1_3repE0EEENS1_30default_config_static_selectorELNS0_4arch9wavefront6targetE0EEEvT1_,"axG",@progbits,_ZN7rocprim17ROCPRIM_400000_NS6detail17trampoline_kernelINS0_14default_configENS1_25partition_config_selectorILNS1_17partition_subalgoE9EllbEEZZNS1_14partition_implILS5_9ELb0ES3_jPlS8_PNS0_10empty_typeENS0_5tupleIJS8_S9_EEENSB_IJS8_SA_EEENS0_18inequality_wrapperIZN2at6native12_GLOBAL__N_124unique_dim_cuda_templateIaEESt5tupleIJNSF_6TensorESK_SK_EERKSK_lbbbEUlllE0_EEPmJS9_EEE10hipError_tPvRmT3_T4_T5_T6_T7_T9_mT8_P12ihipStream_tbDpT10_ENKUlT_T0_E_clISt17integral_constantIbLb0EES19_IbLb1EEEEDaS15_S16_EUlS15_E_NS1_11comp_targetILNS1_3genE5ELNS1_11target_archE942ELNS1_3gpuE9ELNS1_3repE0EEENS1_30default_config_static_selectorELNS0_4arch9wavefront6targetE0EEEvT1_,comdat
	.globl	_ZN7rocprim17ROCPRIM_400000_NS6detail17trampoline_kernelINS0_14default_configENS1_25partition_config_selectorILNS1_17partition_subalgoE9EllbEEZZNS1_14partition_implILS5_9ELb0ES3_jPlS8_PNS0_10empty_typeENS0_5tupleIJS8_S9_EEENSB_IJS8_SA_EEENS0_18inequality_wrapperIZN2at6native12_GLOBAL__N_124unique_dim_cuda_templateIaEESt5tupleIJNSF_6TensorESK_SK_EERKSK_lbbbEUlllE0_EEPmJS9_EEE10hipError_tPvRmT3_T4_T5_T6_T7_T9_mT8_P12ihipStream_tbDpT10_ENKUlT_T0_E_clISt17integral_constantIbLb0EES19_IbLb1EEEEDaS15_S16_EUlS15_E_NS1_11comp_targetILNS1_3genE5ELNS1_11target_archE942ELNS1_3gpuE9ELNS1_3repE0EEENS1_30default_config_static_selectorELNS0_4arch9wavefront6targetE0EEEvT1_ ; -- Begin function _ZN7rocprim17ROCPRIM_400000_NS6detail17trampoline_kernelINS0_14default_configENS1_25partition_config_selectorILNS1_17partition_subalgoE9EllbEEZZNS1_14partition_implILS5_9ELb0ES3_jPlS8_PNS0_10empty_typeENS0_5tupleIJS8_S9_EEENSB_IJS8_SA_EEENS0_18inequality_wrapperIZN2at6native12_GLOBAL__N_124unique_dim_cuda_templateIaEESt5tupleIJNSF_6TensorESK_SK_EERKSK_lbbbEUlllE0_EEPmJS9_EEE10hipError_tPvRmT3_T4_T5_T6_T7_T9_mT8_P12ihipStream_tbDpT10_ENKUlT_T0_E_clISt17integral_constantIbLb0EES19_IbLb1EEEEDaS15_S16_EUlS15_E_NS1_11comp_targetILNS1_3genE5ELNS1_11target_archE942ELNS1_3gpuE9ELNS1_3repE0EEENS1_30default_config_static_selectorELNS0_4arch9wavefront6targetE0EEEvT1_
	.p2align	8
	.type	_ZN7rocprim17ROCPRIM_400000_NS6detail17trampoline_kernelINS0_14default_configENS1_25partition_config_selectorILNS1_17partition_subalgoE9EllbEEZZNS1_14partition_implILS5_9ELb0ES3_jPlS8_PNS0_10empty_typeENS0_5tupleIJS8_S9_EEENSB_IJS8_SA_EEENS0_18inequality_wrapperIZN2at6native12_GLOBAL__N_124unique_dim_cuda_templateIaEESt5tupleIJNSF_6TensorESK_SK_EERKSK_lbbbEUlllE0_EEPmJS9_EEE10hipError_tPvRmT3_T4_T5_T6_T7_T9_mT8_P12ihipStream_tbDpT10_ENKUlT_T0_E_clISt17integral_constantIbLb0EES19_IbLb1EEEEDaS15_S16_EUlS15_E_NS1_11comp_targetILNS1_3genE5ELNS1_11target_archE942ELNS1_3gpuE9ELNS1_3repE0EEENS1_30default_config_static_selectorELNS0_4arch9wavefront6targetE0EEEvT1_,@function
_ZN7rocprim17ROCPRIM_400000_NS6detail17trampoline_kernelINS0_14default_configENS1_25partition_config_selectorILNS1_17partition_subalgoE9EllbEEZZNS1_14partition_implILS5_9ELb0ES3_jPlS8_PNS0_10empty_typeENS0_5tupleIJS8_S9_EEENSB_IJS8_SA_EEENS0_18inequality_wrapperIZN2at6native12_GLOBAL__N_124unique_dim_cuda_templateIaEESt5tupleIJNSF_6TensorESK_SK_EERKSK_lbbbEUlllE0_EEPmJS9_EEE10hipError_tPvRmT3_T4_T5_T6_T7_T9_mT8_P12ihipStream_tbDpT10_ENKUlT_T0_E_clISt17integral_constantIbLb0EES19_IbLb1EEEEDaS15_S16_EUlS15_E_NS1_11comp_targetILNS1_3genE5ELNS1_11target_archE942ELNS1_3gpuE9ELNS1_3repE0EEENS1_30default_config_static_selectorELNS0_4arch9wavefront6targetE0EEEvT1_: ; @_ZN7rocprim17ROCPRIM_400000_NS6detail17trampoline_kernelINS0_14default_configENS1_25partition_config_selectorILNS1_17partition_subalgoE9EllbEEZZNS1_14partition_implILS5_9ELb0ES3_jPlS8_PNS0_10empty_typeENS0_5tupleIJS8_S9_EEENSB_IJS8_SA_EEENS0_18inequality_wrapperIZN2at6native12_GLOBAL__N_124unique_dim_cuda_templateIaEESt5tupleIJNSF_6TensorESK_SK_EERKSK_lbbbEUlllE0_EEPmJS9_EEE10hipError_tPvRmT3_T4_T5_T6_T7_T9_mT8_P12ihipStream_tbDpT10_ENKUlT_T0_E_clISt17integral_constantIbLb0EES19_IbLb1EEEEDaS15_S16_EUlS15_E_NS1_11comp_targetILNS1_3genE5ELNS1_11target_archE942ELNS1_3gpuE9ELNS1_3repE0EEENS1_30default_config_static_selectorELNS0_4arch9wavefront6targetE0EEEvT1_
; %bb.0:
	.section	.rodata,"a",@progbits
	.p2align	6, 0x0
	.amdhsa_kernel _ZN7rocprim17ROCPRIM_400000_NS6detail17trampoline_kernelINS0_14default_configENS1_25partition_config_selectorILNS1_17partition_subalgoE9EllbEEZZNS1_14partition_implILS5_9ELb0ES3_jPlS8_PNS0_10empty_typeENS0_5tupleIJS8_S9_EEENSB_IJS8_SA_EEENS0_18inequality_wrapperIZN2at6native12_GLOBAL__N_124unique_dim_cuda_templateIaEESt5tupleIJNSF_6TensorESK_SK_EERKSK_lbbbEUlllE0_EEPmJS9_EEE10hipError_tPvRmT3_T4_T5_T6_T7_T9_mT8_P12ihipStream_tbDpT10_ENKUlT_T0_E_clISt17integral_constantIbLb0EES19_IbLb1EEEEDaS15_S16_EUlS15_E_NS1_11comp_targetILNS1_3genE5ELNS1_11target_archE942ELNS1_3gpuE9ELNS1_3repE0EEENS1_30default_config_static_selectorELNS0_4arch9wavefront6targetE0EEEvT1_
		.amdhsa_group_segment_fixed_size 0
		.amdhsa_private_segment_fixed_size 0
		.amdhsa_kernarg_size 136
		.amdhsa_user_sgpr_count 2
		.amdhsa_user_sgpr_dispatch_ptr 0
		.amdhsa_user_sgpr_queue_ptr 0
		.amdhsa_user_sgpr_kernarg_segment_ptr 1
		.amdhsa_user_sgpr_dispatch_id 0
		.amdhsa_user_sgpr_kernarg_preload_length 0
		.amdhsa_user_sgpr_kernarg_preload_offset 0
		.amdhsa_user_sgpr_private_segment_size 0
		.amdhsa_wavefront_size32 1
		.amdhsa_uses_dynamic_stack 0
		.amdhsa_enable_private_segment 0
		.amdhsa_system_sgpr_workgroup_id_x 1
		.amdhsa_system_sgpr_workgroup_id_y 0
		.amdhsa_system_sgpr_workgroup_id_z 0
		.amdhsa_system_sgpr_workgroup_info 0
		.amdhsa_system_vgpr_workitem_id 0
		.amdhsa_next_free_vgpr 1
		.amdhsa_next_free_sgpr 1
		.amdhsa_named_barrier_count 0
		.amdhsa_reserve_vcc 0
		.amdhsa_float_round_mode_32 0
		.amdhsa_float_round_mode_16_64 0
		.amdhsa_float_denorm_mode_32 3
		.amdhsa_float_denorm_mode_16_64 3
		.amdhsa_fp16_overflow 0
		.amdhsa_memory_ordered 1
		.amdhsa_forward_progress 1
		.amdhsa_inst_pref_size 0
		.amdhsa_round_robin_scheduling 0
		.amdhsa_exception_fp_ieee_invalid_op 0
		.amdhsa_exception_fp_denorm_src 0
		.amdhsa_exception_fp_ieee_div_zero 0
		.amdhsa_exception_fp_ieee_overflow 0
		.amdhsa_exception_fp_ieee_underflow 0
		.amdhsa_exception_fp_ieee_inexact 0
		.amdhsa_exception_int_div_zero 0
	.end_amdhsa_kernel
	.section	.text._ZN7rocprim17ROCPRIM_400000_NS6detail17trampoline_kernelINS0_14default_configENS1_25partition_config_selectorILNS1_17partition_subalgoE9EllbEEZZNS1_14partition_implILS5_9ELb0ES3_jPlS8_PNS0_10empty_typeENS0_5tupleIJS8_S9_EEENSB_IJS8_SA_EEENS0_18inequality_wrapperIZN2at6native12_GLOBAL__N_124unique_dim_cuda_templateIaEESt5tupleIJNSF_6TensorESK_SK_EERKSK_lbbbEUlllE0_EEPmJS9_EEE10hipError_tPvRmT3_T4_T5_T6_T7_T9_mT8_P12ihipStream_tbDpT10_ENKUlT_T0_E_clISt17integral_constantIbLb0EES19_IbLb1EEEEDaS15_S16_EUlS15_E_NS1_11comp_targetILNS1_3genE5ELNS1_11target_archE942ELNS1_3gpuE9ELNS1_3repE0EEENS1_30default_config_static_selectorELNS0_4arch9wavefront6targetE0EEEvT1_,"axG",@progbits,_ZN7rocprim17ROCPRIM_400000_NS6detail17trampoline_kernelINS0_14default_configENS1_25partition_config_selectorILNS1_17partition_subalgoE9EllbEEZZNS1_14partition_implILS5_9ELb0ES3_jPlS8_PNS0_10empty_typeENS0_5tupleIJS8_S9_EEENSB_IJS8_SA_EEENS0_18inequality_wrapperIZN2at6native12_GLOBAL__N_124unique_dim_cuda_templateIaEESt5tupleIJNSF_6TensorESK_SK_EERKSK_lbbbEUlllE0_EEPmJS9_EEE10hipError_tPvRmT3_T4_T5_T6_T7_T9_mT8_P12ihipStream_tbDpT10_ENKUlT_T0_E_clISt17integral_constantIbLb0EES19_IbLb1EEEEDaS15_S16_EUlS15_E_NS1_11comp_targetILNS1_3genE5ELNS1_11target_archE942ELNS1_3gpuE9ELNS1_3repE0EEENS1_30default_config_static_selectorELNS0_4arch9wavefront6targetE0EEEvT1_,comdat
.Lfunc_end376:
	.size	_ZN7rocprim17ROCPRIM_400000_NS6detail17trampoline_kernelINS0_14default_configENS1_25partition_config_selectorILNS1_17partition_subalgoE9EllbEEZZNS1_14partition_implILS5_9ELb0ES3_jPlS8_PNS0_10empty_typeENS0_5tupleIJS8_S9_EEENSB_IJS8_SA_EEENS0_18inequality_wrapperIZN2at6native12_GLOBAL__N_124unique_dim_cuda_templateIaEESt5tupleIJNSF_6TensorESK_SK_EERKSK_lbbbEUlllE0_EEPmJS9_EEE10hipError_tPvRmT3_T4_T5_T6_T7_T9_mT8_P12ihipStream_tbDpT10_ENKUlT_T0_E_clISt17integral_constantIbLb0EES19_IbLb1EEEEDaS15_S16_EUlS15_E_NS1_11comp_targetILNS1_3genE5ELNS1_11target_archE942ELNS1_3gpuE9ELNS1_3repE0EEENS1_30default_config_static_selectorELNS0_4arch9wavefront6targetE0EEEvT1_, .Lfunc_end376-_ZN7rocprim17ROCPRIM_400000_NS6detail17trampoline_kernelINS0_14default_configENS1_25partition_config_selectorILNS1_17partition_subalgoE9EllbEEZZNS1_14partition_implILS5_9ELb0ES3_jPlS8_PNS0_10empty_typeENS0_5tupleIJS8_S9_EEENSB_IJS8_SA_EEENS0_18inequality_wrapperIZN2at6native12_GLOBAL__N_124unique_dim_cuda_templateIaEESt5tupleIJNSF_6TensorESK_SK_EERKSK_lbbbEUlllE0_EEPmJS9_EEE10hipError_tPvRmT3_T4_T5_T6_T7_T9_mT8_P12ihipStream_tbDpT10_ENKUlT_T0_E_clISt17integral_constantIbLb0EES19_IbLb1EEEEDaS15_S16_EUlS15_E_NS1_11comp_targetILNS1_3genE5ELNS1_11target_archE942ELNS1_3gpuE9ELNS1_3repE0EEENS1_30default_config_static_selectorELNS0_4arch9wavefront6targetE0EEEvT1_
                                        ; -- End function
	.set _ZN7rocprim17ROCPRIM_400000_NS6detail17trampoline_kernelINS0_14default_configENS1_25partition_config_selectorILNS1_17partition_subalgoE9EllbEEZZNS1_14partition_implILS5_9ELb0ES3_jPlS8_PNS0_10empty_typeENS0_5tupleIJS8_S9_EEENSB_IJS8_SA_EEENS0_18inequality_wrapperIZN2at6native12_GLOBAL__N_124unique_dim_cuda_templateIaEESt5tupleIJNSF_6TensorESK_SK_EERKSK_lbbbEUlllE0_EEPmJS9_EEE10hipError_tPvRmT3_T4_T5_T6_T7_T9_mT8_P12ihipStream_tbDpT10_ENKUlT_T0_E_clISt17integral_constantIbLb0EES19_IbLb1EEEEDaS15_S16_EUlS15_E_NS1_11comp_targetILNS1_3genE5ELNS1_11target_archE942ELNS1_3gpuE9ELNS1_3repE0EEENS1_30default_config_static_selectorELNS0_4arch9wavefront6targetE0EEEvT1_.num_vgpr, 0
	.set _ZN7rocprim17ROCPRIM_400000_NS6detail17trampoline_kernelINS0_14default_configENS1_25partition_config_selectorILNS1_17partition_subalgoE9EllbEEZZNS1_14partition_implILS5_9ELb0ES3_jPlS8_PNS0_10empty_typeENS0_5tupleIJS8_S9_EEENSB_IJS8_SA_EEENS0_18inequality_wrapperIZN2at6native12_GLOBAL__N_124unique_dim_cuda_templateIaEESt5tupleIJNSF_6TensorESK_SK_EERKSK_lbbbEUlllE0_EEPmJS9_EEE10hipError_tPvRmT3_T4_T5_T6_T7_T9_mT8_P12ihipStream_tbDpT10_ENKUlT_T0_E_clISt17integral_constantIbLb0EES19_IbLb1EEEEDaS15_S16_EUlS15_E_NS1_11comp_targetILNS1_3genE5ELNS1_11target_archE942ELNS1_3gpuE9ELNS1_3repE0EEENS1_30default_config_static_selectorELNS0_4arch9wavefront6targetE0EEEvT1_.num_agpr, 0
	.set _ZN7rocprim17ROCPRIM_400000_NS6detail17trampoline_kernelINS0_14default_configENS1_25partition_config_selectorILNS1_17partition_subalgoE9EllbEEZZNS1_14partition_implILS5_9ELb0ES3_jPlS8_PNS0_10empty_typeENS0_5tupleIJS8_S9_EEENSB_IJS8_SA_EEENS0_18inequality_wrapperIZN2at6native12_GLOBAL__N_124unique_dim_cuda_templateIaEESt5tupleIJNSF_6TensorESK_SK_EERKSK_lbbbEUlllE0_EEPmJS9_EEE10hipError_tPvRmT3_T4_T5_T6_T7_T9_mT8_P12ihipStream_tbDpT10_ENKUlT_T0_E_clISt17integral_constantIbLb0EES19_IbLb1EEEEDaS15_S16_EUlS15_E_NS1_11comp_targetILNS1_3genE5ELNS1_11target_archE942ELNS1_3gpuE9ELNS1_3repE0EEENS1_30default_config_static_selectorELNS0_4arch9wavefront6targetE0EEEvT1_.numbered_sgpr, 0
	.set _ZN7rocprim17ROCPRIM_400000_NS6detail17trampoline_kernelINS0_14default_configENS1_25partition_config_selectorILNS1_17partition_subalgoE9EllbEEZZNS1_14partition_implILS5_9ELb0ES3_jPlS8_PNS0_10empty_typeENS0_5tupleIJS8_S9_EEENSB_IJS8_SA_EEENS0_18inequality_wrapperIZN2at6native12_GLOBAL__N_124unique_dim_cuda_templateIaEESt5tupleIJNSF_6TensorESK_SK_EERKSK_lbbbEUlllE0_EEPmJS9_EEE10hipError_tPvRmT3_T4_T5_T6_T7_T9_mT8_P12ihipStream_tbDpT10_ENKUlT_T0_E_clISt17integral_constantIbLb0EES19_IbLb1EEEEDaS15_S16_EUlS15_E_NS1_11comp_targetILNS1_3genE5ELNS1_11target_archE942ELNS1_3gpuE9ELNS1_3repE0EEENS1_30default_config_static_selectorELNS0_4arch9wavefront6targetE0EEEvT1_.num_named_barrier, 0
	.set _ZN7rocprim17ROCPRIM_400000_NS6detail17trampoline_kernelINS0_14default_configENS1_25partition_config_selectorILNS1_17partition_subalgoE9EllbEEZZNS1_14partition_implILS5_9ELb0ES3_jPlS8_PNS0_10empty_typeENS0_5tupleIJS8_S9_EEENSB_IJS8_SA_EEENS0_18inequality_wrapperIZN2at6native12_GLOBAL__N_124unique_dim_cuda_templateIaEESt5tupleIJNSF_6TensorESK_SK_EERKSK_lbbbEUlllE0_EEPmJS9_EEE10hipError_tPvRmT3_T4_T5_T6_T7_T9_mT8_P12ihipStream_tbDpT10_ENKUlT_T0_E_clISt17integral_constantIbLb0EES19_IbLb1EEEEDaS15_S16_EUlS15_E_NS1_11comp_targetILNS1_3genE5ELNS1_11target_archE942ELNS1_3gpuE9ELNS1_3repE0EEENS1_30default_config_static_selectorELNS0_4arch9wavefront6targetE0EEEvT1_.private_seg_size, 0
	.set _ZN7rocprim17ROCPRIM_400000_NS6detail17trampoline_kernelINS0_14default_configENS1_25partition_config_selectorILNS1_17partition_subalgoE9EllbEEZZNS1_14partition_implILS5_9ELb0ES3_jPlS8_PNS0_10empty_typeENS0_5tupleIJS8_S9_EEENSB_IJS8_SA_EEENS0_18inequality_wrapperIZN2at6native12_GLOBAL__N_124unique_dim_cuda_templateIaEESt5tupleIJNSF_6TensorESK_SK_EERKSK_lbbbEUlllE0_EEPmJS9_EEE10hipError_tPvRmT3_T4_T5_T6_T7_T9_mT8_P12ihipStream_tbDpT10_ENKUlT_T0_E_clISt17integral_constantIbLb0EES19_IbLb1EEEEDaS15_S16_EUlS15_E_NS1_11comp_targetILNS1_3genE5ELNS1_11target_archE942ELNS1_3gpuE9ELNS1_3repE0EEENS1_30default_config_static_selectorELNS0_4arch9wavefront6targetE0EEEvT1_.uses_vcc, 0
	.set _ZN7rocprim17ROCPRIM_400000_NS6detail17trampoline_kernelINS0_14default_configENS1_25partition_config_selectorILNS1_17partition_subalgoE9EllbEEZZNS1_14partition_implILS5_9ELb0ES3_jPlS8_PNS0_10empty_typeENS0_5tupleIJS8_S9_EEENSB_IJS8_SA_EEENS0_18inequality_wrapperIZN2at6native12_GLOBAL__N_124unique_dim_cuda_templateIaEESt5tupleIJNSF_6TensorESK_SK_EERKSK_lbbbEUlllE0_EEPmJS9_EEE10hipError_tPvRmT3_T4_T5_T6_T7_T9_mT8_P12ihipStream_tbDpT10_ENKUlT_T0_E_clISt17integral_constantIbLb0EES19_IbLb1EEEEDaS15_S16_EUlS15_E_NS1_11comp_targetILNS1_3genE5ELNS1_11target_archE942ELNS1_3gpuE9ELNS1_3repE0EEENS1_30default_config_static_selectorELNS0_4arch9wavefront6targetE0EEEvT1_.uses_flat_scratch, 0
	.set _ZN7rocprim17ROCPRIM_400000_NS6detail17trampoline_kernelINS0_14default_configENS1_25partition_config_selectorILNS1_17partition_subalgoE9EllbEEZZNS1_14partition_implILS5_9ELb0ES3_jPlS8_PNS0_10empty_typeENS0_5tupleIJS8_S9_EEENSB_IJS8_SA_EEENS0_18inequality_wrapperIZN2at6native12_GLOBAL__N_124unique_dim_cuda_templateIaEESt5tupleIJNSF_6TensorESK_SK_EERKSK_lbbbEUlllE0_EEPmJS9_EEE10hipError_tPvRmT3_T4_T5_T6_T7_T9_mT8_P12ihipStream_tbDpT10_ENKUlT_T0_E_clISt17integral_constantIbLb0EES19_IbLb1EEEEDaS15_S16_EUlS15_E_NS1_11comp_targetILNS1_3genE5ELNS1_11target_archE942ELNS1_3gpuE9ELNS1_3repE0EEENS1_30default_config_static_selectorELNS0_4arch9wavefront6targetE0EEEvT1_.has_dyn_sized_stack, 0
	.set _ZN7rocprim17ROCPRIM_400000_NS6detail17trampoline_kernelINS0_14default_configENS1_25partition_config_selectorILNS1_17partition_subalgoE9EllbEEZZNS1_14partition_implILS5_9ELb0ES3_jPlS8_PNS0_10empty_typeENS0_5tupleIJS8_S9_EEENSB_IJS8_SA_EEENS0_18inequality_wrapperIZN2at6native12_GLOBAL__N_124unique_dim_cuda_templateIaEESt5tupleIJNSF_6TensorESK_SK_EERKSK_lbbbEUlllE0_EEPmJS9_EEE10hipError_tPvRmT3_T4_T5_T6_T7_T9_mT8_P12ihipStream_tbDpT10_ENKUlT_T0_E_clISt17integral_constantIbLb0EES19_IbLb1EEEEDaS15_S16_EUlS15_E_NS1_11comp_targetILNS1_3genE5ELNS1_11target_archE942ELNS1_3gpuE9ELNS1_3repE0EEENS1_30default_config_static_selectorELNS0_4arch9wavefront6targetE0EEEvT1_.has_recursion, 0
	.set _ZN7rocprim17ROCPRIM_400000_NS6detail17trampoline_kernelINS0_14default_configENS1_25partition_config_selectorILNS1_17partition_subalgoE9EllbEEZZNS1_14partition_implILS5_9ELb0ES3_jPlS8_PNS0_10empty_typeENS0_5tupleIJS8_S9_EEENSB_IJS8_SA_EEENS0_18inequality_wrapperIZN2at6native12_GLOBAL__N_124unique_dim_cuda_templateIaEESt5tupleIJNSF_6TensorESK_SK_EERKSK_lbbbEUlllE0_EEPmJS9_EEE10hipError_tPvRmT3_T4_T5_T6_T7_T9_mT8_P12ihipStream_tbDpT10_ENKUlT_T0_E_clISt17integral_constantIbLb0EES19_IbLb1EEEEDaS15_S16_EUlS15_E_NS1_11comp_targetILNS1_3genE5ELNS1_11target_archE942ELNS1_3gpuE9ELNS1_3repE0EEENS1_30default_config_static_selectorELNS0_4arch9wavefront6targetE0EEEvT1_.has_indirect_call, 0
	.section	.AMDGPU.csdata,"",@progbits
; Kernel info:
; codeLenInByte = 0
; TotalNumSgprs: 0
; NumVgprs: 0
; ScratchSize: 0
; MemoryBound: 0
; FloatMode: 240
; IeeeMode: 1
; LDSByteSize: 0 bytes/workgroup (compile time only)
; SGPRBlocks: 0
; VGPRBlocks: 0
; NumSGPRsForWavesPerEU: 1
; NumVGPRsForWavesPerEU: 1
; NamedBarCnt: 0
; Occupancy: 16
; WaveLimiterHint : 0
; COMPUTE_PGM_RSRC2:SCRATCH_EN: 0
; COMPUTE_PGM_RSRC2:USER_SGPR: 2
; COMPUTE_PGM_RSRC2:TRAP_HANDLER: 0
; COMPUTE_PGM_RSRC2:TGID_X_EN: 1
; COMPUTE_PGM_RSRC2:TGID_Y_EN: 0
; COMPUTE_PGM_RSRC2:TGID_Z_EN: 0
; COMPUTE_PGM_RSRC2:TIDIG_COMP_CNT: 0
	.section	.text._ZN7rocprim17ROCPRIM_400000_NS6detail17trampoline_kernelINS0_14default_configENS1_25partition_config_selectorILNS1_17partition_subalgoE9EllbEEZZNS1_14partition_implILS5_9ELb0ES3_jPlS8_PNS0_10empty_typeENS0_5tupleIJS8_S9_EEENSB_IJS8_SA_EEENS0_18inequality_wrapperIZN2at6native12_GLOBAL__N_124unique_dim_cuda_templateIaEESt5tupleIJNSF_6TensorESK_SK_EERKSK_lbbbEUlllE0_EEPmJS9_EEE10hipError_tPvRmT3_T4_T5_T6_T7_T9_mT8_P12ihipStream_tbDpT10_ENKUlT_T0_E_clISt17integral_constantIbLb0EES19_IbLb1EEEEDaS15_S16_EUlS15_E_NS1_11comp_targetILNS1_3genE4ELNS1_11target_archE910ELNS1_3gpuE8ELNS1_3repE0EEENS1_30default_config_static_selectorELNS0_4arch9wavefront6targetE0EEEvT1_,"axG",@progbits,_ZN7rocprim17ROCPRIM_400000_NS6detail17trampoline_kernelINS0_14default_configENS1_25partition_config_selectorILNS1_17partition_subalgoE9EllbEEZZNS1_14partition_implILS5_9ELb0ES3_jPlS8_PNS0_10empty_typeENS0_5tupleIJS8_S9_EEENSB_IJS8_SA_EEENS0_18inequality_wrapperIZN2at6native12_GLOBAL__N_124unique_dim_cuda_templateIaEESt5tupleIJNSF_6TensorESK_SK_EERKSK_lbbbEUlllE0_EEPmJS9_EEE10hipError_tPvRmT3_T4_T5_T6_T7_T9_mT8_P12ihipStream_tbDpT10_ENKUlT_T0_E_clISt17integral_constantIbLb0EES19_IbLb1EEEEDaS15_S16_EUlS15_E_NS1_11comp_targetILNS1_3genE4ELNS1_11target_archE910ELNS1_3gpuE8ELNS1_3repE0EEENS1_30default_config_static_selectorELNS0_4arch9wavefront6targetE0EEEvT1_,comdat
	.globl	_ZN7rocprim17ROCPRIM_400000_NS6detail17trampoline_kernelINS0_14default_configENS1_25partition_config_selectorILNS1_17partition_subalgoE9EllbEEZZNS1_14partition_implILS5_9ELb0ES3_jPlS8_PNS0_10empty_typeENS0_5tupleIJS8_S9_EEENSB_IJS8_SA_EEENS0_18inequality_wrapperIZN2at6native12_GLOBAL__N_124unique_dim_cuda_templateIaEESt5tupleIJNSF_6TensorESK_SK_EERKSK_lbbbEUlllE0_EEPmJS9_EEE10hipError_tPvRmT3_T4_T5_T6_T7_T9_mT8_P12ihipStream_tbDpT10_ENKUlT_T0_E_clISt17integral_constantIbLb0EES19_IbLb1EEEEDaS15_S16_EUlS15_E_NS1_11comp_targetILNS1_3genE4ELNS1_11target_archE910ELNS1_3gpuE8ELNS1_3repE0EEENS1_30default_config_static_selectorELNS0_4arch9wavefront6targetE0EEEvT1_ ; -- Begin function _ZN7rocprim17ROCPRIM_400000_NS6detail17trampoline_kernelINS0_14default_configENS1_25partition_config_selectorILNS1_17partition_subalgoE9EllbEEZZNS1_14partition_implILS5_9ELb0ES3_jPlS8_PNS0_10empty_typeENS0_5tupleIJS8_S9_EEENSB_IJS8_SA_EEENS0_18inequality_wrapperIZN2at6native12_GLOBAL__N_124unique_dim_cuda_templateIaEESt5tupleIJNSF_6TensorESK_SK_EERKSK_lbbbEUlllE0_EEPmJS9_EEE10hipError_tPvRmT3_T4_T5_T6_T7_T9_mT8_P12ihipStream_tbDpT10_ENKUlT_T0_E_clISt17integral_constantIbLb0EES19_IbLb1EEEEDaS15_S16_EUlS15_E_NS1_11comp_targetILNS1_3genE4ELNS1_11target_archE910ELNS1_3gpuE8ELNS1_3repE0EEENS1_30default_config_static_selectorELNS0_4arch9wavefront6targetE0EEEvT1_
	.p2align	8
	.type	_ZN7rocprim17ROCPRIM_400000_NS6detail17trampoline_kernelINS0_14default_configENS1_25partition_config_selectorILNS1_17partition_subalgoE9EllbEEZZNS1_14partition_implILS5_9ELb0ES3_jPlS8_PNS0_10empty_typeENS0_5tupleIJS8_S9_EEENSB_IJS8_SA_EEENS0_18inequality_wrapperIZN2at6native12_GLOBAL__N_124unique_dim_cuda_templateIaEESt5tupleIJNSF_6TensorESK_SK_EERKSK_lbbbEUlllE0_EEPmJS9_EEE10hipError_tPvRmT3_T4_T5_T6_T7_T9_mT8_P12ihipStream_tbDpT10_ENKUlT_T0_E_clISt17integral_constantIbLb0EES19_IbLb1EEEEDaS15_S16_EUlS15_E_NS1_11comp_targetILNS1_3genE4ELNS1_11target_archE910ELNS1_3gpuE8ELNS1_3repE0EEENS1_30default_config_static_selectorELNS0_4arch9wavefront6targetE0EEEvT1_,@function
_ZN7rocprim17ROCPRIM_400000_NS6detail17trampoline_kernelINS0_14default_configENS1_25partition_config_selectorILNS1_17partition_subalgoE9EllbEEZZNS1_14partition_implILS5_9ELb0ES3_jPlS8_PNS0_10empty_typeENS0_5tupleIJS8_S9_EEENSB_IJS8_SA_EEENS0_18inequality_wrapperIZN2at6native12_GLOBAL__N_124unique_dim_cuda_templateIaEESt5tupleIJNSF_6TensorESK_SK_EERKSK_lbbbEUlllE0_EEPmJS9_EEE10hipError_tPvRmT3_T4_T5_T6_T7_T9_mT8_P12ihipStream_tbDpT10_ENKUlT_T0_E_clISt17integral_constantIbLb0EES19_IbLb1EEEEDaS15_S16_EUlS15_E_NS1_11comp_targetILNS1_3genE4ELNS1_11target_archE910ELNS1_3gpuE8ELNS1_3repE0EEENS1_30default_config_static_selectorELNS0_4arch9wavefront6targetE0EEEvT1_: ; @_ZN7rocprim17ROCPRIM_400000_NS6detail17trampoline_kernelINS0_14default_configENS1_25partition_config_selectorILNS1_17partition_subalgoE9EllbEEZZNS1_14partition_implILS5_9ELb0ES3_jPlS8_PNS0_10empty_typeENS0_5tupleIJS8_S9_EEENSB_IJS8_SA_EEENS0_18inequality_wrapperIZN2at6native12_GLOBAL__N_124unique_dim_cuda_templateIaEESt5tupleIJNSF_6TensorESK_SK_EERKSK_lbbbEUlllE0_EEPmJS9_EEE10hipError_tPvRmT3_T4_T5_T6_T7_T9_mT8_P12ihipStream_tbDpT10_ENKUlT_T0_E_clISt17integral_constantIbLb0EES19_IbLb1EEEEDaS15_S16_EUlS15_E_NS1_11comp_targetILNS1_3genE4ELNS1_11target_archE910ELNS1_3gpuE8ELNS1_3repE0EEENS1_30default_config_static_selectorELNS0_4arch9wavefront6targetE0EEEvT1_
; %bb.0:
	.section	.rodata,"a",@progbits
	.p2align	6, 0x0
	.amdhsa_kernel _ZN7rocprim17ROCPRIM_400000_NS6detail17trampoline_kernelINS0_14default_configENS1_25partition_config_selectorILNS1_17partition_subalgoE9EllbEEZZNS1_14partition_implILS5_9ELb0ES3_jPlS8_PNS0_10empty_typeENS0_5tupleIJS8_S9_EEENSB_IJS8_SA_EEENS0_18inequality_wrapperIZN2at6native12_GLOBAL__N_124unique_dim_cuda_templateIaEESt5tupleIJNSF_6TensorESK_SK_EERKSK_lbbbEUlllE0_EEPmJS9_EEE10hipError_tPvRmT3_T4_T5_T6_T7_T9_mT8_P12ihipStream_tbDpT10_ENKUlT_T0_E_clISt17integral_constantIbLb0EES19_IbLb1EEEEDaS15_S16_EUlS15_E_NS1_11comp_targetILNS1_3genE4ELNS1_11target_archE910ELNS1_3gpuE8ELNS1_3repE0EEENS1_30default_config_static_selectorELNS0_4arch9wavefront6targetE0EEEvT1_
		.amdhsa_group_segment_fixed_size 0
		.amdhsa_private_segment_fixed_size 0
		.amdhsa_kernarg_size 136
		.amdhsa_user_sgpr_count 2
		.amdhsa_user_sgpr_dispatch_ptr 0
		.amdhsa_user_sgpr_queue_ptr 0
		.amdhsa_user_sgpr_kernarg_segment_ptr 1
		.amdhsa_user_sgpr_dispatch_id 0
		.amdhsa_user_sgpr_kernarg_preload_length 0
		.amdhsa_user_sgpr_kernarg_preload_offset 0
		.amdhsa_user_sgpr_private_segment_size 0
		.amdhsa_wavefront_size32 1
		.amdhsa_uses_dynamic_stack 0
		.amdhsa_enable_private_segment 0
		.amdhsa_system_sgpr_workgroup_id_x 1
		.amdhsa_system_sgpr_workgroup_id_y 0
		.amdhsa_system_sgpr_workgroup_id_z 0
		.amdhsa_system_sgpr_workgroup_info 0
		.amdhsa_system_vgpr_workitem_id 0
		.amdhsa_next_free_vgpr 1
		.amdhsa_next_free_sgpr 1
		.amdhsa_named_barrier_count 0
		.amdhsa_reserve_vcc 0
		.amdhsa_float_round_mode_32 0
		.amdhsa_float_round_mode_16_64 0
		.amdhsa_float_denorm_mode_32 3
		.amdhsa_float_denorm_mode_16_64 3
		.amdhsa_fp16_overflow 0
		.amdhsa_memory_ordered 1
		.amdhsa_forward_progress 1
		.amdhsa_inst_pref_size 0
		.amdhsa_round_robin_scheduling 0
		.amdhsa_exception_fp_ieee_invalid_op 0
		.amdhsa_exception_fp_denorm_src 0
		.amdhsa_exception_fp_ieee_div_zero 0
		.amdhsa_exception_fp_ieee_overflow 0
		.amdhsa_exception_fp_ieee_underflow 0
		.amdhsa_exception_fp_ieee_inexact 0
		.amdhsa_exception_int_div_zero 0
	.end_amdhsa_kernel
	.section	.text._ZN7rocprim17ROCPRIM_400000_NS6detail17trampoline_kernelINS0_14default_configENS1_25partition_config_selectorILNS1_17partition_subalgoE9EllbEEZZNS1_14partition_implILS5_9ELb0ES3_jPlS8_PNS0_10empty_typeENS0_5tupleIJS8_S9_EEENSB_IJS8_SA_EEENS0_18inequality_wrapperIZN2at6native12_GLOBAL__N_124unique_dim_cuda_templateIaEESt5tupleIJNSF_6TensorESK_SK_EERKSK_lbbbEUlllE0_EEPmJS9_EEE10hipError_tPvRmT3_T4_T5_T6_T7_T9_mT8_P12ihipStream_tbDpT10_ENKUlT_T0_E_clISt17integral_constantIbLb0EES19_IbLb1EEEEDaS15_S16_EUlS15_E_NS1_11comp_targetILNS1_3genE4ELNS1_11target_archE910ELNS1_3gpuE8ELNS1_3repE0EEENS1_30default_config_static_selectorELNS0_4arch9wavefront6targetE0EEEvT1_,"axG",@progbits,_ZN7rocprim17ROCPRIM_400000_NS6detail17trampoline_kernelINS0_14default_configENS1_25partition_config_selectorILNS1_17partition_subalgoE9EllbEEZZNS1_14partition_implILS5_9ELb0ES3_jPlS8_PNS0_10empty_typeENS0_5tupleIJS8_S9_EEENSB_IJS8_SA_EEENS0_18inequality_wrapperIZN2at6native12_GLOBAL__N_124unique_dim_cuda_templateIaEESt5tupleIJNSF_6TensorESK_SK_EERKSK_lbbbEUlllE0_EEPmJS9_EEE10hipError_tPvRmT3_T4_T5_T6_T7_T9_mT8_P12ihipStream_tbDpT10_ENKUlT_T0_E_clISt17integral_constantIbLb0EES19_IbLb1EEEEDaS15_S16_EUlS15_E_NS1_11comp_targetILNS1_3genE4ELNS1_11target_archE910ELNS1_3gpuE8ELNS1_3repE0EEENS1_30default_config_static_selectorELNS0_4arch9wavefront6targetE0EEEvT1_,comdat
.Lfunc_end377:
	.size	_ZN7rocprim17ROCPRIM_400000_NS6detail17trampoline_kernelINS0_14default_configENS1_25partition_config_selectorILNS1_17partition_subalgoE9EllbEEZZNS1_14partition_implILS5_9ELb0ES3_jPlS8_PNS0_10empty_typeENS0_5tupleIJS8_S9_EEENSB_IJS8_SA_EEENS0_18inequality_wrapperIZN2at6native12_GLOBAL__N_124unique_dim_cuda_templateIaEESt5tupleIJNSF_6TensorESK_SK_EERKSK_lbbbEUlllE0_EEPmJS9_EEE10hipError_tPvRmT3_T4_T5_T6_T7_T9_mT8_P12ihipStream_tbDpT10_ENKUlT_T0_E_clISt17integral_constantIbLb0EES19_IbLb1EEEEDaS15_S16_EUlS15_E_NS1_11comp_targetILNS1_3genE4ELNS1_11target_archE910ELNS1_3gpuE8ELNS1_3repE0EEENS1_30default_config_static_selectorELNS0_4arch9wavefront6targetE0EEEvT1_, .Lfunc_end377-_ZN7rocprim17ROCPRIM_400000_NS6detail17trampoline_kernelINS0_14default_configENS1_25partition_config_selectorILNS1_17partition_subalgoE9EllbEEZZNS1_14partition_implILS5_9ELb0ES3_jPlS8_PNS0_10empty_typeENS0_5tupleIJS8_S9_EEENSB_IJS8_SA_EEENS0_18inequality_wrapperIZN2at6native12_GLOBAL__N_124unique_dim_cuda_templateIaEESt5tupleIJNSF_6TensorESK_SK_EERKSK_lbbbEUlllE0_EEPmJS9_EEE10hipError_tPvRmT3_T4_T5_T6_T7_T9_mT8_P12ihipStream_tbDpT10_ENKUlT_T0_E_clISt17integral_constantIbLb0EES19_IbLb1EEEEDaS15_S16_EUlS15_E_NS1_11comp_targetILNS1_3genE4ELNS1_11target_archE910ELNS1_3gpuE8ELNS1_3repE0EEENS1_30default_config_static_selectorELNS0_4arch9wavefront6targetE0EEEvT1_
                                        ; -- End function
	.set _ZN7rocprim17ROCPRIM_400000_NS6detail17trampoline_kernelINS0_14default_configENS1_25partition_config_selectorILNS1_17partition_subalgoE9EllbEEZZNS1_14partition_implILS5_9ELb0ES3_jPlS8_PNS0_10empty_typeENS0_5tupleIJS8_S9_EEENSB_IJS8_SA_EEENS0_18inequality_wrapperIZN2at6native12_GLOBAL__N_124unique_dim_cuda_templateIaEESt5tupleIJNSF_6TensorESK_SK_EERKSK_lbbbEUlllE0_EEPmJS9_EEE10hipError_tPvRmT3_T4_T5_T6_T7_T9_mT8_P12ihipStream_tbDpT10_ENKUlT_T0_E_clISt17integral_constantIbLb0EES19_IbLb1EEEEDaS15_S16_EUlS15_E_NS1_11comp_targetILNS1_3genE4ELNS1_11target_archE910ELNS1_3gpuE8ELNS1_3repE0EEENS1_30default_config_static_selectorELNS0_4arch9wavefront6targetE0EEEvT1_.num_vgpr, 0
	.set _ZN7rocprim17ROCPRIM_400000_NS6detail17trampoline_kernelINS0_14default_configENS1_25partition_config_selectorILNS1_17partition_subalgoE9EllbEEZZNS1_14partition_implILS5_9ELb0ES3_jPlS8_PNS0_10empty_typeENS0_5tupleIJS8_S9_EEENSB_IJS8_SA_EEENS0_18inequality_wrapperIZN2at6native12_GLOBAL__N_124unique_dim_cuda_templateIaEESt5tupleIJNSF_6TensorESK_SK_EERKSK_lbbbEUlllE0_EEPmJS9_EEE10hipError_tPvRmT3_T4_T5_T6_T7_T9_mT8_P12ihipStream_tbDpT10_ENKUlT_T0_E_clISt17integral_constantIbLb0EES19_IbLb1EEEEDaS15_S16_EUlS15_E_NS1_11comp_targetILNS1_3genE4ELNS1_11target_archE910ELNS1_3gpuE8ELNS1_3repE0EEENS1_30default_config_static_selectorELNS0_4arch9wavefront6targetE0EEEvT1_.num_agpr, 0
	.set _ZN7rocprim17ROCPRIM_400000_NS6detail17trampoline_kernelINS0_14default_configENS1_25partition_config_selectorILNS1_17partition_subalgoE9EllbEEZZNS1_14partition_implILS5_9ELb0ES3_jPlS8_PNS0_10empty_typeENS0_5tupleIJS8_S9_EEENSB_IJS8_SA_EEENS0_18inequality_wrapperIZN2at6native12_GLOBAL__N_124unique_dim_cuda_templateIaEESt5tupleIJNSF_6TensorESK_SK_EERKSK_lbbbEUlllE0_EEPmJS9_EEE10hipError_tPvRmT3_T4_T5_T6_T7_T9_mT8_P12ihipStream_tbDpT10_ENKUlT_T0_E_clISt17integral_constantIbLb0EES19_IbLb1EEEEDaS15_S16_EUlS15_E_NS1_11comp_targetILNS1_3genE4ELNS1_11target_archE910ELNS1_3gpuE8ELNS1_3repE0EEENS1_30default_config_static_selectorELNS0_4arch9wavefront6targetE0EEEvT1_.numbered_sgpr, 0
	.set _ZN7rocprim17ROCPRIM_400000_NS6detail17trampoline_kernelINS0_14default_configENS1_25partition_config_selectorILNS1_17partition_subalgoE9EllbEEZZNS1_14partition_implILS5_9ELb0ES3_jPlS8_PNS0_10empty_typeENS0_5tupleIJS8_S9_EEENSB_IJS8_SA_EEENS0_18inequality_wrapperIZN2at6native12_GLOBAL__N_124unique_dim_cuda_templateIaEESt5tupleIJNSF_6TensorESK_SK_EERKSK_lbbbEUlllE0_EEPmJS9_EEE10hipError_tPvRmT3_T4_T5_T6_T7_T9_mT8_P12ihipStream_tbDpT10_ENKUlT_T0_E_clISt17integral_constantIbLb0EES19_IbLb1EEEEDaS15_S16_EUlS15_E_NS1_11comp_targetILNS1_3genE4ELNS1_11target_archE910ELNS1_3gpuE8ELNS1_3repE0EEENS1_30default_config_static_selectorELNS0_4arch9wavefront6targetE0EEEvT1_.num_named_barrier, 0
	.set _ZN7rocprim17ROCPRIM_400000_NS6detail17trampoline_kernelINS0_14default_configENS1_25partition_config_selectorILNS1_17partition_subalgoE9EllbEEZZNS1_14partition_implILS5_9ELb0ES3_jPlS8_PNS0_10empty_typeENS0_5tupleIJS8_S9_EEENSB_IJS8_SA_EEENS0_18inequality_wrapperIZN2at6native12_GLOBAL__N_124unique_dim_cuda_templateIaEESt5tupleIJNSF_6TensorESK_SK_EERKSK_lbbbEUlllE0_EEPmJS9_EEE10hipError_tPvRmT3_T4_T5_T6_T7_T9_mT8_P12ihipStream_tbDpT10_ENKUlT_T0_E_clISt17integral_constantIbLb0EES19_IbLb1EEEEDaS15_S16_EUlS15_E_NS1_11comp_targetILNS1_3genE4ELNS1_11target_archE910ELNS1_3gpuE8ELNS1_3repE0EEENS1_30default_config_static_selectorELNS0_4arch9wavefront6targetE0EEEvT1_.private_seg_size, 0
	.set _ZN7rocprim17ROCPRIM_400000_NS6detail17trampoline_kernelINS0_14default_configENS1_25partition_config_selectorILNS1_17partition_subalgoE9EllbEEZZNS1_14partition_implILS5_9ELb0ES3_jPlS8_PNS0_10empty_typeENS0_5tupleIJS8_S9_EEENSB_IJS8_SA_EEENS0_18inequality_wrapperIZN2at6native12_GLOBAL__N_124unique_dim_cuda_templateIaEESt5tupleIJNSF_6TensorESK_SK_EERKSK_lbbbEUlllE0_EEPmJS9_EEE10hipError_tPvRmT3_T4_T5_T6_T7_T9_mT8_P12ihipStream_tbDpT10_ENKUlT_T0_E_clISt17integral_constantIbLb0EES19_IbLb1EEEEDaS15_S16_EUlS15_E_NS1_11comp_targetILNS1_3genE4ELNS1_11target_archE910ELNS1_3gpuE8ELNS1_3repE0EEENS1_30default_config_static_selectorELNS0_4arch9wavefront6targetE0EEEvT1_.uses_vcc, 0
	.set _ZN7rocprim17ROCPRIM_400000_NS6detail17trampoline_kernelINS0_14default_configENS1_25partition_config_selectorILNS1_17partition_subalgoE9EllbEEZZNS1_14partition_implILS5_9ELb0ES3_jPlS8_PNS0_10empty_typeENS0_5tupleIJS8_S9_EEENSB_IJS8_SA_EEENS0_18inequality_wrapperIZN2at6native12_GLOBAL__N_124unique_dim_cuda_templateIaEESt5tupleIJNSF_6TensorESK_SK_EERKSK_lbbbEUlllE0_EEPmJS9_EEE10hipError_tPvRmT3_T4_T5_T6_T7_T9_mT8_P12ihipStream_tbDpT10_ENKUlT_T0_E_clISt17integral_constantIbLb0EES19_IbLb1EEEEDaS15_S16_EUlS15_E_NS1_11comp_targetILNS1_3genE4ELNS1_11target_archE910ELNS1_3gpuE8ELNS1_3repE0EEENS1_30default_config_static_selectorELNS0_4arch9wavefront6targetE0EEEvT1_.uses_flat_scratch, 0
	.set _ZN7rocprim17ROCPRIM_400000_NS6detail17trampoline_kernelINS0_14default_configENS1_25partition_config_selectorILNS1_17partition_subalgoE9EllbEEZZNS1_14partition_implILS5_9ELb0ES3_jPlS8_PNS0_10empty_typeENS0_5tupleIJS8_S9_EEENSB_IJS8_SA_EEENS0_18inequality_wrapperIZN2at6native12_GLOBAL__N_124unique_dim_cuda_templateIaEESt5tupleIJNSF_6TensorESK_SK_EERKSK_lbbbEUlllE0_EEPmJS9_EEE10hipError_tPvRmT3_T4_T5_T6_T7_T9_mT8_P12ihipStream_tbDpT10_ENKUlT_T0_E_clISt17integral_constantIbLb0EES19_IbLb1EEEEDaS15_S16_EUlS15_E_NS1_11comp_targetILNS1_3genE4ELNS1_11target_archE910ELNS1_3gpuE8ELNS1_3repE0EEENS1_30default_config_static_selectorELNS0_4arch9wavefront6targetE0EEEvT1_.has_dyn_sized_stack, 0
	.set _ZN7rocprim17ROCPRIM_400000_NS6detail17trampoline_kernelINS0_14default_configENS1_25partition_config_selectorILNS1_17partition_subalgoE9EllbEEZZNS1_14partition_implILS5_9ELb0ES3_jPlS8_PNS0_10empty_typeENS0_5tupleIJS8_S9_EEENSB_IJS8_SA_EEENS0_18inequality_wrapperIZN2at6native12_GLOBAL__N_124unique_dim_cuda_templateIaEESt5tupleIJNSF_6TensorESK_SK_EERKSK_lbbbEUlllE0_EEPmJS9_EEE10hipError_tPvRmT3_T4_T5_T6_T7_T9_mT8_P12ihipStream_tbDpT10_ENKUlT_T0_E_clISt17integral_constantIbLb0EES19_IbLb1EEEEDaS15_S16_EUlS15_E_NS1_11comp_targetILNS1_3genE4ELNS1_11target_archE910ELNS1_3gpuE8ELNS1_3repE0EEENS1_30default_config_static_selectorELNS0_4arch9wavefront6targetE0EEEvT1_.has_recursion, 0
	.set _ZN7rocprim17ROCPRIM_400000_NS6detail17trampoline_kernelINS0_14default_configENS1_25partition_config_selectorILNS1_17partition_subalgoE9EllbEEZZNS1_14partition_implILS5_9ELb0ES3_jPlS8_PNS0_10empty_typeENS0_5tupleIJS8_S9_EEENSB_IJS8_SA_EEENS0_18inequality_wrapperIZN2at6native12_GLOBAL__N_124unique_dim_cuda_templateIaEESt5tupleIJNSF_6TensorESK_SK_EERKSK_lbbbEUlllE0_EEPmJS9_EEE10hipError_tPvRmT3_T4_T5_T6_T7_T9_mT8_P12ihipStream_tbDpT10_ENKUlT_T0_E_clISt17integral_constantIbLb0EES19_IbLb1EEEEDaS15_S16_EUlS15_E_NS1_11comp_targetILNS1_3genE4ELNS1_11target_archE910ELNS1_3gpuE8ELNS1_3repE0EEENS1_30default_config_static_selectorELNS0_4arch9wavefront6targetE0EEEvT1_.has_indirect_call, 0
	.section	.AMDGPU.csdata,"",@progbits
; Kernel info:
; codeLenInByte = 0
; TotalNumSgprs: 0
; NumVgprs: 0
; ScratchSize: 0
; MemoryBound: 0
; FloatMode: 240
; IeeeMode: 1
; LDSByteSize: 0 bytes/workgroup (compile time only)
; SGPRBlocks: 0
; VGPRBlocks: 0
; NumSGPRsForWavesPerEU: 1
; NumVGPRsForWavesPerEU: 1
; NamedBarCnt: 0
; Occupancy: 16
; WaveLimiterHint : 0
; COMPUTE_PGM_RSRC2:SCRATCH_EN: 0
; COMPUTE_PGM_RSRC2:USER_SGPR: 2
; COMPUTE_PGM_RSRC2:TRAP_HANDLER: 0
; COMPUTE_PGM_RSRC2:TGID_X_EN: 1
; COMPUTE_PGM_RSRC2:TGID_Y_EN: 0
; COMPUTE_PGM_RSRC2:TGID_Z_EN: 0
; COMPUTE_PGM_RSRC2:TIDIG_COMP_CNT: 0
	.section	.text._ZN7rocprim17ROCPRIM_400000_NS6detail17trampoline_kernelINS0_14default_configENS1_25partition_config_selectorILNS1_17partition_subalgoE9EllbEEZZNS1_14partition_implILS5_9ELb0ES3_jPlS8_PNS0_10empty_typeENS0_5tupleIJS8_S9_EEENSB_IJS8_SA_EEENS0_18inequality_wrapperIZN2at6native12_GLOBAL__N_124unique_dim_cuda_templateIaEESt5tupleIJNSF_6TensorESK_SK_EERKSK_lbbbEUlllE0_EEPmJS9_EEE10hipError_tPvRmT3_T4_T5_T6_T7_T9_mT8_P12ihipStream_tbDpT10_ENKUlT_T0_E_clISt17integral_constantIbLb0EES19_IbLb1EEEEDaS15_S16_EUlS15_E_NS1_11comp_targetILNS1_3genE3ELNS1_11target_archE908ELNS1_3gpuE7ELNS1_3repE0EEENS1_30default_config_static_selectorELNS0_4arch9wavefront6targetE0EEEvT1_,"axG",@progbits,_ZN7rocprim17ROCPRIM_400000_NS6detail17trampoline_kernelINS0_14default_configENS1_25partition_config_selectorILNS1_17partition_subalgoE9EllbEEZZNS1_14partition_implILS5_9ELb0ES3_jPlS8_PNS0_10empty_typeENS0_5tupleIJS8_S9_EEENSB_IJS8_SA_EEENS0_18inequality_wrapperIZN2at6native12_GLOBAL__N_124unique_dim_cuda_templateIaEESt5tupleIJNSF_6TensorESK_SK_EERKSK_lbbbEUlllE0_EEPmJS9_EEE10hipError_tPvRmT3_T4_T5_T6_T7_T9_mT8_P12ihipStream_tbDpT10_ENKUlT_T0_E_clISt17integral_constantIbLb0EES19_IbLb1EEEEDaS15_S16_EUlS15_E_NS1_11comp_targetILNS1_3genE3ELNS1_11target_archE908ELNS1_3gpuE7ELNS1_3repE0EEENS1_30default_config_static_selectorELNS0_4arch9wavefront6targetE0EEEvT1_,comdat
	.globl	_ZN7rocprim17ROCPRIM_400000_NS6detail17trampoline_kernelINS0_14default_configENS1_25partition_config_selectorILNS1_17partition_subalgoE9EllbEEZZNS1_14partition_implILS5_9ELb0ES3_jPlS8_PNS0_10empty_typeENS0_5tupleIJS8_S9_EEENSB_IJS8_SA_EEENS0_18inequality_wrapperIZN2at6native12_GLOBAL__N_124unique_dim_cuda_templateIaEESt5tupleIJNSF_6TensorESK_SK_EERKSK_lbbbEUlllE0_EEPmJS9_EEE10hipError_tPvRmT3_T4_T5_T6_T7_T9_mT8_P12ihipStream_tbDpT10_ENKUlT_T0_E_clISt17integral_constantIbLb0EES19_IbLb1EEEEDaS15_S16_EUlS15_E_NS1_11comp_targetILNS1_3genE3ELNS1_11target_archE908ELNS1_3gpuE7ELNS1_3repE0EEENS1_30default_config_static_selectorELNS0_4arch9wavefront6targetE0EEEvT1_ ; -- Begin function _ZN7rocprim17ROCPRIM_400000_NS6detail17trampoline_kernelINS0_14default_configENS1_25partition_config_selectorILNS1_17partition_subalgoE9EllbEEZZNS1_14partition_implILS5_9ELb0ES3_jPlS8_PNS0_10empty_typeENS0_5tupleIJS8_S9_EEENSB_IJS8_SA_EEENS0_18inequality_wrapperIZN2at6native12_GLOBAL__N_124unique_dim_cuda_templateIaEESt5tupleIJNSF_6TensorESK_SK_EERKSK_lbbbEUlllE0_EEPmJS9_EEE10hipError_tPvRmT3_T4_T5_T6_T7_T9_mT8_P12ihipStream_tbDpT10_ENKUlT_T0_E_clISt17integral_constantIbLb0EES19_IbLb1EEEEDaS15_S16_EUlS15_E_NS1_11comp_targetILNS1_3genE3ELNS1_11target_archE908ELNS1_3gpuE7ELNS1_3repE0EEENS1_30default_config_static_selectorELNS0_4arch9wavefront6targetE0EEEvT1_
	.p2align	8
	.type	_ZN7rocprim17ROCPRIM_400000_NS6detail17trampoline_kernelINS0_14default_configENS1_25partition_config_selectorILNS1_17partition_subalgoE9EllbEEZZNS1_14partition_implILS5_9ELb0ES3_jPlS8_PNS0_10empty_typeENS0_5tupleIJS8_S9_EEENSB_IJS8_SA_EEENS0_18inequality_wrapperIZN2at6native12_GLOBAL__N_124unique_dim_cuda_templateIaEESt5tupleIJNSF_6TensorESK_SK_EERKSK_lbbbEUlllE0_EEPmJS9_EEE10hipError_tPvRmT3_T4_T5_T6_T7_T9_mT8_P12ihipStream_tbDpT10_ENKUlT_T0_E_clISt17integral_constantIbLb0EES19_IbLb1EEEEDaS15_S16_EUlS15_E_NS1_11comp_targetILNS1_3genE3ELNS1_11target_archE908ELNS1_3gpuE7ELNS1_3repE0EEENS1_30default_config_static_selectorELNS0_4arch9wavefront6targetE0EEEvT1_,@function
_ZN7rocprim17ROCPRIM_400000_NS6detail17trampoline_kernelINS0_14default_configENS1_25partition_config_selectorILNS1_17partition_subalgoE9EllbEEZZNS1_14partition_implILS5_9ELb0ES3_jPlS8_PNS0_10empty_typeENS0_5tupleIJS8_S9_EEENSB_IJS8_SA_EEENS0_18inequality_wrapperIZN2at6native12_GLOBAL__N_124unique_dim_cuda_templateIaEESt5tupleIJNSF_6TensorESK_SK_EERKSK_lbbbEUlllE0_EEPmJS9_EEE10hipError_tPvRmT3_T4_T5_T6_T7_T9_mT8_P12ihipStream_tbDpT10_ENKUlT_T0_E_clISt17integral_constantIbLb0EES19_IbLb1EEEEDaS15_S16_EUlS15_E_NS1_11comp_targetILNS1_3genE3ELNS1_11target_archE908ELNS1_3gpuE7ELNS1_3repE0EEENS1_30default_config_static_selectorELNS0_4arch9wavefront6targetE0EEEvT1_: ; @_ZN7rocprim17ROCPRIM_400000_NS6detail17trampoline_kernelINS0_14default_configENS1_25partition_config_selectorILNS1_17partition_subalgoE9EllbEEZZNS1_14partition_implILS5_9ELb0ES3_jPlS8_PNS0_10empty_typeENS0_5tupleIJS8_S9_EEENSB_IJS8_SA_EEENS0_18inequality_wrapperIZN2at6native12_GLOBAL__N_124unique_dim_cuda_templateIaEESt5tupleIJNSF_6TensorESK_SK_EERKSK_lbbbEUlllE0_EEPmJS9_EEE10hipError_tPvRmT3_T4_T5_T6_T7_T9_mT8_P12ihipStream_tbDpT10_ENKUlT_T0_E_clISt17integral_constantIbLb0EES19_IbLb1EEEEDaS15_S16_EUlS15_E_NS1_11comp_targetILNS1_3genE3ELNS1_11target_archE908ELNS1_3gpuE7ELNS1_3repE0EEENS1_30default_config_static_selectorELNS0_4arch9wavefront6targetE0EEEvT1_
; %bb.0:
	.section	.rodata,"a",@progbits
	.p2align	6, 0x0
	.amdhsa_kernel _ZN7rocprim17ROCPRIM_400000_NS6detail17trampoline_kernelINS0_14default_configENS1_25partition_config_selectorILNS1_17partition_subalgoE9EllbEEZZNS1_14partition_implILS5_9ELb0ES3_jPlS8_PNS0_10empty_typeENS0_5tupleIJS8_S9_EEENSB_IJS8_SA_EEENS0_18inequality_wrapperIZN2at6native12_GLOBAL__N_124unique_dim_cuda_templateIaEESt5tupleIJNSF_6TensorESK_SK_EERKSK_lbbbEUlllE0_EEPmJS9_EEE10hipError_tPvRmT3_T4_T5_T6_T7_T9_mT8_P12ihipStream_tbDpT10_ENKUlT_T0_E_clISt17integral_constantIbLb0EES19_IbLb1EEEEDaS15_S16_EUlS15_E_NS1_11comp_targetILNS1_3genE3ELNS1_11target_archE908ELNS1_3gpuE7ELNS1_3repE0EEENS1_30default_config_static_selectorELNS0_4arch9wavefront6targetE0EEEvT1_
		.amdhsa_group_segment_fixed_size 0
		.amdhsa_private_segment_fixed_size 0
		.amdhsa_kernarg_size 136
		.amdhsa_user_sgpr_count 2
		.amdhsa_user_sgpr_dispatch_ptr 0
		.amdhsa_user_sgpr_queue_ptr 0
		.amdhsa_user_sgpr_kernarg_segment_ptr 1
		.amdhsa_user_sgpr_dispatch_id 0
		.amdhsa_user_sgpr_kernarg_preload_length 0
		.amdhsa_user_sgpr_kernarg_preload_offset 0
		.amdhsa_user_sgpr_private_segment_size 0
		.amdhsa_wavefront_size32 1
		.amdhsa_uses_dynamic_stack 0
		.amdhsa_enable_private_segment 0
		.amdhsa_system_sgpr_workgroup_id_x 1
		.amdhsa_system_sgpr_workgroup_id_y 0
		.amdhsa_system_sgpr_workgroup_id_z 0
		.amdhsa_system_sgpr_workgroup_info 0
		.amdhsa_system_vgpr_workitem_id 0
		.amdhsa_next_free_vgpr 1
		.amdhsa_next_free_sgpr 1
		.amdhsa_named_barrier_count 0
		.amdhsa_reserve_vcc 0
		.amdhsa_float_round_mode_32 0
		.amdhsa_float_round_mode_16_64 0
		.amdhsa_float_denorm_mode_32 3
		.amdhsa_float_denorm_mode_16_64 3
		.amdhsa_fp16_overflow 0
		.amdhsa_memory_ordered 1
		.amdhsa_forward_progress 1
		.amdhsa_inst_pref_size 0
		.amdhsa_round_robin_scheduling 0
		.amdhsa_exception_fp_ieee_invalid_op 0
		.amdhsa_exception_fp_denorm_src 0
		.amdhsa_exception_fp_ieee_div_zero 0
		.amdhsa_exception_fp_ieee_overflow 0
		.amdhsa_exception_fp_ieee_underflow 0
		.amdhsa_exception_fp_ieee_inexact 0
		.amdhsa_exception_int_div_zero 0
	.end_amdhsa_kernel
	.section	.text._ZN7rocprim17ROCPRIM_400000_NS6detail17trampoline_kernelINS0_14default_configENS1_25partition_config_selectorILNS1_17partition_subalgoE9EllbEEZZNS1_14partition_implILS5_9ELb0ES3_jPlS8_PNS0_10empty_typeENS0_5tupleIJS8_S9_EEENSB_IJS8_SA_EEENS0_18inequality_wrapperIZN2at6native12_GLOBAL__N_124unique_dim_cuda_templateIaEESt5tupleIJNSF_6TensorESK_SK_EERKSK_lbbbEUlllE0_EEPmJS9_EEE10hipError_tPvRmT3_T4_T5_T6_T7_T9_mT8_P12ihipStream_tbDpT10_ENKUlT_T0_E_clISt17integral_constantIbLb0EES19_IbLb1EEEEDaS15_S16_EUlS15_E_NS1_11comp_targetILNS1_3genE3ELNS1_11target_archE908ELNS1_3gpuE7ELNS1_3repE0EEENS1_30default_config_static_selectorELNS0_4arch9wavefront6targetE0EEEvT1_,"axG",@progbits,_ZN7rocprim17ROCPRIM_400000_NS6detail17trampoline_kernelINS0_14default_configENS1_25partition_config_selectorILNS1_17partition_subalgoE9EllbEEZZNS1_14partition_implILS5_9ELb0ES3_jPlS8_PNS0_10empty_typeENS0_5tupleIJS8_S9_EEENSB_IJS8_SA_EEENS0_18inequality_wrapperIZN2at6native12_GLOBAL__N_124unique_dim_cuda_templateIaEESt5tupleIJNSF_6TensorESK_SK_EERKSK_lbbbEUlllE0_EEPmJS9_EEE10hipError_tPvRmT3_T4_T5_T6_T7_T9_mT8_P12ihipStream_tbDpT10_ENKUlT_T0_E_clISt17integral_constantIbLb0EES19_IbLb1EEEEDaS15_S16_EUlS15_E_NS1_11comp_targetILNS1_3genE3ELNS1_11target_archE908ELNS1_3gpuE7ELNS1_3repE0EEENS1_30default_config_static_selectorELNS0_4arch9wavefront6targetE0EEEvT1_,comdat
.Lfunc_end378:
	.size	_ZN7rocprim17ROCPRIM_400000_NS6detail17trampoline_kernelINS0_14default_configENS1_25partition_config_selectorILNS1_17partition_subalgoE9EllbEEZZNS1_14partition_implILS5_9ELb0ES3_jPlS8_PNS0_10empty_typeENS0_5tupleIJS8_S9_EEENSB_IJS8_SA_EEENS0_18inequality_wrapperIZN2at6native12_GLOBAL__N_124unique_dim_cuda_templateIaEESt5tupleIJNSF_6TensorESK_SK_EERKSK_lbbbEUlllE0_EEPmJS9_EEE10hipError_tPvRmT3_T4_T5_T6_T7_T9_mT8_P12ihipStream_tbDpT10_ENKUlT_T0_E_clISt17integral_constantIbLb0EES19_IbLb1EEEEDaS15_S16_EUlS15_E_NS1_11comp_targetILNS1_3genE3ELNS1_11target_archE908ELNS1_3gpuE7ELNS1_3repE0EEENS1_30default_config_static_selectorELNS0_4arch9wavefront6targetE0EEEvT1_, .Lfunc_end378-_ZN7rocprim17ROCPRIM_400000_NS6detail17trampoline_kernelINS0_14default_configENS1_25partition_config_selectorILNS1_17partition_subalgoE9EllbEEZZNS1_14partition_implILS5_9ELb0ES3_jPlS8_PNS0_10empty_typeENS0_5tupleIJS8_S9_EEENSB_IJS8_SA_EEENS0_18inequality_wrapperIZN2at6native12_GLOBAL__N_124unique_dim_cuda_templateIaEESt5tupleIJNSF_6TensorESK_SK_EERKSK_lbbbEUlllE0_EEPmJS9_EEE10hipError_tPvRmT3_T4_T5_T6_T7_T9_mT8_P12ihipStream_tbDpT10_ENKUlT_T0_E_clISt17integral_constantIbLb0EES19_IbLb1EEEEDaS15_S16_EUlS15_E_NS1_11comp_targetILNS1_3genE3ELNS1_11target_archE908ELNS1_3gpuE7ELNS1_3repE0EEENS1_30default_config_static_selectorELNS0_4arch9wavefront6targetE0EEEvT1_
                                        ; -- End function
	.set _ZN7rocprim17ROCPRIM_400000_NS6detail17trampoline_kernelINS0_14default_configENS1_25partition_config_selectorILNS1_17partition_subalgoE9EllbEEZZNS1_14partition_implILS5_9ELb0ES3_jPlS8_PNS0_10empty_typeENS0_5tupleIJS8_S9_EEENSB_IJS8_SA_EEENS0_18inequality_wrapperIZN2at6native12_GLOBAL__N_124unique_dim_cuda_templateIaEESt5tupleIJNSF_6TensorESK_SK_EERKSK_lbbbEUlllE0_EEPmJS9_EEE10hipError_tPvRmT3_T4_T5_T6_T7_T9_mT8_P12ihipStream_tbDpT10_ENKUlT_T0_E_clISt17integral_constantIbLb0EES19_IbLb1EEEEDaS15_S16_EUlS15_E_NS1_11comp_targetILNS1_3genE3ELNS1_11target_archE908ELNS1_3gpuE7ELNS1_3repE0EEENS1_30default_config_static_selectorELNS0_4arch9wavefront6targetE0EEEvT1_.num_vgpr, 0
	.set _ZN7rocprim17ROCPRIM_400000_NS6detail17trampoline_kernelINS0_14default_configENS1_25partition_config_selectorILNS1_17partition_subalgoE9EllbEEZZNS1_14partition_implILS5_9ELb0ES3_jPlS8_PNS0_10empty_typeENS0_5tupleIJS8_S9_EEENSB_IJS8_SA_EEENS0_18inequality_wrapperIZN2at6native12_GLOBAL__N_124unique_dim_cuda_templateIaEESt5tupleIJNSF_6TensorESK_SK_EERKSK_lbbbEUlllE0_EEPmJS9_EEE10hipError_tPvRmT3_T4_T5_T6_T7_T9_mT8_P12ihipStream_tbDpT10_ENKUlT_T0_E_clISt17integral_constantIbLb0EES19_IbLb1EEEEDaS15_S16_EUlS15_E_NS1_11comp_targetILNS1_3genE3ELNS1_11target_archE908ELNS1_3gpuE7ELNS1_3repE0EEENS1_30default_config_static_selectorELNS0_4arch9wavefront6targetE0EEEvT1_.num_agpr, 0
	.set _ZN7rocprim17ROCPRIM_400000_NS6detail17trampoline_kernelINS0_14default_configENS1_25partition_config_selectorILNS1_17partition_subalgoE9EllbEEZZNS1_14partition_implILS5_9ELb0ES3_jPlS8_PNS0_10empty_typeENS0_5tupleIJS8_S9_EEENSB_IJS8_SA_EEENS0_18inequality_wrapperIZN2at6native12_GLOBAL__N_124unique_dim_cuda_templateIaEESt5tupleIJNSF_6TensorESK_SK_EERKSK_lbbbEUlllE0_EEPmJS9_EEE10hipError_tPvRmT3_T4_T5_T6_T7_T9_mT8_P12ihipStream_tbDpT10_ENKUlT_T0_E_clISt17integral_constantIbLb0EES19_IbLb1EEEEDaS15_S16_EUlS15_E_NS1_11comp_targetILNS1_3genE3ELNS1_11target_archE908ELNS1_3gpuE7ELNS1_3repE0EEENS1_30default_config_static_selectorELNS0_4arch9wavefront6targetE0EEEvT1_.numbered_sgpr, 0
	.set _ZN7rocprim17ROCPRIM_400000_NS6detail17trampoline_kernelINS0_14default_configENS1_25partition_config_selectorILNS1_17partition_subalgoE9EllbEEZZNS1_14partition_implILS5_9ELb0ES3_jPlS8_PNS0_10empty_typeENS0_5tupleIJS8_S9_EEENSB_IJS8_SA_EEENS0_18inequality_wrapperIZN2at6native12_GLOBAL__N_124unique_dim_cuda_templateIaEESt5tupleIJNSF_6TensorESK_SK_EERKSK_lbbbEUlllE0_EEPmJS9_EEE10hipError_tPvRmT3_T4_T5_T6_T7_T9_mT8_P12ihipStream_tbDpT10_ENKUlT_T0_E_clISt17integral_constantIbLb0EES19_IbLb1EEEEDaS15_S16_EUlS15_E_NS1_11comp_targetILNS1_3genE3ELNS1_11target_archE908ELNS1_3gpuE7ELNS1_3repE0EEENS1_30default_config_static_selectorELNS0_4arch9wavefront6targetE0EEEvT1_.num_named_barrier, 0
	.set _ZN7rocprim17ROCPRIM_400000_NS6detail17trampoline_kernelINS0_14default_configENS1_25partition_config_selectorILNS1_17partition_subalgoE9EllbEEZZNS1_14partition_implILS5_9ELb0ES3_jPlS8_PNS0_10empty_typeENS0_5tupleIJS8_S9_EEENSB_IJS8_SA_EEENS0_18inequality_wrapperIZN2at6native12_GLOBAL__N_124unique_dim_cuda_templateIaEESt5tupleIJNSF_6TensorESK_SK_EERKSK_lbbbEUlllE0_EEPmJS9_EEE10hipError_tPvRmT3_T4_T5_T6_T7_T9_mT8_P12ihipStream_tbDpT10_ENKUlT_T0_E_clISt17integral_constantIbLb0EES19_IbLb1EEEEDaS15_S16_EUlS15_E_NS1_11comp_targetILNS1_3genE3ELNS1_11target_archE908ELNS1_3gpuE7ELNS1_3repE0EEENS1_30default_config_static_selectorELNS0_4arch9wavefront6targetE0EEEvT1_.private_seg_size, 0
	.set _ZN7rocprim17ROCPRIM_400000_NS6detail17trampoline_kernelINS0_14default_configENS1_25partition_config_selectorILNS1_17partition_subalgoE9EllbEEZZNS1_14partition_implILS5_9ELb0ES3_jPlS8_PNS0_10empty_typeENS0_5tupleIJS8_S9_EEENSB_IJS8_SA_EEENS0_18inequality_wrapperIZN2at6native12_GLOBAL__N_124unique_dim_cuda_templateIaEESt5tupleIJNSF_6TensorESK_SK_EERKSK_lbbbEUlllE0_EEPmJS9_EEE10hipError_tPvRmT3_T4_T5_T6_T7_T9_mT8_P12ihipStream_tbDpT10_ENKUlT_T0_E_clISt17integral_constantIbLb0EES19_IbLb1EEEEDaS15_S16_EUlS15_E_NS1_11comp_targetILNS1_3genE3ELNS1_11target_archE908ELNS1_3gpuE7ELNS1_3repE0EEENS1_30default_config_static_selectorELNS0_4arch9wavefront6targetE0EEEvT1_.uses_vcc, 0
	.set _ZN7rocprim17ROCPRIM_400000_NS6detail17trampoline_kernelINS0_14default_configENS1_25partition_config_selectorILNS1_17partition_subalgoE9EllbEEZZNS1_14partition_implILS5_9ELb0ES3_jPlS8_PNS0_10empty_typeENS0_5tupleIJS8_S9_EEENSB_IJS8_SA_EEENS0_18inequality_wrapperIZN2at6native12_GLOBAL__N_124unique_dim_cuda_templateIaEESt5tupleIJNSF_6TensorESK_SK_EERKSK_lbbbEUlllE0_EEPmJS9_EEE10hipError_tPvRmT3_T4_T5_T6_T7_T9_mT8_P12ihipStream_tbDpT10_ENKUlT_T0_E_clISt17integral_constantIbLb0EES19_IbLb1EEEEDaS15_S16_EUlS15_E_NS1_11comp_targetILNS1_3genE3ELNS1_11target_archE908ELNS1_3gpuE7ELNS1_3repE0EEENS1_30default_config_static_selectorELNS0_4arch9wavefront6targetE0EEEvT1_.uses_flat_scratch, 0
	.set _ZN7rocprim17ROCPRIM_400000_NS6detail17trampoline_kernelINS0_14default_configENS1_25partition_config_selectorILNS1_17partition_subalgoE9EllbEEZZNS1_14partition_implILS5_9ELb0ES3_jPlS8_PNS0_10empty_typeENS0_5tupleIJS8_S9_EEENSB_IJS8_SA_EEENS0_18inequality_wrapperIZN2at6native12_GLOBAL__N_124unique_dim_cuda_templateIaEESt5tupleIJNSF_6TensorESK_SK_EERKSK_lbbbEUlllE0_EEPmJS9_EEE10hipError_tPvRmT3_T4_T5_T6_T7_T9_mT8_P12ihipStream_tbDpT10_ENKUlT_T0_E_clISt17integral_constantIbLb0EES19_IbLb1EEEEDaS15_S16_EUlS15_E_NS1_11comp_targetILNS1_3genE3ELNS1_11target_archE908ELNS1_3gpuE7ELNS1_3repE0EEENS1_30default_config_static_selectorELNS0_4arch9wavefront6targetE0EEEvT1_.has_dyn_sized_stack, 0
	.set _ZN7rocprim17ROCPRIM_400000_NS6detail17trampoline_kernelINS0_14default_configENS1_25partition_config_selectorILNS1_17partition_subalgoE9EllbEEZZNS1_14partition_implILS5_9ELb0ES3_jPlS8_PNS0_10empty_typeENS0_5tupleIJS8_S9_EEENSB_IJS8_SA_EEENS0_18inequality_wrapperIZN2at6native12_GLOBAL__N_124unique_dim_cuda_templateIaEESt5tupleIJNSF_6TensorESK_SK_EERKSK_lbbbEUlllE0_EEPmJS9_EEE10hipError_tPvRmT3_T4_T5_T6_T7_T9_mT8_P12ihipStream_tbDpT10_ENKUlT_T0_E_clISt17integral_constantIbLb0EES19_IbLb1EEEEDaS15_S16_EUlS15_E_NS1_11comp_targetILNS1_3genE3ELNS1_11target_archE908ELNS1_3gpuE7ELNS1_3repE0EEENS1_30default_config_static_selectorELNS0_4arch9wavefront6targetE0EEEvT1_.has_recursion, 0
	.set _ZN7rocprim17ROCPRIM_400000_NS6detail17trampoline_kernelINS0_14default_configENS1_25partition_config_selectorILNS1_17partition_subalgoE9EllbEEZZNS1_14partition_implILS5_9ELb0ES3_jPlS8_PNS0_10empty_typeENS0_5tupleIJS8_S9_EEENSB_IJS8_SA_EEENS0_18inequality_wrapperIZN2at6native12_GLOBAL__N_124unique_dim_cuda_templateIaEESt5tupleIJNSF_6TensorESK_SK_EERKSK_lbbbEUlllE0_EEPmJS9_EEE10hipError_tPvRmT3_T4_T5_T6_T7_T9_mT8_P12ihipStream_tbDpT10_ENKUlT_T0_E_clISt17integral_constantIbLb0EES19_IbLb1EEEEDaS15_S16_EUlS15_E_NS1_11comp_targetILNS1_3genE3ELNS1_11target_archE908ELNS1_3gpuE7ELNS1_3repE0EEENS1_30default_config_static_selectorELNS0_4arch9wavefront6targetE0EEEvT1_.has_indirect_call, 0
	.section	.AMDGPU.csdata,"",@progbits
; Kernel info:
; codeLenInByte = 0
; TotalNumSgprs: 0
; NumVgprs: 0
; ScratchSize: 0
; MemoryBound: 0
; FloatMode: 240
; IeeeMode: 1
; LDSByteSize: 0 bytes/workgroup (compile time only)
; SGPRBlocks: 0
; VGPRBlocks: 0
; NumSGPRsForWavesPerEU: 1
; NumVGPRsForWavesPerEU: 1
; NamedBarCnt: 0
; Occupancy: 16
; WaveLimiterHint : 0
; COMPUTE_PGM_RSRC2:SCRATCH_EN: 0
; COMPUTE_PGM_RSRC2:USER_SGPR: 2
; COMPUTE_PGM_RSRC2:TRAP_HANDLER: 0
; COMPUTE_PGM_RSRC2:TGID_X_EN: 1
; COMPUTE_PGM_RSRC2:TGID_Y_EN: 0
; COMPUTE_PGM_RSRC2:TGID_Z_EN: 0
; COMPUTE_PGM_RSRC2:TIDIG_COMP_CNT: 0
	.section	.text._ZN7rocprim17ROCPRIM_400000_NS6detail17trampoline_kernelINS0_14default_configENS1_25partition_config_selectorILNS1_17partition_subalgoE9EllbEEZZNS1_14partition_implILS5_9ELb0ES3_jPlS8_PNS0_10empty_typeENS0_5tupleIJS8_S9_EEENSB_IJS8_SA_EEENS0_18inequality_wrapperIZN2at6native12_GLOBAL__N_124unique_dim_cuda_templateIaEESt5tupleIJNSF_6TensorESK_SK_EERKSK_lbbbEUlllE0_EEPmJS9_EEE10hipError_tPvRmT3_T4_T5_T6_T7_T9_mT8_P12ihipStream_tbDpT10_ENKUlT_T0_E_clISt17integral_constantIbLb0EES19_IbLb1EEEEDaS15_S16_EUlS15_E_NS1_11comp_targetILNS1_3genE2ELNS1_11target_archE906ELNS1_3gpuE6ELNS1_3repE0EEENS1_30default_config_static_selectorELNS0_4arch9wavefront6targetE0EEEvT1_,"axG",@progbits,_ZN7rocprim17ROCPRIM_400000_NS6detail17trampoline_kernelINS0_14default_configENS1_25partition_config_selectorILNS1_17partition_subalgoE9EllbEEZZNS1_14partition_implILS5_9ELb0ES3_jPlS8_PNS0_10empty_typeENS0_5tupleIJS8_S9_EEENSB_IJS8_SA_EEENS0_18inequality_wrapperIZN2at6native12_GLOBAL__N_124unique_dim_cuda_templateIaEESt5tupleIJNSF_6TensorESK_SK_EERKSK_lbbbEUlllE0_EEPmJS9_EEE10hipError_tPvRmT3_T4_T5_T6_T7_T9_mT8_P12ihipStream_tbDpT10_ENKUlT_T0_E_clISt17integral_constantIbLb0EES19_IbLb1EEEEDaS15_S16_EUlS15_E_NS1_11comp_targetILNS1_3genE2ELNS1_11target_archE906ELNS1_3gpuE6ELNS1_3repE0EEENS1_30default_config_static_selectorELNS0_4arch9wavefront6targetE0EEEvT1_,comdat
	.globl	_ZN7rocprim17ROCPRIM_400000_NS6detail17trampoline_kernelINS0_14default_configENS1_25partition_config_selectorILNS1_17partition_subalgoE9EllbEEZZNS1_14partition_implILS5_9ELb0ES3_jPlS8_PNS0_10empty_typeENS0_5tupleIJS8_S9_EEENSB_IJS8_SA_EEENS0_18inequality_wrapperIZN2at6native12_GLOBAL__N_124unique_dim_cuda_templateIaEESt5tupleIJNSF_6TensorESK_SK_EERKSK_lbbbEUlllE0_EEPmJS9_EEE10hipError_tPvRmT3_T4_T5_T6_T7_T9_mT8_P12ihipStream_tbDpT10_ENKUlT_T0_E_clISt17integral_constantIbLb0EES19_IbLb1EEEEDaS15_S16_EUlS15_E_NS1_11comp_targetILNS1_3genE2ELNS1_11target_archE906ELNS1_3gpuE6ELNS1_3repE0EEENS1_30default_config_static_selectorELNS0_4arch9wavefront6targetE0EEEvT1_ ; -- Begin function _ZN7rocprim17ROCPRIM_400000_NS6detail17trampoline_kernelINS0_14default_configENS1_25partition_config_selectorILNS1_17partition_subalgoE9EllbEEZZNS1_14partition_implILS5_9ELb0ES3_jPlS8_PNS0_10empty_typeENS0_5tupleIJS8_S9_EEENSB_IJS8_SA_EEENS0_18inequality_wrapperIZN2at6native12_GLOBAL__N_124unique_dim_cuda_templateIaEESt5tupleIJNSF_6TensorESK_SK_EERKSK_lbbbEUlllE0_EEPmJS9_EEE10hipError_tPvRmT3_T4_T5_T6_T7_T9_mT8_P12ihipStream_tbDpT10_ENKUlT_T0_E_clISt17integral_constantIbLb0EES19_IbLb1EEEEDaS15_S16_EUlS15_E_NS1_11comp_targetILNS1_3genE2ELNS1_11target_archE906ELNS1_3gpuE6ELNS1_3repE0EEENS1_30default_config_static_selectorELNS0_4arch9wavefront6targetE0EEEvT1_
	.p2align	8
	.type	_ZN7rocprim17ROCPRIM_400000_NS6detail17trampoline_kernelINS0_14default_configENS1_25partition_config_selectorILNS1_17partition_subalgoE9EllbEEZZNS1_14partition_implILS5_9ELb0ES3_jPlS8_PNS0_10empty_typeENS0_5tupleIJS8_S9_EEENSB_IJS8_SA_EEENS0_18inequality_wrapperIZN2at6native12_GLOBAL__N_124unique_dim_cuda_templateIaEESt5tupleIJNSF_6TensorESK_SK_EERKSK_lbbbEUlllE0_EEPmJS9_EEE10hipError_tPvRmT3_T4_T5_T6_T7_T9_mT8_P12ihipStream_tbDpT10_ENKUlT_T0_E_clISt17integral_constantIbLb0EES19_IbLb1EEEEDaS15_S16_EUlS15_E_NS1_11comp_targetILNS1_3genE2ELNS1_11target_archE906ELNS1_3gpuE6ELNS1_3repE0EEENS1_30default_config_static_selectorELNS0_4arch9wavefront6targetE0EEEvT1_,@function
_ZN7rocprim17ROCPRIM_400000_NS6detail17trampoline_kernelINS0_14default_configENS1_25partition_config_selectorILNS1_17partition_subalgoE9EllbEEZZNS1_14partition_implILS5_9ELb0ES3_jPlS8_PNS0_10empty_typeENS0_5tupleIJS8_S9_EEENSB_IJS8_SA_EEENS0_18inequality_wrapperIZN2at6native12_GLOBAL__N_124unique_dim_cuda_templateIaEESt5tupleIJNSF_6TensorESK_SK_EERKSK_lbbbEUlllE0_EEPmJS9_EEE10hipError_tPvRmT3_T4_T5_T6_T7_T9_mT8_P12ihipStream_tbDpT10_ENKUlT_T0_E_clISt17integral_constantIbLb0EES19_IbLb1EEEEDaS15_S16_EUlS15_E_NS1_11comp_targetILNS1_3genE2ELNS1_11target_archE906ELNS1_3gpuE6ELNS1_3repE0EEENS1_30default_config_static_selectorELNS0_4arch9wavefront6targetE0EEEvT1_: ; @_ZN7rocprim17ROCPRIM_400000_NS6detail17trampoline_kernelINS0_14default_configENS1_25partition_config_selectorILNS1_17partition_subalgoE9EllbEEZZNS1_14partition_implILS5_9ELb0ES3_jPlS8_PNS0_10empty_typeENS0_5tupleIJS8_S9_EEENSB_IJS8_SA_EEENS0_18inequality_wrapperIZN2at6native12_GLOBAL__N_124unique_dim_cuda_templateIaEESt5tupleIJNSF_6TensorESK_SK_EERKSK_lbbbEUlllE0_EEPmJS9_EEE10hipError_tPvRmT3_T4_T5_T6_T7_T9_mT8_P12ihipStream_tbDpT10_ENKUlT_T0_E_clISt17integral_constantIbLb0EES19_IbLb1EEEEDaS15_S16_EUlS15_E_NS1_11comp_targetILNS1_3genE2ELNS1_11target_archE906ELNS1_3gpuE6ELNS1_3repE0EEENS1_30default_config_static_selectorELNS0_4arch9wavefront6targetE0EEEvT1_
; %bb.0:
	.section	.rodata,"a",@progbits
	.p2align	6, 0x0
	.amdhsa_kernel _ZN7rocprim17ROCPRIM_400000_NS6detail17trampoline_kernelINS0_14default_configENS1_25partition_config_selectorILNS1_17partition_subalgoE9EllbEEZZNS1_14partition_implILS5_9ELb0ES3_jPlS8_PNS0_10empty_typeENS0_5tupleIJS8_S9_EEENSB_IJS8_SA_EEENS0_18inequality_wrapperIZN2at6native12_GLOBAL__N_124unique_dim_cuda_templateIaEESt5tupleIJNSF_6TensorESK_SK_EERKSK_lbbbEUlllE0_EEPmJS9_EEE10hipError_tPvRmT3_T4_T5_T6_T7_T9_mT8_P12ihipStream_tbDpT10_ENKUlT_T0_E_clISt17integral_constantIbLb0EES19_IbLb1EEEEDaS15_S16_EUlS15_E_NS1_11comp_targetILNS1_3genE2ELNS1_11target_archE906ELNS1_3gpuE6ELNS1_3repE0EEENS1_30default_config_static_selectorELNS0_4arch9wavefront6targetE0EEEvT1_
		.amdhsa_group_segment_fixed_size 0
		.amdhsa_private_segment_fixed_size 0
		.amdhsa_kernarg_size 136
		.amdhsa_user_sgpr_count 2
		.amdhsa_user_sgpr_dispatch_ptr 0
		.amdhsa_user_sgpr_queue_ptr 0
		.amdhsa_user_sgpr_kernarg_segment_ptr 1
		.amdhsa_user_sgpr_dispatch_id 0
		.amdhsa_user_sgpr_kernarg_preload_length 0
		.amdhsa_user_sgpr_kernarg_preload_offset 0
		.amdhsa_user_sgpr_private_segment_size 0
		.amdhsa_wavefront_size32 1
		.amdhsa_uses_dynamic_stack 0
		.amdhsa_enable_private_segment 0
		.amdhsa_system_sgpr_workgroup_id_x 1
		.amdhsa_system_sgpr_workgroup_id_y 0
		.amdhsa_system_sgpr_workgroup_id_z 0
		.amdhsa_system_sgpr_workgroup_info 0
		.amdhsa_system_vgpr_workitem_id 0
		.amdhsa_next_free_vgpr 1
		.amdhsa_next_free_sgpr 1
		.amdhsa_named_barrier_count 0
		.amdhsa_reserve_vcc 0
		.amdhsa_float_round_mode_32 0
		.amdhsa_float_round_mode_16_64 0
		.amdhsa_float_denorm_mode_32 3
		.amdhsa_float_denorm_mode_16_64 3
		.amdhsa_fp16_overflow 0
		.amdhsa_memory_ordered 1
		.amdhsa_forward_progress 1
		.amdhsa_inst_pref_size 0
		.amdhsa_round_robin_scheduling 0
		.amdhsa_exception_fp_ieee_invalid_op 0
		.amdhsa_exception_fp_denorm_src 0
		.amdhsa_exception_fp_ieee_div_zero 0
		.amdhsa_exception_fp_ieee_overflow 0
		.amdhsa_exception_fp_ieee_underflow 0
		.amdhsa_exception_fp_ieee_inexact 0
		.amdhsa_exception_int_div_zero 0
	.end_amdhsa_kernel
	.section	.text._ZN7rocprim17ROCPRIM_400000_NS6detail17trampoline_kernelINS0_14default_configENS1_25partition_config_selectorILNS1_17partition_subalgoE9EllbEEZZNS1_14partition_implILS5_9ELb0ES3_jPlS8_PNS0_10empty_typeENS0_5tupleIJS8_S9_EEENSB_IJS8_SA_EEENS0_18inequality_wrapperIZN2at6native12_GLOBAL__N_124unique_dim_cuda_templateIaEESt5tupleIJNSF_6TensorESK_SK_EERKSK_lbbbEUlllE0_EEPmJS9_EEE10hipError_tPvRmT3_T4_T5_T6_T7_T9_mT8_P12ihipStream_tbDpT10_ENKUlT_T0_E_clISt17integral_constantIbLb0EES19_IbLb1EEEEDaS15_S16_EUlS15_E_NS1_11comp_targetILNS1_3genE2ELNS1_11target_archE906ELNS1_3gpuE6ELNS1_3repE0EEENS1_30default_config_static_selectorELNS0_4arch9wavefront6targetE0EEEvT1_,"axG",@progbits,_ZN7rocprim17ROCPRIM_400000_NS6detail17trampoline_kernelINS0_14default_configENS1_25partition_config_selectorILNS1_17partition_subalgoE9EllbEEZZNS1_14partition_implILS5_9ELb0ES3_jPlS8_PNS0_10empty_typeENS0_5tupleIJS8_S9_EEENSB_IJS8_SA_EEENS0_18inequality_wrapperIZN2at6native12_GLOBAL__N_124unique_dim_cuda_templateIaEESt5tupleIJNSF_6TensorESK_SK_EERKSK_lbbbEUlllE0_EEPmJS9_EEE10hipError_tPvRmT3_T4_T5_T6_T7_T9_mT8_P12ihipStream_tbDpT10_ENKUlT_T0_E_clISt17integral_constantIbLb0EES19_IbLb1EEEEDaS15_S16_EUlS15_E_NS1_11comp_targetILNS1_3genE2ELNS1_11target_archE906ELNS1_3gpuE6ELNS1_3repE0EEENS1_30default_config_static_selectorELNS0_4arch9wavefront6targetE0EEEvT1_,comdat
.Lfunc_end379:
	.size	_ZN7rocprim17ROCPRIM_400000_NS6detail17trampoline_kernelINS0_14default_configENS1_25partition_config_selectorILNS1_17partition_subalgoE9EllbEEZZNS1_14partition_implILS5_9ELb0ES3_jPlS8_PNS0_10empty_typeENS0_5tupleIJS8_S9_EEENSB_IJS8_SA_EEENS0_18inequality_wrapperIZN2at6native12_GLOBAL__N_124unique_dim_cuda_templateIaEESt5tupleIJNSF_6TensorESK_SK_EERKSK_lbbbEUlllE0_EEPmJS9_EEE10hipError_tPvRmT3_T4_T5_T6_T7_T9_mT8_P12ihipStream_tbDpT10_ENKUlT_T0_E_clISt17integral_constantIbLb0EES19_IbLb1EEEEDaS15_S16_EUlS15_E_NS1_11comp_targetILNS1_3genE2ELNS1_11target_archE906ELNS1_3gpuE6ELNS1_3repE0EEENS1_30default_config_static_selectorELNS0_4arch9wavefront6targetE0EEEvT1_, .Lfunc_end379-_ZN7rocprim17ROCPRIM_400000_NS6detail17trampoline_kernelINS0_14default_configENS1_25partition_config_selectorILNS1_17partition_subalgoE9EllbEEZZNS1_14partition_implILS5_9ELb0ES3_jPlS8_PNS0_10empty_typeENS0_5tupleIJS8_S9_EEENSB_IJS8_SA_EEENS0_18inequality_wrapperIZN2at6native12_GLOBAL__N_124unique_dim_cuda_templateIaEESt5tupleIJNSF_6TensorESK_SK_EERKSK_lbbbEUlllE0_EEPmJS9_EEE10hipError_tPvRmT3_T4_T5_T6_T7_T9_mT8_P12ihipStream_tbDpT10_ENKUlT_T0_E_clISt17integral_constantIbLb0EES19_IbLb1EEEEDaS15_S16_EUlS15_E_NS1_11comp_targetILNS1_3genE2ELNS1_11target_archE906ELNS1_3gpuE6ELNS1_3repE0EEENS1_30default_config_static_selectorELNS0_4arch9wavefront6targetE0EEEvT1_
                                        ; -- End function
	.set _ZN7rocprim17ROCPRIM_400000_NS6detail17trampoline_kernelINS0_14default_configENS1_25partition_config_selectorILNS1_17partition_subalgoE9EllbEEZZNS1_14partition_implILS5_9ELb0ES3_jPlS8_PNS0_10empty_typeENS0_5tupleIJS8_S9_EEENSB_IJS8_SA_EEENS0_18inequality_wrapperIZN2at6native12_GLOBAL__N_124unique_dim_cuda_templateIaEESt5tupleIJNSF_6TensorESK_SK_EERKSK_lbbbEUlllE0_EEPmJS9_EEE10hipError_tPvRmT3_T4_T5_T6_T7_T9_mT8_P12ihipStream_tbDpT10_ENKUlT_T0_E_clISt17integral_constantIbLb0EES19_IbLb1EEEEDaS15_S16_EUlS15_E_NS1_11comp_targetILNS1_3genE2ELNS1_11target_archE906ELNS1_3gpuE6ELNS1_3repE0EEENS1_30default_config_static_selectorELNS0_4arch9wavefront6targetE0EEEvT1_.num_vgpr, 0
	.set _ZN7rocprim17ROCPRIM_400000_NS6detail17trampoline_kernelINS0_14default_configENS1_25partition_config_selectorILNS1_17partition_subalgoE9EllbEEZZNS1_14partition_implILS5_9ELb0ES3_jPlS8_PNS0_10empty_typeENS0_5tupleIJS8_S9_EEENSB_IJS8_SA_EEENS0_18inequality_wrapperIZN2at6native12_GLOBAL__N_124unique_dim_cuda_templateIaEESt5tupleIJNSF_6TensorESK_SK_EERKSK_lbbbEUlllE0_EEPmJS9_EEE10hipError_tPvRmT3_T4_T5_T6_T7_T9_mT8_P12ihipStream_tbDpT10_ENKUlT_T0_E_clISt17integral_constantIbLb0EES19_IbLb1EEEEDaS15_S16_EUlS15_E_NS1_11comp_targetILNS1_3genE2ELNS1_11target_archE906ELNS1_3gpuE6ELNS1_3repE0EEENS1_30default_config_static_selectorELNS0_4arch9wavefront6targetE0EEEvT1_.num_agpr, 0
	.set _ZN7rocprim17ROCPRIM_400000_NS6detail17trampoline_kernelINS0_14default_configENS1_25partition_config_selectorILNS1_17partition_subalgoE9EllbEEZZNS1_14partition_implILS5_9ELb0ES3_jPlS8_PNS0_10empty_typeENS0_5tupleIJS8_S9_EEENSB_IJS8_SA_EEENS0_18inequality_wrapperIZN2at6native12_GLOBAL__N_124unique_dim_cuda_templateIaEESt5tupleIJNSF_6TensorESK_SK_EERKSK_lbbbEUlllE0_EEPmJS9_EEE10hipError_tPvRmT3_T4_T5_T6_T7_T9_mT8_P12ihipStream_tbDpT10_ENKUlT_T0_E_clISt17integral_constantIbLb0EES19_IbLb1EEEEDaS15_S16_EUlS15_E_NS1_11comp_targetILNS1_3genE2ELNS1_11target_archE906ELNS1_3gpuE6ELNS1_3repE0EEENS1_30default_config_static_selectorELNS0_4arch9wavefront6targetE0EEEvT1_.numbered_sgpr, 0
	.set _ZN7rocprim17ROCPRIM_400000_NS6detail17trampoline_kernelINS0_14default_configENS1_25partition_config_selectorILNS1_17partition_subalgoE9EllbEEZZNS1_14partition_implILS5_9ELb0ES3_jPlS8_PNS0_10empty_typeENS0_5tupleIJS8_S9_EEENSB_IJS8_SA_EEENS0_18inequality_wrapperIZN2at6native12_GLOBAL__N_124unique_dim_cuda_templateIaEESt5tupleIJNSF_6TensorESK_SK_EERKSK_lbbbEUlllE0_EEPmJS9_EEE10hipError_tPvRmT3_T4_T5_T6_T7_T9_mT8_P12ihipStream_tbDpT10_ENKUlT_T0_E_clISt17integral_constantIbLb0EES19_IbLb1EEEEDaS15_S16_EUlS15_E_NS1_11comp_targetILNS1_3genE2ELNS1_11target_archE906ELNS1_3gpuE6ELNS1_3repE0EEENS1_30default_config_static_selectorELNS0_4arch9wavefront6targetE0EEEvT1_.num_named_barrier, 0
	.set _ZN7rocprim17ROCPRIM_400000_NS6detail17trampoline_kernelINS0_14default_configENS1_25partition_config_selectorILNS1_17partition_subalgoE9EllbEEZZNS1_14partition_implILS5_9ELb0ES3_jPlS8_PNS0_10empty_typeENS0_5tupleIJS8_S9_EEENSB_IJS8_SA_EEENS0_18inequality_wrapperIZN2at6native12_GLOBAL__N_124unique_dim_cuda_templateIaEESt5tupleIJNSF_6TensorESK_SK_EERKSK_lbbbEUlllE0_EEPmJS9_EEE10hipError_tPvRmT3_T4_T5_T6_T7_T9_mT8_P12ihipStream_tbDpT10_ENKUlT_T0_E_clISt17integral_constantIbLb0EES19_IbLb1EEEEDaS15_S16_EUlS15_E_NS1_11comp_targetILNS1_3genE2ELNS1_11target_archE906ELNS1_3gpuE6ELNS1_3repE0EEENS1_30default_config_static_selectorELNS0_4arch9wavefront6targetE0EEEvT1_.private_seg_size, 0
	.set _ZN7rocprim17ROCPRIM_400000_NS6detail17trampoline_kernelINS0_14default_configENS1_25partition_config_selectorILNS1_17partition_subalgoE9EllbEEZZNS1_14partition_implILS5_9ELb0ES3_jPlS8_PNS0_10empty_typeENS0_5tupleIJS8_S9_EEENSB_IJS8_SA_EEENS0_18inequality_wrapperIZN2at6native12_GLOBAL__N_124unique_dim_cuda_templateIaEESt5tupleIJNSF_6TensorESK_SK_EERKSK_lbbbEUlllE0_EEPmJS9_EEE10hipError_tPvRmT3_T4_T5_T6_T7_T9_mT8_P12ihipStream_tbDpT10_ENKUlT_T0_E_clISt17integral_constantIbLb0EES19_IbLb1EEEEDaS15_S16_EUlS15_E_NS1_11comp_targetILNS1_3genE2ELNS1_11target_archE906ELNS1_3gpuE6ELNS1_3repE0EEENS1_30default_config_static_selectorELNS0_4arch9wavefront6targetE0EEEvT1_.uses_vcc, 0
	.set _ZN7rocprim17ROCPRIM_400000_NS6detail17trampoline_kernelINS0_14default_configENS1_25partition_config_selectorILNS1_17partition_subalgoE9EllbEEZZNS1_14partition_implILS5_9ELb0ES3_jPlS8_PNS0_10empty_typeENS0_5tupleIJS8_S9_EEENSB_IJS8_SA_EEENS0_18inequality_wrapperIZN2at6native12_GLOBAL__N_124unique_dim_cuda_templateIaEESt5tupleIJNSF_6TensorESK_SK_EERKSK_lbbbEUlllE0_EEPmJS9_EEE10hipError_tPvRmT3_T4_T5_T6_T7_T9_mT8_P12ihipStream_tbDpT10_ENKUlT_T0_E_clISt17integral_constantIbLb0EES19_IbLb1EEEEDaS15_S16_EUlS15_E_NS1_11comp_targetILNS1_3genE2ELNS1_11target_archE906ELNS1_3gpuE6ELNS1_3repE0EEENS1_30default_config_static_selectorELNS0_4arch9wavefront6targetE0EEEvT1_.uses_flat_scratch, 0
	.set _ZN7rocprim17ROCPRIM_400000_NS6detail17trampoline_kernelINS0_14default_configENS1_25partition_config_selectorILNS1_17partition_subalgoE9EllbEEZZNS1_14partition_implILS5_9ELb0ES3_jPlS8_PNS0_10empty_typeENS0_5tupleIJS8_S9_EEENSB_IJS8_SA_EEENS0_18inequality_wrapperIZN2at6native12_GLOBAL__N_124unique_dim_cuda_templateIaEESt5tupleIJNSF_6TensorESK_SK_EERKSK_lbbbEUlllE0_EEPmJS9_EEE10hipError_tPvRmT3_T4_T5_T6_T7_T9_mT8_P12ihipStream_tbDpT10_ENKUlT_T0_E_clISt17integral_constantIbLb0EES19_IbLb1EEEEDaS15_S16_EUlS15_E_NS1_11comp_targetILNS1_3genE2ELNS1_11target_archE906ELNS1_3gpuE6ELNS1_3repE0EEENS1_30default_config_static_selectorELNS0_4arch9wavefront6targetE0EEEvT1_.has_dyn_sized_stack, 0
	.set _ZN7rocprim17ROCPRIM_400000_NS6detail17trampoline_kernelINS0_14default_configENS1_25partition_config_selectorILNS1_17partition_subalgoE9EllbEEZZNS1_14partition_implILS5_9ELb0ES3_jPlS8_PNS0_10empty_typeENS0_5tupleIJS8_S9_EEENSB_IJS8_SA_EEENS0_18inequality_wrapperIZN2at6native12_GLOBAL__N_124unique_dim_cuda_templateIaEESt5tupleIJNSF_6TensorESK_SK_EERKSK_lbbbEUlllE0_EEPmJS9_EEE10hipError_tPvRmT3_T4_T5_T6_T7_T9_mT8_P12ihipStream_tbDpT10_ENKUlT_T0_E_clISt17integral_constantIbLb0EES19_IbLb1EEEEDaS15_S16_EUlS15_E_NS1_11comp_targetILNS1_3genE2ELNS1_11target_archE906ELNS1_3gpuE6ELNS1_3repE0EEENS1_30default_config_static_selectorELNS0_4arch9wavefront6targetE0EEEvT1_.has_recursion, 0
	.set _ZN7rocprim17ROCPRIM_400000_NS6detail17trampoline_kernelINS0_14default_configENS1_25partition_config_selectorILNS1_17partition_subalgoE9EllbEEZZNS1_14partition_implILS5_9ELb0ES3_jPlS8_PNS0_10empty_typeENS0_5tupleIJS8_S9_EEENSB_IJS8_SA_EEENS0_18inequality_wrapperIZN2at6native12_GLOBAL__N_124unique_dim_cuda_templateIaEESt5tupleIJNSF_6TensorESK_SK_EERKSK_lbbbEUlllE0_EEPmJS9_EEE10hipError_tPvRmT3_T4_T5_T6_T7_T9_mT8_P12ihipStream_tbDpT10_ENKUlT_T0_E_clISt17integral_constantIbLb0EES19_IbLb1EEEEDaS15_S16_EUlS15_E_NS1_11comp_targetILNS1_3genE2ELNS1_11target_archE906ELNS1_3gpuE6ELNS1_3repE0EEENS1_30default_config_static_selectorELNS0_4arch9wavefront6targetE0EEEvT1_.has_indirect_call, 0
	.section	.AMDGPU.csdata,"",@progbits
; Kernel info:
; codeLenInByte = 0
; TotalNumSgprs: 0
; NumVgprs: 0
; ScratchSize: 0
; MemoryBound: 0
; FloatMode: 240
; IeeeMode: 1
; LDSByteSize: 0 bytes/workgroup (compile time only)
; SGPRBlocks: 0
; VGPRBlocks: 0
; NumSGPRsForWavesPerEU: 1
; NumVGPRsForWavesPerEU: 1
; NamedBarCnt: 0
; Occupancy: 16
; WaveLimiterHint : 0
; COMPUTE_PGM_RSRC2:SCRATCH_EN: 0
; COMPUTE_PGM_RSRC2:USER_SGPR: 2
; COMPUTE_PGM_RSRC2:TRAP_HANDLER: 0
; COMPUTE_PGM_RSRC2:TGID_X_EN: 1
; COMPUTE_PGM_RSRC2:TGID_Y_EN: 0
; COMPUTE_PGM_RSRC2:TGID_Z_EN: 0
; COMPUTE_PGM_RSRC2:TIDIG_COMP_CNT: 0
	.section	.text._ZN7rocprim17ROCPRIM_400000_NS6detail17trampoline_kernelINS0_14default_configENS1_25partition_config_selectorILNS1_17partition_subalgoE9EllbEEZZNS1_14partition_implILS5_9ELb0ES3_jPlS8_PNS0_10empty_typeENS0_5tupleIJS8_S9_EEENSB_IJS8_SA_EEENS0_18inequality_wrapperIZN2at6native12_GLOBAL__N_124unique_dim_cuda_templateIaEESt5tupleIJNSF_6TensorESK_SK_EERKSK_lbbbEUlllE0_EEPmJS9_EEE10hipError_tPvRmT3_T4_T5_T6_T7_T9_mT8_P12ihipStream_tbDpT10_ENKUlT_T0_E_clISt17integral_constantIbLb0EES19_IbLb1EEEEDaS15_S16_EUlS15_E_NS1_11comp_targetILNS1_3genE10ELNS1_11target_archE1200ELNS1_3gpuE4ELNS1_3repE0EEENS1_30default_config_static_selectorELNS0_4arch9wavefront6targetE0EEEvT1_,"axG",@progbits,_ZN7rocprim17ROCPRIM_400000_NS6detail17trampoline_kernelINS0_14default_configENS1_25partition_config_selectorILNS1_17partition_subalgoE9EllbEEZZNS1_14partition_implILS5_9ELb0ES3_jPlS8_PNS0_10empty_typeENS0_5tupleIJS8_S9_EEENSB_IJS8_SA_EEENS0_18inequality_wrapperIZN2at6native12_GLOBAL__N_124unique_dim_cuda_templateIaEESt5tupleIJNSF_6TensorESK_SK_EERKSK_lbbbEUlllE0_EEPmJS9_EEE10hipError_tPvRmT3_T4_T5_T6_T7_T9_mT8_P12ihipStream_tbDpT10_ENKUlT_T0_E_clISt17integral_constantIbLb0EES19_IbLb1EEEEDaS15_S16_EUlS15_E_NS1_11comp_targetILNS1_3genE10ELNS1_11target_archE1200ELNS1_3gpuE4ELNS1_3repE0EEENS1_30default_config_static_selectorELNS0_4arch9wavefront6targetE0EEEvT1_,comdat
	.globl	_ZN7rocprim17ROCPRIM_400000_NS6detail17trampoline_kernelINS0_14default_configENS1_25partition_config_selectorILNS1_17partition_subalgoE9EllbEEZZNS1_14partition_implILS5_9ELb0ES3_jPlS8_PNS0_10empty_typeENS0_5tupleIJS8_S9_EEENSB_IJS8_SA_EEENS0_18inequality_wrapperIZN2at6native12_GLOBAL__N_124unique_dim_cuda_templateIaEESt5tupleIJNSF_6TensorESK_SK_EERKSK_lbbbEUlllE0_EEPmJS9_EEE10hipError_tPvRmT3_T4_T5_T6_T7_T9_mT8_P12ihipStream_tbDpT10_ENKUlT_T0_E_clISt17integral_constantIbLb0EES19_IbLb1EEEEDaS15_S16_EUlS15_E_NS1_11comp_targetILNS1_3genE10ELNS1_11target_archE1200ELNS1_3gpuE4ELNS1_3repE0EEENS1_30default_config_static_selectorELNS0_4arch9wavefront6targetE0EEEvT1_ ; -- Begin function _ZN7rocprim17ROCPRIM_400000_NS6detail17trampoline_kernelINS0_14default_configENS1_25partition_config_selectorILNS1_17partition_subalgoE9EllbEEZZNS1_14partition_implILS5_9ELb0ES3_jPlS8_PNS0_10empty_typeENS0_5tupleIJS8_S9_EEENSB_IJS8_SA_EEENS0_18inequality_wrapperIZN2at6native12_GLOBAL__N_124unique_dim_cuda_templateIaEESt5tupleIJNSF_6TensorESK_SK_EERKSK_lbbbEUlllE0_EEPmJS9_EEE10hipError_tPvRmT3_T4_T5_T6_T7_T9_mT8_P12ihipStream_tbDpT10_ENKUlT_T0_E_clISt17integral_constantIbLb0EES19_IbLb1EEEEDaS15_S16_EUlS15_E_NS1_11comp_targetILNS1_3genE10ELNS1_11target_archE1200ELNS1_3gpuE4ELNS1_3repE0EEENS1_30default_config_static_selectorELNS0_4arch9wavefront6targetE0EEEvT1_
	.p2align	8
	.type	_ZN7rocprim17ROCPRIM_400000_NS6detail17trampoline_kernelINS0_14default_configENS1_25partition_config_selectorILNS1_17partition_subalgoE9EllbEEZZNS1_14partition_implILS5_9ELb0ES3_jPlS8_PNS0_10empty_typeENS0_5tupleIJS8_S9_EEENSB_IJS8_SA_EEENS0_18inequality_wrapperIZN2at6native12_GLOBAL__N_124unique_dim_cuda_templateIaEESt5tupleIJNSF_6TensorESK_SK_EERKSK_lbbbEUlllE0_EEPmJS9_EEE10hipError_tPvRmT3_T4_T5_T6_T7_T9_mT8_P12ihipStream_tbDpT10_ENKUlT_T0_E_clISt17integral_constantIbLb0EES19_IbLb1EEEEDaS15_S16_EUlS15_E_NS1_11comp_targetILNS1_3genE10ELNS1_11target_archE1200ELNS1_3gpuE4ELNS1_3repE0EEENS1_30default_config_static_selectorELNS0_4arch9wavefront6targetE0EEEvT1_,@function
_ZN7rocprim17ROCPRIM_400000_NS6detail17trampoline_kernelINS0_14default_configENS1_25partition_config_selectorILNS1_17partition_subalgoE9EllbEEZZNS1_14partition_implILS5_9ELb0ES3_jPlS8_PNS0_10empty_typeENS0_5tupleIJS8_S9_EEENSB_IJS8_SA_EEENS0_18inequality_wrapperIZN2at6native12_GLOBAL__N_124unique_dim_cuda_templateIaEESt5tupleIJNSF_6TensorESK_SK_EERKSK_lbbbEUlllE0_EEPmJS9_EEE10hipError_tPvRmT3_T4_T5_T6_T7_T9_mT8_P12ihipStream_tbDpT10_ENKUlT_T0_E_clISt17integral_constantIbLb0EES19_IbLb1EEEEDaS15_S16_EUlS15_E_NS1_11comp_targetILNS1_3genE10ELNS1_11target_archE1200ELNS1_3gpuE4ELNS1_3repE0EEENS1_30default_config_static_selectorELNS0_4arch9wavefront6targetE0EEEvT1_: ; @_ZN7rocprim17ROCPRIM_400000_NS6detail17trampoline_kernelINS0_14default_configENS1_25partition_config_selectorILNS1_17partition_subalgoE9EllbEEZZNS1_14partition_implILS5_9ELb0ES3_jPlS8_PNS0_10empty_typeENS0_5tupleIJS8_S9_EEENSB_IJS8_SA_EEENS0_18inequality_wrapperIZN2at6native12_GLOBAL__N_124unique_dim_cuda_templateIaEESt5tupleIJNSF_6TensorESK_SK_EERKSK_lbbbEUlllE0_EEPmJS9_EEE10hipError_tPvRmT3_T4_T5_T6_T7_T9_mT8_P12ihipStream_tbDpT10_ENKUlT_T0_E_clISt17integral_constantIbLb0EES19_IbLb1EEEEDaS15_S16_EUlS15_E_NS1_11comp_targetILNS1_3genE10ELNS1_11target_archE1200ELNS1_3gpuE4ELNS1_3repE0EEENS1_30default_config_static_selectorELNS0_4arch9wavefront6targetE0EEEvT1_
; %bb.0:
	.section	.rodata,"a",@progbits
	.p2align	6, 0x0
	.amdhsa_kernel _ZN7rocprim17ROCPRIM_400000_NS6detail17trampoline_kernelINS0_14default_configENS1_25partition_config_selectorILNS1_17partition_subalgoE9EllbEEZZNS1_14partition_implILS5_9ELb0ES3_jPlS8_PNS0_10empty_typeENS0_5tupleIJS8_S9_EEENSB_IJS8_SA_EEENS0_18inequality_wrapperIZN2at6native12_GLOBAL__N_124unique_dim_cuda_templateIaEESt5tupleIJNSF_6TensorESK_SK_EERKSK_lbbbEUlllE0_EEPmJS9_EEE10hipError_tPvRmT3_T4_T5_T6_T7_T9_mT8_P12ihipStream_tbDpT10_ENKUlT_T0_E_clISt17integral_constantIbLb0EES19_IbLb1EEEEDaS15_S16_EUlS15_E_NS1_11comp_targetILNS1_3genE10ELNS1_11target_archE1200ELNS1_3gpuE4ELNS1_3repE0EEENS1_30default_config_static_selectorELNS0_4arch9wavefront6targetE0EEEvT1_
		.amdhsa_group_segment_fixed_size 0
		.amdhsa_private_segment_fixed_size 0
		.amdhsa_kernarg_size 136
		.amdhsa_user_sgpr_count 2
		.amdhsa_user_sgpr_dispatch_ptr 0
		.amdhsa_user_sgpr_queue_ptr 0
		.amdhsa_user_sgpr_kernarg_segment_ptr 1
		.amdhsa_user_sgpr_dispatch_id 0
		.amdhsa_user_sgpr_kernarg_preload_length 0
		.amdhsa_user_sgpr_kernarg_preload_offset 0
		.amdhsa_user_sgpr_private_segment_size 0
		.amdhsa_wavefront_size32 1
		.amdhsa_uses_dynamic_stack 0
		.amdhsa_enable_private_segment 0
		.amdhsa_system_sgpr_workgroup_id_x 1
		.amdhsa_system_sgpr_workgroup_id_y 0
		.amdhsa_system_sgpr_workgroup_id_z 0
		.amdhsa_system_sgpr_workgroup_info 0
		.amdhsa_system_vgpr_workitem_id 0
		.amdhsa_next_free_vgpr 1
		.amdhsa_next_free_sgpr 1
		.amdhsa_named_barrier_count 0
		.amdhsa_reserve_vcc 0
		.amdhsa_float_round_mode_32 0
		.amdhsa_float_round_mode_16_64 0
		.amdhsa_float_denorm_mode_32 3
		.amdhsa_float_denorm_mode_16_64 3
		.amdhsa_fp16_overflow 0
		.amdhsa_memory_ordered 1
		.amdhsa_forward_progress 1
		.amdhsa_inst_pref_size 0
		.amdhsa_round_robin_scheduling 0
		.amdhsa_exception_fp_ieee_invalid_op 0
		.amdhsa_exception_fp_denorm_src 0
		.amdhsa_exception_fp_ieee_div_zero 0
		.amdhsa_exception_fp_ieee_overflow 0
		.amdhsa_exception_fp_ieee_underflow 0
		.amdhsa_exception_fp_ieee_inexact 0
		.amdhsa_exception_int_div_zero 0
	.end_amdhsa_kernel
	.section	.text._ZN7rocprim17ROCPRIM_400000_NS6detail17trampoline_kernelINS0_14default_configENS1_25partition_config_selectorILNS1_17partition_subalgoE9EllbEEZZNS1_14partition_implILS5_9ELb0ES3_jPlS8_PNS0_10empty_typeENS0_5tupleIJS8_S9_EEENSB_IJS8_SA_EEENS0_18inequality_wrapperIZN2at6native12_GLOBAL__N_124unique_dim_cuda_templateIaEESt5tupleIJNSF_6TensorESK_SK_EERKSK_lbbbEUlllE0_EEPmJS9_EEE10hipError_tPvRmT3_T4_T5_T6_T7_T9_mT8_P12ihipStream_tbDpT10_ENKUlT_T0_E_clISt17integral_constantIbLb0EES19_IbLb1EEEEDaS15_S16_EUlS15_E_NS1_11comp_targetILNS1_3genE10ELNS1_11target_archE1200ELNS1_3gpuE4ELNS1_3repE0EEENS1_30default_config_static_selectorELNS0_4arch9wavefront6targetE0EEEvT1_,"axG",@progbits,_ZN7rocprim17ROCPRIM_400000_NS6detail17trampoline_kernelINS0_14default_configENS1_25partition_config_selectorILNS1_17partition_subalgoE9EllbEEZZNS1_14partition_implILS5_9ELb0ES3_jPlS8_PNS0_10empty_typeENS0_5tupleIJS8_S9_EEENSB_IJS8_SA_EEENS0_18inequality_wrapperIZN2at6native12_GLOBAL__N_124unique_dim_cuda_templateIaEESt5tupleIJNSF_6TensorESK_SK_EERKSK_lbbbEUlllE0_EEPmJS9_EEE10hipError_tPvRmT3_T4_T5_T6_T7_T9_mT8_P12ihipStream_tbDpT10_ENKUlT_T0_E_clISt17integral_constantIbLb0EES19_IbLb1EEEEDaS15_S16_EUlS15_E_NS1_11comp_targetILNS1_3genE10ELNS1_11target_archE1200ELNS1_3gpuE4ELNS1_3repE0EEENS1_30default_config_static_selectorELNS0_4arch9wavefront6targetE0EEEvT1_,comdat
.Lfunc_end380:
	.size	_ZN7rocprim17ROCPRIM_400000_NS6detail17trampoline_kernelINS0_14default_configENS1_25partition_config_selectorILNS1_17partition_subalgoE9EllbEEZZNS1_14partition_implILS5_9ELb0ES3_jPlS8_PNS0_10empty_typeENS0_5tupleIJS8_S9_EEENSB_IJS8_SA_EEENS0_18inequality_wrapperIZN2at6native12_GLOBAL__N_124unique_dim_cuda_templateIaEESt5tupleIJNSF_6TensorESK_SK_EERKSK_lbbbEUlllE0_EEPmJS9_EEE10hipError_tPvRmT3_T4_T5_T6_T7_T9_mT8_P12ihipStream_tbDpT10_ENKUlT_T0_E_clISt17integral_constantIbLb0EES19_IbLb1EEEEDaS15_S16_EUlS15_E_NS1_11comp_targetILNS1_3genE10ELNS1_11target_archE1200ELNS1_3gpuE4ELNS1_3repE0EEENS1_30default_config_static_selectorELNS0_4arch9wavefront6targetE0EEEvT1_, .Lfunc_end380-_ZN7rocprim17ROCPRIM_400000_NS6detail17trampoline_kernelINS0_14default_configENS1_25partition_config_selectorILNS1_17partition_subalgoE9EllbEEZZNS1_14partition_implILS5_9ELb0ES3_jPlS8_PNS0_10empty_typeENS0_5tupleIJS8_S9_EEENSB_IJS8_SA_EEENS0_18inequality_wrapperIZN2at6native12_GLOBAL__N_124unique_dim_cuda_templateIaEESt5tupleIJNSF_6TensorESK_SK_EERKSK_lbbbEUlllE0_EEPmJS9_EEE10hipError_tPvRmT3_T4_T5_T6_T7_T9_mT8_P12ihipStream_tbDpT10_ENKUlT_T0_E_clISt17integral_constantIbLb0EES19_IbLb1EEEEDaS15_S16_EUlS15_E_NS1_11comp_targetILNS1_3genE10ELNS1_11target_archE1200ELNS1_3gpuE4ELNS1_3repE0EEENS1_30default_config_static_selectorELNS0_4arch9wavefront6targetE0EEEvT1_
                                        ; -- End function
	.set _ZN7rocprim17ROCPRIM_400000_NS6detail17trampoline_kernelINS0_14default_configENS1_25partition_config_selectorILNS1_17partition_subalgoE9EllbEEZZNS1_14partition_implILS5_9ELb0ES3_jPlS8_PNS0_10empty_typeENS0_5tupleIJS8_S9_EEENSB_IJS8_SA_EEENS0_18inequality_wrapperIZN2at6native12_GLOBAL__N_124unique_dim_cuda_templateIaEESt5tupleIJNSF_6TensorESK_SK_EERKSK_lbbbEUlllE0_EEPmJS9_EEE10hipError_tPvRmT3_T4_T5_T6_T7_T9_mT8_P12ihipStream_tbDpT10_ENKUlT_T0_E_clISt17integral_constantIbLb0EES19_IbLb1EEEEDaS15_S16_EUlS15_E_NS1_11comp_targetILNS1_3genE10ELNS1_11target_archE1200ELNS1_3gpuE4ELNS1_3repE0EEENS1_30default_config_static_selectorELNS0_4arch9wavefront6targetE0EEEvT1_.num_vgpr, 0
	.set _ZN7rocprim17ROCPRIM_400000_NS6detail17trampoline_kernelINS0_14default_configENS1_25partition_config_selectorILNS1_17partition_subalgoE9EllbEEZZNS1_14partition_implILS5_9ELb0ES3_jPlS8_PNS0_10empty_typeENS0_5tupleIJS8_S9_EEENSB_IJS8_SA_EEENS0_18inequality_wrapperIZN2at6native12_GLOBAL__N_124unique_dim_cuda_templateIaEESt5tupleIJNSF_6TensorESK_SK_EERKSK_lbbbEUlllE0_EEPmJS9_EEE10hipError_tPvRmT3_T4_T5_T6_T7_T9_mT8_P12ihipStream_tbDpT10_ENKUlT_T0_E_clISt17integral_constantIbLb0EES19_IbLb1EEEEDaS15_S16_EUlS15_E_NS1_11comp_targetILNS1_3genE10ELNS1_11target_archE1200ELNS1_3gpuE4ELNS1_3repE0EEENS1_30default_config_static_selectorELNS0_4arch9wavefront6targetE0EEEvT1_.num_agpr, 0
	.set _ZN7rocprim17ROCPRIM_400000_NS6detail17trampoline_kernelINS0_14default_configENS1_25partition_config_selectorILNS1_17partition_subalgoE9EllbEEZZNS1_14partition_implILS5_9ELb0ES3_jPlS8_PNS0_10empty_typeENS0_5tupleIJS8_S9_EEENSB_IJS8_SA_EEENS0_18inequality_wrapperIZN2at6native12_GLOBAL__N_124unique_dim_cuda_templateIaEESt5tupleIJNSF_6TensorESK_SK_EERKSK_lbbbEUlllE0_EEPmJS9_EEE10hipError_tPvRmT3_T4_T5_T6_T7_T9_mT8_P12ihipStream_tbDpT10_ENKUlT_T0_E_clISt17integral_constantIbLb0EES19_IbLb1EEEEDaS15_S16_EUlS15_E_NS1_11comp_targetILNS1_3genE10ELNS1_11target_archE1200ELNS1_3gpuE4ELNS1_3repE0EEENS1_30default_config_static_selectorELNS0_4arch9wavefront6targetE0EEEvT1_.numbered_sgpr, 0
	.set _ZN7rocprim17ROCPRIM_400000_NS6detail17trampoline_kernelINS0_14default_configENS1_25partition_config_selectorILNS1_17partition_subalgoE9EllbEEZZNS1_14partition_implILS5_9ELb0ES3_jPlS8_PNS0_10empty_typeENS0_5tupleIJS8_S9_EEENSB_IJS8_SA_EEENS0_18inequality_wrapperIZN2at6native12_GLOBAL__N_124unique_dim_cuda_templateIaEESt5tupleIJNSF_6TensorESK_SK_EERKSK_lbbbEUlllE0_EEPmJS9_EEE10hipError_tPvRmT3_T4_T5_T6_T7_T9_mT8_P12ihipStream_tbDpT10_ENKUlT_T0_E_clISt17integral_constantIbLb0EES19_IbLb1EEEEDaS15_S16_EUlS15_E_NS1_11comp_targetILNS1_3genE10ELNS1_11target_archE1200ELNS1_3gpuE4ELNS1_3repE0EEENS1_30default_config_static_selectorELNS0_4arch9wavefront6targetE0EEEvT1_.num_named_barrier, 0
	.set _ZN7rocprim17ROCPRIM_400000_NS6detail17trampoline_kernelINS0_14default_configENS1_25partition_config_selectorILNS1_17partition_subalgoE9EllbEEZZNS1_14partition_implILS5_9ELb0ES3_jPlS8_PNS0_10empty_typeENS0_5tupleIJS8_S9_EEENSB_IJS8_SA_EEENS0_18inequality_wrapperIZN2at6native12_GLOBAL__N_124unique_dim_cuda_templateIaEESt5tupleIJNSF_6TensorESK_SK_EERKSK_lbbbEUlllE0_EEPmJS9_EEE10hipError_tPvRmT3_T4_T5_T6_T7_T9_mT8_P12ihipStream_tbDpT10_ENKUlT_T0_E_clISt17integral_constantIbLb0EES19_IbLb1EEEEDaS15_S16_EUlS15_E_NS1_11comp_targetILNS1_3genE10ELNS1_11target_archE1200ELNS1_3gpuE4ELNS1_3repE0EEENS1_30default_config_static_selectorELNS0_4arch9wavefront6targetE0EEEvT1_.private_seg_size, 0
	.set _ZN7rocprim17ROCPRIM_400000_NS6detail17trampoline_kernelINS0_14default_configENS1_25partition_config_selectorILNS1_17partition_subalgoE9EllbEEZZNS1_14partition_implILS5_9ELb0ES3_jPlS8_PNS0_10empty_typeENS0_5tupleIJS8_S9_EEENSB_IJS8_SA_EEENS0_18inequality_wrapperIZN2at6native12_GLOBAL__N_124unique_dim_cuda_templateIaEESt5tupleIJNSF_6TensorESK_SK_EERKSK_lbbbEUlllE0_EEPmJS9_EEE10hipError_tPvRmT3_T4_T5_T6_T7_T9_mT8_P12ihipStream_tbDpT10_ENKUlT_T0_E_clISt17integral_constantIbLb0EES19_IbLb1EEEEDaS15_S16_EUlS15_E_NS1_11comp_targetILNS1_3genE10ELNS1_11target_archE1200ELNS1_3gpuE4ELNS1_3repE0EEENS1_30default_config_static_selectorELNS0_4arch9wavefront6targetE0EEEvT1_.uses_vcc, 0
	.set _ZN7rocprim17ROCPRIM_400000_NS6detail17trampoline_kernelINS0_14default_configENS1_25partition_config_selectorILNS1_17partition_subalgoE9EllbEEZZNS1_14partition_implILS5_9ELb0ES3_jPlS8_PNS0_10empty_typeENS0_5tupleIJS8_S9_EEENSB_IJS8_SA_EEENS0_18inequality_wrapperIZN2at6native12_GLOBAL__N_124unique_dim_cuda_templateIaEESt5tupleIJNSF_6TensorESK_SK_EERKSK_lbbbEUlllE0_EEPmJS9_EEE10hipError_tPvRmT3_T4_T5_T6_T7_T9_mT8_P12ihipStream_tbDpT10_ENKUlT_T0_E_clISt17integral_constantIbLb0EES19_IbLb1EEEEDaS15_S16_EUlS15_E_NS1_11comp_targetILNS1_3genE10ELNS1_11target_archE1200ELNS1_3gpuE4ELNS1_3repE0EEENS1_30default_config_static_selectorELNS0_4arch9wavefront6targetE0EEEvT1_.uses_flat_scratch, 0
	.set _ZN7rocprim17ROCPRIM_400000_NS6detail17trampoline_kernelINS0_14default_configENS1_25partition_config_selectorILNS1_17partition_subalgoE9EllbEEZZNS1_14partition_implILS5_9ELb0ES3_jPlS8_PNS0_10empty_typeENS0_5tupleIJS8_S9_EEENSB_IJS8_SA_EEENS0_18inequality_wrapperIZN2at6native12_GLOBAL__N_124unique_dim_cuda_templateIaEESt5tupleIJNSF_6TensorESK_SK_EERKSK_lbbbEUlllE0_EEPmJS9_EEE10hipError_tPvRmT3_T4_T5_T6_T7_T9_mT8_P12ihipStream_tbDpT10_ENKUlT_T0_E_clISt17integral_constantIbLb0EES19_IbLb1EEEEDaS15_S16_EUlS15_E_NS1_11comp_targetILNS1_3genE10ELNS1_11target_archE1200ELNS1_3gpuE4ELNS1_3repE0EEENS1_30default_config_static_selectorELNS0_4arch9wavefront6targetE0EEEvT1_.has_dyn_sized_stack, 0
	.set _ZN7rocprim17ROCPRIM_400000_NS6detail17trampoline_kernelINS0_14default_configENS1_25partition_config_selectorILNS1_17partition_subalgoE9EllbEEZZNS1_14partition_implILS5_9ELb0ES3_jPlS8_PNS0_10empty_typeENS0_5tupleIJS8_S9_EEENSB_IJS8_SA_EEENS0_18inequality_wrapperIZN2at6native12_GLOBAL__N_124unique_dim_cuda_templateIaEESt5tupleIJNSF_6TensorESK_SK_EERKSK_lbbbEUlllE0_EEPmJS9_EEE10hipError_tPvRmT3_T4_T5_T6_T7_T9_mT8_P12ihipStream_tbDpT10_ENKUlT_T0_E_clISt17integral_constantIbLb0EES19_IbLb1EEEEDaS15_S16_EUlS15_E_NS1_11comp_targetILNS1_3genE10ELNS1_11target_archE1200ELNS1_3gpuE4ELNS1_3repE0EEENS1_30default_config_static_selectorELNS0_4arch9wavefront6targetE0EEEvT1_.has_recursion, 0
	.set _ZN7rocprim17ROCPRIM_400000_NS6detail17trampoline_kernelINS0_14default_configENS1_25partition_config_selectorILNS1_17partition_subalgoE9EllbEEZZNS1_14partition_implILS5_9ELb0ES3_jPlS8_PNS0_10empty_typeENS0_5tupleIJS8_S9_EEENSB_IJS8_SA_EEENS0_18inequality_wrapperIZN2at6native12_GLOBAL__N_124unique_dim_cuda_templateIaEESt5tupleIJNSF_6TensorESK_SK_EERKSK_lbbbEUlllE0_EEPmJS9_EEE10hipError_tPvRmT3_T4_T5_T6_T7_T9_mT8_P12ihipStream_tbDpT10_ENKUlT_T0_E_clISt17integral_constantIbLb0EES19_IbLb1EEEEDaS15_S16_EUlS15_E_NS1_11comp_targetILNS1_3genE10ELNS1_11target_archE1200ELNS1_3gpuE4ELNS1_3repE0EEENS1_30default_config_static_selectorELNS0_4arch9wavefront6targetE0EEEvT1_.has_indirect_call, 0
	.section	.AMDGPU.csdata,"",@progbits
; Kernel info:
; codeLenInByte = 0
; TotalNumSgprs: 0
; NumVgprs: 0
; ScratchSize: 0
; MemoryBound: 0
; FloatMode: 240
; IeeeMode: 1
; LDSByteSize: 0 bytes/workgroup (compile time only)
; SGPRBlocks: 0
; VGPRBlocks: 0
; NumSGPRsForWavesPerEU: 1
; NumVGPRsForWavesPerEU: 1
; NamedBarCnt: 0
; Occupancy: 16
; WaveLimiterHint : 0
; COMPUTE_PGM_RSRC2:SCRATCH_EN: 0
; COMPUTE_PGM_RSRC2:USER_SGPR: 2
; COMPUTE_PGM_RSRC2:TRAP_HANDLER: 0
; COMPUTE_PGM_RSRC2:TGID_X_EN: 1
; COMPUTE_PGM_RSRC2:TGID_Y_EN: 0
; COMPUTE_PGM_RSRC2:TGID_Z_EN: 0
; COMPUTE_PGM_RSRC2:TIDIG_COMP_CNT: 0
	.section	.text._ZN7rocprim17ROCPRIM_400000_NS6detail17trampoline_kernelINS0_14default_configENS1_25partition_config_selectorILNS1_17partition_subalgoE9EllbEEZZNS1_14partition_implILS5_9ELb0ES3_jPlS8_PNS0_10empty_typeENS0_5tupleIJS8_S9_EEENSB_IJS8_SA_EEENS0_18inequality_wrapperIZN2at6native12_GLOBAL__N_124unique_dim_cuda_templateIaEESt5tupleIJNSF_6TensorESK_SK_EERKSK_lbbbEUlllE0_EEPmJS9_EEE10hipError_tPvRmT3_T4_T5_T6_T7_T9_mT8_P12ihipStream_tbDpT10_ENKUlT_T0_E_clISt17integral_constantIbLb0EES19_IbLb1EEEEDaS15_S16_EUlS15_E_NS1_11comp_targetILNS1_3genE9ELNS1_11target_archE1100ELNS1_3gpuE3ELNS1_3repE0EEENS1_30default_config_static_selectorELNS0_4arch9wavefront6targetE0EEEvT1_,"axG",@progbits,_ZN7rocprim17ROCPRIM_400000_NS6detail17trampoline_kernelINS0_14default_configENS1_25partition_config_selectorILNS1_17partition_subalgoE9EllbEEZZNS1_14partition_implILS5_9ELb0ES3_jPlS8_PNS0_10empty_typeENS0_5tupleIJS8_S9_EEENSB_IJS8_SA_EEENS0_18inequality_wrapperIZN2at6native12_GLOBAL__N_124unique_dim_cuda_templateIaEESt5tupleIJNSF_6TensorESK_SK_EERKSK_lbbbEUlllE0_EEPmJS9_EEE10hipError_tPvRmT3_T4_T5_T6_T7_T9_mT8_P12ihipStream_tbDpT10_ENKUlT_T0_E_clISt17integral_constantIbLb0EES19_IbLb1EEEEDaS15_S16_EUlS15_E_NS1_11comp_targetILNS1_3genE9ELNS1_11target_archE1100ELNS1_3gpuE3ELNS1_3repE0EEENS1_30default_config_static_selectorELNS0_4arch9wavefront6targetE0EEEvT1_,comdat
	.globl	_ZN7rocprim17ROCPRIM_400000_NS6detail17trampoline_kernelINS0_14default_configENS1_25partition_config_selectorILNS1_17partition_subalgoE9EllbEEZZNS1_14partition_implILS5_9ELb0ES3_jPlS8_PNS0_10empty_typeENS0_5tupleIJS8_S9_EEENSB_IJS8_SA_EEENS0_18inequality_wrapperIZN2at6native12_GLOBAL__N_124unique_dim_cuda_templateIaEESt5tupleIJNSF_6TensorESK_SK_EERKSK_lbbbEUlllE0_EEPmJS9_EEE10hipError_tPvRmT3_T4_T5_T6_T7_T9_mT8_P12ihipStream_tbDpT10_ENKUlT_T0_E_clISt17integral_constantIbLb0EES19_IbLb1EEEEDaS15_S16_EUlS15_E_NS1_11comp_targetILNS1_3genE9ELNS1_11target_archE1100ELNS1_3gpuE3ELNS1_3repE0EEENS1_30default_config_static_selectorELNS0_4arch9wavefront6targetE0EEEvT1_ ; -- Begin function _ZN7rocprim17ROCPRIM_400000_NS6detail17trampoline_kernelINS0_14default_configENS1_25partition_config_selectorILNS1_17partition_subalgoE9EllbEEZZNS1_14partition_implILS5_9ELb0ES3_jPlS8_PNS0_10empty_typeENS0_5tupleIJS8_S9_EEENSB_IJS8_SA_EEENS0_18inequality_wrapperIZN2at6native12_GLOBAL__N_124unique_dim_cuda_templateIaEESt5tupleIJNSF_6TensorESK_SK_EERKSK_lbbbEUlllE0_EEPmJS9_EEE10hipError_tPvRmT3_T4_T5_T6_T7_T9_mT8_P12ihipStream_tbDpT10_ENKUlT_T0_E_clISt17integral_constantIbLb0EES19_IbLb1EEEEDaS15_S16_EUlS15_E_NS1_11comp_targetILNS1_3genE9ELNS1_11target_archE1100ELNS1_3gpuE3ELNS1_3repE0EEENS1_30default_config_static_selectorELNS0_4arch9wavefront6targetE0EEEvT1_
	.p2align	8
	.type	_ZN7rocprim17ROCPRIM_400000_NS6detail17trampoline_kernelINS0_14default_configENS1_25partition_config_selectorILNS1_17partition_subalgoE9EllbEEZZNS1_14partition_implILS5_9ELb0ES3_jPlS8_PNS0_10empty_typeENS0_5tupleIJS8_S9_EEENSB_IJS8_SA_EEENS0_18inequality_wrapperIZN2at6native12_GLOBAL__N_124unique_dim_cuda_templateIaEESt5tupleIJNSF_6TensorESK_SK_EERKSK_lbbbEUlllE0_EEPmJS9_EEE10hipError_tPvRmT3_T4_T5_T6_T7_T9_mT8_P12ihipStream_tbDpT10_ENKUlT_T0_E_clISt17integral_constantIbLb0EES19_IbLb1EEEEDaS15_S16_EUlS15_E_NS1_11comp_targetILNS1_3genE9ELNS1_11target_archE1100ELNS1_3gpuE3ELNS1_3repE0EEENS1_30default_config_static_selectorELNS0_4arch9wavefront6targetE0EEEvT1_,@function
_ZN7rocprim17ROCPRIM_400000_NS6detail17trampoline_kernelINS0_14default_configENS1_25partition_config_selectorILNS1_17partition_subalgoE9EllbEEZZNS1_14partition_implILS5_9ELb0ES3_jPlS8_PNS0_10empty_typeENS0_5tupleIJS8_S9_EEENSB_IJS8_SA_EEENS0_18inequality_wrapperIZN2at6native12_GLOBAL__N_124unique_dim_cuda_templateIaEESt5tupleIJNSF_6TensorESK_SK_EERKSK_lbbbEUlllE0_EEPmJS9_EEE10hipError_tPvRmT3_T4_T5_T6_T7_T9_mT8_P12ihipStream_tbDpT10_ENKUlT_T0_E_clISt17integral_constantIbLb0EES19_IbLb1EEEEDaS15_S16_EUlS15_E_NS1_11comp_targetILNS1_3genE9ELNS1_11target_archE1100ELNS1_3gpuE3ELNS1_3repE0EEENS1_30default_config_static_selectorELNS0_4arch9wavefront6targetE0EEEvT1_: ; @_ZN7rocprim17ROCPRIM_400000_NS6detail17trampoline_kernelINS0_14default_configENS1_25partition_config_selectorILNS1_17partition_subalgoE9EllbEEZZNS1_14partition_implILS5_9ELb0ES3_jPlS8_PNS0_10empty_typeENS0_5tupleIJS8_S9_EEENSB_IJS8_SA_EEENS0_18inequality_wrapperIZN2at6native12_GLOBAL__N_124unique_dim_cuda_templateIaEESt5tupleIJNSF_6TensorESK_SK_EERKSK_lbbbEUlllE0_EEPmJS9_EEE10hipError_tPvRmT3_T4_T5_T6_T7_T9_mT8_P12ihipStream_tbDpT10_ENKUlT_T0_E_clISt17integral_constantIbLb0EES19_IbLb1EEEEDaS15_S16_EUlS15_E_NS1_11comp_targetILNS1_3genE9ELNS1_11target_archE1100ELNS1_3gpuE3ELNS1_3repE0EEENS1_30default_config_static_selectorELNS0_4arch9wavefront6targetE0EEEvT1_
; %bb.0:
	.section	.rodata,"a",@progbits
	.p2align	6, 0x0
	.amdhsa_kernel _ZN7rocprim17ROCPRIM_400000_NS6detail17trampoline_kernelINS0_14default_configENS1_25partition_config_selectorILNS1_17partition_subalgoE9EllbEEZZNS1_14partition_implILS5_9ELb0ES3_jPlS8_PNS0_10empty_typeENS0_5tupleIJS8_S9_EEENSB_IJS8_SA_EEENS0_18inequality_wrapperIZN2at6native12_GLOBAL__N_124unique_dim_cuda_templateIaEESt5tupleIJNSF_6TensorESK_SK_EERKSK_lbbbEUlllE0_EEPmJS9_EEE10hipError_tPvRmT3_T4_T5_T6_T7_T9_mT8_P12ihipStream_tbDpT10_ENKUlT_T0_E_clISt17integral_constantIbLb0EES19_IbLb1EEEEDaS15_S16_EUlS15_E_NS1_11comp_targetILNS1_3genE9ELNS1_11target_archE1100ELNS1_3gpuE3ELNS1_3repE0EEENS1_30default_config_static_selectorELNS0_4arch9wavefront6targetE0EEEvT1_
		.amdhsa_group_segment_fixed_size 0
		.amdhsa_private_segment_fixed_size 0
		.amdhsa_kernarg_size 136
		.amdhsa_user_sgpr_count 2
		.amdhsa_user_sgpr_dispatch_ptr 0
		.amdhsa_user_sgpr_queue_ptr 0
		.amdhsa_user_sgpr_kernarg_segment_ptr 1
		.amdhsa_user_sgpr_dispatch_id 0
		.amdhsa_user_sgpr_kernarg_preload_length 0
		.amdhsa_user_sgpr_kernarg_preload_offset 0
		.amdhsa_user_sgpr_private_segment_size 0
		.amdhsa_wavefront_size32 1
		.amdhsa_uses_dynamic_stack 0
		.amdhsa_enable_private_segment 0
		.amdhsa_system_sgpr_workgroup_id_x 1
		.amdhsa_system_sgpr_workgroup_id_y 0
		.amdhsa_system_sgpr_workgroup_id_z 0
		.amdhsa_system_sgpr_workgroup_info 0
		.amdhsa_system_vgpr_workitem_id 0
		.amdhsa_next_free_vgpr 1
		.amdhsa_next_free_sgpr 1
		.amdhsa_named_barrier_count 0
		.amdhsa_reserve_vcc 0
		.amdhsa_float_round_mode_32 0
		.amdhsa_float_round_mode_16_64 0
		.amdhsa_float_denorm_mode_32 3
		.amdhsa_float_denorm_mode_16_64 3
		.amdhsa_fp16_overflow 0
		.amdhsa_memory_ordered 1
		.amdhsa_forward_progress 1
		.amdhsa_inst_pref_size 0
		.amdhsa_round_robin_scheduling 0
		.amdhsa_exception_fp_ieee_invalid_op 0
		.amdhsa_exception_fp_denorm_src 0
		.amdhsa_exception_fp_ieee_div_zero 0
		.amdhsa_exception_fp_ieee_overflow 0
		.amdhsa_exception_fp_ieee_underflow 0
		.amdhsa_exception_fp_ieee_inexact 0
		.amdhsa_exception_int_div_zero 0
	.end_amdhsa_kernel
	.section	.text._ZN7rocprim17ROCPRIM_400000_NS6detail17trampoline_kernelINS0_14default_configENS1_25partition_config_selectorILNS1_17partition_subalgoE9EllbEEZZNS1_14partition_implILS5_9ELb0ES3_jPlS8_PNS0_10empty_typeENS0_5tupleIJS8_S9_EEENSB_IJS8_SA_EEENS0_18inequality_wrapperIZN2at6native12_GLOBAL__N_124unique_dim_cuda_templateIaEESt5tupleIJNSF_6TensorESK_SK_EERKSK_lbbbEUlllE0_EEPmJS9_EEE10hipError_tPvRmT3_T4_T5_T6_T7_T9_mT8_P12ihipStream_tbDpT10_ENKUlT_T0_E_clISt17integral_constantIbLb0EES19_IbLb1EEEEDaS15_S16_EUlS15_E_NS1_11comp_targetILNS1_3genE9ELNS1_11target_archE1100ELNS1_3gpuE3ELNS1_3repE0EEENS1_30default_config_static_selectorELNS0_4arch9wavefront6targetE0EEEvT1_,"axG",@progbits,_ZN7rocprim17ROCPRIM_400000_NS6detail17trampoline_kernelINS0_14default_configENS1_25partition_config_selectorILNS1_17partition_subalgoE9EllbEEZZNS1_14partition_implILS5_9ELb0ES3_jPlS8_PNS0_10empty_typeENS0_5tupleIJS8_S9_EEENSB_IJS8_SA_EEENS0_18inequality_wrapperIZN2at6native12_GLOBAL__N_124unique_dim_cuda_templateIaEESt5tupleIJNSF_6TensorESK_SK_EERKSK_lbbbEUlllE0_EEPmJS9_EEE10hipError_tPvRmT3_T4_T5_T6_T7_T9_mT8_P12ihipStream_tbDpT10_ENKUlT_T0_E_clISt17integral_constantIbLb0EES19_IbLb1EEEEDaS15_S16_EUlS15_E_NS1_11comp_targetILNS1_3genE9ELNS1_11target_archE1100ELNS1_3gpuE3ELNS1_3repE0EEENS1_30default_config_static_selectorELNS0_4arch9wavefront6targetE0EEEvT1_,comdat
.Lfunc_end381:
	.size	_ZN7rocprim17ROCPRIM_400000_NS6detail17trampoline_kernelINS0_14default_configENS1_25partition_config_selectorILNS1_17partition_subalgoE9EllbEEZZNS1_14partition_implILS5_9ELb0ES3_jPlS8_PNS0_10empty_typeENS0_5tupleIJS8_S9_EEENSB_IJS8_SA_EEENS0_18inequality_wrapperIZN2at6native12_GLOBAL__N_124unique_dim_cuda_templateIaEESt5tupleIJNSF_6TensorESK_SK_EERKSK_lbbbEUlllE0_EEPmJS9_EEE10hipError_tPvRmT3_T4_T5_T6_T7_T9_mT8_P12ihipStream_tbDpT10_ENKUlT_T0_E_clISt17integral_constantIbLb0EES19_IbLb1EEEEDaS15_S16_EUlS15_E_NS1_11comp_targetILNS1_3genE9ELNS1_11target_archE1100ELNS1_3gpuE3ELNS1_3repE0EEENS1_30default_config_static_selectorELNS0_4arch9wavefront6targetE0EEEvT1_, .Lfunc_end381-_ZN7rocprim17ROCPRIM_400000_NS6detail17trampoline_kernelINS0_14default_configENS1_25partition_config_selectorILNS1_17partition_subalgoE9EllbEEZZNS1_14partition_implILS5_9ELb0ES3_jPlS8_PNS0_10empty_typeENS0_5tupleIJS8_S9_EEENSB_IJS8_SA_EEENS0_18inequality_wrapperIZN2at6native12_GLOBAL__N_124unique_dim_cuda_templateIaEESt5tupleIJNSF_6TensorESK_SK_EERKSK_lbbbEUlllE0_EEPmJS9_EEE10hipError_tPvRmT3_T4_T5_T6_T7_T9_mT8_P12ihipStream_tbDpT10_ENKUlT_T0_E_clISt17integral_constantIbLb0EES19_IbLb1EEEEDaS15_S16_EUlS15_E_NS1_11comp_targetILNS1_3genE9ELNS1_11target_archE1100ELNS1_3gpuE3ELNS1_3repE0EEENS1_30default_config_static_selectorELNS0_4arch9wavefront6targetE0EEEvT1_
                                        ; -- End function
	.set _ZN7rocprim17ROCPRIM_400000_NS6detail17trampoline_kernelINS0_14default_configENS1_25partition_config_selectorILNS1_17partition_subalgoE9EllbEEZZNS1_14partition_implILS5_9ELb0ES3_jPlS8_PNS0_10empty_typeENS0_5tupleIJS8_S9_EEENSB_IJS8_SA_EEENS0_18inequality_wrapperIZN2at6native12_GLOBAL__N_124unique_dim_cuda_templateIaEESt5tupleIJNSF_6TensorESK_SK_EERKSK_lbbbEUlllE0_EEPmJS9_EEE10hipError_tPvRmT3_T4_T5_T6_T7_T9_mT8_P12ihipStream_tbDpT10_ENKUlT_T0_E_clISt17integral_constantIbLb0EES19_IbLb1EEEEDaS15_S16_EUlS15_E_NS1_11comp_targetILNS1_3genE9ELNS1_11target_archE1100ELNS1_3gpuE3ELNS1_3repE0EEENS1_30default_config_static_selectorELNS0_4arch9wavefront6targetE0EEEvT1_.num_vgpr, 0
	.set _ZN7rocprim17ROCPRIM_400000_NS6detail17trampoline_kernelINS0_14default_configENS1_25partition_config_selectorILNS1_17partition_subalgoE9EllbEEZZNS1_14partition_implILS5_9ELb0ES3_jPlS8_PNS0_10empty_typeENS0_5tupleIJS8_S9_EEENSB_IJS8_SA_EEENS0_18inequality_wrapperIZN2at6native12_GLOBAL__N_124unique_dim_cuda_templateIaEESt5tupleIJNSF_6TensorESK_SK_EERKSK_lbbbEUlllE0_EEPmJS9_EEE10hipError_tPvRmT3_T4_T5_T6_T7_T9_mT8_P12ihipStream_tbDpT10_ENKUlT_T0_E_clISt17integral_constantIbLb0EES19_IbLb1EEEEDaS15_S16_EUlS15_E_NS1_11comp_targetILNS1_3genE9ELNS1_11target_archE1100ELNS1_3gpuE3ELNS1_3repE0EEENS1_30default_config_static_selectorELNS0_4arch9wavefront6targetE0EEEvT1_.num_agpr, 0
	.set _ZN7rocprim17ROCPRIM_400000_NS6detail17trampoline_kernelINS0_14default_configENS1_25partition_config_selectorILNS1_17partition_subalgoE9EllbEEZZNS1_14partition_implILS5_9ELb0ES3_jPlS8_PNS0_10empty_typeENS0_5tupleIJS8_S9_EEENSB_IJS8_SA_EEENS0_18inequality_wrapperIZN2at6native12_GLOBAL__N_124unique_dim_cuda_templateIaEESt5tupleIJNSF_6TensorESK_SK_EERKSK_lbbbEUlllE0_EEPmJS9_EEE10hipError_tPvRmT3_T4_T5_T6_T7_T9_mT8_P12ihipStream_tbDpT10_ENKUlT_T0_E_clISt17integral_constantIbLb0EES19_IbLb1EEEEDaS15_S16_EUlS15_E_NS1_11comp_targetILNS1_3genE9ELNS1_11target_archE1100ELNS1_3gpuE3ELNS1_3repE0EEENS1_30default_config_static_selectorELNS0_4arch9wavefront6targetE0EEEvT1_.numbered_sgpr, 0
	.set _ZN7rocprim17ROCPRIM_400000_NS6detail17trampoline_kernelINS0_14default_configENS1_25partition_config_selectorILNS1_17partition_subalgoE9EllbEEZZNS1_14partition_implILS5_9ELb0ES3_jPlS8_PNS0_10empty_typeENS0_5tupleIJS8_S9_EEENSB_IJS8_SA_EEENS0_18inequality_wrapperIZN2at6native12_GLOBAL__N_124unique_dim_cuda_templateIaEESt5tupleIJNSF_6TensorESK_SK_EERKSK_lbbbEUlllE0_EEPmJS9_EEE10hipError_tPvRmT3_T4_T5_T6_T7_T9_mT8_P12ihipStream_tbDpT10_ENKUlT_T0_E_clISt17integral_constantIbLb0EES19_IbLb1EEEEDaS15_S16_EUlS15_E_NS1_11comp_targetILNS1_3genE9ELNS1_11target_archE1100ELNS1_3gpuE3ELNS1_3repE0EEENS1_30default_config_static_selectorELNS0_4arch9wavefront6targetE0EEEvT1_.num_named_barrier, 0
	.set _ZN7rocprim17ROCPRIM_400000_NS6detail17trampoline_kernelINS0_14default_configENS1_25partition_config_selectorILNS1_17partition_subalgoE9EllbEEZZNS1_14partition_implILS5_9ELb0ES3_jPlS8_PNS0_10empty_typeENS0_5tupleIJS8_S9_EEENSB_IJS8_SA_EEENS0_18inequality_wrapperIZN2at6native12_GLOBAL__N_124unique_dim_cuda_templateIaEESt5tupleIJNSF_6TensorESK_SK_EERKSK_lbbbEUlllE0_EEPmJS9_EEE10hipError_tPvRmT3_T4_T5_T6_T7_T9_mT8_P12ihipStream_tbDpT10_ENKUlT_T0_E_clISt17integral_constantIbLb0EES19_IbLb1EEEEDaS15_S16_EUlS15_E_NS1_11comp_targetILNS1_3genE9ELNS1_11target_archE1100ELNS1_3gpuE3ELNS1_3repE0EEENS1_30default_config_static_selectorELNS0_4arch9wavefront6targetE0EEEvT1_.private_seg_size, 0
	.set _ZN7rocprim17ROCPRIM_400000_NS6detail17trampoline_kernelINS0_14default_configENS1_25partition_config_selectorILNS1_17partition_subalgoE9EllbEEZZNS1_14partition_implILS5_9ELb0ES3_jPlS8_PNS0_10empty_typeENS0_5tupleIJS8_S9_EEENSB_IJS8_SA_EEENS0_18inequality_wrapperIZN2at6native12_GLOBAL__N_124unique_dim_cuda_templateIaEESt5tupleIJNSF_6TensorESK_SK_EERKSK_lbbbEUlllE0_EEPmJS9_EEE10hipError_tPvRmT3_T4_T5_T6_T7_T9_mT8_P12ihipStream_tbDpT10_ENKUlT_T0_E_clISt17integral_constantIbLb0EES19_IbLb1EEEEDaS15_S16_EUlS15_E_NS1_11comp_targetILNS1_3genE9ELNS1_11target_archE1100ELNS1_3gpuE3ELNS1_3repE0EEENS1_30default_config_static_selectorELNS0_4arch9wavefront6targetE0EEEvT1_.uses_vcc, 0
	.set _ZN7rocprim17ROCPRIM_400000_NS6detail17trampoline_kernelINS0_14default_configENS1_25partition_config_selectorILNS1_17partition_subalgoE9EllbEEZZNS1_14partition_implILS5_9ELb0ES3_jPlS8_PNS0_10empty_typeENS0_5tupleIJS8_S9_EEENSB_IJS8_SA_EEENS0_18inequality_wrapperIZN2at6native12_GLOBAL__N_124unique_dim_cuda_templateIaEESt5tupleIJNSF_6TensorESK_SK_EERKSK_lbbbEUlllE0_EEPmJS9_EEE10hipError_tPvRmT3_T4_T5_T6_T7_T9_mT8_P12ihipStream_tbDpT10_ENKUlT_T0_E_clISt17integral_constantIbLb0EES19_IbLb1EEEEDaS15_S16_EUlS15_E_NS1_11comp_targetILNS1_3genE9ELNS1_11target_archE1100ELNS1_3gpuE3ELNS1_3repE0EEENS1_30default_config_static_selectorELNS0_4arch9wavefront6targetE0EEEvT1_.uses_flat_scratch, 0
	.set _ZN7rocprim17ROCPRIM_400000_NS6detail17trampoline_kernelINS0_14default_configENS1_25partition_config_selectorILNS1_17partition_subalgoE9EllbEEZZNS1_14partition_implILS5_9ELb0ES3_jPlS8_PNS0_10empty_typeENS0_5tupleIJS8_S9_EEENSB_IJS8_SA_EEENS0_18inequality_wrapperIZN2at6native12_GLOBAL__N_124unique_dim_cuda_templateIaEESt5tupleIJNSF_6TensorESK_SK_EERKSK_lbbbEUlllE0_EEPmJS9_EEE10hipError_tPvRmT3_T4_T5_T6_T7_T9_mT8_P12ihipStream_tbDpT10_ENKUlT_T0_E_clISt17integral_constantIbLb0EES19_IbLb1EEEEDaS15_S16_EUlS15_E_NS1_11comp_targetILNS1_3genE9ELNS1_11target_archE1100ELNS1_3gpuE3ELNS1_3repE0EEENS1_30default_config_static_selectorELNS0_4arch9wavefront6targetE0EEEvT1_.has_dyn_sized_stack, 0
	.set _ZN7rocprim17ROCPRIM_400000_NS6detail17trampoline_kernelINS0_14default_configENS1_25partition_config_selectorILNS1_17partition_subalgoE9EllbEEZZNS1_14partition_implILS5_9ELb0ES3_jPlS8_PNS0_10empty_typeENS0_5tupleIJS8_S9_EEENSB_IJS8_SA_EEENS0_18inequality_wrapperIZN2at6native12_GLOBAL__N_124unique_dim_cuda_templateIaEESt5tupleIJNSF_6TensorESK_SK_EERKSK_lbbbEUlllE0_EEPmJS9_EEE10hipError_tPvRmT3_T4_T5_T6_T7_T9_mT8_P12ihipStream_tbDpT10_ENKUlT_T0_E_clISt17integral_constantIbLb0EES19_IbLb1EEEEDaS15_S16_EUlS15_E_NS1_11comp_targetILNS1_3genE9ELNS1_11target_archE1100ELNS1_3gpuE3ELNS1_3repE0EEENS1_30default_config_static_selectorELNS0_4arch9wavefront6targetE0EEEvT1_.has_recursion, 0
	.set _ZN7rocprim17ROCPRIM_400000_NS6detail17trampoline_kernelINS0_14default_configENS1_25partition_config_selectorILNS1_17partition_subalgoE9EllbEEZZNS1_14partition_implILS5_9ELb0ES3_jPlS8_PNS0_10empty_typeENS0_5tupleIJS8_S9_EEENSB_IJS8_SA_EEENS0_18inequality_wrapperIZN2at6native12_GLOBAL__N_124unique_dim_cuda_templateIaEESt5tupleIJNSF_6TensorESK_SK_EERKSK_lbbbEUlllE0_EEPmJS9_EEE10hipError_tPvRmT3_T4_T5_T6_T7_T9_mT8_P12ihipStream_tbDpT10_ENKUlT_T0_E_clISt17integral_constantIbLb0EES19_IbLb1EEEEDaS15_S16_EUlS15_E_NS1_11comp_targetILNS1_3genE9ELNS1_11target_archE1100ELNS1_3gpuE3ELNS1_3repE0EEENS1_30default_config_static_selectorELNS0_4arch9wavefront6targetE0EEEvT1_.has_indirect_call, 0
	.section	.AMDGPU.csdata,"",@progbits
; Kernel info:
; codeLenInByte = 0
; TotalNumSgprs: 0
; NumVgprs: 0
; ScratchSize: 0
; MemoryBound: 0
; FloatMode: 240
; IeeeMode: 1
; LDSByteSize: 0 bytes/workgroup (compile time only)
; SGPRBlocks: 0
; VGPRBlocks: 0
; NumSGPRsForWavesPerEU: 1
; NumVGPRsForWavesPerEU: 1
; NamedBarCnt: 0
; Occupancy: 16
; WaveLimiterHint : 0
; COMPUTE_PGM_RSRC2:SCRATCH_EN: 0
; COMPUTE_PGM_RSRC2:USER_SGPR: 2
; COMPUTE_PGM_RSRC2:TRAP_HANDLER: 0
; COMPUTE_PGM_RSRC2:TGID_X_EN: 1
; COMPUTE_PGM_RSRC2:TGID_Y_EN: 0
; COMPUTE_PGM_RSRC2:TGID_Z_EN: 0
; COMPUTE_PGM_RSRC2:TIDIG_COMP_CNT: 0
	.section	.text._ZN7rocprim17ROCPRIM_400000_NS6detail17trampoline_kernelINS0_14default_configENS1_25partition_config_selectorILNS1_17partition_subalgoE9EllbEEZZNS1_14partition_implILS5_9ELb0ES3_jPlS8_PNS0_10empty_typeENS0_5tupleIJS8_S9_EEENSB_IJS8_SA_EEENS0_18inequality_wrapperIZN2at6native12_GLOBAL__N_124unique_dim_cuda_templateIaEESt5tupleIJNSF_6TensorESK_SK_EERKSK_lbbbEUlllE0_EEPmJS9_EEE10hipError_tPvRmT3_T4_T5_T6_T7_T9_mT8_P12ihipStream_tbDpT10_ENKUlT_T0_E_clISt17integral_constantIbLb0EES19_IbLb1EEEEDaS15_S16_EUlS15_E_NS1_11comp_targetILNS1_3genE8ELNS1_11target_archE1030ELNS1_3gpuE2ELNS1_3repE0EEENS1_30default_config_static_selectorELNS0_4arch9wavefront6targetE0EEEvT1_,"axG",@progbits,_ZN7rocprim17ROCPRIM_400000_NS6detail17trampoline_kernelINS0_14default_configENS1_25partition_config_selectorILNS1_17partition_subalgoE9EllbEEZZNS1_14partition_implILS5_9ELb0ES3_jPlS8_PNS0_10empty_typeENS0_5tupleIJS8_S9_EEENSB_IJS8_SA_EEENS0_18inequality_wrapperIZN2at6native12_GLOBAL__N_124unique_dim_cuda_templateIaEESt5tupleIJNSF_6TensorESK_SK_EERKSK_lbbbEUlllE0_EEPmJS9_EEE10hipError_tPvRmT3_T4_T5_T6_T7_T9_mT8_P12ihipStream_tbDpT10_ENKUlT_T0_E_clISt17integral_constantIbLb0EES19_IbLb1EEEEDaS15_S16_EUlS15_E_NS1_11comp_targetILNS1_3genE8ELNS1_11target_archE1030ELNS1_3gpuE2ELNS1_3repE0EEENS1_30default_config_static_selectorELNS0_4arch9wavefront6targetE0EEEvT1_,comdat
	.globl	_ZN7rocprim17ROCPRIM_400000_NS6detail17trampoline_kernelINS0_14default_configENS1_25partition_config_selectorILNS1_17partition_subalgoE9EllbEEZZNS1_14partition_implILS5_9ELb0ES3_jPlS8_PNS0_10empty_typeENS0_5tupleIJS8_S9_EEENSB_IJS8_SA_EEENS0_18inequality_wrapperIZN2at6native12_GLOBAL__N_124unique_dim_cuda_templateIaEESt5tupleIJNSF_6TensorESK_SK_EERKSK_lbbbEUlllE0_EEPmJS9_EEE10hipError_tPvRmT3_T4_T5_T6_T7_T9_mT8_P12ihipStream_tbDpT10_ENKUlT_T0_E_clISt17integral_constantIbLb0EES19_IbLb1EEEEDaS15_S16_EUlS15_E_NS1_11comp_targetILNS1_3genE8ELNS1_11target_archE1030ELNS1_3gpuE2ELNS1_3repE0EEENS1_30default_config_static_selectorELNS0_4arch9wavefront6targetE0EEEvT1_ ; -- Begin function _ZN7rocprim17ROCPRIM_400000_NS6detail17trampoline_kernelINS0_14default_configENS1_25partition_config_selectorILNS1_17partition_subalgoE9EllbEEZZNS1_14partition_implILS5_9ELb0ES3_jPlS8_PNS0_10empty_typeENS0_5tupleIJS8_S9_EEENSB_IJS8_SA_EEENS0_18inequality_wrapperIZN2at6native12_GLOBAL__N_124unique_dim_cuda_templateIaEESt5tupleIJNSF_6TensorESK_SK_EERKSK_lbbbEUlllE0_EEPmJS9_EEE10hipError_tPvRmT3_T4_T5_T6_T7_T9_mT8_P12ihipStream_tbDpT10_ENKUlT_T0_E_clISt17integral_constantIbLb0EES19_IbLb1EEEEDaS15_S16_EUlS15_E_NS1_11comp_targetILNS1_3genE8ELNS1_11target_archE1030ELNS1_3gpuE2ELNS1_3repE0EEENS1_30default_config_static_selectorELNS0_4arch9wavefront6targetE0EEEvT1_
	.p2align	8
	.type	_ZN7rocprim17ROCPRIM_400000_NS6detail17trampoline_kernelINS0_14default_configENS1_25partition_config_selectorILNS1_17partition_subalgoE9EllbEEZZNS1_14partition_implILS5_9ELb0ES3_jPlS8_PNS0_10empty_typeENS0_5tupleIJS8_S9_EEENSB_IJS8_SA_EEENS0_18inequality_wrapperIZN2at6native12_GLOBAL__N_124unique_dim_cuda_templateIaEESt5tupleIJNSF_6TensorESK_SK_EERKSK_lbbbEUlllE0_EEPmJS9_EEE10hipError_tPvRmT3_T4_T5_T6_T7_T9_mT8_P12ihipStream_tbDpT10_ENKUlT_T0_E_clISt17integral_constantIbLb0EES19_IbLb1EEEEDaS15_S16_EUlS15_E_NS1_11comp_targetILNS1_3genE8ELNS1_11target_archE1030ELNS1_3gpuE2ELNS1_3repE0EEENS1_30default_config_static_selectorELNS0_4arch9wavefront6targetE0EEEvT1_,@function
_ZN7rocprim17ROCPRIM_400000_NS6detail17trampoline_kernelINS0_14default_configENS1_25partition_config_selectorILNS1_17partition_subalgoE9EllbEEZZNS1_14partition_implILS5_9ELb0ES3_jPlS8_PNS0_10empty_typeENS0_5tupleIJS8_S9_EEENSB_IJS8_SA_EEENS0_18inequality_wrapperIZN2at6native12_GLOBAL__N_124unique_dim_cuda_templateIaEESt5tupleIJNSF_6TensorESK_SK_EERKSK_lbbbEUlllE0_EEPmJS9_EEE10hipError_tPvRmT3_T4_T5_T6_T7_T9_mT8_P12ihipStream_tbDpT10_ENKUlT_T0_E_clISt17integral_constantIbLb0EES19_IbLb1EEEEDaS15_S16_EUlS15_E_NS1_11comp_targetILNS1_3genE8ELNS1_11target_archE1030ELNS1_3gpuE2ELNS1_3repE0EEENS1_30default_config_static_selectorELNS0_4arch9wavefront6targetE0EEEvT1_: ; @_ZN7rocprim17ROCPRIM_400000_NS6detail17trampoline_kernelINS0_14default_configENS1_25partition_config_selectorILNS1_17partition_subalgoE9EllbEEZZNS1_14partition_implILS5_9ELb0ES3_jPlS8_PNS0_10empty_typeENS0_5tupleIJS8_S9_EEENSB_IJS8_SA_EEENS0_18inequality_wrapperIZN2at6native12_GLOBAL__N_124unique_dim_cuda_templateIaEESt5tupleIJNSF_6TensorESK_SK_EERKSK_lbbbEUlllE0_EEPmJS9_EEE10hipError_tPvRmT3_T4_T5_T6_T7_T9_mT8_P12ihipStream_tbDpT10_ENKUlT_T0_E_clISt17integral_constantIbLb0EES19_IbLb1EEEEDaS15_S16_EUlS15_E_NS1_11comp_targetILNS1_3genE8ELNS1_11target_archE1030ELNS1_3gpuE2ELNS1_3repE0EEENS1_30default_config_static_selectorELNS0_4arch9wavefront6targetE0EEEvT1_
; %bb.0:
	.section	.rodata,"a",@progbits
	.p2align	6, 0x0
	.amdhsa_kernel _ZN7rocprim17ROCPRIM_400000_NS6detail17trampoline_kernelINS0_14default_configENS1_25partition_config_selectorILNS1_17partition_subalgoE9EllbEEZZNS1_14partition_implILS5_9ELb0ES3_jPlS8_PNS0_10empty_typeENS0_5tupleIJS8_S9_EEENSB_IJS8_SA_EEENS0_18inequality_wrapperIZN2at6native12_GLOBAL__N_124unique_dim_cuda_templateIaEESt5tupleIJNSF_6TensorESK_SK_EERKSK_lbbbEUlllE0_EEPmJS9_EEE10hipError_tPvRmT3_T4_T5_T6_T7_T9_mT8_P12ihipStream_tbDpT10_ENKUlT_T0_E_clISt17integral_constantIbLb0EES19_IbLb1EEEEDaS15_S16_EUlS15_E_NS1_11comp_targetILNS1_3genE8ELNS1_11target_archE1030ELNS1_3gpuE2ELNS1_3repE0EEENS1_30default_config_static_selectorELNS0_4arch9wavefront6targetE0EEEvT1_
		.amdhsa_group_segment_fixed_size 0
		.amdhsa_private_segment_fixed_size 0
		.amdhsa_kernarg_size 136
		.amdhsa_user_sgpr_count 2
		.amdhsa_user_sgpr_dispatch_ptr 0
		.amdhsa_user_sgpr_queue_ptr 0
		.amdhsa_user_sgpr_kernarg_segment_ptr 1
		.amdhsa_user_sgpr_dispatch_id 0
		.amdhsa_user_sgpr_kernarg_preload_length 0
		.amdhsa_user_sgpr_kernarg_preload_offset 0
		.amdhsa_user_sgpr_private_segment_size 0
		.amdhsa_wavefront_size32 1
		.amdhsa_uses_dynamic_stack 0
		.amdhsa_enable_private_segment 0
		.amdhsa_system_sgpr_workgroup_id_x 1
		.amdhsa_system_sgpr_workgroup_id_y 0
		.amdhsa_system_sgpr_workgroup_id_z 0
		.amdhsa_system_sgpr_workgroup_info 0
		.amdhsa_system_vgpr_workitem_id 0
		.amdhsa_next_free_vgpr 1
		.amdhsa_next_free_sgpr 1
		.amdhsa_named_barrier_count 0
		.amdhsa_reserve_vcc 0
		.amdhsa_float_round_mode_32 0
		.amdhsa_float_round_mode_16_64 0
		.amdhsa_float_denorm_mode_32 3
		.amdhsa_float_denorm_mode_16_64 3
		.amdhsa_fp16_overflow 0
		.amdhsa_memory_ordered 1
		.amdhsa_forward_progress 1
		.amdhsa_inst_pref_size 0
		.amdhsa_round_robin_scheduling 0
		.amdhsa_exception_fp_ieee_invalid_op 0
		.amdhsa_exception_fp_denorm_src 0
		.amdhsa_exception_fp_ieee_div_zero 0
		.amdhsa_exception_fp_ieee_overflow 0
		.amdhsa_exception_fp_ieee_underflow 0
		.amdhsa_exception_fp_ieee_inexact 0
		.amdhsa_exception_int_div_zero 0
	.end_amdhsa_kernel
	.section	.text._ZN7rocprim17ROCPRIM_400000_NS6detail17trampoline_kernelINS0_14default_configENS1_25partition_config_selectorILNS1_17partition_subalgoE9EllbEEZZNS1_14partition_implILS5_9ELb0ES3_jPlS8_PNS0_10empty_typeENS0_5tupleIJS8_S9_EEENSB_IJS8_SA_EEENS0_18inequality_wrapperIZN2at6native12_GLOBAL__N_124unique_dim_cuda_templateIaEESt5tupleIJNSF_6TensorESK_SK_EERKSK_lbbbEUlllE0_EEPmJS9_EEE10hipError_tPvRmT3_T4_T5_T6_T7_T9_mT8_P12ihipStream_tbDpT10_ENKUlT_T0_E_clISt17integral_constantIbLb0EES19_IbLb1EEEEDaS15_S16_EUlS15_E_NS1_11comp_targetILNS1_3genE8ELNS1_11target_archE1030ELNS1_3gpuE2ELNS1_3repE0EEENS1_30default_config_static_selectorELNS0_4arch9wavefront6targetE0EEEvT1_,"axG",@progbits,_ZN7rocprim17ROCPRIM_400000_NS6detail17trampoline_kernelINS0_14default_configENS1_25partition_config_selectorILNS1_17partition_subalgoE9EllbEEZZNS1_14partition_implILS5_9ELb0ES3_jPlS8_PNS0_10empty_typeENS0_5tupleIJS8_S9_EEENSB_IJS8_SA_EEENS0_18inequality_wrapperIZN2at6native12_GLOBAL__N_124unique_dim_cuda_templateIaEESt5tupleIJNSF_6TensorESK_SK_EERKSK_lbbbEUlllE0_EEPmJS9_EEE10hipError_tPvRmT3_T4_T5_T6_T7_T9_mT8_P12ihipStream_tbDpT10_ENKUlT_T0_E_clISt17integral_constantIbLb0EES19_IbLb1EEEEDaS15_S16_EUlS15_E_NS1_11comp_targetILNS1_3genE8ELNS1_11target_archE1030ELNS1_3gpuE2ELNS1_3repE0EEENS1_30default_config_static_selectorELNS0_4arch9wavefront6targetE0EEEvT1_,comdat
.Lfunc_end382:
	.size	_ZN7rocprim17ROCPRIM_400000_NS6detail17trampoline_kernelINS0_14default_configENS1_25partition_config_selectorILNS1_17partition_subalgoE9EllbEEZZNS1_14partition_implILS5_9ELb0ES3_jPlS8_PNS0_10empty_typeENS0_5tupleIJS8_S9_EEENSB_IJS8_SA_EEENS0_18inequality_wrapperIZN2at6native12_GLOBAL__N_124unique_dim_cuda_templateIaEESt5tupleIJNSF_6TensorESK_SK_EERKSK_lbbbEUlllE0_EEPmJS9_EEE10hipError_tPvRmT3_T4_T5_T6_T7_T9_mT8_P12ihipStream_tbDpT10_ENKUlT_T0_E_clISt17integral_constantIbLb0EES19_IbLb1EEEEDaS15_S16_EUlS15_E_NS1_11comp_targetILNS1_3genE8ELNS1_11target_archE1030ELNS1_3gpuE2ELNS1_3repE0EEENS1_30default_config_static_selectorELNS0_4arch9wavefront6targetE0EEEvT1_, .Lfunc_end382-_ZN7rocprim17ROCPRIM_400000_NS6detail17trampoline_kernelINS0_14default_configENS1_25partition_config_selectorILNS1_17partition_subalgoE9EllbEEZZNS1_14partition_implILS5_9ELb0ES3_jPlS8_PNS0_10empty_typeENS0_5tupleIJS8_S9_EEENSB_IJS8_SA_EEENS0_18inequality_wrapperIZN2at6native12_GLOBAL__N_124unique_dim_cuda_templateIaEESt5tupleIJNSF_6TensorESK_SK_EERKSK_lbbbEUlllE0_EEPmJS9_EEE10hipError_tPvRmT3_T4_T5_T6_T7_T9_mT8_P12ihipStream_tbDpT10_ENKUlT_T0_E_clISt17integral_constantIbLb0EES19_IbLb1EEEEDaS15_S16_EUlS15_E_NS1_11comp_targetILNS1_3genE8ELNS1_11target_archE1030ELNS1_3gpuE2ELNS1_3repE0EEENS1_30default_config_static_selectorELNS0_4arch9wavefront6targetE0EEEvT1_
                                        ; -- End function
	.set _ZN7rocprim17ROCPRIM_400000_NS6detail17trampoline_kernelINS0_14default_configENS1_25partition_config_selectorILNS1_17partition_subalgoE9EllbEEZZNS1_14partition_implILS5_9ELb0ES3_jPlS8_PNS0_10empty_typeENS0_5tupleIJS8_S9_EEENSB_IJS8_SA_EEENS0_18inequality_wrapperIZN2at6native12_GLOBAL__N_124unique_dim_cuda_templateIaEESt5tupleIJNSF_6TensorESK_SK_EERKSK_lbbbEUlllE0_EEPmJS9_EEE10hipError_tPvRmT3_T4_T5_T6_T7_T9_mT8_P12ihipStream_tbDpT10_ENKUlT_T0_E_clISt17integral_constantIbLb0EES19_IbLb1EEEEDaS15_S16_EUlS15_E_NS1_11comp_targetILNS1_3genE8ELNS1_11target_archE1030ELNS1_3gpuE2ELNS1_3repE0EEENS1_30default_config_static_selectorELNS0_4arch9wavefront6targetE0EEEvT1_.num_vgpr, 0
	.set _ZN7rocprim17ROCPRIM_400000_NS6detail17trampoline_kernelINS0_14default_configENS1_25partition_config_selectorILNS1_17partition_subalgoE9EllbEEZZNS1_14partition_implILS5_9ELb0ES3_jPlS8_PNS0_10empty_typeENS0_5tupleIJS8_S9_EEENSB_IJS8_SA_EEENS0_18inequality_wrapperIZN2at6native12_GLOBAL__N_124unique_dim_cuda_templateIaEESt5tupleIJNSF_6TensorESK_SK_EERKSK_lbbbEUlllE0_EEPmJS9_EEE10hipError_tPvRmT3_T4_T5_T6_T7_T9_mT8_P12ihipStream_tbDpT10_ENKUlT_T0_E_clISt17integral_constantIbLb0EES19_IbLb1EEEEDaS15_S16_EUlS15_E_NS1_11comp_targetILNS1_3genE8ELNS1_11target_archE1030ELNS1_3gpuE2ELNS1_3repE0EEENS1_30default_config_static_selectorELNS0_4arch9wavefront6targetE0EEEvT1_.num_agpr, 0
	.set _ZN7rocprim17ROCPRIM_400000_NS6detail17trampoline_kernelINS0_14default_configENS1_25partition_config_selectorILNS1_17partition_subalgoE9EllbEEZZNS1_14partition_implILS5_9ELb0ES3_jPlS8_PNS0_10empty_typeENS0_5tupleIJS8_S9_EEENSB_IJS8_SA_EEENS0_18inequality_wrapperIZN2at6native12_GLOBAL__N_124unique_dim_cuda_templateIaEESt5tupleIJNSF_6TensorESK_SK_EERKSK_lbbbEUlllE0_EEPmJS9_EEE10hipError_tPvRmT3_T4_T5_T6_T7_T9_mT8_P12ihipStream_tbDpT10_ENKUlT_T0_E_clISt17integral_constantIbLb0EES19_IbLb1EEEEDaS15_S16_EUlS15_E_NS1_11comp_targetILNS1_3genE8ELNS1_11target_archE1030ELNS1_3gpuE2ELNS1_3repE0EEENS1_30default_config_static_selectorELNS0_4arch9wavefront6targetE0EEEvT1_.numbered_sgpr, 0
	.set _ZN7rocprim17ROCPRIM_400000_NS6detail17trampoline_kernelINS0_14default_configENS1_25partition_config_selectorILNS1_17partition_subalgoE9EllbEEZZNS1_14partition_implILS5_9ELb0ES3_jPlS8_PNS0_10empty_typeENS0_5tupleIJS8_S9_EEENSB_IJS8_SA_EEENS0_18inequality_wrapperIZN2at6native12_GLOBAL__N_124unique_dim_cuda_templateIaEESt5tupleIJNSF_6TensorESK_SK_EERKSK_lbbbEUlllE0_EEPmJS9_EEE10hipError_tPvRmT3_T4_T5_T6_T7_T9_mT8_P12ihipStream_tbDpT10_ENKUlT_T0_E_clISt17integral_constantIbLb0EES19_IbLb1EEEEDaS15_S16_EUlS15_E_NS1_11comp_targetILNS1_3genE8ELNS1_11target_archE1030ELNS1_3gpuE2ELNS1_3repE0EEENS1_30default_config_static_selectorELNS0_4arch9wavefront6targetE0EEEvT1_.num_named_barrier, 0
	.set _ZN7rocprim17ROCPRIM_400000_NS6detail17trampoline_kernelINS0_14default_configENS1_25partition_config_selectorILNS1_17partition_subalgoE9EllbEEZZNS1_14partition_implILS5_9ELb0ES3_jPlS8_PNS0_10empty_typeENS0_5tupleIJS8_S9_EEENSB_IJS8_SA_EEENS0_18inequality_wrapperIZN2at6native12_GLOBAL__N_124unique_dim_cuda_templateIaEESt5tupleIJNSF_6TensorESK_SK_EERKSK_lbbbEUlllE0_EEPmJS9_EEE10hipError_tPvRmT3_T4_T5_T6_T7_T9_mT8_P12ihipStream_tbDpT10_ENKUlT_T0_E_clISt17integral_constantIbLb0EES19_IbLb1EEEEDaS15_S16_EUlS15_E_NS1_11comp_targetILNS1_3genE8ELNS1_11target_archE1030ELNS1_3gpuE2ELNS1_3repE0EEENS1_30default_config_static_selectorELNS0_4arch9wavefront6targetE0EEEvT1_.private_seg_size, 0
	.set _ZN7rocprim17ROCPRIM_400000_NS6detail17trampoline_kernelINS0_14default_configENS1_25partition_config_selectorILNS1_17partition_subalgoE9EllbEEZZNS1_14partition_implILS5_9ELb0ES3_jPlS8_PNS0_10empty_typeENS0_5tupleIJS8_S9_EEENSB_IJS8_SA_EEENS0_18inequality_wrapperIZN2at6native12_GLOBAL__N_124unique_dim_cuda_templateIaEESt5tupleIJNSF_6TensorESK_SK_EERKSK_lbbbEUlllE0_EEPmJS9_EEE10hipError_tPvRmT3_T4_T5_T6_T7_T9_mT8_P12ihipStream_tbDpT10_ENKUlT_T0_E_clISt17integral_constantIbLb0EES19_IbLb1EEEEDaS15_S16_EUlS15_E_NS1_11comp_targetILNS1_3genE8ELNS1_11target_archE1030ELNS1_3gpuE2ELNS1_3repE0EEENS1_30default_config_static_selectorELNS0_4arch9wavefront6targetE0EEEvT1_.uses_vcc, 0
	.set _ZN7rocprim17ROCPRIM_400000_NS6detail17trampoline_kernelINS0_14default_configENS1_25partition_config_selectorILNS1_17partition_subalgoE9EllbEEZZNS1_14partition_implILS5_9ELb0ES3_jPlS8_PNS0_10empty_typeENS0_5tupleIJS8_S9_EEENSB_IJS8_SA_EEENS0_18inequality_wrapperIZN2at6native12_GLOBAL__N_124unique_dim_cuda_templateIaEESt5tupleIJNSF_6TensorESK_SK_EERKSK_lbbbEUlllE0_EEPmJS9_EEE10hipError_tPvRmT3_T4_T5_T6_T7_T9_mT8_P12ihipStream_tbDpT10_ENKUlT_T0_E_clISt17integral_constantIbLb0EES19_IbLb1EEEEDaS15_S16_EUlS15_E_NS1_11comp_targetILNS1_3genE8ELNS1_11target_archE1030ELNS1_3gpuE2ELNS1_3repE0EEENS1_30default_config_static_selectorELNS0_4arch9wavefront6targetE0EEEvT1_.uses_flat_scratch, 0
	.set _ZN7rocprim17ROCPRIM_400000_NS6detail17trampoline_kernelINS0_14default_configENS1_25partition_config_selectorILNS1_17partition_subalgoE9EllbEEZZNS1_14partition_implILS5_9ELb0ES3_jPlS8_PNS0_10empty_typeENS0_5tupleIJS8_S9_EEENSB_IJS8_SA_EEENS0_18inequality_wrapperIZN2at6native12_GLOBAL__N_124unique_dim_cuda_templateIaEESt5tupleIJNSF_6TensorESK_SK_EERKSK_lbbbEUlllE0_EEPmJS9_EEE10hipError_tPvRmT3_T4_T5_T6_T7_T9_mT8_P12ihipStream_tbDpT10_ENKUlT_T0_E_clISt17integral_constantIbLb0EES19_IbLb1EEEEDaS15_S16_EUlS15_E_NS1_11comp_targetILNS1_3genE8ELNS1_11target_archE1030ELNS1_3gpuE2ELNS1_3repE0EEENS1_30default_config_static_selectorELNS0_4arch9wavefront6targetE0EEEvT1_.has_dyn_sized_stack, 0
	.set _ZN7rocprim17ROCPRIM_400000_NS6detail17trampoline_kernelINS0_14default_configENS1_25partition_config_selectorILNS1_17partition_subalgoE9EllbEEZZNS1_14partition_implILS5_9ELb0ES3_jPlS8_PNS0_10empty_typeENS0_5tupleIJS8_S9_EEENSB_IJS8_SA_EEENS0_18inequality_wrapperIZN2at6native12_GLOBAL__N_124unique_dim_cuda_templateIaEESt5tupleIJNSF_6TensorESK_SK_EERKSK_lbbbEUlllE0_EEPmJS9_EEE10hipError_tPvRmT3_T4_T5_T6_T7_T9_mT8_P12ihipStream_tbDpT10_ENKUlT_T0_E_clISt17integral_constantIbLb0EES19_IbLb1EEEEDaS15_S16_EUlS15_E_NS1_11comp_targetILNS1_3genE8ELNS1_11target_archE1030ELNS1_3gpuE2ELNS1_3repE0EEENS1_30default_config_static_selectorELNS0_4arch9wavefront6targetE0EEEvT1_.has_recursion, 0
	.set _ZN7rocprim17ROCPRIM_400000_NS6detail17trampoline_kernelINS0_14default_configENS1_25partition_config_selectorILNS1_17partition_subalgoE9EllbEEZZNS1_14partition_implILS5_9ELb0ES3_jPlS8_PNS0_10empty_typeENS0_5tupleIJS8_S9_EEENSB_IJS8_SA_EEENS0_18inequality_wrapperIZN2at6native12_GLOBAL__N_124unique_dim_cuda_templateIaEESt5tupleIJNSF_6TensorESK_SK_EERKSK_lbbbEUlllE0_EEPmJS9_EEE10hipError_tPvRmT3_T4_T5_T6_T7_T9_mT8_P12ihipStream_tbDpT10_ENKUlT_T0_E_clISt17integral_constantIbLb0EES19_IbLb1EEEEDaS15_S16_EUlS15_E_NS1_11comp_targetILNS1_3genE8ELNS1_11target_archE1030ELNS1_3gpuE2ELNS1_3repE0EEENS1_30default_config_static_selectorELNS0_4arch9wavefront6targetE0EEEvT1_.has_indirect_call, 0
	.section	.AMDGPU.csdata,"",@progbits
; Kernel info:
; codeLenInByte = 0
; TotalNumSgprs: 0
; NumVgprs: 0
; ScratchSize: 0
; MemoryBound: 0
; FloatMode: 240
; IeeeMode: 1
; LDSByteSize: 0 bytes/workgroup (compile time only)
; SGPRBlocks: 0
; VGPRBlocks: 0
; NumSGPRsForWavesPerEU: 1
; NumVGPRsForWavesPerEU: 1
; NamedBarCnt: 0
; Occupancy: 16
; WaveLimiterHint : 0
; COMPUTE_PGM_RSRC2:SCRATCH_EN: 0
; COMPUTE_PGM_RSRC2:USER_SGPR: 2
; COMPUTE_PGM_RSRC2:TRAP_HANDLER: 0
; COMPUTE_PGM_RSRC2:TGID_X_EN: 1
; COMPUTE_PGM_RSRC2:TGID_Y_EN: 0
; COMPUTE_PGM_RSRC2:TGID_Z_EN: 0
; COMPUTE_PGM_RSRC2:TIDIG_COMP_CNT: 0
	.section	.text._ZN7rocprim17ROCPRIM_400000_NS6detail17trampoline_kernelINS0_14default_configENS1_37merge_sort_block_sort_config_selectorIlNS0_10empty_typeEEEZNS1_21merge_sort_block_sortIS3_PlS8_PS5_S9_ZN2at6native12_GLOBAL__N_124unique_dim_cuda_templateIiEESt5tupleIJNSA_6TensorESF_SF_EERKSF_lbbbEUlllE_EE10hipError_tT0_T1_T2_T3_mRjT4_P12ihipStream_tbNS1_7vsmem_tEEUlT_E_NS1_11comp_targetILNS1_3genE0ELNS1_11target_archE4294967295ELNS1_3gpuE0ELNS1_3repE0EEENS1_30default_config_static_selectorELNS0_4arch9wavefront6targetE0EEEvSM_,"axG",@progbits,_ZN7rocprim17ROCPRIM_400000_NS6detail17trampoline_kernelINS0_14default_configENS1_37merge_sort_block_sort_config_selectorIlNS0_10empty_typeEEEZNS1_21merge_sort_block_sortIS3_PlS8_PS5_S9_ZN2at6native12_GLOBAL__N_124unique_dim_cuda_templateIiEESt5tupleIJNSA_6TensorESF_SF_EERKSF_lbbbEUlllE_EE10hipError_tT0_T1_T2_T3_mRjT4_P12ihipStream_tbNS1_7vsmem_tEEUlT_E_NS1_11comp_targetILNS1_3genE0ELNS1_11target_archE4294967295ELNS1_3gpuE0ELNS1_3repE0EEENS1_30default_config_static_selectorELNS0_4arch9wavefront6targetE0EEEvSM_,comdat
	.globl	_ZN7rocprim17ROCPRIM_400000_NS6detail17trampoline_kernelINS0_14default_configENS1_37merge_sort_block_sort_config_selectorIlNS0_10empty_typeEEEZNS1_21merge_sort_block_sortIS3_PlS8_PS5_S9_ZN2at6native12_GLOBAL__N_124unique_dim_cuda_templateIiEESt5tupleIJNSA_6TensorESF_SF_EERKSF_lbbbEUlllE_EE10hipError_tT0_T1_T2_T3_mRjT4_P12ihipStream_tbNS1_7vsmem_tEEUlT_E_NS1_11comp_targetILNS1_3genE0ELNS1_11target_archE4294967295ELNS1_3gpuE0ELNS1_3repE0EEENS1_30default_config_static_selectorELNS0_4arch9wavefront6targetE0EEEvSM_ ; -- Begin function _ZN7rocprim17ROCPRIM_400000_NS6detail17trampoline_kernelINS0_14default_configENS1_37merge_sort_block_sort_config_selectorIlNS0_10empty_typeEEEZNS1_21merge_sort_block_sortIS3_PlS8_PS5_S9_ZN2at6native12_GLOBAL__N_124unique_dim_cuda_templateIiEESt5tupleIJNSA_6TensorESF_SF_EERKSF_lbbbEUlllE_EE10hipError_tT0_T1_T2_T3_mRjT4_P12ihipStream_tbNS1_7vsmem_tEEUlT_E_NS1_11comp_targetILNS1_3genE0ELNS1_11target_archE4294967295ELNS1_3gpuE0ELNS1_3repE0EEENS1_30default_config_static_selectorELNS0_4arch9wavefront6targetE0EEEvSM_
	.p2align	8
	.type	_ZN7rocprim17ROCPRIM_400000_NS6detail17trampoline_kernelINS0_14default_configENS1_37merge_sort_block_sort_config_selectorIlNS0_10empty_typeEEEZNS1_21merge_sort_block_sortIS3_PlS8_PS5_S9_ZN2at6native12_GLOBAL__N_124unique_dim_cuda_templateIiEESt5tupleIJNSA_6TensorESF_SF_EERKSF_lbbbEUlllE_EE10hipError_tT0_T1_T2_T3_mRjT4_P12ihipStream_tbNS1_7vsmem_tEEUlT_E_NS1_11comp_targetILNS1_3genE0ELNS1_11target_archE4294967295ELNS1_3gpuE0ELNS1_3repE0EEENS1_30default_config_static_selectorELNS0_4arch9wavefront6targetE0EEEvSM_,@function
_ZN7rocprim17ROCPRIM_400000_NS6detail17trampoline_kernelINS0_14default_configENS1_37merge_sort_block_sort_config_selectorIlNS0_10empty_typeEEEZNS1_21merge_sort_block_sortIS3_PlS8_PS5_S9_ZN2at6native12_GLOBAL__N_124unique_dim_cuda_templateIiEESt5tupleIJNSA_6TensorESF_SF_EERKSF_lbbbEUlllE_EE10hipError_tT0_T1_T2_T3_mRjT4_P12ihipStream_tbNS1_7vsmem_tEEUlT_E_NS1_11comp_targetILNS1_3genE0ELNS1_11target_archE4294967295ELNS1_3gpuE0ELNS1_3repE0EEENS1_30default_config_static_selectorELNS0_4arch9wavefront6targetE0EEEvSM_: ; @_ZN7rocprim17ROCPRIM_400000_NS6detail17trampoline_kernelINS0_14default_configENS1_37merge_sort_block_sort_config_selectorIlNS0_10empty_typeEEEZNS1_21merge_sort_block_sortIS3_PlS8_PS5_S9_ZN2at6native12_GLOBAL__N_124unique_dim_cuda_templateIiEESt5tupleIJNSA_6TensorESF_SF_EERKSF_lbbbEUlllE_EE10hipError_tT0_T1_T2_T3_mRjT4_P12ihipStream_tbNS1_7vsmem_tEEUlT_E_NS1_11comp_targetILNS1_3genE0ELNS1_11target_archE4294967295ELNS1_3gpuE0ELNS1_3repE0EEENS1_30default_config_static_selectorELNS0_4arch9wavefront6targetE0EEEvSM_
; %bb.0:
	s_clause 0x1
	s_load_b32 s4, s[0:1], 0x0
	s_load_b64 s[8:9], s[0:1], 0x48
	s_bfe_u32 s2, ttmp6, 0x40010
	s_and_b32 s3, ttmp7, 0xffff
	s_add_co_i32 s2, s2, 1
	s_bfe_u32 s6, ttmp6, 0x4000c
	s_mul_i32 s2, s3, s2
	s_bfe_u32 s5, ttmp6, 0x40004
	s_add_co_i32 s6, s6, 1
	s_bfe_u32 s7, ttmp6, 0x40014
	s_add_co_i32 s5, s5, s2
	s_and_b32 s2, ttmp6, 15
	s_mul_i32 s6, ttmp9, s6
	s_lshr_b32 s10, ttmp7, 16
	s_add_co_i32 s7, s7, 1
	s_add_co_i32 s2, s2, s6
	s_mul_i32 s6, s10, s7
	s_bfe_u32 s7, ttmp6, 0x40008
	s_getreg_b32 s11, hwreg(HW_REG_IB_STS2, 6, 4)
	s_add_co_i32 s7, s7, s6
	s_cmp_eq_u32 s11, 0
	s_cselect_b32 s6, s10, s7
	s_cselect_b32 s3, s3, s5
	s_wait_kmcnt 0x0
	s_mul_i32 s6, s9, s6
	s_cselect_b32 s9, ttmp9, s2
	s_add_co_i32 s2, s6, s3
	s_mov_b32 s3, 0
	s_mul_i32 s2, s2, s8
	s_delay_alu instid0(SALU_CYCLE_1) | instskip(NEXT) | instid1(SALU_CYCLE_1)
	s_add_co_i32 s2, s2, s9
	s_cmp_ge_u32 s2, s4
	s_cbranch_scc1 .LBB383_1486
; %bb.1:
	s_clause 0x2
	s_load_b64 s[4:5], s[0:1], 0x8
	s_load_b128 s[12:15], s[0:1], 0x18
	s_load_b128 s[16:19], s[0:1], 0x38
	v_and_b32_e32 v18, 0x3ff, v0
	s_add_nc_u64 s[10:11], s[0:1], 0x48
	s_wait_xcnt 0x0
	s_lshl_b64 s[0:1], s[2:3], 14
	s_wait_kmcnt 0x0
	s_lshr_b64 s[6:7], s[4:5], 11
	s_add_nc_u64 s[12:13], s[12:13], s[0:1]
	s_cmp_lg_u64 s[6:7], s[2:3]
	s_add_nc_u64 s[20:21], s[14:15], s[0:1]
	s_cbranch_scc0 .LBB383_8
; %bb.2:
	s_clause 0x7
	global_load_b64 v[2:3], v18, s[12:13] scale_offset
	global_load_b64 v[4:5], v18, s[12:13] offset:2048 scale_offset
	global_load_b64 v[6:7], v18, s[12:13] offset:4096 scale_offset
	;; [unrolled: 1-line block ×7, first 2 shown]
	v_dual_lshrrev_b32 v19, 2, v18 :: v_dual_lshlrev_b32 v1, 3, v18
	v_add_nc_u32_e32 v20, 0x100, v18
	v_add_nc_u32_e32 v21, 0x200, v18
	;; [unrolled: 1-line block ×3, first 2 shown]
	v_or_b32_e32 v23, 0x400, v18
	v_add_nc_u32_e32 v24, 0x500, v18
	v_add_nc_u32_e32 v25, 0x600, v18
	;; [unrolled: 1-line block ×3, first 2 shown]
	v_dual_lshlrev_b32 v27, 1, v18 :: v_dual_lshrrev_b32 v20, 2, v20
	v_and_b32_e32 v19, 0xf8, v19
	v_dual_lshrrev_b32 v21, 2, v21 :: v_dual_lshrrev_b32 v22, 2, v22
	v_dual_lshrrev_b32 v23, 2, v23 :: v_dual_lshrrev_b32 v24, 2, v24
	;; [unrolled: 1-line block ×3, first 2 shown]
	v_and_b32_e32 v27, 0x7f8, v27
	v_add_nc_u32_e32 v36, v19, v1
	v_and_b32_e32 v19, 0x1f8, v20
	v_and_b32_e32 v20, 0x1f8, v21
	;; [unrolled: 1-line block ×7, first 2 shown]
	v_lshl_add_u32 v44, v18, 6, v27
	v_dual_add_nc_u32 v37, v19, v1 :: v_dual_add_nc_u32 v38, v20, v1
	v_add_nc_u32_e32 v39, v21, v1
	s_cmp_lt_u32 s9, s8
	v_dual_add_nc_u32 v40, v22, v1 :: v_dual_add_nc_u32 v41, v23, v1
	v_dual_add_nc_u32 v42, v24, v1 :: v_dual_add_nc_u32 v43, v25, v1
	s_mov_b32 s1, 0
	s_cselect_b32 s0, 12, 18
	v_bfe_u32 v19, v0, 10, 10
	s_add_nc_u64 s[0:1], s[10:11], s[0:1]
	v_bfe_u32 v20, v0, 20, 10
	v_cmp_gt_i64_e64 s14, s[16:17], 0
	s_wait_loadcnt 0x7
	ds_store_b64 v36, v[2:3]
	s_wait_loadcnt 0x6
	ds_store_b64 v37, v[4:5] offset:2048
	s_wait_loadcnt 0x5
	ds_store_b64 v38, v[6:7] offset:4096
	;; [unrolled: 2-line block ×7, first 2 shown]
	s_wait_dscnt 0x0
	s_barrier_signal -1
	s_barrier_wait -1
	ds_load_2addr_b64 v[14:17], v44 offset1:1
	ds_load_2addr_b64 v[10:13], v44 offset0:2 offset1:3
	ds_load_2addr_b64 v[6:9], v44 offset0:4 offset1:5
	;; [unrolled: 1-line block ×3, first 2 shown]
	s_wait_dscnt 0x0
	s_barrier_signal -1
	s_barrier_wait -1
	s_load_u16 s5, s[10:11], 0xe
	v_cndmask_b32_e64 v45, 0, 1, s14
	s_load_u16 s0, s[0:1], 0x0
	s_wait_kmcnt 0x0
	v_mad_u32_u24 v19, v20, s5, v19
	s_mov_b32 s5, exec_lo
	s_delay_alu instid0(VALU_DEP_1) | instskip(NEXT) | instid1(VALU_DEP_1)
	v_mul_lo_u32 v19, v19, s0
	v_add_lshl_u32 v24, v19, v18, 3
	v_mov_b32_e32 v19, 0
	s_delay_alu instid0(VALU_DEP_2)
	v_cmpx_gt_u32_e32 0x800, v24
	s_cbranch_execz .LBB383_188
; %bb.3:
	s_and_not1_b32 vcc_lo, exec_lo, s14
	s_cbranch_vccnz .LBB383_18
; %bb.4:
	v_mul_u64_e32 v[20:21], s[16:17], v[16:17]
	v_mul_u64_e32 v[22:23], s[16:17], v[14:15]
	s_mov_b32 s22, 0
	s_mov_b64 s[6:7], s[16:17]
                                        ; implicit-def: $sgpr15
                                        ; implicit-def: $sgpr23
                                        ; implicit-def: $sgpr25
                                        ; implicit-def: $sgpr24
                                        ; implicit-def: $sgpr26
	s_delay_alu instid0(VALU_DEP_2) | instskip(NEXT) | instid1(VALU_DEP_2)
	v_lshl_add_u64 v[20:21], v[20:21], 2, s[18:19]
	v_lshl_add_u64 v[22:23], v[22:23], 2, s[18:19]
	s_branch .LBB383_6
.LBB383_5:                              ;   in Loop: Header=BB383_6 Depth=1
	s_or_b32 exec_lo, exec_lo, s27
	s_and_b32 s0, s0, s26
	s_delay_alu instid0(SALU_CYCLE_1) | instskip(SKIP_1) | instid1(SALU_CYCLE_1)
	s_or_b32 s0, vcc_lo, s0
	s_and_b32 s1, exec_lo, s25
	s_or_b32 s22, s1, s22
	s_and_not1_b32 s1, s26, exec_lo
	s_and_b32 s0, s0, exec_lo
	s_and_not1_b32 s23, s23, exec_lo
	s_and_b32 s27, s24, exec_lo
	s_or_b32 s26, s1, s0
	s_and_not1_b32 s1, s15, exec_lo
	s_or_b32 s23, s23, s27
	s_or_b32 s15, s1, s0
	s_and_not1_b32 exec_lo, exec_lo, s22
	s_cbranch_execz .LBB383_9
.LBB383_6:                              ; =>This Inner Loop Header: Depth=1
	global_load_b32 v25, v[20:21], off
	global_load_b32 v26, v[22:23], off
	s_or_b32 s24, s24, exec_lo
	s_or_b32 s25, s25, exec_lo
	s_mov_b32 s27, exec_lo
	s_wait_loadcnt 0x0
	v_cmp_le_i32_e64 s0, v25, v26
	v_cmp_lt_i32_e32 vcc_lo, v25, v26
	v_cmpx_eq_u32_e64 v25, v26
	s_cbranch_execz .LBB383_5
; %bb.7:                                ;   in Loop: Header=BB383_6 Depth=1
	s_add_nc_u64 s[6:7], s[6:7], -1
	v_add_nc_u64_e32 v[20:21], 4, v[20:21]
	s_cmp_eq_u64 s[6:7], 0
	v_add_nc_u64_e32 v[22:23], 4, v[22:23]
	s_cselect_b32 s1, -1, 0
	s_and_not1_b32 s25, s25, exec_lo
	s_and_b32 s1, s1, exec_lo
	s_and_not1_b32 s24, s24, exec_lo
	s_or_b32 s25, s25, s1
	s_branch .LBB383_5
.LBB383_8:
	s_mov_b32 s24, s3
                                        ; implicit-def: $vgpr2_vgpr3
	s_cbranch_execnz .LBB383_698
	s_branch .LBB383_1484
.LBB383_9:
	s_or_b32 exec_lo, exec_lo, s22
	s_and_saveexec_b32 s0, s23
	s_delay_alu instid0(SALU_CYCLE_1)
	s_xor_b32 s0, exec_lo, s0
; %bb.10:
	v_dual_cndmask_b32 v21, v17, v15, s15 :: v_dual_cndmask_b32 v20, v16, v14, s15
	v_dual_cndmask_b32 v15, v15, v17, s15 :: v_dual_cndmask_b32 v14, v14, v16, s15
	s_delay_alu instid0(VALU_DEP_2)
	v_mov_b64_e32 v[16:17], v[20:21]
; %bb.11:
	s_or_b32 exec_lo, exec_lo, s0
	v_mul_u64_e32 v[20:21], s[16:17], v[12:13]
	v_mul_u64_e32 v[22:23], s[16:17], v[10:11]
	s_mov_b32 s22, 0
	s_mov_b64 s[6:7], s[16:17]
                                        ; implicit-def: $sgpr15
                                        ; implicit-def: $sgpr23
                                        ; implicit-def: $sgpr25
                                        ; implicit-def: $sgpr24
                                        ; implicit-def: $sgpr26
	s_delay_alu instid0(VALU_DEP_2) | instskip(NEXT) | instid1(VALU_DEP_2)
	v_lshl_add_u64 v[20:21], v[20:21], 2, s[18:19]
	v_lshl_add_u64 v[22:23], v[22:23], 2, s[18:19]
	s_branch .LBB383_13
.LBB383_12:                             ;   in Loop: Header=BB383_13 Depth=1
	s_or_b32 exec_lo, exec_lo, s27
	s_and_b32 s0, s0, s26
	s_delay_alu instid0(SALU_CYCLE_1) | instskip(SKIP_1) | instid1(SALU_CYCLE_1)
	s_or_b32 s0, vcc_lo, s0
	s_and_b32 s1, exec_lo, s25
	s_or_b32 s22, s1, s22
	s_and_not1_b32 s1, s26, exec_lo
	s_and_b32 s0, s0, exec_lo
	s_and_not1_b32 s23, s23, exec_lo
	s_and_b32 s27, s24, exec_lo
	s_or_b32 s26, s1, s0
	s_and_not1_b32 s1, s15, exec_lo
	s_or_b32 s23, s23, s27
	s_or_b32 s15, s1, s0
	s_and_not1_b32 exec_lo, exec_lo, s22
	s_cbranch_execz .LBB383_15
.LBB383_13:                             ; =>This Inner Loop Header: Depth=1
	global_load_b32 v25, v[20:21], off
	global_load_b32 v26, v[22:23], off
	s_or_b32 s24, s24, exec_lo
	s_or_b32 s25, s25, exec_lo
	s_mov_b32 s27, exec_lo
	s_wait_loadcnt 0x0
	v_cmp_le_i32_e64 s0, v25, v26
	v_cmp_lt_i32_e32 vcc_lo, v25, v26
	v_cmpx_eq_u32_e64 v25, v26
	s_cbranch_execz .LBB383_12
; %bb.14:                               ;   in Loop: Header=BB383_13 Depth=1
	s_add_nc_u64 s[6:7], s[6:7], -1
	v_add_nc_u64_e32 v[20:21], 4, v[20:21]
	s_cmp_eq_u64 s[6:7], 0
	v_add_nc_u64_e32 v[22:23], 4, v[22:23]
	s_cselect_b32 s1, -1, 0
	s_and_not1_b32 s25, s25, exec_lo
	s_and_b32 s1, s1, exec_lo
	s_and_not1_b32 s24, s24, exec_lo
	s_or_b32 s25, s25, s1
	s_branch .LBB383_12
.LBB383_15:
	s_or_b32 exec_lo, exec_lo, s22
	s_and_saveexec_b32 s0, s23
	s_delay_alu instid0(SALU_CYCLE_1)
	s_xor_b32 s0, exec_lo, s0
; %bb.16:
	v_dual_cndmask_b32 v21, v11, v13, s15 :: v_dual_cndmask_b32 v20, v10, v12, s15
	v_dual_cndmask_b32 v13, v13, v11, s15 :: v_dual_cndmask_b32 v12, v12, v10, s15
	s_delay_alu instid0(VALU_DEP_2)
	v_mov_b64_e32 v[10:11], v[20:21]
; %bb.17:
	s_or_b32 exec_lo, exec_lo, s0
.LBB383_18:
	s_delay_alu instid0(SALU_CYCLE_1)
	s_and_not1_b32 vcc_lo, exec_lo, s14
	s_cbranch_vccnz .LBB383_32
; %bb.19:
	v_mul_u64_e32 v[20:21], s[16:17], v[8:9]
	v_mul_u64_e32 v[22:23], s[16:17], v[6:7]
	s_mov_b32 s22, 0
	s_mov_b64 s[6:7], s[16:17]
                                        ; implicit-def: $sgpr15
                                        ; implicit-def: $sgpr23
                                        ; implicit-def: $sgpr25
                                        ; implicit-def: $sgpr24
                                        ; implicit-def: $sgpr26
	s_delay_alu instid0(VALU_DEP_2) | instskip(NEXT) | instid1(VALU_DEP_2)
	v_lshl_add_u64 v[20:21], v[20:21], 2, s[18:19]
	v_lshl_add_u64 v[22:23], v[22:23], 2, s[18:19]
	s_branch .LBB383_21
.LBB383_20:                             ;   in Loop: Header=BB383_21 Depth=1
	s_or_b32 exec_lo, exec_lo, s27
	s_and_b32 s0, s0, s26
	s_delay_alu instid0(SALU_CYCLE_1) | instskip(SKIP_1) | instid1(SALU_CYCLE_1)
	s_or_b32 s0, vcc_lo, s0
	s_and_b32 s1, exec_lo, s25
	s_or_b32 s22, s1, s22
	s_and_not1_b32 s1, s26, exec_lo
	s_and_b32 s0, s0, exec_lo
	s_and_not1_b32 s23, s23, exec_lo
	s_and_b32 s27, s24, exec_lo
	s_or_b32 s26, s1, s0
	s_and_not1_b32 s1, s15, exec_lo
	s_or_b32 s23, s23, s27
	s_or_b32 s15, s1, s0
	s_and_not1_b32 exec_lo, exec_lo, s22
	s_cbranch_execz .LBB383_23
.LBB383_21:                             ; =>This Inner Loop Header: Depth=1
	global_load_b32 v25, v[20:21], off
	global_load_b32 v26, v[22:23], off
	s_or_b32 s24, s24, exec_lo
	s_or_b32 s25, s25, exec_lo
	s_mov_b32 s27, exec_lo
	s_wait_loadcnt 0x0
	v_cmp_le_i32_e64 s0, v25, v26
	v_cmp_lt_i32_e32 vcc_lo, v25, v26
	v_cmpx_eq_u32_e64 v25, v26
	s_cbranch_execz .LBB383_20
; %bb.22:                               ;   in Loop: Header=BB383_21 Depth=1
	s_add_nc_u64 s[6:7], s[6:7], -1
	v_add_nc_u64_e32 v[20:21], 4, v[20:21]
	s_cmp_eq_u64 s[6:7], 0
	v_add_nc_u64_e32 v[22:23], 4, v[22:23]
	s_cselect_b32 s1, -1, 0
	s_and_not1_b32 s25, s25, exec_lo
	s_and_b32 s1, s1, exec_lo
	s_and_not1_b32 s24, s24, exec_lo
	s_or_b32 s25, s25, s1
	s_branch .LBB383_20
.LBB383_23:
	s_or_b32 exec_lo, exec_lo, s22
	s_and_saveexec_b32 s0, s23
	s_delay_alu instid0(SALU_CYCLE_1)
	s_xor_b32 s0, exec_lo, s0
; %bb.24:
	v_dual_cndmask_b32 v21, v7, v9, s15 :: v_dual_cndmask_b32 v20, v6, v8, s15
	v_dual_cndmask_b32 v9, v9, v7, s15 :: v_dual_cndmask_b32 v8, v8, v6, s15
	s_delay_alu instid0(VALU_DEP_2)
	v_mov_b64_e32 v[6:7], v[20:21]
; %bb.25:
	s_or_b32 exec_lo, exec_lo, s0
	v_mul_u64_e32 v[20:21], s[16:17], v[4:5]
	v_mul_u64_e32 v[22:23], s[16:17], v[2:3]
	s_mov_b32 s22, 0
	s_mov_b64 s[6:7], s[16:17]
                                        ; implicit-def: $sgpr15
                                        ; implicit-def: $sgpr23
                                        ; implicit-def: $sgpr25
                                        ; implicit-def: $sgpr24
                                        ; implicit-def: $sgpr26
	s_delay_alu instid0(VALU_DEP_2) | instskip(NEXT) | instid1(VALU_DEP_2)
	v_lshl_add_u64 v[20:21], v[20:21], 2, s[18:19]
	v_lshl_add_u64 v[22:23], v[22:23], 2, s[18:19]
	s_branch .LBB383_27
.LBB383_26:                             ;   in Loop: Header=BB383_27 Depth=1
	s_or_b32 exec_lo, exec_lo, s27
	s_and_b32 s0, s0, s26
	s_delay_alu instid0(SALU_CYCLE_1) | instskip(SKIP_1) | instid1(SALU_CYCLE_1)
	s_or_b32 s0, vcc_lo, s0
	s_and_b32 s1, exec_lo, s25
	s_or_b32 s22, s1, s22
	s_and_not1_b32 s1, s26, exec_lo
	s_and_b32 s0, s0, exec_lo
	s_and_not1_b32 s23, s23, exec_lo
	s_and_b32 s27, s24, exec_lo
	s_or_b32 s26, s1, s0
	s_and_not1_b32 s1, s15, exec_lo
	s_or_b32 s23, s23, s27
	s_or_b32 s15, s1, s0
	s_and_not1_b32 exec_lo, exec_lo, s22
	s_cbranch_execz .LBB383_29
.LBB383_27:                             ; =>This Inner Loop Header: Depth=1
	global_load_b32 v25, v[20:21], off
	global_load_b32 v26, v[22:23], off
	s_or_b32 s24, s24, exec_lo
	s_or_b32 s25, s25, exec_lo
	s_mov_b32 s27, exec_lo
	s_wait_loadcnt 0x0
	v_cmp_le_i32_e64 s0, v25, v26
	v_cmp_lt_i32_e32 vcc_lo, v25, v26
	v_cmpx_eq_u32_e64 v25, v26
	s_cbranch_execz .LBB383_26
; %bb.28:                               ;   in Loop: Header=BB383_27 Depth=1
	s_add_nc_u64 s[6:7], s[6:7], -1
	v_add_nc_u64_e32 v[20:21], 4, v[20:21]
	s_cmp_eq_u64 s[6:7], 0
	v_add_nc_u64_e32 v[22:23], 4, v[22:23]
	s_cselect_b32 s1, -1, 0
	s_and_not1_b32 s25, s25, exec_lo
	s_and_b32 s1, s1, exec_lo
	s_and_not1_b32 s24, s24, exec_lo
	s_or_b32 s25, s25, s1
	s_branch .LBB383_26
.LBB383_29:
	s_or_b32 exec_lo, exec_lo, s22
	s_and_saveexec_b32 s0, s23
	s_delay_alu instid0(SALU_CYCLE_1)
	s_xor_b32 s0, exec_lo, s0
; %bb.30:
	v_dual_cndmask_b32 v21, v3, v5, s15 :: v_dual_cndmask_b32 v20, v2, v4, s15
	v_dual_cndmask_b32 v5, v5, v3, s15 :: v_dual_cndmask_b32 v4, v4, v2, s15
	s_delay_alu instid0(VALU_DEP_2)
	v_mov_b64_e32 v[2:3], v[20:21]
; %bb.31:
	s_or_b32 exec_lo, exec_lo, s0
.LBB383_32:
	s_delay_alu instid0(SALU_CYCLE_1)
	s_and_b32 vcc_lo, exec_lo, s14
	s_cbranch_vccz .LBB383_46
; %bb.33:
	s_delay_alu instid0(VALU_DEP_1) | instskip(SKIP_3) | instid1(VALU_DEP_2)
	v_mul_u64_e32 v[20:21], s[16:17], v[10:11]
	v_mul_u64_e32 v[22:23], s[16:17], v[16:17]
	s_mov_b32 s15, 0
	s_mov_b64 s[6:7], s[16:17]
                                        ; implicit-def: $sgpr14
                                        ; implicit-def: $sgpr22
                                        ; implicit-def: $sgpr24
                                        ; implicit-def: $sgpr23
                                        ; implicit-def: $sgpr25
	v_lshl_add_u64 v[20:21], v[20:21], 2, s[18:19]
	s_delay_alu instid0(VALU_DEP_2)
	v_lshl_add_u64 v[22:23], v[22:23], 2, s[18:19]
	s_branch .LBB383_35
.LBB383_34:                             ;   in Loop: Header=BB383_35 Depth=1
	s_or_b32 exec_lo, exec_lo, s26
	s_and_b32 s0, s0, s25
	s_delay_alu instid0(SALU_CYCLE_1) | instskip(SKIP_1) | instid1(SALU_CYCLE_1)
	s_or_b32 s0, vcc_lo, s0
	s_and_b32 s1, exec_lo, s24
	s_or_b32 s15, s1, s15
	s_and_not1_b32 s1, s25, exec_lo
	s_and_b32 s0, s0, exec_lo
	s_and_not1_b32 s22, s22, exec_lo
	s_and_b32 s26, s23, exec_lo
	s_or_b32 s25, s1, s0
	s_and_not1_b32 s1, s14, exec_lo
	s_or_b32 s22, s22, s26
	s_or_b32 s14, s1, s0
	s_and_not1_b32 exec_lo, exec_lo, s15
	s_cbranch_execz .LBB383_37
.LBB383_35:                             ; =>This Inner Loop Header: Depth=1
	global_load_b32 v25, v[20:21], off
	global_load_b32 v26, v[22:23], off
	s_or_b32 s23, s23, exec_lo
	s_or_b32 s24, s24, exec_lo
	s_mov_b32 s26, exec_lo
	s_wait_loadcnt 0x0
	v_cmp_le_i32_e64 s0, v25, v26
	v_cmp_lt_i32_e32 vcc_lo, v25, v26
	v_cmpx_eq_u32_e64 v25, v26
	s_cbranch_execz .LBB383_34
; %bb.36:                               ;   in Loop: Header=BB383_35 Depth=1
	s_add_nc_u64 s[6:7], s[6:7], -1
	v_add_nc_u64_e32 v[20:21], 4, v[20:21]
	s_cmp_eq_u64 s[6:7], 0
	v_add_nc_u64_e32 v[22:23], 4, v[22:23]
	s_cselect_b32 s1, -1, 0
	s_and_not1_b32 s24, s24, exec_lo
	s_and_b32 s1, s1, exec_lo
	s_and_not1_b32 s23, s23, exec_lo
	s_or_b32 s24, s24, s1
	s_branch .LBB383_34
.LBB383_37:
	s_or_b32 exec_lo, exec_lo, s15
	s_and_saveexec_b32 s0, s22
	s_delay_alu instid0(SALU_CYCLE_1)
	s_xor_b32 s0, exec_lo, s0
; %bb.38:
	v_dual_cndmask_b32 v21, v17, v11, s14 :: v_dual_cndmask_b32 v20, v16, v10, s14
	v_dual_cndmask_b32 v11, v11, v17, s14 :: v_dual_cndmask_b32 v10, v10, v16, s14
	s_delay_alu instid0(VALU_DEP_2)
	v_mov_b64_e32 v[16:17], v[20:21]
; %bb.39:
	s_or_b32 exec_lo, exec_lo, s0
	v_mul_u64_e32 v[20:21], s[16:17], v[6:7]
	v_mul_u64_e32 v[22:23], s[16:17], v[12:13]
	s_mov_b32 s15, 0
	s_mov_b64 s[6:7], s[16:17]
                                        ; implicit-def: $sgpr14
                                        ; implicit-def: $sgpr22
                                        ; implicit-def: $sgpr24
                                        ; implicit-def: $sgpr23
                                        ; implicit-def: $sgpr25
	s_delay_alu instid0(VALU_DEP_2) | instskip(NEXT) | instid1(VALU_DEP_2)
	v_lshl_add_u64 v[20:21], v[20:21], 2, s[18:19]
	v_lshl_add_u64 v[22:23], v[22:23], 2, s[18:19]
	s_branch .LBB383_41
.LBB383_40:                             ;   in Loop: Header=BB383_41 Depth=1
	s_or_b32 exec_lo, exec_lo, s26
	s_and_b32 s0, s0, s25
	s_delay_alu instid0(SALU_CYCLE_1) | instskip(SKIP_1) | instid1(SALU_CYCLE_1)
	s_or_b32 s0, vcc_lo, s0
	s_and_b32 s1, exec_lo, s24
	s_or_b32 s15, s1, s15
	s_and_not1_b32 s1, s25, exec_lo
	s_and_b32 s0, s0, exec_lo
	s_and_not1_b32 s22, s22, exec_lo
	s_and_b32 s26, s23, exec_lo
	s_or_b32 s25, s1, s0
	s_and_not1_b32 s1, s14, exec_lo
	s_or_b32 s22, s22, s26
	s_or_b32 s14, s1, s0
	s_and_not1_b32 exec_lo, exec_lo, s15
	s_cbranch_execz .LBB383_43
.LBB383_41:                             ; =>This Inner Loop Header: Depth=1
	global_load_b32 v25, v[20:21], off
	global_load_b32 v26, v[22:23], off
	s_or_b32 s23, s23, exec_lo
	s_or_b32 s24, s24, exec_lo
	s_mov_b32 s26, exec_lo
	s_wait_loadcnt 0x0
	v_cmp_le_i32_e64 s0, v25, v26
	v_cmp_lt_i32_e32 vcc_lo, v25, v26
	v_cmpx_eq_u32_e64 v25, v26
	s_cbranch_execz .LBB383_40
; %bb.42:                               ;   in Loop: Header=BB383_41 Depth=1
	s_add_nc_u64 s[6:7], s[6:7], -1
	v_add_nc_u64_e32 v[20:21], 4, v[20:21]
	s_cmp_eq_u64 s[6:7], 0
	v_add_nc_u64_e32 v[22:23], 4, v[22:23]
	s_cselect_b32 s1, -1, 0
	s_and_not1_b32 s24, s24, exec_lo
	s_and_b32 s1, s1, exec_lo
	s_and_not1_b32 s23, s23, exec_lo
	s_or_b32 s24, s24, s1
	s_branch .LBB383_40
.LBB383_43:
	s_or_b32 exec_lo, exec_lo, s15
	s_and_saveexec_b32 s0, s22
	s_delay_alu instid0(SALU_CYCLE_1)
	s_xor_b32 s0, exec_lo, s0
; %bb.44:
	v_dual_cndmask_b32 v21, v13, v7, s14 :: v_dual_cndmask_b32 v20, v12, v6, s14
	v_dual_cndmask_b32 v7, v7, v13, s14 :: v_dual_cndmask_b32 v6, v6, v12, s14
	s_delay_alu instid0(VALU_DEP_2)
	v_mov_b64_e32 v[12:13], v[20:21]
; %bb.45:
	s_or_b32 exec_lo, exec_lo, s0
.LBB383_46:
	v_cmp_ne_u32_e32 vcc_lo, 1, v45
	s_cbranch_vccnz .LBB383_72
; %bb.47:
	s_delay_alu instid0(VALU_DEP_2) | instskip(SKIP_3) | instid1(VALU_DEP_2)
	v_mul_u64_e32 v[20:21], s[16:17], v[2:3]
	v_mul_u64_e32 v[22:23], s[16:17], v[8:9]
	s_mov_b32 s15, 0
	s_mov_b64 s[6:7], s[16:17]
                                        ; implicit-def: $sgpr14
                                        ; implicit-def: $sgpr22
                                        ; implicit-def: $sgpr24
                                        ; implicit-def: $sgpr23
                                        ; implicit-def: $sgpr25
	v_lshl_add_u64 v[20:21], v[20:21], 2, s[18:19]
	s_delay_alu instid0(VALU_DEP_2)
	v_lshl_add_u64 v[22:23], v[22:23], 2, s[18:19]
	s_branch .LBB383_49
.LBB383_48:                             ;   in Loop: Header=BB383_49 Depth=1
	s_or_b32 exec_lo, exec_lo, s26
	s_and_b32 s0, s0, s25
	s_delay_alu instid0(SALU_CYCLE_1) | instskip(SKIP_1) | instid1(SALU_CYCLE_1)
	s_or_b32 s0, vcc_lo, s0
	s_and_b32 s1, exec_lo, s24
	s_or_b32 s15, s1, s15
	s_and_not1_b32 s1, s25, exec_lo
	s_and_b32 s0, s0, exec_lo
	s_and_not1_b32 s22, s22, exec_lo
	s_and_b32 s26, s23, exec_lo
	s_or_b32 s25, s1, s0
	s_and_not1_b32 s1, s14, exec_lo
	s_or_b32 s22, s22, s26
	s_or_b32 s14, s1, s0
	s_and_not1_b32 exec_lo, exec_lo, s15
	s_cbranch_execz .LBB383_51
.LBB383_49:                             ; =>This Inner Loop Header: Depth=1
	global_load_b32 v25, v[20:21], off
	global_load_b32 v26, v[22:23], off
	s_or_b32 s23, s23, exec_lo
	s_or_b32 s24, s24, exec_lo
	s_mov_b32 s26, exec_lo
	s_wait_loadcnt 0x0
	v_cmp_le_i32_e64 s0, v25, v26
	v_cmp_lt_i32_e32 vcc_lo, v25, v26
	v_cmpx_eq_u32_e64 v25, v26
	s_cbranch_execz .LBB383_48
; %bb.50:                               ;   in Loop: Header=BB383_49 Depth=1
	s_add_nc_u64 s[6:7], s[6:7], -1
	v_add_nc_u64_e32 v[20:21], 4, v[20:21]
	s_cmp_eq_u64 s[6:7], 0
	v_add_nc_u64_e32 v[22:23], 4, v[22:23]
	s_cselect_b32 s1, -1, 0
	s_and_not1_b32 s24, s24, exec_lo
	s_and_b32 s1, s1, exec_lo
	s_and_not1_b32 s23, s23, exec_lo
	s_or_b32 s24, s24, s1
	s_branch .LBB383_48
.LBB383_51:
	s_or_b32 exec_lo, exec_lo, s15
	s_and_saveexec_b32 s0, s22
	s_delay_alu instid0(SALU_CYCLE_1)
	s_xor_b32 s0, exec_lo, s0
; %bb.52:
	v_dual_cndmask_b32 v21, v9, v3, s14 :: v_dual_cndmask_b32 v20, v8, v2, s14
	v_dual_cndmask_b32 v3, v3, v9, s14 :: v_dual_cndmask_b32 v2, v2, v8, s14
	s_delay_alu instid0(VALU_DEP_2)
	v_mov_b64_e32 v[8:9], v[20:21]
; %bb.53:
	s_or_b32 exec_lo, exec_lo, s0
	v_mul_u64_e32 v[20:21], s[16:17], v[16:17]
	v_mul_u64_e32 v[22:23], s[16:17], v[14:15]
	s_mov_b32 s15, 0
	s_mov_b64 s[6:7], s[16:17]
                                        ; implicit-def: $sgpr14
                                        ; implicit-def: $sgpr22
                                        ; implicit-def: $sgpr24
                                        ; implicit-def: $sgpr23
                                        ; implicit-def: $sgpr25
	s_delay_alu instid0(VALU_DEP_2) | instskip(NEXT) | instid1(VALU_DEP_2)
	v_lshl_add_u64 v[20:21], v[20:21], 2, s[18:19]
	v_lshl_add_u64 v[22:23], v[22:23], 2, s[18:19]
	s_branch .LBB383_55
.LBB383_54:                             ;   in Loop: Header=BB383_55 Depth=1
	s_or_b32 exec_lo, exec_lo, s26
	s_and_b32 s0, s0, s25
	s_delay_alu instid0(SALU_CYCLE_1) | instskip(SKIP_1) | instid1(SALU_CYCLE_1)
	s_or_b32 s0, vcc_lo, s0
	s_and_b32 s1, exec_lo, s24
	s_or_b32 s15, s1, s15
	s_and_not1_b32 s1, s25, exec_lo
	s_and_b32 s0, s0, exec_lo
	s_and_not1_b32 s22, s22, exec_lo
	s_and_b32 s26, s23, exec_lo
	s_or_b32 s25, s1, s0
	s_and_not1_b32 s1, s14, exec_lo
	s_or_b32 s22, s22, s26
	s_or_b32 s14, s1, s0
	s_and_not1_b32 exec_lo, exec_lo, s15
	s_cbranch_execz .LBB383_57
.LBB383_55:                             ; =>This Inner Loop Header: Depth=1
	global_load_b32 v25, v[20:21], off
	global_load_b32 v26, v[22:23], off
	s_or_b32 s23, s23, exec_lo
	s_or_b32 s24, s24, exec_lo
	s_mov_b32 s26, exec_lo
	s_wait_loadcnt 0x0
	v_cmp_le_i32_e64 s0, v25, v26
	v_cmp_lt_i32_e32 vcc_lo, v25, v26
	v_cmpx_eq_u32_e64 v25, v26
	s_cbranch_execz .LBB383_54
; %bb.56:                               ;   in Loop: Header=BB383_55 Depth=1
	s_add_nc_u64 s[6:7], s[6:7], -1
	v_add_nc_u64_e32 v[20:21], 4, v[20:21]
	s_cmp_eq_u64 s[6:7], 0
	v_add_nc_u64_e32 v[22:23], 4, v[22:23]
	s_cselect_b32 s1, -1, 0
	s_and_not1_b32 s24, s24, exec_lo
	s_and_b32 s1, s1, exec_lo
	s_and_not1_b32 s23, s23, exec_lo
	s_or_b32 s24, s24, s1
	s_branch .LBB383_54
.LBB383_57:
	s_or_b32 exec_lo, exec_lo, s15
	s_and_saveexec_b32 s0, s22
	s_delay_alu instid0(SALU_CYCLE_1)
	s_xor_b32 s0, exec_lo, s0
; %bb.58:
	v_dual_cndmask_b32 v21, v17, v15, s14 :: v_dual_cndmask_b32 v20, v16, v14, s14
	v_dual_cndmask_b32 v15, v15, v17, s14 :: v_dual_cndmask_b32 v14, v14, v16, s14
	s_delay_alu instid0(VALU_DEP_2)
	v_mov_b64_e32 v[16:17], v[20:21]
; %bb.59:
	s_or_b32 exec_lo, exec_lo, s0
	v_mul_u64_e32 v[20:21], s[16:17], v[12:13]
	v_mul_u64_e32 v[22:23], s[16:17], v[10:11]
	s_mov_b32 s15, 0
	s_mov_b64 s[6:7], s[16:17]
                                        ; implicit-def: $sgpr14
                                        ; implicit-def: $sgpr22
                                        ; implicit-def: $sgpr24
                                        ; implicit-def: $sgpr23
                                        ; implicit-def: $sgpr25
	s_delay_alu instid0(VALU_DEP_2) | instskip(NEXT) | instid1(VALU_DEP_2)
	v_lshl_add_u64 v[20:21], v[20:21], 2, s[18:19]
	;; [unrolled: 64-line block ×3, first 2 shown]
	v_lshl_add_u64 v[22:23], v[22:23], 2, s[18:19]
	s_branch .LBB383_67
.LBB383_66:                             ;   in Loop: Header=BB383_67 Depth=1
	s_or_b32 exec_lo, exec_lo, s26
	s_and_b32 s0, s0, s25
	s_delay_alu instid0(SALU_CYCLE_1) | instskip(SKIP_1) | instid1(SALU_CYCLE_1)
	s_or_b32 s0, vcc_lo, s0
	s_and_b32 s1, exec_lo, s24
	s_or_b32 s15, s1, s15
	s_and_not1_b32 s1, s25, exec_lo
	s_and_b32 s0, s0, exec_lo
	s_and_not1_b32 s22, s22, exec_lo
	s_and_b32 s26, s23, exec_lo
	s_or_b32 s25, s1, s0
	s_and_not1_b32 s1, s14, exec_lo
	s_or_b32 s22, s22, s26
	s_or_b32 s14, s1, s0
	s_and_not1_b32 exec_lo, exec_lo, s15
	s_cbranch_execz .LBB383_69
.LBB383_67:                             ; =>This Inner Loop Header: Depth=1
	global_load_b32 v25, v[20:21], off
	global_load_b32 v26, v[22:23], off
	s_or_b32 s23, s23, exec_lo
	s_or_b32 s24, s24, exec_lo
	s_mov_b32 s26, exec_lo
	s_wait_loadcnt 0x0
	v_cmp_le_i32_e64 s0, v25, v26
	v_cmp_lt_i32_e32 vcc_lo, v25, v26
	v_cmpx_eq_u32_e64 v25, v26
	s_cbranch_execz .LBB383_66
; %bb.68:                               ;   in Loop: Header=BB383_67 Depth=1
	s_add_nc_u64 s[6:7], s[6:7], -1
	v_add_nc_u64_e32 v[20:21], 4, v[20:21]
	s_cmp_eq_u64 s[6:7], 0
	v_add_nc_u64_e32 v[22:23], 4, v[22:23]
	s_cselect_b32 s1, -1, 0
	s_and_not1_b32 s24, s24, exec_lo
	s_and_b32 s1, s1, exec_lo
	s_and_not1_b32 s23, s23, exec_lo
	s_or_b32 s24, s24, s1
	s_branch .LBB383_66
.LBB383_69:
	s_or_b32 exec_lo, exec_lo, s15
	s_and_saveexec_b32 s0, s22
	s_delay_alu instid0(SALU_CYCLE_1)
	s_xor_b32 s0, exec_lo, s0
; %bb.70:
	v_dual_cndmask_b32 v21, v7, v9, s14 :: v_dual_cndmask_b32 v20, v6, v8, s14
	v_dual_cndmask_b32 v9, v9, v7, s14 :: v_dual_cndmask_b32 v8, v8, v6, s14
	s_delay_alu instid0(VALU_DEP_2)
	v_mov_b64_e32 v[6:7], v[20:21]
; %bb.71:
	s_or_b32 exec_lo, exec_lo, s0
.LBB383_72:
	v_cmp_ne_u32_e32 vcc_lo, 1, v45
	s_cbranch_vccnz .LBB383_86
; %bb.73:
	v_mul_u64_e32 v[20:21], s[16:17], v[4:5]
	v_mul_u64_e32 v[22:23], s[16:17], v[2:3]
	s_mov_b32 s15, 0
	s_mov_b64 s[6:7], s[16:17]
                                        ; implicit-def: $sgpr14
                                        ; implicit-def: $sgpr22
                                        ; implicit-def: $sgpr24
                                        ; implicit-def: $sgpr23
                                        ; implicit-def: $sgpr25
	s_delay_alu instid0(VALU_DEP_2) | instskip(NEXT) | instid1(VALU_DEP_2)
	v_lshl_add_u64 v[20:21], v[20:21], 2, s[18:19]
	v_lshl_add_u64 v[22:23], v[22:23], 2, s[18:19]
	s_branch .LBB383_75
.LBB383_74:                             ;   in Loop: Header=BB383_75 Depth=1
	s_or_b32 exec_lo, exec_lo, s26
	s_and_b32 s0, s0, s25
	s_delay_alu instid0(SALU_CYCLE_1) | instskip(SKIP_1) | instid1(SALU_CYCLE_1)
	s_or_b32 s0, vcc_lo, s0
	s_and_b32 s1, exec_lo, s24
	s_or_b32 s15, s1, s15
	s_and_not1_b32 s1, s25, exec_lo
	s_and_b32 s0, s0, exec_lo
	s_and_not1_b32 s22, s22, exec_lo
	s_and_b32 s26, s23, exec_lo
	s_or_b32 s25, s1, s0
	s_and_not1_b32 s1, s14, exec_lo
	s_or_b32 s22, s22, s26
	s_or_b32 s14, s1, s0
	s_and_not1_b32 exec_lo, exec_lo, s15
	s_cbranch_execz .LBB383_77
.LBB383_75:                             ; =>This Inner Loop Header: Depth=1
	global_load_b32 v25, v[20:21], off
	global_load_b32 v26, v[22:23], off
	s_or_b32 s23, s23, exec_lo
	s_or_b32 s24, s24, exec_lo
	s_mov_b32 s26, exec_lo
	s_wait_loadcnt 0x0
	v_cmp_le_i32_e64 s0, v25, v26
	v_cmp_lt_i32_e32 vcc_lo, v25, v26
	v_cmpx_eq_u32_e64 v25, v26
	s_cbranch_execz .LBB383_74
; %bb.76:                               ;   in Loop: Header=BB383_75 Depth=1
	s_add_nc_u64 s[6:7], s[6:7], -1
	v_add_nc_u64_e32 v[20:21], 4, v[20:21]
	s_cmp_eq_u64 s[6:7], 0
	v_add_nc_u64_e32 v[22:23], 4, v[22:23]
	s_cselect_b32 s1, -1, 0
	s_and_not1_b32 s24, s24, exec_lo
	s_and_b32 s1, s1, exec_lo
	s_and_not1_b32 s23, s23, exec_lo
	s_or_b32 s24, s24, s1
	s_branch .LBB383_74
.LBB383_77:
	s_or_b32 exec_lo, exec_lo, s15
	s_and_saveexec_b32 s0, s22
	s_delay_alu instid0(SALU_CYCLE_1)
	s_xor_b32 s0, exec_lo, s0
; %bb.78:
	v_dual_cndmask_b32 v21, v3, v5, s14 :: v_dual_cndmask_b32 v20, v2, v4, s14
	v_dual_cndmask_b32 v5, v5, v3, s14 :: v_dual_cndmask_b32 v4, v4, v2, s14
	s_delay_alu instid0(VALU_DEP_2)
	v_mov_b64_e32 v[2:3], v[20:21]
; %bb.79:
	s_or_b32 exec_lo, exec_lo, s0
	v_mul_u64_e32 v[20:21], s[16:17], v[10:11]
	v_mul_u64_e32 v[22:23], s[16:17], v[16:17]
	s_mov_b32 s15, 0
	s_mov_b64 s[6:7], s[16:17]
                                        ; implicit-def: $sgpr14
                                        ; implicit-def: $sgpr22
                                        ; implicit-def: $sgpr24
                                        ; implicit-def: $sgpr23
                                        ; implicit-def: $sgpr25
	s_delay_alu instid0(VALU_DEP_2) | instskip(NEXT) | instid1(VALU_DEP_2)
	v_lshl_add_u64 v[20:21], v[20:21], 2, s[18:19]
	v_lshl_add_u64 v[22:23], v[22:23], 2, s[18:19]
	s_branch .LBB383_81
.LBB383_80:                             ;   in Loop: Header=BB383_81 Depth=1
	s_or_b32 exec_lo, exec_lo, s26
	s_and_b32 s0, s0, s25
	s_delay_alu instid0(SALU_CYCLE_1) | instskip(SKIP_1) | instid1(SALU_CYCLE_1)
	s_or_b32 s0, vcc_lo, s0
	s_and_b32 s1, exec_lo, s24
	s_or_b32 s15, s1, s15
	s_and_not1_b32 s1, s25, exec_lo
	s_and_b32 s0, s0, exec_lo
	s_and_not1_b32 s22, s22, exec_lo
	s_and_b32 s26, s23, exec_lo
	s_or_b32 s25, s1, s0
	s_and_not1_b32 s1, s14, exec_lo
	s_or_b32 s22, s22, s26
	s_or_b32 s14, s1, s0
	s_and_not1_b32 exec_lo, exec_lo, s15
	s_cbranch_execz .LBB383_83
.LBB383_81:                             ; =>This Inner Loop Header: Depth=1
	global_load_b32 v25, v[20:21], off
	global_load_b32 v26, v[22:23], off
	s_or_b32 s23, s23, exec_lo
	s_or_b32 s24, s24, exec_lo
	s_mov_b32 s26, exec_lo
	s_wait_loadcnt 0x0
	v_cmp_le_i32_e64 s0, v25, v26
	v_cmp_lt_i32_e32 vcc_lo, v25, v26
	v_cmpx_eq_u32_e64 v25, v26
	s_cbranch_execz .LBB383_80
; %bb.82:                               ;   in Loop: Header=BB383_81 Depth=1
	s_add_nc_u64 s[6:7], s[6:7], -1
	v_add_nc_u64_e32 v[20:21], 4, v[20:21]
	s_cmp_eq_u64 s[6:7], 0
	v_add_nc_u64_e32 v[22:23], 4, v[22:23]
	s_cselect_b32 s1, -1, 0
	s_and_not1_b32 s24, s24, exec_lo
	s_and_b32 s1, s1, exec_lo
	s_and_not1_b32 s23, s23, exec_lo
	s_or_b32 s24, s24, s1
	s_branch .LBB383_80
.LBB383_83:
	s_or_b32 exec_lo, exec_lo, s15
	s_and_saveexec_b32 s0, s22
	s_delay_alu instid0(SALU_CYCLE_1)
	s_xor_b32 s0, exec_lo, s0
; %bb.84:
	v_dual_cndmask_b32 v21, v17, v11, s14 :: v_dual_cndmask_b32 v20, v16, v10, s14
	v_dual_cndmask_b32 v11, v11, v17, s14 :: v_dual_cndmask_b32 v10, v10, v16, s14
	s_delay_alu instid0(VALU_DEP_2)
	v_mov_b64_e32 v[16:17], v[20:21]
; %bb.85:
	s_or_b32 exec_lo, exec_lo, s0
.LBB383_86:
	v_cmp_ne_u32_e32 vcc_lo, 1, v45
	s_cbranch_vccnz .LBB383_100
; %bb.87:
	s_delay_alu instid0(VALU_DEP_3) | instskip(SKIP_3) | instid1(VALU_DEP_2)
	v_mul_u64_e32 v[20:21], s[16:17], v[6:7]
	v_mul_u64_e32 v[22:23], s[16:17], v[12:13]
	s_mov_b32 s15, 0
	s_mov_b64 s[6:7], s[16:17]
                                        ; implicit-def: $sgpr14
                                        ; implicit-def: $sgpr22
                                        ; implicit-def: $sgpr24
                                        ; implicit-def: $sgpr23
                                        ; implicit-def: $sgpr25
	v_lshl_add_u64 v[20:21], v[20:21], 2, s[18:19]
	s_delay_alu instid0(VALU_DEP_2)
	v_lshl_add_u64 v[22:23], v[22:23], 2, s[18:19]
	s_branch .LBB383_89
.LBB383_88:                             ;   in Loop: Header=BB383_89 Depth=1
	s_or_b32 exec_lo, exec_lo, s26
	s_and_b32 s0, s0, s25
	s_delay_alu instid0(SALU_CYCLE_1) | instskip(SKIP_1) | instid1(SALU_CYCLE_1)
	s_or_b32 s0, vcc_lo, s0
	s_and_b32 s1, exec_lo, s24
	s_or_b32 s15, s1, s15
	s_and_not1_b32 s1, s25, exec_lo
	s_and_b32 s0, s0, exec_lo
	s_and_not1_b32 s22, s22, exec_lo
	s_and_b32 s26, s23, exec_lo
	s_or_b32 s25, s1, s0
	s_and_not1_b32 s1, s14, exec_lo
	s_or_b32 s22, s22, s26
	s_or_b32 s14, s1, s0
	s_and_not1_b32 exec_lo, exec_lo, s15
	s_cbranch_execz .LBB383_91
.LBB383_89:                             ; =>This Inner Loop Header: Depth=1
	global_load_b32 v25, v[20:21], off
	global_load_b32 v26, v[22:23], off
	s_or_b32 s23, s23, exec_lo
	s_or_b32 s24, s24, exec_lo
	s_mov_b32 s26, exec_lo
	s_wait_loadcnt 0x0
	v_cmp_le_i32_e64 s0, v25, v26
	v_cmp_lt_i32_e32 vcc_lo, v25, v26
	v_cmpx_eq_u32_e64 v25, v26
	s_cbranch_execz .LBB383_88
; %bb.90:                               ;   in Loop: Header=BB383_89 Depth=1
	s_add_nc_u64 s[6:7], s[6:7], -1
	v_add_nc_u64_e32 v[20:21], 4, v[20:21]
	s_cmp_eq_u64 s[6:7], 0
	v_add_nc_u64_e32 v[22:23], 4, v[22:23]
	s_cselect_b32 s1, -1, 0
	s_and_not1_b32 s24, s24, exec_lo
	s_and_b32 s1, s1, exec_lo
	s_and_not1_b32 s23, s23, exec_lo
	s_or_b32 s24, s24, s1
	s_branch .LBB383_88
.LBB383_91:
	s_or_b32 exec_lo, exec_lo, s15
	s_and_saveexec_b32 s0, s22
	s_delay_alu instid0(SALU_CYCLE_1)
	s_xor_b32 s0, exec_lo, s0
; %bb.92:
	v_dual_cndmask_b32 v21, v13, v7, s14 :: v_dual_cndmask_b32 v20, v12, v6, s14
	v_dual_cndmask_b32 v7, v7, v13, s14 :: v_dual_cndmask_b32 v6, v6, v12, s14
	s_delay_alu instid0(VALU_DEP_2)
	v_mov_b64_e32 v[12:13], v[20:21]
; %bb.93:
	s_or_b32 exec_lo, exec_lo, s0
	v_mul_u64_e32 v[20:21], s[16:17], v[2:3]
	v_mul_u64_e32 v[22:23], s[16:17], v[8:9]
	s_mov_b32 s15, 0
	s_mov_b64 s[6:7], s[16:17]
                                        ; implicit-def: $sgpr14
                                        ; implicit-def: $sgpr22
                                        ; implicit-def: $sgpr24
                                        ; implicit-def: $sgpr23
                                        ; implicit-def: $sgpr25
	s_delay_alu instid0(VALU_DEP_2) | instskip(NEXT) | instid1(VALU_DEP_2)
	v_lshl_add_u64 v[20:21], v[20:21], 2, s[18:19]
	v_lshl_add_u64 v[22:23], v[22:23], 2, s[18:19]
	s_branch .LBB383_95
.LBB383_94:                             ;   in Loop: Header=BB383_95 Depth=1
	s_or_b32 exec_lo, exec_lo, s26
	s_and_b32 s0, s0, s25
	s_delay_alu instid0(SALU_CYCLE_1) | instskip(SKIP_1) | instid1(SALU_CYCLE_1)
	s_or_b32 s0, vcc_lo, s0
	s_and_b32 s1, exec_lo, s24
	s_or_b32 s15, s1, s15
	s_and_not1_b32 s1, s25, exec_lo
	s_and_b32 s0, s0, exec_lo
	s_and_not1_b32 s22, s22, exec_lo
	s_and_b32 s26, s23, exec_lo
	s_or_b32 s25, s1, s0
	s_and_not1_b32 s1, s14, exec_lo
	s_or_b32 s22, s22, s26
	s_or_b32 s14, s1, s0
	s_and_not1_b32 exec_lo, exec_lo, s15
	s_cbranch_execz .LBB383_97
.LBB383_95:                             ; =>This Inner Loop Header: Depth=1
	global_load_b32 v25, v[20:21], off
	global_load_b32 v26, v[22:23], off
	s_or_b32 s23, s23, exec_lo
	s_or_b32 s24, s24, exec_lo
	s_mov_b32 s26, exec_lo
	s_wait_loadcnt 0x0
	v_cmp_le_i32_e64 s0, v25, v26
	v_cmp_lt_i32_e32 vcc_lo, v25, v26
	v_cmpx_eq_u32_e64 v25, v26
	s_cbranch_execz .LBB383_94
; %bb.96:                               ;   in Loop: Header=BB383_95 Depth=1
	s_add_nc_u64 s[6:7], s[6:7], -1
	v_add_nc_u64_e32 v[20:21], 4, v[20:21]
	s_cmp_eq_u64 s[6:7], 0
	v_add_nc_u64_e32 v[22:23], 4, v[22:23]
	s_cselect_b32 s1, -1, 0
	s_and_not1_b32 s24, s24, exec_lo
	s_and_b32 s1, s1, exec_lo
	s_and_not1_b32 s23, s23, exec_lo
	s_or_b32 s24, s24, s1
	s_branch .LBB383_94
.LBB383_97:
	s_or_b32 exec_lo, exec_lo, s15
	s_and_saveexec_b32 s0, s22
	s_delay_alu instid0(SALU_CYCLE_1)
	s_xor_b32 s0, exec_lo, s0
; %bb.98:
	v_dual_cndmask_b32 v21, v9, v3, s14 :: v_dual_cndmask_b32 v20, v8, v2, s14
	v_dual_cndmask_b32 v3, v3, v9, s14 :: v_dual_cndmask_b32 v2, v2, v8, s14
	s_delay_alu instid0(VALU_DEP_2)
	v_mov_b64_e32 v[8:9], v[20:21]
; %bb.99:
	s_or_b32 exec_lo, exec_lo, s0
.LBB383_100:
	v_cmp_ne_u32_e32 vcc_lo, 1, v45
	s_cbranch_vccnz .LBB383_114
; %bb.101:
	s_delay_alu instid0(VALU_DEP_3) | instskip(SKIP_3) | instid1(VALU_DEP_2)
	v_mul_u64_e32 v[20:21], s[16:17], v[16:17]
	v_mul_u64_e32 v[22:23], s[16:17], v[14:15]
	s_mov_b32 s15, 0
	s_mov_b64 s[6:7], s[16:17]
                                        ; implicit-def: $sgpr14
                                        ; implicit-def: $sgpr22
                                        ; implicit-def: $sgpr24
                                        ; implicit-def: $sgpr23
                                        ; implicit-def: $sgpr25
	v_lshl_add_u64 v[20:21], v[20:21], 2, s[18:19]
	s_delay_alu instid0(VALU_DEP_2)
	v_lshl_add_u64 v[22:23], v[22:23], 2, s[18:19]
	s_branch .LBB383_103
.LBB383_102:                            ;   in Loop: Header=BB383_103 Depth=1
	s_or_b32 exec_lo, exec_lo, s26
	s_and_b32 s0, s0, s25
	s_delay_alu instid0(SALU_CYCLE_1) | instskip(SKIP_1) | instid1(SALU_CYCLE_1)
	s_or_b32 s0, vcc_lo, s0
	s_and_b32 s1, exec_lo, s24
	s_or_b32 s15, s1, s15
	s_and_not1_b32 s1, s25, exec_lo
	s_and_b32 s0, s0, exec_lo
	s_and_not1_b32 s22, s22, exec_lo
	s_and_b32 s26, s23, exec_lo
	s_or_b32 s25, s1, s0
	s_and_not1_b32 s1, s14, exec_lo
	s_or_b32 s22, s22, s26
	s_or_b32 s14, s1, s0
	s_and_not1_b32 exec_lo, exec_lo, s15
	s_cbranch_execz .LBB383_105
.LBB383_103:                            ; =>This Inner Loop Header: Depth=1
	global_load_b32 v25, v[20:21], off
	global_load_b32 v26, v[22:23], off
	s_or_b32 s23, s23, exec_lo
	s_or_b32 s24, s24, exec_lo
	s_mov_b32 s26, exec_lo
	s_wait_loadcnt 0x0
	v_cmp_le_i32_e64 s0, v25, v26
	v_cmp_lt_i32_e32 vcc_lo, v25, v26
	v_cmpx_eq_u32_e64 v25, v26
	s_cbranch_execz .LBB383_102
; %bb.104:                              ;   in Loop: Header=BB383_103 Depth=1
	s_add_nc_u64 s[6:7], s[6:7], -1
	v_add_nc_u64_e32 v[20:21], 4, v[20:21]
	s_cmp_eq_u64 s[6:7], 0
	v_add_nc_u64_e32 v[22:23], 4, v[22:23]
	s_cselect_b32 s1, -1, 0
	s_and_not1_b32 s24, s24, exec_lo
	s_and_b32 s1, s1, exec_lo
	s_and_not1_b32 s23, s23, exec_lo
	s_or_b32 s24, s24, s1
	s_branch .LBB383_102
.LBB383_105:
	s_or_b32 exec_lo, exec_lo, s15
	s_and_saveexec_b32 s0, s22
	s_delay_alu instid0(SALU_CYCLE_1)
	s_xor_b32 s0, exec_lo, s0
; %bb.106:
	v_dual_cndmask_b32 v21, v17, v15, s14 :: v_dual_cndmask_b32 v20, v16, v14, s14
	v_dual_cndmask_b32 v15, v15, v17, s14 :: v_dual_cndmask_b32 v14, v14, v16, s14
	s_delay_alu instid0(VALU_DEP_2)
	v_mov_b64_e32 v[16:17], v[20:21]
; %bb.107:
	s_or_b32 exec_lo, exec_lo, s0
	v_mul_u64_e32 v[20:21], s[16:17], v[12:13]
	v_mul_u64_e32 v[22:23], s[16:17], v[10:11]
	s_mov_b32 s15, 0
	s_mov_b64 s[6:7], s[16:17]
                                        ; implicit-def: $sgpr14
                                        ; implicit-def: $sgpr22
                                        ; implicit-def: $sgpr24
                                        ; implicit-def: $sgpr23
                                        ; implicit-def: $sgpr25
	s_delay_alu instid0(VALU_DEP_2) | instskip(NEXT) | instid1(VALU_DEP_2)
	v_lshl_add_u64 v[20:21], v[20:21], 2, s[18:19]
	v_lshl_add_u64 v[22:23], v[22:23], 2, s[18:19]
	s_branch .LBB383_109
.LBB383_108:                            ;   in Loop: Header=BB383_109 Depth=1
	s_or_b32 exec_lo, exec_lo, s26
	s_and_b32 s0, s0, s25
	s_delay_alu instid0(SALU_CYCLE_1) | instskip(SKIP_1) | instid1(SALU_CYCLE_1)
	s_or_b32 s0, vcc_lo, s0
	s_and_b32 s1, exec_lo, s24
	s_or_b32 s15, s1, s15
	s_and_not1_b32 s1, s25, exec_lo
	s_and_b32 s0, s0, exec_lo
	s_and_not1_b32 s22, s22, exec_lo
	s_and_b32 s26, s23, exec_lo
	s_or_b32 s25, s1, s0
	s_and_not1_b32 s1, s14, exec_lo
	s_or_b32 s22, s22, s26
	s_or_b32 s14, s1, s0
	s_and_not1_b32 exec_lo, exec_lo, s15
	s_cbranch_execz .LBB383_111
.LBB383_109:                            ; =>This Inner Loop Header: Depth=1
	global_load_b32 v25, v[20:21], off
	global_load_b32 v26, v[22:23], off
	s_or_b32 s23, s23, exec_lo
	s_or_b32 s24, s24, exec_lo
	s_mov_b32 s26, exec_lo
	s_wait_loadcnt 0x0
	v_cmp_le_i32_e64 s0, v25, v26
	v_cmp_lt_i32_e32 vcc_lo, v25, v26
	v_cmpx_eq_u32_e64 v25, v26
	s_cbranch_execz .LBB383_108
; %bb.110:                              ;   in Loop: Header=BB383_109 Depth=1
	s_add_nc_u64 s[6:7], s[6:7], -1
	v_add_nc_u64_e32 v[20:21], 4, v[20:21]
	s_cmp_eq_u64 s[6:7], 0
	v_add_nc_u64_e32 v[22:23], 4, v[22:23]
	s_cselect_b32 s1, -1, 0
	s_and_not1_b32 s24, s24, exec_lo
	s_and_b32 s1, s1, exec_lo
	s_and_not1_b32 s23, s23, exec_lo
	s_or_b32 s24, s24, s1
	s_branch .LBB383_108
.LBB383_111:
	s_or_b32 exec_lo, exec_lo, s15
	s_and_saveexec_b32 s0, s22
	s_delay_alu instid0(SALU_CYCLE_1)
	s_xor_b32 s0, exec_lo, s0
; %bb.112:
	v_dual_cndmask_b32 v21, v11, v13, s14 :: v_dual_cndmask_b32 v20, v10, v12, s14
	v_dual_cndmask_b32 v13, v13, v11, s14 :: v_dual_cndmask_b32 v12, v12, v10, s14
	s_delay_alu instid0(VALU_DEP_2)
	v_mov_b64_e32 v[10:11], v[20:21]
; %bb.113:
	s_or_b32 exec_lo, exec_lo, s0
.LBB383_114:
	v_cmp_ne_u32_e32 vcc_lo, 1, v45
	s_cbranch_vccnz .LBB383_188
; %bb.115:
	s_delay_alu instid0(VALU_DEP_3) | instskip(SKIP_3) | instid1(VALU_DEP_2)
	v_mul_u64_e32 v[20:21], s[16:17], v[8:9]
	v_mul_u64_e32 v[22:23], s[16:17], v[6:7]
	s_mov_b32 s15, 0
	s_mov_b64 s[6:7], s[16:17]
                                        ; implicit-def: $sgpr14
                                        ; implicit-def: $sgpr22
                                        ; implicit-def: $sgpr24
                                        ; implicit-def: $sgpr23
                                        ; implicit-def: $sgpr25
	v_lshl_add_u64 v[20:21], v[20:21], 2, s[18:19]
	s_delay_alu instid0(VALU_DEP_2)
	v_lshl_add_u64 v[22:23], v[22:23], 2, s[18:19]
	s_branch .LBB383_117
.LBB383_116:                            ;   in Loop: Header=BB383_117 Depth=1
	s_or_b32 exec_lo, exec_lo, s26
	s_and_b32 s0, s0, s25
	s_delay_alu instid0(SALU_CYCLE_1) | instskip(SKIP_1) | instid1(SALU_CYCLE_1)
	s_or_b32 s0, vcc_lo, s0
	s_and_b32 s1, exec_lo, s24
	s_or_b32 s15, s1, s15
	s_and_not1_b32 s1, s25, exec_lo
	s_and_b32 s0, s0, exec_lo
	s_and_not1_b32 s22, s22, exec_lo
	s_and_b32 s26, s23, exec_lo
	s_or_b32 s25, s1, s0
	s_and_not1_b32 s1, s14, exec_lo
	s_or_b32 s22, s22, s26
	s_or_b32 s14, s1, s0
	s_and_not1_b32 exec_lo, exec_lo, s15
	s_cbranch_execz .LBB383_119
.LBB383_117:                            ; =>This Inner Loop Header: Depth=1
	global_load_b32 v25, v[20:21], off
	global_load_b32 v26, v[22:23], off
	s_or_b32 s23, s23, exec_lo
	s_or_b32 s24, s24, exec_lo
	s_mov_b32 s26, exec_lo
	s_wait_loadcnt 0x0
	v_cmp_le_i32_e64 s0, v25, v26
	v_cmp_lt_i32_e32 vcc_lo, v25, v26
	v_cmpx_eq_u32_e64 v25, v26
	s_cbranch_execz .LBB383_116
; %bb.118:                              ;   in Loop: Header=BB383_117 Depth=1
	s_add_nc_u64 s[6:7], s[6:7], -1
	v_add_nc_u64_e32 v[20:21], 4, v[20:21]
	s_cmp_eq_u64 s[6:7], 0
	v_add_nc_u64_e32 v[22:23], 4, v[22:23]
	s_cselect_b32 s1, -1, 0
	s_and_not1_b32 s24, s24, exec_lo
	s_and_b32 s1, s1, exec_lo
	s_and_not1_b32 s23, s23, exec_lo
	s_or_b32 s24, s24, s1
	s_branch .LBB383_116
.LBB383_119:
	s_or_b32 exec_lo, exec_lo, s15
	s_and_saveexec_b32 s0, s22
	s_delay_alu instid0(SALU_CYCLE_1)
	s_xor_b32 s0, exec_lo, s0
; %bb.120:
	v_dual_cndmask_b32 v21, v7, v9, s14 :: v_dual_cndmask_b32 v20, v6, v8, s14
	v_dual_cndmask_b32 v9, v9, v7, s14 :: v_dual_cndmask_b32 v8, v8, v6, s14
	s_delay_alu instid0(VALU_DEP_2)
	v_mov_b64_e32 v[6:7], v[20:21]
; %bb.121:
	s_or_b32 exec_lo, exec_lo, s0
	v_mul_u64_e32 v[20:21], s[16:17], v[4:5]
	v_mul_u64_e32 v[22:23], s[16:17], v[2:3]
	s_mov_b32 s15, 0
	s_mov_b64 s[6:7], s[16:17]
                                        ; implicit-def: $sgpr14
                                        ; implicit-def: $sgpr22
                                        ; implicit-def: $sgpr24
                                        ; implicit-def: $sgpr23
                                        ; implicit-def: $sgpr25
	s_delay_alu instid0(VALU_DEP_2) | instskip(NEXT) | instid1(VALU_DEP_2)
	v_lshl_add_u64 v[20:21], v[20:21], 2, s[18:19]
	v_lshl_add_u64 v[22:23], v[22:23], 2, s[18:19]
	s_branch .LBB383_123
.LBB383_122:                            ;   in Loop: Header=BB383_123 Depth=1
	s_or_b32 exec_lo, exec_lo, s26
	s_and_b32 s0, s0, s25
	s_delay_alu instid0(SALU_CYCLE_1) | instskip(SKIP_1) | instid1(SALU_CYCLE_1)
	s_or_b32 s0, vcc_lo, s0
	s_and_b32 s1, exec_lo, s24
	s_or_b32 s15, s1, s15
	s_and_not1_b32 s1, s25, exec_lo
	s_and_b32 s0, s0, exec_lo
	s_and_not1_b32 s22, s22, exec_lo
	s_and_b32 s26, s23, exec_lo
	s_or_b32 s25, s1, s0
	s_and_not1_b32 s1, s14, exec_lo
	s_or_b32 s22, s22, s26
	s_or_b32 s14, s1, s0
	s_and_not1_b32 exec_lo, exec_lo, s15
	s_cbranch_execz .LBB383_125
.LBB383_123:                            ; =>This Inner Loop Header: Depth=1
	global_load_b32 v25, v[20:21], off
	global_load_b32 v26, v[22:23], off
	s_or_b32 s23, s23, exec_lo
	s_or_b32 s24, s24, exec_lo
	s_mov_b32 s26, exec_lo
	s_wait_loadcnt 0x0
	v_cmp_le_i32_e64 s0, v25, v26
	v_cmp_lt_i32_e32 vcc_lo, v25, v26
	v_cmpx_eq_u32_e64 v25, v26
	s_cbranch_execz .LBB383_122
; %bb.124:                              ;   in Loop: Header=BB383_123 Depth=1
	s_add_nc_u64 s[6:7], s[6:7], -1
	v_add_nc_u64_e32 v[20:21], 4, v[20:21]
	s_cmp_eq_u64 s[6:7], 0
	v_add_nc_u64_e32 v[22:23], 4, v[22:23]
	s_cselect_b32 s1, -1, 0
	s_and_not1_b32 s24, s24, exec_lo
	s_and_b32 s1, s1, exec_lo
	s_and_not1_b32 s23, s23, exec_lo
	s_or_b32 s24, s24, s1
	s_branch .LBB383_122
.LBB383_125:
	s_or_b32 exec_lo, exec_lo, s15
	s_and_saveexec_b32 s0, s22
	s_delay_alu instid0(SALU_CYCLE_1)
	s_xor_b32 s0, exec_lo, s0
; %bb.126:
	v_dual_cndmask_b32 v21, v3, v5, s14 :: v_dual_cndmask_b32 v20, v2, v4, s14
	v_dual_cndmask_b32 v5, v5, v3, s14 :: v_dual_cndmask_b32 v4, v4, v2, s14
	s_delay_alu instid0(VALU_DEP_2)
	v_mov_b64_e32 v[2:3], v[20:21]
; %bb.127:
	s_or_b32 exec_lo, exec_lo, s0
	v_mul_u64_e32 v[20:21], s[16:17], v[10:11]
	v_mul_u64_e32 v[22:23], s[16:17], v[16:17]
	s_mov_b32 s15, 0
	s_mov_b64 s[6:7], s[16:17]
                                        ; implicit-def: $sgpr14
                                        ; implicit-def: $sgpr22
                                        ; implicit-def: $sgpr24
                                        ; implicit-def: $sgpr23
                                        ; implicit-def: $sgpr25
	s_delay_alu instid0(VALU_DEP_2) | instskip(NEXT) | instid1(VALU_DEP_2)
	v_lshl_add_u64 v[20:21], v[20:21], 2, s[18:19]
	;; [unrolled: 64-line block ×11, first 2 shown]
	v_lshl_add_u64 v[22:23], v[22:23], 2, s[18:19]
	s_branch .LBB383_183
.LBB383_182:                            ;   in Loop: Header=BB383_183 Depth=1
	s_or_b32 exec_lo, exec_lo, s26
	s_and_b32 s0, s0, s25
	s_delay_alu instid0(SALU_CYCLE_1) | instskip(SKIP_1) | instid1(SALU_CYCLE_1)
	s_or_b32 s0, vcc_lo, s0
	s_and_b32 s1, exec_lo, s24
	s_or_b32 s15, s1, s15
	s_and_not1_b32 s1, s25, exec_lo
	s_and_b32 s0, s0, exec_lo
	s_and_not1_b32 s22, s22, exec_lo
	s_and_b32 s26, s23, exec_lo
	s_or_b32 s25, s1, s0
	s_and_not1_b32 s1, s14, exec_lo
	s_or_b32 s22, s22, s26
	s_or_b32 s14, s1, s0
	s_and_not1_b32 exec_lo, exec_lo, s15
	s_cbranch_execz .LBB383_185
.LBB383_183:                            ; =>This Inner Loop Header: Depth=1
	global_load_b32 v25, v[20:21], off
	global_load_b32 v26, v[22:23], off
	s_or_b32 s23, s23, exec_lo
	s_or_b32 s24, s24, exec_lo
	s_mov_b32 s26, exec_lo
	s_wait_loadcnt 0x0
	v_cmp_le_i32_e64 s0, v25, v26
	v_cmp_lt_i32_e32 vcc_lo, v25, v26
	v_cmpx_eq_u32_e64 v25, v26
	s_cbranch_execz .LBB383_182
; %bb.184:                              ;   in Loop: Header=BB383_183 Depth=1
	s_add_nc_u64 s[6:7], s[6:7], -1
	v_add_nc_u64_e32 v[20:21], 4, v[20:21]
	s_cmp_eq_u64 s[6:7], 0
	v_add_nc_u64_e32 v[22:23], 4, v[22:23]
	s_cselect_b32 s1, -1, 0
	s_and_not1_b32 s24, s24, exec_lo
	s_and_b32 s1, s1, exec_lo
	s_and_not1_b32 s23, s23, exec_lo
	s_or_b32 s24, s24, s1
	s_branch .LBB383_182
.LBB383_185:
	s_or_b32 exec_lo, exec_lo, s15
	s_and_saveexec_b32 s0, s22
	s_delay_alu instid0(SALU_CYCLE_1)
	s_xor_b32 s0, exec_lo, s0
; %bb.186:
	v_dual_cndmask_b32 v21, v9, v3, s14 :: v_dual_cndmask_b32 v20, v8, v2, s14
	v_dual_cndmask_b32 v3, v3, v9, s14 :: v_dual_cndmask_b32 v2, v2, v8, s14
	s_delay_alu instid0(VALU_DEP_2)
	v_mov_b64_e32 v[8:9], v[20:21]
; %bb.187:
	s_or_b32 exec_lo, exec_lo, s0
.LBB383_188:
	s_delay_alu instid0(SALU_CYCLE_1) | instskip(SKIP_4) | instid1(VALU_DEP_1)
	s_or_b32 exec_lo, exec_lo, s5
	v_mbcnt_lo_u32_b32 v20, -1, 0
	v_and_b32_e32 v21, 0xffffff00, v24
	s_mov_b32 s1, 0
	s_mov_b32 s5, exec_lo
	v_dual_lshlrev_b32 v48, 3, v20 :: v_dual_lshlrev_b32 v46, 3, v21
	v_sub_nc_u32_e64 v47, 0x800, v21 clamp
	s_delay_alu instid0(VALU_DEP_2) | instskip(SKIP_1) | instid1(VALU_DEP_4)
	v_or_b32_e32 v22, 8, v48
	v_and_b32_e32 v26, 0xf0, v48
	v_lshl_or_b32 v49, v20, 6, v46
	ds_store_b128 v49, v[14:17]
	ds_store_b128 v49, v[10:13] offset:16
	v_min_u32_e32 v50, v47, v22
	v_and_b32_e32 v22, 8, v48
	v_lshl_or_b32 v25, v26, 3, v46
	ds_store_b128 v49, v[6:9] offset:32
	ds_store_b128 v49, v[2:5] offset:48
	v_add_min_u32_e64 v51, v50, 8, v47
	v_min_u32_e32 v27, v47, v22
	v_sub_nc_u32_e32 v22, v50, v26
	; wave barrier
	s_delay_alu instid0(VALU_DEP_3) | instskip(NEXT) | instid1(VALU_DEP_2)
	v_sub_nc_u32_e32 v21, v51, v50
	v_min_u32_e32 v28, v27, v22
	s_delay_alu instid0(VALU_DEP_2) | instskip(NEXT) | instid1(VALU_DEP_1)
	v_sub_nc_u32_e64 v24, v27, v21 clamp
	v_cmpx_lt_u32_e64 v24, v28
	s_cbranch_execz .LBB383_199
; %bb.189:
	v_dual_lshlrev_b32 v20, 3, v50 :: v_dual_lshlrev_b32 v21, 3, v27
	s_lshl_b64 s[6:7], s[16:17], 2
	s_delay_alu instid0(VALU_DEP_1)
	v_add3_u32 v29, v46, v20, v21
	s_branch .LBB383_192
.LBB383_190:                            ;   in Loop: Header=BB383_192 Depth=1
	s_or_b32 exec_lo, exec_lo, s23
.LBB383_191:                            ;   in Loop: Header=BB383_192 Depth=1
	s_delay_alu instid0(VALU_DEP_1) | instskip(NEXT) | instid1(VALU_DEP_1)
	v_dual_add_nc_u32 v20, 1, v30 :: v_dual_cndmask_b32 v28, v28, v30, s22
	v_cndmask_b32_e64 v24, v20, v24, s22
	s_delay_alu instid0(VALU_DEP_1) | instskip(SKIP_1) | instid1(SALU_CYCLE_1)
	v_cmp_ge_u32_e32 vcc_lo, v24, v28
	s_or_b32 s1, vcc_lo, s1
	s_and_not1_b32 exec_lo, exec_lo, s1
	s_cbranch_execz .LBB383_198
.LBB383_192:                            ; =>This Loop Header: Depth=1
                                        ;     Child Loop BB383_195 Depth 2
	v_add_nc_u32_e32 v20, v28, v24
	v_cmp_ne_u32_e32 vcc_lo, 1, v45
	s_delay_alu instid0(VALU_DEP_2)
	v_lshrrev_b32_e32 v30, 1, v20
	s_cbranch_vccnz .LBB383_197
; %bb.193:                              ;   in Loop: Header=BB383_192 Depth=1
	s_delay_alu instid0(VALU_DEP_1) | instskip(SKIP_3) | instid1(VALU_DEP_2)
	v_not_b32_e32 v20, v30
	v_lshl_add_u32 v21, v30, 3, v25
	s_mov_b32 s23, 0
	s_mov_b64 s[14:15], s[16:17]
                                        ; implicit-def: $sgpr22
                                        ; implicit-def: $sgpr24
                                        ; implicit-def: $sgpr25
                                        ; implicit-def: $sgpr26
	v_lshl_add_u32 v20, v20, 3, v29
	ds_load_b64 v[32:33], v20
	ds_load_b64 v[34:35], v21
	s_wait_dscnt 0x1
	v_mad_nc_u64_u32 v[20:21], s6, v32, s[18:19]
	s_wait_dscnt 0x0
	v_mad_nc_u64_u32 v[22:23], s6, v34, s[18:19]
	s_delay_alu instid0(VALU_DEP_2) | instskip(NEXT) | instid1(VALU_DEP_2)
	v_mad_u32 v21, s7, v32, v21
	v_mad_u32 v23, s7, v34, v23
	s_delay_alu instid0(VALU_DEP_2) | instskip(NEXT) | instid1(VALU_DEP_2)
	v_mad_u32 v21, s6, v33, v21
	v_mad_u32 v23, s6, v35, v23
	s_branch .LBB383_195
.LBB383_194:                            ;   in Loop: Header=BB383_195 Depth=2
	s_or_b32 exec_lo, exec_lo, s27
	s_delay_alu instid0(SALU_CYCLE_1) | instskip(NEXT) | instid1(SALU_CYCLE_1)
	s_and_b32 s27, exec_lo, s24
	s_or_b32 s23, s27, s23
	s_and_not1_b32 s26, s26, exec_lo
	s_and_b32 s0, s0, exec_lo
	s_and_not1_b32 s22, s22, exec_lo
	s_and_b32 s27, s25, exec_lo
	s_or_b32 s26, s26, s0
	s_or_b32 s22, s22, s27
	s_and_not1_b32 exec_lo, exec_lo, s23
	s_cbranch_execz .LBB383_190
.LBB383_195:                            ;   Parent Loop BB383_192 Depth=1
                                        ; =>  This Inner Loop Header: Depth=2
	global_load_b32 v31, v[20:21], off
	global_load_b32 v32, v[22:23], off
	s_and_not1_b32 s25, s25, exec_lo
	s_or_b32 s24, s24, exec_lo
	s_wait_loadcnt 0x0
	v_cmp_le_i32_e32 vcc_lo, v31, v32
	v_cmp_lt_i32_e64 s0, v31, v32
	s_and_b32 s27, vcc_lo, s26
	s_delay_alu instid0(SALU_CYCLE_1) | instskip(NEXT) | instid1(SALU_CYCLE_1)
	s_or_b32 s0, s0, s27
	s_and_b32 s27, s0, exec_lo
	s_delay_alu instid0(SALU_CYCLE_1)
	s_or_b32 s25, s25, s27
	s_mov_b32 s27, exec_lo
	v_cmpx_eq_u32_e64 v31, v32
	s_cbranch_execz .LBB383_194
; %bb.196:                              ;   in Loop: Header=BB383_195 Depth=2
	s_add_nc_u64 s[14:15], s[14:15], -1
	v_add_nc_u64_e32 v[20:21], 4, v[20:21]
	s_cmp_eq_u64 s[14:15], 0
	v_add_nc_u64_e32 v[22:23], 4, v[22:23]
	s_cselect_b32 s26, -1, 0
	s_and_not1_b32 s24, s24, exec_lo
	s_and_b32 s26, s26, exec_lo
	s_and_not1_b32 s25, s25, exec_lo
	s_or_b32 s24, s24, s26
                                        ; implicit-def: $sgpr26
	s_branch .LBB383_194
.LBB383_197:                            ;   in Loop: Header=BB383_192 Depth=1
	s_mov_b32 s22, 0
	s_branch .LBB383_191
.LBB383_198:
	s_or_b32 exec_lo, exec_lo, s1
.LBB383_199:
	s_delay_alu instid0(SALU_CYCLE_1) | instskip(SKIP_1) | instid1(VALU_DEP_1)
	s_or_b32 exec_lo, exec_lo, s5
	v_dual_add_nc_u32 v21, v50, v27 :: v_dual_add_nc_u32 v20, v24, v26
	v_sub_nc_u32_e32 v21, v21, v24
	s_delay_alu instid0(VALU_DEP_2) | instskip(NEXT) | instid1(VALU_DEP_2)
	v_cmp_le_u32_e32 vcc_lo, v20, v50
	v_cmp_le_u32_e64 s0, v21, v51
	s_or_b32 s0, vcc_lo, s0
	s_delay_alu instid0(SALU_CYCLE_1)
	s_and_saveexec_b32 s1, s0
	s_cbranch_execz .LBB383_290
; %bb.200:
	s_mov_b32 s5, exec_lo
	v_cmp_ge_u32_e32 vcc_lo, v20, v50
                                        ; implicit-def: $vgpr2_vgpr3
	v_cmpx_lt_u32_e64 v20, v50
; %bb.201:
	v_lshl_add_u32 v2, v24, 3, v25
	ds_load_b64 v[2:3], v2
; %bb.202:
	s_or_b32 exec_lo, exec_lo, s5
	v_cmp_ge_u32_e64 s5, v21, v51
	s_mov_b32 s6, exec_lo
                                        ; implicit-def: $vgpr4_vgpr5
	v_cmpx_lt_u32_e64 v21, v51
; %bb.203:
	v_lshl_add_u32 v4, v21, 3, v46
	ds_load_b64 v[4:5], v4
; %bb.204:
	s_or_b32 exec_lo, exec_lo, s6
	s_nor_b32 s0, vcc_lo, s5
	s_delay_alu instid0(SALU_CYCLE_1)
	s_and_saveexec_b32 s14, s0
	s_cbranch_execz .LBB383_213
; %bb.205:
	v_cmp_ne_u32_e32 vcc_lo, 1, v45
	s_cbranch_vccnz .LBB383_211
; %bb.206:
	s_wait_dscnt 0x0
	v_mul_u64_e32 v[6:7], s[16:17], v[4:5]
	v_mul_u64_e32 v[8:9], s[16:17], v[2:3]
	s_mov_b32 s15, 0
	s_mov_b64 s[6:7], s[16:17]
                                        ; implicit-def: $sgpr22
                                        ; implicit-def: $sgpr23
                                        ; implicit-def: $sgpr24
                                        ; implicit-def: $sgpr25
	s_delay_alu instid0(VALU_DEP_2) | instskip(NEXT) | instid1(VALU_DEP_2)
	v_lshl_add_u64 v[6:7], v[6:7], 2, s[18:19]
	v_lshl_add_u64 v[8:9], v[8:9], 2, s[18:19]
	s_branch .LBB383_208
.LBB383_207:                            ;   in Loop: Header=BB383_208 Depth=1
	s_or_b32 exec_lo, exec_lo, s26
	s_delay_alu instid0(SALU_CYCLE_1) | instskip(NEXT) | instid1(SALU_CYCLE_1)
	s_and_b32 s26, exec_lo, s23
	s_or_b32 s15, s26, s15
	s_and_not1_b32 s25, s25, exec_lo
	s_and_b32 s0, s0, exec_lo
	s_and_not1_b32 s22, s22, exec_lo
	s_and_b32 s26, s24, exec_lo
	s_or_b32 s25, s25, s0
	s_or_b32 s22, s22, s26
	s_and_not1_b32 exec_lo, exec_lo, s15
	s_cbranch_execz .LBB383_210
.LBB383_208:                            ; =>This Inner Loop Header: Depth=1
	global_load_b32 v10, v[6:7], off
	global_load_b32 v11, v[8:9], off
	s_and_not1_b32 s24, s24, exec_lo
	s_or_b32 s23, s23, exec_lo
	s_wait_loadcnt 0x0
	v_cmp_le_i32_e32 vcc_lo, v10, v11
	v_cmp_lt_i32_e64 s0, v10, v11
	s_and_b32 s26, vcc_lo, s25
	s_delay_alu instid0(SALU_CYCLE_1) | instskip(NEXT) | instid1(SALU_CYCLE_1)
	s_or_b32 s0, s0, s26
	s_and_b32 s26, s0, exec_lo
	s_delay_alu instid0(SALU_CYCLE_1)
	s_or_b32 s24, s24, s26
	s_mov_b32 s26, exec_lo
	v_cmpx_eq_u32_e64 v10, v11
	s_cbranch_execz .LBB383_207
; %bb.209:                              ;   in Loop: Header=BB383_208 Depth=1
	s_add_nc_u64 s[6:7], s[6:7], -1
	v_add_nc_u64_e32 v[6:7], 4, v[6:7]
	s_cmp_eq_u64 s[6:7], 0
	v_add_nc_u64_e32 v[8:9], 4, v[8:9]
	s_cselect_b32 s25, -1, 0
	s_and_not1_b32 s23, s23, exec_lo
	s_and_b32 s25, s25, exec_lo
	s_and_not1_b32 s24, s24, exec_lo
	s_or_b32 s23, s23, s25
                                        ; implicit-def: $sgpr25
	s_branch .LBB383_207
.LBB383_210:
	s_or_b32 exec_lo, exec_lo, s15
	s_xor_b32 s0, s22, -1
	s_branch .LBB383_212
.LBB383_211:
	s_mov_b32 s0, -1
.LBB383_212:
	s_and_not1_b32 s5, s5, exec_lo
	s_and_b32 s0, s0, exec_lo
	s_delay_alu instid0(SALU_CYCLE_1)
	s_or_b32 s5, s5, s0
.LBB383_213:
	s_or_b32 exec_lo, exec_lo, s14
	v_dual_cndmask_b32 v6, v21, v20, s5 :: v_dual_cndmask_b32 v7, v51, v50, s5
	s_mov_b32 s15, -1
	s_mov_b32 s14, -1
	s_mov_b32 s22, exec_lo
	s_delay_alu instid0(VALU_DEP_1) | instskip(NEXT) | instid1(VALU_DEP_1)
	v_add_nc_u32_e32 v8, 1, v6
	v_add_min_u32_e64 v6, v7, -1, v8
	s_delay_alu instid0(VALU_DEP_1)
	v_lshl_add_u32 v6, v6, 3, v46
	ds_load_b64 v[6:7], v6
	s_wait_dscnt 0x0
	v_cndmask_b32_e64 v15, v7, v5, s5
	v_dual_cndmask_b32 v10, v8, v21, s5 :: v_dual_cndmask_b32 v14, v6, v4, s5
	v_dual_cndmask_b32 v11, v20, v8, s5 :: v_dual_cndmask_b32 v17, v3, v7, s5
	v_cndmask_b32_e64 v16, v2, v6, s5
	s_delay_alu instid0(VALU_DEP_3)
	v_cmpx_lt_u32_e64 v10, v51
	s_cbranch_execz .LBB383_224
; %bb.214:
	s_mov_b32 s0, 0
	s_mov_b32 s14, exec_lo
	v_cmpx_lt_u32_e64 v11, v50
	s_cbranch_execz .LBB383_223
; %bb.215:
	v_cmp_ne_u32_e32 vcc_lo, 1, v45
	s_cbranch_vccnz .LBB383_221
; %bb.216:
	v_mul_u64_e32 v[6:7], s[16:17], v[14:15]
	v_mul_u64_e32 v[8:9], s[16:17], v[16:17]
	s_mov_b32 s23, 0
	s_mov_b64 s[6:7], s[16:17]
                                        ; implicit-def: $sgpr24
                                        ; implicit-def: $sgpr25
                                        ; implicit-def: $sgpr26
                                        ; implicit-def: $sgpr27
	s_delay_alu instid0(VALU_DEP_2) | instskip(NEXT) | instid1(VALU_DEP_2)
	v_lshl_add_u64 v[6:7], v[6:7], 2, s[18:19]
	v_lshl_add_u64 v[8:9], v[8:9], 2, s[18:19]
	s_branch .LBB383_218
.LBB383_217:                            ;   in Loop: Header=BB383_218 Depth=1
	s_or_b32 exec_lo, exec_lo, s28
	s_delay_alu instid0(SALU_CYCLE_1) | instskip(NEXT) | instid1(SALU_CYCLE_1)
	s_and_b32 s28, exec_lo, s25
	s_or_b32 s23, s28, s23
	s_and_not1_b32 s27, s27, exec_lo
	s_and_b32 s0, s0, exec_lo
	s_and_not1_b32 s24, s24, exec_lo
	s_and_b32 s28, s26, exec_lo
	s_or_b32 s27, s27, s0
	s_or_b32 s24, s24, s28
	s_and_not1_b32 exec_lo, exec_lo, s23
	s_cbranch_execz .LBB383_220
.LBB383_218:                            ; =>This Inner Loop Header: Depth=1
	global_load_b32 v12, v[6:7], off
	global_load_b32 v13, v[8:9], off
	s_and_not1_b32 s26, s26, exec_lo
	s_or_b32 s25, s25, exec_lo
	s_wait_loadcnt 0x0
	v_cmp_le_i32_e32 vcc_lo, v12, v13
	v_cmp_lt_i32_e64 s0, v12, v13
	s_and_b32 s28, vcc_lo, s27
	s_delay_alu instid0(SALU_CYCLE_1) | instskip(NEXT) | instid1(SALU_CYCLE_1)
	s_or_b32 s0, s0, s28
	s_and_b32 s28, s0, exec_lo
	s_delay_alu instid0(SALU_CYCLE_1)
	s_or_b32 s26, s26, s28
	s_mov_b32 s28, exec_lo
	v_cmpx_eq_u32_e64 v12, v13
	s_cbranch_execz .LBB383_217
; %bb.219:                              ;   in Loop: Header=BB383_218 Depth=1
	s_add_nc_u64 s[6:7], s[6:7], -1
	v_add_nc_u64_e32 v[6:7], 4, v[6:7]
	s_cmp_eq_u64 s[6:7], 0
	v_add_nc_u64_e32 v[8:9], 4, v[8:9]
	s_cselect_b32 s27, -1, 0
	s_and_not1_b32 s25, s25, exec_lo
	s_and_b32 s27, s27, exec_lo
	s_and_not1_b32 s26, s26, exec_lo
	s_or_b32 s25, s25, s27
                                        ; implicit-def: $sgpr27
	s_branch .LBB383_217
.LBB383_220:
	s_or_b32 exec_lo, exec_lo, s23
	s_xor_b32 s0, s24, -1
	s_branch .LBB383_222
.LBB383_221:
	s_mov_b32 s0, -1
.LBB383_222:
	s_delay_alu instid0(SALU_CYCLE_1)
	s_and_b32 s0, s0, exec_lo
.LBB383_223:
	s_or_b32 exec_lo, exec_lo, s14
	s_delay_alu instid0(SALU_CYCLE_1)
	s_or_not1_b32 s14, s0, exec_lo
.LBB383_224:
	s_or_b32 exec_lo, exec_lo, s22
	v_dual_cndmask_b32 v6, v10, v11, s14 :: v_dual_cndmask_b32 v7, v51, v50, s14
	s_mov_b32 s22, exec_lo
	s_delay_alu instid0(VALU_DEP_1) | instskip(NEXT) | instid1(VALU_DEP_1)
	v_add_nc_u32_e32 v8, 1, v6
	v_add_min_u32_e64 v6, v7, -1, v8
	s_delay_alu instid0(VALU_DEP_1)
	v_lshl_add_u32 v6, v6, 3, v46
	ds_load_b64 v[6:7], v6
	v_cndmask_b32_e64 v13, v11, v8, s14
	s_wait_dscnt 0x0
	v_dual_cndmask_b32 v11, v7, v15, s14 :: v_dual_cndmask_b32 v12, v8, v10, s14
	v_dual_cndmask_b32 v21, v17, v7, s14 :: v_dual_cndmask_b32 v10, v6, v14, s14
	v_cndmask_b32_e64 v20, v16, v6, s14
	s_delay_alu instid0(VALU_DEP_3)
	v_cmpx_lt_u32_e64 v12, v51
	s_cbranch_execz .LBB383_235
; %bb.225:
	s_mov_b32 s0, 0
	s_mov_b32 s15, exec_lo
	v_cmpx_lt_u32_e64 v13, v50
	s_cbranch_execz .LBB383_234
; %bb.226:
	v_cmp_ne_u32_e32 vcc_lo, 1, v45
	s_cbranch_vccnz .LBB383_232
; %bb.227:
	v_mul_u64_e32 v[6:7], s[16:17], v[10:11]
	v_mul_u64_e32 v[8:9], s[16:17], v[20:21]
	s_mov_b32 s23, 0
	s_mov_b64 s[6:7], s[16:17]
                                        ; implicit-def: $sgpr24
                                        ; implicit-def: $sgpr25
                                        ; implicit-def: $sgpr26
                                        ; implicit-def: $sgpr27
	s_delay_alu instid0(VALU_DEP_2) | instskip(NEXT) | instid1(VALU_DEP_2)
	v_lshl_add_u64 v[6:7], v[6:7], 2, s[18:19]
	v_lshl_add_u64 v[8:9], v[8:9], 2, s[18:19]
	s_branch .LBB383_229
.LBB383_228:                            ;   in Loop: Header=BB383_229 Depth=1
	s_or_b32 exec_lo, exec_lo, s28
	s_delay_alu instid0(SALU_CYCLE_1) | instskip(NEXT) | instid1(SALU_CYCLE_1)
	s_and_b32 s28, exec_lo, s25
	s_or_b32 s23, s28, s23
	s_and_not1_b32 s27, s27, exec_lo
	s_and_b32 s0, s0, exec_lo
	s_and_not1_b32 s24, s24, exec_lo
	s_and_b32 s28, s26, exec_lo
	s_or_b32 s27, s27, s0
	s_or_b32 s24, s24, s28
	s_and_not1_b32 exec_lo, exec_lo, s23
	s_cbranch_execz .LBB383_231
.LBB383_229:                            ; =>This Inner Loop Header: Depth=1
	global_load_b32 v22, v[6:7], off
	global_load_b32 v23, v[8:9], off
	s_and_not1_b32 s26, s26, exec_lo
	s_or_b32 s25, s25, exec_lo
	s_wait_loadcnt 0x0
	v_cmp_le_i32_e32 vcc_lo, v22, v23
	v_cmp_lt_i32_e64 s0, v22, v23
	s_and_b32 s28, vcc_lo, s27
	s_delay_alu instid0(SALU_CYCLE_1) | instskip(NEXT) | instid1(SALU_CYCLE_1)
	s_or_b32 s0, s0, s28
	s_and_b32 s28, s0, exec_lo
	s_delay_alu instid0(SALU_CYCLE_1)
	s_or_b32 s26, s26, s28
	s_mov_b32 s28, exec_lo
	v_cmpx_eq_u32_e64 v22, v23
	s_cbranch_execz .LBB383_228
; %bb.230:                              ;   in Loop: Header=BB383_229 Depth=1
	s_add_nc_u64 s[6:7], s[6:7], -1
	v_add_nc_u64_e32 v[6:7], 4, v[6:7]
	s_cmp_eq_u64 s[6:7], 0
	v_add_nc_u64_e32 v[8:9], 4, v[8:9]
	s_cselect_b32 s27, -1, 0
	s_and_not1_b32 s25, s25, exec_lo
	s_and_b32 s27, s27, exec_lo
	s_and_not1_b32 s26, s26, exec_lo
	s_or_b32 s25, s25, s27
                                        ; implicit-def: $sgpr27
	s_branch .LBB383_228
.LBB383_231:
	s_or_b32 exec_lo, exec_lo, s23
	s_xor_b32 s0, s24, -1
	s_branch .LBB383_233
.LBB383_232:
	s_mov_b32 s0, -1
.LBB383_233:
	s_delay_alu instid0(SALU_CYCLE_1)
	s_and_b32 s0, s0, exec_lo
.LBB383_234:
	s_or_b32 exec_lo, exec_lo, s15
	s_delay_alu instid0(SALU_CYCLE_1)
	s_or_not1_b32 s15, s0, exec_lo
.LBB383_235:
	s_or_b32 exec_lo, exec_lo, s22
	v_dual_cndmask_b32 v6, v12, v13, s15 :: v_dual_cndmask_b32 v7, v51, v50, s15
	s_mov_b32 s23, -1
	s_mov_b32 s22, -1
	s_mov_b32 s24, exec_lo
	s_delay_alu instid0(VALU_DEP_1) | instskip(NEXT) | instid1(VALU_DEP_1)
	v_add_nc_u32_e32 v8, 1, v6
	v_add_min_u32_e64 v6, v7, -1, v8
	s_delay_alu instid0(VALU_DEP_1)
	v_lshl_add_u32 v6, v6, 3, v46
	ds_load_b64 v[6:7], v6
	s_wait_dscnt 0x0
	v_dual_cndmask_b32 v25, v13, v8, s15 :: v_dual_cndmask_b32 v22, v20, v6, s15
	v_dual_cndmask_b32 v13, v7, v11, s15 :: v_dual_cndmask_b32 v24, v8, v12, s15
	;; [unrolled: 1-line block ×3, first 2 shown]
	s_delay_alu instid0(VALU_DEP_2)
	v_cmpx_lt_u32_e64 v24, v51
	s_cbranch_execz .LBB383_246
; %bb.236:
	s_mov_b32 s0, 0
	s_mov_b32 s22, exec_lo
	v_cmpx_lt_u32_e64 v25, v50
	s_cbranch_execz .LBB383_245
; %bb.237:
	v_cmp_ne_u32_e32 vcc_lo, 1, v45
	s_cbranch_vccnz .LBB383_243
; %bb.238:
	v_mul_u64_e32 v[6:7], s[16:17], v[12:13]
	v_mul_u64_e32 v[8:9], s[16:17], v[22:23]
	s_mov_b32 s25, 0
	s_mov_b64 s[6:7], s[16:17]
                                        ; implicit-def: $sgpr26
                                        ; implicit-def: $sgpr27
                                        ; implicit-def: $sgpr28
                                        ; implicit-def: $sgpr29
	s_delay_alu instid0(VALU_DEP_2) | instskip(NEXT) | instid1(VALU_DEP_2)
	v_lshl_add_u64 v[6:7], v[6:7], 2, s[18:19]
	v_lshl_add_u64 v[8:9], v[8:9], 2, s[18:19]
	s_branch .LBB383_240
.LBB383_239:                            ;   in Loop: Header=BB383_240 Depth=1
	s_or_b32 exec_lo, exec_lo, s30
	s_delay_alu instid0(SALU_CYCLE_1) | instskip(NEXT) | instid1(SALU_CYCLE_1)
	s_and_b32 s30, exec_lo, s27
	s_or_b32 s25, s30, s25
	s_and_not1_b32 s29, s29, exec_lo
	s_and_b32 s0, s0, exec_lo
	s_and_not1_b32 s26, s26, exec_lo
	s_and_b32 s30, s28, exec_lo
	s_or_b32 s29, s29, s0
	s_or_b32 s26, s26, s30
	s_and_not1_b32 exec_lo, exec_lo, s25
	s_cbranch_execz .LBB383_242
.LBB383_240:                            ; =>This Inner Loop Header: Depth=1
	global_load_b32 v26, v[6:7], off
	global_load_b32 v27, v[8:9], off
	s_and_not1_b32 s28, s28, exec_lo
	s_or_b32 s27, s27, exec_lo
	s_wait_loadcnt 0x0
	v_cmp_le_i32_e32 vcc_lo, v26, v27
	v_cmp_lt_i32_e64 s0, v26, v27
	s_and_b32 s30, vcc_lo, s29
	s_delay_alu instid0(SALU_CYCLE_1) | instskip(NEXT) | instid1(SALU_CYCLE_1)
	s_or_b32 s0, s0, s30
	s_and_b32 s30, s0, exec_lo
	s_delay_alu instid0(SALU_CYCLE_1)
	s_or_b32 s28, s28, s30
	s_mov_b32 s30, exec_lo
	v_cmpx_eq_u32_e64 v26, v27
	s_cbranch_execz .LBB383_239
; %bb.241:                              ;   in Loop: Header=BB383_240 Depth=1
	s_add_nc_u64 s[6:7], s[6:7], -1
	v_add_nc_u64_e32 v[6:7], 4, v[6:7]
	s_cmp_eq_u64 s[6:7], 0
	v_add_nc_u64_e32 v[8:9], 4, v[8:9]
	s_cselect_b32 s29, -1, 0
	s_and_not1_b32 s27, s27, exec_lo
	s_and_b32 s29, s29, exec_lo
	s_and_not1_b32 s28, s28, exec_lo
	s_or_b32 s27, s27, s29
                                        ; implicit-def: $sgpr29
	s_branch .LBB383_239
.LBB383_242:
	s_or_b32 exec_lo, exec_lo, s25
	s_xor_b32 s0, s26, -1
	s_branch .LBB383_244
.LBB383_243:
	s_mov_b32 s0, -1
.LBB383_244:
	s_delay_alu instid0(SALU_CYCLE_1)
	s_and_b32 s0, s0, exec_lo
.LBB383_245:
	s_or_b32 exec_lo, exec_lo, s22
	s_delay_alu instid0(SALU_CYCLE_1)
	s_or_not1_b32 s22, s0, exec_lo
.LBB383_246:
	s_or_b32 exec_lo, exec_lo, s24
	v_dual_cndmask_b32 v6, v24, v25, s22 :: v_dual_cndmask_b32 v7, v51, v50, s22
	s_mov_b32 s24, exec_lo
	s_delay_alu instid0(VALU_DEP_1) | instskip(NEXT) | instid1(VALU_DEP_1)
	v_add_nc_u32_e32 v6, 1, v6
	v_add_min_u32_e64 v7, v7, -1, v6
	s_delay_alu instid0(VALU_DEP_1)
	v_lshl_add_u32 v7, v7, 3, v46
	ds_load_b64 v[8:9], v7
	s_wait_dscnt 0x0
	v_dual_cndmask_b32 v7, v9, v13, s22 :: v_dual_cndmask_b32 v28, v6, v24, s22
	v_dual_cndmask_b32 v29, v25, v6, s22 :: v_dual_cndmask_b32 v6, v8, v12, s22
	;; [unrolled: 1-line block ×3, first 2 shown]
	s_delay_alu instid0(VALU_DEP_3)
	v_cmpx_lt_u32_e64 v28, v51
	s_cbranch_execz .LBB383_257
; %bb.247:
	s_mov_b32 s0, 0
	s_mov_b32 s23, exec_lo
	v_cmpx_lt_u32_e64 v29, v50
	s_cbranch_execz .LBB383_256
; %bb.248:
	v_cmp_ne_u32_e32 vcc_lo, 1, v45
	s_cbranch_vccnz .LBB383_254
; %bb.249:
	v_mul_u64_e32 v[8:9], s[16:17], v[6:7]
	v_mul_u64_e32 v[26:27], s[16:17], v[24:25]
	s_mov_b32 s25, 0
	s_mov_b64 s[6:7], s[16:17]
                                        ; implicit-def: $sgpr26
                                        ; implicit-def: $sgpr27
                                        ; implicit-def: $sgpr28
                                        ; implicit-def: $sgpr29
	s_delay_alu instid0(VALU_DEP_2) | instskip(NEXT) | instid1(VALU_DEP_2)
	v_lshl_add_u64 v[8:9], v[8:9], 2, s[18:19]
	v_lshl_add_u64 v[26:27], v[26:27], 2, s[18:19]
	s_branch .LBB383_251
.LBB383_250:                            ;   in Loop: Header=BB383_251 Depth=1
	s_or_b32 exec_lo, exec_lo, s30
	s_delay_alu instid0(SALU_CYCLE_1) | instskip(NEXT) | instid1(SALU_CYCLE_1)
	s_and_b32 s30, exec_lo, s27
	s_or_b32 s25, s30, s25
	s_and_not1_b32 s29, s29, exec_lo
	s_and_b32 s0, s0, exec_lo
	s_and_not1_b32 s26, s26, exec_lo
	s_and_b32 s30, s28, exec_lo
	s_or_b32 s29, s29, s0
	s_or_b32 s26, s26, s30
	s_and_not1_b32 exec_lo, exec_lo, s25
	s_cbranch_execz .LBB383_253
.LBB383_251:                            ; =>This Inner Loop Header: Depth=1
	global_load_b32 v30, v[8:9], off
	global_load_b32 v31, v[26:27], off
	s_and_not1_b32 s28, s28, exec_lo
	s_or_b32 s27, s27, exec_lo
	s_wait_loadcnt 0x0
	v_cmp_le_i32_e32 vcc_lo, v30, v31
	v_cmp_lt_i32_e64 s0, v30, v31
	s_and_b32 s30, vcc_lo, s29
	s_delay_alu instid0(SALU_CYCLE_1) | instskip(NEXT) | instid1(SALU_CYCLE_1)
	s_or_b32 s0, s0, s30
	s_and_b32 s30, s0, exec_lo
	s_delay_alu instid0(SALU_CYCLE_1)
	s_or_b32 s28, s28, s30
	s_mov_b32 s30, exec_lo
	v_cmpx_eq_u32_e64 v30, v31
	s_cbranch_execz .LBB383_250
; %bb.252:                              ;   in Loop: Header=BB383_251 Depth=1
	s_add_nc_u64 s[6:7], s[6:7], -1
	v_add_nc_u64_e32 v[8:9], 4, v[8:9]
	s_cmp_eq_u64 s[6:7], 0
	v_add_nc_u64_e32 v[26:27], 4, v[26:27]
	s_cselect_b32 s29, -1, 0
	s_and_not1_b32 s27, s27, exec_lo
	s_and_b32 s29, s29, exec_lo
	s_and_not1_b32 s28, s28, exec_lo
	s_or_b32 s27, s27, s29
                                        ; implicit-def: $sgpr29
	s_branch .LBB383_250
.LBB383_253:
	s_or_b32 exec_lo, exec_lo, s25
	s_xor_b32 s0, s26, -1
	s_branch .LBB383_255
.LBB383_254:
	s_mov_b32 s0, -1
.LBB383_255:
	s_delay_alu instid0(SALU_CYCLE_1)
	s_and_b32 s0, s0, exec_lo
.LBB383_256:
	s_or_b32 exec_lo, exec_lo, s23
	s_delay_alu instid0(SALU_CYCLE_1)
	s_or_not1_b32 s23, s0, exec_lo
.LBB383_257:
	s_or_b32 exec_lo, exec_lo, s24
	v_dual_cndmask_b32 v8, v28, v29, s23 :: v_dual_cndmask_b32 v9, v51, v50, s23
	s_mov_b32 s24, -1
	s_mov_b32 s25, -1
	s_mov_b32 s26, exec_lo
	s_delay_alu instid0(VALU_DEP_1) | instskip(NEXT) | instid1(VALU_DEP_1)
	v_add_nc_u32_e32 v8, 1, v8
	v_add_min_u32_e64 v9, v9, -1, v8
	s_delay_alu instid0(VALU_DEP_1)
	v_lshl_add_u32 v9, v9, 3, v46
	ds_load_b64 v[26:27], v9
	s_wait_dscnt 0x0
	v_dual_cndmask_b32 v9, v27, v7, s23 :: v_dual_cndmask_b32 v32, v8, v28, s23
	v_dual_cndmask_b32 v33, v29, v8, s23 :: v_dual_cndmask_b32 v8, v26, v6, s23
	;; [unrolled: 1-line block ×3, first 2 shown]
	s_delay_alu instid0(VALU_DEP_3)
	v_cmpx_lt_u32_e64 v32, v51
	s_cbranch_execz .LBB383_268
; %bb.258:
	s_mov_b32 s0, 0
	s_mov_b32 s25, exec_lo
	v_cmpx_lt_u32_e64 v33, v50
	s_cbranch_execz .LBB383_267
; %bb.259:
	v_cmp_ne_u32_e32 vcc_lo, 1, v45
	s_cbranch_vccnz .LBB383_265
; %bb.260:
	v_mul_u64_e32 v[28:29], s[16:17], v[8:9]
	v_mul_u64_e32 v[30:31], s[16:17], v[26:27]
	s_mov_b32 s27, 0
	s_mov_b64 s[6:7], s[16:17]
                                        ; implicit-def: $sgpr28
                                        ; implicit-def: $sgpr29
                                        ; implicit-def: $sgpr30
                                        ; implicit-def: $sgpr31
	s_delay_alu instid0(VALU_DEP_2) | instskip(NEXT) | instid1(VALU_DEP_2)
	v_lshl_add_u64 v[28:29], v[28:29], 2, s[18:19]
	v_lshl_add_u64 v[30:31], v[30:31], 2, s[18:19]
	s_branch .LBB383_262
.LBB383_261:                            ;   in Loop: Header=BB383_262 Depth=1
	s_or_b32 exec_lo, exec_lo, s33
	s_delay_alu instid0(SALU_CYCLE_1) | instskip(NEXT) | instid1(SALU_CYCLE_1)
	s_and_b32 s33, exec_lo, s29
	s_or_b32 s27, s33, s27
	s_and_not1_b32 s31, s31, exec_lo
	s_and_b32 s0, s0, exec_lo
	s_and_not1_b32 s28, s28, exec_lo
	s_and_b32 s33, s30, exec_lo
	s_or_b32 s31, s31, s0
	s_or_b32 s28, s28, s33
	s_and_not1_b32 exec_lo, exec_lo, s27
	s_cbranch_execz .LBB383_264
.LBB383_262:                            ; =>This Inner Loop Header: Depth=1
	global_load_b32 v34, v[28:29], off
	global_load_b32 v35, v[30:31], off
	s_and_not1_b32 s30, s30, exec_lo
	s_or_b32 s29, s29, exec_lo
	s_wait_loadcnt 0x0
	v_cmp_le_i32_e32 vcc_lo, v34, v35
	v_cmp_lt_i32_e64 s0, v34, v35
	s_and_b32 s33, vcc_lo, s31
	s_delay_alu instid0(SALU_CYCLE_1) | instskip(NEXT) | instid1(SALU_CYCLE_1)
	s_or_b32 s0, s0, s33
	s_and_b32 s33, s0, exec_lo
	s_delay_alu instid0(SALU_CYCLE_1)
	s_or_b32 s30, s30, s33
	s_mov_b32 s33, exec_lo
	v_cmpx_eq_u32_e64 v34, v35
	s_cbranch_execz .LBB383_261
; %bb.263:                              ;   in Loop: Header=BB383_262 Depth=1
	s_add_nc_u64 s[6:7], s[6:7], -1
	v_add_nc_u64_e32 v[28:29], 4, v[28:29]
	s_cmp_eq_u64 s[6:7], 0
	v_add_nc_u64_e32 v[30:31], 4, v[30:31]
	s_cselect_b32 s31, -1, 0
	s_and_not1_b32 s29, s29, exec_lo
	s_and_b32 s31, s31, exec_lo
	s_and_not1_b32 s30, s30, exec_lo
	s_or_b32 s29, s29, s31
                                        ; implicit-def: $sgpr31
	s_branch .LBB383_261
.LBB383_264:
	s_or_b32 exec_lo, exec_lo, s27
	s_xor_b32 s0, s28, -1
	s_branch .LBB383_266
.LBB383_265:
	s_mov_b32 s0, -1
.LBB383_266:
	s_delay_alu instid0(SALU_CYCLE_1)
	s_and_b32 s0, s0, exec_lo
.LBB383_267:
	s_or_b32 exec_lo, exec_lo, s25
	s_delay_alu instid0(SALU_CYCLE_1)
	s_or_not1_b32 s25, s0, exec_lo
.LBB383_268:
	s_or_b32 exec_lo, exec_lo, s26
	v_dual_cndmask_b32 v28, v32, v33, s25 :: v_dual_cndmask_b32 v29, v51, v50, s25
	s_mov_b32 s26, exec_lo
	s_delay_alu instid0(VALU_DEP_1) | instskip(NEXT) | instid1(VALU_DEP_1)
	v_add_nc_u32_e32 v28, 1, v28
	v_add_min_u32_e64 v29, v29, -1, v28
	s_delay_alu instid0(VALU_DEP_1)
	v_lshl_add_u32 v29, v29, 3, v46
	ds_load_b64 v[30:31], v29
	s_wait_dscnt 0x0
	v_dual_cndmask_b32 v29, v31, v9, s25 :: v_dual_cndmask_b32 v53, v28, v32, s25
	v_dual_cndmask_b32 v31, v27, v31, s25 :: v_dual_cndmask_b32 v52, v33, v28, s25
	v_cndmask_b32_e64 v28, v30, v8, s25
	v_cndmask_b32_e64 v30, v26, v30, s25
	s_delay_alu instid0(VALU_DEP_4)
	v_cmpx_lt_u32_e64 v53, v51
	s_cbranch_execz .LBB383_279
; %bb.269:
	s_mov_b32 s0, 0
	s_mov_b32 s24, exec_lo
	v_cmpx_lt_u32_e64 v52, v50
	s_cbranch_execz .LBB383_278
; %bb.270:
	v_cmp_ne_u32_e32 vcc_lo, 1, v45
	s_cbranch_vccnz .LBB383_276
; %bb.271:
	v_mul_u64_e32 v[32:33], s[16:17], v[28:29]
	v_mul_u64_e32 v[34:35], s[16:17], v[30:31]
	s_mov_b32 s27, 0
	s_mov_b64 s[6:7], s[16:17]
                                        ; implicit-def: $sgpr28
                                        ; implicit-def: $sgpr29
                                        ; implicit-def: $sgpr30
                                        ; implicit-def: $sgpr31
	s_delay_alu instid0(VALU_DEP_2) | instskip(NEXT) | instid1(VALU_DEP_2)
	v_lshl_add_u64 v[32:33], v[32:33], 2, s[18:19]
	v_lshl_add_u64 v[34:35], v[34:35], 2, s[18:19]
	s_branch .LBB383_273
.LBB383_272:                            ;   in Loop: Header=BB383_273 Depth=1
	s_or_b32 exec_lo, exec_lo, s33
	s_delay_alu instid0(SALU_CYCLE_1) | instskip(NEXT) | instid1(SALU_CYCLE_1)
	s_and_b32 s33, exec_lo, s29
	s_or_b32 s27, s33, s27
	s_and_not1_b32 s31, s31, exec_lo
	s_and_b32 s0, s0, exec_lo
	s_and_not1_b32 s28, s28, exec_lo
	s_and_b32 s33, s30, exec_lo
	s_or_b32 s31, s31, s0
	s_or_b32 s28, s28, s33
	s_and_not1_b32 exec_lo, exec_lo, s27
	s_cbranch_execz .LBB383_275
.LBB383_273:                            ; =>This Inner Loop Header: Depth=1
	global_load_b32 v54, v[32:33], off
	global_load_b32 v55, v[34:35], off
	s_and_not1_b32 s30, s30, exec_lo
	s_or_b32 s29, s29, exec_lo
	s_wait_loadcnt 0x0
	v_cmp_le_i32_e32 vcc_lo, v54, v55
	v_cmp_lt_i32_e64 s0, v54, v55
	s_and_b32 s33, vcc_lo, s31
	s_delay_alu instid0(SALU_CYCLE_1) | instskip(NEXT) | instid1(SALU_CYCLE_1)
	s_or_b32 s0, s0, s33
	s_and_b32 s33, s0, exec_lo
	s_delay_alu instid0(SALU_CYCLE_1)
	s_or_b32 s30, s30, s33
	s_mov_b32 s33, exec_lo
	v_cmpx_eq_u32_e64 v54, v55
	s_cbranch_execz .LBB383_272
; %bb.274:                              ;   in Loop: Header=BB383_273 Depth=1
	s_add_nc_u64 s[6:7], s[6:7], -1
	v_add_nc_u64_e32 v[32:33], 4, v[32:33]
	s_cmp_eq_u64 s[6:7], 0
	v_add_nc_u64_e32 v[34:35], 4, v[34:35]
	s_cselect_b32 s31, -1, 0
	s_and_not1_b32 s29, s29, exec_lo
	s_and_b32 s31, s31, exec_lo
	s_and_not1_b32 s30, s30, exec_lo
	s_or_b32 s29, s29, s31
                                        ; implicit-def: $sgpr31
	s_branch .LBB383_272
.LBB383_275:
	s_or_b32 exec_lo, exec_lo, s27
	s_xor_b32 s0, s28, -1
	s_branch .LBB383_277
.LBB383_276:
	s_mov_b32 s0, -1
.LBB383_277:
	s_delay_alu instid0(SALU_CYCLE_1)
	s_and_b32 s0, s0, exec_lo
.LBB383_278:
	s_or_b32 exec_lo, exec_lo, s24
	s_delay_alu instid0(SALU_CYCLE_1)
	s_or_not1_b32 s24, s0, exec_lo
.LBB383_279:
	s_or_b32 exec_lo, exec_lo, s26
	v_dual_cndmask_b32 v32, v53, v52, s24 :: v_dual_cndmask_b32 v33, v51, v50, s24
	v_dual_cndmask_b32 v8, v8, v26, s25 :: v_dual_cndmask_b32 v7, v7, v25, s23
	;; [unrolled: 1-line block ×3, first 2 shown]
	s_delay_alu instid0(VALU_DEP_3) | instskip(SKIP_2) | instid1(VALU_DEP_3)
	v_dual_add_nc_u32 v34, 1, v32 :: v_dual_cndmask_b32 v9, v9, v27, s25
	v_dual_cndmask_b32 v12, v12, v22, s22 :: v_dual_cndmask_b32 v11, v11, v21, s15
	v_dual_cndmask_b32 v10, v10, v20, s15 :: v_dual_cndmask_b32 v17, v15, v17, s14
	v_add_min_u32_e64 v32, v33, -1, v34
	v_dual_cndmask_b32 v16, v14, v16, s14 :: v_dual_cndmask_b32 v15, v5, v3, s5
	v_dual_cndmask_b32 v14, v4, v2, s5 :: v_dual_cndmask_b32 v20, v34, v53, s24
	s_delay_alu instid0(VALU_DEP_3)
	v_lshl_add_u32 v32, v32, 3, v46
	v_dual_cndmask_b32 v3, v29, v31, s24 :: v_dual_cndmask_b32 v2, v28, v30, s24
	s_mov_b32 s5, exec_lo
	ds_load_b64 v[32:33], v32
	s_wait_dscnt 0x0
	v_dual_cndmask_b32 v5, v31, v33, s24 :: v_dual_cndmask_b32 v4, v30, v32, s24
	v_cmpx_lt_u32_e64 v20, v51
	s_cbranch_execz .LBB383_289
; %bb.280:
	v_dual_cndmask_b32 v22, v52, v34, s24 :: v_dual_cndmask_b32 v21, v33, v29, s24
	v_cndmask_b32_e64 v20, v32, v28, s24
	s_mov_b32 s14, exec_lo
	s_delay_alu instid0(VALU_DEP_2)
	v_cmpx_lt_u32_e64 v22, v50
	s_cbranch_execz .LBB383_288
; %bb.281:
	v_cmp_ne_u32_e32 vcc_lo, 1, v45
	s_cbranch_vccnz .LBB383_287
; %bb.282:
	v_mul_u64_e32 v[22:23], s[16:17], v[20:21]
	v_mul_u64_e32 v[24:25], s[16:17], v[4:5]
	s_mov_b32 s15, 0
	s_mov_b64 s[6:7], s[16:17]
                                        ; implicit-def: $sgpr22
                                        ; implicit-def: $sgpr23
                                        ; implicit-def: $sgpr24
                                        ; implicit-def: $sgpr25
	s_delay_alu instid0(VALU_DEP_2) | instskip(NEXT) | instid1(VALU_DEP_2)
	v_lshl_add_u64 v[22:23], v[22:23], 2, s[18:19]
	v_lshl_add_u64 v[24:25], v[24:25], 2, s[18:19]
	s_branch .LBB383_284
.LBB383_283:                            ;   in Loop: Header=BB383_284 Depth=1
	s_or_b32 exec_lo, exec_lo, s26
	s_delay_alu instid0(SALU_CYCLE_1) | instskip(NEXT) | instid1(SALU_CYCLE_1)
	s_and_b32 s26, exec_lo, s23
	s_or_b32 s15, s26, s15
	s_and_not1_b32 s25, s25, exec_lo
	s_and_b32 s0, s0, exec_lo
	s_and_not1_b32 s22, s22, exec_lo
	s_and_b32 s26, s24, exec_lo
	s_or_b32 s25, s25, s0
	s_or_b32 s22, s22, s26
	s_and_not1_b32 exec_lo, exec_lo, s15
	s_cbranch_execz .LBB383_286
.LBB383_284:                            ; =>This Inner Loop Header: Depth=1
	global_load_b32 v26, v[22:23], off
	global_load_b32 v27, v[24:25], off
	s_and_not1_b32 s24, s24, exec_lo
	s_or_b32 s23, s23, exec_lo
	s_wait_loadcnt 0x0
	v_cmp_le_i32_e32 vcc_lo, v26, v27
	v_cmp_lt_i32_e64 s0, v26, v27
	s_and_b32 s26, vcc_lo, s25
	s_delay_alu instid0(SALU_CYCLE_1) | instskip(NEXT) | instid1(SALU_CYCLE_1)
	s_or_b32 s0, s0, s26
	s_and_b32 s26, s0, exec_lo
	s_delay_alu instid0(SALU_CYCLE_1)
	s_or_b32 s24, s24, s26
	s_mov_b32 s26, exec_lo
	v_cmpx_eq_u32_e64 v26, v27
	s_cbranch_execz .LBB383_283
; %bb.285:                              ;   in Loop: Header=BB383_284 Depth=1
	s_add_nc_u64 s[6:7], s[6:7], -1
	v_add_nc_u64_e32 v[22:23], 4, v[22:23]
	s_cmp_eq_u64 s[6:7], 0
	v_add_nc_u64_e32 v[24:25], 4, v[24:25]
	s_cselect_b32 s25, -1, 0
	s_and_not1_b32 s23, s23, exec_lo
	s_and_b32 s25, s25, exec_lo
	s_and_not1_b32 s24, s24, exec_lo
	s_or_b32 s23, s23, s25
                                        ; implicit-def: $sgpr25
	s_branch .LBB383_283
.LBB383_286:
	s_or_b32 exec_lo, exec_lo, s15
	v_dual_cndmask_b32 v5, v5, v21, s22 :: v_dual_cndmask_b32 v4, v4, v20, s22
.LBB383_287:
	s_delay_alu instid0(VALU_DEP_1)
	v_mov_b64_e32 v[20:21], v[4:5]
.LBB383_288:
	s_or_b32 exec_lo, exec_lo, s14
	s_delay_alu instid0(VALU_DEP_1)
	v_mov_b64_e32 v[4:5], v[20:21]
.LBB383_289:
	s_or_b32 exec_lo, exec_lo, s5
.LBB383_290:
	s_delay_alu instid0(SALU_CYCLE_1)
	s_or_b32 exec_lo, exec_lo, s1
	v_and_b32_e32 v26, 0xe0, v48
	s_mov_b32 s1, exec_lo
	; wave barrier
	ds_store_b128 v49, v[14:17]
	ds_store_b128 v49, v[10:13] offset:16
	v_or_b32_e32 v20, 16, v26
	v_lshl_add_u32 v25, v26, 3, v46
	ds_store_b128 v49, v[6:9] offset:32
	ds_store_b128 v49, v[2:5] offset:48
	; wave barrier
	v_min_u32_e32 v50, v47, v20
	v_and_b32_e32 v20, 24, v48
	s_delay_alu instid0(VALU_DEP_2) | instskip(NEXT) | instid1(VALU_DEP_2)
	v_add_min_u32_e64 v51, v50, 16, v47
	v_min_u32_e32 v27, v47, v20
	v_sub_nc_u32_e32 v21, v50, v26
	s_delay_alu instid0(VALU_DEP_3) | instskip(NEXT) | instid1(VALU_DEP_2)
	v_sub_nc_u32_e32 v20, v51, v50
	v_min_u32_e32 v28, v27, v21
	s_delay_alu instid0(VALU_DEP_2) | instskip(NEXT) | instid1(VALU_DEP_1)
	v_sub_nc_u32_e64 v24, v27, v20 clamp
	v_cmpx_lt_u32_e64 v24, v28
	s_cbranch_execz .LBB383_300
; %bb.291:
	v_dual_lshlrev_b32 v20, 3, v50 :: v_dual_lshlrev_b32 v21, 3, v27
	s_lshl_b64 s[6:7], s[16:17], 2
	s_mov_b32 s5, 0
	s_delay_alu instid0(VALU_DEP_1)
	v_add3_u32 v29, v46, v20, v21
	s_branch .LBB383_294
.LBB383_292:                            ;   in Loop: Header=BB383_294 Depth=1
	s_or_b32 exec_lo, exec_lo, s23
.LBB383_293:                            ;   in Loop: Header=BB383_294 Depth=1
	s_delay_alu instid0(VALU_DEP_1) | instskip(NEXT) | instid1(VALU_DEP_1)
	v_dual_add_nc_u32 v20, 1, v30 :: v_dual_cndmask_b32 v28, v28, v30, s22
	v_cndmask_b32_e64 v24, v20, v24, s22
	s_delay_alu instid0(VALU_DEP_1) | instskip(SKIP_1) | instid1(SALU_CYCLE_1)
	v_cmp_ge_u32_e32 vcc_lo, v24, v28
	s_or_b32 s5, vcc_lo, s5
	s_and_not1_b32 exec_lo, exec_lo, s5
	s_cbranch_execz .LBB383_299
.LBB383_294:                            ; =>This Loop Header: Depth=1
                                        ;     Child Loop BB383_297 Depth 2
	v_add_nc_u32_e32 v20, v28, v24
	v_cmp_ne_u32_e32 vcc_lo, 1, v45
	s_mov_b32 s22, 0
	s_delay_alu instid0(VALU_DEP_2)
	v_lshrrev_b32_e32 v30, 1, v20
	s_cbranch_vccnz .LBB383_293
; %bb.295:                              ;   in Loop: Header=BB383_294 Depth=1
	s_delay_alu instid0(VALU_DEP_1) | instskip(SKIP_3) | instid1(VALU_DEP_2)
	v_not_b32_e32 v20, v30
	v_lshl_add_u32 v21, v30, 3, v25
	s_mov_b32 s23, 0
	s_mov_b64 s[14:15], s[16:17]
                                        ; implicit-def: $sgpr22
                                        ; implicit-def: $sgpr24
                                        ; implicit-def: $sgpr25
                                        ; implicit-def: $sgpr26
	v_lshl_add_u32 v20, v20, 3, v29
	ds_load_b64 v[32:33], v20
	ds_load_b64 v[34:35], v21
	s_wait_dscnt 0x1
	v_mad_nc_u64_u32 v[20:21], s6, v32, s[18:19]
	s_wait_dscnt 0x0
	v_mad_nc_u64_u32 v[22:23], s6, v34, s[18:19]
	s_delay_alu instid0(VALU_DEP_2) | instskip(NEXT) | instid1(VALU_DEP_2)
	v_mad_u32 v21, s7, v32, v21
	v_mad_u32 v23, s7, v34, v23
	s_delay_alu instid0(VALU_DEP_2) | instskip(NEXT) | instid1(VALU_DEP_2)
	v_mad_u32 v21, s6, v33, v21
	v_mad_u32 v23, s6, v35, v23
	s_branch .LBB383_297
.LBB383_296:                            ;   in Loop: Header=BB383_297 Depth=2
	s_or_b32 exec_lo, exec_lo, s27
	s_delay_alu instid0(SALU_CYCLE_1) | instskip(NEXT) | instid1(SALU_CYCLE_1)
	s_and_b32 s27, exec_lo, s24
	s_or_b32 s23, s27, s23
	s_and_not1_b32 s26, s26, exec_lo
	s_and_b32 s0, s0, exec_lo
	s_and_not1_b32 s22, s22, exec_lo
	s_and_b32 s27, s25, exec_lo
	s_or_b32 s26, s26, s0
	s_or_b32 s22, s22, s27
	s_and_not1_b32 exec_lo, exec_lo, s23
	s_cbranch_execz .LBB383_292
.LBB383_297:                            ;   Parent Loop BB383_294 Depth=1
                                        ; =>  This Inner Loop Header: Depth=2
	global_load_b32 v31, v[20:21], off
	global_load_b32 v32, v[22:23], off
	s_and_not1_b32 s25, s25, exec_lo
	s_or_b32 s24, s24, exec_lo
	s_wait_loadcnt 0x0
	v_cmp_le_i32_e32 vcc_lo, v31, v32
	v_cmp_lt_i32_e64 s0, v31, v32
	s_and_b32 s27, vcc_lo, s26
	s_delay_alu instid0(SALU_CYCLE_1) | instskip(NEXT) | instid1(SALU_CYCLE_1)
	s_or_b32 s0, s0, s27
	s_and_b32 s27, s0, exec_lo
	s_delay_alu instid0(SALU_CYCLE_1)
	s_or_b32 s25, s25, s27
	s_mov_b32 s27, exec_lo
	v_cmpx_eq_u32_e64 v31, v32
	s_cbranch_execz .LBB383_296
; %bb.298:                              ;   in Loop: Header=BB383_297 Depth=2
	s_add_nc_u64 s[14:15], s[14:15], -1
	v_add_nc_u64_e32 v[20:21], 4, v[20:21]
	s_cmp_eq_u64 s[14:15], 0
	v_add_nc_u64_e32 v[22:23], 4, v[22:23]
	s_cselect_b32 s26, -1, 0
	s_and_not1_b32 s24, s24, exec_lo
	s_and_b32 s26, s26, exec_lo
	s_and_not1_b32 s25, s25, exec_lo
	s_or_b32 s24, s24, s26
                                        ; implicit-def: $sgpr26
	s_branch .LBB383_296
.LBB383_299:
	s_or_b32 exec_lo, exec_lo, s5
.LBB383_300:
	s_delay_alu instid0(SALU_CYCLE_1) | instskip(SKIP_1) | instid1(VALU_DEP_1)
	s_or_b32 exec_lo, exec_lo, s1
	v_dual_add_nc_u32 v21, v50, v27 :: v_dual_add_nc_u32 v20, v24, v26
	v_sub_nc_u32_e32 v21, v21, v24
	s_delay_alu instid0(VALU_DEP_2) | instskip(NEXT) | instid1(VALU_DEP_2)
	v_cmp_le_u32_e32 vcc_lo, v20, v50
	v_cmp_le_u32_e64 s0, v21, v51
	s_or_b32 s0, vcc_lo, s0
	s_delay_alu instid0(SALU_CYCLE_1)
	s_and_saveexec_b32 s1, s0
	s_cbranch_execz .LBB383_391
; %bb.301:
	s_mov_b32 s5, exec_lo
	v_cmp_ge_u32_e32 vcc_lo, v20, v50
                                        ; implicit-def: $vgpr2_vgpr3
	v_cmpx_lt_u32_e64 v20, v50
; %bb.302:
	v_lshl_add_u32 v2, v24, 3, v25
	ds_load_b64 v[2:3], v2
; %bb.303:
	s_or_b32 exec_lo, exec_lo, s5
	v_cmp_ge_u32_e64 s5, v21, v51
	s_mov_b32 s6, exec_lo
                                        ; implicit-def: $vgpr4_vgpr5
	v_cmpx_lt_u32_e64 v21, v51
; %bb.304:
	v_lshl_add_u32 v4, v21, 3, v46
	ds_load_b64 v[4:5], v4
; %bb.305:
	s_or_b32 exec_lo, exec_lo, s6
	s_nor_b32 s0, vcc_lo, s5
	s_delay_alu instid0(SALU_CYCLE_1)
	s_and_saveexec_b32 s14, s0
	s_cbranch_execz .LBB383_314
; %bb.306:
	v_cmp_ne_u32_e32 vcc_lo, 1, v45
	s_cbranch_vccnz .LBB383_312
; %bb.307:
	s_wait_dscnt 0x0
	v_mul_u64_e32 v[6:7], s[16:17], v[4:5]
	v_mul_u64_e32 v[8:9], s[16:17], v[2:3]
	s_mov_b32 s15, 0
	s_mov_b64 s[6:7], s[16:17]
                                        ; implicit-def: $sgpr22
                                        ; implicit-def: $sgpr23
                                        ; implicit-def: $sgpr24
                                        ; implicit-def: $sgpr25
	s_delay_alu instid0(VALU_DEP_2) | instskip(NEXT) | instid1(VALU_DEP_2)
	v_lshl_add_u64 v[6:7], v[6:7], 2, s[18:19]
	v_lshl_add_u64 v[8:9], v[8:9], 2, s[18:19]
	s_branch .LBB383_309
.LBB383_308:                            ;   in Loop: Header=BB383_309 Depth=1
	s_or_b32 exec_lo, exec_lo, s26
	s_delay_alu instid0(SALU_CYCLE_1) | instskip(NEXT) | instid1(SALU_CYCLE_1)
	s_and_b32 s26, exec_lo, s23
	s_or_b32 s15, s26, s15
	s_and_not1_b32 s25, s25, exec_lo
	s_and_b32 s0, s0, exec_lo
	s_and_not1_b32 s22, s22, exec_lo
	s_and_b32 s26, s24, exec_lo
	s_or_b32 s25, s25, s0
	s_or_b32 s22, s22, s26
	s_and_not1_b32 exec_lo, exec_lo, s15
	s_cbranch_execz .LBB383_311
.LBB383_309:                            ; =>This Inner Loop Header: Depth=1
	global_load_b32 v10, v[6:7], off
	global_load_b32 v11, v[8:9], off
	s_and_not1_b32 s24, s24, exec_lo
	s_or_b32 s23, s23, exec_lo
	s_wait_loadcnt 0x0
	v_cmp_le_i32_e32 vcc_lo, v10, v11
	v_cmp_lt_i32_e64 s0, v10, v11
	s_and_b32 s26, vcc_lo, s25
	s_delay_alu instid0(SALU_CYCLE_1) | instskip(NEXT) | instid1(SALU_CYCLE_1)
	s_or_b32 s0, s0, s26
	s_and_b32 s26, s0, exec_lo
	s_delay_alu instid0(SALU_CYCLE_1)
	s_or_b32 s24, s24, s26
	s_mov_b32 s26, exec_lo
	v_cmpx_eq_u32_e64 v10, v11
	s_cbranch_execz .LBB383_308
; %bb.310:                              ;   in Loop: Header=BB383_309 Depth=1
	s_add_nc_u64 s[6:7], s[6:7], -1
	v_add_nc_u64_e32 v[6:7], 4, v[6:7]
	s_cmp_eq_u64 s[6:7], 0
	v_add_nc_u64_e32 v[8:9], 4, v[8:9]
	s_cselect_b32 s25, -1, 0
	s_and_not1_b32 s23, s23, exec_lo
	s_and_b32 s25, s25, exec_lo
	s_and_not1_b32 s24, s24, exec_lo
	s_or_b32 s23, s23, s25
                                        ; implicit-def: $sgpr25
	s_branch .LBB383_308
.LBB383_311:
	s_or_b32 exec_lo, exec_lo, s15
	s_xor_b32 s0, s22, -1
	s_branch .LBB383_313
.LBB383_312:
	s_mov_b32 s0, -1
.LBB383_313:
	s_and_not1_b32 s5, s5, exec_lo
	s_and_b32 s0, s0, exec_lo
	s_delay_alu instid0(SALU_CYCLE_1)
	s_or_b32 s5, s5, s0
.LBB383_314:
	s_or_b32 exec_lo, exec_lo, s14
	v_dual_cndmask_b32 v6, v21, v20, s5 :: v_dual_cndmask_b32 v7, v51, v50, s5
	s_mov_b32 s15, -1
	s_mov_b32 s14, -1
	s_mov_b32 s22, exec_lo
	s_delay_alu instid0(VALU_DEP_1) | instskip(NEXT) | instid1(VALU_DEP_1)
	v_add_nc_u32_e32 v8, 1, v6
	v_add_min_u32_e64 v6, v7, -1, v8
	s_delay_alu instid0(VALU_DEP_1)
	v_lshl_add_u32 v6, v6, 3, v46
	ds_load_b64 v[6:7], v6
	s_wait_dscnt 0x0
	v_cndmask_b32_e64 v15, v7, v5, s5
	v_dual_cndmask_b32 v10, v8, v21, s5 :: v_dual_cndmask_b32 v14, v6, v4, s5
	v_dual_cndmask_b32 v11, v20, v8, s5 :: v_dual_cndmask_b32 v17, v3, v7, s5
	v_cndmask_b32_e64 v16, v2, v6, s5
	s_delay_alu instid0(VALU_DEP_3)
	v_cmpx_lt_u32_e64 v10, v51
	s_cbranch_execz .LBB383_325
; %bb.315:
	s_mov_b32 s0, 0
	s_mov_b32 s14, exec_lo
	v_cmpx_lt_u32_e64 v11, v50
	s_cbranch_execz .LBB383_324
; %bb.316:
	v_cmp_ne_u32_e32 vcc_lo, 1, v45
	s_cbranch_vccnz .LBB383_322
; %bb.317:
	v_mul_u64_e32 v[6:7], s[16:17], v[14:15]
	v_mul_u64_e32 v[8:9], s[16:17], v[16:17]
	s_mov_b32 s23, 0
	s_mov_b64 s[6:7], s[16:17]
                                        ; implicit-def: $sgpr24
                                        ; implicit-def: $sgpr25
                                        ; implicit-def: $sgpr26
                                        ; implicit-def: $sgpr27
	s_delay_alu instid0(VALU_DEP_2) | instskip(NEXT) | instid1(VALU_DEP_2)
	v_lshl_add_u64 v[6:7], v[6:7], 2, s[18:19]
	v_lshl_add_u64 v[8:9], v[8:9], 2, s[18:19]
	s_branch .LBB383_319
.LBB383_318:                            ;   in Loop: Header=BB383_319 Depth=1
	s_or_b32 exec_lo, exec_lo, s28
	s_delay_alu instid0(SALU_CYCLE_1) | instskip(NEXT) | instid1(SALU_CYCLE_1)
	s_and_b32 s28, exec_lo, s25
	s_or_b32 s23, s28, s23
	s_and_not1_b32 s27, s27, exec_lo
	s_and_b32 s0, s0, exec_lo
	s_and_not1_b32 s24, s24, exec_lo
	s_and_b32 s28, s26, exec_lo
	s_or_b32 s27, s27, s0
	s_or_b32 s24, s24, s28
	s_and_not1_b32 exec_lo, exec_lo, s23
	s_cbranch_execz .LBB383_321
.LBB383_319:                            ; =>This Inner Loop Header: Depth=1
	global_load_b32 v12, v[6:7], off
	global_load_b32 v13, v[8:9], off
	s_and_not1_b32 s26, s26, exec_lo
	s_or_b32 s25, s25, exec_lo
	s_wait_loadcnt 0x0
	v_cmp_le_i32_e32 vcc_lo, v12, v13
	v_cmp_lt_i32_e64 s0, v12, v13
	s_and_b32 s28, vcc_lo, s27
	s_delay_alu instid0(SALU_CYCLE_1) | instskip(NEXT) | instid1(SALU_CYCLE_1)
	s_or_b32 s0, s0, s28
	s_and_b32 s28, s0, exec_lo
	s_delay_alu instid0(SALU_CYCLE_1)
	s_or_b32 s26, s26, s28
	s_mov_b32 s28, exec_lo
	v_cmpx_eq_u32_e64 v12, v13
	s_cbranch_execz .LBB383_318
; %bb.320:                              ;   in Loop: Header=BB383_319 Depth=1
	s_add_nc_u64 s[6:7], s[6:7], -1
	v_add_nc_u64_e32 v[6:7], 4, v[6:7]
	s_cmp_eq_u64 s[6:7], 0
	v_add_nc_u64_e32 v[8:9], 4, v[8:9]
	s_cselect_b32 s27, -1, 0
	s_and_not1_b32 s25, s25, exec_lo
	s_and_b32 s27, s27, exec_lo
	s_and_not1_b32 s26, s26, exec_lo
	s_or_b32 s25, s25, s27
                                        ; implicit-def: $sgpr27
	s_branch .LBB383_318
.LBB383_321:
	s_or_b32 exec_lo, exec_lo, s23
	s_xor_b32 s0, s24, -1
	s_branch .LBB383_323
.LBB383_322:
	s_mov_b32 s0, -1
.LBB383_323:
	s_delay_alu instid0(SALU_CYCLE_1)
	s_and_b32 s0, s0, exec_lo
.LBB383_324:
	s_or_b32 exec_lo, exec_lo, s14
	s_delay_alu instid0(SALU_CYCLE_1)
	s_or_not1_b32 s14, s0, exec_lo
.LBB383_325:
	s_or_b32 exec_lo, exec_lo, s22
	v_dual_cndmask_b32 v6, v10, v11, s14 :: v_dual_cndmask_b32 v7, v51, v50, s14
	s_mov_b32 s22, exec_lo
	s_delay_alu instid0(VALU_DEP_1) | instskip(NEXT) | instid1(VALU_DEP_1)
	v_add_nc_u32_e32 v8, 1, v6
	v_add_min_u32_e64 v6, v7, -1, v8
	s_delay_alu instid0(VALU_DEP_1)
	v_lshl_add_u32 v6, v6, 3, v46
	ds_load_b64 v[6:7], v6
	v_cndmask_b32_e64 v13, v11, v8, s14
	s_wait_dscnt 0x0
	v_dual_cndmask_b32 v11, v7, v15, s14 :: v_dual_cndmask_b32 v12, v8, v10, s14
	v_dual_cndmask_b32 v21, v17, v7, s14 :: v_dual_cndmask_b32 v10, v6, v14, s14
	v_cndmask_b32_e64 v20, v16, v6, s14
	s_delay_alu instid0(VALU_DEP_3)
	v_cmpx_lt_u32_e64 v12, v51
	s_cbranch_execz .LBB383_336
; %bb.326:
	s_mov_b32 s0, 0
	s_mov_b32 s15, exec_lo
	v_cmpx_lt_u32_e64 v13, v50
	s_cbranch_execz .LBB383_335
; %bb.327:
	v_cmp_ne_u32_e32 vcc_lo, 1, v45
	s_cbranch_vccnz .LBB383_333
; %bb.328:
	v_mul_u64_e32 v[6:7], s[16:17], v[10:11]
	v_mul_u64_e32 v[8:9], s[16:17], v[20:21]
	s_mov_b32 s23, 0
	s_mov_b64 s[6:7], s[16:17]
                                        ; implicit-def: $sgpr24
                                        ; implicit-def: $sgpr25
                                        ; implicit-def: $sgpr26
                                        ; implicit-def: $sgpr27
	s_delay_alu instid0(VALU_DEP_2) | instskip(NEXT) | instid1(VALU_DEP_2)
	v_lshl_add_u64 v[6:7], v[6:7], 2, s[18:19]
	v_lshl_add_u64 v[8:9], v[8:9], 2, s[18:19]
	s_branch .LBB383_330
.LBB383_329:                            ;   in Loop: Header=BB383_330 Depth=1
	s_or_b32 exec_lo, exec_lo, s28
	s_delay_alu instid0(SALU_CYCLE_1) | instskip(NEXT) | instid1(SALU_CYCLE_1)
	s_and_b32 s28, exec_lo, s25
	s_or_b32 s23, s28, s23
	s_and_not1_b32 s27, s27, exec_lo
	s_and_b32 s0, s0, exec_lo
	s_and_not1_b32 s24, s24, exec_lo
	s_and_b32 s28, s26, exec_lo
	s_or_b32 s27, s27, s0
	s_or_b32 s24, s24, s28
	s_and_not1_b32 exec_lo, exec_lo, s23
	s_cbranch_execz .LBB383_332
.LBB383_330:                            ; =>This Inner Loop Header: Depth=1
	global_load_b32 v22, v[6:7], off
	global_load_b32 v23, v[8:9], off
	s_and_not1_b32 s26, s26, exec_lo
	s_or_b32 s25, s25, exec_lo
	s_wait_loadcnt 0x0
	v_cmp_le_i32_e32 vcc_lo, v22, v23
	v_cmp_lt_i32_e64 s0, v22, v23
	s_and_b32 s28, vcc_lo, s27
	s_delay_alu instid0(SALU_CYCLE_1) | instskip(NEXT) | instid1(SALU_CYCLE_1)
	s_or_b32 s0, s0, s28
	s_and_b32 s28, s0, exec_lo
	s_delay_alu instid0(SALU_CYCLE_1)
	s_or_b32 s26, s26, s28
	s_mov_b32 s28, exec_lo
	v_cmpx_eq_u32_e64 v22, v23
	s_cbranch_execz .LBB383_329
; %bb.331:                              ;   in Loop: Header=BB383_330 Depth=1
	s_add_nc_u64 s[6:7], s[6:7], -1
	v_add_nc_u64_e32 v[6:7], 4, v[6:7]
	s_cmp_eq_u64 s[6:7], 0
	v_add_nc_u64_e32 v[8:9], 4, v[8:9]
	s_cselect_b32 s27, -1, 0
	s_and_not1_b32 s25, s25, exec_lo
	s_and_b32 s27, s27, exec_lo
	s_and_not1_b32 s26, s26, exec_lo
	s_or_b32 s25, s25, s27
                                        ; implicit-def: $sgpr27
	s_branch .LBB383_329
.LBB383_332:
	s_or_b32 exec_lo, exec_lo, s23
	s_xor_b32 s0, s24, -1
	s_branch .LBB383_334
.LBB383_333:
	s_mov_b32 s0, -1
.LBB383_334:
	s_delay_alu instid0(SALU_CYCLE_1)
	s_and_b32 s0, s0, exec_lo
.LBB383_335:
	s_or_b32 exec_lo, exec_lo, s15
	s_delay_alu instid0(SALU_CYCLE_1)
	s_or_not1_b32 s15, s0, exec_lo
.LBB383_336:
	s_or_b32 exec_lo, exec_lo, s22
	v_dual_cndmask_b32 v6, v12, v13, s15 :: v_dual_cndmask_b32 v7, v51, v50, s15
	s_mov_b32 s23, -1
	s_mov_b32 s22, -1
	s_mov_b32 s24, exec_lo
	s_delay_alu instid0(VALU_DEP_1) | instskip(NEXT) | instid1(VALU_DEP_1)
	v_add_nc_u32_e32 v8, 1, v6
	v_add_min_u32_e64 v6, v7, -1, v8
	s_delay_alu instid0(VALU_DEP_1)
	v_lshl_add_u32 v6, v6, 3, v46
	ds_load_b64 v[6:7], v6
	s_wait_dscnt 0x0
	v_dual_cndmask_b32 v25, v13, v8, s15 :: v_dual_cndmask_b32 v22, v20, v6, s15
	v_dual_cndmask_b32 v13, v7, v11, s15 :: v_dual_cndmask_b32 v24, v8, v12, s15
	;; [unrolled: 1-line block ×3, first 2 shown]
	s_delay_alu instid0(VALU_DEP_2)
	v_cmpx_lt_u32_e64 v24, v51
	s_cbranch_execz .LBB383_347
; %bb.337:
	s_mov_b32 s0, 0
	s_mov_b32 s22, exec_lo
	v_cmpx_lt_u32_e64 v25, v50
	s_cbranch_execz .LBB383_346
; %bb.338:
	v_cmp_ne_u32_e32 vcc_lo, 1, v45
	s_cbranch_vccnz .LBB383_344
; %bb.339:
	v_mul_u64_e32 v[6:7], s[16:17], v[12:13]
	v_mul_u64_e32 v[8:9], s[16:17], v[22:23]
	s_mov_b32 s25, 0
	s_mov_b64 s[6:7], s[16:17]
                                        ; implicit-def: $sgpr26
                                        ; implicit-def: $sgpr27
                                        ; implicit-def: $sgpr28
                                        ; implicit-def: $sgpr29
	s_delay_alu instid0(VALU_DEP_2) | instskip(NEXT) | instid1(VALU_DEP_2)
	v_lshl_add_u64 v[6:7], v[6:7], 2, s[18:19]
	v_lshl_add_u64 v[8:9], v[8:9], 2, s[18:19]
	s_branch .LBB383_341
.LBB383_340:                            ;   in Loop: Header=BB383_341 Depth=1
	s_or_b32 exec_lo, exec_lo, s30
	s_delay_alu instid0(SALU_CYCLE_1) | instskip(NEXT) | instid1(SALU_CYCLE_1)
	s_and_b32 s30, exec_lo, s27
	s_or_b32 s25, s30, s25
	s_and_not1_b32 s29, s29, exec_lo
	s_and_b32 s0, s0, exec_lo
	s_and_not1_b32 s26, s26, exec_lo
	s_and_b32 s30, s28, exec_lo
	s_or_b32 s29, s29, s0
	s_or_b32 s26, s26, s30
	s_and_not1_b32 exec_lo, exec_lo, s25
	s_cbranch_execz .LBB383_343
.LBB383_341:                            ; =>This Inner Loop Header: Depth=1
	global_load_b32 v26, v[6:7], off
	global_load_b32 v27, v[8:9], off
	s_and_not1_b32 s28, s28, exec_lo
	s_or_b32 s27, s27, exec_lo
	s_wait_loadcnt 0x0
	v_cmp_le_i32_e32 vcc_lo, v26, v27
	v_cmp_lt_i32_e64 s0, v26, v27
	s_and_b32 s30, vcc_lo, s29
	s_delay_alu instid0(SALU_CYCLE_1) | instskip(NEXT) | instid1(SALU_CYCLE_1)
	s_or_b32 s0, s0, s30
	s_and_b32 s30, s0, exec_lo
	s_delay_alu instid0(SALU_CYCLE_1)
	s_or_b32 s28, s28, s30
	s_mov_b32 s30, exec_lo
	v_cmpx_eq_u32_e64 v26, v27
	s_cbranch_execz .LBB383_340
; %bb.342:                              ;   in Loop: Header=BB383_341 Depth=1
	s_add_nc_u64 s[6:7], s[6:7], -1
	v_add_nc_u64_e32 v[6:7], 4, v[6:7]
	s_cmp_eq_u64 s[6:7], 0
	v_add_nc_u64_e32 v[8:9], 4, v[8:9]
	s_cselect_b32 s29, -1, 0
	s_and_not1_b32 s27, s27, exec_lo
	s_and_b32 s29, s29, exec_lo
	s_and_not1_b32 s28, s28, exec_lo
	s_or_b32 s27, s27, s29
                                        ; implicit-def: $sgpr29
	s_branch .LBB383_340
.LBB383_343:
	s_or_b32 exec_lo, exec_lo, s25
	s_xor_b32 s0, s26, -1
	s_branch .LBB383_345
.LBB383_344:
	s_mov_b32 s0, -1
.LBB383_345:
	s_delay_alu instid0(SALU_CYCLE_1)
	s_and_b32 s0, s0, exec_lo
.LBB383_346:
	s_or_b32 exec_lo, exec_lo, s22
	s_delay_alu instid0(SALU_CYCLE_1)
	s_or_not1_b32 s22, s0, exec_lo
.LBB383_347:
	s_or_b32 exec_lo, exec_lo, s24
	v_dual_cndmask_b32 v6, v24, v25, s22 :: v_dual_cndmask_b32 v7, v51, v50, s22
	s_mov_b32 s24, exec_lo
	s_delay_alu instid0(VALU_DEP_1) | instskip(NEXT) | instid1(VALU_DEP_1)
	v_add_nc_u32_e32 v6, 1, v6
	v_add_min_u32_e64 v7, v7, -1, v6
	s_delay_alu instid0(VALU_DEP_1)
	v_lshl_add_u32 v7, v7, 3, v46
	ds_load_b64 v[8:9], v7
	s_wait_dscnt 0x0
	v_dual_cndmask_b32 v7, v9, v13, s22 :: v_dual_cndmask_b32 v28, v6, v24, s22
	v_dual_cndmask_b32 v29, v25, v6, s22 :: v_dual_cndmask_b32 v6, v8, v12, s22
	;; [unrolled: 1-line block ×3, first 2 shown]
	s_delay_alu instid0(VALU_DEP_3)
	v_cmpx_lt_u32_e64 v28, v51
	s_cbranch_execz .LBB383_358
; %bb.348:
	s_mov_b32 s0, 0
	s_mov_b32 s23, exec_lo
	v_cmpx_lt_u32_e64 v29, v50
	s_cbranch_execz .LBB383_357
; %bb.349:
	v_cmp_ne_u32_e32 vcc_lo, 1, v45
	s_cbranch_vccnz .LBB383_355
; %bb.350:
	v_mul_u64_e32 v[8:9], s[16:17], v[6:7]
	v_mul_u64_e32 v[26:27], s[16:17], v[24:25]
	s_mov_b32 s25, 0
	s_mov_b64 s[6:7], s[16:17]
                                        ; implicit-def: $sgpr26
                                        ; implicit-def: $sgpr27
                                        ; implicit-def: $sgpr28
                                        ; implicit-def: $sgpr29
	s_delay_alu instid0(VALU_DEP_2) | instskip(NEXT) | instid1(VALU_DEP_2)
	v_lshl_add_u64 v[8:9], v[8:9], 2, s[18:19]
	v_lshl_add_u64 v[26:27], v[26:27], 2, s[18:19]
	s_branch .LBB383_352
.LBB383_351:                            ;   in Loop: Header=BB383_352 Depth=1
	s_or_b32 exec_lo, exec_lo, s30
	s_delay_alu instid0(SALU_CYCLE_1) | instskip(NEXT) | instid1(SALU_CYCLE_1)
	s_and_b32 s30, exec_lo, s27
	s_or_b32 s25, s30, s25
	s_and_not1_b32 s29, s29, exec_lo
	s_and_b32 s0, s0, exec_lo
	s_and_not1_b32 s26, s26, exec_lo
	s_and_b32 s30, s28, exec_lo
	s_or_b32 s29, s29, s0
	s_or_b32 s26, s26, s30
	s_and_not1_b32 exec_lo, exec_lo, s25
	s_cbranch_execz .LBB383_354
.LBB383_352:                            ; =>This Inner Loop Header: Depth=1
	global_load_b32 v30, v[8:9], off
	global_load_b32 v31, v[26:27], off
	s_and_not1_b32 s28, s28, exec_lo
	s_or_b32 s27, s27, exec_lo
	s_wait_loadcnt 0x0
	v_cmp_le_i32_e32 vcc_lo, v30, v31
	v_cmp_lt_i32_e64 s0, v30, v31
	s_and_b32 s30, vcc_lo, s29
	s_delay_alu instid0(SALU_CYCLE_1) | instskip(NEXT) | instid1(SALU_CYCLE_1)
	s_or_b32 s0, s0, s30
	s_and_b32 s30, s0, exec_lo
	s_delay_alu instid0(SALU_CYCLE_1)
	s_or_b32 s28, s28, s30
	s_mov_b32 s30, exec_lo
	v_cmpx_eq_u32_e64 v30, v31
	s_cbranch_execz .LBB383_351
; %bb.353:                              ;   in Loop: Header=BB383_352 Depth=1
	s_add_nc_u64 s[6:7], s[6:7], -1
	v_add_nc_u64_e32 v[8:9], 4, v[8:9]
	s_cmp_eq_u64 s[6:7], 0
	v_add_nc_u64_e32 v[26:27], 4, v[26:27]
	s_cselect_b32 s29, -1, 0
	s_and_not1_b32 s27, s27, exec_lo
	s_and_b32 s29, s29, exec_lo
	s_and_not1_b32 s28, s28, exec_lo
	s_or_b32 s27, s27, s29
                                        ; implicit-def: $sgpr29
	s_branch .LBB383_351
.LBB383_354:
	s_or_b32 exec_lo, exec_lo, s25
	s_xor_b32 s0, s26, -1
	s_branch .LBB383_356
.LBB383_355:
	s_mov_b32 s0, -1
.LBB383_356:
	s_delay_alu instid0(SALU_CYCLE_1)
	s_and_b32 s0, s0, exec_lo
.LBB383_357:
	s_or_b32 exec_lo, exec_lo, s23
	s_delay_alu instid0(SALU_CYCLE_1)
	s_or_not1_b32 s23, s0, exec_lo
.LBB383_358:
	s_or_b32 exec_lo, exec_lo, s24
	v_dual_cndmask_b32 v8, v28, v29, s23 :: v_dual_cndmask_b32 v9, v51, v50, s23
	s_mov_b32 s24, -1
	s_mov_b32 s25, -1
	s_mov_b32 s26, exec_lo
	s_delay_alu instid0(VALU_DEP_1) | instskip(NEXT) | instid1(VALU_DEP_1)
	v_add_nc_u32_e32 v8, 1, v8
	v_add_min_u32_e64 v9, v9, -1, v8
	s_delay_alu instid0(VALU_DEP_1)
	v_lshl_add_u32 v9, v9, 3, v46
	ds_load_b64 v[26:27], v9
	s_wait_dscnt 0x0
	v_dual_cndmask_b32 v9, v27, v7, s23 :: v_dual_cndmask_b32 v32, v8, v28, s23
	v_dual_cndmask_b32 v33, v29, v8, s23 :: v_dual_cndmask_b32 v8, v26, v6, s23
	v_dual_cndmask_b32 v27, v25, v27, s23 :: v_dual_cndmask_b32 v26, v24, v26, s23
	s_delay_alu instid0(VALU_DEP_3)
	v_cmpx_lt_u32_e64 v32, v51
	s_cbranch_execz .LBB383_369
; %bb.359:
	s_mov_b32 s0, 0
	s_mov_b32 s25, exec_lo
	v_cmpx_lt_u32_e64 v33, v50
	s_cbranch_execz .LBB383_368
; %bb.360:
	v_cmp_ne_u32_e32 vcc_lo, 1, v45
	s_cbranch_vccnz .LBB383_366
; %bb.361:
	v_mul_u64_e32 v[28:29], s[16:17], v[8:9]
	v_mul_u64_e32 v[30:31], s[16:17], v[26:27]
	s_mov_b32 s27, 0
	s_mov_b64 s[6:7], s[16:17]
                                        ; implicit-def: $sgpr28
                                        ; implicit-def: $sgpr29
                                        ; implicit-def: $sgpr30
                                        ; implicit-def: $sgpr31
	s_delay_alu instid0(VALU_DEP_2) | instskip(NEXT) | instid1(VALU_DEP_2)
	v_lshl_add_u64 v[28:29], v[28:29], 2, s[18:19]
	v_lshl_add_u64 v[30:31], v[30:31], 2, s[18:19]
	s_branch .LBB383_363
.LBB383_362:                            ;   in Loop: Header=BB383_363 Depth=1
	s_or_b32 exec_lo, exec_lo, s33
	s_delay_alu instid0(SALU_CYCLE_1) | instskip(NEXT) | instid1(SALU_CYCLE_1)
	s_and_b32 s33, exec_lo, s29
	s_or_b32 s27, s33, s27
	s_and_not1_b32 s31, s31, exec_lo
	s_and_b32 s0, s0, exec_lo
	s_and_not1_b32 s28, s28, exec_lo
	s_and_b32 s33, s30, exec_lo
	s_or_b32 s31, s31, s0
	s_or_b32 s28, s28, s33
	s_and_not1_b32 exec_lo, exec_lo, s27
	s_cbranch_execz .LBB383_365
.LBB383_363:                            ; =>This Inner Loop Header: Depth=1
	global_load_b32 v34, v[28:29], off
	global_load_b32 v35, v[30:31], off
	s_and_not1_b32 s30, s30, exec_lo
	s_or_b32 s29, s29, exec_lo
	s_wait_loadcnt 0x0
	v_cmp_le_i32_e32 vcc_lo, v34, v35
	v_cmp_lt_i32_e64 s0, v34, v35
	s_and_b32 s33, vcc_lo, s31
	s_delay_alu instid0(SALU_CYCLE_1) | instskip(NEXT) | instid1(SALU_CYCLE_1)
	s_or_b32 s0, s0, s33
	s_and_b32 s33, s0, exec_lo
	s_delay_alu instid0(SALU_CYCLE_1)
	s_or_b32 s30, s30, s33
	s_mov_b32 s33, exec_lo
	v_cmpx_eq_u32_e64 v34, v35
	s_cbranch_execz .LBB383_362
; %bb.364:                              ;   in Loop: Header=BB383_363 Depth=1
	s_add_nc_u64 s[6:7], s[6:7], -1
	v_add_nc_u64_e32 v[28:29], 4, v[28:29]
	s_cmp_eq_u64 s[6:7], 0
	v_add_nc_u64_e32 v[30:31], 4, v[30:31]
	s_cselect_b32 s31, -1, 0
	s_and_not1_b32 s29, s29, exec_lo
	s_and_b32 s31, s31, exec_lo
	s_and_not1_b32 s30, s30, exec_lo
	s_or_b32 s29, s29, s31
                                        ; implicit-def: $sgpr31
	s_branch .LBB383_362
.LBB383_365:
	s_or_b32 exec_lo, exec_lo, s27
	s_xor_b32 s0, s28, -1
	s_branch .LBB383_367
.LBB383_366:
	s_mov_b32 s0, -1
.LBB383_367:
	s_delay_alu instid0(SALU_CYCLE_1)
	s_and_b32 s0, s0, exec_lo
.LBB383_368:
	s_or_b32 exec_lo, exec_lo, s25
	s_delay_alu instid0(SALU_CYCLE_1)
	s_or_not1_b32 s25, s0, exec_lo
.LBB383_369:
	s_or_b32 exec_lo, exec_lo, s26
	v_dual_cndmask_b32 v28, v32, v33, s25 :: v_dual_cndmask_b32 v29, v51, v50, s25
	s_mov_b32 s26, exec_lo
	s_delay_alu instid0(VALU_DEP_1) | instskip(NEXT) | instid1(VALU_DEP_1)
	v_add_nc_u32_e32 v28, 1, v28
	v_add_min_u32_e64 v29, v29, -1, v28
	s_delay_alu instid0(VALU_DEP_1)
	v_lshl_add_u32 v29, v29, 3, v46
	ds_load_b64 v[30:31], v29
	s_wait_dscnt 0x0
	v_dual_cndmask_b32 v29, v31, v9, s25 :: v_dual_cndmask_b32 v53, v28, v32, s25
	v_dual_cndmask_b32 v31, v27, v31, s25 :: v_dual_cndmask_b32 v52, v33, v28, s25
	v_cndmask_b32_e64 v28, v30, v8, s25
	v_cndmask_b32_e64 v30, v26, v30, s25
	s_delay_alu instid0(VALU_DEP_4)
	v_cmpx_lt_u32_e64 v53, v51
	s_cbranch_execz .LBB383_380
; %bb.370:
	s_mov_b32 s0, 0
	s_mov_b32 s24, exec_lo
	v_cmpx_lt_u32_e64 v52, v50
	s_cbranch_execz .LBB383_379
; %bb.371:
	v_cmp_ne_u32_e32 vcc_lo, 1, v45
	s_cbranch_vccnz .LBB383_377
; %bb.372:
	v_mul_u64_e32 v[32:33], s[16:17], v[28:29]
	v_mul_u64_e32 v[34:35], s[16:17], v[30:31]
	s_mov_b32 s27, 0
	s_mov_b64 s[6:7], s[16:17]
                                        ; implicit-def: $sgpr28
                                        ; implicit-def: $sgpr29
                                        ; implicit-def: $sgpr30
                                        ; implicit-def: $sgpr31
	s_delay_alu instid0(VALU_DEP_2) | instskip(NEXT) | instid1(VALU_DEP_2)
	v_lshl_add_u64 v[32:33], v[32:33], 2, s[18:19]
	v_lshl_add_u64 v[34:35], v[34:35], 2, s[18:19]
	s_branch .LBB383_374
.LBB383_373:                            ;   in Loop: Header=BB383_374 Depth=1
	s_or_b32 exec_lo, exec_lo, s33
	s_delay_alu instid0(SALU_CYCLE_1) | instskip(NEXT) | instid1(SALU_CYCLE_1)
	s_and_b32 s33, exec_lo, s29
	s_or_b32 s27, s33, s27
	s_and_not1_b32 s31, s31, exec_lo
	s_and_b32 s0, s0, exec_lo
	s_and_not1_b32 s28, s28, exec_lo
	s_and_b32 s33, s30, exec_lo
	s_or_b32 s31, s31, s0
	s_or_b32 s28, s28, s33
	s_and_not1_b32 exec_lo, exec_lo, s27
	s_cbranch_execz .LBB383_376
.LBB383_374:                            ; =>This Inner Loop Header: Depth=1
	global_load_b32 v54, v[32:33], off
	global_load_b32 v55, v[34:35], off
	s_and_not1_b32 s30, s30, exec_lo
	s_or_b32 s29, s29, exec_lo
	s_wait_loadcnt 0x0
	v_cmp_le_i32_e32 vcc_lo, v54, v55
	v_cmp_lt_i32_e64 s0, v54, v55
	s_and_b32 s33, vcc_lo, s31
	s_delay_alu instid0(SALU_CYCLE_1) | instskip(NEXT) | instid1(SALU_CYCLE_1)
	s_or_b32 s0, s0, s33
	s_and_b32 s33, s0, exec_lo
	s_delay_alu instid0(SALU_CYCLE_1)
	s_or_b32 s30, s30, s33
	s_mov_b32 s33, exec_lo
	v_cmpx_eq_u32_e64 v54, v55
	s_cbranch_execz .LBB383_373
; %bb.375:                              ;   in Loop: Header=BB383_374 Depth=1
	s_add_nc_u64 s[6:7], s[6:7], -1
	v_add_nc_u64_e32 v[32:33], 4, v[32:33]
	s_cmp_eq_u64 s[6:7], 0
	v_add_nc_u64_e32 v[34:35], 4, v[34:35]
	s_cselect_b32 s31, -1, 0
	s_and_not1_b32 s29, s29, exec_lo
	s_and_b32 s31, s31, exec_lo
	s_and_not1_b32 s30, s30, exec_lo
	s_or_b32 s29, s29, s31
                                        ; implicit-def: $sgpr31
	s_branch .LBB383_373
.LBB383_376:
	s_or_b32 exec_lo, exec_lo, s27
	s_xor_b32 s0, s28, -1
	s_branch .LBB383_378
.LBB383_377:
	s_mov_b32 s0, -1
.LBB383_378:
	s_delay_alu instid0(SALU_CYCLE_1)
	s_and_b32 s0, s0, exec_lo
.LBB383_379:
	s_or_b32 exec_lo, exec_lo, s24
	s_delay_alu instid0(SALU_CYCLE_1)
	s_or_not1_b32 s24, s0, exec_lo
.LBB383_380:
	s_or_b32 exec_lo, exec_lo, s26
	v_dual_cndmask_b32 v32, v53, v52, s24 :: v_dual_cndmask_b32 v33, v51, v50, s24
	v_dual_cndmask_b32 v8, v8, v26, s25 :: v_dual_cndmask_b32 v7, v7, v25, s23
	;; [unrolled: 1-line block ×3, first 2 shown]
	s_delay_alu instid0(VALU_DEP_3) | instskip(SKIP_2) | instid1(VALU_DEP_3)
	v_dual_add_nc_u32 v34, 1, v32 :: v_dual_cndmask_b32 v9, v9, v27, s25
	v_dual_cndmask_b32 v12, v12, v22, s22 :: v_dual_cndmask_b32 v11, v11, v21, s15
	v_dual_cndmask_b32 v10, v10, v20, s15 :: v_dual_cndmask_b32 v17, v15, v17, s14
	v_add_min_u32_e64 v32, v33, -1, v34
	v_dual_cndmask_b32 v16, v14, v16, s14 :: v_dual_cndmask_b32 v15, v5, v3, s5
	v_dual_cndmask_b32 v14, v4, v2, s5 :: v_dual_cndmask_b32 v20, v34, v53, s24
	s_delay_alu instid0(VALU_DEP_3)
	v_lshl_add_u32 v32, v32, 3, v46
	v_dual_cndmask_b32 v3, v29, v31, s24 :: v_dual_cndmask_b32 v2, v28, v30, s24
	s_mov_b32 s5, exec_lo
	ds_load_b64 v[32:33], v32
	s_wait_dscnt 0x0
	v_dual_cndmask_b32 v5, v31, v33, s24 :: v_dual_cndmask_b32 v4, v30, v32, s24
	v_cmpx_lt_u32_e64 v20, v51
	s_cbranch_execz .LBB383_390
; %bb.381:
	v_dual_cndmask_b32 v22, v52, v34, s24 :: v_dual_cndmask_b32 v21, v33, v29, s24
	v_cndmask_b32_e64 v20, v32, v28, s24
	s_mov_b32 s14, exec_lo
	s_delay_alu instid0(VALU_DEP_2)
	v_cmpx_lt_u32_e64 v22, v50
	s_cbranch_execz .LBB383_389
; %bb.382:
	v_cmp_ne_u32_e32 vcc_lo, 1, v45
	s_cbranch_vccnz .LBB383_388
; %bb.383:
	v_mul_u64_e32 v[22:23], s[16:17], v[20:21]
	v_mul_u64_e32 v[24:25], s[16:17], v[4:5]
	s_mov_b32 s15, 0
	s_mov_b64 s[6:7], s[16:17]
                                        ; implicit-def: $sgpr22
                                        ; implicit-def: $sgpr23
                                        ; implicit-def: $sgpr24
                                        ; implicit-def: $sgpr25
	s_delay_alu instid0(VALU_DEP_2) | instskip(NEXT) | instid1(VALU_DEP_2)
	v_lshl_add_u64 v[22:23], v[22:23], 2, s[18:19]
	v_lshl_add_u64 v[24:25], v[24:25], 2, s[18:19]
	s_branch .LBB383_385
.LBB383_384:                            ;   in Loop: Header=BB383_385 Depth=1
	s_or_b32 exec_lo, exec_lo, s26
	s_delay_alu instid0(SALU_CYCLE_1) | instskip(NEXT) | instid1(SALU_CYCLE_1)
	s_and_b32 s26, exec_lo, s23
	s_or_b32 s15, s26, s15
	s_and_not1_b32 s25, s25, exec_lo
	s_and_b32 s0, s0, exec_lo
	s_and_not1_b32 s22, s22, exec_lo
	s_and_b32 s26, s24, exec_lo
	s_or_b32 s25, s25, s0
	s_or_b32 s22, s22, s26
	s_and_not1_b32 exec_lo, exec_lo, s15
	s_cbranch_execz .LBB383_387
.LBB383_385:                            ; =>This Inner Loop Header: Depth=1
	global_load_b32 v26, v[22:23], off
	global_load_b32 v27, v[24:25], off
	s_and_not1_b32 s24, s24, exec_lo
	s_or_b32 s23, s23, exec_lo
	s_wait_loadcnt 0x0
	v_cmp_le_i32_e32 vcc_lo, v26, v27
	v_cmp_lt_i32_e64 s0, v26, v27
	s_and_b32 s26, vcc_lo, s25
	s_delay_alu instid0(SALU_CYCLE_1) | instskip(NEXT) | instid1(SALU_CYCLE_1)
	s_or_b32 s0, s0, s26
	s_and_b32 s26, s0, exec_lo
	s_delay_alu instid0(SALU_CYCLE_1)
	s_or_b32 s24, s24, s26
	s_mov_b32 s26, exec_lo
	v_cmpx_eq_u32_e64 v26, v27
	s_cbranch_execz .LBB383_384
; %bb.386:                              ;   in Loop: Header=BB383_385 Depth=1
	s_add_nc_u64 s[6:7], s[6:7], -1
	v_add_nc_u64_e32 v[22:23], 4, v[22:23]
	s_cmp_eq_u64 s[6:7], 0
	v_add_nc_u64_e32 v[24:25], 4, v[24:25]
	s_cselect_b32 s25, -1, 0
	s_and_not1_b32 s23, s23, exec_lo
	s_and_b32 s25, s25, exec_lo
	s_and_not1_b32 s24, s24, exec_lo
	s_or_b32 s23, s23, s25
                                        ; implicit-def: $sgpr25
	s_branch .LBB383_384
.LBB383_387:
	s_or_b32 exec_lo, exec_lo, s15
	v_dual_cndmask_b32 v5, v5, v21, s22 :: v_dual_cndmask_b32 v4, v4, v20, s22
.LBB383_388:
	s_delay_alu instid0(VALU_DEP_1)
	v_mov_b64_e32 v[20:21], v[4:5]
.LBB383_389:
	s_or_b32 exec_lo, exec_lo, s14
	s_delay_alu instid0(VALU_DEP_1)
	v_mov_b64_e32 v[4:5], v[20:21]
.LBB383_390:
	s_or_b32 exec_lo, exec_lo, s5
.LBB383_391:
	s_delay_alu instid0(SALU_CYCLE_1)
	s_or_b32 exec_lo, exec_lo, s1
	v_and_b32_e32 v26, 0xc0, v48
	s_mov_b32 s1, exec_lo
	; wave barrier
	ds_store_b128 v49, v[14:17]
	ds_store_b128 v49, v[10:13] offset:16
	v_or_b32_e32 v20, 32, v26
	v_lshl_add_u32 v25, v26, 3, v46
	ds_store_b128 v49, v[6:9] offset:32
	ds_store_b128 v49, v[2:5] offset:48
	; wave barrier
	v_min_u32_e32 v50, v47, v20
	v_and_b32_e32 v20, 56, v48
	s_delay_alu instid0(VALU_DEP_2) | instskip(NEXT) | instid1(VALU_DEP_2)
	v_add_min_u32_e64 v51, v50, 32, v47
	v_min_u32_e32 v27, v47, v20
	v_sub_nc_u32_e32 v21, v50, v26
	s_delay_alu instid0(VALU_DEP_3) | instskip(NEXT) | instid1(VALU_DEP_2)
	v_sub_nc_u32_e32 v20, v51, v50
	v_min_u32_e32 v28, v27, v21
	s_delay_alu instid0(VALU_DEP_2) | instskip(NEXT) | instid1(VALU_DEP_1)
	v_sub_nc_u32_e64 v24, v27, v20 clamp
	v_cmpx_lt_u32_e64 v24, v28
	s_cbranch_execz .LBB383_401
; %bb.392:
	v_dual_lshlrev_b32 v20, 3, v50 :: v_dual_lshlrev_b32 v21, 3, v27
	s_lshl_b64 s[6:7], s[16:17], 2
	s_mov_b32 s5, 0
	s_delay_alu instid0(VALU_DEP_1)
	v_add3_u32 v29, v46, v20, v21
	s_branch .LBB383_395
.LBB383_393:                            ;   in Loop: Header=BB383_395 Depth=1
	s_or_b32 exec_lo, exec_lo, s23
.LBB383_394:                            ;   in Loop: Header=BB383_395 Depth=1
	s_delay_alu instid0(VALU_DEP_1) | instskip(NEXT) | instid1(VALU_DEP_1)
	v_dual_add_nc_u32 v20, 1, v30 :: v_dual_cndmask_b32 v28, v28, v30, s22
	v_cndmask_b32_e64 v24, v20, v24, s22
	s_delay_alu instid0(VALU_DEP_1) | instskip(SKIP_1) | instid1(SALU_CYCLE_1)
	v_cmp_ge_u32_e32 vcc_lo, v24, v28
	s_or_b32 s5, vcc_lo, s5
	s_and_not1_b32 exec_lo, exec_lo, s5
	s_cbranch_execz .LBB383_400
.LBB383_395:                            ; =>This Loop Header: Depth=1
                                        ;     Child Loop BB383_398 Depth 2
	v_add_nc_u32_e32 v20, v28, v24
	v_cmp_ne_u32_e32 vcc_lo, 1, v45
	s_mov_b32 s22, 0
	s_delay_alu instid0(VALU_DEP_2)
	v_lshrrev_b32_e32 v30, 1, v20
	s_cbranch_vccnz .LBB383_394
; %bb.396:                              ;   in Loop: Header=BB383_395 Depth=1
	s_delay_alu instid0(VALU_DEP_1) | instskip(SKIP_3) | instid1(VALU_DEP_2)
	v_not_b32_e32 v20, v30
	v_lshl_add_u32 v21, v30, 3, v25
	s_mov_b32 s23, 0
	s_mov_b64 s[14:15], s[16:17]
                                        ; implicit-def: $sgpr22
                                        ; implicit-def: $sgpr24
                                        ; implicit-def: $sgpr25
                                        ; implicit-def: $sgpr26
	v_lshl_add_u32 v20, v20, 3, v29
	ds_load_b64 v[32:33], v20
	ds_load_b64 v[34:35], v21
	s_wait_dscnt 0x1
	v_mad_nc_u64_u32 v[20:21], s6, v32, s[18:19]
	s_wait_dscnt 0x0
	v_mad_nc_u64_u32 v[22:23], s6, v34, s[18:19]
	s_delay_alu instid0(VALU_DEP_2) | instskip(NEXT) | instid1(VALU_DEP_2)
	v_mad_u32 v21, s7, v32, v21
	v_mad_u32 v23, s7, v34, v23
	s_delay_alu instid0(VALU_DEP_2) | instskip(NEXT) | instid1(VALU_DEP_2)
	v_mad_u32 v21, s6, v33, v21
	v_mad_u32 v23, s6, v35, v23
	s_branch .LBB383_398
.LBB383_397:                            ;   in Loop: Header=BB383_398 Depth=2
	s_or_b32 exec_lo, exec_lo, s27
	s_delay_alu instid0(SALU_CYCLE_1) | instskip(NEXT) | instid1(SALU_CYCLE_1)
	s_and_b32 s27, exec_lo, s24
	s_or_b32 s23, s27, s23
	s_and_not1_b32 s26, s26, exec_lo
	s_and_b32 s0, s0, exec_lo
	s_and_not1_b32 s22, s22, exec_lo
	s_and_b32 s27, s25, exec_lo
	s_or_b32 s26, s26, s0
	s_or_b32 s22, s22, s27
	s_and_not1_b32 exec_lo, exec_lo, s23
	s_cbranch_execz .LBB383_393
.LBB383_398:                            ;   Parent Loop BB383_395 Depth=1
                                        ; =>  This Inner Loop Header: Depth=2
	global_load_b32 v31, v[20:21], off
	global_load_b32 v32, v[22:23], off
	s_and_not1_b32 s25, s25, exec_lo
	s_or_b32 s24, s24, exec_lo
	s_wait_loadcnt 0x0
	v_cmp_le_i32_e32 vcc_lo, v31, v32
	v_cmp_lt_i32_e64 s0, v31, v32
	s_and_b32 s27, vcc_lo, s26
	s_delay_alu instid0(SALU_CYCLE_1) | instskip(NEXT) | instid1(SALU_CYCLE_1)
	s_or_b32 s0, s0, s27
	s_and_b32 s27, s0, exec_lo
	s_delay_alu instid0(SALU_CYCLE_1)
	s_or_b32 s25, s25, s27
	s_mov_b32 s27, exec_lo
	v_cmpx_eq_u32_e64 v31, v32
	s_cbranch_execz .LBB383_397
; %bb.399:                              ;   in Loop: Header=BB383_398 Depth=2
	s_add_nc_u64 s[14:15], s[14:15], -1
	v_add_nc_u64_e32 v[20:21], 4, v[20:21]
	s_cmp_eq_u64 s[14:15], 0
	v_add_nc_u64_e32 v[22:23], 4, v[22:23]
	s_cselect_b32 s26, -1, 0
	s_and_not1_b32 s24, s24, exec_lo
	s_and_b32 s26, s26, exec_lo
	s_and_not1_b32 s25, s25, exec_lo
	s_or_b32 s24, s24, s26
                                        ; implicit-def: $sgpr26
	s_branch .LBB383_397
.LBB383_400:
	s_or_b32 exec_lo, exec_lo, s5
.LBB383_401:
	s_delay_alu instid0(SALU_CYCLE_1) | instskip(SKIP_1) | instid1(VALU_DEP_1)
	s_or_b32 exec_lo, exec_lo, s1
	v_dual_add_nc_u32 v21, v50, v27 :: v_dual_add_nc_u32 v20, v24, v26
	v_sub_nc_u32_e32 v21, v21, v24
	s_delay_alu instid0(VALU_DEP_2) | instskip(NEXT) | instid1(VALU_DEP_2)
	v_cmp_le_u32_e32 vcc_lo, v20, v50
	v_cmp_le_u32_e64 s0, v21, v51
	s_or_b32 s0, vcc_lo, s0
	s_delay_alu instid0(SALU_CYCLE_1)
	s_and_saveexec_b32 s1, s0
	s_cbranch_execz .LBB383_492
; %bb.402:
	s_mov_b32 s5, exec_lo
	v_cmp_ge_u32_e32 vcc_lo, v20, v50
                                        ; implicit-def: $vgpr2_vgpr3
	v_cmpx_lt_u32_e64 v20, v50
; %bb.403:
	v_lshl_add_u32 v2, v24, 3, v25
	ds_load_b64 v[2:3], v2
; %bb.404:
	s_or_b32 exec_lo, exec_lo, s5
	v_cmp_ge_u32_e64 s5, v21, v51
	s_mov_b32 s6, exec_lo
                                        ; implicit-def: $vgpr4_vgpr5
	v_cmpx_lt_u32_e64 v21, v51
; %bb.405:
	v_lshl_add_u32 v4, v21, 3, v46
	ds_load_b64 v[4:5], v4
; %bb.406:
	s_or_b32 exec_lo, exec_lo, s6
	s_nor_b32 s0, vcc_lo, s5
	s_delay_alu instid0(SALU_CYCLE_1)
	s_and_saveexec_b32 s14, s0
	s_cbranch_execz .LBB383_415
; %bb.407:
	v_cmp_ne_u32_e32 vcc_lo, 1, v45
	s_cbranch_vccnz .LBB383_413
; %bb.408:
	s_wait_dscnt 0x0
	v_mul_u64_e32 v[6:7], s[16:17], v[4:5]
	v_mul_u64_e32 v[8:9], s[16:17], v[2:3]
	s_mov_b32 s15, 0
	s_mov_b64 s[6:7], s[16:17]
                                        ; implicit-def: $sgpr22
                                        ; implicit-def: $sgpr23
                                        ; implicit-def: $sgpr24
                                        ; implicit-def: $sgpr25
	s_delay_alu instid0(VALU_DEP_2) | instskip(NEXT) | instid1(VALU_DEP_2)
	v_lshl_add_u64 v[6:7], v[6:7], 2, s[18:19]
	v_lshl_add_u64 v[8:9], v[8:9], 2, s[18:19]
	s_branch .LBB383_410
.LBB383_409:                            ;   in Loop: Header=BB383_410 Depth=1
	s_or_b32 exec_lo, exec_lo, s26
	s_delay_alu instid0(SALU_CYCLE_1) | instskip(NEXT) | instid1(SALU_CYCLE_1)
	s_and_b32 s26, exec_lo, s23
	s_or_b32 s15, s26, s15
	s_and_not1_b32 s25, s25, exec_lo
	s_and_b32 s0, s0, exec_lo
	s_and_not1_b32 s22, s22, exec_lo
	s_and_b32 s26, s24, exec_lo
	s_or_b32 s25, s25, s0
	s_or_b32 s22, s22, s26
	s_and_not1_b32 exec_lo, exec_lo, s15
	s_cbranch_execz .LBB383_412
.LBB383_410:                            ; =>This Inner Loop Header: Depth=1
	global_load_b32 v10, v[6:7], off
	global_load_b32 v11, v[8:9], off
	s_and_not1_b32 s24, s24, exec_lo
	s_or_b32 s23, s23, exec_lo
	s_wait_loadcnt 0x0
	v_cmp_le_i32_e32 vcc_lo, v10, v11
	v_cmp_lt_i32_e64 s0, v10, v11
	s_and_b32 s26, vcc_lo, s25
	s_delay_alu instid0(SALU_CYCLE_1) | instskip(NEXT) | instid1(SALU_CYCLE_1)
	s_or_b32 s0, s0, s26
	s_and_b32 s26, s0, exec_lo
	s_delay_alu instid0(SALU_CYCLE_1)
	s_or_b32 s24, s24, s26
	s_mov_b32 s26, exec_lo
	v_cmpx_eq_u32_e64 v10, v11
	s_cbranch_execz .LBB383_409
; %bb.411:                              ;   in Loop: Header=BB383_410 Depth=1
	s_add_nc_u64 s[6:7], s[6:7], -1
	v_add_nc_u64_e32 v[6:7], 4, v[6:7]
	s_cmp_eq_u64 s[6:7], 0
	v_add_nc_u64_e32 v[8:9], 4, v[8:9]
	s_cselect_b32 s25, -1, 0
	s_and_not1_b32 s23, s23, exec_lo
	s_and_b32 s25, s25, exec_lo
	s_and_not1_b32 s24, s24, exec_lo
	s_or_b32 s23, s23, s25
                                        ; implicit-def: $sgpr25
	s_branch .LBB383_409
.LBB383_412:
	s_or_b32 exec_lo, exec_lo, s15
	s_xor_b32 s0, s22, -1
	s_branch .LBB383_414
.LBB383_413:
	s_mov_b32 s0, -1
.LBB383_414:
	s_and_not1_b32 s5, s5, exec_lo
	s_and_b32 s0, s0, exec_lo
	s_delay_alu instid0(SALU_CYCLE_1)
	s_or_b32 s5, s5, s0
.LBB383_415:
	s_or_b32 exec_lo, exec_lo, s14
	v_dual_cndmask_b32 v6, v21, v20, s5 :: v_dual_cndmask_b32 v7, v51, v50, s5
	s_mov_b32 s15, -1
	s_mov_b32 s14, -1
	s_mov_b32 s22, exec_lo
	s_delay_alu instid0(VALU_DEP_1) | instskip(NEXT) | instid1(VALU_DEP_1)
	v_add_nc_u32_e32 v8, 1, v6
	v_add_min_u32_e64 v6, v7, -1, v8
	s_delay_alu instid0(VALU_DEP_1)
	v_lshl_add_u32 v6, v6, 3, v46
	ds_load_b64 v[6:7], v6
	s_wait_dscnt 0x0
	v_cndmask_b32_e64 v15, v7, v5, s5
	v_dual_cndmask_b32 v10, v8, v21, s5 :: v_dual_cndmask_b32 v14, v6, v4, s5
	v_dual_cndmask_b32 v11, v20, v8, s5 :: v_dual_cndmask_b32 v17, v3, v7, s5
	v_cndmask_b32_e64 v16, v2, v6, s5
	s_delay_alu instid0(VALU_DEP_3)
	v_cmpx_lt_u32_e64 v10, v51
	s_cbranch_execz .LBB383_426
; %bb.416:
	s_mov_b32 s0, 0
	s_mov_b32 s14, exec_lo
	v_cmpx_lt_u32_e64 v11, v50
	s_cbranch_execz .LBB383_425
; %bb.417:
	v_cmp_ne_u32_e32 vcc_lo, 1, v45
	s_cbranch_vccnz .LBB383_423
; %bb.418:
	v_mul_u64_e32 v[6:7], s[16:17], v[14:15]
	v_mul_u64_e32 v[8:9], s[16:17], v[16:17]
	s_mov_b32 s23, 0
	s_mov_b64 s[6:7], s[16:17]
                                        ; implicit-def: $sgpr24
                                        ; implicit-def: $sgpr25
                                        ; implicit-def: $sgpr26
                                        ; implicit-def: $sgpr27
	s_delay_alu instid0(VALU_DEP_2) | instskip(NEXT) | instid1(VALU_DEP_2)
	v_lshl_add_u64 v[6:7], v[6:7], 2, s[18:19]
	v_lshl_add_u64 v[8:9], v[8:9], 2, s[18:19]
	s_branch .LBB383_420
.LBB383_419:                            ;   in Loop: Header=BB383_420 Depth=1
	s_or_b32 exec_lo, exec_lo, s28
	s_delay_alu instid0(SALU_CYCLE_1) | instskip(NEXT) | instid1(SALU_CYCLE_1)
	s_and_b32 s28, exec_lo, s25
	s_or_b32 s23, s28, s23
	s_and_not1_b32 s27, s27, exec_lo
	s_and_b32 s0, s0, exec_lo
	s_and_not1_b32 s24, s24, exec_lo
	s_and_b32 s28, s26, exec_lo
	s_or_b32 s27, s27, s0
	s_or_b32 s24, s24, s28
	s_and_not1_b32 exec_lo, exec_lo, s23
	s_cbranch_execz .LBB383_422
.LBB383_420:                            ; =>This Inner Loop Header: Depth=1
	global_load_b32 v12, v[6:7], off
	global_load_b32 v13, v[8:9], off
	s_and_not1_b32 s26, s26, exec_lo
	s_or_b32 s25, s25, exec_lo
	s_wait_loadcnt 0x0
	v_cmp_le_i32_e32 vcc_lo, v12, v13
	v_cmp_lt_i32_e64 s0, v12, v13
	s_and_b32 s28, vcc_lo, s27
	s_delay_alu instid0(SALU_CYCLE_1) | instskip(NEXT) | instid1(SALU_CYCLE_1)
	s_or_b32 s0, s0, s28
	s_and_b32 s28, s0, exec_lo
	s_delay_alu instid0(SALU_CYCLE_1)
	s_or_b32 s26, s26, s28
	s_mov_b32 s28, exec_lo
	v_cmpx_eq_u32_e64 v12, v13
	s_cbranch_execz .LBB383_419
; %bb.421:                              ;   in Loop: Header=BB383_420 Depth=1
	s_add_nc_u64 s[6:7], s[6:7], -1
	v_add_nc_u64_e32 v[6:7], 4, v[6:7]
	s_cmp_eq_u64 s[6:7], 0
	v_add_nc_u64_e32 v[8:9], 4, v[8:9]
	s_cselect_b32 s27, -1, 0
	s_and_not1_b32 s25, s25, exec_lo
	s_and_b32 s27, s27, exec_lo
	s_and_not1_b32 s26, s26, exec_lo
	s_or_b32 s25, s25, s27
                                        ; implicit-def: $sgpr27
	s_branch .LBB383_419
.LBB383_422:
	s_or_b32 exec_lo, exec_lo, s23
	s_xor_b32 s0, s24, -1
	s_branch .LBB383_424
.LBB383_423:
	s_mov_b32 s0, -1
.LBB383_424:
	s_delay_alu instid0(SALU_CYCLE_1)
	s_and_b32 s0, s0, exec_lo
.LBB383_425:
	s_or_b32 exec_lo, exec_lo, s14
	s_delay_alu instid0(SALU_CYCLE_1)
	s_or_not1_b32 s14, s0, exec_lo
.LBB383_426:
	s_or_b32 exec_lo, exec_lo, s22
	v_dual_cndmask_b32 v6, v10, v11, s14 :: v_dual_cndmask_b32 v7, v51, v50, s14
	s_mov_b32 s22, exec_lo
	s_delay_alu instid0(VALU_DEP_1) | instskip(NEXT) | instid1(VALU_DEP_1)
	v_add_nc_u32_e32 v8, 1, v6
	v_add_min_u32_e64 v6, v7, -1, v8
	s_delay_alu instid0(VALU_DEP_1)
	v_lshl_add_u32 v6, v6, 3, v46
	ds_load_b64 v[6:7], v6
	v_cndmask_b32_e64 v13, v11, v8, s14
	s_wait_dscnt 0x0
	v_dual_cndmask_b32 v11, v7, v15, s14 :: v_dual_cndmask_b32 v12, v8, v10, s14
	v_dual_cndmask_b32 v21, v17, v7, s14 :: v_dual_cndmask_b32 v10, v6, v14, s14
	v_cndmask_b32_e64 v20, v16, v6, s14
	s_delay_alu instid0(VALU_DEP_3)
	v_cmpx_lt_u32_e64 v12, v51
	s_cbranch_execz .LBB383_437
; %bb.427:
	s_mov_b32 s0, 0
	s_mov_b32 s15, exec_lo
	v_cmpx_lt_u32_e64 v13, v50
	s_cbranch_execz .LBB383_436
; %bb.428:
	v_cmp_ne_u32_e32 vcc_lo, 1, v45
	s_cbranch_vccnz .LBB383_434
; %bb.429:
	v_mul_u64_e32 v[6:7], s[16:17], v[10:11]
	v_mul_u64_e32 v[8:9], s[16:17], v[20:21]
	s_mov_b32 s23, 0
	s_mov_b64 s[6:7], s[16:17]
                                        ; implicit-def: $sgpr24
                                        ; implicit-def: $sgpr25
                                        ; implicit-def: $sgpr26
                                        ; implicit-def: $sgpr27
	s_delay_alu instid0(VALU_DEP_2) | instskip(NEXT) | instid1(VALU_DEP_2)
	v_lshl_add_u64 v[6:7], v[6:7], 2, s[18:19]
	v_lshl_add_u64 v[8:9], v[8:9], 2, s[18:19]
	s_branch .LBB383_431
.LBB383_430:                            ;   in Loop: Header=BB383_431 Depth=1
	s_or_b32 exec_lo, exec_lo, s28
	s_delay_alu instid0(SALU_CYCLE_1) | instskip(NEXT) | instid1(SALU_CYCLE_1)
	s_and_b32 s28, exec_lo, s25
	s_or_b32 s23, s28, s23
	s_and_not1_b32 s27, s27, exec_lo
	s_and_b32 s0, s0, exec_lo
	s_and_not1_b32 s24, s24, exec_lo
	s_and_b32 s28, s26, exec_lo
	s_or_b32 s27, s27, s0
	s_or_b32 s24, s24, s28
	s_and_not1_b32 exec_lo, exec_lo, s23
	s_cbranch_execz .LBB383_433
.LBB383_431:                            ; =>This Inner Loop Header: Depth=1
	global_load_b32 v22, v[6:7], off
	global_load_b32 v23, v[8:9], off
	s_and_not1_b32 s26, s26, exec_lo
	s_or_b32 s25, s25, exec_lo
	s_wait_loadcnt 0x0
	v_cmp_le_i32_e32 vcc_lo, v22, v23
	v_cmp_lt_i32_e64 s0, v22, v23
	s_and_b32 s28, vcc_lo, s27
	s_delay_alu instid0(SALU_CYCLE_1) | instskip(NEXT) | instid1(SALU_CYCLE_1)
	s_or_b32 s0, s0, s28
	s_and_b32 s28, s0, exec_lo
	s_delay_alu instid0(SALU_CYCLE_1)
	s_or_b32 s26, s26, s28
	s_mov_b32 s28, exec_lo
	v_cmpx_eq_u32_e64 v22, v23
	s_cbranch_execz .LBB383_430
; %bb.432:                              ;   in Loop: Header=BB383_431 Depth=1
	s_add_nc_u64 s[6:7], s[6:7], -1
	v_add_nc_u64_e32 v[6:7], 4, v[6:7]
	s_cmp_eq_u64 s[6:7], 0
	v_add_nc_u64_e32 v[8:9], 4, v[8:9]
	s_cselect_b32 s27, -1, 0
	s_and_not1_b32 s25, s25, exec_lo
	s_and_b32 s27, s27, exec_lo
	s_and_not1_b32 s26, s26, exec_lo
	s_or_b32 s25, s25, s27
                                        ; implicit-def: $sgpr27
	s_branch .LBB383_430
.LBB383_433:
	s_or_b32 exec_lo, exec_lo, s23
	s_xor_b32 s0, s24, -1
	s_branch .LBB383_435
.LBB383_434:
	s_mov_b32 s0, -1
.LBB383_435:
	s_delay_alu instid0(SALU_CYCLE_1)
	s_and_b32 s0, s0, exec_lo
.LBB383_436:
	s_or_b32 exec_lo, exec_lo, s15
	s_delay_alu instid0(SALU_CYCLE_1)
	s_or_not1_b32 s15, s0, exec_lo
.LBB383_437:
	s_or_b32 exec_lo, exec_lo, s22
	v_dual_cndmask_b32 v6, v12, v13, s15 :: v_dual_cndmask_b32 v7, v51, v50, s15
	s_mov_b32 s23, -1
	s_mov_b32 s22, -1
	s_mov_b32 s24, exec_lo
	s_delay_alu instid0(VALU_DEP_1) | instskip(NEXT) | instid1(VALU_DEP_1)
	v_add_nc_u32_e32 v8, 1, v6
	v_add_min_u32_e64 v6, v7, -1, v8
	s_delay_alu instid0(VALU_DEP_1)
	v_lshl_add_u32 v6, v6, 3, v46
	ds_load_b64 v[6:7], v6
	s_wait_dscnt 0x0
	v_dual_cndmask_b32 v25, v13, v8, s15 :: v_dual_cndmask_b32 v22, v20, v6, s15
	v_dual_cndmask_b32 v13, v7, v11, s15 :: v_dual_cndmask_b32 v24, v8, v12, s15
	;; [unrolled: 1-line block ×3, first 2 shown]
	s_delay_alu instid0(VALU_DEP_2)
	v_cmpx_lt_u32_e64 v24, v51
	s_cbranch_execz .LBB383_448
; %bb.438:
	s_mov_b32 s0, 0
	s_mov_b32 s22, exec_lo
	v_cmpx_lt_u32_e64 v25, v50
	s_cbranch_execz .LBB383_447
; %bb.439:
	v_cmp_ne_u32_e32 vcc_lo, 1, v45
	s_cbranch_vccnz .LBB383_445
; %bb.440:
	v_mul_u64_e32 v[6:7], s[16:17], v[12:13]
	v_mul_u64_e32 v[8:9], s[16:17], v[22:23]
	s_mov_b32 s25, 0
	s_mov_b64 s[6:7], s[16:17]
                                        ; implicit-def: $sgpr26
                                        ; implicit-def: $sgpr27
                                        ; implicit-def: $sgpr28
                                        ; implicit-def: $sgpr29
	s_delay_alu instid0(VALU_DEP_2) | instskip(NEXT) | instid1(VALU_DEP_2)
	v_lshl_add_u64 v[6:7], v[6:7], 2, s[18:19]
	v_lshl_add_u64 v[8:9], v[8:9], 2, s[18:19]
	s_branch .LBB383_442
.LBB383_441:                            ;   in Loop: Header=BB383_442 Depth=1
	s_or_b32 exec_lo, exec_lo, s30
	s_delay_alu instid0(SALU_CYCLE_1) | instskip(NEXT) | instid1(SALU_CYCLE_1)
	s_and_b32 s30, exec_lo, s27
	s_or_b32 s25, s30, s25
	s_and_not1_b32 s29, s29, exec_lo
	s_and_b32 s0, s0, exec_lo
	s_and_not1_b32 s26, s26, exec_lo
	s_and_b32 s30, s28, exec_lo
	s_or_b32 s29, s29, s0
	s_or_b32 s26, s26, s30
	s_and_not1_b32 exec_lo, exec_lo, s25
	s_cbranch_execz .LBB383_444
.LBB383_442:                            ; =>This Inner Loop Header: Depth=1
	global_load_b32 v26, v[6:7], off
	global_load_b32 v27, v[8:9], off
	s_and_not1_b32 s28, s28, exec_lo
	s_or_b32 s27, s27, exec_lo
	s_wait_loadcnt 0x0
	v_cmp_le_i32_e32 vcc_lo, v26, v27
	v_cmp_lt_i32_e64 s0, v26, v27
	s_and_b32 s30, vcc_lo, s29
	s_delay_alu instid0(SALU_CYCLE_1) | instskip(NEXT) | instid1(SALU_CYCLE_1)
	s_or_b32 s0, s0, s30
	s_and_b32 s30, s0, exec_lo
	s_delay_alu instid0(SALU_CYCLE_1)
	s_or_b32 s28, s28, s30
	s_mov_b32 s30, exec_lo
	v_cmpx_eq_u32_e64 v26, v27
	s_cbranch_execz .LBB383_441
; %bb.443:                              ;   in Loop: Header=BB383_442 Depth=1
	s_add_nc_u64 s[6:7], s[6:7], -1
	v_add_nc_u64_e32 v[6:7], 4, v[6:7]
	s_cmp_eq_u64 s[6:7], 0
	v_add_nc_u64_e32 v[8:9], 4, v[8:9]
	s_cselect_b32 s29, -1, 0
	s_and_not1_b32 s27, s27, exec_lo
	s_and_b32 s29, s29, exec_lo
	s_and_not1_b32 s28, s28, exec_lo
	s_or_b32 s27, s27, s29
                                        ; implicit-def: $sgpr29
	s_branch .LBB383_441
.LBB383_444:
	s_or_b32 exec_lo, exec_lo, s25
	s_xor_b32 s0, s26, -1
	s_branch .LBB383_446
.LBB383_445:
	s_mov_b32 s0, -1
.LBB383_446:
	s_delay_alu instid0(SALU_CYCLE_1)
	s_and_b32 s0, s0, exec_lo
.LBB383_447:
	s_or_b32 exec_lo, exec_lo, s22
	s_delay_alu instid0(SALU_CYCLE_1)
	s_or_not1_b32 s22, s0, exec_lo
.LBB383_448:
	s_or_b32 exec_lo, exec_lo, s24
	v_dual_cndmask_b32 v6, v24, v25, s22 :: v_dual_cndmask_b32 v7, v51, v50, s22
	s_mov_b32 s24, exec_lo
	s_delay_alu instid0(VALU_DEP_1) | instskip(NEXT) | instid1(VALU_DEP_1)
	v_add_nc_u32_e32 v6, 1, v6
	v_add_min_u32_e64 v7, v7, -1, v6
	s_delay_alu instid0(VALU_DEP_1)
	v_lshl_add_u32 v7, v7, 3, v46
	ds_load_b64 v[8:9], v7
	s_wait_dscnt 0x0
	v_dual_cndmask_b32 v7, v9, v13, s22 :: v_dual_cndmask_b32 v28, v6, v24, s22
	v_dual_cndmask_b32 v29, v25, v6, s22 :: v_dual_cndmask_b32 v6, v8, v12, s22
	;; [unrolled: 1-line block ×3, first 2 shown]
	s_delay_alu instid0(VALU_DEP_3)
	v_cmpx_lt_u32_e64 v28, v51
	s_cbranch_execz .LBB383_459
; %bb.449:
	s_mov_b32 s0, 0
	s_mov_b32 s23, exec_lo
	v_cmpx_lt_u32_e64 v29, v50
	s_cbranch_execz .LBB383_458
; %bb.450:
	v_cmp_ne_u32_e32 vcc_lo, 1, v45
	s_cbranch_vccnz .LBB383_456
; %bb.451:
	v_mul_u64_e32 v[8:9], s[16:17], v[6:7]
	v_mul_u64_e32 v[26:27], s[16:17], v[24:25]
	s_mov_b32 s25, 0
	s_mov_b64 s[6:7], s[16:17]
                                        ; implicit-def: $sgpr26
                                        ; implicit-def: $sgpr27
                                        ; implicit-def: $sgpr28
                                        ; implicit-def: $sgpr29
	s_delay_alu instid0(VALU_DEP_2) | instskip(NEXT) | instid1(VALU_DEP_2)
	v_lshl_add_u64 v[8:9], v[8:9], 2, s[18:19]
	v_lshl_add_u64 v[26:27], v[26:27], 2, s[18:19]
	s_branch .LBB383_453
.LBB383_452:                            ;   in Loop: Header=BB383_453 Depth=1
	s_or_b32 exec_lo, exec_lo, s30
	s_delay_alu instid0(SALU_CYCLE_1) | instskip(NEXT) | instid1(SALU_CYCLE_1)
	s_and_b32 s30, exec_lo, s27
	s_or_b32 s25, s30, s25
	s_and_not1_b32 s29, s29, exec_lo
	s_and_b32 s0, s0, exec_lo
	s_and_not1_b32 s26, s26, exec_lo
	s_and_b32 s30, s28, exec_lo
	s_or_b32 s29, s29, s0
	s_or_b32 s26, s26, s30
	s_and_not1_b32 exec_lo, exec_lo, s25
	s_cbranch_execz .LBB383_455
.LBB383_453:                            ; =>This Inner Loop Header: Depth=1
	global_load_b32 v30, v[8:9], off
	global_load_b32 v31, v[26:27], off
	s_and_not1_b32 s28, s28, exec_lo
	s_or_b32 s27, s27, exec_lo
	s_wait_loadcnt 0x0
	v_cmp_le_i32_e32 vcc_lo, v30, v31
	v_cmp_lt_i32_e64 s0, v30, v31
	s_and_b32 s30, vcc_lo, s29
	s_delay_alu instid0(SALU_CYCLE_1) | instskip(NEXT) | instid1(SALU_CYCLE_1)
	s_or_b32 s0, s0, s30
	s_and_b32 s30, s0, exec_lo
	s_delay_alu instid0(SALU_CYCLE_1)
	s_or_b32 s28, s28, s30
	s_mov_b32 s30, exec_lo
	v_cmpx_eq_u32_e64 v30, v31
	s_cbranch_execz .LBB383_452
; %bb.454:                              ;   in Loop: Header=BB383_453 Depth=1
	s_add_nc_u64 s[6:7], s[6:7], -1
	v_add_nc_u64_e32 v[8:9], 4, v[8:9]
	s_cmp_eq_u64 s[6:7], 0
	v_add_nc_u64_e32 v[26:27], 4, v[26:27]
	s_cselect_b32 s29, -1, 0
	s_and_not1_b32 s27, s27, exec_lo
	s_and_b32 s29, s29, exec_lo
	s_and_not1_b32 s28, s28, exec_lo
	s_or_b32 s27, s27, s29
                                        ; implicit-def: $sgpr29
	s_branch .LBB383_452
.LBB383_455:
	s_or_b32 exec_lo, exec_lo, s25
	s_xor_b32 s0, s26, -1
	s_branch .LBB383_457
.LBB383_456:
	s_mov_b32 s0, -1
.LBB383_457:
	s_delay_alu instid0(SALU_CYCLE_1)
	s_and_b32 s0, s0, exec_lo
.LBB383_458:
	s_or_b32 exec_lo, exec_lo, s23
	s_delay_alu instid0(SALU_CYCLE_1)
	s_or_not1_b32 s23, s0, exec_lo
.LBB383_459:
	s_or_b32 exec_lo, exec_lo, s24
	v_dual_cndmask_b32 v8, v28, v29, s23 :: v_dual_cndmask_b32 v9, v51, v50, s23
	s_mov_b32 s24, -1
	s_mov_b32 s25, -1
	s_mov_b32 s26, exec_lo
	s_delay_alu instid0(VALU_DEP_1) | instskip(NEXT) | instid1(VALU_DEP_1)
	v_add_nc_u32_e32 v8, 1, v8
	v_add_min_u32_e64 v9, v9, -1, v8
	s_delay_alu instid0(VALU_DEP_1)
	v_lshl_add_u32 v9, v9, 3, v46
	ds_load_b64 v[26:27], v9
	s_wait_dscnt 0x0
	v_dual_cndmask_b32 v9, v27, v7, s23 :: v_dual_cndmask_b32 v32, v8, v28, s23
	v_dual_cndmask_b32 v33, v29, v8, s23 :: v_dual_cndmask_b32 v8, v26, v6, s23
	v_dual_cndmask_b32 v27, v25, v27, s23 :: v_dual_cndmask_b32 v26, v24, v26, s23
	s_delay_alu instid0(VALU_DEP_3)
	v_cmpx_lt_u32_e64 v32, v51
	s_cbranch_execz .LBB383_470
; %bb.460:
	s_mov_b32 s0, 0
	s_mov_b32 s25, exec_lo
	v_cmpx_lt_u32_e64 v33, v50
	s_cbranch_execz .LBB383_469
; %bb.461:
	v_cmp_ne_u32_e32 vcc_lo, 1, v45
	s_cbranch_vccnz .LBB383_467
; %bb.462:
	v_mul_u64_e32 v[28:29], s[16:17], v[8:9]
	v_mul_u64_e32 v[30:31], s[16:17], v[26:27]
	s_mov_b32 s27, 0
	s_mov_b64 s[6:7], s[16:17]
                                        ; implicit-def: $sgpr28
                                        ; implicit-def: $sgpr29
                                        ; implicit-def: $sgpr30
                                        ; implicit-def: $sgpr31
	s_delay_alu instid0(VALU_DEP_2) | instskip(NEXT) | instid1(VALU_DEP_2)
	v_lshl_add_u64 v[28:29], v[28:29], 2, s[18:19]
	v_lshl_add_u64 v[30:31], v[30:31], 2, s[18:19]
	s_branch .LBB383_464
.LBB383_463:                            ;   in Loop: Header=BB383_464 Depth=1
	s_or_b32 exec_lo, exec_lo, s33
	s_delay_alu instid0(SALU_CYCLE_1) | instskip(NEXT) | instid1(SALU_CYCLE_1)
	s_and_b32 s33, exec_lo, s29
	s_or_b32 s27, s33, s27
	s_and_not1_b32 s31, s31, exec_lo
	s_and_b32 s0, s0, exec_lo
	s_and_not1_b32 s28, s28, exec_lo
	s_and_b32 s33, s30, exec_lo
	s_or_b32 s31, s31, s0
	s_or_b32 s28, s28, s33
	s_and_not1_b32 exec_lo, exec_lo, s27
	s_cbranch_execz .LBB383_466
.LBB383_464:                            ; =>This Inner Loop Header: Depth=1
	global_load_b32 v34, v[28:29], off
	global_load_b32 v35, v[30:31], off
	s_and_not1_b32 s30, s30, exec_lo
	s_or_b32 s29, s29, exec_lo
	s_wait_loadcnt 0x0
	v_cmp_le_i32_e32 vcc_lo, v34, v35
	v_cmp_lt_i32_e64 s0, v34, v35
	s_and_b32 s33, vcc_lo, s31
	s_delay_alu instid0(SALU_CYCLE_1) | instskip(NEXT) | instid1(SALU_CYCLE_1)
	s_or_b32 s0, s0, s33
	s_and_b32 s33, s0, exec_lo
	s_delay_alu instid0(SALU_CYCLE_1)
	s_or_b32 s30, s30, s33
	s_mov_b32 s33, exec_lo
	v_cmpx_eq_u32_e64 v34, v35
	s_cbranch_execz .LBB383_463
; %bb.465:                              ;   in Loop: Header=BB383_464 Depth=1
	s_add_nc_u64 s[6:7], s[6:7], -1
	v_add_nc_u64_e32 v[28:29], 4, v[28:29]
	s_cmp_eq_u64 s[6:7], 0
	v_add_nc_u64_e32 v[30:31], 4, v[30:31]
	s_cselect_b32 s31, -1, 0
	s_and_not1_b32 s29, s29, exec_lo
	s_and_b32 s31, s31, exec_lo
	s_and_not1_b32 s30, s30, exec_lo
	s_or_b32 s29, s29, s31
                                        ; implicit-def: $sgpr31
	s_branch .LBB383_463
.LBB383_466:
	s_or_b32 exec_lo, exec_lo, s27
	s_xor_b32 s0, s28, -1
	s_branch .LBB383_468
.LBB383_467:
	s_mov_b32 s0, -1
.LBB383_468:
	s_delay_alu instid0(SALU_CYCLE_1)
	s_and_b32 s0, s0, exec_lo
.LBB383_469:
	s_or_b32 exec_lo, exec_lo, s25
	s_delay_alu instid0(SALU_CYCLE_1)
	s_or_not1_b32 s25, s0, exec_lo
.LBB383_470:
	s_or_b32 exec_lo, exec_lo, s26
	v_dual_cndmask_b32 v28, v32, v33, s25 :: v_dual_cndmask_b32 v29, v51, v50, s25
	s_mov_b32 s26, exec_lo
	s_delay_alu instid0(VALU_DEP_1) | instskip(NEXT) | instid1(VALU_DEP_1)
	v_add_nc_u32_e32 v28, 1, v28
	v_add_min_u32_e64 v29, v29, -1, v28
	s_delay_alu instid0(VALU_DEP_1)
	v_lshl_add_u32 v29, v29, 3, v46
	ds_load_b64 v[30:31], v29
	s_wait_dscnt 0x0
	v_dual_cndmask_b32 v29, v31, v9, s25 :: v_dual_cndmask_b32 v53, v28, v32, s25
	v_dual_cndmask_b32 v31, v27, v31, s25 :: v_dual_cndmask_b32 v52, v33, v28, s25
	v_cndmask_b32_e64 v28, v30, v8, s25
	v_cndmask_b32_e64 v30, v26, v30, s25
	s_delay_alu instid0(VALU_DEP_4)
	v_cmpx_lt_u32_e64 v53, v51
	s_cbranch_execz .LBB383_481
; %bb.471:
	s_mov_b32 s0, 0
	s_mov_b32 s24, exec_lo
	v_cmpx_lt_u32_e64 v52, v50
	s_cbranch_execz .LBB383_480
; %bb.472:
	v_cmp_ne_u32_e32 vcc_lo, 1, v45
	s_cbranch_vccnz .LBB383_478
; %bb.473:
	v_mul_u64_e32 v[32:33], s[16:17], v[28:29]
	v_mul_u64_e32 v[34:35], s[16:17], v[30:31]
	s_mov_b32 s27, 0
	s_mov_b64 s[6:7], s[16:17]
                                        ; implicit-def: $sgpr28
                                        ; implicit-def: $sgpr29
                                        ; implicit-def: $sgpr30
                                        ; implicit-def: $sgpr31
	s_delay_alu instid0(VALU_DEP_2) | instskip(NEXT) | instid1(VALU_DEP_2)
	v_lshl_add_u64 v[32:33], v[32:33], 2, s[18:19]
	v_lshl_add_u64 v[34:35], v[34:35], 2, s[18:19]
	s_branch .LBB383_475
.LBB383_474:                            ;   in Loop: Header=BB383_475 Depth=1
	s_or_b32 exec_lo, exec_lo, s33
	s_delay_alu instid0(SALU_CYCLE_1) | instskip(NEXT) | instid1(SALU_CYCLE_1)
	s_and_b32 s33, exec_lo, s29
	s_or_b32 s27, s33, s27
	s_and_not1_b32 s31, s31, exec_lo
	s_and_b32 s0, s0, exec_lo
	s_and_not1_b32 s28, s28, exec_lo
	s_and_b32 s33, s30, exec_lo
	s_or_b32 s31, s31, s0
	s_or_b32 s28, s28, s33
	s_and_not1_b32 exec_lo, exec_lo, s27
	s_cbranch_execz .LBB383_477
.LBB383_475:                            ; =>This Inner Loop Header: Depth=1
	global_load_b32 v54, v[32:33], off
	global_load_b32 v55, v[34:35], off
	s_and_not1_b32 s30, s30, exec_lo
	s_or_b32 s29, s29, exec_lo
	s_wait_loadcnt 0x0
	v_cmp_le_i32_e32 vcc_lo, v54, v55
	v_cmp_lt_i32_e64 s0, v54, v55
	s_and_b32 s33, vcc_lo, s31
	s_delay_alu instid0(SALU_CYCLE_1) | instskip(NEXT) | instid1(SALU_CYCLE_1)
	s_or_b32 s0, s0, s33
	s_and_b32 s33, s0, exec_lo
	s_delay_alu instid0(SALU_CYCLE_1)
	s_or_b32 s30, s30, s33
	s_mov_b32 s33, exec_lo
	v_cmpx_eq_u32_e64 v54, v55
	s_cbranch_execz .LBB383_474
; %bb.476:                              ;   in Loop: Header=BB383_475 Depth=1
	s_add_nc_u64 s[6:7], s[6:7], -1
	v_add_nc_u64_e32 v[32:33], 4, v[32:33]
	s_cmp_eq_u64 s[6:7], 0
	v_add_nc_u64_e32 v[34:35], 4, v[34:35]
	s_cselect_b32 s31, -1, 0
	s_and_not1_b32 s29, s29, exec_lo
	s_and_b32 s31, s31, exec_lo
	s_and_not1_b32 s30, s30, exec_lo
	s_or_b32 s29, s29, s31
                                        ; implicit-def: $sgpr31
	s_branch .LBB383_474
.LBB383_477:
	s_or_b32 exec_lo, exec_lo, s27
	s_xor_b32 s0, s28, -1
	s_branch .LBB383_479
.LBB383_478:
	s_mov_b32 s0, -1
.LBB383_479:
	s_delay_alu instid0(SALU_CYCLE_1)
	s_and_b32 s0, s0, exec_lo
.LBB383_480:
	s_or_b32 exec_lo, exec_lo, s24
	s_delay_alu instid0(SALU_CYCLE_1)
	s_or_not1_b32 s24, s0, exec_lo
.LBB383_481:
	s_or_b32 exec_lo, exec_lo, s26
	v_dual_cndmask_b32 v32, v53, v52, s24 :: v_dual_cndmask_b32 v33, v51, v50, s24
	v_dual_cndmask_b32 v8, v8, v26, s25 :: v_dual_cndmask_b32 v7, v7, v25, s23
	;; [unrolled: 1-line block ×3, first 2 shown]
	s_delay_alu instid0(VALU_DEP_3) | instskip(SKIP_2) | instid1(VALU_DEP_3)
	v_dual_add_nc_u32 v34, 1, v32 :: v_dual_cndmask_b32 v9, v9, v27, s25
	v_dual_cndmask_b32 v12, v12, v22, s22 :: v_dual_cndmask_b32 v11, v11, v21, s15
	v_dual_cndmask_b32 v10, v10, v20, s15 :: v_dual_cndmask_b32 v17, v15, v17, s14
	v_add_min_u32_e64 v32, v33, -1, v34
	v_dual_cndmask_b32 v16, v14, v16, s14 :: v_dual_cndmask_b32 v15, v5, v3, s5
	v_dual_cndmask_b32 v14, v4, v2, s5 :: v_dual_cndmask_b32 v20, v34, v53, s24
	s_delay_alu instid0(VALU_DEP_3)
	v_lshl_add_u32 v32, v32, 3, v46
	v_dual_cndmask_b32 v3, v29, v31, s24 :: v_dual_cndmask_b32 v2, v28, v30, s24
	s_mov_b32 s5, exec_lo
	ds_load_b64 v[32:33], v32
	s_wait_dscnt 0x0
	v_dual_cndmask_b32 v5, v31, v33, s24 :: v_dual_cndmask_b32 v4, v30, v32, s24
	v_cmpx_lt_u32_e64 v20, v51
	s_cbranch_execz .LBB383_491
; %bb.482:
	v_dual_cndmask_b32 v22, v52, v34, s24 :: v_dual_cndmask_b32 v21, v33, v29, s24
	v_cndmask_b32_e64 v20, v32, v28, s24
	s_mov_b32 s14, exec_lo
	s_delay_alu instid0(VALU_DEP_2)
	v_cmpx_lt_u32_e64 v22, v50
	s_cbranch_execz .LBB383_490
; %bb.483:
	v_cmp_ne_u32_e32 vcc_lo, 1, v45
	s_cbranch_vccnz .LBB383_489
; %bb.484:
	v_mul_u64_e32 v[22:23], s[16:17], v[20:21]
	v_mul_u64_e32 v[24:25], s[16:17], v[4:5]
	s_mov_b32 s15, 0
	s_mov_b64 s[6:7], s[16:17]
                                        ; implicit-def: $sgpr22
                                        ; implicit-def: $sgpr23
                                        ; implicit-def: $sgpr24
                                        ; implicit-def: $sgpr25
	s_delay_alu instid0(VALU_DEP_2) | instskip(NEXT) | instid1(VALU_DEP_2)
	v_lshl_add_u64 v[22:23], v[22:23], 2, s[18:19]
	v_lshl_add_u64 v[24:25], v[24:25], 2, s[18:19]
	s_branch .LBB383_486
.LBB383_485:                            ;   in Loop: Header=BB383_486 Depth=1
	s_or_b32 exec_lo, exec_lo, s26
	s_delay_alu instid0(SALU_CYCLE_1) | instskip(NEXT) | instid1(SALU_CYCLE_1)
	s_and_b32 s26, exec_lo, s23
	s_or_b32 s15, s26, s15
	s_and_not1_b32 s25, s25, exec_lo
	s_and_b32 s0, s0, exec_lo
	s_and_not1_b32 s22, s22, exec_lo
	s_and_b32 s26, s24, exec_lo
	s_or_b32 s25, s25, s0
	s_or_b32 s22, s22, s26
	s_and_not1_b32 exec_lo, exec_lo, s15
	s_cbranch_execz .LBB383_488
.LBB383_486:                            ; =>This Inner Loop Header: Depth=1
	global_load_b32 v26, v[22:23], off
	global_load_b32 v27, v[24:25], off
	s_and_not1_b32 s24, s24, exec_lo
	s_or_b32 s23, s23, exec_lo
	s_wait_loadcnt 0x0
	v_cmp_le_i32_e32 vcc_lo, v26, v27
	v_cmp_lt_i32_e64 s0, v26, v27
	s_and_b32 s26, vcc_lo, s25
	s_delay_alu instid0(SALU_CYCLE_1) | instskip(NEXT) | instid1(SALU_CYCLE_1)
	s_or_b32 s0, s0, s26
	s_and_b32 s26, s0, exec_lo
	s_delay_alu instid0(SALU_CYCLE_1)
	s_or_b32 s24, s24, s26
	s_mov_b32 s26, exec_lo
	v_cmpx_eq_u32_e64 v26, v27
	s_cbranch_execz .LBB383_485
; %bb.487:                              ;   in Loop: Header=BB383_486 Depth=1
	s_add_nc_u64 s[6:7], s[6:7], -1
	v_add_nc_u64_e32 v[22:23], 4, v[22:23]
	s_cmp_eq_u64 s[6:7], 0
	v_add_nc_u64_e32 v[24:25], 4, v[24:25]
	s_cselect_b32 s25, -1, 0
	s_and_not1_b32 s23, s23, exec_lo
	s_and_b32 s25, s25, exec_lo
	s_and_not1_b32 s24, s24, exec_lo
	s_or_b32 s23, s23, s25
                                        ; implicit-def: $sgpr25
	s_branch .LBB383_485
.LBB383_488:
	s_or_b32 exec_lo, exec_lo, s15
	v_dual_cndmask_b32 v5, v5, v21, s22 :: v_dual_cndmask_b32 v4, v4, v20, s22
.LBB383_489:
	s_delay_alu instid0(VALU_DEP_1)
	v_mov_b64_e32 v[20:21], v[4:5]
.LBB383_490:
	s_or_b32 exec_lo, exec_lo, s14
	s_delay_alu instid0(VALU_DEP_1)
	v_mov_b64_e32 v[4:5], v[20:21]
.LBB383_491:
	s_or_b32 exec_lo, exec_lo, s5
.LBB383_492:
	s_delay_alu instid0(SALU_CYCLE_1)
	s_or_b32 exec_lo, exec_lo, s1
	v_and_b32_e32 v26, 0x80, v48
	s_mov_b32 s1, exec_lo
	; wave barrier
	ds_store_b128 v49, v[14:17]
	ds_store_b128 v49, v[10:13] offset:16
	v_or_b32_e32 v20, 64, v26
	v_lshl_add_u32 v25, v26, 3, v46
	ds_store_b128 v49, v[6:9] offset:32
	ds_store_b128 v49, v[2:5] offset:48
	; wave barrier
	v_min_u32_e32 v50, v47, v20
	v_and_b32_e32 v20, 0x78, v48
	s_delay_alu instid0(VALU_DEP_2) | instskip(NEXT) | instid1(VALU_DEP_2)
	v_add_min_u32_e64 v48, v50, 64, v47
	v_min_u32_e32 v27, v47, v20
	v_sub_nc_u32_e32 v21, v50, v26
	s_delay_alu instid0(VALU_DEP_3) | instskip(NEXT) | instid1(VALU_DEP_2)
	v_sub_nc_u32_e32 v20, v48, v50
	v_min_u32_e32 v28, v27, v21
	s_delay_alu instid0(VALU_DEP_2) | instskip(NEXT) | instid1(VALU_DEP_1)
	v_sub_nc_u32_e64 v24, v27, v20 clamp
	v_cmpx_lt_u32_e64 v24, v28
	s_cbranch_execz .LBB383_502
; %bb.493:
	v_dual_lshlrev_b32 v20, 3, v50 :: v_dual_lshlrev_b32 v21, 3, v27
	s_lshl_b64 s[6:7], s[16:17], 2
	s_mov_b32 s5, 0
	s_delay_alu instid0(VALU_DEP_1)
	v_add3_u32 v29, v46, v20, v21
	s_branch .LBB383_496
.LBB383_494:                            ;   in Loop: Header=BB383_496 Depth=1
	s_or_b32 exec_lo, exec_lo, s23
.LBB383_495:                            ;   in Loop: Header=BB383_496 Depth=1
	s_delay_alu instid0(VALU_DEP_1) | instskip(NEXT) | instid1(VALU_DEP_1)
	v_dual_add_nc_u32 v20, 1, v30 :: v_dual_cndmask_b32 v28, v28, v30, s22
	v_cndmask_b32_e64 v24, v20, v24, s22
	s_delay_alu instid0(VALU_DEP_1) | instskip(SKIP_1) | instid1(SALU_CYCLE_1)
	v_cmp_ge_u32_e32 vcc_lo, v24, v28
	s_or_b32 s5, vcc_lo, s5
	s_and_not1_b32 exec_lo, exec_lo, s5
	s_cbranch_execz .LBB383_501
.LBB383_496:                            ; =>This Loop Header: Depth=1
                                        ;     Child Loop BB383_499 Depth 2
	v_add_nc_u32_e32 v20, v28, v24
	v_cmp_ne_u32_e32 vcc_lo, 1, v45
	s_mov_b32 s22, 0
	s_delay_alu instid0(VALU_DEP_2)
	v_lshrrev_b32_e32 v30, 1, v20
	s_cbranch_vccnz .LBB383_495
; %bb.497:                              ;   in Loop: Header=BB383_496 Depth=1
	s_delay_alu instid0(VALU_DEP_1) | instskip(SKIP_3) | instid1(VALU_DEP_2)
	v_not_b32_e32 v20, v30
	v_lshl_add_u32 v21, v30, 3, v25
	s_mov_b32 s23, 0
	s_mov_b64 s[14:15], s[16:17]
                                        ; implicit-def: $sgpr22
                                        ; implicit-def: $sgpr24
                                        ; implicit-def: $sgpr25
                                        ; implicit-def: $sgpr26
	v_lshl_add_u32 v20, v20, 3, v29
	ds_load_b64 v[32:33], v20
	ds_load_b64 v[34:35], v21
	s_wait_dscnt 0x1
	v_mad_nc_u64_u32 v[20:21], s6, v32, s[18:19]
	s_wait_dscnt 0x0
	v_mad_nc_u64_u32 v[22:23], s6, v34, s[18:19]
	s_delay_alu instid0(VALU_DEP_2) | instskip(NEXT) | instid1(VALU_DEP_2)
	v_mad_u32 v21, s7, v32, v21
	v_mad_u32 v23, s7, v34, v23
	s_delay_alu instid0(VALU_DEP_2) | instskip(NEXT) | instid1(VALU_DEP_2)
	v_mad_u32 v21, s6, v33, v21
	v_mad_u32 v23, s6, v35, v23
	s_branch .LBB383_499
.LBB383_498:                            ;   in Loop: Header=BB383_499 Depth=2
	s_or_b32 exec_lo, exec_lo, s27
	s_delay_alu instid0(SALU_CYCLE_1) | instskip(NEXT) | instid1(SALU_CYCLE_1)
	s_and_b32 s27, exec_lo, s24
	s_or_b32 s23, s27, s23
	s_and_not1_b32 s26, s26, exec_lo
	s_and_b32 s0, s0, exec_lo
	s_and_not1_b32 s22, s22, exec_lo
	s_and_b32 s27, s25, exec_lo
	s_or_b32 s26, s26, s0
	s_or_b32 s22, s22, s27
	s_and_not1_b32 exec_lo, exec_lo, s23
	s_cbranch_execz .LBB383_494
.LBB383_499:                            ;   Parent Loop BB383_496 Depth=1
                                        ; =>  This Inner Loop Header: Depth=2
	global_load_b32 v31, v[20:21], off
	global_load_b32 v32, v[22:23], off
	s_and_not1_b32 s25, s25, exec_lo
	s_or_b32 s24, s24, exec_lo
	s_wait_loadcnt 0x0
	v_cmp_le_i32_e32 vcc_lo, v31, v32
	v_cmp_lt_i32_e64 s0, v31, v32
	s_and_b32 s27, vcc_lo, s26
	s_delay_alu instid0(SALU_CYCLE_1) | instskip(NEXT) | instid1(SALU_CYCLE_1)
	s_or_b32 s0, s0, s27
	s_and_b32 s27, s0, exec_lo
	s_delay_alu instid0(SALU_CYCLE_1)
	s_or_b32 s25, s25, s27
	s_mov_b32 s27, exec_lo
	v_cmpx_eq_u32_e64 v31, v32
	s_cbranch_execz .LBB383_498
; %bb.500:                              ;   in Loop: Header=BB383_499 Depth=2
	s_add_nc_u64 s[14:15], s[14:15], -1
	v_add_nc_u64_e32 v[20:21], 4, v[20:21]
	s_cmp_eq_u64 s[14:15], 0
	v_add_nc_u64_e32 v[22:23], 4, v[22:23]
	s_cselect_b32 s26, -1, 0
	s_and_not1_b32 s24, s24, exec_lo
	s_and_b32 s26, s26, exec_lo
	s_and_not1_b32 s25, s25, exec_lo
	s_or_b32 s24, s24, s26
                                        ; implicit-def: $sgpr26
	s_branch .LBB383_498
.LBB383_501:
	s_or_b32 exec_lo, exec_lo, s5
.LBB383_502:
	s_delay_alu instid0(SALU_CYCLE_1) | instskip(SKIP_1) | instid1(VALU_DEP_1)
	s_or_b32 exec_lo, exec_lo, s1
	v_dual_add_nc_u32 v21, v50, v27 :: v_dual_add_nc_u32 v20, v24, v26
	v_sub_nc_u32_e32 v21, v21, v24
	s_delay_alu instid0(VALU_DEP_2) | instskip(NEXT) | instid1(VALU_DEP_2)
	v_cmp_le_u32_e32 vcc_lo, v20, v50
	v_cmp_le_u32_e64 s0, v21, v48
	s_or_b32 s0, vcc_lo, s0
	s_delay_alu instid0(SALU_CYCLE_1)
	s_and_saveexec_b32 s1, s0
	s_cbranch_execz .LBB383_593
; %bb.503:
	s_mov_b32 s5, exec_lo
	v_cmp_ge_u32_e32 vcc_lo, v20, v50
                                        ; implicit-def: $vgpr2_vgpr3
	v_cmpx_lt_u32_e64 v20, v50
; %bb.504:
	v_lshl_add_u32 v2, v24, 3, v25
	ds_load_b64 v[2:3], v2
; %bb.505:
	s_or_b32 exec_lo, exec_lo, s5
	v_cmp_ge_u32_e64 s5, v21, v48
	s_mov_b32 s6, exec_lo
                                        ; implicit-def: $vgpr4_vgpr5
	v_cmpx_lt_u32_e64 v21, v48
; %bb.506:
	v_lshl_add_u32 v4, v21, 3, v46
	ds_load_b64 v[4:5], v4
; %bb.507:
	s_or_b32 exec_lo, exec_lo, s6
	s_nor_b32 s0, vcc_lo, s5
	s_delay_alu instid0(SALU_CYCLE_1)
	s_and_saveexec_b32 s14, s0
	s_cbranch_execz .LBB383_516
; %bb.508:
	v_cmp_ne_u32_e32 vcc_lo, 1, v45
	s_cbranch_vccnz .LBB383_514
; %bb.509:
	s_wait_dscnt 0x0
	v_mul_u64_e32 v[6:7], s[16:17], v[4:5]
	v_mul_u64_e32 v[8:9], s[16:17], v[2:3]
	s_mov_b32 s15, 0
	s_mov_b64 s[6:7], s[16:17]
                                        ; implicit-def: $sgpr22
                                        ; implicit-def: $sgpr23
                                        ; implicit-def: $sgpr24
                                        ; implicit-def: $sgpr25
	s_delay_alu instid0(VALU_DEP_2) | instskip(NEXT) | instid1(VALU_DEP_2)
	v_lshl_add_u64 v[6:7], v[6:7], 2, s[18:19]
	v_lshl_add_u64 v[8:9], v[8:9], 2, s[18:19]
	s_branch .LBB383_511
.LBB383_510:                            ;   in Loop: Header=BB383_511 Depth=1
	s_or_b32 exec_lo, exec_lo, s26
	s_delay_alu instid0(SALU_CYCLE_1) | instskip(NEXT) | instid1(SALU_CYCLE_1)
	s_and_b32 s26, exec_lo, s23
	s_or_b32 s15, s26, s15
	s_and_not1_b32 s25, s25, exec_lo
	s_and_b32 s0, s0, exec_lo
	s_and_not1_b32 s22, s22, exec_lo
	s_and_b32 s26, s24, exec_lo
	s_or_b32 s25, s25, s0
	s_or_b32 s22, s22, s26
	s_and_not1_b32 exec_lo, exec_lo, s15
	s_cbranch_execz .LBB383_513
.LBB383_511:                            ; =>This Inner Loop Header: Depth=1
	global_load_b32 v10, v[6:7], off
	global_load_b32 v11, v[8:9], off
	s_and_not1_b32 s24, s24, exec_lo
	s_or_b32 s23, s23, exec_lo
	s_wait_loadcnt 0x0
	v_cmp_le_i32_e32 vcc_lo, v10, v11
	v_cmp_lt_i32_e64 s0, v10, v11
	s_and_b32 s26, vcc_lo, s25
	s_delay_alu instid0(SALU_CYCLE_1) | instskip(NEXT) | instid1(SALU_CYCLE_1)
	s_or_b32 s0, s0, s26
	s_and_b32 s26, s0, exec_lo
	s_delay_alu instid0(SALU_CYCLE_1)
	s_or_b32 s24, s24, s26
	s_mov_b32 s26, exec_lo
	v_cmpx_eq_u32_e64 v10, v11
	s_cbranch_execz .LBB383_510
; %bb.512:                              ;   in Loop: Header=BB383_511 Depth=1
	s_add_nc_u64 s[6:7], s[6:7], -1
	v_add_nc_u64_e32 v[6:7], 4, v[6:7]
	s_cmp_eq_u64 s[6:7], 0
	v_add_nc_u64_e32 v[8:9], 4, v[8:9]
	s_cselect_b32 s25, -1, 0
	s_and_not1_b32 s23, s23, exec_lo
	s_and_b32 s25, s25, exec_lo
	s_and_not1_b32 s24, s24, exec_lo
	s_or_b32 s23, s23, s25
                                        ; implicit-def: $sgpr25
	s_branch .LBB383_510
.LBB383_513:
	s_or_b32 exec_lo, exec_lo, s15
	s_xor_b32 s0, s22, -1
	s_branch .LBB383_515
.LBB383_514:
	s_mov_b32 s0, -1
.LBB383_515:
	s_and_not1_b32 s5, s5, exec_lo
	s_and_b32 s0, s0, exec_lo
	s_delay_alu instid0(SALU_CYCLE_1)
	s_or_b32 s5, s5, s0
.LBB383_516:
	s_or_b32 exec_lo, exec_lo, s14
	v_dual_cndmask_b32 v6, v21, v20, s5 :: v_dual_cndmask_b32 v7, v48, v50, s5
	s_mov_b32 s15, -1
	s_mov_b32 s14, -1
	s_mov_b32 s22, exec_lo
	s_delay_alu instid0(VALU_DEP_1) | instskip(NEXT) | instid1(VALU_DEP_1)
	v_add_nc_u32_e32 v8, 1, v6
	v_add_min_u32_e64 v6, v7, -1, v8
	s_delay_alu instid0(VALU_DEP_1)
	v_lshl_add_u32 v6, v6, 3, v46
	ds_load_b64 v[6:7], v6
	s_wait_dscnt 0x0
	v_cndmask_b32_e64 v15, v7, v5, s5
	v_dual_cndmask_b32 v10, v8, v21, s5 :: v_dual_cndmask_b32 v14, v6, v4, s5
	v_dual_cndmask_b32 v11, v20, v8, s5 :: v_dual_cndmask_b32 v17, v3, v7, s5
	v_cndmask_b32_e64 v16, v2, v6, s5
	s_delay_alu instid0(VALU_DEP_3)
	v_cmpx_lt_u32_e64 v10, v48
	s_cbranch_execz .LBB383_527
; %bb.517:
	s_mov_b32 s0, 0
	s_mov_b32 s14, exec_lo
	v_cmpx_lt_u32_e64 v11, v50
	s_cbranch_execz .LBB383_526
; %bb.518:
	v_cmp_ne_u32_e32 vcc_lo, 1, v45
	s_cbranch_vccnz .LBB383_524
; %bb.519:
	v_mul_u64_e32 v[6:7], s[16:17], v[14:15]
	v_mul_u64_e32 v[8:9], s[16:17], v[16:17]
	s_mov_b32 s23, 0
	s_mov_b64 s[6:7], s[16:17]
                                        ; implicit-def: $sgpr24
                                        ; implicit-def: $sgpr25
                                        ; implicit-def: $sgpr26
                                        ; implicit-def: $sgpr27
	s_delay_alu instid0(VALU_DEP_2) | instskip(NEXT) | instid1(VALU_DEP_2)
	v_lshl_add_u64 v[6:7], v[6:7], 2, s[18:19]
	v_lshl_add_u64 v[8:9], v[8:9], 2, s[18:19]
	s_branch .LBB383_521
.LBB383_520:                            ;   in Loop: Header=BB383_521 Depth=1
	s_or_b32 exec_lo, exec_lo, s28
	s_delay_alu instid0(SALU_CYCLE_1) | instskip(NEXT) | instid1(SALU_CYCLE_1)
	s_and_b32 s28, exec_lo, s25
	s_or_b32 s23, s28, s23
	s_and_not1_b32 s27, s27, exec_lo
	s_and_b32 s0, s0, exec_lo
	s_and_not1_b32 s24, s24, exec_lo
	s_and_b32 s28, s26, exec_lo
	s_or_b32 s27, s27, s0
	s_or_b32 s24, s24, s28
	s_and_not1_b32 exec_lo, exec_lo, s23
	s_cbranch_execz .LBB383_523
.LBB383_521:                            ; =>This Inner Loop Header: Depth=1
	global_load_b32 v12, v[6:7], off
	global_load_b32 v13, v[8:9], off
	s_and_not1_b32 s26, s26, exec_lo
	s_or_b32 s25, s25, exec_lo
	s_wait_loadcnt 0x0
	v_cmp_le_i32_e32 vcc_lo, v12, v13
	v_cmp_lt_i32_e64 s0, v12, v13
	s_and_b32 s28, vcc_lo, s27
	s_delay_alu instid0(SALU_CYCLE_1) | instskip(NEXT) | instid1(SALU_CYCLE_1)
	s_or_b32 s0, s0, s28
	s_and_b32 s28, s0, exec_lo
	s_delay_alu instid0(SALU_CYCLE_1)
	s_or_b32 s26, s26, s28
	s_mov_b32 s28, exec_lo
	v_cmpx_eq_u32_e64 v12, v13
	s_cbranch_execz .LBB383_520
; %bb.522:                              ;   in Loop: Header=BB383_521 Depth=1
	s_add_nc_u64 s[6:7], s[6:7], -1
	v_add_nc_u64_e32 v[6:7], 4, v[6:7]
	s_cmp_eq_u64 s[6:7], 0
	v_add_nc_u64_e32 v[8:9], 4, v[8:9]
	s_cselect_b32 s27, -1, 0
	s_and_not1_b32 s25, s25, exec_lo
	s_and_b32 s27, s27, exec_lo
	s_and_not1_b32 s26, s26, exec_lo
	s_or_b32 s25, s25, s27
                                        ; implicit-def: $sgpr27
	s_branch .LBB383_520
.LBB383_523:
	s_or_b32 exec_lo, exec_lo, s23
	s_xor_b32 s0, s24, -1
	s_branch .LBB383_525
.LBB383_524:
	s_mov_b32 s0, -1
.LBB383_525:
	s_delay_alu instid0(SALU_CYCLE_1)
	s_and_b32 s0, s0, exec_lo
.LBB383_526:
	s_or_b32 exec_lo, exec_lo, s14
	s_delay_alu instid0(SALU_CYCLE_1)
	s_or_not1_b32 s14, s0, exec_lo
.LBB383_527:
	s_or_b32 exec_lo, exec_lo, s22
	v_dual_cndmask_b32 v6, v10, v11, s14 :: v_dual_cndmask_b32 v7, v48, v50, s14
	s_mov_b32 s22, exec_lo
	s_delay_alu instid0(VALU_DEP_1) | instskip(NEXT) | instid1(VALU_DEP_1)
	v_add_nc_u32_e32 v8, 1, v6
	v_add_min_u32_e64 v6, v7, -1, v8
	s_delay_alu instid0(VALU_DEP_1)
	v_lshl_add_u32 v6, v6, 3, v46
	ds_load_b64 v[6:7], v6
	v_cndmask_b32_e64 v13, v11, v8, s14
	s_wait_dscnt 0x0
	v_dual_cndmask_b32 v11, v7, v15, s14 :: v_dual_cndmask_b32 v12, v8, v10, s14
	v_dual_cndmask_b32 v21, v17, v7, s14 :: v_dual_cndmask_b32 v10, v6, v14, s14
	v_cndmask_b32_e64 v20, v16, v6, s14
	s_delay_alu instid0(VALU_DEP_3)
	v_cmpx_lt_u32_e64 v12, v48
	s_cbranch_execz .LBB383_538
; %bb.528:
	s_mov_b32 s0, 0
	s_mov_b32 s15, exec_lo
	v_cmpx_lt_u32_e64 v13, v50
	s_cbranch_execz .LBB383_537
; %bb.529:
	v_cmp_ne_u32_e32 vcc_lo, 1, v45
	s_cbranch_vccnz .LBB383_535
; %bb.530:
	v_mul_u64_e32 v[6:7], s[16:17], v[10:11]
	v_mul_u64_e32 v[8:9], s[16:17], v[20:21]
	s_mov_b32 s23, 0
	s_mov_b64 s[6:7], s[16:17]
                                        ; implicit-def: $sgpr24
                                        ; implicit-def: $sgpr25
                                        ; implicit-def: $sgpr26
                                        ; implicit-def: $sgpr27
	s_delay_alu instid0(VALU_DEP_2) | instskip(NEXT) | instid1(VALU_DEP_2)
	v_lshl_add_u64 v[6:7], v[6:7], 2, s[18:19]
	v_lshl_add_u64 v[8:9], v[8:9], 2, s[18:19]
	s_branch .LBB383_532
.LBB383_531:                            ;   in Loop: Header=BB383_532 Depth=1
	s_or_b32 exec_lo, exec_lo, s28
	s_delay_alu instid0(SALU_CYCLE_1) | instskip(NEXT) | instid1(SALU_CYCLE_1)
	s_and_b32 s28, exec_lo, s25
	s_or_b32 s23, s28, s23
	s_and_not1_b32 s27, s27, exec_lo
	s_and_b32 s0, s0, exec_lo
	s_and_not1_b32 s24, s24, exec_lo
	s_and_b32 s28, s26, exec_lo
	s_or_b32 s27, s27, s0
	s_or_b32 s24, s24, s28
	s_and_not1_b32 exec_lo, exec_lo, s23
	s_cbranch_execz .LBB383_534
.LBB383_532:                            ; =>This Inner Loop Header: Depth=1
	global_load_b32 v22, v[6:7], off
	global_load_b32 v23, v[8:9], off
	s_and_not1_b32 s26, s26, exec_lo
	s_or_b32 s25, s25, exec_lo
	s_wait_loadcnt 0x0
	v_cmp_le_i32_e32 vcc_lo, v22, v23
	v_cmp_lt_i32_e64 s0, v22, v23
	s_and_b32 s28, vcc_lo, s27
	s_delay_alu instid0(SALU_CYCLE_1) | instskip(NEXT) | instid1(SALU_CYCLE_1)
	s_or_b32 s0, s0, s28
	s_and_b32 s28, s0, exec_lo
	s_delay_alu instid0(SALU_CYCLE_1)
	s_or_b32 s26, s26, s28
	s_mov_b32 s28, exec_lo
	v_cmpx_eq_u32_e64 v22, v23
	s_cbranch_execz .LBB383_531
; %bb.533:                              ;   in Loop: Header=BB383_532 Depth=1
	s_add_nc_u64 s[6:7], s[6:7], -1
	v_add_nc_u64_e32 v[6:7], 4, v[6:7]
	s_cmp_eq_u64 s[6:7], 0
	v_add_nc_u64_e32 v[8:9], 4, v[8:9]
	s_cselect_b32 s27, -1, 0
	s_and_not1_b32 s25, s25, exec_lo
	s_and_b32 s27, s27, exec_lo
	s_and_not1_b32 s26, s26, exec_lo
	s_or_b32 s25, s25, s27
                                        ; implicit-def: $sgpr27
	s_branch .LBB383_531
.LBB383_534:
	s_or_b32 exec_lo, exec_lo, s23
	s_xor_b32 s0, s24, -1
	s_branch .LBB383_536
.LBB383_535:
	s_mov_b32 s0, -1
.LBB383_536:
	s_delay_alu instid0(SALU_CYCLE_1)
	s_and_b32 s0, s0, exec_lo
.LBB383_537:
	s_or_b32 exec_lo, exec_lo, s15
	s_delay_alu instid0(SALU_CYCLE_1)
	s_or_not1_b32 s15, s0, exec_lo
.LBB383_538:
	s_or_b32 exec_lo, exec_lo, s22
	v_cndmask_b32_e64 v6, v12, v13, s15
	v_cndmask_b32_e64 v7, v48, v50, s15
	s_mov_b32 s23, -1
	s_mov_b32 s22, -1
	s_mov_b32 s24, exec_lo
	v_add_nc_u32_e32 v8, 1, v6
	s_delay_alu instid0(VALU_DEP_1) | instskip(SKIP_1) | instid1(VALU_DEP_2)
	v_add_min_u32_e64 v6, v7, -1, v8
	v_cndmask_b32_e64 v25, v13, v8, s15
	v_lshl_add_u32 v6, v6, 3, v46
	ds_load_b64 v[6:7], v6
	s_wait_dscnt 0x0
	v_dual_cndmask_b32 v13, v7, v11, s15 :: v_dual_cndmask_b32 v24, v8, v12, s15
	v_dual_cndmask_b32 v12, v6, v10, s15 :: v_dual_cndmask_b32 v23, v21, v7, s15
	v_cndmask_b32_e64 v22, v20, v6, s15
	s_delay_alu instid0(VALU_DEP_3)
	v_cmpx_lt_u32_e64 v24, v48
	s_cbranch_execz .LBB383_549
; %bb.539:
	s_mov_b32 s0, 0
	s_mov_b32 s22, exec_lo
	v_cmpx_lt_u32_e64 v25, v50
	s_cbranch_execz .LBB383_548
; %bb.540:
	v_cmp_ne_u32_e32 vcc_lo, 1, v45
	s_cbranch_vccnz .LBB383_546
; %bb.541:
	v_mul_u64_e32 v[6:7], s[16:17], v[12:13]
	v_mul_u64_e32 v[8:9], s[16:17], v[22:23]
	s_mov_b32 s25, 0
	s_mov_b64 s[6:7], s[16:17]
                                        ; implicit-def: $sgpr26
                                        ; implicit-def: $sgpr27
                                        ; implicit-def: $sgpr28
                                        ; implicit-def: $sgpr29
	s_delay_alu instid0(VALU_DEP_2) | instskip(NEXT) | instid1(VALU_DEP_2)
	v_lshl_add_u64 v[6:7], v[6:7], 2, s[18:19]
	v_lshl_add_u64 v[8:9], v[8:9], 2, s[18:19]
	s_branch .LBB383_543
.LBB383_542:                            ;   in Loop: Header=BB383_543 Depth=1
	s_or_b32 exec_lo, exec_lo, s30
	s_delay_alu instid0(SALU_CYCLE_1) | instskip(NEXT) | instid1(SALU_CYCLE_1)
	s_and_b32 s30, exec_lo, s27
	s_or_b32 s25, s30, s25
	s_and_not1_b32 s29, s29, exec_lo
	s_and_b32 s0, s0, exec_lo
	s_and_not1_b32 s26, s26, exec_lo
	s_and_b32 s30, s28, exec_lo
	s_or_b32 s29, s29, s0
	s_or_b32 s26, s26, s30
	s_and_not1_b32 exec_lo, exec_lo, s25
	s_cbranch_execz .LBB383_545
.LBB383_543:                            ; =>This Inner Loop Header: Depth=1
	global_load_b32 v26, v[6:7], off
	global_load_b32 v27, v[8:9], off
	s_and_not1_b32 s28, s28, exec_lo
	s_or_b32 s27, s27, exec_lo
	s_wait_loadcnt 0x0
	v_cmp_le_i32_e32 vcc_lo, v26, v27
	v_cmp_lt_i32_e64 s0, v26, v27
	s_and_b32 s30, vcc_lo, s29
	s_delay_alu instid0(SALU_CYCLE_1) | instskip(NEXT) | instid1(SALU_CYCLE_1)
	s_or_b32 s0, s0, s30
	s_and_b32 s30, s0, exec_lo
	s_delay_alu instid0(SALU_CYCLE_1)
	s_or_b32 s28, s28, s30
	s_mov_b32 s30, exec_lo
	v_cmpx_eq_u32_e64 v26, v27
	s_cbranch_execz .LBB383_542
; %bb.544:                              ;   in Loop: Header=BB383_543 Depth=1
	s_add_nc_u64 s[6:7], s[6:7], -1
	v_add_nc_u64_e32 v[6:7], 4, v[6:7]
	s_cmp_eq_u64 s[6:7], 0
	v_add_nc_u64_e32 v[8:9], 4, v[8:9]
	s_cselect_b32 s29, -1, 0
	s_and_not1_b32 s27, s27, exec_lo
	s_and_b32 s29, s29, exec_lo
	s_and_not1_b32 s28, s28, exec_lo
	s_or_b32 s27, s27, s29
                                        ; implicit-def: $sgpr29
	s_branch .LBB383_542
.LBB383_545:
	s_or_b32 exec_lo, exec_lo, s25
	s_xor_b32 s0, s26, -1
	s_branch .LBB383_547
.LBB383_546:
	s_mov_b32 s0, -1
.LBB383_547:
	s_delay_alu instid0(SALU_CYCLE_1)
	s_and_b32 s0, s0, exec_lo
.LBB383_548:
	s_or_b32 exec_lo, exec_lo, s22
	s_delay_alu instid0(SALU_CYCLE_1)
	s_or_not1_b32 s22, s0, exec_lo
.LBB383_549:
	s_or_b32 exec_lo, exec_lo, s24
	v_cndmask_b32_e64 v6, v24, v25, s22
	s_mov_b32 s24, exec_lo
	s_delay_alu instid0(VALU_DEP_1) | instskip(NEXT) | instid1(VALU_DEP_1)
	v_add_nc_u32_e32 v6, 1, v6
	v_dual_cndmask_b32 v7, v48, v50, s22 :: v_dual_cndmask_b32 v28, v6, v24, s22
	s_delay_alu instid0(VALU_DEP_1) | instskip(NEXT) | instid1(VALU_DEP_1)
	v_add_min_u32_e64 v7, v7, -1, v6
	v_lshl_add_u32 v7, v7, 3, v46
	ds_load_b64 v[8:9], v7
	s_wait_dscnt 0x0
	v_cndmask_b32_e64 v7, v9, v13, s22
	v_dual_cndmask_b32 v29, v25, v6, s22 :: v_dual_cndmask_b32 v6, v8, v12, s22
	v_dual_cndmask_b32 v25, v23, v9, s22 :: v_dual_cndmask_b32 v24, v22, v8, s22
	v_cmpx_lt_u32_e64 v28, v48
	s_cbranch_execz .LBB383_560
; %bb.550:
	s_mov_b32 s0, 0
	s_mov_b32 s23, exec_lo
	v_cmpx_lt_u32_e64 v29, v50
	s_cbranch_execz .LBB383_559
; %bb.551:
	v_cmp_ne_u32_e32 vcc_lo, 1, v45
	s_cbranch_vccnz .LBB383_557
; %bb.552:
	v_mul_u64_e32 v[8:9], s[16:17], v[6:7]
	v_mul_u64_e32 v[26:27], s[16:17], v[24:25]
	s_mov_b32 s25, 0
	s_mov_b64 s[6:7], s[16:17]
                                        ; implicit-def: $sgpr26
                                        ; implicit-def: $sgpr27
                                        ; implicit-def: $sgpr28
                                        ; implicit-def: $sgpr29
	s_delay_alu instid0(VALU_DEP_2) | instskip(NEXT) | instid1(VALU_DEP_2)
	v_lshl_add_u64 v[8:9], v[8:9], 2, s[18:19]
	v_lshl_add_u64 v[26:27], v[26:27], 2, s[18:19]
	s_branch .LBB383_554
.LBB383_553:                            ;   in Loop: Header=BB383_554 Depth=1
	s_or_b32 exec_lo, exec_lo, s30
	s_delay_alu instid0(SALU_CYCLE_1) | instskip(NEXT) | instid1(SALU_CYCLE_1)
	s_and_b32 s30, exec_lo, s27
	s_or_b32 s25, s30, s25
	s_and_not1_b32 s29, s29, exec_lo
	s_and_b32 s0, s0, exec_lo
	s_and_not1_b32 s26, s26, exec_lo
	s_and_b32 s30, s28, exec_lo
	s_or_b32 s29, s29, s0
	s_or_b32 s26, s26, s30
	s_and_not1_b32 exec_lo, exec_lo, s25
	s_cbranch_execz .LBB383_556
.LBB383_554:                            ; =>This Inner Loop Header: Depth=1
	global_load_b32 v30, v[8:9], off
	global_load_b32 v31, v[26:27], off
	s_and_not1_b32 s28, s28, exec_lo
	s_or_b32 s27, s27, exec_lo
	s_wait_loadcnt 0x0
	v_cmp_le_i32_e32 vcc_lo, v30, v31
	v_cmp_lt_i32_e64 s0, v30, v31
	s_and_b32 s30, vcc_lo, s29
	s_delay_alu instid0(SALU_CYCLE_1) | instskip(NEXT) | instid1(SALU_CYCLE_1)
	s_or_b32 s0, s0, s30
	s_and_b32 s30, s0, exec_lo
	s_delay_alu instid0(SALU_CYCLE_1)
	s_or_b32 s28, s28, s30
	s_mov_b32 s30, exec_lo
	v_cmpx_eq_u32_e64 v30, v31
	s_cbranch_execz .LBB383_553
; %bb.555:                              ;   in Loop: Header=BB383_554 Depth=1
	s_add_nc_u64 s[6:7], s[6:7], -1
	v_add_nc_u64_e32 v[8:9], 4, v[8:9]
	s_cmp_eq_u64 s[6:7], 0
	v_add_nc_u64_e32 v[26:27], 4, v[26:27]
	s_cselect_b32 s29, -1, 0
	s_and_not1_b32 s27, s27, exec_lo
	s_and_b32 s29, s29, exec_lo
	s_and_not1_b32 s28, s28, exec_lo
	s_or_b32 s27, s27, s29
                                        ; implicit-def: $sgpr29
	s_branch .LBB383_553
.LBB383_556:
	s_or_b32 exec_lo, exec_lo, s25
	s_xor_b32 s0, s26, -1
	s_branch .LBB383_558
.LBB383_557:
	s_mov_b32 s0, -1
.LBB383_558:
	s_delay_alu instid0(SALU_CYCLE_1)
	s_and_b32 s0, s0, exec_lo
.LBB383_559:
	s_or_b32 exec_lo, exec_lo, s23
	s_delay_alu instid0(SALU_CYCLE_1)
	s_or_not1_b32 s23, s0, exec_lo
.LBB383_560:
	s_or_b32 exec_lo, exec_lo, s24
	v_cndmask_b32_e64 v8, v28, v29, s23
	v_cndmask_b32_e64 v9, v48, v50, s23
	s_mov_b32 s24, -1
	s_mov_b32 s25, -1
	s_mov_b32 s26, exec_lo
	v_add_nc_u32_e32 v8, 1, v8
	s_delay_alu instid0(VALU_DEP_1) | instskip(NEXT) | instid1(VALU_DEP_1)
	v_add_min_u32_e64 v9, v9, -1, v8
	v_lshl_add_u32 v9, v9, 3, v46
	ds_load_b64 v[26:27], v9
	v_cndmask_b32_e64 v32, v8, v28, s23
	s_wait_dscnt 0x0
	v_dual_cndmask_b32 v33, v29, v8, s23 :: v_dual_cndmask_b32 v9, v27, v7, s23
	v_dual_cndmask_b32 v8, v26, v6, s23 :: v_dual_cndmask_b32 v27, v25, v27, s23
	v_cndmask_b32_e64 v26, v24, v26, s23
	v_cmpx_lt_u32_e64 v32, v48
	s_cbranch_execz .LBB383_571
; %bb.561:
	s_mov_b32 s0, 0
	s_mov_b32 s25, exec_lo
	v_cmpx_lt_u32_e64 v33, v50
	s_cbranch_execz .LBB383_570
; %bb.562:
	v_cmp_ne_u32_e32 vcc_lo, 1, v45
	s_cbranch_vccnz .LBB383_568
; %bb.563:
	v_mul_u64_e32 v[28:29], s[16:17], v[8:9]
	v_mul_u64_e32 v[30:31], s[16:17], v[26:27]
	s_mov_b32 s27, 0
	s_mov_b64 s[6:7], s[16:17]
                                        ; implicit-def: $sgpr28
                                        ; implicit-def: $sgpr29
                                        ; implicit-def: $sgpr30
                                        ; implicit-def: $sgpr31
	s_delay_alu instid0(VALU_DEP_2) | instskip(NEXT) | instid1(VALU_DEP_2)
	v_lshl_add_u64 v[28:29], v[28:29], 2, s[18:19]
	v_lshl_add_u64 v[30:31], v[30:31], 2, s[18:19]
	s_branch .LBB383_565
.LBB383_564:                            ;   in Loop: Header=BB383_565 Depth=1
	s_or_b32 exec_lo, exec_lo, s33
	s_delay_alu instid0(SALU_CYCLE_1) | instskip(NEXT) | instid1(SALU_CYCLE_1)
	s_and_b32 s33, exec_lo, s29
	s_or_b32 s27, s33, s27
	s_and_not1_b32 s31, s31, exec_lo
	s_and_b32 s0, s0, exec_lo
	s_and_not1_b32 s28, s28, exec_lo
	s_and_b32 s33, s30, exec_lo
	s_or_b32 s31, s31, s0
	s_or_b32 s28, s28, s33
	s_and_not1_b32 exec_lo, exec_lo, s27
	s_cbranch_execz .LBB383_567
.LBB383_565:                            ; =>This Inner Loop Header: Depth=1
	global_load_b32 v34, v[28:29], off
	global_load_b32 v35, v[30:31], off
	s_and_not1_b32 s30, s30, exec_lo
	s_or_b32 s29, s29, exec_lo
	s_wait_loadcnt 0x0
	v_cmp_le_i32_e32 vcc_lo, v34, v35
	v_cmp_lt_i32_e64 s0, v34, v35
	s_and_b32 s33, vcc_lo, s31
	s_delay_alu instid0(SALU_CYCLE_1) | instskip(NEXT) | instid1(SALU_CYCLE_1)
	s_or_b32 s0, s0, s33
	s_and_b32 s33, s0, exec_lo
	s_delay_alu instid0(SALU_CYCLE_1)
	s_or_b32 s30, s30, s33
	s_mov_b32 s33, exec_lo
	v_cmpx_eq_u32_e64 v34, v35
	s_cbranch_execz .LBB383_564
; %bb.566:                              ;   in Loop: Header=BB383_565 Depth=1
	s_add_nc_u64 s[6:7], s[6:7], -1
	v_add_nc_u64_e32 v[28:29], 4, v[28:29]
	s_cmp_eq_u64 s[6:7], 0
	v_add_nc_u64_e32 v[30:31], 4, v[30:31]
	s_cselect_b32 s31, -1, 0
	s_and_not1_b32 s29, s29, exec_lo
	s_and_b32 s31, s31, exec_lo
	s_and_not1_b32 s30, s30, exec_lo
	s_or_b32 s29, s29, s31
                                        ; implicit-def: $sgpr31
	s_branch .LBB383_564
.LBB383_567:
	s_or_b32 exec_lo, exec_lo, s27
	s_xor_b32 s0, s28, -1
	s_branch .LBB383_569
.LBB383_568:
	s_mov_b32 s0, -1
.LBB383_569:
	s_delay_alu instid0(SALU_CYCLE_1)
	s_and_b32 s0, s0, exec_lo
.LBB383_570:
	s_or_b32 exec_lo, exec_lo, s25
	s_delay_alu instid0(SALU_CYCLE_1)
	s_or_not1_b32 s25, s0, exec_lo
.LBB383_571:
	s_or_b32 exec_lo, exec_lo, s26
	v_cndmask_b32_e64 v28, v32, v33, s25
	v_cndmask_b32_e64 v29, v48, v50, s25
	s_mov_b32 s26, exec_lo
	s_delay_alu instid0(VALU_DEP_2) | instskip(NEXT) | instid1(VALU_DEP_1)
	v_add_nc_u32_e32 v28, 1, v28
	v_add_min_u32_e64 v29, v29, -1, v28
	s_delay_alu instid0(VALU_DEP_1)
	v_lshl_add_u32 v29, v29, 3, v46
	ds_load_b64 v[30:31], v29
	v_cndmask_b32_e64 v49, v28, v32, s25
	s_wait_dscnt 0x0
	v_dual_cndmask_b32 v47, v33, v28, s25 :: v_dual_cndmask_b32 v29, v31, v9, s25
	v_dual_cndmask_b32 v28, v30, v8, s25 :: v_dual_cndmask_b32 v31, v27, v31, s25
	v_cndmask_b32_e64 v30, v26, v30, s25
	v_cmpx_lt_u32_e64 v49, v48
	s_cbranch_execz .LBB383_582
; %bb.572:
	s_mov_b32 s0, 0
	s_mov_b32 s24, exec_lo
	v_cmpx_lt_u32_e64 v47, v50
	s_cbranch_execz .LBB383_581
; %bb.573:
	v_cmp_ne_u32_e32 vcc_lo, 1, v45
	s_cbranch_vccnz .LBB383_579
; %bb.574:
	v_mul_u64_e32 v[32:33], s[16:17], v[28:29]
	v_mul_u64_e32 v[34:35], s[16:17], v[30:31]
	s_mov_b32 s27, 0
	s_mov_b64 s[6:7], s[16:17]
                                        ; implicit-def: $sgpr28
                                        ; implicit-def: $sgpr29
                                        ; implicit-def: $sgpr30
                                        ; implicit-def: $sgpr31
	s_delay_alu instid0(VALU_DEP_2) | instskip(NEXT) | instid1(VALU_DEP_2)
	v_lshl_add_u64 v[32:33], v[32:33], 2, s[18:19]
	v_lshl_add_u64 v[34:35], v[34:35], 2, s[18:19]
	s_branch .LBB383_576
.LBB383_575:                            ;   in Loop: Header=BB383_576 Depth=1
	s_or_b32 exec_lo, exec_lo, s33
	s_delay_alu instid0(SALU_CYCLE_1) | instskip(NEXT) | instid1(SALU_CYCLE_1)
	s_and_b32 s33, exec_lo, s29
	s_or_b32 s27, s33, s27
	s_and_not1_b32 s31, s31, exec_lo
	s_and_b32 s0, s0, exec_lo
	s_and_not1_b32 s28, s28, exec_lo
	s_and_b32 s33, s30, exec_lo
	s_or_b32 s31, s31, s0
	s_or_b32 s28, s28, s33
	s_and_not1_b32 exec_lo, exec_lo, s27
	s_cbranch_execz .LBB383_578
.LBB383_576:                            ; =>This Inner Loop Header: Depth=1
	global_load_b32 v51, v[32:33], off
	global_load_b32 v52, v[34:35], off
	s_and_not1_b32 s30, s30, exec_lo
	s_or_b32 s29, s29, exec_lo
	s_wait_loadcnt 0x0
	v_cmp_le_i32_e32 vcc_lo, v51, v52
	v_cmp_lt_i32_e64 s0, v51, v52
	s_and_b32 s33, vcc_lo, s31
	s_delay_alu instid0(SALU_CYCLE_1) | instskip(NEXT) | instid1(SALU_CYCLE_1)
	s_or_b32 s0, s0, s33
	s_and_b32 s33, s0, exec_lo
	s_delay_alu instid0(SALU_CYCLE_1)
	s_or_b32 s30, s30, s33
	s_mov_b32 s33, exec_lo
	v_cmpx_eq_u32_e64 v51, v52
	s_cbranch_execz .LBB383_575
; %bb.577:                              ;   in Loop: Header=BB383_576 Depth=1
	s_add_nc_u64 s[6:7], s[6:7], -1
	v_add_nc_u64_e32 v[32:33], 4, v[32:33]
	s_cmp_eq_u64 s[6:7], 0
	v_add_nc_u64_e32 v[34:35], 4, v[34:35]
	s_cselect_b32 s31, -1, 0
	s_and_not1_b32 s29, s29, exec_lo
	s_and_b32 s31, s31, exec_lo
	s_and_not1_b32 s30, s30, exec_lo
	s_or_b32 s29, s29, s31
                                        ; implicit-def: $sgpr31
	s_branch .LBB383_575
.LBB383_578:
	s_or_b32 exec_lo, exec_lo, s27
	s_xor_b32 s0, s28, -1
	s_branch .LBB383_580
.LBB383_579:
	s_mov_b32 s0, -1
.LBB383_580:
	s_delay_alu instid0(SALU_CYCLE_1)
	s_and_b32 s0, s0, exec_lo
.LBB383_581:
	s_or_b32 exec_lo, exec_lo, s24
	s_delay_alu instid0(SALU_CYCLE_1)
	s_or_not1_b32 s24, s0, exec_lo
.LBB383_582:
	s_or_b32 exec_lo, exec_lo, s26
	v_dual_cndmask_b32 v32, v49, v47, s24 :: v_dual_cndmask_b32 v33, v48, v50, s24
	v_dual_cndmask_b32 v8, v8, v26, s25 :: v_dual_cndmask_b32 v7, v7, v25, s23
	;; [unrolled: 1-line block ×3, first 2 shown]
	s_delay_alu instid0(VALU_DEP_3) | instskip(SKIP_2) | instid1(VALU_DEP_3)
	v_dual_add_nc_u32 v34, 1, v32 :: v_dual_cndmask_b32 v9, v9, v27, s25
	v_dual_cndmask_b32 v12, v12, v22, s22 :: v_dual_cndmask_b32 v11, v11, v21, s15
	v_dual_cndmask_b32 v10, v10, v20, s15 :: v_dual_cndmask_b32 v17, v15, v17, s14
	v_add_min_u32_e64 v32, v33, -1, v34
	v_dual_cndmask_b32 v16, v14, v16, s14 :: v_dual_cndmask_b32 v15, v5, v3, s5
	v_dual_cndmask_b32 v14, v4, v2, s5 :: v_dual_cndmask_b32 v20, v34, v49, s24
	s_delay_alu instid0(VALU_DEP_3)
	v_lshl_add_u32 v32, v32, 3, v46
	v_dual_cndmask_b32 v3, v29, v31, s24 :: v_dual_cndmask_b32 v2, v28, v30, s24
	s_mov_b32 s5, exec_lo
	ds_load_b64 v[32:33], v32
	s_wait_dscnt 0x0
	v_dual_cndmask_b32 v5, v31, v33, s24 :: v_dual_cndmask_b32 v4, v30, v32, s24
	v_cmpx_lt_u32_e64 v20, v48
	s_cbranch_execz .LBB383_592
; %bb.583:
	v_dual_cndmask_b32 v22, v47, v34, s24 :: v_dual_cndmask_b32 v21, v33, v29, s24
	v_cndmask_b32_e64 v20, v32, v28, s24
	s_mov_b32 s14, exec_lo
	s_delay_alu instid0(VALU_DEP_2)
	v_cmpx_lt_u32_e64 v22, v50
	s_cbranch_execz .LBB383_591
; %bb.584:
	v_cmp_ne_u32_e32 vcc_lo, 1, v45
	s_cbranch_vccnz .LBB383_590
; %bb.585:
	v_mul_u64_e32 v[22:23], s[16:17], v[20:21]
	v_mul_u64_e32 v[24:25], s[16:17], v[4:5]
	s_mov_b32 s15, 0
	s_mov_b64 s[6:7], s[16:17]
                                        ; implicit-def: $sgpr22
                                        ; implicit-def: $sgpr23
                                        ; implicit-def: $sgpr24
                                        ; implicit-def: $sgpr25
	s_delay_alu instid0(VALU_DEP_2) | instskip(NEXT) | instid1(VALU_DEP_2)
	v_lshl_add_u64 v[22:23], v[22:23], 2, s[18:19]
	v_lshl_add_u64 v[24:25], v[24:25], 2, s[18:19]
	s_branch .LBB383_587
.LBB383_586:                            ;   in Loop: Header=BB383_587 Depth=1
	s_or_b32 exec_lo, exec_lo, s26
	s_delay_alu instid0(SALU_CYCLE_1) | instskip(NEXT) | instid1(SALU_CYCLE_1)
	s_and_b32 s26, exec_lo, s23
	s_or_b32 s15, s26, s15
	s_and_not1_b32 s25, s25, exec_lo
	s_and_b32 s0, s0, exec_lo
	s_and_not1_b32 s22, s22, exec_lo
	s_and_b32 s26, s24, exec_lo
	s_or_b32 s25, s25, s0
	s_or_b32 s22, s22, s26
	s_and_not1_b32 exec_lo, exec_lo, s15
	s_cbranch_execz .LBB383_589
.LBB383_587:                            ; =>This Inner Loop Header: Depth=1
	global_load_b32 v26, v[22:23], off
	global_load_b32 v27, v[24:25], off
	s_and_not1_b32 s24, s24, exec_lo
	s_or_b32 s23, s23, exec_lo
	s_wait_loadcnt 0x0
	v_cmp_le_i32_e32 vcc_lo, v26, v27
	v_cmp_lt_i32_e64 s0, v26, v27
	s_and_b32 s26, vcc_lo, s25
	s_delay_alu instid0(SALU_CYCLE_1) | instskip(NEXT) | instid1(SALU_CYCLE_1)
	s_or_b32 s0, s0, s26
	s_and_b32 s26, s0, exec_lo
	s_delay_alu instid0(SALU_CYCLE_1)
	s_or_b32 s24, s24, s26
	s_mov_b32 s26, exec_lo
	v_cmpx_eq_u32_e64 v26, v27
	s_cbranch_execz .LBB383_586
; %bb.588:                              ;   in Loop: Header=BB383_587 Depth=1
	s_add_nc_u64 s[6:7], s[6:7], -1
	v_add_nc_u64_e32 v[22:23], 4, v[22:23]
	s_cmp_eq_u64 s[6:7], 0
	v_add_nc_u64_e32 v[24:25], 4, v[24:25]
	s_cselect_b32 s25, -1, 0
	s_and_not1_b32 s23, s23, exec_lo
	s_and_b32 s25, s25, exec_lo
	s_and_not1_b32 s24, s24, exec_lo
	s_or_b32 s23, s23, s25
                                        ; implicit-def: $sgpr25
	s_branch .LBB383_586
.LBB383_589:
	s_or_b32 exec_lo, exec_lo, s15
	v_dual_cndmask_b32 v5, v5, v21, s22 :: v_dual_cndmask_b32 v4, v4, v20, s22
.LBB383_590:
	s_delay_alu instid0(VALU_DEP_1)
	v_mov_b64_e32 v[20:21], v[4:5]
.LBB383_591:
	s_or_b32 exec_lo, exec_lo, s14
	s_delay_alu instid0(VALU_DEP_1)
	v_mov_b64_e32 v[4:5], v[20:21]
.LBB383_592:
	s_or_b32 exec_lo, exec_lo, s5
.LBB383_593:
	s_delay_alu instid0(SALU_CYCLE_1)
	s_or_b32 exec_lo, exec_lo, s1
	v_lshlrev_b32_e32 v24, 3, v1
	s_lshl_b64 s[6:7], s[16:17], 2
	s_movk_i32 s1, 0x80
	; wave barrier
	s_wait_dscnt 0x0
	s_barrier_signal -1
	s_barrier_wait -1
.LBB383_594:                            ; =>This Loop Header: Depth=1
                                        ;     Child Loop BB383_598 Depth 2
                                        ;       Child Loop BB383_601 Depth 3
                                        ;     Child Loop BB383_613 Depth 2
                                        ;     Child Loop BB383_623 Depth 2
	;; [unrolled: 1-line block ×8, first 2 shown]
	s_lshl_b32 s5, s1, 1
	s_mov_b32 s22, exec_lo
	s_sub_co_i32 s0, 0, s5
	ds_store_b128 v24, v[14:17]
	ds_store_b128 v24, v[10:13] offset:16
	ds_store_b128 v24, v[6:9] offset:32
	;; [unrolled: 1-line block ×3, first 2 shown]
	v_and_b32_e32 v29, s0, v1
	s_add_co_i32 s0, s5, -1
	s_wait_dscnt 0x0
	v_and_b32_e32 v20, s0, v1
	s_barrier_signal -1
	v_add_min_u32_e64 v25, v29, s1, 0x800
	s_barrier_wait -1
	s_delay_alu instid0(VALU_DEP_2) | instskip(NEXT) | instid1(VALU_DEP_2)
	v_min_u32_e32 v30, 0x800, v20
	v_dual_lshlrev_b32 v28, 3, v29 :: v_dual_sub_nc_u32 v20, v25, v29
	v_add_min_u32_e64 v26, v25, s1, 0x800
	s_delay_alu instid0(VALU_DEP_2) | instskip(NEXT) | instid1(VALU_DEP_2)
	v_min_u32_e32 v31, v30, v20
	v_sub_nc_u32_e32 v21, v26, v25
	s_delay_alu instid0(VALU_DEP_1) | instskip(NEXT) | instid1(VALU_DEP_1)
	v_sub_nc_u32_e64 v27, v30, v21 clamp
	v_cmpx_lt_u32_e64 v27, v31
	s_cbranch_execz .LBB383_604
; %bb.595:                              ;   in Loop: Header=BB383_594 Depth=1
	v_lshlrev_b32_e32 v20, 3, v30
	s_mov_b32 s23, 0
	s_delay_alu instid0(VALU_DEP_1)
	v_lshl_add_u32 v32, v25, 3, v20
	s_branch .LBB383_598
.LBB383_596:                            ;   in Loop: Header=BB383_598 Depth=2
	s_or_b32 exec_lo, exec_lo, s25
.LBB383_597:                            ;   in Loop: Header=BB383_598 Depth=2
	s_delay_alu instid0(VALU_DEP_1) | instskip(NEXT) | instid1(VALU_DEP_1)
	v_dual_add_nc_u32 v20, 1, v33 :: v_dual_cndmask_b32 v31, v31, v33, s24
	v_cndmask_b32_e64 v27, v20, v27, s24
	s_delay_alu instid0(VALU_DEP_1) | instskip(SKIP_1) | instid1(SALU_CYCLE_1)
	v_cmp_ge_u32_e32 vcc_lo, v27, v31
	s_or_b32 s23, vcc_lo, s23
	s_and_not1_b32 exec_lo, exec_lo, s23
	s_cbranch_execz .LBB383_603
.LBB383_598:                            ;   Parent Loop BB383_594 Depth=1
                                        ; =>  This Loop Header: Depth=2
                                        ;       Child Loop BB383_601 Depth 3
	v_add_nc_u32_e32 v20, v31, v27
	v_cmp_ne_u32_e32 vcc_lo, 1, v45
	s_mov_b32 s24, 0
	s_delay_alu instid0(VALU_DEP_2)
	v_lshrrev_b32_e32 v33, 1, v20
	s_cbranch_vccnz .LBB383_597
; %bb.599:                              ;   in Loop: Header=BB383_598 Depth=2
	s_delay_alu instid0(VALU_DEP_1) | instskip(SKIP_3) | instid1(VALU_DEP_2)
	v_not_b32_e32 v20, v33
	v_lshl_add_u32 v21, v33, 3, v28
	s_mov_b32 s25, 0
	s_mov_b64 s[14:15], s[16:17]
                                        ; implicit-def: $sgpr24
                                        ; implicit-def: $sgpr26
                                        ; implicit-def: $sgpr27
                                        ; implicit-def: $sgpr28
	v_lshl_add_u32 v20, v20, 3, v32
	ds_load_b64 v[34:35], v20
	ds_load_b64 v[46:47], v21
	s_wait_dscnt 0x1
	v_mad_nc_u64_u32 v[20:21], s6, v34, s[18:19]
	s_wait_dscnt 0x0
	v_mad_nc_u64_u32 v[22:23], s6, v46, s[18:19]
	s_delay_alu instid0(VALU_DEP_2) | instskip(NEXT) | instid1(VALU_DEP_2)
	v_mad_u32 v21, s7, v34, v21
	v_mad_u32 v23, s7, v46, v23
	s_delay_alu instid0(VALU_DEP_2) | instskip(NEXT) | instid1(VALU_DEP_2)
	v_mad_u32 v21, s6, v35, v21
	v_mad_u32 v23, s6, v47, v23
	s_branch .LBB383_601
.LBB383_600:                            ;   in Loop: Header=BB383_601 Depth=3
	s_or_b32 exec_lo, exec_lo, s29
	s_delay_alu instid0(SALU_CYCLE_1) | instskip(NEXT) | instid1(SALU_CYCLE_1)
	s_and_b32 s29, exec_lo, s26
	s_or_b32 s25, s29, s25
	s_and_not1_b32 s28, s28, exec_lo
	s_and_b32 s0, s0, exec_lo
	s_and_not1_b32 s24, s24, exec_lo
	s_and_b32 s29, s27, exec_lo
	s_or_b32 s28, s28, s0
	s_or_b32 s24, s24, s29
	s_and_not1_b32 exec_lo, exec_lo, s25
	s_cbranch_execz .LBB383_596
.LBB383_601:                            ;   Parent Loop BB383_594 Depth=1
                                        ;     Parent Loop BB383_598 Depth=2
                                        ; =>    This Inner Loop Header: Depth=3
	global_load_b32 v34, v[20:21], off
	global_load_b32 v35, v[22:23], off
	s_and_not1_b32 s27, s27, exec_lo
	s_or_b32 s26, s26, exec_lo
	s_wait_loadcnt 0x0
	v_cmp_le_i32_e32 vcc_lo, v34, v35
	v_cmp_lt_i32_e64 s0, v34, v35
	s_and_b32 s29, vcc_lo, s28
	s_delay_alu instid0(SALU_CYCLE_1) | instskip(NEXT) | instid1(SALU_CYCLE_1)
	s_or_b32 s0, s0, s29
	s_and_b32 s29, s0, exec_lo
	s_delay_alu instid0(SALU_CYCLE_1)
	s_or_b32 s27, s27, s29
	s_mov_b32 s29, exec_lo
	v_cmpx_eq_u32_e64 v34, v35
	s_cbranch_execz .LBB383_600
; %bb.602:                              ;   in Loop: Header=BB383_601 Depth=3
	s_add_nc_u64 s[14:15], s[14:15], -1
	v_add_nc_u64_e32 v[20:21], 4, v[20:21]
	s_cmp_eq_u64 s[14:15], 0
	v_add_nc_u64_e32 v[22:23], 4, v[22:23]
	s_cselect_b32 s28, -1, 0
	s_and_not1_b32 s26, s26, exec_lo
	s_and_b32 s28, s28, exec_lo
	s_and_not1_b32 s27, s27, exec_lo
	s_or_b32 s26, s26, s28
                                        ; implicit-def: $sgpr28
	s_branch .LBB383_600
.LBB383_603:                            ;   in Loop: Header=BB383_594 Depth=1
	s_or_b32 exec_lo, exec_lo, s23
.LBB383_604:                            ;   in Loop: Header=BB383_594 Depth=1
	s_delay_alu instid0(SALU_CYCLE_1) | instskip(SKIP_1) | instid1(VALU_DEP_1)
	s_or_b32 exec_lo, exec_lo, s22
	v_dual_sub_nc_u32 v21, v30, v27 :: v_dual_add_nc_u32 v20, v27, v29
	v_add_nc_u32_e32 v21, v21, v25
	s_delay_alu instid0(VALU_DEP_2) | instskip(NEXT) | instid1(VALU_DEP_2)
	v_cmp_le_u32_e32 vcc_lo, v20, v25
	v_cmp_le_u32_e64 s0, v21, v26
	s_or_b32 s0, vcc_lo, s0
	s_delay_alu instid0(SALU_CYCLE_1)
	s_and_saveexec_b32 s22, s0
	s_cbranch_execz .LBB383_695
; %bb.605:                              ;   in Loop: Header=BB383_594 Depth=1
	s_mov_b32 s14, exec_lo
	v_cmp_ge_u32_e32 vcc_lo, v20, v25
                                        ; implicit-def: $vgpr2_vgpr3
	v_cmpx_lt_u32_e64 v20, v25
; %bb.606:                              ;   in Loop: Header=BB383_594 Depth=1
	v_lshl_add_u32 v2, v27, 3, v28
	ds_load_b64 v[2:3], v2
; %bb.607:                              ;   in Loop: Header=BB383_594 Depth=1
	s_or_b32 exec_lo, exec_lo, s14
	v_cmp_ge_u32_e64 s23, v21, v26
	s_mov_b32 s14, exec_lo
                                        ; implicit-def: $vgpr14_vgpr15
	v_cmpx_lt_u32_e64 v21, v26
; %bb.608:                              ;   in Loop: Header=BB383_594 Depth=1
	v_lshlrev_b32_e32 v4, 3, v21
	ds_load_b64 v[14:15], v4
; %bb.609:                              ;   in Loop: Header=BB383_594 Depth=1
	s_or_b32 exec_lo, exec_lo, s14
	s_nor_b32 s0, vcc_lo, s23
	s_delay_alu instid0(SALU_CYCLE_1)
	s_and_saveexec_b32 s24, s0
	s_cbranch_execz .LBB383_618
; %bb.610:                              ;   in Loop: Header=BB383_594 Depth=1
	v_cmp_ne_u32_e32 vcc_lo, 1, v45
	s_cbranch_vccnz .LBB383_616
; %bb.611:                              ;   in Loop: Header=BB383_594 Depth=1
	s_wait_dscnt 0x0
	v_mad_nc_u64_u32 v[4:5], s6, v14, s[18:19]
	v_mad_nc_u64_u32 v[6:7], s6, v2, s[18:19]
	s_mov_b32 s25, 0
	s_mov_b64 s[14:15], s[16:17]
                                        ; implicit-def: $sgpr26
                                        ; implicit-def: $sgpr27
                                        ; implicit-def: $sgpr28
                                        ; implicit-def: $sgpr29
	s_delay_alu instid0(VALU_DEP_2) | instskip(NEXT) | instid1(VALU_DEP_2)
	v_mad_u32 v5, s7, v14, v5
	v_mad_u32 v7, s7, v2, v7
	s_delay_alu instid0(VALU_DEP_2) | instskip(NEXT) | instid1(VALU_DEP_2)
	v_mad_u32 v5, s6, v15, v5
	v_mad_u32 v7, s6, v3, v7
	s_branch .LBB383_613
.LBB383_612:                            ;   in Loop: Header=BB383_613 Depth=2
	s_or_b32 exec_lo, exec_lo, s30
	s_delay_alu instid0(SALU_CYCLE_1) | instskip(NEXT) | instid1(SALU_CYCLE_1)
	s_and_b32 s30, exec_lo, s27
	s_or_b32 s25, s30, s25
	s_and_not1_b32 s29, s29, exec_lo
	s_and_b32 s0, s0, exec_lo
	s_and_not1_b32 s26, s26, exec_lo
	s_and_b32 s30, s28, exec_lo
	s_or_b32 s29, s29, s0
	s_or_b32 s26, s26, s30
	s_and_not1_b32 exec_lo, exec_lo, s25
	s_cbranch_execz .LBB383_615
.LBB383_613:                            ;   Parent Loop BB383_594 Depth=1
                                        ; =>  This Inner Loop Header: Depth=2
	global_load_b32 v8, v[4:5], off
	global_load_b32 v9, v[6:7], off
	s_and_not1_b32 s28, s28, exec_lo
	s_or_b32 s27, s27, exec_lo
	s_wait_loadcnt 0x0
	v_cmp_le_i32_e32 vcc_lo, v8, v9
	v_cmp_lt_i32_e64 s0, v8, v9
	s_and_b32 s30, vcc_lo, s29
	s_delay_alu instid0(SALU_CYCLE_1) | instskip(NEXT) | instid1(SALU_CYCLE_1)
	s_or_b32 s0, s0, s30
	s_and_b32 s30, s0, exec_lo
	s_delay_alu instid0(SALU_CYCLE_1)
	s_or_b32 s28, s28, s30
	s_mov_b32 s30, exec_lo
	v_cmpx_eq_u32_e64 v8, v9
	s_cbranch_execz .LBB383_612
; %bb.614:                              ;   in Loop: Header=BB383_613 Depth=2
	s_add_nc_u64 s[14:15], s[14:15], -1
	v_add_nc_u64_e32 v[4:5], 4, v[4:5]
	s_cmp_eq_u64 s[14:15], 0
	v_add_nc_u64_e32 v[6:7], 4, v[6:7]
	s_cselect_b32 s29, -1, 0
	s_and_not1_b32 s27, s27, exec_lo
	s_and_b32 s29, s29, exec_lo
	s_and_not1_b32 s28, s28, exec_lo
	s_or_b32 s27, s27, s29
                                        ; implicit-def: $sgpr29
	s_branch .LBB383_612
.LBB383_615:                            ;   in Loop: Header=BB383_594 Depth=1
	s_or_b32 exec_lo, exec_lo, s25
	s_xor_b32 s0, s26, -1
	s_branch .LBB383_617
.LBB383_616:                            ;   in Loop: Header=BB383_594 Depth=1
	s_mov_b32 s0, -1
.LBB383_617:                            ;   in Loop: Header=BB383_594 Depth=1
	s_and_not1_b32 s14, s23, exec_lo
	s_and_b32 s0, s0, exec_lo
	s_delay_alu instid0(SALU_CYCLE_1)
	s_or_b32 s23, s14, s0
.LBB383_618:                            ;   in Loop: Header=BB383_594 Depth=1
	s_or_b32 exec_lo, exec_lo, s24
	v_dual_cndmask_b32 v4, v21, v20, s23 :: v_dual_cndmask_b32 v5, v26, v25, s23
	s_mov_b32 s25, -1
	s_mov_b32 s24, -1
	s_mov_b32 s26, exec_lo
	s_delay_alu instid0(VALU_DEP_1) | instskip(NEXT) | instid1(VALU_DEP_1)
	v_add_nc_u32_e32 v6, 1, v4
	v_add_min_u32_e64 v4, v5, -1, v6
	s_delay_alu instid0(VALU_DEP_1)
	v_dual_lshlrev_b32 v4, 3, v4 :: v_dual_cndmask_b32 v8, v6, v21, s23
	v_cndmask_b32_e64 v9, v20, v6, s23
	ds_load_b64 v[4:5], v4
	s_wait_dscnt 0x0
	v_dual_cndmask_b32 v16, v5, v15, s23 :: v_dual_cndmask_b32 v20, v4, v14, s23
	v_dual_cndmask_b32 v17, v3, v5, s23 :: v_dual_cndmask_b32 v21, v2, v4, s23
	v_cmpx_lt_u32_e64 v8, v26
	s_cbranch_execz .LBB383_629
; %bb.619:                              ;   in Loop: Header=BB383_594 Depth=1
	s_mov_b32 s0, 0
	s_mov_b32 s24, exec_lo
	v_cmpx_lt_u32_e64 v9, v25
	s_cbranch_execz .LBB383_628
; %bb.620:                              ;   in Loop: Header=BB383_594 Depth=1
	v_cmp_ne_u32_e32 vcc_lo, 1, v45
	s_cbranch_vccnz .LBB383_626
; %bb.621:                              ;   in Loop: Header=BB383_594 Depth=1
	v_mad_nc_u64_u32 v[4:5], s6, v20, s[18:19]
	v_mad_nc_u64_u32 v[6:7], s6, v21, s[18:19]
	s_mov_b32 s27, 0
	s_mov_b64 s[14:15], s[16:17]
                                        ; implicit-def: $sgpr28
                                        ; implicit-def: $sgpr29
                                        ; implicit-def: $sgpr30
                                        ; implicit-def: $sgpr31
	s_delay_alu instid0(VALU_DEP_2) | instskip(NEXT) | instid1(VALU_DEP_2)
	v_mad_u32 v5, s7, v20, v5
	v_mad_u32 v7, s7, v21, v7
	s_delay_alu instid0(VALU_DEP_2) | instskip(NEXT) | instid1(VALU_DEP_2)
	v_mad_u32 v5, s6, v16, v5
	v_mad_u32 v7, s6, v17, v7
	s_branch .LBB383_623
.LBB383_622:                            ;   in Loop: Header=BB383_623 Depth=2
	s_or_b32 exec_lo, exec_lo, s33
	s_delay_alu instid0(SALU_CYCLE_1) | instskip(NEXT) | instid1(SALU_CYCLE_1)
	s_and_b32 s33, exec_lo, s29
	s_or_b32 s27, s33, s27
	s_and_not1_b32 s31, s31, exec_lo
	s_and_b32 s0, s0, exec_lo
	s_and_not1_b32 s28, s28, exec_lo
	s_and_b32 s33, s30, exec_lo
	s_or_b32 s31, s31, s0
	s_or_b32 s28, s28, s33
	s_and_not1_b32 exec_lo, exec_lo, s27
	s_cbranch_execz .LBB383_625
.LBB383_623:                            ;   Parent Loop BB383_594 Depth=1
                                        ; =>  This Inner Loop Header: Depth=2
	global_load_b32 v10, v[4:5], off
	global_load_b32 v11, v[6:7], off
	s_and_not1_b32 s30, s30, exec_lo
	s_or_b32 s29, s29, exec_lo
	s_wait_loadcnt 0x0
	v_cmp_le_i32_e32 vcc_lo, v10, v11
	v_cmp_lt_i32_e64 s0, v10, v11
	s_and_b32 s33, vcc_lo, s31
	s_delay_alu instid0(SALU_CYCLE_1) | instskip(NEXT) | instid1(SALU_CYCLE_1)
	s_or_b32 s0, s0, s33
	s_and_b32 s33, s0, exec_lo
	s_delay_alu instid0(SALU_CYCLE_1)
	s_or_b32 s30, s30, s33
	s_mov_b32 s33, exec_lo
	v_cmpx_eq_u32_e64 v10, v11
	s_cbranch_execz .LBB383_622
; %bb.624:                              ;   in Loop: Header=BB383_623 Depth=2
	s_add_nc_u64 s[14:15], s[14:15], -1
	v_add_nc_u64_e32 v[4:5], 4, v[4:5]
	s_cmp_eq_u64 s[14:15], 0
	v_add_nc_u64_e32 v[6:7], 4, v[6:7]
	s_cselect_b32 s31, -1, 0
	s_and_not1_b32 s29, s29, exec_lo
	s_and_b32 s31, s31, exec_lo
	s_and_not1_b32 s30, s30, exec_lo
	s_or_b32 s29, s29, s31
                                        ; implicit-def: $sgpr31
	s_branch .LBB383_622
.LBB383_625:                            ;   in Loop: Header=BB383_594 Depth=1
	s_or_b32 exec_lo, exec_lo, s27
	s_xor_b32 s0, s28, -1
	s_branch .LBB383_627
.LBB383_626:                            ;   in Loop: Header=BB383_594 Depth=1
	s_mov_b32 s0, -1
.LBB383_627:                            ;   in Loop: Header=BB383_594 Depth=1
	s_delay_alu instid0(SALU_CYCLE_1)
	s_and_b32 s0, s0, exec_lo
.LBB383_628:                            ;   in Loop: Header=BB383_594 Depth=1
	s_or_b32 exec_lo, exec_lo, s24
	s_delay_alu instid0(SALU_CYCLE_1)
	s_or_not1_b32 s24, s0, exec_lo
.LBB383_629:                            ;   in Loop: Header=BB383_594 Depth=1
	s_or_b32 exec_lo, exec_lo, s26
	v_cndmask_b32_e64 v4, v8, v9, s24
	v_cndmask_b32_e64 v5, v26, v25, s24
	s_mov_b32 s26, exec_lo
	s_delay_alu instid0(VALU_DEP_2) | instskip(NEXT) | instid1(VALU_DEP_1)
	v_add_nc_u32_e32 v6, 1, v4
	v_add_min_u32_e64 v4, v5, -1, v6
	v_dual_cndmask_b32 v8, v6, v8, s24 :: v_dual_cndmask_b32 v9, v9, v6, s24
	s_delay_alu instid0(VALU_DEP_2)
	v_lshlrev_b32_e32 v4, 3, v4
	ds_load_b64 v[4:5], v4
	s_wait_dscnt 0x0
	v_cndmask_b32_e64 v22, v5, v16, s24
	v_dual_cndmask_b32 v23, v4, v20, s24 :: v_dual_cndmask_b32 v27, v17, v5, s24
	v_cndmask_b32_e64 v28, v21, v4, s24
	v_cmpx_lt_u32_e64 v8, v26
	s_cbranch_execz .LBB383_640
; %bb.630:                              ;   in Loop: Header=BB383_594 Depth=1
	s_mov_b32 s0, 0
	s_mov_b32 s25, exec_lo
	v_cmpx_lt_u32_e64 v9, v25
	s_cbranch_execz .LBB383_639
; %bb.631:                              ;   in Loop: Header=BB383_594 Depth=1
	v_cmp_ne_u32_e32 vcc_lo, 1, v45
	s_cbranch_vccnz .LBB383_637
; %bb.632:                              ;   in Loop: Header=BB383_594 Depth=1
	v_mad_nc_u64_u32 v[4:5], s6, v23, s[18:19]
	v_mad_nc_u64_u32 v[6:7], s6, v28, s[18:19]
	s_mov_b32 s27, 0
	s_mov_b64 s[14:15], s[16:17]
                                        ; implicit-def: $sgpr28
                                        ; implicit-def: $sgpr29
                                        ; implicit-def: $sgpr30
                                        ; implicit-def: $sgpr31
	s_delay_alu instid0(VALU_DEP_2) | instskip(NEXT) | instid1(VALU_DEP_2)
	v_mad_u32 v5, s7, v23, v5
	v_mad_u32 v7, s7, v28, v7
	s_delay_alu instid0(VALU_DEP_2) | instskip(NEXT) | instid1(VALU_DEP_2)
	v_mad_u32 v5, s6, v22, v5
	v_mad_u32 v7, s6, v27, v7
	s_branch .LBB383_634
.LBB383_633:                            ;   in Loop: Header=BB383_634 Depth=2
	s_or_b32 exec_lo, exec_lo, s33
	s_delay_alu instid0(SALU_CYCLE_1) | instskip(NEXT) | instid1(SALU_CYCLE_1)
	s_and_b32 s33, exec_lo, s29
	s_or_b32 s27, s33, s27
	s_and_not1_b32 s31, s31, exec_lo
	s_and_b32 s0, s0, exec_lo
	s_and_not1_b32 s28, s28, exec_lo
	s_and_b32 s33, s30, exec_lo
	s_or_b32 s31, s31, s0
	s_or_b32 s28, s28, s33
	s_and_not1_b32 exec_lo, exec_lo, s27
	s_cbranch_execz .LBB383_636
.LBB383_634:                            ;   Parent Loop BB383_594 Depth=1
                                        ; =>  This Inner Loop Header: Depth=2
	global_load_b32 v10, v[4:5], off
	global_load_b32 v11, v[6:7], off
	s_and_not1_b32 s30, s30, exec_lo
	s_or_b32 s29, s29, exec_lo
	s_wait_loadcnt 0x0
	v_cmp_le_i32_e32 vcc_lo, v10, v11
	v_cmp_lt_i32_e64 s0, v10, v11
	s_and_b32 s33, vcc_lo, s31
	s_delay_alu instid0(SALU_CYCLE_1) | instskip(NEXT) | instid1(SALU_CYCLE_1)
	s_or_b32 s0, s0, s33
	s_and_b32 s33, s0, exec_lo
	s_delay_alu instid0(SALU_CYCLE_1)
	s_or_b32 s30, s30, s33
	s_mov_b32 s33, exec_lo
	v_cmpx_eq_u32_e64 v10, v11
	s_cbranch_execz .LBB383_633
; %bb.635:                              ;   in Loop: Header=BB383_634 Depth=2
	s_add_nc_u64 s[14:15], s[14:15], -1
	v_add_nc_u64_e32 v[4:5], 4, v[4:5]
	s_cmp_eq_u64 s[14:15], 0
	v_add_nc_u64_e32 v[6:7], 4, v[6:7]
	s_cselect_b32 s31, -1, 0
	s_and_not1_b32 s29, s29, exec_lo
	s_and_b32 s31, s31, exec_lo
	s_and_not1_b32 s30, s30, exec_lo
	s_or_b32 s29, s29, s31
                                        ; implicit-def: $sgpr31
	s_branch .LBB383_633
.LBB383_636:                            ;   in Loop: Header=BB383_594 Depth=1
	s_or_b32 exec_lo, exec_lo, s27
	s_xor_b32 s0, s28, -1
	s_branch .LBB383_638
.LBB383_637:                            ;   in Loop: Header=BB383_594 Depth=1
	s_mov_b32 s0, -1
.LBB383_638:                            ;   in Loop: Header=BB383_594 Depth=1
	s_delay_alu instid0(SALU_CYCLE_1)
	s_and_b32 s0, s0, exec_lo
.LBB383_639:                            ;   in Loop: Header=BB383_594 Depth=1
	s_or_b32 exec_lo, exec_lo, s25
	s_delay_alu instid0(SALU_CYCLE_1)
	s_or_not1_b32 s25, s0, exec_lo
.LBB383_640:                            ;   in Loop: Header=BB383_594 Depth=1
	s_or_b32 exec_lo, exec_lo, s26
	v_cndmask_b32_e64 v4, v8, v9, s25
	v_cndmask_b32_e64 v5, v26, v25, s25
	s_mov_b32 s27, -1
	s_mov_b32 s26, -1
	s_mov_b32 s28, exec_lo
	v_add_nc_u32_e32 v6, 1, v4
	s_delay_alu instid0(VALU_DEP_1) | instskip(SKIP_1) | instid1(VALU_DEP_2)
	v_add_min_u32_e64 v4, v5, -1, v6
	v_dual_cndmask_b32 v8, v6, v8, s25 :: v_dual_cndmask_b32 v9, v9, v6, s25
	v_lshlrev_b32_e32 v4, 3, v4
	ds_load_b64 v[4:5], v4
	s_wait_dscnt 0x0
	v_dual_cndmask_b32 v12, v5, v22, s25 :: v_dual_cndmask_b32 v29, v4, v23, s25
	v_dual_cndmask_b32 v13, v27, v5, s25 :: v_dual_cndmask_b32 v30, v28, v4, s25
	v_cmpx_lt_u32_e64 v8, v26
	s_cbranch_execz .LBB383_651
; %bb.641:                              ;   in Loop: Header=BB383_594 Depth=1
	s_mov_b32 s0, 0
	s_mov_b32 s26, exec_lo
	v_cmpx_lt_u32_e64 v9, v25
	s_cbranch_execz .LBB383_650
; %bb.642:                              ;   in Loop: Header=BB383_594 Depth=1
	v_cmp_ne_u32_e32 vcc_lo, 1, v45
	s_cbranch_vccnz .LBB383_648
; %bb.643:                              ;   in Loop: Header=BB383_594 Depth=1
	v_mad_nc_u64_u32 v[4:5], s6, v29, s[18:19]
	v_mad_nc_u64_u32 v[6:7], s6, v30, s[18:19]
	s_mov_b32 s29, 0
	s_mov_b64 s[14:15], s[16:17]
                                        ; implicit-def: $sgpr30
                                        ; implicit-def: $sgpr31
                                        ; implicit-def: $sgpr33
                                        ; implicit-def: $sgpr34
	s_delay_alu instid0(VALU_DEP_2) | instskip(NEXT) | instid1(VALU_DEP_2)
	v_mad_u32 v5, s7, v29, v5
	v_mad_u32 v7, s7, v30, v7
	s_delay_alu instid0(VALU_DEP_2) | instskip(NEXT) | instid1(VALU_DEP_2)
	v_mad_u32 v5, s6, v12, v5
	v_mad_u32 v7, s6, v13, v7
	s_branch .LBB383_645
.LBB383_644:                            ;   in Loop: Header=BB383_645 Depth=2
	s_or_b32 exec_lo, exec_lo, s35
	s_delay_alu instid0(SALU_CYCLE_1) | instskip(NEXT) | instid1(SALU_CYCLE_1)
	s_and_b32 s35, exec_lo, s31
	s_or_b32 s29, s35, s29
	s_and_not1_b32 s34, s34, exec_lo
	s_and_b32 s0, s0, exec_lo
	s_and_not1_b32 s30, s30, exec_lo
	s_and_b32 s35, s33, exec_lo
	s_or_b32 s34, s34, s0
	s_or_b32 s30, s30, s35
	s_and_not1_b32 exec_lo, exec_lo, s29
	s_cbranch_execz .LBB383_647
.LBB383_645:                            ;   Parent Loop BB383_594 Depth=1
                                        ; =>  This Inner Loop Header: Depth=2
	global_load_b32 v10, v[4:5], off
	global_load_b32 v11, v[6:7], off
	s_and_not1_b32 s33, s33, exec_lo
	s_or_b32 s31, s31, exec_lo
	s_wait_loadcnt 0x0
	v_cmp_le_i32_e32 vcc_lo, v10, v11
	v_cmp_lt_i32_e64 s0, v10, v11
	s_and_b32 s35, vcc_lo, s34
	s_delay_alu instid0(SALU_CYCLE_1) | instskip(NEXT) | instid1(SALU_CYCLE_1)
	s_or_b32 s0, s0, s35
	s_and_b32 s35, s0, exec_lo
	s_delay_alu instid0(SALU_CYCLE_1)
	s_or_b32 s33, s33, s35
	s_mov_b32 s35, exec_lo
	v_cmpx_eq_u32_e64 v10, v11
	s_cbranch_execz .LBB383_644
; %bb.646:                              ;   in Loop: Header=BB383_645 Depth=2
	s_add_nc_u64 s[14:15], s[14:15], -1
	v_add_nc_u64_e32 v[4:5], 4, v[4:5]
	s_cmp_eq_u64 s[14:15], 0
	v_add_nc_u64_e32 v[6:7], 4, v[6:7]
	s_cselect_b32 s34, -1, 0
	s_and_not1_b32 s31, s31, exec_lo
	s_and_b32 s34, s34, exec_lo
	s_and_not1_b32 s33, s33, exec_lo
	s_or_b32 s31, s31, s34
                                        ; implicit-def: $sgpr34
	s_branch .LBB383_644
.LBB383_647:                            ;   in Loop: Header=BB383_594 Depth=1
	s_or_b32 exec_lo, exec_lo, s29
	s_xor_b32 s0, s30, -1
	s_branch .LBB383_649
.LBB383_648:                            ;   in Loop: Header=BB383_594 Depth=1
	s_mov_b32 s0, -1
.LBB383_649:                            ;   in Loop: Header=BB383_594 Depth=1
	s_delay_alu instid0(SALU_CYCLE_1)
	s_and_b32 s0, s0, exec_lo
.LBB383_650:                            ;   in Loop: Header=BB383_594 Depth=1
	s_or_b32 exec_lo, exec_lo, s26
	s_delay_alu instid0(SALU_CYCLE_1)
	s_or_not1_b32 s26, s0, exec_lo
.LBB383_651:                            ;   in Loop: Header=BB383_594 Depth=1
	s_or_b32 exec_lo, exec_lo, s28
	v_cndmask_b32_e64 v4, v8, v9, s26
	v_cndmask_b32_e64 v5, v26, v25, s26
	s_mov_b32 s28, exec_lo
	s_delay_alu instid0(VALU_DEP_2) | instskip(NEXT) | instid1(VALU_DEP_1)
	v_add_nc_u32_e32 v6, 1, v4
	v_add_min_u32_e64 v4, v5, -1, v6
	v_dual_cndmask_b32 v8, v6, v8, s26 :: v_dual_cndmask_b32 v9, v9, v6, s26
	s_delay_alu instid0(VALU_DEP_2)
	v_lshlrev_b32_e32 v4, 3, v4
	ds_load_b64 v[4:5], v4
	s_wait_dscnt 0x0
	v_dual_cndmask_b32 v31, v5, v12, s26 :: v_dual_cndmask_b32 v32, v4, v29, s26
	v_dual_cndmask_b32 v33, v13, v5, s26 :: v_dual_cndmask_b32 v34, v30, v4, s26
	v_cmpx_lt_u32_e64 v8, v26
	s_cbranch_execz .LBB383_662
; %bb.652:                              ;   in Loop: Header=BB383_594 Depth=1
	s_mov_b32 s0, 0
	s_mov_b32 s27, exec_lo
	v_cmpx_lt_u32_e64 v9, v25
	s_cbranch_execz .LBB383_661
; %bb.653:                              ;   in Loop: Header=BB383_594 Depth=1
	v_cmp_ne_u32_e32 vcc_lo, 1, v45
	s_cbranch_vccnz .LBB383_659
; %bb.654:                              ;   in Loop: Header=BB383_594 Depth=1
	v_mad_nc_u64_u32 v[4:5], s6, v32, s[18:19]
	v_mad_nc_u64_u32 v[6:7], s6, v34, s[18:19]
	s_mov_b32 s29, 0
	s_mov_b64 s[14:15], s[16:17]
                                        ; implicit-def: $sgpr30
                                        ; implicit-def: $sgpr31
                                        ; implicit-def: $sgpr33
                                        ; implicit-def: $sgpr34
	s_delay_alu instid0(VALU_DEP_2) | instskip(NEXT) | instid1(VALU_DEP_2)
	v_mad_u32 v5, s7, v32, v5
	v_mad_u32 v7, s7, v34, v7
	s_delay_alu instid0(VALU_DEP_2) | instskip(NEXT) | instid1(VALU_DEP_2)
	v_mad_u32 v5, s6, v31, v5
	v_mad_u32 v7, s6, v33, v7
	s_branch .LBB383_656
.LBB383_655:                            ;   in Loop: Header=BB383_656 Depth=2
	s_or_b32 exec_lo, exec_lo, s35
	s_delay_alu instid0(SALU_CYCLE_1) | instskip(NEXT) | instid1(SALU_CYCLE_1)
	s_and_b32 s35, exec_lo, s31
	s_or_b32 s29, s35, s29
	s_and_not1_b32 s34, s34, exec_lo
	s_and_b32 s0, s0, exec_lo
	s_and_not1_b32 s30, s30, exec_lo
	s_and_b32 s35, s33, exec_lo
	s_or_b32 s34, s34, s0
	s_or_b32 s30, s30, s35
	s_and_not1_b32 exec_lo, exec_lo, s29
	s_cbranch_execz .LBB383_658
.LBB383_656:                            ;   Parent Loop BB383_594 Depth=1
                                        ; =>  This Inner Loop Header: Depth=2
	global_load_b32 v10, v[4:5], off
	global_load_b32 v11, v[6:7], off
	s_and_not1_b32 s33, s33, exec_lo
	s_or_b32 s31, s31, exec_lo
	s_wait_loadcnt 0x0
	v_cmp_le_i32_e32 vcc_lo, v10, v11
	v_cmp_lt_i32_e64 s0, v10, v11
	s_and_b32 s35, vcc_lo, s34
	s_delay_alu instid0(SALU_CYCLE_1) | instskip(NEXT) | instid1(SALU_CYCLE_1)
	s_or_b32 s0, s0, s35
	s_and_b32 s35, s0, exec_lo
	s_delay_alu instid0(SALU_CYCLE_1)
	s_or_b32 s33, s33, s35
	s_mov_b32 s35, exec_lo
	v_cmpx_eq_u32_e64 v10, v11
	s_cbranch_execz .LBB383_655
; %bb.657:                              ;   in Loop: Header=BB383_656 Depth=2
	s_add_nc_u64 s[14:15], s[14:15], -1
	v_add_nc_u64_e32 v[4:5], 4, v[4:5]
	s_cmp_eq_u64 s[14:15], 0
	v_add_nc_u64_e32 v[6:7], 4, v[6:7]
	s_cselect_b32 s34, -1, 0
	s_and_not1_b32 s31, s31, exec_lo
	s_and_b32 s34, s34, exec_lo
	s_and_not1_b32 s33, s33, exec_lo
	s_or_b32 s31, s31, s34
                                        ; implicit-def: $sgpr34
	s_branch .LBB383_655
.LBB383_658:                            ;   in Loop: Header=BB383_594 Depth=1
	s_or_b32 exec_lo, exec_lo, s29
	s_xor_b32 s0, s30, -1
	s_branch .LBB383_660
.LBB383_659:                            ;   in Loop: Header=BB383_594 Depth=1
	s_mov_b32 s0, -1
.LBB383_660:                            ;   in Loop: Header=BB383_594 Depth=1
	s_delay_alu instid0(SALU_CYCLE_1)
	s_and_b32 s0, s0, exec_lo
.LBB383_661:                            ;   in Loop: Header=BB383_594 Depth=1
	s_or_b32 exec_lo, exec_lo, s27
	s_delay_alu instid0(SALU_CYCLE_1)
	s_or_not1_b32 s27, s0, exec_lo
.LBB383_662:                            ;   in Loop: Header=BB383_594 Depth=1
	s_or_b32 exec_lo, exec_lo, s28
	v_cndmask_b32_e64 v4, v8, v9, s27
	v_cndmask_b32_e64 v5, v26, v25, s27
	s_mov_b32 s28, -1
	s_mov_b32 s29, -1
	s_mov_b32 s30, exec_lo
	v_add_nc_u32_e32 v6, 1, v4
	s_delay_alu instid0(VALU_DEP_1) | instskip(SKIP_1) | instid1(VALU_DEP_2)
	v_add_min_u32_e64 v4, v5, -1, v6
	v_dual_cndmask_b32 v8, v6, v8, s27 :: v_dual_cndmask_b32 v9, v9, v6, s27
	v_lshlrev_b32_e32 v4, 3, v4
	ds_load_b64 v[4:5], v4
	s_wait_dscnt 0x0
	v_dual_cndmask_b32 v35, v5, v31, s27 :: v_dual_cndmask_b32 v46, v4, v32, s27
	v_dual_cndmask_b32 v47, v33, v5, s27 :: v_dual_cndmask_b32 v48, v34, v4, s27
	v_cmpx_lt_u32_e64 v8, v26
	s_cbranch_execz .LBB383_673
; %bb.663:                              ;   in Loop: Header=BB383_594 Depth=1
	s_mov_b32 s0, 0
	s_mov_b32 s29, exec_lo
	v_cmpx_lt_u32_e64 v9, v25
	s_cbranch_execz .LBB383_672
; %bb.664:                              ;   in Loop: Header=BB383_594 Depth=1
	v_cmp_ne_u32_e32 vcc_lo, 1, v45
	s_cbranch_vccnz .LBB383_670
; %bb.665:                              ;   in Loop: Header=BB383_594 Depth=1
	v_mad_nc_u64_u32 v[4:5], s6, v46, s[18:19]
	v_mad_nc_u64_u32 v[6:7], s6, v48, s[18:19]
	s_mov_b32 s31, 0
	s_mov_b64 s[14:15], s[16:17]
                                        ; implicit-def: $sgpr33
                                        ; implicit-def: $sgpr34
                                        ; implicit-def: $sgpr35
                                        ; implicit-def: $sgpr36
	s_delay_alu instid0(VALU_DEP_2) | instskip(NEXT) | instid1(VALU_DEP_2)
	v_mad_u32 v5, s7, v46, v5
	v_mad_u32 v7, s7, v48, v7
	s_delay_alu instid0(VALU_DEP_2) | instskip(NEXT) | instid1(VALU_DEP_2)
	v_mad_u32 v5, s6, v35, v5
	v_mad_u32 v7, s6, v47, v7
	s_branch .LBB383_667
.LBB383_666:                            ;   in Loop: Header=BB383_667 Depth=2
	s_or_b32 exec_lo, exec_lo, s37
	s_delay_alu instid0(SALU_CYCLE_1) | instskip(NEXT) | instid1(SALU_CYCLE_1)
	s_and_b32 s37, exec_lo, s34
	s_or_b32 s31, s37, s31
	s_and_not1_b32 s36, s36, exec_lo
	s_and_b32 s0, s0, exec_lo
	s_and_not1_b32 s33, s33, exec_lo
	s_and_b32 s37, s35, exec_lo
	s_or_b32 s36, s36, s0
	s_or_b32 s33, s33, s37
	s_and_not1_b32 exec_lo, exec_lo, s31
	s_cbranch_execz .LBB383_669
.LBB383_667:                            ;   Parent Loop BB383_594 Depth=1
                                        ; =>  This Inner Loop Header: Depth=2
	global_load_b32 v10, v[4:5], off
	global_load_b32 v11, v[6:7], off
	s_and_not1_b32 s35, s35, exec_lo
	s_or_b32 s34, s34, exec_lo
	s_wait_loadcnt 0x0
	v_cmp_le_i32_e32 vcc_lo, v10, v11
	v_cmp_lt_i32_e64 s0, v10, v11
	s_and_b32 s37, vcc_lo, s36
	s_delay_alu instid0(SALU_CYCLE_1) | instskip(NEXT) | instid1(SALU_CYCLE_1)
	s_or_b32 s0, s0, s37
	s_and_b32 s37, s0, exec_lo
	s_delay_alu instid0(SALU_CYCLE_1)
	s_or_b32 s35, s35, s37
	s_mov_b32 s37, exec_lo
	v_cmpx_eq_u32_e64 v10, v11
	s_cbranch_execz .LBB383_666
; %bb.668:                              ;   in Loop: Header=BB383_667 Depth=2
	s_add_nc_u64 s[14:15], s[14:15], -1
	v_add_nc_u64_e32 v[4:5], 4, v[4:5]
	s_cmp_eq_u64 s[14:15], 0
	v_add_nc_u64_e32 v[6:7], 4, v[6:7]
	s_cselect_b32 s36, -1, 0
	s_and_not1_b32 s34, s34, exec_lo
	s_and_b32 s36, s36, exec_lo
	s_and_not1_b32 s35, s35, exec_lo
	s_or_b32 s34, s34, s36
                                        ; implicit-def: $sgpr36
	s_branch .LBB383_666
.LBB383_669:                            ;   in Loop: Header=BB383_594 Depth=1
	s_or_b32 exec_lo, exec_lo, s31
	s_xor_b32 s0, s33, -1
	s_branch .LBB383_671
.LBB383_670:                            ;   in Loop: Header=BB383_594 Depth=1
	s_mov_b32 s0, -1
.LBB383_671:                            ;   in Loop: Header=BB383_594 Depth=1
	s_delay_alu instid0(SALU_CYCLE_1)
	s_and_b32 s0, s0, exec_lo
.LBB383_672:                            ;   in Loop: Header=BB383_594 Depth=1
	s_or_b32 exec_lo, exec_lo, s29
	s_delay_alu instid0(SALU_CYCLE_1)
	s_or_not1_b32 s29, s0, exec_lo
.LBB383_673:                            ;   in Loop: Header=BB383_594 Depth=1
	s_or_b32 exec_lo, exec_lo, s30
	v_cndmask_b32_e64 v4, v8, v9, s29
	v_cndmask_b32_e64 v5, v26, v25, s29
	s_mov_b32 s30, exec_lo
	s_delay_alu instid0(VALU_DEP_2) | instskip(NEXT) | instid1(VALU_DEP_1)
	v_add_nc_u32_e32 v6, 1, v4
	v_add_min_u32_e64 v4, v5, -1, v6
	v_dual_cndmask_b32 v10, v6, v8, s29 :: v_dual_cndmask_b32 v8, v9, v6, s29
	s_delay_alu instid0(VALU_DEP_2)
	v_lshlrev_b32_e32 v4, 3, v4
	ds_load_b64 v[4:5], v4
	s_wait_dscnt 0x0
	v_dual_cndmask_b32 v49, v5, v35, s29 :: v_dual_cndmask_b32 v50, v4, v46, s29
	v_dual_cndmask_b32 v51, v47, v5, s29 :: v_dual_cndmask_b32 v52, v48, v4, s29
	v_cmpx_lt_u32_e64 v10, v26
	s_cbranch_execz .LBB383_684
; %bb.674:                              ;   in Loop: Header=BB383_594 Depth=1
	s_mov_b32 s0, 0
	s_mov_b32 s28, exec_lo
	v_cmpx_lt_u32_e64 v8, v25
	s_cbranch_execz .LBB383_683
; %bb.675:                              ;   in Loop: Header=BB383_594 Depth=1
	v_cmp_ne_u32_e32 vcc_lo, 1, v45
	s_cbranch_vccnz .LBB383_681
; %bb.676:                              ;   in Loop: Header=BB383_594 Depth=1
	v_mad_nc_u64_u32 v[4:5], s6, v50, s[18:19]
	v_mad_nc_u64_u32 v[6:7], s6, v52, s[18:19]
	s_mov_b32 s31, 0
	s_mov_b64 s[14:15], s[16:17]
                                        ; implicit-def: $sgpr33
                                        ; implicit-def: $sgpr34
                                        ; implicit-def: $sgpr35
                                        ; implicit-def: $sgpr36
	s_delay_alu instid0(VALU_DEP_2) | instskip(NEXT) | instid1(VALU_DEP_2)
	v_mad_u32 v5, s7, v50, v5
	v_mad_u32 v7, s7, v52, v7
	s_delay_alu instid0(VALU_DEP_2) | instskip(NEXT) | instid1(VALU_DEP_2)
	v_mad_u32 v5, s6, v49, v5
	v_mad_u32 v7, s6, v51, v7
	s_branch .LBB383_678
.LBB383_677:                            ;   in Loop: Header=BB383_678 Depth=2
	s_or_b32 exec_lo, exec_lo, s37
	s_delay_alu instid0(SALU_CYCLE_1) | instskip(NEXT) | instid1(SALU_CYCLE_1)
	s_and_b32 s37, exec_lo, s34
	s_or_b32 s31, s37, s31
	s_and_not1_b32 s36, s36, exec_lo
	s_and_b32 s0, s0, exec_lo
	s_and_not1_b32 s33, s33, exec_lo
	s_and_b32 s37, s35, exec_lo
	s_or_b32 s36, s36, s0
	s_or_b32 s33, s33, s37
	s_and_not1_b32 exec_lo, exec_lo, s31
	s_cbranch_execz .LBB383_680
.LBB383_678:                            ;   Parent Loop BB383_594 Depth=1
                                        ; =>  This Inner Loop Header: Depth=2
	global_load_b32 v9, v[4:5], off
	global_load_b32 v11, v[6:7], off
	s_and_not1_b32 s35, s35, exec_lo
	s_or_b32 s34, s34, exec_lo
	s_wait_loadcnt 0x0
	v_cmp_le_i32_e32 vcc_lo, v9, v11
	v_cmp_lt_i32_e64 s0, v9, v11
	s_and_b32 s37, vcc_lo, s36
	s_delay_alu instid0(SALU_CYCLE_1) | instskip(NEXT) | instid1(SALU_CYCLE_1)
	s_or_b32 s0, s0, s37
	s_and_b32 s37, s0, exec_lo
	s_delay_alu instid0(SALU_CYCLE_1)
	s_or_b32 s35, s35, s37
	s_mov_b32 s37, exec_lo
	v_cmpx_eq_u32_e64 v9, v11
	s_cbranch_execz .LBB383_677
; %bb.679:                              ;   in Loop: Header=BB383_678 Depth=2
	s_add_nc_u64 s[14:15], s[14:15], -1
	v_add_nc_u64_e32 v[4:5], 4, v[4:5]
	s_cmp_eq_u64 s[14:15], 0
	v_add_nc_u64_e32 v[6:7], 4, v[6:7]
	s_cselect_b32 s36, -1, 0
	s_and_not1_b32 s34, s34, exec_lo
	s_and_b32 s36, s36, exec_lo
	s_and_not1_b32 s35, s35, exec_lo
	s_or_b32 s34, s34, s36
                                        ; implicit-def: $sgpr36
	s_branch .LBB383_677
.LBB383_680:                            ;   in Loop: Header=BB383_594 Depth=1
	s_or_b32 exec_lo, exec_lo, s31
	s_xor_b32 s0, s33, -1
	s_branch .LBB383_682
.LBB383_681:                            ;   in Loop: Header=BB383_594 Depth=1
	s_mov_b32 s0, -1
.LBB383_682:                            ;   in Loop: Header=BB383_594 Depth=1
	s_delay_alu instid0(SALU_CYCLE_1)
	s_and_b32 s0, s0, exec_lo
.LBB383_683:                            ;   in Loop: Header=BB383_594 Depth=1
	s_or_b32 exec_lo, exec_lo, s28
	s_delay_alu instid0(SALU_CYCLE_1)
	s_or_not1_b32 s28, s0, exec_lo
.LBB383_684:                            ;   in Loop: Header=BB383_594 Depth=1
	s_or_b32 exec_lo, exec_lo, s30
	v_cndmask_b32_e64 v4, v10, v8, s28
	v_cndmask_b32_e64 v5, v26, v25, s28
	s_mov_b32 s30, exec_lo
	s_delay_alu instid0(VALU_DEP_2) | instskip(NEXT) | instid1(VALU_DEP_1)
	v_add_nc_u32_e32 v9, 1, v4
	v_add_min_u32_e64 v4, v5, -1, v9
	s_delay_alu instid0(VALU_DEP_1)
	v_dual_cndmask_b32 v10, v9, v10, s28 :: v_dual_lshlrev_b32 v4, 3, v4
	ds_load_b64 v[6:7], v4
	s_wait_dscnt 0x0
	v_dual_cndmask_b32 v5, v51, v7, s28 :: v_dual_cndmask_b32 v4, v52, v6, s28
	v_cmpx_lt_u32_e64 v10, v26
	s_cbranch_execz .LBB383_694
; %bb.685:                              ;   in Loop: Header=BB383_594 Depth=1
	v_dual_cndmask_b32 v8, v8, v9, s28 :: v_dual_cndmask_b32 v6, v6, v50, s28
	v_cndmask_b32_e64 v7, v7, v49, s28
	s_mov_b32 s31, exec_lo
	s_delay_alu instid0(VALU_DEP_2)
	v_cmpx_lt_u32_e64 v8, v25
	s_cbranch_execz .LBB383_693
; %bb.686:                              ;   in Loop: Header=BB383_594 Depth=1
	v_cmp_ne_u32_e32 vcc_lo, 1, v45
	s_cbranch_vccnz .LBB383_692
; %bb.687:                              ;   in Loop: Header=BB383_594 Depth=1
	v_mad_nc_u64_u32 v[8:9], s6, v6, s[18:19]
	v_mad_nc_u64_u32 v[10:11], s6, v4, s[18:19]
	s_mov_b32 s33, 0
	s_mov_b64 s[14:15], s[16:17]
                                        ; implicit-def: $sgpr34
                                        ; implicit-def: $sgpr35
                                        ; implicit-def: $sgpr36
                                        ; implicit-def: $sgpr37
	s_delay_alu instid0(VALU_DEP_2) | instskip(NEXT) | instid1(VALU_DEP_2)
	v_mad_u32 v9, s7, v6, v9
	v_mad_u32 v11, s7, v4, v11
	s_delay_alu instid0(VALU_DEP_2) | instskip(NEXT) | instid1(VALU_DEP_2)
	v_mad_u32 v9, s6, v7, v9
	v_mad_u32 v11, s6, v5, v11
	s_branch .LBB383_689
.LBB383_688:                            ;   in Loop: Header=BB383_689 Depth=2
	s_or_b32 exec_lo, exec_lo, s38
	s_delay_alu instid0(SALU_CYCLE_1) | instskip(NEXT) | instid1(SALU_CYCLE_1)
	s_and_b32 s38, exec_lo, s35
	s_or_b32 s33, s38, s33
	s_and_not1_b32 s37, s37, exec_lo
	s_and_b32 s0, s0, exec_lo
	s_and_not1_b32 s34, s34, exec_lo
	s_and_b32 s38, s36, exec_lo
	s_or_b32 s37, s37, s0
	s_or_b32 s34, s34, s38
	s_and_not1_b32 exec_lo, exec_lo, s33
	s_cbranch_execz .LBB383_691
.LBB383_689:                            ;   Parent Loop BB383_594 Depth=1
                                        ; =>  This Inner Loop Header: Depth=2
	global_load_b32 v25, v[8:9], off
	global_load_b32 v26, v[10:11], off
	s_and_not1_b32 s36, s36, exec_lo
	s_or_b32 s35, s35, exec_lo
	s_wait_loadcnt 0x0
	v_cmp_le_i32_e32 vcc_lo, v25, v26
	v_cmp_lt_i32_e64 s0, v25, v26
	s_and_b32 s38, vcc_lo, s37
	s_delay_alu instid0(SALU_CYCLE_1) | instskip(NEXT) | instid1(SALU_CYCLE_1)
	s_or_b32 s0, s0, s38
	s_and_b32 s38, s0, exec_lo
	s_delay_alu instid0(SALU_CYCLE_1)
	s_or_b32 s36, s36, s38
	s_mov_b32 s38, exec_lo
	v_cmpx_eq_u32_e64 v25, v26
	s_cbranch_execz .LBB383_688
; %bb.690:                              ;   in Loop: Header=BB383_689 Depth=2
	s_add_nc_u64 s[14:15], s[14:15], -1
	v_add_nc_u64_e32 v[8:9], 4, v[8:9]
	s_cmp_eq_u64 s[14:15], 0
	v_add_nc_u64_e32 v[10:11], 4, v[10:11]
	s_cselect_b32 s37, -1, 0
	s_and_not1_b32 s35, s35, exec_lo
	s_and_b32 s37, s37, exec_lo
	s_and_not1_b32 s36, s36, exec_lo
	s_or_b32 s35, s35, s37
                                        ; implicit-def: $sgpr37
	s_branch .LBB383_688
.LBB383_691:                            ;   in Loop: Header=BB383_594 Depth=1
	s_or_b32 exec_lo, exec_lo, s33
	v_dual_cndmask_b32 v5, v5, v7, s34 :: v_dual_cndmask_b32 v4, v4, v6, s34
.LBB383_692:                            ;   in Loop: Header=BB383_594 Depth=1
	s_delay_alu instid0(VALU_DEP_1)
	v_mov_b64_e32 v[6:7], v[4:5]
.LBB383_693:                            ;   in Loop: Header=BB383_594 Depth=1
	s_or_b32 exec_lo, exec_lo, s31
	s_delay_alu instid0(VALU_DEP_1)
	v_mov_b64_e32 v[4:5], v[6:7]
.LBB383_694:                            ;   in Loop: Header=BB383_594 Depth=1
	s_or_b32 exec_lo, exec_lo, s30
	v_dual_cndmask_b32 v9, v35, v47, s29 :: v_dual_cndmask_b32 v8, v46, v48, s29
	v_dual_cndmask_b32 v7, v31, v33, s27 :: v_dual_cndmask_b32 v6, v32, v34, s27
	;; [unrolled: 1-line block ×7, first 2 shown]
.LBB383_695:                            ;   in Loop: Header=BB383_594 Depth=1
	s_or_b32 exec_lo, exec_lo, s22
	s_cmp_lt_u32 s1, 0x400
	s_barrier_signal -1
	s_barrier_wait -1
	s_cbranch_scc0 .LBB383_697
; %bb.696:                              ;   in Loop: Header=BB383_594 Depth=1
	s_mov_b32 s1, s5
	s_branch .LBB383_594
.LBB383_697:
	s_barrier_signal -1
	s_barrier_wait -1
	ds_store_2addr_b64 v44, v[14:15], v[16:17] offset1:1
	ds_store_2addr_b64 v44, v[10:11], v[12:13] offset0:2 offset1:3
	ds_store_2addr_b64 v44, v[6:7], v[8:9] offset0:4 offset1:5
	;; [unrolled: 1-line block ×3, first 2 shown]
	s_wait_dscnt 0x0
	s_barrier_signal -1
	s_barrier_wait -1
	ds_load_b64 v[4:5], v36
	ds_load_b64 v[6:7], v37 offset:2048
	ds_load_b64 v[8:9], v38 offset:4096
	;; [unrolled: 1-line block ×7, first 2 shown]
	s_mov_b32 s24, -1
	s_wait_dscnt 0x7
	global_store_b64 v18, v[4:5], s[20:21] scale_offset
	s_wait_dscnt 0x6
	global_store_b64 v18, v[6:7], s[20:21] offset:2048 scale_offset
	s_wait_dscnt 0x5
	global_store_b64 v18, v[8:9], s[20:21] offset:4096 scale_offset
	;; [unrolled: 2-line block ×6, first 2 shown]
	s_branch .LBB383_1484
.LBB383_698:
	s_lshl_b64 s[0:1], s[2:3], 11
                                        ; implicit-def: $vgpr2_vgpr3
	s_delay_alu instid0(SALU_CYCLE_1) | instskip(NEXT) | instid1(SALU_CYCLE_1)
	s_sub_co_i32 s25, s4, s0
	v_cmp_gt_u32_e64 s0, s25, v18
	s_wait_xcnt 0x0
	s_and_saveexec_b32 s1, s0
	s_cbranch_execz .LBB383_700
; %bb.699:
	s_wait_dscnt 0x0
	global_load_b64 v[2:3], v18, s[12:13] scale_offset
.LBB383_700:
	s_wait_xcnt 0x0
	s_or_b32 exec_lo, exec_lo, s1
	v_add_nc_u32_e32 v1, 0x100, v18
                                        ; implicit-def: $vgpr4_vgpr5
	s_delay_alu instid0(VALU_DEP_1)
	v_cmp_gt_u32_e64 s1, s25, v1
	s_and_saveexec_b32 s2, s1
	s_cbranch_execz .LBB383_702
; %bb.701:
	global_load_b64 v[4:5], v18, s[12:13] offset:2048 scale_offset
.LBB383_702:
	s_wait_xcnt 0x0
	s_or_b32 exec_lo, exec_lo, s2
	v_add_nc_u32_e32 v19, 0x200, v18
                                        ; implicit-def: $vgpr6_vgpr7
	s_delay_alu instid0(VALU_DEP_1)
	v_cmp_gt_u32_e64 s2, s25, v19
	s_and_saveexec_b32 s3, s2
	s_cbranch_execz .LBB383_704
; %bb.703:
	global_load_b64 v[6:7], v18, s[12:13] offset:4096 scale_offset
.LBB383_704:
	s_wait_xcnt 0x0
	s_or_b32 exec_lo, exec_lo, s3
	v_add_nc_u32_e32 v20, 0x300, v18
                                        ; implicit-def: $vgpr10_vgpr11
	s_delay_alu instid0(VALU_DEP_1)
	v_cmp_gt_u32_e64 s3, s25, v20
	s_and_saveexec_b32 s4, s3
	s_cbranch_execz .LBB383_706
; %bb.705:
	global_load_b64 v[10:11], v18, s[12:13] offset:6144 scale_offset
.LBB383_706:
	s_wait_xcnt 0x0
	s_or_b32 exec_lo, exec_lo, s4
	v_or_b32_e32 v22, 0x400, v18
                                        ; implicit-def: $vgpr8_vgpr9
	s_delay_alu instid0(VALU_DEP_1)
	v_cmp_gt_u32_e64 s4, s25, v22
	s_and_saveexec_b32 s5, s4
	s_cbranch_execz .LBB383_708
; %bb.707:
	global_load_b64 v[8:9], v18, s[12:13] offset:8192 scale_offset
.LBB383_708:
	s_wait_xcnt 0x0
	s_or_b32 exec_lo, exec_lo, s5
	v_add_nc_u32_e32 v23, 0x500, v18
                                        ; implicit-def: $vgpr12_vgpr13
	s_delay_alu instid0(VALU_DEP_1)
	v_cmp_gt_u32_e64 s5, s25, v23
	s_and_saveexec_b32 s6, s5
	s_cbranch_execz .LBB383_710
; %bb.709:
	global_load_b64 v[12:13], v18, s[12:13] offset:10240 scale_offset
.LBB383_710:
	s_wait_xcnt 0x0
	s_or_b32 exec_lo, exec_lo, s6
	v_add_nc_u32_e32 v24, 0x600, v18
                                        ; implicit-def: $vgpr14_vgpr15
	s_delay_alu instid0(VALU_DEP_1)
	v_cmp_gt_u32_e64 s6, s25, v24
	s_and_saveexec_b32 s7, s6
	s_cbranch_execz .LBB383_712
; %bb.711:
	global_load_b64 v[14:15], v18, s[12:13] offset:12288 scale_offset
.LBB383_712:
	s_wait_xcnt 0x0
	s_or_b32 exec_lo, exec_lo, s7
	v_add_nc_u32_e32 v25, 0x700, v18
                                        ; implicit-def: $vgpr16_vgpr17
	s_delay_alu instid0(VALU_DEP_1)
	v_cmp_gt_u32_e64 s24, s25, v25
	s_and_saveexec_b32 s7, s24
	s_cbranch_execz .LBB383_714
; %bb.713:
	global_load_b64 v[16:17], v18, s[12:13] offset:14336 scale_offset
.LBB383_714:
	s_wait_xcnt 0x0
	s_or_b32 exec_lo, exec_lo, s7
	v_dual_lshrrev_b32 v21, 2, v18 :: v_dual_lshrrev_b32 v1, 2, v1
	v_dual_lshrrev_b32 v19, 2, v19 :: v_dual_lshrrev_b32 v26, 2, v20
	v_lshlrev_b32_e32 v20, 3, v18
	s_delay_alu instid0(VALU_DEP_3) | instskip(NEXT) | instid1(VALU_DEP_4)
	v_and_b32_e32 v21, 0xf8, v21
	v_and_b32_e32 v1, 0x1f8, v1
	s_delay_alu instid0(VALU_DEP_4)
	v_and_b32_e32 v27, 0x1f8, v19
	v_and_b32_e32 v26, 0x1f8, v26
	s_cmp_lt_u32 s9, s8
	v_add_nc_u32_e32 v19, v21, v20
	v_dual_add_nc_u32 v21, v1, v20 :: v_dual_lshrrev_b32 v1, 2, v22
	v_dual_lshrrev_b32 v22, 2, v23 :: v_dual_add_nc_u32 v36, v27, v20
	v_add_nc_u32_e32 v37, v26, v20
	v_dual_lshrrev_b32 v23, 2, v24 :: v_dual_lshrrev_b32 v24, 2, v25
	s_wait_loadcnt_dscnt 0x0
	ds_store_b64 v19, v[2:3]
	ds_store_b64 v21, v[4:5] offset:2048
	ds_store_b64 v36, v[6:7] offset:4096
	;; [unrolled: 1-line block ×3, first 2 shown]
	v_and_b32_e32 v1, 0x1f8, v1
	v_lshlrev_b32_e32 v5, 1, v18
	v_and_b32_e32 v2, 0x3f8, v22
	v_and_b32_e32 v3, 0x3f8, v23
	;; [unrolled: 1-line block ×3, first 2 shown]
	v_add_nc_u32_e32 v38, v1, v20
	v_and_b32_e32 v1, 0x7f8, v5
	s_delay_alu instid0(VALU_DEP_4) | instskip(NEXT) | instid1(VALU_DEP_4)
	v_dual_add_nc_u32 v39, v2, v20 :: v_dual_add_nc_u32 v40, v3, v20
	v_add_nc_u32_e32 v41, v4, v20
	ds_store_b64 v38, v[8:9] offset:8192
	ds_store_b64 v39, v[12:13] offset:10240
	;; [unrolled: 1-line block ×4, first 2 shown]
	v_lshl_add_u32 v42, v18, 6, v1
	s_wait_storecnt_dscnt 0x0
	s_barrier_signal -1
	s_barrier_wait -1
	ds_load_2addr_b64 v[14:17], v42 offset1:1
	ds_load_2addr_b64 v[10:13], v42 offset0:2 offset1:3
	ds_load_2addr_b64 v[6:9], v42 offset0:4 offset1:5
	;; [unrolled: 1-line block ×3, first 2 shown]
	s_wait_dscnt 0x0
	s_barrier_signal -1
	s_barrier_wait -1
	s_load_u16 s7, s[10:11], 0xe
	s_cselect_b32 s8, 12, 18
	s_mov_b32 s9, 0
	v_bfe_u32 v1, v0, 10, 10
	s_add_nc_u64 s[8:9], s[10:11], s[8:9]
	v_bfe_u32 v0, v0, 20, 10
	s_load_u16 s8, s[8:9], 0x0
	v_cmp_gt_i64_e64 s26, s[16:17], 0
	s_wait_kmcnt 0x0
	s_delay_alu instid0(VALU_DEP_2) | instskip(NEXT) | instid1(VALU_DEP_1)
	v_mad_u32_u24 v0, v0, s7, v1
	v_mul_lo_u32 v0, v0, s8
	s_delay_alu instid0(VALU_DEP_1) | instskip(NEXT) | instid1(VALU_DEP_1)
	v_add_lshl_u32 v24, v0, v18, 3
	v_sub_nc_u32_e64 v25, s25, v24 clamp
	s_delay_alu instid0(VALU_DEP_1)
	v_cmp_lt_u32_e64 s7, 1, v25
	s_and_saveexec_b32 s12, s7
	s_cbranch_execz .LBB383_723
; %bb.715:
	s_and_not1_b32 vcc_lo, exec_lo, s26
	s_cbranch_vccnz .LBB383_723
; %bb.716:
	v_mul_u64_e32 v[0:1], s[16:17], v[16:17]
	v_mul_u64_e32 v[22:23], s[16:17], v[14:15]
	s_mov_b32 s14, 0
	s_mov_b64 s[10:11], s[16:17]
                                        ; implicit-def: $sgpr13
                                        ; implicit-def: $sgpr15
                                        ; implicit-def: $sgpr23
                                        ; implicit-def: $sgpr22
                                        ; implicit-def: $sgpr27
	s_delay_alu instid0(VALU_DEP_2) | instskip(NEXT) | instid1(VALU_DEP_2)
	v_lshl_add_u64 v[0:1], v[0:1], 2, s[18:19]
	v_lshl_add_u64 v[22:23], v[22:23], 2, s[18:19]
	s_branch .LBB383_718
.LBB383_717:                            ;   in Loop: Header=BB383_718 Depth=1
	s_or_b32 exec_lo, exec_lo, s28
	s_and_b32 s8, s8, s27
	s_delay_alu instid0(SALU_CYCLE_1) | instskip(SKIP_1) | instid1(SALU_CYCLE_1)
	s_or_b32 s8, vcc_lo, s8
	s_and_b32 s9, exec_lo, s23
	s_or_b32 s14, s9, s14
	s_and_not1_b32 s9, s27, exec_lo
	s_and_b32 s8, s8, exec_lo
	s_and_not1_b32 s15, s15, exec_lo
	s_and_b32 s28, s22, exec_lo
	s_or_b32 s27, s9, s8
	s_and_not1_b32 s9, s13, exec_lo
	s_or_b32 s15, s15, s28
	s_or_b32 s13, s9, s8
	s_and_not1_b32 exec_lo, exec_lo, s14
	s_cbranch_execz .LBB383_720
.LBB383_718:                            ; =>This Inner Loop Header: Depth=1
	global_load_b32 v26, v[0:1], off
	global_load_b32 v27, v[22:23], off
	s_or_b32 s22, s22, exec_lo
	s_or_b32 s23, s23, exec_lo
	s_mov_b32 s28, exec_lo
	s_wait_loadcnt 0x0
	v_cmp_le_i32_e64 s8, v26, v27
	v_cmp_lt_i32_e32 vcc_lo, v26, v27
	v_cmpx_eq_u32_e64 v26, v27
	s_cbranch_execz .LBB383_717
; %bb.719:                              ;   in Loop: Header=BB383_718 Depth=1
	s_add_nc_u64 s[10:11], s[10:11], -1
	v_add_nc_u64_e32 v[0:1], 4, v[0:1]
	s_cmp_eq_u64 s[10:11], 0
	v_add_nc_u64_e32 v[22:23], 4, v[22:23]
	s_cselect_b32 s9, -1, 0
	s_and_not1_b32 s23, s23, exec_lo
	s_and_b32 s9, s9, exec_lo
	s_and_not1_b32 s22, s22, exec_lo
	s_or_b32 s23, s23, s9
	s_branch .LBB383_717
.LBB383_720:
	s_or_b32 exec_lo, exec_lo, s14
	s_and_saveexec_b32 s8, s15
	s_delay_alu instid0(SALU_CYCLE_1)
	s_xor_b32 s8, exec_lo, s8
; %bb.721:
	v_dual_cndmask_b32 v1, v17, v15, s13 :: v_dual_cndmask_b32 v0, v16, v14, s13
	v_dual_cndmask_b32 v15, v15, v17, s13 :: v_dual_cndmask_b32 v14, v14, v16, s13
	s_delay_alu instid0(VALU_DEP_2)
	v_mov_b64_e32 v[16:17], v[0:1]
; %bb.722:
	s_or_b32 exec_lo, exec_lo, s8
.LBB383_723:
	s_delay_alu instid0(SALU_CYCLE_1)
	s_or_b32 exec_lo, exec_lo, s12
	v_cmp_lt_u32_e64 s8, 3, v25
	s_and_saveexec_b32 s11, s8
	s_cbranch_execz .LBB383_732
; %bb.724:
	s_and_not1_b32 vcc_lo, exec_lo, s26
	s_cbranch_vccnz .LBB383_732
; %bb.725:
	v_mul_u64_e32 v[0:1], s[16:17], v[12:13]
	v_mul_u64_e32 v[22:23], s[16:17], v[10:11]
	s_mov_b32 s15, 0
	s_mov_b64 s[12:13], s[16:17]
                                        ; implicit-def: $sgpr14
                                        ; implicit-def: $sgpr22
                                        ; implicit-def: $sgpr27
                                        ; implicit-def: $sgpr23
                                        ; implicit-def: $sgpr28
	s_delay_alu instid0(VALU_DEP_2) | instskip(NEXT) | instid1(VALU_DEP_2)
	v_lshl_add_u64 v[0:1], v[0:1], 2, s[18:19]
	v_lshl_add_u64 v[22:23], v[22:23], 2, s[18:19]
	s_branch .LBB383_727
.LBB383_726:                            ;   in Loop: Header=BB383_727 Depth=1
	s_or_b32 exec_lo, exec_lo, s29
	s_and_b32 s9, s9, s28
	s_delay_alu instid0(SALU_CYCLE_1) | instskip(SKIP_1) | instid1(SALU_CYCLE_1)
	s_or_b32 s9, vcc_lo, s9
	s_and_b32 s10, exec_lo, s27
	s_or_b32 s15, s10, s15
	s_and_not1_b32 s10, s28, exec_lo
	s_and_b32 s9, s9, exec_lo
	s_and_not1_b32 s22, s22, exec_lo
	s_and_b32 s29, s23, exec_lo
	s_or_b32 s28, s10, s9
	s_and_not1_b32 s10, s14, exec_lo
	s_or_b32 s22, s22, s29
	s_or_b32 s14, s10, s9
	s_and_not1_b32 exec_lo, exec_lo, s15
	s_cbranch_execz .LBB383_729
.LBB383_727:                            ; =>This Inner Loop Header: Depth=1
	global_load_b32 v26, v[0:1], off
	global_load_b32 v27, v[22:23], off
	s_or_b32 s23, s23, exec_lo
	s_or_b32 s27, s27, exec_lo
	s_mov_b32 s29, exec_lo
	s_wait_loadcnt 0x0
	v_cmp_le_i32_e64 s9, v26, v27
	v_cmp_lt_i32_e32 vcc_lo, v26, v27
	v_cmpx_eq_u32_e64 v26, v27
	s_cbranch_execz .LBB383_726
; %bb.728:                              ;   in Loop: Header=BB383_727 Depth=1
	s_add_nc_u64 s[12:13], s[12:13], -1
	v_add_nc_u64_e32 v[0:1], 4, v[0:1]
	s_cmp_eq_u64 s[12:13], 0
	v_add_nc_u64_e32 v[22:23], 4, v[22:23]
	s_cselect_b32 s10, -1, 0
	s_and_not1_b32 s27, s27, exec_lo
	s_and_b32 s10, s10, exec_lo
	s_and_not1_b32 s23, s23, exec_lo
	s_or_b32 s27, s27, s10
	s_branch .LBB383_726
.LBB383_729:
	s_or_b32 exec_lo, exec_lo, s15
	s_and_saveexec_b32 s9, s22
	s_delay_alu instid0(SALU_CYCLE_1)
	s_xor_b32 s9, exec_lo, s9
; %bb.730:
	v_dual_cndmask_b32 v1, v11, v13, s14 :: v_dual_cndmask_b32 v0, v10, v12, s14
	v_dual_cndmask_b32 v13, v13, v11, s14 :: v_dual_cndmask_b32 v12, v12, v10, s14
	s_delay_alu instid0(VALU_DEP_2)
	v_mov_b64_e32 v[10:11], v[0:1]
; %bb.731:
	s_or_b32 exec_lo, exec_lo, s9
.LBB383_732:
	s_delay_alu instid0(SALU_CYCLE_1)
	s_or_b32 exec_lo, exec_lo, s11
	v_cmp_lt_u32_e64 s9, 5, v25
	s_and_saveexec_b32 s14, s9
	s_cbranch_execz .LBB383_741
; %bb.733:
	s_and_not1_b32 vcc_lo, exec_lo, s26
	s_cbranch_vccnz .LBB383_741
; %bb.734:
	v_mul_u64_e32 v[0:1], s[16:17], v[8:9]
	v_mul_u64_e32 v[22:23], s[16:17], v[6:7]
	s_mov_b32 s22, 0
	s_mov_b64 s[12:13], s[16:17]
                                        ; implicit-def: $sgpr15
                                        ; implicit-def: $sgpr23
                                        ; implicit-def: $sgpr28
                                        ; implicit-def: $sgpr27
                                        ; implicit-def: $sgpr29
	s_delay_alu instid0(VALU_DEP_2) | instskip(NEXT) | instid1(VALU_DEP_2)
	v_lshl_add_u64 v[0:1], v[0:1], 2, s[18:19]
	v_lshl_add_u64 v[22:23], v[22:23], 2, s[18:19]
	s_branch .LBB383_736
.LBB383_735:                            ;   in Loop: Header=BB383_736 Depth=1
	s_or_b32 exec_lo, exec_lo, s30
	s_and_b32 s10, s10, s29
	s_delay_alu instid0(SALU_CYCLE_1) | instskip(SKIP_1) | instid1(SALU_CYCLE_1)
	s_or_b32 s10, vcc_lo, s10
	s_and_b32 s11, exec_lo, s28
	s_or_b32 s22, s11, s22
	s_and_not1_b32 s11, s29, exec_lo
	s_and_b32 s10, s10, exec_lo
	s_and_not1_b32 s23, s23, exec_lo
	s_and_b32 s30, s27, exec_lo
	s_or_b32 s29, s11, s10
	s_and_not1_b32 s11, s15, exec_lo
	s_or_b32 s23, s23, s30
	s_or_b32 s15, s11, s10
	s_and_not1_b32 exec_lo, exec_lo, s22
	s_cbranch_execz .LBB383_738
.LBB383_736:                            ; =>This Inner Loop Header: Depth=1
	global_load_b32 v26, v[0:1], off
	global_load_b32 v27, v[22:23], off
	s_or_b32 s27, s27, exec_lo
	s_or_b32 s28, s28, exec_lo
	s_mov_b32 s30, exec_lo
	s_wait_loadcnt 0x0
	v_cmp_le_i32_e64 s10, v26, v27
	v_cmp_lt_i32_e32 vcc_lo, v26, v27
	v_cmpx_eq_u32_e64 v26, v27
	s_cbranch_execz .LBB383_735
; %bb.737:                              ;   in Loop: Header=BB383_736 Depth=1
	s_add_nc_u64 s[12:13], s[12:13], -1
	v_add_nc_u64_e32 v[0:1], 4, v[0:1]
	s_cmp_eq_u64 s[12:13], 0
	v_add_nc_u64_e32 v[22:23], 4, v[22:23]
	s_cselect_b32 s11, -1, 0
	s_and_not1_b32 s28, s28, exec_lo
	s_and_b32 s11, s11, exec_lo
	s_and_not1_b32 s27, s27, exec_lo
	s_or_b32 s28, s28, s11
	s_branch .LBB383_735
.LBB383_738:
	s_or_b32 exec_lo, exec_lo, s22
	s_and_saveexec_b32 s10, s23
	s_delay_alu instid0(SALU_CYCLE_1)
	s_xor_b32 s10, exec_lo, s10
; %bb.739:
	v_dual_cndmask_b32 v1, v7, v9, s15 :: v_dual_cndmask_b32 v0, v6, v8, s15
	v_dual_cndmask_b32 v9, v9, v7, s15 :: v_dual_cndmask_b32 v8, v8, v6, s15
	s_delay_alu instid0(VALU_DEP_2)
	v_mov_b64_e32 v[6:7], v[0:1]
; %bb.740:
	s_or_b32 exec_lo, exec_lo, s10
.LBB383_741:
	s_delay_alu instid0(SALU_CYCLE_1)
	s_or_b32 exec_lo, exec_lo, s14
	v_cmp_lt_u32_e64 s10, 7, v25
	s_and_saveexec_b32 s13, s10
	s_cbranch_execz .LBB383_750
; %bb.742:
	s_and_not1_b32 vcc_lo, exec_lo, s26
	s_cbranch_vccnz .LBB383_750
; %bb.743:
	v_mul_u64_e32 v[0:1], s[16:17], v[4:5]
	v_mul_u64_e32 v[22:23], s[16:17], v[2:3]
	s_mov_b32 s23, 0
	s_mov_b64 s[14:15], s[16:17]
                                        ; implicit-def: $sgpr22
                                        ; implicit-def: $sgpr27
                                        ; implicit-def: $sgpr29
                                        ; implicit-def: $sgpr28
                                        ; implicit-def: $sgpr30
	s_delay_alu instid0(VALU_DEP_2) | instskip(NEXT) | instid1(VALU_DEP_2)
	v_lshl_add_u64 v[0:1], v[0:1], 2, s[18:19]
	v_lshl_add_u64 v[22:23], v[22:23], 2, s[18:19]
	s_branch .LBB383_745
.LBB383_744:                            ;   in Loop: Header=BB383_745 Depth=1
	s_or_b32 exec_lo, exec_lo, s31
	s_and_b32 s11, s11, s30
	s_delay_alu instid0(SALU_CYCLE_1) | instskip(SKIP_1) | instid1(SALU_CYCLE_1)
	s_or_b32 s11, vcc_lo, s11
	s_and_b32 s12, exec_lo, s29
	s_or_b32 s23, s12, s23
	s_and_not1_b32 s12, s30, exec_lo
	s_and_b32 s11, s11, exec_lo
	s_and_not1_b32 s27, s27, exec_lo
	s_and_b32 s31, s28, exec_lo
	s_or_b32 s30, s12, s11
	s_and_not1_b32 s12, s22, exec_lo
	s_or_b32 s27, s27, s31
	s_or_b32 s22, s12, s11
	s_and_not1_b32 exec_lo, exec_lo, s23
	s_cbranch_execz .LBB383_747
.LBB383_745:                            ; =>This Inner Loop Header: Depth=1
	global_load_b32 v26, v[0:1], off
	global_load_b32 v27, v[22:23], off
	s_or_b32 s28, s28, exec_lo
	s_or_b32 s29, s29, exec_lo
	s_mov_b32 s31, exec_lo
	s_wait_loadcnt 0x0
	v_cmp_le_i32_e64 s11, v26, v27
	v_cmp_lt_i32_e32 vcc_lo, v26, v27
	v_cmpx_eq_u32_e64 v26, v27
	s_cbranch_execz .LBB383_744
; %bb.746:                              ;   in Loop: Header=BB383_745 Depth=1
	s_add_nc_u64 s[14:15], s[14:15], -1
	v_add_nc_u64_e32 v[0:1], 4, v[0:1]
	s_cmp_eq_u64 s[14:15], 0
	v_add_nc_u64_e32 v[22:23], 4, v[22:23]
	s_cselect_b32 s12, -1, 0
	s_and_not1_b32 s29, s29, exec_lo
	s_and_b32 s12, s12, exec_lo
	s_and_not1_b32 s28, s28, exec_lo
	s_or_b32 s29, s29, s12
	s_branch .LBB383_744
.LBB383_747:
	s_or_b32 exec_lo, exec_lo, s23
	s_and_saveexec_b32 s11, s27
	s_delay_alu instid0(SALU_CYCLE_1)
	s_xor_b32 s11, exec_lo, s11
; %bb.748:
	v_dual_cndmask_b32 v1, v3, v5, s22 :: v_dual_cndmask_b32 v0, v2, v4, s22
	v_dual_cndmask_b32 v5, v5, v3, s22 :: v_dual_cndmask_b32 v4, v4, v2, s22
	s_delay_alu instid0(VALU_DEP_2)
	v_mov_b64_e32 v[2:3], v[0:1]
; %bb.749:
	s_or_b32 exec_lo, exec_lo, s11
.LBB383_750:
	s_delay_alu instid0(SALU_CYCLE_1) | instskip(SKIP_2) | instid1(SALU_CYCLE_1)
	s_or_b32 exec_lo, exec_lo, s13
	v_cmp_lt_u32_e64 s11, 2, v25
	s_and_saveexec_b32 s12, s11
	s_xor_b32 s22, exec_lo, s12
	s_cbranch_execz .LBB383_759
; %bb.751:
	s_and_not1_b32 vcc_lo, exec_lo, s26
	s_cbranch_vccnz .LBB383_759
; %bb.752:
	v_mul_u64_e32 v[0:1], s[16:17], v[10:11]
	v_mul_u64_e32 v[22:23], s[16:17], v[16:17]
	s_mov_b32 s27, 0
	s_mov_b64 s[14:15], s[16:17]
                                        ; implicit-def: $sgpr23
                                        ; implicit-def: $sgpr28
                                        ; implicit-def: $sgpr30
                                        ; implicit-def: $sgpr29
                                        ; implicit-def: $sgpr31
	s_delay_alu instid0(VALU_DEP_2) | instskip(NEXT) | instid1(VALU_DEP_2)
	v_lshl_add_u64 v[0:1], v[0:1], 2, s[18:19]
	v_lshl_add_u64 v[22:23], v[22:23], 2, s[18:19]
	s_branch .LBB383_754
.LBB383_753:                            ;   in Loop: Header=BB383_754 Depth=1
	s_or_b32 exec_lo, exec_lo, s33
	s_and_b32 s12, s12, s31
	s_delay_alu instid0(SALU_CYCLE_1) | instskip(SKIP_1) | instid1(SALU_CYCLE_1)
	s_or_b32 s12, vcc_lo, s12
	s_and_b32 s13, exec_lo, s30
	s_or_b32 s27, s13, s27
	s_and_not1_b32 s13, s31, exec_lo
	s_and_b32 s12, s12, exec_lo
	s_and_not1_b32 s28, s28, exec_lo
	s_and_b32 s33, s29, exec_lo
	s_or_b32 s31, s13, s12
	s_and_not1_b32 s13, s23, exec_lo
	s_or_b32 s28, s28, s33
	s_or_b32 s23, s13, s12
	s_and_not1_b32 exec_lo, exec_lo, s27
	s_cbranch_execz .LBB383_756
.LBB383_754:                            ; =>This Inner Loop Header: Depth=1
	global_load_b32 v26, v[0:1], off
	global_load_b32 v27, v[22:23], off
	s_or_b32 s29, s29, exec_lo
	s_or_b32 s30, s30, exec_lo
	s_mov_b32 s33, exec_lo
	s_wait_loadcnt 0x0
	v_cmp_le_i32_e64 s12, v26, v27
	v_cmp_lt_i32_e32 vcc_lo, v26, v27
	v_cmpx_eq_u32_e64 v26, v27
	s_cbranch_execz .LBB383_753
; %bb.755:                              ;   in Loop: Header=BB383_754 Depth=1
	s_add_nc_u64 s[14:15], s[14:15], -1
	v_add_nc_u64_e32 v[0:1], 4, v[0:1]
	s_cmp_eq_u64 s[14:15], 0
	v_add_nc_u64_e32 v[22:23], 4, v[22:23]
	s_cselect_b32 s13, -1, 0
	s_and_not1_b32 s30, s30, exec_lo
	s_and_b32 s13, s13, exec_lo
	s_and_not1_b32 s29, s29, exec_lo
	s_or_b32 s30, s30, s13
	s_branch .LBB383_753
.LBB383_756:
	s_or_b32 exec_lo, exec_lo, s27
	s_and_saveexec_b32 s12, s28
	s_delay_alu instid0(SALU_CYCLE_1)
	s_xor_b32 s12, exec_lo, s12
; %bb.757:
	v_dual_cndmask_b32 v1, v17, v11, s23 :: v_dual_cndmask_b32 v0, v16, v10, s23
	v_dual_cndmask_b32 v11, v11, v17, s23 :: v_dual_cndmask_b32 v10, v10, v16, s23
	s_delay_alu instid0(VALU_DEP_2)
	v_mov_b64_e32 v[16:17], v[0:1]
; %bb.758:
	s_or_b32 exec_lo, exec_lo, s12
.LBB383_759:
	s_delay_alu instid0(SALU_CYCLE_1)
	s_or_b32 exec_lo, exec_lo, s22
	v_cmp_lt_u32_e64 s12, 4, v25
	s_and_saveexec_b32 s15, s12
	s_cbranch_execz .LBB383_768
; %bb.760:
	s_and_not1_b32 vcc_lo, exec_lo, s26
	s_cbranch_vccnz .LBB383_768
; %bb.761:
	v_mul_u64_e32 v[0:1], s[16:17], v[6:7]
	v_mul_u64_e32 v[22:23], s[16:17], v[12:13]
	s_mov_b32 s28, 0
	s_mov_b64 s[22:23], s[16:17]
                                        ; implicit-def: $sgpr27
                                        ; implicit-def: $sgpr29
                                        ; implicit-def: $sgpr31
                                        ; implicit-def: $sgpr30
                                        ; implicit-def: $sgpr33
	s_delay_alu instid0(VALU_DEP_2) | instskip(NEXT) | instid1(VALU_DEP_2)
	v_lshl_add_u64 v[0:1], v[0:1], 2, s[18:19]
	v_lshl_add_u64 v[22:23], v[22:23], 2, s[18:19]
	s_branch .LBB383_763
.LBB383_762:                            ;   in Loop: Header=BB383_763 Depth=1
	s_or_b32 exec_lo, exec_lo, s34
	s_and_b32 s13, s13, s33
	s_delay_alu instid0(SALU_CYCLE_1) | instskip(SKIP_1) | instid1(SALU_CYCLE_1)
	s_or_b32 s13, vcc_lo, s13
	s_and_b32 s14, exec_lo, s31
	s_or_b32 s28, s14, s28
	s_and_not1_b32 s14, s33, exec_lo
	s_and_b32 s13, s13, exec_lo
	s_and_not1_b32 s29, s29, exec_lo
	s_and_b32 s34, s30, exec_lo
	s_or_b32 s33, s14, s13
	s_and_not1_b32 s14, s27, exec_lo
	s_or_b32 s29, s29, s34
	s_or_b32 s27, s14, s13
	s_and_not1_b32 exec_lo, exec_lo, s28
	s_cbranch_execz .LBB383_765
.LBB383_763:                            ; =>This Inner Loop Header: Depth=1
	global_load_b32 v26, v[0:1], off
	global_load_b32 v27, v[22:23], off
	s_or_b32 s30, s30, exec_lo
	s_or_b32 s31, s31, exec_lo
	s_mov_b32 s34, exec_lo
	s_wait_loadcnt 0x0
	v_cmp_le_i32_e64 s13, v26, v27
	v_cmp_lt_i32_e32 vcc_lo, v26, v27
	v_cmpx_eq_u32_e64 v26, v27
	s_cbranch_execz .LBB383_762
; %bb.764:                              ;   in Loop: Header=BB383_763 Depth=1
	s_add_nc_u64 s[22:23], s[22:23], -1
	v_add_nc_u64_e32 v[0:1], 4, v[0:1]
	s_cmp_eq_u64 s[22:23], 0
	v_add_nc_u64_e32 v[22:23], 4, v[22:23]
	s_cselect_b32 s14, -1, 0
	s_and_not1_b32 s31, s31, exec_lo
	s_and_b32 s14, s14, exec_lo
	s_and_not1_b32 s30, s30, exec_lo
	s_or_b32 s31, s31, s14
	s_branch .LBB383_762
.LBB383_765:
	s_or_b32 exec_lo, exec_lo, s28
	s_and_saveexec_b32 s13, s29
	s_delay_alu instid0(SALU_CYCLE_1)
	s_xor_b32 s13, exec_lo, s13
; %bb.766:
	v_dual_cndmask_b32 v1, v13, v7, s27 :: v_dual_cndmask_b32 v0, v12, v6, s27
	v_dual_cndmask_b32 v7, v7, v13, s27 :: v_dual_cndmask_b32 v6, v6, v12, s27
	s_delay_alu instid0(VALU_DEP_2)
	v_mov_b64_e32 v[12:13], v[0:1]
; %bb.767:
	s_or_b32 exec_lo, exec_lo, s13
.LBB383_768:
	s_delay_alu instid0(SALU_CYCLE_1)
	s_or_b32 exec_lo, exec_lo, s15
	v_cmp_lt_u32_e64 s13, 6, v25
	s_and_saveexec_b32 s27, s13
	s_cbranch_execz .LBB383_777
; %bb.769:
	s_and_not1_b32 vcc_lo, exec_lo, s26
	s_cbranch_vccnz .LBB383_777
; %bb.770:
	v_mul_u64_e32 v[0:1], s[16:17], v[2:3]
	v_mul_u64_e32 v[22:23], s[16:17], v[8:9]
	s_mov_b32 s29, 0
	s_mov_b64 s[22:23], s[16:17]
                                        ; implicit-def: $sgpr28
                                        ; implicit-def: $sgpr30
                                        ; implicit-def: $sgpr33
                                        ; implicit-def: $sgpr31
                                        ; implicit-def: $sgpr34
	s_delay_alu instid0(VALU_DEP_2) | instskip(NEXT) | instid1(VALU_DEP_2)
	v_lshl_add_u64 v[0:1], v[0:1], 2, s[18:19]
	v_lshl_add_u64 v[22:23], v[22:23], 2, s[18:19]
	s_branch .LBB383_772
.LBB383_771:                            ;   in Loop: Header=BB383_772 Depth=1
	s_or_b32 exec_lo, exec_lo, s35
	s_and_b32 s14, s14, s34
	s_delay_alu instid0(SALU_CYCLE_1) | instskip(SKIP_1) | instid1(SALU_CYCLE_1)
	s_or_b32 s14, vcc_lo, s14
	s_and_b32 s15, exec_lo, s33
	s_or_b32 s29, s15, s29
	s_and_not1_b32 s15, s34, exec_lo
	s_and_b32 s14, s14, exec_lo
	s_and_not1_b32 s30, s30, exec_lo
	s_and_b32 s35, s31, exec_lo
	s_or_b32 s34, s15, s14
	s_and_not1_b32 s15, s28, exec_lo
	s_or_b32 s30, s30, s35
	s_or_b32 s28, s15, s14
	s_and_not1_b32 exec_lo, exec_lo, s29
	s_cbranch_execz .LBB383_774
.LBB383_772:                            ; =>This Inner Loop Header: Depth=1
	global_load_b32 v25, v[0:1], off
	global_load_b32 v26, v[22:23], off
	s_or_b32 s31, s31, exec_lo
	s_or_b32 s33, s33, exec_lo
	s_mov_b32 s35, exec_lo
	s_wait_loadcnt 0x0
	v_cmp_le_i32_e64 s14, v25, v26
	v_cmp_lt_i32_e32 vcc_lo, v25, v26
	v_cmpx_eq_u32_e64 v25, v26
	s_cbranch_execz .LBB383_771
; %bb.773:                              ;   in Loop: Header=BB383_772 Depth=1
	s_add_nc_u64 s[22:23], s[22:23], -1
	v_add_nc_u64_e32 v[0:1], 4, v[0:1]
	s_cmp_eq_u64 s[22:23], 0
	v_add_nc_u64_e32 v[22:23], 4, v[22:23]
	s_cselect_b32 s15, -1, 0
	s_and_not1_b32 s33, s33, exec_lo
	s_and_b32 s15, s15, exec_lo
	s_and_not1_b32 s31, s31, exec_lo
	s_or_b32 s33, s33, s15
	s_branch .LBB383_771
.LBB383_774:
	s_or_b32 exec_lo, exec_lo, s29
	s_and_saveexec_b32 s14, s30
	s_delay_alu instid0(SALU_CYCLE_1)
	s_xor_b32 s14, exec_lo, s14
; %bb.775:
	v_dual_cndmask_b32 v1, v9, v3, s28 :: v_dual_cndmask_b32 v0, v8, v2, s28
	v_dual_cndmask_b32 v3, v3, v9, s28 :: v_dual_cndmask_b32 v2, v2, v8, s28
	s_delay_alu instid0(VALU_DEP_2)
	v_mov_b64_e32 v[8:9], v[0:1]
; %bb.776:
	s_or_b32 exec_lo, exec_lo, s14
.LBB383_777:
	s_delay_alu instid0(SALU_CYCLE_1)
	s_or_b32 exec_lo, exec_lo, s27
	s_and_saveexec_b32 s27, s7
	s_cbranch_execz .LBB383_786
; %bb.778:
	s_and_not1_b32 vcc_lo, exec_lo, s26
	s_cbranch_vccnz .LBB383_786
; %bb.779:
	v_mul_u64_e32 v[0:1], s[16:17], v[16:17]
	v_mul_u64_e32 v[22:23], s[16:17], v[14:15]
	s_mov_b32 s29, 0
	s_mov_b64 s[22:23], s[16:17]
                                        ; implicit-def: $sgpr28
                                        ; implicit-def: $sgpr30
                                        ; implicit-def: $sgpr33
                                        ; implicit-def: $sgpr31
                                        ; implicit-def: $sgpr34
	s_delay_alu instid0(VALU_DEP_2) | instskip(NEXT) | instid1(VALU_DEP_2)
	v_lshl_add_u64 v[0:1], v[0:1], 2, s[18:19]
	v_lshl_add_u64 v[22:23], v[22:23], 2, s[18:19]
	s_branch .LBB383_781
.LBB383_780:                            ;   in Loop: Header=BB383_781 Depth=1
	s_or_b32 exec_lo, exec_lo, s35
	s_and_b32 s14, s14, s34
	s_delay_alu instid0(SALU_CYCLE_1) | instskip(SKIP_1) | instid1(SALU_CYCLE_1)
	s_or_b32 s14, vcc_lo, s14
	s_and_b32 s15, exec_lo, s33
	s_or_b32 s29, s15, s29
	s_and_not1_b32 s15, s34, exec_lo
	s_and_b32 s14, s14, exec_lo
	s_and_not1_b32 s30, s30, exec_lo
	s_and_b32 s35, s31, exec_lo
	s_or_b32 s34, s15, s14
	s_and_not1_b32 s15, s28, exec_lo
	s_or_b32 s30, s30, s35
	s_or_b32 s28, s15, s14
	s_and_not1_b32 exec_lo, exec_lo, s29
	s_cbranch_execz .LBB383_783
.LBB383_781:                            ; =>This Inner Loop Header: Depth=1
	global_load_b32 v25, v[0:1], off
	global_load_b32 v26, v[22:23], off
	s_or_b32 s31, s31, exec_lo
	s_or_b32 s33, s33, exec_lo
	s_mov_b32 s35, exec_lo
	s_wait_loadcnt 0x0
	v_cmp_le_i32_e64 s14, v25, v26
	v_cmp_lt_i32_e32 vcc_lo, v25, v26
	v_cmpx_eq_u32_e64 v25, v26
	s_cbranch_execz .LBB383_780
; %bb.782:                              ;   in Loop: Header=BB383_781 Depth=1
	s_add_nc_u64 s[22:23], s[22:23], -1
	v_add_nc_u64_e32 v[0:1], 4, v[0:1]
	s_cmp_eq_u64 s[22:23], 0
	v_add_nc_u64_e32 v[22:23], 4, v[22:23]
	s_cselect_b32 s15, -1, 0
	s_and_not1_b32 s33, s33, exec_lo
	s_and_b32 s15, s15, exec_lo
	s_and_not1_b32 s31, s31, exec_lo
	s_or_b32 s33, s33, s15
	s_branch .LBB383_780
.LBB383_783:
	s_or_b32 exec_lo, exec_lo, s29
	s_and_saveexec_b32 s14, s30
	s_delay_alu instid0(SALU_CYCLE_1)
	s_xor_b32 s14, exec_lo, s14
; %bb.784:
	v_dual_cndmask_b32 v1, v17, v15, s28 :: v_dual_cndmask_b32 v0, v16, v14, s28
	v_dual_cndmask_b32 v15, v15, v17, s28 :: v_dual_cndmask_b32 v14, v14, v16, s28
	s_delay_alu instid0(VALU_DEP_2)
	v_mov_b64_e32 v[16:17], v[0:1]
; %bb.785:
	s_or_b32 exec_lo, exec_lo, s14
.LBB383_786:
	s_delay_alu instid0(SALU_CYCLE_1)
	s_or_b32 exec_lo, exec_lo, s27
	s_and_saveexec_b32 s27, s8
	s_cbranch_execz .LBB383_795
; %bb.787:
	s_and_not1_b32 vcc_lo, exec_lo, s26
	s_cbranch_vccnz .LBB383_795
; %bb.788:
	v_mul_u64_e32 v[0:1], s[16:17], v[12:13]
	v_mul_u64_e32 v[22:23], s[16:17], v[10:11]
	s_mov_b32 s29, 0
	s_mov_b64 s[22:23], s[16:17]
                                        ; implicit-def: $sgpr28
                                        ; implicit-def: $sgpr30
                                        ; implicit-def: $sgpr33
                                        ; implicit-def: $sgpr31
                                        ; implicit-def: $sgpr34
	s_delay_alu instid0(VALU_DEP_2) | instskip(NEXT) | instid1(VALU_DEP_2)
	v_lshl_add_u64 v[0:1], v[0:1], 2, s[18:19]
	v_lshl_add_u64 v[22:23], v[22:23], 2, s[18:19]
	s_branch .LBB383_790
.LBB383_789:                            ;   in Loop: Header=BB383_790 Depth=1
	s_or_b32 exec_lo, exec_lo, s35
	s_and_b32 s14, s14, s34
	s_delay_alu instid0(SALU_CYCLE_1) | instskip(SKIP_1) | instid1(SALU_CYCLE_1)
	s_or_b32 s14, vcc_lo, s14
	s_and_b32 s15, exec_lo, s33
	s_or_b32 s29, s15, s29
	s_and_not1_b32 s15, s34, exec_lo
	s_and_b32 s14, s14, exec_lo
	s_and_not1_b32 s30, s30, exec_lo
	s_and_b32 s35, s31, exec_lo
	s_or_b32 s34, s15, s14
	s_and_not1_b32 s15, s28, exec_lo
	s_or_b32 s30, s30, s35
	s_or_b32 s28, s15, s14
	s_and_not1_b32 exec_lo, exec_lo, s29
	s_cbranch_execz .LBB383_792
.LBB383_790:                            ; =>This Inner Loop Header: Depth=1
	global_load_b32 v25, v[0:1], off
	global_load_b32 v26, v[22:23], off
	s_or_b32 s31, s31, exec_lo
	s_or_b32 s33, s33, exec_lo
	s_mov_b32 s35, exec_lo
	s_wait_loadcnt 0x0
	v_cmp_le_i32_e64 s14, v25, v26
	v_cmp_lt_i32_e32 vcc_lo, v25, v26
	v_cmpx_eq_u32_e64 v25, v26
	s_cbranch_execz .LBB383_789
; %bb.791:                              ;   in Loop: Header=BB383_790 Depth=1
	s_add_nc_u64 s[22:23], s[22:23], -1
	v_add_nc_u64_e32 v[0:1], 4, v[0:1]
	s_cmp_eq_u64 s[22:23], 0
	v_add_nc_u64_e32 v[22:23], 4, v[22:23]
	s_cselect_b32 s15, -1, 0
	s_and_not1_b32 s33, s33, exec_lo
	s_and_b32 s15, s15, exec_lo
	s_and_not1_b32 s31, s31, exec_lo
	s_or_b32 s33, s33, s15
	s_branch .LBB383_789
.LBB383_792:
	s_or_b32 exec_lo, exec_lo, s29
	s_and_saveexec_b32 s14, s30
	s_delay_alu instid0(SALU_CYCLE_1)
	s_xor_b32 s14, exec_lo, s14
; %bb.793:
	v_dual_cndmask_b32 v1, v11, v13, s28 :: v_dual_cndmask_b32 v0, v10, v12, s28
	v_dual_cndmask_b32 v13, v13, v11, s28 :: v_dual_cndmask_b32 v12, v12, v10, s28
	s_delay_alu instid0(VALU_DEP_2)
	v_mov_b64_e32 v[10:11], v[0:1]
; %bb.794:
	s_or_b32 exec_lo, exec_lo, s14
.LBB383_795:
	s_delay_alu instid0(SALU_CYCLE_1)
	s_or_b32 exec_lo, exec_lo, s27
	s_and_saveexec_b32 s27, s9
	s_cbranch_execz .LBB383_804
; %bb.796:
	s_and_not1_b32 vcc_lo, exec_lo, s26
	s_cbranch_vccnz .LBB383_804
; %bb.797:
	v_mul_u64_e32 v[0:1], s[16:17], v[8:9]
	v_mul_u64_e32 v[22:23], s[16:17], v[6:7]
	s_mov_b32 s29, 0
	s_mov_b64 s[22:23], s[16:17]
                                        ; implicit-def: $sgpr28
                                        ; implicit-def: $sgpr30
                                        ; implicit-def: $sgpr33
                                        ; implicit-def: $sgpr31
                                        ; implicit-def: $sgpr34
	s_delay_alu instid0(VALU_DEP_2) | instskip(NEXT) | instid1(VALU_DEP_2)
	v_lshl_add_u64 v[0:1], v[0:1], 2, s[18:19]
	v_lshl_add_u64 v[22:23], v[22:23], 2, s[18:19]
	s_branch .LBB383_799
.LBB383_798:                            ;   in Loop: Header=BB383_799 Depth=1
	s_or_b32 exec_lo, exec_lo, s35
	s_and_b32 s14, s14, s34
	s_delay_alu instid0(SALU_CYCLE_1) | instskip(SKIP_1) | instid1(SALU_CYCLE_1)
	s_or_b32 s14, vcc_lo, s14
	s_and_b32 s15, exec_lo, s33
	s_or_b32 s29, s15, s29
	s_and_not1_b32 s15, s34, exec_lo
	s_and_b32 s14, s14, exec_lo
	s_and_not1_b32 s30, s30, exec_lo
	s_and_b32 s35, s31, exec_lo
	s_or_b32 s34, s15, s14
	s_and_not1_b32 s15, s28, exec_lo
	s_or_b32 s30, s30, s35
	s_or_b32 s28, s15, s14
	s_and_not1_b32 exec_lo, exec_lo, s29
	s_cbranch_execz .LBB383_801
.LBB383_799:                            ; =>This Inner Loop Header: Depth=1
	global_load_b32 v25, v[0:1], off
	global_load_b32 v26, v[22:23], off
	s_or_b32 s31, s31, exec_lo
	s_or_b32 s33, s33, exec_lo
	s_mov_b32 s35, exec_lo
	s_wait_loadcnt 0x0
	v_cmp_le_i32_e64 s14, v25, v26
	v_cmp_lt_i32_e32 vcc_lo, v25, v26
	v_cmpx_eq_u32_e64 v25, v26
	s_cbranch_execz .LBB383_798
; %bb.800:                              ;   in Loop: Header=BB383_799 Depth=1
	s_add_nc_u64 s[22:23], s[22:23], -1
	v_add_nc_u64_e32 v[0:1], 4, v[0:1]
	s_cmp_eq_u64 s[22:23], 0
	v_add_nc_u64_e32 v[22:23], 4, v[22:23]
	s_cselect_b32 s15, -1, 0
	s_and_not1_b32 s33, s33, exec_lo
	s_and_b32 s15, s15, exec_lo
	s_and_not1_b32 s31, s31, exec_lo
	s_or_b32 s33, s33, s15
	s_branch .LBB383_798
.LBB383_801:
	s_or_b32 exec_lo, exec_lo, s29
	s_and_saveexec_b32 s14, s30
	s_delay_alu instid0(SALU_CYCLE_1)
	s_xor_b32 s14, exec_lo, s14
; %bb.802:
	v_dual_cndmask_b32 v1, v7, v9, s28 :: v_dual_cndmask_b32 v0, v6, v8, s28
	v_dual_cndmask_b32 v9, v9, v7, s28 :: v_dual_cndmask_b32 v8, v8, v6, s28
	s_delay_alu instid0(VALU_DEP_2)
	v_mov_b64_e32 v[6:7], v[0:1]
; %bb.803:
	s_or_b32 exec_lo, exec_lo, s14
.LBB383_804:
	s_delay_alu instid0(SALU_CYCLE_1)
	s_or_b32 exec_lo, exec_lo, s27
	s_and_saveexec_b32 s27, s10
	s_cbranch_execz .LBB383_813
; %bb.805:
	s_and_not1_b32 vcc_lo, exec_lo, s26
	s_cbranch_vccnz .LBB383_813
; %bb.806:
	v_mul_u64_e32 v[0:1], s[16:17], v[4:5]
	v_mul_u64_e32 v[22:23], s[16:17], v[2:3]
	s_mov_b32 s29, 0
	s_mov_b64 s[22:23], s[16:17]
                                        ; implicit-def: $sgpr28
                                        ; implicit-def: $sgpr30
                                        ; implicit-def: $sgpr33
                                        ; implicit-def: $sgpr31
                                        ; implicit-def: $sgpr34
	s_delay_alu instid0(VALU_DEP_2) | instskip(NEXT) | instid1(VALU_DEP_2)
	v_lshl_add_u64 v[0:1], v[0:1], 2, s[18:19]
	v_lshl_add_u64 v[22:23], v[22:23], 2, s[18:19]
	s_branch .LBB383_808
.LBB383_807:                            ;   in Loop: Header=BB383_808 Depth=1
	s_or_b32 exec_lo, exec_lo, s35
	s_and_b32 s14, s14, s34
	s_delay_alu instid0(SALU_CYCLE_1) | instskip(SKIP_1) | instid1(SALU_CYCLE_1)
	s_or_b32 s14, vcc_lo, s14
	s_and_b32 s15, exec_lo, s33
	s_or_b32 s29, s15, s29
	s_and_not1_b32 s15, s34, exec_lo
	s_and_b32 s14, s14, exec_lo
	s_and_not1_b32 s30, s30, exec_lo
	s_and_b32 s35, s31, exec_lo
	s_or_b32 s34, s15, s14
	s_and_not1_b32 s15, s28, exec_lo
	s_or_b32 s30, s30, s35
	s_or_b32 s28, s15, s14
	s_and_not1_b32 exec_lo, exec_lo, s29
	s_cbranch_execz .LBB383_810
.LBB383_808:                            ; =>This Inner Loop Header: Depth=1
	global_load_b32 v25, v[0:1], off
	global_load_b32 v26, v[22:23], off
	s_or_b32 s31, s31, exec_lo
	s_or_b32 s33, s33, exec_lo
	s_mov_b32 s35, exec_lo
	s_wait_loadcnt 0x0
	v_cmp_le_i32_e64 s14, v25, v26
	v_cmp_lt_i32_e32 vcc_lo, v25, v26
	v_cmpx_eq_u32_e64 v25, v26
	s_cbranch_execz .LBB383_807
; %bb.809:                              ;   in Loop: Header=BB383_808 Depth=1
	s_add_nc_u64 s[22:23], s[22:23], -1
	v_add_nc_u64_e32 v[0:1], 4, v[0:1]
	s_cmp_eq_u64 s[22:23], 0
	v_add_nc_u64_e32 v[22:23], 4, v[22:23]
	s_cselect_b32 s15, -1, 0
	s_and_not1_b32 s33, s33, exec_lo
	s_and_b32 s15, s15, exec_lo
	s_and_not1_b32 s31, s31, exec_lo
	s_or_b32 s33, s33, s15
	s_branch .LBB383_807
.LBB383_810:
	s_or_b32 exec_lo, exec_lo, s29
	s_and_saveexec_b32 s14, s30
	s_delay_alu instid0(SALU_CYCLE_1)
	s_xor_b32 s14, exec_lo, s14
; %bb.811:
	v_dual_cndmask_b32 v1, v3, v5, s28 :: v_dual_cndmask_b32 v0, v2, v4, s28
	v_dual_cndmask_b32 v5, v5, v3, s28 :: v_dual_cndmask_b32 v4, v4, v2, s28
	s_delay_alu instid0(VALU_DEP_2)
	v_mov_b64_e32 v[2:3], v[0:1]
; %bb.812:
	s_or_b32 exec_lo, exec_lo, s14
.LBB383_813:
	s_delay_alu instid0(SALU_CYCLE_1)
	s_or_b32 exec_lo, exec_lo, s27
	s_and_saveexec_b32 s27, s11
	s_cbranch_execz .LBB383_822
; %bb.814:
	s_and_not1_b32 vcc_lo, exec_lo, s26
	s_cbranch_vccnz .LBB383_822
; %bb.815:
	v_mul_u64_e32 v[0:1], s[16:17], v[10:11]
	v_mul_u64_e32 v[22:23], s[16:17], v[16:17]
	s_mov_b32 s29, 0
	s_mov_b64 s[22:23], s[16:17]
                                        ; implicit-def: $sgpr28
                                        ; implicit-def: $sgpr30
                                        ; implicit-def: $sgpr33
                                        ; implicit-def: $sgpr31
                                        ; implicit-def: $sgpr34
	s_delay_alu instid0(VALU_DEP_2) | instskip(NEXT) | instid1(VALU_DEP_2)
	v_lshl_add_u64 v[0:1], v[0:1], 2, s[18:19]
	v_lshl_add_u64 v[22:23], v[22:23], 2, s[18:19]
	s_branch .LBB383_817
.LBB383_816:                            ;   in Loop: Header=BB383_817 Depth=1
	s_or_b32 exec_lo, exec_lo, s35
	s_and_b32 s14, s14, s34
	s_delay_alu instid0(SALU_CYCLE_1) | instskip(SKIP_1) | instid1(SALU_CYCLE_1)
	s_or_b32 s14, vcc_lo, s14
	s_and_b32 s15, exec_lo, s33
	s_or_b32 s29, s15, s29
	s_and_not1_b32 s15, s34, exec_lo
	s_and_b32 s14, s14, exec_lo
	s_and_not1_b32 s30, s30, exec_lo
	s_and_b32 s35, s31, exec_lo
	s_or_b32 s34, s15, s14
	s_and_not1_b32 s15, s28, exec_lo
	s_or_b32 s30, s30, s35
	s_or_b32 s28, s15, s14
	s_and_not1_b32 exec_lo, exec_lo, s29
	s_cbranch_execz .LBB383_819
.LBB383_817:                            ; =>This Inner Loop Header: Depth=1
	global_load_b32 v25, v[0:1], off
	global_load_b32 v26, v[22:23], off
	s_or_b32 s31, s31, exec_lo
	s_or_b32 s33, s33, exec_lo
	s_mov_b32 s35, exec_lo
	s_wait_loadcnt 0x0
	v_cmp_le_i32_e64 s14, v25, v26
	v_cmp_lt_i32_e32 vcc_lo, v25, v26
	v_cmpx_eq_u32_e64 v25, v26
	s_cbranch_execz .LBB383_816
; %bb.818:                              ;   in Loop: Header=BB383_817 Depth=1
	s_add_nc_u64 s[22:23], s[22:23], -1
	v_add_nc_u64_e32 v[0:1], 4, v[0:1]
	s_cmp_eq_u64 s[22:23], 0
	v_add_nc_u64_e32 v[22:23], 4, v[22:23]
	s_cselect_b32 s15, -1, 0
	s_and_not1_b32 s33, s33, exec_lo
	s_and_b32 s15, s15, exec_lo
	s_and_not1_b32 s31, s31, exec_lo
	s_or_b32 s33, s33, s15
	s_branch .LBB383_816
.LBB383_819:
	s_or_b32 exec_lo, exec_lo, s29
	s_and_saveexec_b32 s14, s30
	s_delay_alu instid0(SALU_CYCLE_1)
	s_xor_b32 s14, exec_lo, s14
; %bb.820:
	v_dual_cndmask_b32 v1, v17, v11, s28 :: v_dual_cndmask_b32 v0, v16, v10, s28
	v_dual_cndmask_b32 v11, v11, v17, s28 :: v_dual_cndmask_b32 v10, v10, v16, s28
	s_delay_alu instid0(VALU_DEP_2)
	v_mov_b64_e32 v[16:17], v[0:1]
; %bb.821:
	s_or_b32 exec_lo, exec_lo, s14
.LBB383_822:
	s_delay_alu instid0(SALU_CYCLE_1)
	s_or_b32 exec_lo, exec_lo, s27
	s_and_saveexec_b32 s27, s12
	s_cbranch_execz .LBB383_831
; %bb.823:
	s_and_not1_b32 vcc_lo, exec_lo, s26
	s_cbranch_vccnz .LBB383_831
; %bb.824:
	v_mul_u64_e32 v[0:1], s[16:17], v[6:7]
	v_mul_u64_e32 v[22:23], s[16:17], v[12:13]
	s_mov_b32 s29, 0
	s_mov_b64 s[22:23], s[16:17]
                                        ; implicit-def: $sgpr28
                                        ; implicit-def: $sgpr30
                                        ; implicit-def: $sgpr33
                                        ; implicit-def: $sgpr31
                                        ; implicit-def: $sgpr34
	s_delay_alu instid0(VALU_DEP_2) | instskip(NEXT) | instid1(VALU_DEP_2)
	v_lshl_add_u64 v[0:1], v[0:1], 2, s[18:19]
	v_lshl_add_u64 v[22:23], v[22:23], 2, s[18:19]
	s_branch .LBB383_826
.LBB383_825:                            ;   in Loop: Header=BB383_826 Depth=1
	s_or_b32 exec_lo, exec_lo, s35
	s_and_b32 s14, s14, s34
	s_delay_alu instid0(SALU_CYCLE_1) | instskip(SKIP_1) | instid1(SALU_CYCLE_1)
	s_or_b32 s14, vcc_lo, s14
	s_and_b32 s15, exec_lo, s33
	s_or_b32 s29, s15, s29
	s_and_not1_b32 s15, s34, exec_lo
	s_and_b32 s14, s14, exec_lo
	s_and_not1_b32 s30, s30, exec_lo
	s_and_b32 s35, s31, exec_lo
	s_or_b32 s34, s15, s14
	s_and_not1_b32 s15, s28, exec_lo
	s_or_b32 s30, s30, s35
	s_or_b32 s28, s15, s14
	s_and_not1_b32 exec_lo, exec_lo, s29
	s_cbranch_execz .LBB383_828
.LBB383_826:                            ; =>This Inner Loop Header: Depth=1
	global_load_b32 v25, v[0:1], off
	global_load_b32 v26, v[22:23], off
	s_or_b32 s31, s31, exec_lo
	s_or_b32 s33, s33, exec_lo
	s_mov_b32 s35, exec_lo
	s_wait_loadcnt 0x0
	v_cmp_le_i32_e64 s14, v25, v26
	v_cmp_lt_i32_e32 vcc_lo, v25, v26
	v_cmpx_eq_u32_e64 v25, v26
	s_cbranch_execz .LBB383_825
; %bb.827:                              ;   in Loop: Header=BB383_826 Depth=1
	s_add_nc_u64 s[22:23], s[22:23], -1
	v_add_nc_u64_e32 v[0:1], 4, v[0:1]
	s_cmp_eq_u64 s[22:23], 0
	v_add_nc_u64_e32 v[22:23], 4, v[22:23]
	s_cselect_b32 s15, -1, 0
	s_and_not1_b32 s33, s33, exec_lo
	s_and_b32 s15, s15, exec_lo
	s_and_not1_b32 s31, s31, exec_lo
	s_or_b32 s33, s33, s15
	s_branch .LBB383_825
.LBB383_828:
	s_or_b32 exec_lo, exec_lo, s29
	s_and_saveexec_b32 s14, s30
	s_delay_alu instid0(SALU_CYCLE_1)
	s_xor_b32 s14, exec_lo, s14
; %bb.829:
	v_dual_cndmask_b32 v1, v13, v7, s28 :: v_dual_cndmask_b32 v0, v12, v6, s28
	v_dual_cndmask_b32 v7, v7, v13, s28 :: v_dual_cndmask_b32 v6, v6, v12, s28
	s_delay_alu instid0(VALU_DEP_2)
	v_mov_b64_e32 v[12:13], v[0:1]
; %bb.830:
	s_or_b32 exec_lo, exec_lo, s14
.LBB383_831:
	s_delay_alu instid0(SALU_CYCLE_1)
	s_or_b32 exec_lo, exec_lo, s27
	s_and_saveexec_b32 s27, s13
	s_cbranch_execz .LBB383_840
; %bb.832:
	s_and_not1_b32 vcc_lo, exec_lo, s26
	s_cbranch_vccnz .LBB383_840
; %bb.833:
	v_mul_u64_e32 v[0:1], s[16:17], v[2:3]
	v_mul_u64_e32 v[22:23], s[16:17], v[8:9]
	s_mov_b32 s29, 0
	s_mov_b64 s[22:23], s[16:17]
                                        ; implicit-def: $sgpr28
                                        ; implicit-def: $sgpr30
                                        ; implicit-def: $sgpr33
                                        ; implicit-def: $sgpr31
                                        ; implicit-def: $sgpr34
	s_delay_alu instid0(VALU_DEP_2) | instskip(NEXT) | instid1(VALU_DEP_2)
	v_lshl_add_u64 v[0:1], v[0:1], 2, s[18:19]
	v_lshl_add_u64 v[22:23], v[22:23], 2, s[18:19]
	s_branch .LBB383_835
.LBB383_834:                            ;   in Loop: Header=BB383_835 Depth=1
	s_or_b32 exec_lo, exec_lo, s35
	s_and_b32 s14, s14, s34
	s_delay_alu instid0(SALU_CYCLE_1) | instskip(SKIP_1) | instid1(SALU_CYCLE_1)
	s_or_b32 s14, vcc_lo, s14
	s_and_b32 s15, exec_lo, s33
	s_or_b32 s29, s15, s29
	s_and_not1_b32 s15, s34, exec_lo
	s_and_b32 s14, s14, exec_lo
	s_and_not1_b32 s30, s30, exec_lo
	s_and_b32 s35, s31, exec_lo
	s_or_b32 s34, s15, s14
	s_and_not1_b32 s15, s28, exec_lo
	s_or_b32 s30, s30, s35
	s_or_b32 s28, s15, s14
	s_and_not1_b32 exec_lo, exec_lo, s29
	s_cbranch_execz .LBB383_837
.LBB383_835:                            ; =>This Inner Loop Header: Depth=1
	global_load_b32 v25, v[0:1], off
	global_load_b32 v26, v[22:23], off
	s_or_b32 s31, s31, exec_lo
	s_or_b32 s33, s33, exec_lo
	s_mov_b32 s35, exec_lo
	s_wait_loadcnt 0x0
	v_cmp_le_i32_e64 s14, v25, v26
	v_cmp_lt_i32_e32 vcc_lo, v25, v26
	v_cmpx_eq_u32_e64 v25, v26
	s_cbranch_execz .LBB383_834
; %bb.836:                              ;   in Loop: Header=BB383_835 Depth=1
	s_add_nc_u64 s[22:23], s[22:23], -1
	v_add_nc_u64_e32 v[0:1], 4, v[0:1]
	s_cmp_eq_u64 s[22:23], 0
	v_add_nc_u64_e32 v[22:23], 4, v[22:23]
	s_cselect_b32 s15, -1, 0
	s_and_not1_b32 s33, s33, exec_lo
	s_and_b32 s15, s15, exec_lo
	s_and_not1_b32 s31, s31, exec_lo
	s_or_b32 s33, s33, s15
	s_branch .LBB383_834
.LBB383_837:
	s_or_b32 exec_lo, exec_lo, s29
	s_and_saveexec_b32 s14, s30
	s_delay_alu instid0(SALU_CYCLE_1)
	s_xor_b32 s14, exec_lo, s14
; %bb.838:
	v_dual_cndmask_b32 v1, v9, v3, s28 :: v_dual_cndmask_b32 v0, v8, v2, s28
	v_dual_cndmask_b32 v3, v3, v9, s28 :: v_dual_cndmask_b32 v2, v2, v8, s28
	s_delay_alu instid0(VALU_DEP_2)
	v_mov_b64_e32 v[8:9], v[0:1]
; %bb.839:
	s_or_b32 exec_lo, exec_lo, s14
.LBB383_840:
	s_delay_alu instid0(SALU_CYCLE_1)
	s_or_b32 exec_lo, exec_lo, s27
	s_and_saveexec_b32 s27, s7
	s_cbranch_execz .LBB383_849
; %bb.841:
	s_and_not1_b32 vcc_lo, exec_lo, s26
	s_cbranch_vccnz .LBB383_849
; %bb.842:
	v_mul_u64_e32 v[0:1], s[16:17], v[16:17]
	v_mul_u64_e32 v[22:23], s[16:17], v[14:15]
	s_mov_b32 s29, 0
	s_mov_b64 s[22:23], s[16:17]
                                        ; implicit-def: $sgpr28
                                        ; implicit-def: $sgpr30
                                        ; implicit-def: $sgpr33
                                        ; implicit-def: $sgpr31
                                        ; implicit-def: $sgpr34
	s_delay_alu instid0(VALU_DEP_2) | instskip(NEXT) | instid1(VALU_DEP_2)
	v_lshl_add_u64 v[0:1], v[0:1], 2, s[18:19]
	v_lshl_add_u64 v[22:23], v[22:23], 2, s[18:19]
	s_branch .LBB383_844
.LBB383_843:                            ;   in Loop: Header=BB383_844 Depth=1
	s_or_b32 exec_lo, exec_lo, s35
	s_and_b32 s14, s14, s34
	s_delay_alu instid0(SALU_CYCLE_1) | instskip(SKIP_1) | instid1(SALU_CYCLE_1)
	s_or_b32 s14, vcc_lo, s14
	s_and_b32 s15, exec_lo, s33
	s_or_b32 s29, s15, s29
	s_and_not1_b32 s15, s34, exec_lo
	s_and_b32 s14, s14, exec_lo
	s_and_not1_b32 s30, s30, exec_lo
	s_and_b32 s35, s31, exec_lo
	s_or_b32 s34, s15, s14
	s_and_not1_b32 s15, s28, exec_lo
	s_or_b32 s30, s30, s35
	s_or_b32 s28, s15, s14
	s_and_not1_b32 exec_lo, exec_lo, s29
	s_cbranch_execz .LBB383_846
.LBB383_844:                            ; =>This Inner Loop Header: Depth=1
	global_load_b32 v25, v[0:1], off
	global_load_b32 v26, v[22:23], off
	s_or_b32 s31, s31, exec_lo
	s_or_b32 s33, s33, exec_lo
	s_mov_b32 s35, exec_lo
	s_wait_loadcnt 0x0
	v_cmp_le_i32_e64 s14, v25, v26
	v_cmp_lt_i32_e32 vcc_lo, v25, v26
	v_cmpx_eq_u32_e64 v25, v26
	s_cbranch_execz .LBB383_843
; %bb.845:                              ;   in Loop: Header=BB383_844 Depth=1
	s_add_nc_u64 s[22:23], s[22:23], -1
	v_add_nc_u64_e32 v[0:1], 4, v[0:1]
	s_cmp_eq_u64 s[22:23], 0
	v_add_nc_u64_e32 v[22:23], 4, v[22:23]
	s_cselect_b32 s15, -1, 0
	s_and_not1_b32 s33, s33, exec_lo
	s_and_b32 s15, s15, exec_lo
	s_and_not1_b32 s31, s31, exec_lo
	s_or_b32 s33, s33, s15
	s_branch .LBB383_843
.LBB383_846:
	s_or_b32 exec_lo, exec_lo, s29
	s_and_saveexec_b32 s14, s30
	s_delay_alu instid0(SALU_CYCLE_1)
	s_xor_b32 s14, exec_lo, s14
; %bb.847:
	v_dual_cndmask_b32 v1, v17, v15, s28 :: v_dual_cndmask_b32 v0, v16, v14, s28
	v_dual_cndmask_b32 v15, v15, v17, s28 :: v_dual_cndmask_b32 v14, v14, v16, s28
	s_delay_alu instid0(VALU_DEP_2)
	v_mov_b64_e32 v[16:17], v[0:1]
; %bb.848:
	s_or_b32 exec_lo, exec_lo, s14
.LBB383_849:
	s_delay_alu instid0(SALU_CYCLE_1)
	s_or_b32 exec_lo, exec_lo, s27
	s_and_saveexec_b32 s27, s8
	s_cbranch_execz .LBB383_858
; %bb.850:
	s_and_not1_b32 vcc_lo, exec_lo, s26
	s_cbranch_vccnz .LBB383_858
; %bb.851:
	v_mul_u64_e32 v[0:1], s[16:17], v[12:13]
	v_mul_u64_e32 v[22:23], s[16:17], v[10:11]
	s_mov_b32 s29, 0
	s_mov_b64 s[22:23], s[16:17]
                                        ; implicit-def: $sgpr28
                                        ; implicit-def: $sgpr30
                                        ; implicit-def: $sgpr33
                                        ; implicit-def: $sgpr31
                                        ; implicit-def: $sgpr34
	s_delay_alu instid0(VALU_DEP_2) | instskip(NEXT) | instid1(VALU_DEP_2)
	v_lshl_add_u64 v[0:1], v[0:1], 2, s[18:19]
	v_lshl_add_u64 v[22:23], v[22:23], 2, s[18:19]
	s_branch .LBB383_853
.LBB383_852:                            ;   in Loop: Header=BB383_853 Depth=1
	s_or_b32 exec_lo, exec_lo, s35
	s_and_b32 s14, s14, s34
	s_delay_alu instid0(SALU_CYCLE_1) | instskip(SKIP_1) | instid1(SALU_CYCLE_1)
	s_or_b32 s14, vcc_lo, s14
	s_and_b32 s15, exec_lo, s33
	s_or_b32 s29, s15, s29
	s_and_not1_b32 s15, s34, exec_lo
	s_and_b32 s14, s14, exec_lo
	s_and_not1_b32 s30, s30, exec_lo
	s_and_b32 s35, s31, exec_lo
	s_or_b32 s34, s15, s14
	s_and_not1_b32 s15, s28, exec_lo
	s_or_b32 s30, s30, s35
	s_or_b32 s28, s15, s14
	s_and_not1_b32 exec_lo, exec_lo, s29
	s_cbranch_execz .LBB383_855
.LBB383_853:                            ; =>This Inner Loop Header: Depth=1
	global_load_b32 v25, v[0:1], off
	global_load_b32 v26, v[22:23], off
	s_or_b32 s31, s31, exec_lo
	s_or_b32 s33, s33, exec_lo
	s_mov_b32 s35, exec_lo
	s_wait_loadcnt 0x0
	v_cmp_le_i32_e64 s14, v25, v26
	v_cmp_lt_i32_e32 vcc_lo, v25, v26
	v_cmpx_eq_u32_e64 v25, v26
	s_cbranch_execz .LBB383_852
; %bb.854:                              ;   in Loop: Header=BB383_853 Depth=1
	s_add_nc_u64 s[22:23], s[22:23], -1
	v_add_nc_u64_e32 v[0:1], 4, v[0:1]
	s_cmp_eq_u64 s[22:23], 0
	v_add_nc_u64_e32 v[22:23], 4, v[22:23]
	s_cselect_b32 s15, -1, 0
	s_and_not1_b32 s33, s33, exec_lo
	s_and_b32 s15, s15, exec_lo
	s_and_not1_b32 s31, s31, exec_lo
	s_or_b32 s33, s33, s15
	s_branch .LBB383_852
.LBB383_855:
	s_or_b32 exec_lo, exec_lo, s29
	s_and_saveexec_b32 s14, s30
	s_delay_alu instid0(SALU_CYCLE_1)
	s_xor_b32 s14, exec_lo, s14
; %bb.856:
	v_dual_cndmask_b32 v1, v11, v13, s28 :: v_dual_cndmask_b32 v0, v10, v12, s28
	v_dual_cndmask_b32 v13, v13, v11, s28 :: v_dual_cndmask_b32 v12, v12, v10, s28
	s_delay_alu instid0(VALU_DEP_2)
	v_mov_b64_e32 v[10:11], v[0:1]
; %bb.857:
	s_or_b32 exec_lo, exec_lo, s14
.LBB383_858:
	s_delay_alu instid0(SALU_CYCLE_1)
	s_or_b32 exec_lo, exec_lo, s27
	s_and_saveexec_b32 s27, s9
	s_cbranch_execz .LBB383_867
; %bb.859:
	s_and_not1_b32 vcc_lo, exec_lo, s26
	s_cbranch_vccnz .LBB383_867
; %bb.860:
	v_mul_u64_e32 v[0:1], s[16:17], v[8:9]
	v_mul_u64_e32 v[22:23], s[16:17], v[6:7]
	s_mov_b32 s29, 0
	s_mov_b64 s[22:23], s[16:17]
                                        ; implicit-def: $sgpr28
                                        ; implicit-def: $sgpr30
                                        ; implicit-def: $sgpr33
                                        ; implicit-def: $sgpr31
                                        ; implicit-def: $sgpr34
	s_delay_alu instid0(VALU_DEP_2) | instskip(NEXT) | instid1(VALU_DEP_2)
	v_lshl_add_u64 v[0:1], v[0:1], 2, s[18:19]
	v_lshl_add_u64 v[22:23], v[22:23], 2, s[18:19]
	s_branch .LBB383_862
.LBB383_861:                            ;   in Loop: Header=BB383_862 Depth=1
	s_or_b32 exec_lo, exec_lo, s35
	s_and_b32 s14, s14, s34
	s_delay_alu instid0(SALU_CYCLE_1) | instskip(SKIP_1) | instid1(SALU_CYCLE_1)
	s_or_b32 s14, vcc_lo, s14
	s_and_b32 s15, exec_lo, s33
	s_or_b32 s29, s15, s29
	s_and_not1_b32 s15, s34, exec_lo
	s_and_b32 s14, s14, exec_lo
	s_and_not1_b32 s30, s30, exec_lo
	s_and_b32 s35, s31, exec_lo
	s_or_b32 s34, s15, s14
	s_and_not1_b32 s15, s28, exec_lo
	s_or_b32 s30, s30, s35
	s_or_b32 s28, s15, s14
	s_and_not1_b32 exec_lo, exec_lo, s29
	s_cbranch_execz .LBB383_864
.LBB383_862:                            ; =>This Inner Loop Header: Depth=1
	global_load_b32 v25, v[0:1], off
	global_load_b32 v26, v[22:23], off
	s_or_b32 s31, s31, exec_lo
	s_or_b32 s33, s33, exec_lo
	s_mov_b32 s35, exec_lo
	s_wait_loadcnt 0x0
	v_cmp_le_i32_e64 s14, v25, v26
	v_cmp_lt_i32_e32 vcc_lo, v25, v26
	v_cmpx_eq_u32_e64 v25, v26
	s_cbranch_execz .LBB383_861
; %bb.863:                              ;   in Loop: Header=BB383_862 Depth=1
	s_add_nc_u64 s[22:23], s[22:23], -1
	v_add_nc_u64_e32 v[0:1], 4, v[0:1]
	s_cmp_eq_u64 s[22:23], 0
	v_add_nc_u64_e32 v[22:23], 4, v[22:23]
	s_cselect_b32 s15, -1, 0
	s_and_not1_b32 s33, s33, exec_lo
	s_and_b32 s15, s15, exec_lo
	s_and_not1_b32 s31, s31, exec_lo
	s_or_b32 s33, s33, s15
	s_branch .LBB383_861
.LBB383_864:
	s_or_b32 exec_lo, exec_lo, s29
	s_and_saveexec_b32 s14, s30
	s_delay_alu instid0(SALU_CYCLE_1)
	s_xor_b32 s14, exec_lo, s14
; %bb.865:
	v_dual_cndmask_b32 v1, v7, v9, s28 :: v_dual_cndmask_b32 v0, v6, v8, s28
	v_dual_cndmask_b32 v9, v9, v7, s28 :: v_dual_cndmask_b32 v8, v8, v6, s28
	s_delay_alu instid0(VALU_DEP_2)
	v_mov_b64_e32 v[6:7], v[0:1]
; %bb.866:
	s_or_b32 exec_lo, exec_lo, s14
.LBB383_867:
	s_delay_alu instid0(SALU_CYCLE_1)
	s_or_b32 exec_lo, exec_lo, s27
	s_and_saveexec_b32 s27, s10
	s_cbranch_execz .LBB383_876
; %bb.868:
	s_and_not1_b32 vcc_lo, exec_lo, s26
	s_cbranch_vccnz .LBB383_876
; %bb.869:
	v_mul_u64_e32 v[0:1], s[16:17], v[4:5]
	v_mul_u64_e32 v[22:23], s[16:17], v[2:3]
	s_mov_b32 s29, 0
	s_mov_b64 s[22:23], s[16:17]
                                        ; implicit-def: $sgpr28
                                        ; implicit-def: $sgpr30
                                        ; implicit-def: $sgpr33
                                        ; implicit-def: $sgpr31
                                        ; implicit-def: $sgpr34
	s_delay_alu instid0(VALU_DEP_2) | instskip(NEXT) | instid1(VALU_DEP_2)
	v_lshl_add_u64 v[0:1], v[0:1], 2, s[18:19]
	v_lshl_add_u64 v[22:23], v[22:23], 2, s[18:19]
	s_branch .LBB383_871
.LBB383_870:                            ;   in Loop: Header=BB383_871 Depth=1
	s_or_b32 exec_lo, exec_lo, s35
	s_and_b32 s14, s14, s34
	s_delay_alu instid0(SALU_CYCLE_1) | instskip(SKIP_1) | instid1(SALU_CYCLE_1)
	s_or_b32 s14, vcc_lo, s14
	s_and_b32 s15, exec_lo, s33
	s_or_b32 s29, s15, s29
	s_and_not1_b32 s15, s34, exec_lo
	s_and_b32 s14, s14, exec_lo
	s_and_not1_b32 s30, s30, exec_lo
	s_and_b32 s35, s31, exec_lo
	s_or_b32 s34, s15, s14
	s_and_not1_b32 s15, s28, exec_lo
	s_or_b32 s30, s30, s35
	s_or_b32 s28, s15, s14
	s_and_not1_b32 exec_lo, exec_lo, s29
	s_cbranch_execz .LBB383_873
.LBB383_871:                            ; =>This Inner Loop Header: Depth=1
	global_load_b32 v25, v[0:1], off
	global_load_b32 v26, v[22:23], off
	s_or_b32 s31, s31, exec_lo
	s_or_b32 s33, s33, exec_lo
	s_mov_b32 s35, exec_lo
	s_wait_loadcnt 0x0
	v_cmp_le_i32_e64 s14, v25, v26
	v_cmp_lt_i32_e32 vcc_lo, v25, v26
	v_cmpx_eq_u32_e64 v25, v26
	s_cbranch_execz .LBB383_870
; %bb.872:                              ;   in Loop: Header=BB383_871 Depth=1
	s_add_nc_u64 s[22:23], s[22:23], -1
	v_add_nc_u64_e32 v[0:1], 4, v[0:1]
	s_cmp_eq_u64 s[22:23], 0
	v_add_nc_u64_e32 v[22:23], 4, v[22:23]
	s_cselect_b32 s15, -1, 0
	s_and_not1_b32 s33, s33, exec_lo
	s_and_b32 s15, s15, exec_lo
	s_and_not1_b32 s31, s31, exec_lo
	s_or_b32 s33, s33, s15
	s_branch .LBB383_870
.LBB383_873:
	s_or_b32 exec_lo, exec_lo, s29
	s_and_saveexec_b32 s14, s30
	s_delay_alu instid0(SALU_CYCLE_1)
	s_xor_b32 s14, exec_lo, s14
; %bb.874:
	v_dual_cndmask_b32 v1, v3, v5, s28 :: v_dual_cndmask_b32 v0, v2, v4, s28
	v_dual_cndmask_b32 v5, v5, v3, s28 :: v_dual_cndmask_b32 v4, v4, v2, s28
	s_delay_alu instid0(VALU_DEP_2)
	v_mov_b64_e32 v[2:3], v[0:1]
; %bb.875:
	s_or_b32 exec_lo, exec_lo, s14
.LBB383_876:
	s_delay_alu instid0(SALU_CYCLE_1)
	s_or_b32 exec_lo, exec_lo, s27
	s_and_saveexec_b32 s27, s11
	s_cbranch_execz .LBB383_885
; %bb.877:
	s_and_not1_b32 vcc_lo, exec_lo, s26
	s_cbranch_vccnz .LBB383_885
; %bb.878:
	v_mul_u64_e32 v[0:1], s[16:17], v[10:11]
	v_mul_u64_e32 v[22:23], s[16:17], v[16:17]
	s_mov_b32 s29, 0
	s_mov_b64 s[22:23], s[16:17]
                                        ; implicit-def: $sgpr28
                                        ; implicit-def: $sgpr30
                                        ; implicit-def: $sgpr33
                                        ; implicit-def: $sgpr31
                                        ; implicit-def: $sgpr34
	s_delay_alu instid0(VALU_DEP_2) | instskip(NEXT) | instid1(VALU_DEP_2)
	v_lshl_add_u64 v[0:1], v[0:1], 2, s[18:19]
	v_lshl_add_u64 v[22:23], v[22:23], 2, s[18:19]
	s_branch .LBB383_880
.LBB383_879:                            ;   in Loop: Header=BB383_880 Depth=1
	s_or_b32 exec_lo, exec_lo, s35
	s_and_b32 s14, s14, s34
	s_delay_alu instid0(SALU_CYCLE_1) | instskip(SKIP_1) | instid1(SALU_CYCLE_1)
	s_or_b32 s14, vcc_lo, s14
	s_and_b32 s15, exec_lo, s33
	s_or_b32 s29, s15, s29
	s_and_not1_b32 s15, s34, exec_lo
	s_and_b32 s14, s14, exec_lo
	s_and_not1_b32 s30, s30, exec_lo
	s_and_b32 s35, s31, exec_lo
	s_or_b32 s34, s15, s14
	s_and_not1_b32 s15, s28, exec_lo
	s_or_b32 s30, s30, s35
	s_or_b32 s28, s15, s14
	s_and_not1_b32 exec_lo, exec_lo, s29
	s_cbranch_execz .LBB383_882
.LBB383_880:                            ; =>This Inner Loop Header: Depth=1
	global_load_b32 v25, v[0:1], off
	global_load_b32 v26, v[22:23], off
	s_or_b32 s31, s31, exec_lo
	s_or_b32 s33, s33, exec_lo
	s_mov_b32 s35, exec_lo
	s_wait_loadcnt 0x0
	v_cmp_le_i32_e64 s14, v25, v26
	v_cmp_lt_i32_e32 vcc_lo, v25, v26
	v_cmpx_eq_u32_e64 v25, v26
	s_cbranch_execz .LBB383_879
; %bb.881:                              ;   in Loop: Header=BB383_880 Depth=1
	s_add_nc_u64 s[22:23], s[22:23], -1
	v_add_nc_u64_e32 v[0:1], 4, v[0:1]
	s_cmp_eq_u64 s[22:23], 0
	v_add_nc_u64_e32 v[22:23], 4, v[22:23]
	s_cselect_b32 s15, -1, 0
	s_and_not1_b32 s33, s33, exec_lo
	s_and_b32 s15, s15, exec_lo
	s_and_not1_b32 s31, s31, exec_lo
	s_or_b32 s33, s33, s15
	s_branch .LBB383_879
.LBB383_882:
	s_or_b32 exec_lo, exec_lo, s29
	s_and_saveexec_b32 s14, s30
	s_delay_alu instid0(SALU_CYCLE_1)
	s_xor_b32 s14, exec_lo, s14
; %bb.883:
	v_dual_cndmask_b32 v1, v17, v11, s28 :: v_dual_cndmask_b32 v0, v16, v10, s28
	v_dual_cndmask_b32 v11, v11, v17, s28 :: v_dual_cndmask_b32 v10, v10, v16, s28
	s_delay_alu instid0(VALU_DEP_2)
	v_mov_b64_e32 v[16:17], v[0:1]
; %bb.884:
	s_or_b32 exec_lo, exec_lo, s14
.LBB383_885:
	s_delay_alu instid0(SALU_CYCLE_1)
	s_or_b32 exec_lo, exec_lo, s27
	s_and_saveexec_b32 s27, s12
	s_cbranch_execz .LBB383_894
; %bb.886:
	s_and_not1_b32 vcc_lo, exec_lo, s26
	s_cbranch_vccnz .LBB383_894
; %bb.887:
	v_mul_u64_e32 v[0:1], s[16:17], v[6:7]
	v_mul_u64_e32 v[22:23], s[16:17], v[12:13]
	s_mov_b32 s29, 0
	s_mov_b64 s[22:23], s[16:17]
                                        ; implicit-def: $sgpr28
                                        ; implicit-def: $sgpr30
                                        ; implicit-def: $sgpr33
                                        ; implicit-def: $sgpr31
                                        ; implicit-def: $sgpr34
	s_delay_alu instid0(VALU_DEP_2) | instskip(NEXT) | instid1(VALU_DEP_2)
	v_lshl_add_u64 v[0:1], v[0:1], 2, s[18:19]
	v_lshl_add_u64 v[22:23], v[22:23], 2, s[18:19]
	s_branch .LBB383_889
.LBB383_888:                            ;   in Loop: Header=BB383_889 Depth=1
	s_or_b32 exec_lo, exec_lo, s35
	s_and_b32 s14, s14, s34
	s_delay_alu instid0(SALU_CYCLE_1) | instskip(SKIP_1) | instid1(SALU_CYCLE_1)
	s_or_b32 s14, vcc_lo, s14
	s_and_b32 s15, exec_lo, s33
	s_or_b32 s29, s15, s29
	s_and_not1_b32 s15, s34, exec_lo
	s_and_b32 s14, s14, exec_lo
	s_and_not1_b32 s30, s30, exec_lo
	s_and_b32 s35, s31, exec_lo
	s_or_b32 s34, s15, s14
	s_and_not1_b32 s15, s28, exec_lo
	s_or_b32 s30, s30, s35
	s_or_b32 s28, s15, s14
	s_and_not1_b32 exec_lo, exec_lo, s29
	s_cbranch_execz .LBB383_891
.LBB383_889:                            ; =>This Inner Loop Header: Depth=1
	global_load_b32 v25, v[0:1], off
	global_load_b32 v26, v[22:23], off
	s_or_b32 s31, s31, exec_lo
	s_or_b32 s33, s33, exec_lo
	s_mov_b32 s35, exec_lo
	s_wait_loadcnt 0x0
	v_cmp_le_i32_e64 s14, v25, v26
	v_cmp_lt_i32_e32 vcc_lo, v25, v26
	v_cmpx_eq_u32_e64 v25, v26
	s_cbranch_execz .LBB383_888
; %bb.890:                              ;   in Loop: Header=BB383_889 Depth=1
	s_add_nc_u64 s[22:23], s[22:23], -1
	v_add_nc_u64_e32 v[0:1], 4, v[0:1]
	s_cmp_eq_u64 s[22:23], 0
	v_add_nc_u64_e32 v[22:23], 4, v[22:23]
	s_cselect_b32 s15, -1, 0
	s_and_not1_b32 s33, s33, exec_lo
	s_and_b32 s15, s15, exec_lo
	s_and_not1_b32 s31, s31, exec_lo
	s_or_b32 s33, s33, s15
	s_branch .LBB383_888
.LBB383_891:
	s_or_b32 exec_lo, exec_lo, s29
	s_and_saveexec_b32 s14, s30
	s_delay_alu instid0(SALU_CYCLE_1)
	s_xor_b32 s14, exec_lo, s14
; %bb.892:
	v_dual_cndmask_b32 v1, v13, v7, s28 :: v_dual_cndmask_b32 v0, v12, v6, s28
	v_dual_cndmask_b32 v7, v7, v13, s28 :: v_dual_cndmask_b32 v6, v6, v12, s28
	s_delay_alu instid0(VALU_DEP_2)
	v_mov_b64_e32 v[12:13], v[0:1]
; %bb.893:
	s_or_b32 exec_lo, exec_lo, s14
.LBB383_894:
	s_delay_alu instid0(SALU_CYCLE_1)
	s_or_b32 exec_lo, exec_lo, s27
	s_and_saveexec_b32 s27, s13
	s_cbranch_execz .LBB383_903
; %bb.895:
	s_and_not1_b32 vcc_lo, exec_lo, s26
	s_cbranch_vccnz .LBB383_903
; %bb.896:
	v_mul_u64_e32 v[0:1], s[16:17], v[2:3]
	v_mul_u64_e32 v[22:23], s[16:17], v[8:9]
	s_mov_b32 s29, 0
	s_mov_b64 s[22:23], s[16:17]
                                        ; implicit-def: $sgpr28
                                        ; implicit-def: $sgpr30
                                        ; implicit-def: $sgpr33
                                        ; implicit-def: $sgpr31
                                        ; implicit-def: $sgpr34
	s_delay_alu instid0(VALU_DEP_2) | instskip(NEXT) | instid1(VALU_DEP_2)
	v_lshl_add_u64 v[0:1], v[0:1], 2, s[18:19]
	v_lshl_add_u64 v[22:23], v[22:23], 2, s[18:19]
	s_branch .LBB383_898
.LBB383_897:                            ;   in Loop: Header=BB383_898 Depth=1
	s_or_b32 exec_lo, exec_lo, s35
	s_and_b32 s14, s14, s34
	s_delay_alu instid0(SALU_CYCLE_1) | instskip(SKIP_1) | instid1(SALU_CYCLE_1)
	s_or_b32 s14, vcc_lo, s14
	s_and_b32 s15, exec_lo, s33
	s_or_b32 s29, s15, s29
	s_and_not1_b32 s15, s34, exec_lo
	s_and_b32 s14, s14, exec_lo
	s_and_not1_b32 s30, s30, exec_lo
	s_and_b32 s35, s31, exec_lo
	s_or_b32 s34, s15, s14
	s_and_not1_b32 s15, s28, exec_lo
	s_or_b32 s30, s30, s35
	s_or_b32 s28, s15, s14
	s_and_not1_b32 exec_lo, exec_lo, s29
	s_cbranch_execz .LBB383_900
.LBB383_898:                            ; =>This Inner Loop Header: Depth=1
	global_load_b32 v25, v[0:1], off
	global_load_b32 v26, v[22:23], off
	s_or_b32 s31, s31, exec_lo
	s_or_b32 s33, s33, exec_lo
	s_mov_b32 s35, exec_lo
	s_wait_loadcnt 0x0
	v_cmp_le_i32_e64 s14, v25, v26
	v_cmp_lt_i32_e32 vcc_lo, v25, v26
	v_cmpx_eq_u32_e64 v25, v26
	s_cbranch_execz .LBB383_897
; %bb.899:                              ;   in Loop: Header=BB383_898 Depth=1
	s_add_nc_u64 s[22:23], s[22:23], -1
	v_add_nc_u64_e32 v[0:1], 4, v[0:1]
	s_cmp_eq_u64 s[22:23], 0
	v_add_nc_u64_e32 v[22:23], 4, v[22:23]
	s_cselect_b32 s15, -1, 0
	s_and_not1_b32 s33, s33, exec_lo
	s_and_b32 s15, s15, exec_lo
	s_and_not1_b32 s31, s31, exec_lo
	s_or_b32 s33, s33, s15
	s_branch .LBB383_897
.LBB383_900:
	s_or_b32 exec_lo, exec_lo, s29
	s_and_saveexec_b32 s14, s30
	s_delay_alu instid0(SALU_CYCLE_1)
	s_xor_b32 s14, exec_lo, s14
; %bb.901:
	v_dual_cndmask_b32 v1, v9, v3, s28 :: v_dual_cndmask_b32 v0, v8, v2, s28
	v_dual_cndmask_b32 v3, v3, v9, s28 :: v_dual_cndmask_b32 v2, v2, v8, s28
	s_delay_alu instid0(VALU_DEP_2)
	v_mov_b64_e32 v[8:9], v[0:1]
; %bb.902:
	s_or_b32 exec_lo, exec_lo, s14
.LBB383_903:
	s_delay_alu instid0(SALU_CYCLE_1)
	s_or_b32 exec_lo, exec_lo, s27
	s_and_saveexec_b32 s15, s7
	s_cbranch_execz .LBB383_912
; %bb.904:
	s_and_not1_b32 vcc_lo, exec_lo, s26
	s_cbranch_vccnz .LBB383_912
; %bb.905:
	v_mul_u64_e32 v[0:1], s[16:17], v[16:17]
	v_mul_u64_e32 v[22:23], s[16:17], v[14:15]
	s_mov_b32 s28, 0
	s_mov_b64 s[22:23], s[16:17]
                                        ; implicit-def: $sgpr27
                                        ; implicit-def: $sgpr29
                                        ; implicit-def: $sgpr31
                                        ; implicit-def: $sgpr30
                                        ; implicit-def: $sgpr33
	s_delay_alu instid0(VALU_DEP_2) | instskip(NEXT) | instid1(VALU_DEP_2)
	v_lshl_add_u64 v[0:1], v[0:1], 2, s[18:19]
	v_lshl_add_u64 v[22:23], v[22:23], 2, s[18:19]
	s_branch .LBB383_907
.LBB383_906:                            ;   in Loop: Header=BB383_907 Depth=1
	s_or_b32 exec_lo, exec_lo, s34
	s_and_b32 s7, s7, s33
	s_delay_alu instid0(SALU_CYCLE_1) | instskip(SKIP_1) | instid1(SALU_CYCLE_1)
	s_or_b32 s7, vcc_lo, s7
	s_and_b32 s14, exec_lo, s31
	s_or_b32 s28, s14, s28
	s_and_not1_b32 s14, s33, exec_lo
	s_and_b32 s7, s7, exec_lo
	s_and_not1_b32 s29, s29, exec_lo
	s_and_b32 s34, s30, exec_lo
	s_or_b32 s33, s14, s7
	s_and_not1_b32 s14, s27, exec_lo
	s_or_b32 s29, s29, s34
	s_or_b32 s27, s14, s7
	s_and_not1_b32 exec_lo, exec_lo, s28
	s_cbranch_execz .LBB383_909
.LBB383_907:                            ; =>This Inner Loop Header: Depth=1
	global_load_b32 v25, v[0:1], off
	global_load_b32 v26, v[22:23], off
	s_or_b32 s30, s30, exec_lo
	s_or_b32 s31, s31, exec_lo
	s_mov_b32 s34, exec_lo
	s_wait_loadcnt 0x0
	v_cmp_le_i32_e64 s7, v25, v26
	v_cmp_lt_i32_e32 vcc_lo, v25, v26
	v_cmpx_eq_u32_e64 v25, v26
	s_cbranch_execz .LBB383_906
; %bb.908:                              ;   in Loop: Header=BB383_907 Depth=1
	s_add_nc_u64 s[22:23], s[22:23], -1
	v_add_nc_u64_e32 v[0:1], 4, v[0:1]
	s_cmp_eq_u64 s[22:23], 0
	v_add_nc_u64_e32 v[22:23], 4, v[22:23]
	s_cselect_b32 s14, -1, 0
	s_and_not1_b32 s31, s31, exec_lo
	s_and_b32 s14, s14, exec_lo
	s_and_not1_b32 s30, s30, exec_lo
	s_or_b32 s31, s31, s14
	s_branch .LBB383_906
.LBB383_909:
	s_or_b32 exec_lo, exec_lo, s28
	s_and_saveexec_b32 s7, s29
	s_delay_alu instid0(SALU_CYCLE_1)
	s_xor_b32 s7, exec_lo, s7
; %bb.910:
	v_dual_cndmask_b32 v1, v17, v15, s27 :: v_dual_cndmask_b32 v0, v16, v14, s27
	v_dual_cndmask_b32 v15, v15, v17, s27 :: v_dual_cndmask_b32 v14, v14, v16, s27
	s_delay_alu instid0(VALU_DEP_2)
	v_mov_b64_e32 v[16:17], v[0:1]
; %bb.911:
	s_or_b32 exec_lo, exec_lo, s7
.LBB383_912:
	s_delay_alu instid0(SALU_CYCLE_1)
	s_or_b32 exec_lo, exec_lo, s15
	s_and_saveexec_b32 s22, s8
	s_cbranch_execz .LBB383_921
; %bb.913:
	s_and_not1_b32 vcc_lo, exec_lo, s26
	s_cbranch_vccnz .LBB383_921
; %bb.914:
	v_mul_u64_e32 v[0:1], s[16:17], v[12:13]
	v_mul_u64_e32 v[22:23], s[16:17], v[10:11]
	s_mov_b32 s27, 0
	s_mov_b64 s[14:15], s[16:17]
                                        ; implicit-def: $sgpr23
                                        ; implicit-def: $sgpr28
                                        ; implicit-def: $sgpr30
                                        ; implicit-def: $sgpr29
                                        ; implicit-def: $sgpr31
	s_delay_alu instid0(VALU_DEP_2) | instskip(NEXT) | instid1(VALU_DEP_2)
	v_lshl_add_u64 v[0:1], v[0:1], 2, s[18:19]
	v_lshl_add_u64 v[22:23], v[22:23], 2, s[18:19]
	s_branch .LBB383_916
.LBB383_915:                            ;   in Loop: Header=BB383_916 Depth=1
	s_or_b32 exec_lo, exec_lo, s33
	s_and_b32 s7, s7, s31
	s_delay_alu instid0(SALU_CYCLE_1) | instskip(SKIP_1) | instid1(SALU_CYCLE_1)
	s_or_b32 s7, vcc_lo, s7
	s_and_b32 s8, exec_lo, s30
	s_or_b32 s27, s8, s27
	s_and_not1_b32 s8, s31, exec_lo
	s_and_b32 s7, s7, exec_lo
	s_and_not1_b32 s28, s28, exec_lo
	s_and_b32 s33, s29, exec_lo
	s_or_b32 s31, s8, s7
	s_and_not1_b32 s8, s23, exec_lo
	s_or_b32 s28, s28, s33
	s_or_b32 s23, s8, s7
	s_and_not1_b32 exec_lo, exec_lo, s27
	s_cbranch_execz .LBB383_918
.LBB383_916:                            ; =>This Inner Loop Header: Depth=1
	global_load_b32 v25, v[0:1], off
	global_load_b32 v26, v[22:23], off
	s_or_b32 s29, s29, exec_lo
	s_or_b32 s30, s30, exec_lo
	s_mov_b32 s33, exec_lo
	s_wait_loadcnt 0x0
	v_cmp_le_i32_e64 s7, v25, v26
	v_cmp_lt_i32_e32 vcc_lo, v25, v26
	v_cmpx_eq_u32_e64 v25, v26
	s_cbranch_execz .LBB383_915
; %bb.917:                              ;   in Loop: Header=BB383_916 Depth=1
	s_add_nc_u64 s[14:15], s[14:15], -1
	v_add_nc_u64_e32 v[0:1], 4, v[0:1]
	s_cmp_eq_u64 s[14:15], 0
	v_add_nc_u64_e32 v[22:23], 4, v[22:23]
	s_cselect_b32 s8, -1, 0
	s_and_not1_b32 s30, s30, exec_lo
	s_and_b32 s8, s8, exec_lo
	s_and_not1_b32 s29, s29, exec_lo
	s_or_b32 s30, s30, s8
	s_branch .LBB383_915
.LBB383_918:
	s_or_b32 exec_lo, exec_lo, s27
	s_and_saveexec_b32 s7, s28
	s_delay_alu instid0(SALU_CYCLE_1)
	s_xor_b32 s7, exec_lo, s7
; %bb.919:
	v_dual_cndmask_b32 v1, v11, v13, s23 :: v_dual_cndmask_b32 v0, v10, v12, s23
	v_dual_cndmask_b32 v13, v13, v11, s23 :: v_dual_cndmask_b32 v12, v12, v10, s23
	s_delay_alu instid0(VALU_DEP_2)
	v_mov_b64_e32 v[10:11], v[0:1]
; %bb.920:
	s_or_b32 exec_lo, exec_lo, s7
.LBB383_921:
	s_delay_alu instid0(SALU_CYCLE_1)
	s_or_b32 exec_lo, exec_lo, s22
	s_and_saveexec_b32 s22, s9
	s_cbranch_execz .LBB383_930
; %bb.922:
	s_and_not1_b32 vcc_lo, exec_lo, s26
	s_cbranch_vccnz .LBB383_930
; %bb.923:
	v_mul_u64_e32 v[0:1], s[16:17], v[8:9]
	v_mul_u64_e32 v[22:23], s[16:17], v[6:7]
	s_mov_b32 s23, 0
	s_mov_b64 s[14:15], s[16:17]
                                        ; implicit-def: $sgpr9
                                        ; implicit-def: $sgpr27
                                        ; implicit-def: $sgpr29
                                        ; implicit-def: $sgpr28
                                        ; implicit-def: $sgpr30
	s_delay_alu instid0(VALU_DEP_2) | instskip(NEXT) | instid1(VALU_DEP_2)
	v_lshl_add_u64 v[0:1], v[0:1], 2, s[18:19]
	v_lshl_add_u64 v[22:23], v[22:23], 2, s[18:19]
	s_branch .LBB383_925
.LBB383_924:                            ;   in Loop: Header=BB383_925 Depth=1
	s_or_b32 exec_lo, exec_lo, s31
	s_and_b32 s7, s7, s30
	s_delay_alu instid0(SALU_CYCLE_1) | instskip(SKIP_1) | instid1(SALU_CYCLE_1)
	s_or_b32 s7, vcc_lo, s7
	s_and_b32 s8, exec_lo, s29
	s_or_b32 s23, s8, s23
	s_and_not1_b32 s8, s30, exec_lo
	s_and_b32 s7, s7, exec_lo
	s_and_not1_b32 s27, s27, exec_lo
	s_and_b32 s31, s28, exec_lo
	s_or_b32 s30, s8, s7
	s_and_not1_b32 s8, s9, exec_lo
	s_or_b32 s27, s27, s31
	s_or_b32 s9, s8, s7
	s_and_not1_b32 exec_lo, exec_lo, s23
	s_cbranch_execz .LBB383_927
.LBB383_925:                            ; =>This Inner Loop Header: Depth=1
	global_load_b32 v25, v[0:1], off
	global_load_b32 v26, v[22:23], off
	s_or_b32 s28, s28, exec_lo
	s_or_b32 s29, s29, exec_lo
	s_mov_b32 s31, exec_lo
	s_wait_loadcnt 0x0
	v_cmp_le_i32_e64 s7, v25, v26
	v_cmp_lt_i32_e32 vcc_lo, v25, v26
	v_cmpx_eq_u32_e64 v25, v26
	s_cbranch_execz .LBB383_924
; %bb.926:                              ;   in Loop: Header=BB383_925 Depth=1
	s_add_nc_u64 s[14:15], s[14:15], -1
	v_add_nc_u64_e32 v[0:1], 4, v[0:1]
	s_cmp_eq_u64 s[14:15], 0
	v_add_nc_u64_e32 v[22:23], 4, v[22:23]
	s_cselect_b32 s8, -1, 0
	s_and_not1_b32 s29, s29, exec_lo
	s_and_b32 s8, s8, exec_lo
	s_and_not1_b32 s28, s28, exec_lo
	s_or_b32 s29, s29, s8
	s_branch .LBB383_924
.LBB383_927:
	s_or_b32 exec_lo, exec_lo, s23
	s_and_saveexec_b32 s7, s27
	s_delay_alu instid0(SALU_CYCLE_1)
	s_xor_b32 s7, exec_lo, s7
; %bb.928:
	v_dual_cndmask_b32 v1, v7, v9, s9 :: v_dual_cndmask_b32 v0, v6, v8, s9
	v_dual_cndmask_b32 v9, v9, v7, s9 :: v_dual_cndmask_b32 v8, v8, v6, s9
	s_delay_alu instid0(VALU_DEP_2)
	v_mov_b64_e32 v[6:7], v[0:1]
; %bb.929:
	s_or_b32 exec_lo, exec_lo, s7
.LBB383_930:
	s_delay_alu instid0(SALU_CYCLE_1)
	s_or_b32 exec_lo, exec_lo, s22
	s_and_saveexec_b32 s9, s10
	s_cbranch_execz .LBB383_939
; %bb.931:
	s_and_not1_b32 vcc_lo, exec_lo, s26
	s_cbranch_vccnz .LBB383_939
; %bb.932:
	v_mul_u64_e32 v[0:1], s[16:17], v[4:5]
	v_mul_u64_e32 v[22:23], s[16:17], v[2:3]
	s_mov_b32 s22, 0
	s_mov_b64 s[14:15], s[16:17]
                                        ; implicit-def: $sgpr10
                                        ; implicit-def: $sgpr23
                                        ; implicit-def: $sgpr28
                                        ; implicit-def: $sgpr27
                                        ; implicit-def: $sgpr29
	s_delay_alu instid0(VALU_DEP_2) | instskip(NEXT) | instid1(VALU_DEP_2)
	v_lshl_add_u64 v[0:1], v[0:1], 2, s[18:19]
	v_lshl_add_u64 v[22:23], v[22:23], 2, s[18:19]
	s_branch .LBB383_934
.LBB383_933:                            ;   in Loop: Header=BB383_934 Depth=1
	s_or_b32 exec_lo, exec_lo, s30
	s_and_b32 s7, s7, s29
	s_delay_alu instid0(SALU_CYCLE_1) | instskip(SKIP_1) | instid1(SALU_CYCLE_1)
	s_or_b32 s7, vcc_lo, s7
	s_and_b32 s8, exec_lo, s28
	s_or_b32 s22, s8, s22
	s_and_not1_b32 s8, s29, exec_lo
	s_and_b32 s7, s7, exec_lo
	s_and_not1_b32 s23, s23, exec_lo
	s_and_b32 s30, s27, exec_lo
	s_or_b32 s29, s8, s7
	s_and_not1_b32 s8, s10, exec_lo
	s_or_b32 s23, s23, s30
	s_or_b32 s10, s8, s7
	s_and_not1_b32 exec_lo, exec_lo, s22
	s_cbranch_execz .LBB383_936
.LBB383_934:                            ; =>This Inner Loop Header: Depth=1
	global_load_b32 v25, v[0:1], off
	global_load_b32 v26, v[22:23], off
	s_or_b32 s27, s27, exec_lo
	s_or_b32 s28, s28, exec_lo
	s_mov_b32 s30, exec_lo
	s_wait_loadcnt 0x0
	v_cmp_le_i32_e64 s7, v25, v26
	v_cmp_lt_i32_e32 vcc_lo, v25, v26
	v_cmpx_eq_u32_e64 v25, v26
	s_cbranch_execz .LBB383_933
; %bb.935:                              ;   in Loop: Header=BB383_934 Depth=1
	s_add_nc_u64 s[14:15], s[14:15], -1
	v_add_nc_u64_e32 v[0:1], 4, v[0:1]
	s_cmp_eq_u64 s[14:15], 0
	v_add_nc_u64_e32 v[22:23], 4, v[22:23]
	s_cselect_b32 s8, -1, 0
	s_and_not1_b32 s28, s28, exec_lo
	s_and_b32 s8, s8, exec_lo
	s_and_not1_b32 s27, s27, exec_lo
	s_or_b32 s28, s28, s8
	s_branch .LBB383_933
.LBB383_936:
	s_or_b32 exec_lo, exec_lo, s22
	s_and_saveexec_b32 s7, s23
	s_delay_alu instid0(SALU_CYCLE_1)
	s_xor_b32 s7, exec_lo, s7
; %bb.937:
	v_dual_cndmask_b32 v1, v3, v5, s10 :: v_dual_cndmask_b32 v0, v2, v4, s10
	v_dual_cndmask_b32 v5, v5, v3, s10 :: v_dual_cndmask_b32 v4, v4, v2, s10
	s_delay_alu instid0(VALU_DEP_2)
	v_mov_b64_e32 v[2:3], v[0:1]
; %bb.938:
	s_or_b32 exec_lo, exec_lo, s7
.LBB383_939:
	s_delay_alu instid0(SALU_CYCLE_1)
	s_or_b32 exec_lo, exec_lo, s9
	s_and_saveexec_b32 s9, s11
	s_cbranch_execz .LBB383_948
; %bb.940:
	s_and_not1_b32 vcc_lo, exec_lo, s26
	s_cbranch_vccnz .LBB383_948
; %bb.941:
	v_mul_u64_e32 v[0:1], s[16:17], v[10:11]
	v_mul_u64_e32 v[22:23], s[16:17], v[16:17]
	s_mov_b32 s15, 0
	s_mov_b64 s[10:11], s[16:17]
                                        ; implicit-def: $sgpr14
                                        ; implicit-def: $sgpr22
                                        ; implicit-def: $sgpr27
                                        ; implicit-def: $sgpr23
                                        ; implicit-def: $sgpr28
	s_delay_alu instid0(VALU_DEP_2) | instskip(NEXT) | instid1(VALU_DEP_2)
	v_lshl_add_u64 v[0:1], v[0:1], 2, s[18:19]
	v_lshl_add_u64 v[22:23], v[22:23], 2, s[18:19]
	s_branch .LBB383_943
.LBB383_942:                            ;   in Loop: Header=BB383_943 Depth=1
	s_or_b32 exec_lo, exec_lo, s29
	s_and_b32 s7, s7, s28
	s_delay_alu instid0(SALU_CYCLE_1) | instskip(SKIP_1) | instid1(SALU_CYCLE_1)
	s_or_b32 s7, vcc_lo, s7
	s_and_b32 s8, exec_lo, s27
	s_or_b32 s15, s8, s15
	s_and_not1_b32 s8, s28, exec_lo
	s_and_b32 s7, s7, exec_lo
	s_and_not1_b32 s22, s22, exec_lo
	s_and_b32 s29, s23, exec_lo
	s_or_b32 s28, s8, s7
	s_and_not1_b32 s8, s14, exec_lo
	s_or_b32 s22, s22, s29
	s_or_b32 s14, s8, s7
	s_and_not1_b32 exec_lo, exec_lo, s15
	s_cbranch_execz .LBB383_945
.LBB383_943:                            ; =>This Inner Loop Header: Depth=1
	global_load_b32 v25, v[0:1], off
	global_load_b32 v26, v[22:23], off
	s_or_b32 s23, s23, exec_lo
	s_or_b32 s27, s27, exec_lo
	s_mov_b32 s29, exec_lo
	s_wait_loadcnt 0x0
	v_cmp_le_i32_e64 s7, v25, v26
	v_cmp_lt_i32_e32 vcc_lo, v25, v26
	v_cmpx_eq_u32_e64 v25, v26
	s_cbranch_execz .LBB383_942
; %bb.944:                              ;   in Loop: Header=BB383_943 Depth=1
	s_add_nc_u64 s[10:11], s[10:11], -1
	v_add_nc_u64_e32 v[0:1], 4, v[0:1]
	s_cmp_eq_u64 s[10:11], 0
	v_add_nc_u64_e32 v[22:23], 4, v[22:23]
	s_cselect_b32 s8, -1, 0
	s_and_not1_b32 s27, s27, exec_lo
	s_and_b32 s8, s8, exec_lo
	s_and_not1_b32 s23, s23, exec_lo
	s_or_b32 s27, s27, s8
	s_branch .LBB383_942
.LBB383_945:
	s_or_b32 exec_lo, exec_lo, s15
	s_and_saveexec_b32 s7, s22
	s_delay_alu instid0(SALU_CYCLE_1)
	s_xor_b32 s7, exec_lo, s7
; %bb.946:
	v_dual_cndmask_b32 v1, v17, v11, s14 :: v_dual_cndmask_b32 v0, v16, v10, s14
	v_dual_cndmask_b32 v11, v11, v17, s14 :: v_dual_cndmask_b32 v10, v10, v16, s14
	s_delay_alu instid0(VALU_DEP_2)
	v_mov_b64_e32 v[16:17], v[0:1]
; %bb.947:
	s_or_b32 exec_lo, exec_lo, s7
.LBB383_948:
	s_delay_alu instid0(SALU_CYCLE_1)
	s_or_b32 exec_lo, exec_lo, s9
	s_and_saveexec_b32 s9, s12
	s_cbranch_execz .LBB383_957
; %bb.949:
	s_and_not1_b32 vcc_lo, exec_lo, s26
	s_cbranch_vccnz .LBB383_957
; %bb.950:
	v_mul_u64_e32 v[0:1], s[16:17], v[6:7]
	v_mul_u64_e32 v[22:23], s[16:17], v[12:13]
	s_mov_b32 s14, 0
	s_mov_b64 s[10:11], s[16:17]
                                        ; implicit-def: $sgpr12
                                        ; implicit-def: $sgpr15
                                        ; implicit-def: $sgpr23
                                        ; implicit-def: $sgpr22
                                        ; implicit-def: $sgpr27
	s_delay_alu instid0(VALU_DEP_2) | instskip(NEXT) | instid1(VALU_DEP_2)
	v_lshl_add_u64 v[0:1], v[0:1], 2, s[18:19]
	v_lshl_add_u64 v[22:23], v[22:23], 2, s[18:19]
	s_branch .LBB383_952
.LBB383_951:                            ;   in Loop: Header=BB383_952 Depth=1
	s_or_b32 exec_lo, exec_lo, s28
	s_and_b32 s7, s7, s27
	s_delay_alu instid0(SALU_CYCLE_1) | instskip(SKIP_1) | instid1(SALU_CYCLE_1)
	s_or_b32 s7, vcc_lo, s7
	s_and_b32 s8, exec_lo, s23
	s_or_b32 s14, s8, s14
	s_and_not1_b32 s8, s27, exec_lo
	s_and_b32 s7, s7, exec_lo
	s_and_not1_b32 s15, s15, exec_lo
	s_and_b32 s28, s22, exec_lo
	s_or_b32 s27, s8, s7
	s_and_not1_b32 s8, s12, exec_lo
	s_or_b32 s15, s15, s28
	s_or_b32 s12, s8, s7
	s_and_not1_b32 exec_lo, exec_lo, s14
	s_cbranch_execz .LBB383_954
.LBB383_952:                            ; =>This Inner Loop Header: Depth=1
	global_load_b32 v25, v[0:1], off
	global_load_b32 v26, v[22:23], off
	s_or_b32 s22, s22, exec_lo
	s_or_b32 s23, s23, exec_lo
	s_mov_b32 s28, exec_lo
	s_wait_loadcnt 0x0
	v_cmp_le_i32_e64 s7, v25, v26
	v_cmp_lt_i32_e32 vcc_lo, v25, v26
	v_cmpx_eq_u32_e64 v25, v26
	s_cbranch_execz .LBB383_951
; %bb.953:                              ;   in Loop: Header=BB383_952 Depth=1
	s_add_nc_u64 s[10:11], s[10:11], -1
	v_add_nc_u64_e32 v[0:1], 4, v[0:1]
	s_cmp_eq_u64 s[10:11], 0
	v_add_nc_u64_e32 v[22:23], 4, v[22:23]
	s_cselect_b32 s8, -1, 0
	s_and_not1_b32 s23, s23, exec_lo
	s_and_b32 s8, s8, exec_lo
	s_and_not1_b32 s22, s22, exec_lo
	s_or_b32 s23, s23, s8
	s_branch .LBB383_951
.LBB383_954:
	s_or_b32 exec_lo, exec_lo, s14
	s_and_saveexec_b32 s7, s15
	s_delay_alu instid0(SALU_CYCLE_1)
	s_xor_b32 s7, exec_lo, s7
; %bb.955:
	v_dual_cndmask_b32 v1, v13, v7, s12 :: v_dual_cndmask_b32 v0, v12, v6, s12
	v_dual_cndmask_b32 v7, v7, v13, s12 :: v_dual_cndmask_b32 v6, v6, v12, s12
	s_delay_alu instid0(VALU_DEP_2)
	v_mov_b64_e32 v[12:13], v[0:1]
; %bb.956:
	s_or_b32 exec_lo, exec_lo, s7
.LBB383_957:
	s_delay_alu instid0(SALU_CYCLE_1)
	s_or_b32 exec_lo, exec_lo, s9
	s_and_saveexec_b32 s9, s13
	s_cbranch_execz .LBB383_966
; %bb.958:
	s_and_not1_b32 vcc_lo, exec_lo, s26
	s_cbranch_vccnz .LBB383_966
; %bb.959:
	v_mul_u64_e32 v[0:1], s[16:17], v[2:3]
	v_mul_u64_e32 v[22:23], s[16:17], v[8:9]
	s_mov_b32 s13, 0
	s_mov_b64 s[10:11], s[16:17]
                                        ; implicit-def: $sgpr12
                                        ; implicit-def: $sgpr14
                                        ; implicit-def: $sgpr22
                                        ; implicit-def: $sgpr15
                                        ; implicit-def: $sgpr23
	s_delay_alu instid0(VALU_DEP_2) | instskip(NEXT) | instid1(VALU_DEP_2)
	v_lshl_add_u64 v[0:1], v[0:1], 2, s[18:19]
	v_lshl_add_u64 v[22:23], v[22:23], 2, s[18:19]
	s_branch .LBB383_961
.LBB383_960:                            ;   in Loop: Header=BB383_961 Depth=1
	s_or_b32 exec_lo, exec_lo, s27
	s_and_b32 s7, s7, s23
	s_delay_alu instid0(SALU_CYCLE_1) | instskip(SKIP_1) | instid1(SALU_CYCLE_1)
	s_or_b32 s7, vcc_lo, s7
	s_and_b32 s8, exec_lo, s22
	s_or_b32 s13, s8, s13
	s_and_not1_b32 s8, s23, exec_lo
	s_and_b32 s7, s7, exec_lo
	s_and_not1_b32 s14, s14, exec_lo
	s_and_b32 s27, s15, exec_lo
	s_or_b32 s23, s8, s7
	s_and_not1_b32 s8, s12, exec_lo
	s_or_b32 s14, s14, s27
	s_or_b32 s12, s8, s7
	s_and_not1_b32 exec_lo, exec_lo, s13
	s_cbranch_execz .LBB383_963
.LBB383_961:                            ; =>This Inner Loop Header: Depth=1
	global_load_b32 v25, v[0:1], off
	global_load_b32 v26, v[22:23], off
	s_or_b32 s15, s15, exec_lo
	s_or_b32 s22, s22, exec_lo
	s_mov_b32 s27, exec_lo
	s_wait_loadcnt 0x0
	v_cmp_le_i32_e64 s7, v25, v26
	v_cmp_lt_i32_e32 vcc_lo, v25, v26
	v_cmpx_eq_u32_e64 v25, v26
	s_cbranch_execz .LBB383_960
; %bb.962:                              ;   in Loop: Header=BB383_961 Depth=1
	s_add_nc_u64 s[10:11], s[10:11], -1
	v_add_nc_u64_e32 v[0:1], 4, v[0:1]
	s_cmp_eq_u64 s[10:11], 0
	v_add_nc_u64_e32 v[22:23], 4, v[22:23]
	s_cselect_b32 s8, -1, 0
	s_and_not1_b32 s22, s22, exec_lo
	s_and_b32 s8, s8, exec_lo
	s_and_not1_b32 s15, s15, exec_lo
	s_or_b32 s22, s22, s8
	s_branch .LBB383_960
.LBB383_963:
	s_or_b32 exec_lo, exec_lo, s13
	s_and_saveexec_b32 s7, s14
	s_delay_alu instid0(SALU_CYCLE_1)
	s_xor_b32 s7, exec_lo, s7
; %bb.964:
	v_dual_cndmask_b32 v1, v9, v3, s12 :: v_dual_cndmask_b32 v0, v8, v2, s12
	v_dual_cndmask_b32 v3, v3, v9, s12 :: v_dual_cndmask_b32 v2, v2, v8, s12
	s_delay_alu instid0(VALU_DEP_2)
	v_mov_b64_e32 v[8:9], v[0:1]
; %bb.965:
	s_or_b32 exec_lo, exec_lo, s7
.LBB383_966:
	s_delay_alu instid0(SALU_CYCLE_1) | instskip(SKIP_4) | instid1(VALU_DEP_1)
	s_or_b32 exec_lo, exec_lo, s9
	v_mbcnt_lo_u32_b32 v0, -1, 0
	v_and_b32_e32 v1, 0xffffff00, v24
	s_mov_b32 s12, 0
	s_mov_b32 s13, exec_lo
	v_dual_lshlrev_b32 v45, 3, v0 :: v_dual_lshlrev_b32 v43, 3, v1
	v_sub_nc_u32_e64 v44, s25, v1 clamp
	s_delay_alu instid0(VALU_DEP_2) | instskip(SKIP_1) | instid1(VALU_DEP_4)
	v_or_b32_e32 v22, 8, v45
	v_and_b32_e32 v26, 0xf0, v45
	v_lshl_or_b32 v46, v0, 6, v43
	ds_store_b128 v46, v[14:17]
	ds_store_b128 v46, v[10:13] offset:16
	v_min_u32_e32 v47, v44, v22
	v_and_b32_e32 v22, 8, v45
	v_lshl_or_b32 v25, v26, 3, v43
	ds_store_b128 v46, v[6:9] offset:32
	ds_store_b128 v46, v[2:5] offset:48
	v_add_min_u32_e64 v48, v47, 8, v44
	v_min_u32_e32 v27, v44, v22
	v_sub_nc_u32_e32 v22, v47, v26
	; wave barrier
	s_delay_alu instid0(VALU_DEP_3) | instskip(NEXT) | instid1(VALU_DEP_2)
	v_sub_nc_u32_e32 v1, v48, v47
	v_min_u32_e32 v28, v27, v22
	s_delay_alu instid0(VALU_DEP_2) | instskip(NEXT) | instid1(VALU_DEP_1)
	v_sub_nc_u32_e64 v24, v27, v1 clamp
	v_cmpx_lt_u32_e64 v24, v28
	s_cbranch_execz .LBB383_977
; %bb.967:
	v_lshlrev_b32_e32 v0, 3, v47
	v_lshlrev_b32_e32 v1, 3, v27
	s_lshl_b64 s[8:9], s[16:17], 2
	s_delay_alu instid0(VALU_DEP_1)
	v_add3_u32 v29, v43, v0, v1
	s_branch .LBB383_970
.LBB383_968:                            ;   in Loop: Header=BB383_970 Depth=1
	s_or_b32 exec_lo, exec_lo, s15
.LBB383_969:                            ;   in Loop: Header=BB383_970 Depth=1
	s_delay_alu instid0(VALU_DEP_1) | instskip(NEXT) | instid1(VALU_DEP_1)
	v_dual_add_nc_u32 v0, 1, v30 :: v_dual_cndmask_b32 v28, v28, v30, s14
	v_cndmask_b32_e64 v24, v0, v24, s14
	s_delay_alu instid0(VALU_DEP_1) | instskip(SKIP_1) | instid1(SALU_CYCLE_1)
	v_cmp_ge_u32_e32 vcc_lo, v24, v28
	s_or_b32 s12, vcc_lo, s12
	s_and_not1_b32 exec_lo, exec_lo, s12
	s_cbranch_execz .LBB383_976
.LBB383_970:                            ; =>This Loop Header: Depth=1
                                        ;     Child Loop BB383_973 Depth 2
	v_add_nc_u32_e32 v0, v28, v24
	s_and_not1_b32 vcc_lo, exec_lo, s26
	s_delay_alu instid0(VALU_DEP_1)
	v_lshrrev_b32_e32 v30, 1, v0
	s_cbranch_vccnz .LBB383_975
; %bb.971:                              ;   in Loop: Header=BB383_970 Depth=1
	s_delay_alu instid0(VALU_DEP_1) | instskip(SKIP_3) | instid1(VALU_DEP_2)
	v_not_b32_e32 v0, v30
	v_lshl_add_u32 v1, v30, 3, v25
	s_mov_b32 s15, 0
	s_mov_b64 s[10:11], s[16:17]
                                        ; implicit-def: $sgpr14
                                        ; implicit-def: $sgpr22
                                        ; implicit-def: $sgpr23
                                        ; implicit-def: $sgpr27
	v_lshl_add_u32 v0, v0, 3, v29
	ds_load_b64 v[32:33], v0
	ds_load_b64 v[34:35], v1
	s_wait_dscnt 0x1
	v_mad_nc_u64_u32 v[0:1], s8, v32, s[18:19]
	s_wait_dscnt 0x0
	v_mad_nc_u64_u32 v[22:23], s8, v34, s[18:19]
	s_delay_alu instid0(VALU_DEP_2) | instskip(NEXT) | instid1(VALU_DEP_2)
	v_mad_u32 v1, s9, v32, v1
	v_mad_u32 v23, s9, v34, v23
	s_delay_alu instid0(VALU_DEP_2) | instskip(NEXT) | instid1(VALU_DEP_2)
	v_mad_u32 v1, s8, v33, v1
	v_mad_u32 v23, s8, v35, v23
	s_branch .LBB383_973
.LBB383_972:                            ;   in Loop: Header=BB383_973 Depth=2
	s_or_b32 exec_lo, exec_lo, s28
	s_delay_alu instid0(SALU_CYCLE_1) | instskip(NEXT) | instid1(SALU_CYCLE_1)
	s_and_b32 s28, exec_lo, s22
	s_or_b32 s15, s28, s15
	s_and_not1_b32 s27, s27, exec_lo
	s_and_b32 s7, s7, exec_lo
	s_and_not1_b32 s14, s14, exec_lo
	s_and_b32 s28, s23, exec_lo
	s_or_b32 s27, s27, s7
	s_or_b32 s14, s14, s28
	s_and_not1_b32 exec_lo, exec_lo, s15
	s_cbranch_execz .LBB383_968
.LBB383_973:                            ;   Parent Loop BB383_970 Depth=1
                                        ; =>  This Inner Loop Header: Depth=2
	global_load_b32 v31, v[0:1], off
	global_load_b32 v32, v[22:23], off
	s_and_not1_b32 s23, s23, exec_lo
	s_or_b32 s22, s22, exec_lo
	s_wait_loadcnt 0x0
	v_cmp_le_i32_e32 vcc_lo, v31, v32
	v_cmp_lt_i32_e64 s7, v31, v32
	s_and_b32 s28, vcc_lo, s27
	s_delay_alu instid0(SALU_CYCLE_1) | instskip(NEXT) | instid1(SALU_CYCLE_1)
	s_or_b32 s7, s7, s28
	s_and_b32 s28, s7, exec_lo
	s_delay_alu instid0(SALU_CYCLE_1)
	s_or_b32 s23, s23, s28
	s_mov_b32 s28, exec_lo
	v_cmpx_eq_u32_e64 v31, v32
	s_cbranch_execz .LBB383_972
; %bb.974:                              ;   in Loop: Header=BB383_973 Depth=2
	s_add_nc_u64 s[10:11], s[10:11], -1
	v_add_nc_u64_e32 v[0:1], 4, v[0:1]
	s_cmp_eq_u64 s[10:11], 0
	v_add_nc_u64_e32 v[22:23], 4, v[22:23]
	s_cselect_b32 s27, -1, 0
	s_and_not1_b32 s22, s22, exec_lo
	s_and_b32 s27, s27, exec_lo
	s_and_not1_b32 s23, s23, exec_lo
	s_or_b32 s22, s22, s27
                                        ; implicit-def: $sgpr27
	s_branch .LBB383_972
.LBB383_975:                            ;   in Loop: Header=BB383_970 Depth=1
	s_mov_b32 s14, 0
	s_branch .LBB383_969
.LBB383_976:
	s_or_b32 exec_lo, exec_lo, s12
.LBB383_977:
	s_delay_alu instid0(SALU_CYCLE_1) | instskip(SKIP_1) | instid1(VALU_DEP_1)
	s_or_b32 exec_lo, exec_lo, s13
	v_dual_add_nc_u32 v0, v47, v27 :: v_dual_add_nc_u32 v22, v24, v26
	v_sub_nc_u32_e32 v23, v0, v24
	s_delay_alu instid0(VALU_DEP_2) | instskip(NEXT) | instid1(VALU_DEP_2)
	v_cmp_le_u32_e32 vcc_lo, v22, v47
	v_cmp_le_u32_e64 s7, v23, v48
	s_or_b32 s7, vcc_lo, s7
	s_delay_alu instid0(SALU_CYCLE_1)
	s_and_saveexec_b32 s10, s7
	s_cbranch_execz .LBB383_1068
; %bb.978:
	s_mov_b32 s8, exec_lo
	v_cmp_ge_u32_e32 vcc_lo, v22, v47
                                        ; implicit-def: $vgpr0_vgpr1
	v_cmpx_lt_u32_e64 v22, v47
; %bb.979:
	v_lshl_add_u32 v0, v24, 3, v25
	ds_load_b64 v[0:1], v0
; %bb.980:
	s_or_b32 exec_lo, exec_lo, s8
	v_cmp_ge_u32_e64 s11, v23, v48
	s_mov_b32 s8, exec_lo
                                        ; implicit-def: $vgpr2_vgpr3
	v_cmpx_lt_u32_e64 v23, v48
; %bb.981:
	v_lshl_add_u32 v2, v23, 3, v43
	ds_load_b64 v[2:3], v2
; %bb.982:
	s_or_b32 exec_lo, exec_lo, s8
	s_nor_b32 s7, vcc_lo, s11
	s_delay_alu instid0(SALU_CYCLE_1)
	s_and_saveexec_b32 s12, s7
	s_cbranch_execz .LBB383_991
; %bb.983:
	s_and_not1_b32 vcc_lo, exec_lo, s26
	s_cbranch_vccnz .LBB383_989
; %bb.984:
	s_wait_dscnt 0x0
	v_mul_u64_e32 v[4:5], s[16:17], v[2:3]
	v_mul_u64_e32 v[6:7], s[16:17], v[0:1]
	s_mov_b32 s13, 0
	s_mov_b64 s[8:9], s[16:17]
                                        ; implicit-def: $sgpr14
                                        ; implicit-def: $sgpr15
                                        ; implicit-def: $sgpr22
                                        ; implicit-def: $sgpr23
	s_delay_alu instid0(VALU_DEP_2) | instskip(NEXT) | instid1(VALU_DEP_2)
	v_lshl_add_u64 v[4:5], v[4:5], 2, s[18:19]
	v_lshl_add_u64 v[6:7], v[6:7], 2, s[18:19]
	s_branch .LBB383_986
.LBB383_985:                            ;   in Loop: Header=BB383_986 Depth=1
	s_or_b32 exec_lo, exec_lo, s27
	s_delay_alu instid0(SALU_CYCLE_1) | instskip(NEXT) | instid1(SALU_CYCLE_1)
	s_and_b32 s27, exec_lo, s15
	s_or_b32 s13, s27, s13
	s_and_not1_b32 s23, s23, exec_lo
	s_and_b32 s7, s7, exec_lo
	s_and_not1_b32 s14, s14, exec_lo
	s_and_b32 s27, s22, exec_lo
	s_or_b32 s23, s23, s7
	s_or_b32 s14, s14, s27
	s_and_not1_b32 exec_lo, exec_lo, s13
	s_cbranch_execz .LBB383_988
.LBB383_986:                            ; =>This Inner Loop Header: Depth=1
	global_load_b32 v8, v[4:5], off
	global_load_b32 v9, v[6:7], off
	s_and_not1_b32 s22, s22, exec_lo
	s_or_b32 s15, s15, exec_lo
	s_wait_loadcnt 0x0
	v_cmp_le_i32_e32 vcc_lo, v8, v9
	v_cmp_lt_i32_e64 s7, v8, v9
	s_and_b32 s27, vcc_lo, s23
	s_delay_alu instid0(SALU_CYCLE_1) | instskip(NEXT) | instid1(SALU_CYCLE_1)
	s_or_b32 s7, s7, s27
	s_and_b32 s27, s7, exec_lo
	s_delay_alu instid0(SALU_CYCLE_1)
	s_or_b32 s22, s22, s27
	s_mov_b32 s27, exec_lo
	v_cmpx_eq_u32_e64 v8, v9
	s_cbranch_execz .LBB383_985
; %bb.987:                              ;   in Loop: Header=BB383_986 Depth=1
	s_add_nc_u64 s[8:9], s[8:9], -1
	v_add_nc_u64_e32 v[4:5], 4, v[4:5]
	s_cmp_eq_u64 s[8:9], 0
	v_add_nc_u64_e32 v[6:7], 4, v[6:7]
	s_cselect_b32 s23, -1, 0
	s_and_not1_b32 s15, s15, exec_lo
	s_and_b32 s23, s23, exec_lo
	s_and_not1_b32 s22, s22, exec_lo
	s_or_b32 s15, s15, s23
                                        ; implicit-def: $sgpr23
	s_branch .LBB383_985
.LBB383_988:
	s_or_b32 exec_lo, exec_lo, s13
	s_xor_b32 s7, s14, -1
	s_branch .LBB383_990
.LBB383_989:
	s_mov_b32 s7, -1
.LBB383_990:
	s_and_not1_b32 s8, s11, exec_lo
	s_and_b32 s7, s7, exec_lo
	s_delay_alu instid0(SALU_CYCLE_1)
	s_or_b32 s11, s8, s7
.LBB383_991:
	s_or_b32 exec_lo, exec_lo, s12
	v_dual_cndmask_b32 v4, v23, v22, s11 :: v_dual_cndmask_b32 v5, v48, v47, s11
	s_mov_b32 s13, -1
	s_mov_b32 s12, -1
	s_mov_b32 s14, exec_lo
	s_delay_alu instid0(VALU_DEP_1) | instskip(NEXT) | instid1(VALU_DEP_1)
	v_add_nc_u32_e32 v4, 1, v4
	v_add_min_u32_e64 v5, v5, -1, v4
	s_delay_alu instid0(VALU_DEP_1)
	v_lshl_add_u32 v5, v5, 3, v43
	ds_load_b64 v[6:7], v5
	s_wait_dscnt 0x0
	v_cndmask_b32_e64 v5, v7, v3, s11
	v_dual_cndmask_b32 v10, v4, v23, s11 :: v_dual_cndmask_b32 v11, v22, v4, s11
	v_dual_cndmask_b32 v4, v6, v2, s11 :: v_dual_cndmask_b32 v15, v1, v7, s11
	v_cndmask_b32_e64 v14, v0, v6, s11
	s_delay_alu instid0(VALU_DEP_3)
	v_cmpx_lt_u32_e64 v10, v48
	s_cbranch_execz .LBB383_1002
; %bb.992:
	s_mov_b32 s7, 0
	s_mov_b32 s12, exec_lo
	v_cmpx_lt_u32_e64 v11, v47
	s_cbranch_execz .LBB383_1001
; %bb.993:
	s_and_not1_b32 vcc_lo, exec_lo, s26
	s_cbranch_vccnz .LBB383_999
; %bb.994:
	v_mul_u64_e32 v[6:7], s[16:17], v[4:5]
	v_mul_u64_e32 v[8:9], s[16:17], v[14:15]
	s_mov_b32 s15, 0
	s_mov_b64 s[8:9], s[16:17]
                                        ; implicit-def: $sgpr22
                                        ; implicit-def: $sgpr23
                                        ; implicit-def: $sgpr27
                                        ; implicit-def: $sgpr28
	s_delay_alu instid0(VALU_DEP_2) | instskip(NEXT) | instid1(VALU_DEP_2)
	v_lshl_add_u64 v[6:7], v[6:7], 2, s[18:19]
	v_lshl_add_u64 v[8:9], v[8:9], 2, s[18:19]
	s_branch .LBB383_996
.LBB383_995:                            ;   in Loop: Header=BB383_996 Depth=1
	s_or_b32 exec_lo, exec_lo, s29
	s_delay_alu instid0(SALU_CYCLE_1) | instskip(NEXT) | instid1(SALU_CYCLE_1)
	s_and_b32 s29, exec_lo, s23
	s_or_b32 s15, s29, s15
	s_and_not1_b32 s28, s28, exec_lo
	s_and_b32 s7, s7, exec_lo
	s_and_not1_b32 s22, s22, exec_lo
	s_and_b32 s29, s27, exec_lo
	s_or_b32 s28, s28, s7
	s_or_b32 s22, s22, s29
	s_and_not1_b32 exec_lo, exec_lo, s15
	s_cbranch_execz .LBB383_998
.LBB383_996:                            ; =>This Inner Loop Header: Depth=1
	global_load_b32 v12, v[6:7], off
	global_load_b32 v13, v[8:9], off
	s_and_not1_b32 s27, s27, exec_lo
	s_or_b32 s23, s23, exec_lo
	s_wait_loadcnt 0x0
	v_cmp_le_i32_e32 vcc_lo, v12, v13
	v_cmp_lt_i32_e64 s7, v12, v13
	s_and_b32 s29, vcc_lo, s28
	s_delay_alu instid0(SALU_CYCLE_1) | instskip(NEXT) | instid1(SALU_CYCLE_1)
	s_or_b32 s7, s7, s29
	s_and_b32 s29, s7, exec_lo
	s_delay_alu instid0(SALU_CYCLE_1)
	s_or_b32 s27, s27, s29
	s_mov_b32 s29, exec_lo
	v_cmpx_eq_u32_e64 v12, v13
	s_cbranch_execz .LBB383_995
; %bb.997:                              ;   in Loop: Header=BB383_996 Depth=1
	s_add_nc_u64 s[8:9], s[8:9], -1
	v_add_nc_u64_e32 v[6:7], 4, v[6:7]
	s_cmp_eq_u64 s[8:9], 0
	v_add_nc_u64_e32 v[8:9], 4, v[8:9]
	s_cselect_b32 s28, -1, 0
	s_and_not1_b32 s23, s23, exec_lo
	s_and_b32 s28, s28, exec_lo
	s_and_not1_b32 s27, s27, exec_lo
	s_or_b32 s23, s23, s28
                                        ; implicit-def: $sgpr28
	s_branch .LBB383_995
.LBB383_998:
	s_or_b32 exec_lo, exec_lo, s15
	s_xor_b32 s7, s22, -1
	s_branch .LBB383_1000
.LBB383_999:
	s_mov_b32 s7, -1
.LBB383_1000:
	s_delay_alu instid0(SALU_CYCLE_1)
	s_and_b32 s7, s7, exec_lo
.LBB383_1001:
	s_or_b32 exec_lo, exec_lo, s12
	s_delay_alu instid0(SALU_CYCLE_1)
	s_or_not1_b32 s12, s7, exec_lo
.LBB383_1002:
	s_or_b32 exec_lo, exec_lo, s14
	v_cndmask_b32_e64 v6, v10, v11, s12
	v_cndmask_b32_e64 v7, v48, v47, s12
	s_mov_b32 s14, exec_lo
	s_delay_alu instid0(VALU_DEP_2) | instskip(NEXT) | instid1(VALU_DEP_1)
	v_add_nc_u32_e32 v8, 1, v6
	v_add_min_u32_e64 v6, v7, -1, v8
	v_cndmask_b32_e64 v12, v8, v10, s12
	s_delay_alu instid0(VALU_DEP_2)
	v_lshl_add_u32 v6, v6, 3, v43
	ds_load_b64 v[6:7], v6
	s_wait_dscnt 0x0
	v_dual_cndmask_b32 v13, v11, v8, s12 :: v_dual_cndmask_b32 v16, v14, v6, s12
	v_dual_cndmask_b32 v11, v7, v5, s12 :: v_dual_cndmask_b32 v10, v6, v4, s12
	v_cndmask_b32_e64 v17, v15, v7, s12
	v_cmpx_lt_u32_e64 v12, v48
	s_cbranch_execz .LBB383_1013
; %bb.1003:
	s_mov_b32 s7, 0
	s_mov_b32 s13, exec_lo
	v_cmpx_lt_u32_e64 v13, v47
	s_cbranch_execz .LBB383_1012
; %bb.1004:
	s_and_not1_b32 vcc_lo, exec_lo, s26
	s_cbranch_vccnz .LBB383_1010
; %bb.1005:
	v_mul_u64_e32 v[6:7], s[16:17], v[10:11]
	v_mul_u64_e32 v[8:9], s[16:17], v[16:17]
	s_mov_b32 s15, 0
	s_mov_b64 s[8:9], s[16:17]
                                        ; implicit-def: $sgpr22
                                        ; implicit-def: $sgpr23
                                        ; implicit-def: $sgpr27
                                        ; implicit-def: $sgpr28
	s_delay_alu instid0(VALU_DEP_2) | instskip(NEXT) | instid1(VALU_DEP_2)
	v_lshl_add_u64 v[6:7], v[6:7], 2, s[18:19]
	v_lshl_add_u64 v[8:9], v[8:9], 2, s[18:19]
	s_branch .LBB383_1007
.LBB383_1006:                           ;   in Loop: Header=BB383_1007 Depth=1
	s_or_b32 exec_lo, exec_lo, s29
	s_delay_alu instid0(SALU_CYCLE_1) | instskip(NEXT) | instid1(SALU_CYCLE_1)
	s_and_b32 s29, exec_lo, s23
	s_or_b32 s15, s29, s15
	s_and_not1_b32 s28, s28, exec_lo
	s_and_b32 s7, s7, exec_lo
	s_and_not1_b32 s22, s22, exec_lo
	s_and_b32 s29, s27, exec_lo
	s_or_b32 s28, s28, s7
	s_or_b32 s22, s22, s29
	s_and_not1_b32 exec_lo, exec_lo, s15
	s_cbranch_execz .LBB383_1009
.LBB383_1007:                           ; =>This Inner Loop Header: Depth=1
	global_load_b32 v22, v[6:7], off
	global_load_b32 v23, v[8:9], off
	s_and_not1_b32 s27, s27, exec_lo
	s_or_b32 s23, s23, exec_lo
	s_wait_loadcnt 0x0
	v_cmp_le_i32_e32 vcc_lo, v22, v23
	v_cmp_lt_i32_e64 s7, v22, v23
	s_and_b32 s29, vcc_lo, s28
	s_delay_alu instid0(SALU_CYCLE_1) | instskip(NEXT) | instid1(SALU_CYCLE_1)
	s_or_b32 s7, s7, s29
	s_and_b32 s29, s7, exec_lo
	s_delay_alu instid0(SALU_CYCLE_1)
	s_or_b32 s27, s27, s29
	s_mov_b32 s29, exec_lo
	v_cmpx_eq_u32_e64 v22, v23
	s_cbranch_execz .LBB383_1006
; %bb.1008:                             ;   in Loop: Header=BB383_1007 Depth=1
	s_add_nc_u64 s[8:9], s[8:9], -1
	v_add_nc_u64_e32 v[6:7], 4, v[6:7]
	s_cmp_eq_u64 s[8:9], 0
	v_add_nc_u64_e32 v[8:9], 4, v[8:9]
	s_cselect_b32 s28, -1, 0
	s_and_not1_b32 s23, s23, exec_lo
	s_and_b32 s28, s28, exec_lo
	s_and_not1_b32 s27, s27, exec_lo
	s_or_b32 s23, s23, s28
                                        ; implicit-def: $sgpr28
	s_branch .LBB383_1006
.LBB383_1009:
	s_or_b32 exec_lo, exec_lo, s15
	s_xor_b32 s7, s22, -1
	s_branch .LBB383_1011
.LBB383_1010:
	s_mov_b32 s7, -1
.LBB383_1011:
	s_delay_alu instid0(SALU_CYCLE_1)
	s_and_b32 s7, s7, exec_lo
.LBB383_1012:
	s_or_b32 exec_lo, exec_lo, s13
	s_delay_alu instid0(SALU_CYCLE_1)
	s_or_not1_b32 s13, s7, exec_lo
.LBB383_1013:
	s_or_b32 exec_lo, exec_lo, s14
	v_cndmask_b32_e64 v6, v12, v13, s13
	v_cndmask_b32_e64 v7, v48, v47, s13
	s_mov_b32 s15, -1
	s_mov_b32 s14, -1
	s_mov_b32 s22, exec_lo
	v_add_nc_u32_e32 v8, 1, v6
	s_delay_alu instid0(VALU_DEP_1) | instskip(SKIP_1) | instid1(VALU_DEP_2)
	v_add_min_u32_e64 v6, v7, -1, v8
	v_cndmask_b32_e64 v25, v13, v8, s13
	v_lshl_add_u32 v6, v6, 3, v43
	ds_load_b64 v[6:7], v6
	s_wait_dscnt 0x0
	v_dual_cndmask_b32 v24, v8, v12, s13 :: v_dual_cndmask_b32 v13, v7, v11, s13
	v_dual_cndmask_b32 v12, v6, v10, s13 :: v_dual_cndmask_b32 v23, v17, v7, s13
	v_cndmask_b32_e64 v22, v16, v6, s13
	s_delay_alu instid0(VALU_DEP_3)
	v_cmpx_lt_u32_e64 v24, v48
	s_cbranch_execz .LBB383_1024
; %bb.1014:
	s_mov_b32 s7, 0
	s_mov_b32 s14, exec_lo
	v_cmpx_lt_u32_e64 v25, v47
	s_cbranch_execz .LBB383_1023
; %bb.1015:
	s_and_not1_b32 vcc_lo, exec_lo, s26
	s_cbranch_vccnz .LBB383_1021
; %bb.1016:
	v_mul_u64_e32 v[6:7], s[16:17], v[12:13]
	v_mul_u64_e32 v[8:9], s[16:17], v[22:23]
	s_mov_b32 s23, 0
	s_mov_b64 s[8:9], s[16:17]
                                        ; implicit-def: $sgpr27
                                        ; implicit-def: $sgpr28
                                        ; implicit-def: $sgpr29
                                        ; implicit-def: $sgpr30
	s_delay_alu instid0(VALU_DEP_2) | instskip(NEXT) | instid1(VALU_DEP_2)
	v_lshl_add_u64 v[6:7], v[6:7], 2, s[18:19]
	v_lshl_add_u64 v[8:9], v[8:9], 2, s[18:19]
	s_branch .LBB383_1018
.LBB383_1017:                           ;   in Loop: Header=BB383_1018 Depth=1
	s_or_b32 exec_lo, exec_lo, s31
	s_delay_alu instid0(SALU_CYCLE_1) | instskip(NEXT) | instid1(SALU_CYCLE_1)
	s_and_b32 s31, exec_lo, s28
	s_or_b32 s23, s31, s23
	s_and_not1_b32 s30, s30, exec_lo
	s_and_b32 s7, s7, exec_lo
	s_and_not1_b32 s27, s27, exec_lo
	s_and_b32 s31, s29, exec_lo
	s_or_b32 s30, s30, s7
	s_or_b32 s27, s27, s31
	s_and_not1_b32 exec_lo, exec_lo, s23
	s_cbranch_execz .LBB383_1020
.LBB383_1018:                           ; =>This Inner Loop Header: Depth=1
	global_load_b32 v26, v[6:7], off
	global_load_b32 v27, v[8:9], off
	s_and_not1_b32 s29, s29, exec_lo
	s_or_b32 s28, s28, exec_lo
	s_wait_loadcnt 0x0
	v_cmp_le_i32_e32 vcc_lo, v26, v27
	v_cmp_lt_i32_e64 s7, v26, v27
	s_and_b32 s31, vcc_lo, s30
	s_delay_alu instid0(SALU_CYCLE_1) | instskip(NEXT) | instid1(SALU_CYCLE_1)
	s_or_b32 s7, s7, s31
	s_and_b32 s31, s7, exec_lo
	s_delay_alu instid0(SALU_CYCLE_1)
	s_or_b32 s29, s29, s31
	s_mov_b32 s31, exec_lo
	v_cmpx_eq_u32_e64 v26, v27
	s_cbranch_execz .LBB383_1017
; %bb.1019:                             ;   in Loop: Header=BB383_1018 Depth=1
	s_add_nc_u64 s[8:9], s[8:9], -1
	v_add_nc_u64_e32 v[6:7], 4, v[6:7]
	s_cmp_eq_u64 s[8:9], 0
	v_add_nc_u64_e32 v[8:9], 4, v[8:9]
	s_cselect_b32 s30, -1, 0
	s_and_not1_b32 s28, s28, exec_lo
	s_and_b32 s30, s30, exec_lo
	s_and_not1_b32 s29, s29, exec_lo
	s_or_b32 s28, s28, s30
                                        ; implicit-def: $sgpr30
	s_branch .LBB383_1017
.LBB383_1020:
	s_or_b32 exec_lo, exec_lo, s23
	s_xor_b32 s7, s27, -1
	s_branch .LBB383_1022
.LBB383_1021:
	s_mov_b32 s7, -1
.LBB383_1022:
	s_delay_alu instid0(SALU_CYCLE_1)
	s_and_b32 s7, s7, exec_lo
.LBB383_1023:
	s_or_b32 exec_lo, exec_lo, s14
	s_delay_alu instid0(SALU_CYCLE_1)
	s_or_not1_b32 s14, s7, exec_lo
.LBB383_1024:
	s_or_b32 exec_lo, exec_lo, s22
	v_cndmask_b32_e64 v6, v24, v25, s14
	v_cndmask_b32_e64 v7, v48, v47, s14
	s_mov_b32 s22, exec_lo
	s_delay_alu instid0(VALU_DEP_2) | instskip(NEXT) | instid1(VALU_DEP_1)
	v_add_nc_u32_e32 v6, 1, v6
	v_add_min_u32_e64 v7, v7, -1, v6
	v_dual_cndmask_b32 v28, v6, v24, s14 :: v_dual_cndmask_b32 v29, v25, v6, s14
	s_delay_alu instid0(VALU_DEP_2)
	v_lshl_add_u32 v7, v7, 3, v43
	ds_load_b64 v[8:9], v7
	s_wait_dscnt 0x0
	v_dual_cndmask_b32 v7, v9, v13, s14 :: v_dual_cndmask_b32 v6, v8, v12, s14
	v_dual_cndmask_b32 v25, v23, v9, s14 :: v_dual_cndmask_b32 v24, v22, v8, s14
	v_cmpx_lt_u32_e64 v28, v48
	s_cbranch_execz .LBB383_1035
; %bb.1025:
	s_mov_b32 s7, 0
	s_mov_b32 s15, exec_lo
	v_cmpx_lt_u32_e64 v29, v47
	s_cbranch_execz .LBB383_1034
; %bb.1026:
	s_and_not1_b32 vcc_lo, exec_lo, s26
	s_cbranch_vccnz .LBB383_1032
; %bb.1027:
	v_mul_u64_e32 v[8:9], s[16:17], v[6:7]
	v_mul_u64_e32 v[26:27], s[16:17], v[24:25]
	s_mov_b32 s23, 0
	s_mov_b64 s[8:9], s[16:17]
                                        ; implicit-def: $sgpr27
                                        ; implicit-def: $sgpr28
                                        ; implicit-def: $sgpr29
                                        ; implicit-def: $sgpr30
	s_delay_alu instid0(VALU_DEP_2) | instskip(NEXT) | instid1(VALU_DEP_2)
	v_lshl_add_u64 v[8:9], v[8:9], 2, s[18:19]
	v_lshl_add_u64 v[26:27], v[26:27], 2, s[18:19]
	s_branch .LBB383_1029
.LBB383_1028:                           ;   in Loop: Header=BB383_1029 Depth=1
	s_or_b32 exec_lo, exec_lo, s31
	s_delay_alu instid0(SALU_CYCLE_1) | instskip(NEXT) | instid1(SALU_CYCLE_1)
	s_and_b32 s31, exec_lo, s28
	s_or_b32 s23, s31, s23
	s_and_not1_b32 s30, s30, exec_lo
	s_and_b32 s7, s7, exec_lo
	s_and_not1_b32 s27, s27, exec_lo
	s_and_b32 s31, s29, exec_lo
	s_or_b32 s30, s30, s7
	s_or_b32 s27, s27, s31
	s_and_not1_b32 exec_lo, exec_lo, s23
	s_cbranch_execz .LBB383_1031
.LBB383_1029:                           ; =>This Inner Loop Header: Depth=1
	global_load_b32 v30, v[8:9], off
	global_load_b32 v31, v[26:27], off
	s_and_not1_b32 s29, s29, exec_lo
	s_or_b32 s28, s28, exec_lo
	s_wait_loadcnt 0x0
	v_cmp_le_i32_e32 vcc_lo, v30, v31
	v_cmp_lt_i32_e64 s7, v30, v31
	s_and_b32 s31, vcc_lo, s30
	s_delay_alu instid0(SALU_CYCLE_1) | instskip(NEXT) | instid1(SALU_CYCLE_1)
	s_or_b32 s7, s7, s31
	s_and_b32 s31, s7, exec_lo
	s_delay_alu instid0(SALU_CYCLE_1)
	s_or_b32 s29, s29, s31
	s_mov_b32 s31, exec_lo
	v_cmpx_eq_u32_e64 v30, v31
	s_cbranch_execz .LBB383_1028
; %bb.1030:                             ;   in Loop: Header=BB383_1029 Depth=1
	s_add_nc_u64 s[8:9], s[8:9], -1
	v_add_nc_u64_e32 v[8:9], 4, v[8:9]
	s_cmp_eq_u64 s[8:9], 0
	v_add_nc_u64_e32 v[26:27], 4, v[26:27]
	s_cselect_b32 s30, -1, 0
	s_and_not1_b32 s28, s28, exec_lo
	s_and_b32 s30, s30, exec_lo
	s_and_not1_b32 s29, s29, exec_lo
	s_or_b32 s28, s28, s30
                                        ; implicit-def: $sgpr30
	s_branch .LBB383_1028
.LBB383_1031:
	s_or_b32 exec_lo, exec_lo, s23
	s_xor_b32 s7, s27, -1
	s_branch .LBB383_1033
.LBB383_1032:
	s_mov_b32 s7, -1
.LBB383_1033:
	s_delay_alu instid0(SALU_CYCLE_1)
	s_and_b32 s7, s7, exec_lo
.LBB383_1034:
	s_or_b32 exec_lo, exec_lo, s15
	s_delay_alu instid0(SALU_CYCLE_1)
	s_or_not1_b32 s15, s7, exec_lo
.LBB383_1035:
	s_or_b32 exec_lo, exec_lo, s22
	v_cndmask_b32_e64 v8, v28, v29, s15
	v_cndmask_b32_e64 v9, v48, v47, s15
	s_mov_b32 s22, -1
	s_mov_b32 s23, -1
	s_mov_b32 s27, exec_lo
	v_add_nc_u32_e32 v8, 1, v8
	s_delay_alu instid0(VALU_DEP_1) | instskip(NEXT) | instid1(VALU_DEP_1)
	v_add_min_u32_e64 v9, v9, -1, v8
	v_lshl_add_u32 v9, v9, 3, v43
	ds_load_b64 v[26:27], v9
	v_cndmask_b32_e64 v32, v8, v28, s15
	s_wait_dscnt 0x0
	v_dual_cndmask_b32 v33, v29, v8, s15 :: v_dual_cndmask_b32 v9, v27, v7, s15
	v_dual_cndmask_b32 v8, v26, v6, s15 :: v_dual_cndmask_b32 v27, v25, v27, s15
	v_cndmask_b32_e64 v26, v24, v26, s15
	v_cmpx_lt_u32_e64 v32, v48
	s_cbranch_execz .LBB383_1046
; %bb.1036:
	s_mov_b32 s7, 0
	s_mov_b32 s23, exec_lo
	v_cmpx_lt_u32_e64 v33, v47
	s_cbranch_execz .LBB383_1045
; %bb.1037:
	s_and_not1_b32 vcc_lo, exec_lo, s26
	s_cbranch_vccnz .LBB383_1043
; %bb.1038:
	v_mul_u64_e32 v[28:29], s[16:17], v[8:9]
	v_mul_u64_e32 v[30:31], s[16:17], v[26:27]
	s_mov_b32 s28, 0
	s_mov_b64 s[8:9], s[16:17]
                                        ; implicit-def: $sgpr29
                                        ; implicit-def: $sgpr30
                                        ; implicit-def: $sgpr31
                                        ; implicit-def: $sgpr33
	s_delay_alu instid0(VALU_DEP_2) | instskip(NEXT) | instid1(VALU_DEP_2)
	v_lshl_add_u64 v[28:29], v[28:29], 2, s[18:19]
	v_lshl_add_u64 v[30:31], v[30:31], 2, s[18:19]
	s_branch .LBB383_1040
.LBB383_1039:                           ;   in Loop: Header=BB383_1040 Depth=1
	s_or_b32 exec_lo, exec_lo, s34
	s_delay_alu instid0(SALU_CYCLE_1) | instskip(NEXT) | instid1(SALU_CYCLE_1)
	s_and_b32 s34, exec_lo, s30
	s_or_b32 s28, s34, s28
	s_and_not1_b32 s33, s33, exec_lo
	s_and_b32 s7, s7, exec_lo
	s_and_not1_b32 s29, s29, exec_lo
	s_and_b32 s34, s31, exec_lo
	s_or_b32 s33, s33, s7
	s_or_b32 s29, s29, s34
	s_and_not1_b32 exec_lo, exec_lo, s28
	s_cbranch_execz .LBB383_1042
.LBB383_1040:                           ; =>This Inner Loop Header: Depth=1
	global_load_b32 v34, v[28:29], off
	global_load_b32 v35, v[30:31], off
	s_and_not1_b32 s31, s31, exec_lo
	s_or_b32 s30, s30, exec_lo
	s_wait_loadcnt 0x0
	v_cmp_le_i32_e32 vcc_lo, v34, v35
	v_cmp_lt_i32_e64 s7, v34, v35
	s_and_b32 s34, vcc_lo, s33
	s_delay_alu instid0(SALU_CYCLE_1) | instskip(NEXT) | instid1(SALU_CYCLE_1)
	s_or_b32 s7, s7, s34
	s_and_b32 s34, s7, exec_lo
	s_delay_alu instid0(SALU_CYCLE_1)
	s_or_b32 s31, s31, s34
	s_mov_b32 s34, exec_lo
	v_cmpx_eq_u32_e64 v34, v35
	s_cbranch_execz .LBB383_1039
; %bb.1041:                             ;   in Loop: Header=BB383_1040 Depth=1
	s_add_nc_u64 s[8:9], s[8:9], -1
	v_add_nc_u64_e32 v[28:29], 4, v[28:29]
	s_cmp_eq_u64 s[8:9], 0
	v_add_nc_u64_e32 v[30:31], 4, v[30:31]
	s_cselect_b32 s33, -1, 0
	s_and_not1_b32 s30, s30, exec_lo
	s_and_b32 s33, s33, exec_lo
	s_and_not1_b32 s31, s31, exec_lo
	s_or_b32 s30, s30, s33
                                        ; implicit-def: $sgpr33
	s_branch .LBB383_1039
.LBB383_1042:
	s_or_b32 exec_lo, exec_lo, s28
	s_xor_b32 s7, s29, -1
	s_branch .LBB383_1044
.LBB383_1043:
	s_mov_b32 s7, -1
.LBB383_1044:
	s_delay_alu instid0(SALU_CYCLE_1)
	s_and_b32 s7, s7, exec_lo
.LBB383_1045:
	s_or_b32 exec_lo, exec_lo, s23
	s_delay_alu instid0(SALU_CYCLE_1)
	s_or_not1_b32 s23, s7, exec_lo
.LBB383_1046:
	s_or_b32 exec_lo, exec_lo, s27
	v_cndmask_b32_e64 v28, v32, v33, s23
	v_cndmask_b32_e64 v29, v48, v47, s23
	s_mov_b32 s27, exec_lo
	s_delay_alu instid0(VALU_DEP_2) | instskip(NEXT) | instid1(VALU_DEP_1)
	v_add_nc_u32_e32 v28, 1, v28
	v_add_min_u32_e64 v29, v29, -1, v28
	s_delay_alu instid0(VALU_DEP_1)
	v_lshl_add_u32 v29, v29, 3, v43
	ds_load_b64 v[30:31], v29
	v_cndmask_b32_e64 v50, v28, v32, s23
	s_wait_dscnt 0x0
	v_dual_cndmask_b32 v49, v33, v28, s23 :: v_dual_cndmask_b32 v29, v31, v9, s23
	v_dual_cndmask_b32 v28, v30, v8, s23 :: v_dual_cndmask_b32 v31, v27, v31, s23
	v_cndmask_b32_e64 v30, v26, v30, s23
	v_cmpx_lt_u32_e64 v50, v48
	s_cbranch_execz .LBB383_1057
; %bb.1047:
	s_mov_b32 s7, 0
	s_mov_b32 s22, exec_lo
	v_cmpx_lt_u32_e64 v49, v47
	s_cbranch_execz .LBB383_1056
; %bb.1048:
	s_and_not1_b32 vcc_lo, exec_lo, s26
	s_cbranch_vccnz .LBB383_1054
; %bb.1049:
	v_mul_u64_e32 v[32:33], s[16:17], v[28:29]
	v_mul_u64_e32 v[34:35], s[16:17], v[30:31]
	s_mov_b32 s28, 0
	s_mov_b64 s[8:9], s[16:17]
                                        ; implicit-def: $sgpr29
                                        ; implicit-def: $sgpr30
                                        ; implicit-def: $sgpr31
                                        ; implicit-def: $sgpr33
	s_delay_alu instid0(VALU_DEP_2) | instskip(NEXT) | instid1(VALU_DEP_2)
	v_lshl_add_u64 v[32:33], v[32:33], 2, s[18:19]
	v_lshl_add_u64 v[34:35], v[34:35], 2, s[18:19]
	s_branch .LBB383_1051
.LBB383_1050:                           ;   in Loop: Header=BB383_1051 Depth=1
	s_or_b32 exec_lo, exec_lo, s34
	s_delay_alu instid0(SALU_CYCLE_1) | instskip(NEXT) | instid1(SALU_CYCLE_1)
	s_and_b32 s34, exec_lo, s30
	s_or_b32 s28, s34, s28
	s_and_not1_b32 s33, s33, exec_lo
	s_and_b32 s7, s7, exec_lo
	s_and_not1_b32 s29, s29, exec_lo
	s_and_b32 s34, s31, exec_lo
	s_or_b32 s33, s33, s7
	s_or_b32 s29, s29, s34
	s_and_not1_b32 exec_lo, exec_lo, s28
	s_cbranch_execz .LBB383_1053
.LBB383_1051:                           ; =>This Inner Loop Header: Depth=1
	global_load_b32 v51, v[32:33], off
	global_load_b32 v52, v[34:35], off
	s_and_not1_b32 s31, s31, exec_lo
	s_or_b32 s30, s30, exec_lo
	s_wait_loadcnt 0x0
	v_cmp_le_i32_e32 vcc_lo, v51, v52
	v_cmp_lt_i32_e64 s7, v51, v52
	s_and_b32 s34, vcc_lo, s33
	s_delay_alu instid0(SALU_CYCLE_1) | instskip(NEXT) | instid1(SALU_CYCLE_1)
	s_or_b32 s7, s7, s34
	s_and_b32 s34, s7, exec_lo
	s_delay_alu instid0(SALU_CYCLE_1)
	s_or_b32 s31, s31, s34
	s_mov_b32 s34, exec_lo
	v_cmpx_eq_u32_e64 v51, v52
	s_cbranch_execz .LBB383_1050
; %bb.1052:                             ;   in Loop: Header=BB383_1051 Depth=1
	s_add_nc_u64 s[8:9], s[8:9], -1
	v_add_nc_u64_e32 v[32:33], 4, v[32:33]
	s_cmp_eq_u64 s[8:9], 0
	v_add_nc_u64_e32 v[34:35], 4, v[34:35]
	s_cselect_b32 s33, -1, 0
	s_and_not1_b32 s30, s30, exec_lo
	s_and_b32 s33, s33, exec_lo
	s_and_not1_b32 s31, s31, exec_lo
	s_or_b32 s30, s30, s33
                                        ; implicit-def: $sgpr33
	s_branch .LBB383_1050
.LBB383_1053:
	s_or_b32 exec_lo, exec_lo, s28
	s_xor_b32 s7, s29, -1
	s_branch .LBB383_1055
.LBB383_1054:
	s_mov_b32 s7, -1
.LBB383_1055:
	s_delay_alu instid0(SALU_CYCLE_1)
	s_and_b32 s7, s7, exec_lo
.LBB383_1056:
	s_or_b32 exec_lo, exec_lo, s22
	s_delay_alu instid0(SALU_CYCLE_1)
	s_or_not1_b32 s22, s7, exec_lo
.LBB383_1057:
	s_or_b32 exec_lo, exec_lo, s27
	v_dual_cndmask_b32 v32, v50, v49, s22 :: v_dual_cndmask_b32 v33, v48, v47, s22
	v_dual_cndmask_b32 v8, v8, v26, s23 :: v_dual_cndmask_b32 v7, v7, v25, s15
	v_dual_cndmask_b32 v6, v6, v24, s15 :: v_dual_cndmask_b32 v13, v13, v23, s14
	s_delay_alu instid0(VALU_DEP_3) | instskip(SKIP_2) | instid1(VALU_DEP_3)
	v_dual_add_nc_u32 v34, 1, v32 :: v_dual_cndmask_b32 v9, v9, v27, s23
	v_dual_cndmask_b32 v12, v12, v22, s14 :: v_dual_cndmask_b32 v11, v11, v17, s13
	v_dual_cndmask_b32 v10, v10, v16, s13 :: v_dual_cndmask_b32 v17, v5, v15, s12
	v_add_min_u32_e64 v32, v33, -1, v34
	v_dual_cndmask_b32 v16, v4, v14, s12 :: v_dual_cndmask_b32 v15, v3, v1, s11
	v_dual_cndmask_b32 v14, v2, v0, s11 :: v_dual_cndmask_b32 v3, v29, v31, s22
	s_delay_alu instid0(VALU_DEP_3)
	v_lshl_add_u32 v32, v32, 3, v43
	s_mov_b32 s11, exec_lo
	ds_load_b64 v[32:33], v32
	v_cndmask_b32_e64 v0, v34, v50, s22
	s_wait_dscnt 0x0
	v_dual_cndmask_b32 v2, v28, v30, s22 :: v_dual_cndmask_b32 v4, v30, v32, s22
	v_cndmask_b32_e64 v5, v31, v33, s22
	s_delay_alu instid0(VALU_DEP_3)
	v_cmpx_lt_u32_e64 v0, v48
	s_cbranch_execz .LBB383_1067
; %bb.1058:
	v_dual_cndmask_b32 v22, v49, v34, s22 :: v_dual_cndmask_b32 v0, v32, v28, s22
	v_cndmask_b32_e64 v1, v33, v29, s22
	s_mov_b32 s12, exec_lo
	s_delay_alu instid0(VALU_DEP_2)
	v_cmpx_lt_u32_e64 v22, v47
	s_cbranch_execz .LBB383_1066
; %bb.1059:
	s_and_not1_b32 vcc_lo, exec_lo, s26
	s_cbranch_vccnz .LBB383_1065
; %bb.1060:
	v_mul_u64_e32 v[22:23], s[16:17], v[0:1]
	v_mul_u64_e32 v[24:25], s[16:17], v[4:5]
	s_mov_b32 s13, 0
	s_mov_b64 s[8:9], s[16:17]
                                        ; implicit-def: $sgpr14
                                        ; implicit-def: $sgpr15
                                        ; implicit-def: $sgpr22
                                        ; implicit-def: $sgpr23
	s_delay_alu instid0(VALU_DEP_2) | instskip(NEXT) | instid1(VALU_DEP_2)
	v_lshl_add_u64 v[22:23], v[22:23], 2, s[18:19]
	v_lshl_add_u64 v[24:25], v[24:25], 2, s[18:19]
	s_branch .LBB383_1062
.LBB383_1061:                           ;   in Loop: Header=BB383_1062 Depth=1
	s_or_b32 exec_lo, exec_lo, s27
	s_delay_alu instid0(SALU_CYCLE_1) | instskip(NEXT) | instid1(SALU_CYCLE_1)
	s_and_b32 s27, exec_lo, s15
	s_or_b32 s13, s27, s13
	s_and_not1_b32 s23, s23, exec_lo
	s_and_b32 s7, s7, exec_lo
	s_and_not1_b32 s14, s14, exec_lo
	s_and_b32 s27, s22, exec_lo
	s_or_b32 s23, s23, s7
	s_or_b32 s14, s14, s27
	s_and_not1_b32 exec_lo, exec_lo, s13
	s_cbranch_execz .LBB383_1064
.LBB383_1062:                           ; =>This Inner Loop Header: Depth=1
	global_load_b32 v26, v[22:23], off
	global_load_b32 v27, v[24:25], off
	s_and_not1_b32 s22, s22, exec_lo
	s_or_b32 s15, s15, exec_lo
	s_wait_loadcnt 0x0
	v_cmp_le_i32_e32 vcc_lo, v26, v27
	v_cmp_lt_i32_e64 s7, v26, v27
	s_and_b32 s27, vcc_lo, s23
	s_delay_alu instid0(SALU_CYCLE_1) | instskip(NEXT) | instid1(SALU_CYCLE_1)
	s_or_b32 s7, s7, s27
	s_and_b32 s27, s7, exec_lo
	s_delay_alu instid0(SALU_CYCLE_1)
	s_or_b32 s22, s22, s27
	s_mov_b32 s27, exec_lo
	v_cmpx_eq_u32_e64 v26, v27
	s_cbranch_execz .LBB383_1061
; %bb.1063:                             ;   in Loop: Header=BB383_1062 Depth=1
	s_add_nc_u64 s[8:9], s[8:9], -1
	v_add_nc_u64_e32 v[22:23], 4, v[22:23]
	s_cmp_eq_u64 s[8:9], 0
	v_add_nc_u64_e32 v[24:25], 4, v[24:25]
	s_cselect_b32 s23, -1, 0
	s_and_not1_b32 s15, s15, exec_lo
	s_and_b32 s23, s23, exec_lo
	s_and_not1_b32 s22, s22, exec_lo
	s_or_b32 s15, s15, s23
                                        ; implicit-def: $sgpr23
	s_branch .LBB383_1061
.LBB383_1064:
	s_or_b32 exec_lo, exec_lo, s13
	v_dual_cndmask_b32 v5, v5, v1, s14 :: v_dual_cndmask_b32 v4, v4, v0, s14
.LBB383_1065:
	s_delay_alu instid0(VALU_DEP_1)
	v_mov_b64_e32 v[0:1], v[4:5]
.LBB383_1066:
	s_or_b32 exec_lo, exec_lo, s12
	s_delay_alu instid0(VALU_DEP_1)
	v_mov_b64_e32 v[4:5], v[0:1]
.LBB383_1067:
	s_or_b32 exec_lo, exec_lo, s11
.LBB383_1068:
	s_delay_alu instid0(SALU_CYCLE_1)
	s_or_b32 exec_lo, exec_lo, s10
	v_and_b32_e32 v26, 0xe0, v45
	s_mov_b32 s12, exec_lo
	; wave barrier
	ds_store_b128 v46, v[14:17]
	ds_store_b128 v46, v[10:13] offset:16
	v_or_b32_e32 v0, 16, v26
	v_lshl_add_u32 v25, v26, 3, v43
	ds_store_b128 v46, v[6:9] offset:32
	ds_store_b128 v46, v[2:5] offset:48
	; wave barrier
	v_min_u32_e32 v47, v44, v0
	v_and_b32_e32 v0, 24, v45
	s_delay_alu instid0(VALU_DEP_2) | instskip(NEXT) | instid1(VALU_DEP_2)
	v_add_min_u32_e64 v48, v47, 16, v44
	v_min_u32_e32 v27, v44, v0
	s_delay_alu instid0(VALU_DEP_2) | instskip(NEXT) | instid1(VALU_DEP_1)
	v_dual_sub_nc_u32 v1, v47, v26 :: v_dual_sub_nc_u32 v0, v48, v47
	v_min_u32_e32 v28, v27, v1
	s_delay_alu instid0(VALU_DEP_2) | instskip(NEXT) | instid1(VALU_DEP_1)
	v_sub_nc_u32_e64 v24, v27, v0 clamp
	v_cmpx_lt_u32_e64 v24, v28
	s_cbranch_execz .LBB383_1078
; %bb.1069:
	v_lshlrev_b32_e32 v0, 3, v47
	v_lshlrev_b32_e32 v1, 3, v27
	s_lshl_b64 s[8:9], s[16:17], 2
	s_mov_b32 s13, 0
	s_delay_alu instid0(VALU_DEP_1)
	v_add3_u32 v29, v43, v0, v1
	s_branch .LBB383_1072
.LBB383_1070:                           ;   in Loop: Header=BB383_1072 Depth=1
	s_or_b32 exec_lo, exec_lo, s15
.LBB383_1071:                           ;   in Loop: Header=BB383_1072 Depth=1
	s_delay_alu instid0(VALU_DEP_1) | instskip(NEXT) | instid1(VALU_DEP_1)
	v_dual_add_nc_u32 v0, 1, v30 :: v_dual_cndmask_b32 v28, v28, v30, s14
	v_cndmask_b32_e64 v24, v0, v24, s14
	s_delay_alu instid0(VALU_DEP_1) | instskip(SKIP_1) | instid1(SALU_CYCLE_1)
	v_cmp_ge_u32_e32 vcc_lo, v24, v28
	s_or_b32 s13, vcc_lo, s13
	s_and_not1_b32 exec_lo, exec_lo, s13
	s_cbranch_execz .LBB383_1077
.LBB383_1072:                           ; =>This Loop Header: Depth=1
                                        ;     Child Loop BB383_1075 Depth 2
	v_add_nc_u32_e32 v0, v28, v24
	s_and_not1_b32 vcc_lo, exec_lo, s26
	s_mov_b32 s14, 0
	s_delay_alu instid0(VALU_DEP_1)
	v_lshrrev_b32_e32 v30, 1, v0
	s_cbranch_vccnz .LBB383_1071
; %bb.1073:                             ;   in Loop: Header=BB383_1072 Depth=1
	s_delay_alu instid0(VALU_DEP_1) | instskip(SKIP_3) | instid1(VALU_DEP_2)
	v_not_b32_e32 v0, v30
	v_lshl_add_u32 v1, v30, 3, v25
	s_mov_b32 s15, 0
	s_mov_b64 s[10:11], s[16:17]
                                        ; implicit-def: $sgpr14
                                        ; implicit-def: $sgpr22
                                        ; implicit-def: $sgpr23
                                        ; implicit-def: $sgpr27
	v_lshl_add_u32 v0, v0, 3, v29
	ds_load_b64 v[32:33], v0
	ds_load_b64 v[34:35], v1
	s_wait_dscnt 0x1
	v_mad_nc_u64_u32 v[0:1], s8, v32, s[18:19]
	s_wait_dscnt 0x0
	v_mad_nc_u64_u32 v[22:23], s8, v34, s[18:19]
	s_delay_alu instid0(VALU_DEP_2) | instskip(NEXT) | instid1(VALU_DEP_2)
	v_mad_u32 v1, s9, v32, v1
	v_mad_u32 v23, s9, v34, v23
	s_delay_alu instid0(VALU_DEP_2) | instskip(NEXT) | instid1(VALU_DEP_2)
	v_mad_u32 v1, s8, v33, v1
	v_mad_u32 v23, s8, v35, v23
	s_branch .LBB383_1075
.LBB383_1074:                           ;   in Loop: Header=BB383_1075 Depth=2
	s_or_b32 exec_lo, exec_lo, s28
	s_delay_alu instid0(SALU_CYCLE_1) | instskip(NEXT) | instid1(SALU_CYCLE_1)
	s_and_b32 s28, exec_lo, s22
	s_or_b32 s15, s28, s15
	s_and_not1_b32 s27, s27, exec_lo
	s_and_b32 s7, s7, exec_lo
	s_and_not1_b32 s14, s14, exec_lo
	s_and_b32 s28, s23, exec_lo
	s_or_b32 s27, s27, s7
	s_or_b32 s14, s14, s28
	s_and_not1_b32 exec_lo, exec_lo, s15
	s_cbranch_execz .LBB383_1070
.LBB383_1075:                           ;   Parent Loop BB383_1072 Depth=1
                                        ; =>  This Inner Loop Header: Depth=2
	global_load_b32 v31, v[0:1], off
	global_load_b32 v32, v[22:23], off
	s_and_not1_b32 s23, s23, exec_lo
	s_or_b32 s22, s22, exec_lo
	s_wait_loadcnt 0x0
	v_cmp_le_i32_e32 vcc_lo, v31, v32
	v_cmp_lt_i32_e64 s7, v31, v32
	s_and_b32 s28, vcc_lo, s27
	s_delay_alu instid0(SALU_CYCLE_1) | instskip(NEXT) | instid1(SALU_CYCLE_1)
	s_or_b32 s7, s7, s28
	s_and_b32 s28, s7, exec_lo
	s_delay_alu instid0(SALU_CYCLE_1)
	s_or_b32 s23, s23, s28
	s_mov_b32 s28, exec_lo
	v_cmpx_eq_u32_e64 v31, v32
	s_cbranch_execz .LBB383_1074
; %bb.1076:                             ;   in Loop: Header=BB383_1075 Depth=2
	s_add_nc_u64 s[10:11], s[10:11], -1
	v_add_nc_u64_e32 v[0:1], 4, v[0:1]
	s_cmp_eq_u64 s[10:11], 0
	v_add_nc_u64_e32 v[22:23], 4, v[22:23]
	s_cselect_b32 s27, -1, 0
	s_and_not1_b32 s22, s22, exec_lo
	s_and_b32 s27, s27, exec_lo
	s_and_not1_b32 s23, s23, exec_lo
	s_or_b32 s22, s22, s27
                                        ; implicit-def: $sgpr27
	s_branch .LBB383_1074
.LBB383_1077:
	s_or_b32 exec_lo, exec_lo, s13
.LBB383_1078:
	s_delay_alu instid0(SALU_CYCLE_1) | instskip(SKIP_1) | instid1(VALU_DEP_1)
	s_or_b32 exec_lo, exec_lo, s12
	v_dual_add_nc_u32 v0, v47, v27 :: v_dual_add_nc_u32 v22, v24, v26
	v_sub_nc_u32_e32 v23, v0, v24
	s_delay_alu instid0(VALU_DEP_2) | instskip(NEXT) | instid1(VALU_DEP_2)
	v_cmp_le_u32_e32 vcc_lo, v22, v47
	v_cmp_le_u32_e64 s7, v23, v48
	s_or_b32 s7, vcc_lo, s7
	s_delay_alu instid0(SALU_CYCLE_1)
	s_and_saveexec_b32 s10, s7
	s_cbranch_execz .LBB383_1169
; %bb.1079:
	s_mov_b32 s8, exec_lo
	v_cmp_ge_u32_e32 vcc_lo, v22, v47
                                        ; implicit-def: $vgpr0_vgpr1
	v_cmpx_lt_u32_e64 v22, v47
; %bb.1080:
	v_lshl_add_u32 v0, v24, 3, v25
	ds_load_b64 v[0:1], v0
; %bb.1081:
	s_or_b32 exec_lo, exec_lo, s8
	v_cmp_ge_u32_e64 s11, v23, v48
	s_mov_b32 s8, exec_lo
                                        ; implicit-def: $vgpr2_vgpr3
	v_cmpx_lt_u32_e64 v23, v48
; %bb.1082:
	v_lshl_add_u32 v2, v23, 3, v43
	ds_load_b64 v[2:3], v2
; %bb.1083:
	s_or_b32 exec_lo, exec_lo, s8
	s_nor_b32 s7, vcc_lo, s11
	s_delay_alu instid0(SALU_CYCLE_1)
	s_and_saveexec_b32 s12, s7
	s_cbranch_execz .LBB383_1092
; %bb.1084:
	s_and_not1_b32 vcc_lo, exec_lo, s26
	s_cbranch_vccnz .LBB383_1090
; %bb.1085:
	s_wait_dscnt 0x0
	v_mul_u64_e32 v[4:5], s[16:17], v[2:3]
	v_mul_u64_e32 v[6:7], s[16:17], v[0:1]
	s_mov_b32 s13, 0
	s_mov_b64 s[8:9], s[16:17]
                                        ; implicit-def: $sgpr14
                                        ; implicit-def: $sgpr15
                                        ; implicit-def: $sgpr22
                                        ; implicit-def: $sgpr23
	s_delay_alu instid0(VALU_DEP_2) | instskip(NEXT) | instid1(VALU_DEP_2)
	v_lshl_add_u64 v[4:5], v[4:5], 2, s[18:19]
	v_lshl_add_u64 v[6:7], v[6:7], 2, s[18:19]
	s_branch .LBB383_1087
.LBB383_1086:                           ;   in Loop: Header=BB383_1087 Depth=1
	s_or_b32 exec_lo, exec_lo, s27
	s_delay_alu instid0(SALU_CYCLE_1) | instskip(NEXT) | instid1(SALU_CYCLE_1)
	s_and_b32 s27, exec_lo, s15
	s_or_b32 s13, s27, s13
	s_and_not1_b32 s23, s23, exec_lo
	s_and_b32 s7, s7, exec_lo
	s_and_not1_b32 s14, s14, exec_lo
	s_and_b32 s27, s22, exec_lo
	s_or_b32 s23, s23, s7
	s_or_b32 s14, s14, s27
	s_and_not1_b32 exec_lo, exec_lo, s13
	s_cbranch_execz .LBB383_1089
.LBB383_1087:                           ; =>This Inner Loop Header: Depth=1
	global_load_b32 v8, v[4:5], off
	global_load_b32 v9, v[6:7], off
	s_and_not1_b32 s22, s22, exec_lo
	s_or_b32 s15, s15, exec_lo
	s_wait_loadcnt 0x0
	v_cmp_le_i32_e32 vcc_lo, v8, v9
	v_cmp_lt_i32_e64 s7, v8, v9
	s_and_b32 s27, vcc_lo, s23
	s_delay_alu instid0(SALU_CYCLE_1) | instskip(NEXT) | instid1(SALU_CYCLE_1)
	s_or_b32 s7, s7, s27
	s_and_b32 s27, s7, exec_lo
	s_delay_alu instid0(SALU_CYCLE_1)
	s_or_b32 s22, s22, s27
	s_mov_b32 s27, exec_lo
	v_cmpx_eq_u32_e64 v8, v9
	s_cbranch_execz .LBB383_1086
; %bb.1088:                             ;   in Loop: Header=BB383_1087 Depth=1
	s_add_nc_u64 s[8:9], s[8:9], -1
	v_add_nc_u64_e32 v[4:5], 4, v[4:5]
	s_cmp_eq_u64 s[8:9], 0
	v_add_nc_u64_e32 v[6:7], 4, v[6:7]
	s_cselect_b32 s23, -1, 0
	s_and_not1_b32 s15, s15, exec_lo
	s_and_b32 s23, s23, exec_lo
	s_and_not1_b32 s22, s22, exec_lo
	s_or_b32 s15, s15, s23
                                        ; implicit-def: $sgpr23
	s_branch .LBB383_1086
.LBB383_1089:
	s_or_b32 exec_lo, exec_lo, s13
	s_xor_b32 s7, s14, -1
	s_branch .LBB383_1091
.LBB383_1090:
	s_mov_b32 s7, -1
.LBB383_1091:
	s_and_not1_b32 s8, s11, exec_lo
	s_and_b32 s7, s7, exec_lo
	s_delay_alu instid0(SALU_CYCLE_1)
	s_or_b32 s11, s8, s7
.LBB383_1092:
	s_or_b32 exec_lo, exec_lo, s12
	v_dual_cndmask_b32 v4, v23, v22, s11 :: v_dual_cndmask_b32 v5, v48, v47, s11
	s_mov_b32 s13, -1
	s_mov_b32 s12, -1
	s_mov_b32 s14, exec_lo
	s_delay_alu instid0(VALU_DEP_1) | instskip(NEXT) | instid1(VALU_DEP_1)
	v_add_nc_u32_e32 v4, 1, v4
	v_add_min_u32_e64 v5, v5, -1, v4
	s_delay_alu instid0(VALU_DEP_1)
	v_lshl_add_u32 v5, v5, 3, v43
	ds_load_b64 v[6:7], v5
	s_wait_dscnt 0x0
	v_cndmask_b32_e64 v5, v7, v3, s11
	v_dual_cndmask_b32 v10, v4, v23, s11 :: v_dual_cndmask_b32 v11, v22, v4, s11
	v_dual_cndmask_b32 v4, v6, v2, s11 :: v_dual_cndmask_b32 v15, v1, v7, s11
	v_cndmask_b32_e64 v14, v0, v6, s11
	s_delay_alu instid0(VALU_DEP_3)
	v_cmpx_lt_u32_e64 v10, v48
	s_cbranch_execz .LBB383_1103
; %bb.1093:
	s_mov_b32 s7, 0
	s_mov_b32 s12, exec_lo
	v_cmpx_lt_u32_e64 v11, v47
	s_cbranch_execz .LBB383_1102
; %bb.1094:
	s_and_not1_b32 vcc_lo, exec_lo, s26
	s_cbranch_vccnz .LBB383_1100
; %bb.1095:
	v_mul_u64_e32 v[6:7], s[16:17], v[4:5]
	v_mul_u64_e32 v[8:9], s[16:17], v[14:15]
	s_mov_b32 s15, 0
	s_mov_b64 s[8:9], s[16:17]
                                        ; implicit-def: $sgpr22
                                        ; implicit-def: $sgpr23
                                        ; implicit-def: $sgpr27
                                        ; implicit-def: $sgpr28
	s_delay_alu instid0(VALU_DEP_2) | instskip(NEXT) | instid1(VALU_DEP_2)
	v_lshl_add_u64 v[6:7], v[6:7], 2, s[18:19]
	v_lshl_add_u64 v[8:9], v[8:9], 2, s[18:19]
	s_branch .LBB383_1097
.LBB383_1096:                           ;   in Loop: Header=BB383_1097 Depth=1
	s_or_b32 exec_lo, exec_lo, s29
	s_delay_alu instid0(SALU_CYCLE_1) | instskip(NEXT) | instid1(SALU_CYCLE_1)
	s_and_b32 s29, exec_lo, s23
	s_or_b32 s15, s29, s15
	s_and_not1_b32 s28, s28, exec_lo
	s_and_b32 s7, s7, exec_lo
	s_and_not1_b32 s22, s22, exec_lo
	s_and_b32 s29, s27, exec_lo
	s_or_b32 s28, s28, s7
	s_or_b32 s22, s22, s29
	s_and_not1_b32 exec_lo, exec_lo, s15
	s_cbranch_execz .LBB383_1099
.LBB383_1097:                           ; =>This Inner Loop Header: Depth=1
	global_load_b32 v12, v[6:7], off
	global_load_b32 v13, v[8:9], off
	s_and_not1_b32 s27, s27, exec_lo
	s_or_b32 s23, s23, exec_lo
	s_wait_loadcnt 0x0
	v_cmp_le_i32_e32 vcc_lo, v12, v13
	v_cmp_lt_i32_e64 s7, v12, v13
	s_and_b32 s29, vcc_lo, s28
	s_delay_alu instid0(SALU_CYCLE_1) | instskip(NEXT) | instid1(SALU_CYCLE_1)
	s_or_b32 s7, s7, s29
	s_and_b32 s29, s7, exec_lo
	s_delay_alu instid0(SALU_CYCLE_1)
	s_or_b32 s27, s27, s29
	s_mov_b32 s29, exec_lo
	v_cmpx_eq_u32_e64 v12, v13
	s_cbranch_execz .LBB383_1096
; %bb.1098:                             ;   in Loop: Header=BB383_1097 Depth=1
	s_add_nc_u64 s[8:9], s[8:9], -1
	v_add_nc_u64_e32 v[6:7], 4, v[6:7]
	s_cmp_eq_u64 s[8:9], 0
	v_add_nc_u64_e32 v[8:9], 4, v[8:9]
	s_cselect_b32 s28, -1, 0
	s_and_not1_b32 s23, s23, exec_lo
	s_and_b32 s28, s28, exec_lo
	s_and_not1_b32 s27, s27, exec_lo
	s_or_b32 s23, s23, s28
                                        ; implicit-def: $sgpr28
	s_branch .LBB383_1096
.LBB383_1099:
	s_or_b32 exec_lo, exec_lo, s15
	s_xor_b32 s7, s22, -1
	s_branch .LBB383_1101
.LBB383_1100:
	s_mov_b32 s7, -1
.LBB383_1101:
	s_delay_alu instid0(SALU_CYCLE_1)
	s_and_b32 s7, s7, exec_lo
.LBB383_1102:
	s_or_b32 exec_lo, exec_lo, s12
	s_delay_alu instid0(SALU_CYCLE_1)
	s_or_not1_b32 s12, s7, exec_lo
.LBB383_1103:
	s_or_b32 exec_lo, exec_lo, s14
	v_cndmask_b32_e64 v6, v10, v11, s12
	v_cndmask_b32_e64 v7, v48, v47, s12
	s_mov_b32 s14, exec_lo
	s_delay_alu instid0(VALU_DEP_2) | instskip(NEXT) | instid1(VALU_DEP_1)
	v_add_nc_u32_e32 v8, 1, v6
	v_add_min_u32_e64 v6, v7, -1, v8
	v_cndmask_b32_e64 v12, v8, v10, s12
	s_delay_alu instid0(VALU_DEP_2)
	v_lshl_add_u32 v6, v6, 3, v43
	ds_load_b64 v[6:7], v6
	s_wait_dscnt 0x0
	v_dual_cndmask_b32 v13, v11, v8, s12 :: v_dual_cndmask_b32 v16, v14, v6, s12
	v_dual_cndmask_b32 v11, v7, v5, s12 :: v_dual_cndmask_b32 v10, v6, v4, s12
	v_cndmask_b32_e64 v17, v15, v7, s12
	v_cmpx_lt_u32_e64 v12, v48
	s_cbranch_execz .LBB383_1114
; %bb.1104:
	s_mov_b32 s7, 0
	s_mov_b32 s13, exec_lo
	v_cmpx_lt_u32_e64 v13, v47
	s_cbranch_execz .LBB383_1113
; %bb.1105:
	s_and_not1_b32 vcc_lo, exec_lo, s26
	s_cbranch_vccnz .LBB383_1111
; %bb.1106:
	v_mul_u64_e32 v[6:7], s[16:17], v[10:11]
	v_mul_u64_e32 v[8:9], s[16:17], v[16:17]
	s_mov_b32 s15, 0
	s_mov_b64 s[8:9], s[16:17]
                                        ; implicit-def: $sgpr22
                                        ; implicit-def: $sgpr23
                                        ; implicit-def: $sgpr27
                                        ; implicit-def: $sgpr28
	s_delay_alu instid0(VALU_DEP_2) | instskip(NEXT) | instid1(VALU_DEP_2)
	v_lshl_add_u64 v[6:7], v[6:7], 2, s[18:19]
	v_lshl_add_u64 v[8:9], v[8:9], 2, s[18:19]
	s_branch .LBB383_1108
.LBB383_1107:                           ;   in Loop: Header=BB383_1108 Depth=1
	s_or_b32 exec_lo, exec_lo, s29
	s_delay_alu instid0(SALU_CYCLE_1) | instskip(NEXT) | instid1(SALU_CYCLE_1)
	s_and_b32 s29, exec_lo, s23
	s_or_b32 s15, s29, s15
	s_and_not1_b32 s28, s28, exec_lo
	s_and_b32 s7, s7, exec_lo
	s_and_not1_b32 s22, s22, exec_lo
	s_and_b32 s29, s27, exec_lo
	s_or_b32 s28, s28, s7
	s_or_b32 s22, s22, s29
	s_and_not1_b32 exec_lo, exec_lo, s15
	s_cbranch_execz .LBB383_1110
.LBB383_1108:                           ; =>This Inner Loop Header: Depth=1
	global_load_b32 v22, v[6:7], off
	global_load_b32 v23, v[8:9], off
	s_and_not1_b32 s27, s27, exec_lo
	s_or_b32 s23, s23, exec_lo
	s_wait_loadcnt 0x0
	v_cmp_le_i32_e32 vcc_lo, v22, v23
	v_cmp_lt_i32_e64 s7, v22, v23
	s_and_b32 s29, vcc_lo, s28
	s_delay_alu instid0(SALU_CYCLE_1) | instskip(NEXT) | instid1(SALU_CYCLE_1)
	s_or_b32 s7, s7, s29
	s_and_b32 s29, s7, exec_lo
	s_delay_alu instid0(SALU_CYCLE_1)
	s_or_b32 s27, s27, s29
	s_mov_b32 s29, exec_lo
	v_cmpx_eq_u32_e64 v22, v23
	s_cbranch_execz .LBB383_1107
; %bb.1109:                             ;   in Loop: Header=BB383_1108 Depth=1
	s_add_nc_u64 s[8:9], s[8:9], -1
	v_add_nc_u64_e32 v[6:7], 4, v[6:7]
	s_cmp_eq_u64 s[8:9], 0
	v_add_nc_u64_e32 v[8:9], 4, v[8:9]
	s_cselect_b32 s28, -1, 0
	s_and_not1_b32 s23, s23, exec_lo
	s_and_b32 s28, s28, exec_lo
	s_and_not1_b32 s27, s27, exec_lo
	s_or_b32 s23, s23, s28
                                        ; implicit-def: $sgpr28
	s_branch .LBB383_1107
.LBB383_1110:
	s_or_b32 exec_lo, exec_lo, s15
	s_xor_b32 s7, s22, -1
	s_branch .LBB383_1112
.LBB383_1111:
	s_mov_b32 s7, -1
.LBB383_1112:
	s_delay_alu instid0(SALU_CYCLE_1)
	s_and_b32 s7, s7, exec_lo
.LBB383_1113:
	s_or_b32 exec_lo, exec_lo, s13
	s_delay_alu instid0(SALU_CYCLE_1)
	s_or_not1_b32 s13, s7, exec_lo
.LBB383_1114:
	s_or_b32 exec_lo, exec_lo, s14
	v_cndmask_b32_e64 v6, v12, v13, s13
	v_cndmask_b32_e64 v7, v48, v47, s13
	s_mov_b32 s15, -1
	s_mov_b32 s14, -1
	s_mov_b32 s22, exec_lo
	v_add_nc_u32_e32 v8, 1, v6
	s_delay_alu instid0(VALU_DEP_1) | instskip(SKIP_1) | instid1(VALU_DEP_2)
	v_add_min_u32_e64 v6, v7, -1, v8
	v_cndmask_b32_e64 v25, v13, v8, s13
	v_lshl_add_u32 v6, v6, 3, v43
	ds_load_b64 v[6:7], v6
	s_wait_dscnt 0x0
	v_dual_cndmask_b32 v24, v8, v12, s13 :: v_dual_cndmask_b32 v13, v7, v11, s13
	v_dual_cndmask_b32 v12, v6, v10, s13 :: v_dual_cndmask_b32 v23, v17, v7, s13
	v_cndmask_b32_e64 v22, v16, v6, s13
	s_delay_alu instid0(VALU_DEP_3)
	v_cmpx_lt_u32_e64 v24, v48
	s_cbranch_execz .LBB383_1125
; %bb.1115:
	s_mov_b32 s7, 0
	s_mov_b32 s14, exec_lo
	v_cmpx_lt_u32_e64 v25, v47
	s_cbranch_execz .LBB383_1124
; %bb.1116:
	s_and_not1_b32 vcc_lo, exec_lo, s26
	s_cbranch_vccnz .LBB383_1122
; %bb.1117:
	v_mul_u64_e32 v[6:7], s[16:17], v[12:13]
	v_mul_u64_e32 v[8:9], s[16:17], v[22:23]
	s_mov_b32 s23, 0
	s_mov_b64 s[8:9], s[16:17]
                                        ; implicit-def: $sgpr27
                                        ; implicit-def: $sgpr28
                                        ; implicit-def: $sgpr29
                                        ; implicit-def: $sgpr30
	s_delay_alu instid0(VALU_DEP_2) | instskip(NEXT) | instid1(VALU_DEP_2)
	v_lshl_add_u64 v[6:7], v[6:7], 2, s[18:19]
	v_lshl_add_u64 v[8:9], v[8:9], 2, s[18:19]
	s_branch .LBB383_1119
.LBB383_1118:                           ;   in Loop: Header=BB383_1119 Depth=1
	s_or_b32 exec_lo, exec_lo, s31
	s_delay_alu instid0(SALU_CYCLE_1) | instskip(NEXT) | instid1(SALU_CYCLE_1)
	s_and_b32 s31, exec_lo, s28
	s_or_b32 s23, s31, s23
	s_and_not1_b32 s30, s30, exec_lo
	s_and_b32 s7, s7, exec_lo
	s_and_not1_b32 s27, s27, exec_lo
	s_and_b32 s31, s29, exec_lo
	s_or_b32 s30, s30, s7
	s_or_b32 s27, s27, s31
	s_and_not1_b32 exec_lo, exec_lo, s23
	s_cbranch_execz .LBB383_1121
.LBB383_1119:                           ; =>This Inner Loop Header: Depth=1
	global_load_b32 v26, v[6:7], off
	global_load_b32 v27, v[8:9], off
	s_and_not1_b32 s29, s29, exec_lo
	s_or_b32 s28, s28, exec_lo
	s_wait_loadcnt 0x0
	v_cmp_le_i32_e32 vcc_lo, v26, v27
	v_cmp_lt_i32_e64 s7, v26, v27
	s_and_b32 s31, vcc_lo, s30
	s_delay_alu instid0(SALU_CYCLE_1) | instskip(NEXT) | instid1(SALU_CYCLE_1)
	s_or_b32 s7, s7, s31
	s_and_b32 s31, s7, exec_lo
	s_delay_alu instid0(SALU_CYCLE_1)
	s_or_b32 s29, s29, s31
	s_mov_b32 s31, exec_lo
	v_cmpx_eq_u32_e64 v26, v27
	s_cbranch_execz .LBB383_1118
; %bb.1120:                             ;   in Loop: Header=BB383_1119 Depth=1
	s_add_nc_u64 s[8:9], s[8:9], -1
	v_add_nc_u64_e32 v[6:7], 4, v[6:7]
	s_cmp_eq_u64 s[8:9], 0
	v_add_nc_u64_e32 v[8:9], 4, v[8:9]
	s_cselect_b32 s30, -1, 0
	s_and_not1_b32 s28, s28, exec_lo
	s_and_b32 s30, s30, exec_lo
	s_and_not1_b32 s29, s29, exec_lo
	s_or_b32 s28, s28, s30
                                        ; implicit-def: $sgpr30
	s_branch .LBB383_1118
.LBB383_1121:
	s_or_b32 exec_lo, exec_lo, s23
	s_xor_b32 s7, s27, -1
	s_branch .LBB383_1123
.LBB383_1122:
	s_mov_b32 s7, -1
.LBB383_1123:
	s_delay_alu instid0(SALU_CYCLE_1)
	s_and_b32 s7, s7, exec_lo
.LBB383_1124:
	s_or_b32 exec_lo, exec_lo, s14
	s_delay_alu instid0(SALU_CYCLE_1)
	s_or_not1_b32 s14, s7, exec_lo
.LBB383_1125:
	s_or_b32 exec_lo, exec_lo, s22
	v_cndmask_b32_e64 v6, v24, v25, s14
	v_cndmask_b32_e64 v7, v48, v47, s14
	s_mov_b32 s22, exec_lo
	s_delay_alu instid0(VALU_DEP_2) | instskip(NEXT) | instid1(VALU_DEP_1)
	v_add_nc_u32_e32 v6, 1, v6
	v_add_min_u32_e64 v7, v7, -1, v6
	v_dual_cndmask_b32 v28, v6, v24, s14 :: v_dual_cndmask_b32 v29, v25, v6, s14
	s_delay_alu instid0(VALU_DEP_2)
	v_lshl_add_u32 v7, v7, 3, v43
	ds_load_b64 v[8:9], v7
	s_wait_dscnt 0x0
	v_dual_cndmask_b32 v7, v9, v13, s14 :: v_dual_cndmask_b32 v6, v8, v12, s14
	v_dual_cndmask_b32 v25, v23, v9, s14 :: v_dual_cndmask_b32 v24, v22, v8, s14
	v_cmpx_lt_u32_e64 v28, v48
	s_cbranch_execz .LBB383_1136
; %bb.1126:
	s_mov_b32 s7, 0
	s_mov_b32 s15, exec_lo
	v_cmpx_lt_u32_e64 v29, v47
	s_cbranch_execz .LBB383_1135
; %bb.1127:
	s_and_not1_b32 vcc_lo, exec_lo, s26
	s_cbranch_vccnz .LBB383_1133
; %bb.1128:
	v_mul_u64_e32 v[8:9], s[16:17], v[6:7]
	v_mul_u64_e32 v[26:27], s[16:17], v[24:25]
	s_mov_b32 s23, 0
	s_mov_b64 s[8:9], s[16:17]
                                        ; implicit-def: $sgpr27
                                        ; implicit-def: $sgpr28
                                        ; implicit-def: $sgpr29
                                        ; implicit-def: $sgpr30
	s_delay_alu instid0(VALU_DEP_2) | instskip(NEXT) | instid1(VALU_DEP_2)
	v_lshl_add_u64 v[8:9], v[8:9], 2, s[18:19]
	v_lshl_add_u64 v[26:27], v[26:27], 2, s[18:19]
	s_branch .LBB383_1130
.LBB383_1129:                           ;   in Loop: Header=BB383_1130 Depth=1
	s_or_b32 exec_lo, exec_lo, s31
	s_delay_alu instid0(SALU_CYCLE_1) | instskip(NEXT) | instid1(SALU_CYCLE_1)
	s_and_b32 s31, exec_lo, s28
	s_or_b32 s23, s31, s23
	s_and_not1_b32 s30, s30, exec_lo
	s_and_b32 s7, s7, exec_lo
	s_and_not1_b32 s27, s27, exec_lo
	s_and_b32 s31, s29, exec_lo
	s_or_b32 s30, s30, s7
	s_or_b32 s27, s27, s31
	s_and_not1_b32 exec_lo, exec_lo, s23
	s_cbranch_execz .LBB383_1132
.LBB383_1130:                           ; =>This Inner Loop Header: Depth=1
	global_load_b32 v30, v[8:9], off
	global_load_b32 v31, v[26:27], off
	s_and_not1_b32 s29, s29, exec_lo
	s_or_b32 s28, s28, exec_lo
	s_wait_loadcnt 0x0
	v_cmp_le_i32_e32 vcc_lo, v30, v31
	v_cmp_lt_i32_e64 s7, v30, v31
	s_and_b32 s31, vcc_lo, s30
	s_delay_alu instid0(SALU_CYCLE_1) | instskip(NEXT) | instid1(SALU_CYCLE_1)
	s_or_b32 s7, s7, s31
	s_and_b32 s31, s7, exec_lo
	s_delay_alu instid0(SALU_CYCLE_1)
	s_or_b32 s29, s29, s31
	s_mov_b32 s31, exec_lo
	v_cmpx_eq_u32_e64 v30, v31
	s_cbranch_execz .LBB383_1129
; %bb.1131:                             ;   in Loop: Header=BB383_1130 Depth=1
	s_add_nc_u64 s[8:9], s[8:9], -1
	v_add_nc_u64_e32 v[8:9], 4, v[8:9]
	s_cmp_eq_u64 s[8:9], 0
	v_add_nc_u64_e32 v[26:27], 4, v[26:27]
	s_cselect_b32 s30, -1, 0
	s_and_not1_b32 s28, s28, exec_lo
	s_and_b32 s30, s30, exec_lo
	s_and_not1_b32 s29, s29, exec_lo
	s_or_b32 s28, s28, s30
                                        ; implicit-def: $sgpr30
	s_branch .LBB383_1129
.LBB383_1132:
	s_or_b32 exec_lo, exec_lo, s23
	s_xor_b32 s7, s27, -1
	s_branch .LBB383_1134
.LBB383_1133:
	s_mov_b32 s7, -1
.LBB383_1134:
	s_delay_alu instid0(SALU_CYCLE_1)
	s_and_b32 s7, s7, exec_lo
.LBB383_1135:
	s_or_b32 exec_lo, exec_lo, s15
	s_delay_alu instid0(SALU_CYCLE_1)
	s_or_not1_b32 s15, s7, exec_lo
.LBB383_1136:
	s_or_b32 exec_lo, exec_lo, s22
	v_cndmask_b32_e64 v8, v28, v29, s15
	v_cndmask_b32_e64 v9, v48, v47, s15
	s_mov_b32 s22, -1
	s_mov_b32 s23, -1
	s_mov_b32 s27, exec_lo
	v_add_nc_u32_e32 v8, 1, v8
	s_delay_alu instid0(VALU_DEP_1) | instskip(NEXT) | instid1(VALU_DEP_1)
	v_add_min_u32_e64 v9, v9, -1, v8
	v_lshl_add_u32 v9, v9, 3, v43
	ds_load_b64 v[26:27], v9
	v_cndmask_b32_e64 v32, v8, v28, s15
	s_wait_dscnt 0x0
	v_dual_cndmask_b32 v33, v29, v8, s15 :: v_dual_cndmask_b32 v9, v27, v7, s15
	v_dual_cndmask_b32 v8, v26, v6, s15 :: v_dual_cndmask_b32 v27, v25, v27, s15
	v_cndmask_b32_e64 v26, v24, v26, s15
	v_cmpx_lt_u32_e64 v32, v48
	s_cbranch_execz .LBB383_1147
; %bb.1137:
	s_mov_b32 s7, 0
	s_mov_b32 s23, exec_lo
	v_cmpx_lt_u32_e64 v33, v47
	s_cbranch_execz .LBB383_1146
; %bb.1138:
	s_and_not1_b32 vcc_lo, exec_lo, s26
	s_cbranch_vccnz .LBB383_1144
; %bb.1139:
	v_mul_u64_e32 v[28:29], s[16:17], v[8:9]
	v_mul_u64_e32 v[30:31], s[16:17], v[26:27]
	s_mov_b32 s28, 0
	s_mov_b64 s[8:9], s[16:17]
                                        ; implicit-def: $sgpr29
                                        ; implicit-def: $sgpr30
                                        ; implicit-def: $sgpr31
                                        ; implicit-def: $sgpr33
	s_delay_alu instid0(VALU_DEP_2) | instskip(NEXT) | instid1(VALU_DEP_2)
	v_lshl_add_u64 v[28:29], v[28:29], 2, s[18:19]
	v_lshl_add_u64 v[30:31], v[30:31], 2, s[18:19]
	s_branch .LBB383_1141
.LBB383_1140:                           ;   in Loop: Header=BB383_1141 Depth=1
	s_or_b32 exec_lo, exec_lo, s34
	s_delay_alu instid0(SALU_CYCLE_1) | instskip(NEXT) | instid1(SALU_CYCLE_1)
	s_and_b32 s34, exec_lo, s30
	s_or_b32 s28, s34, s28
	s_and_not1_b32 s33, s33, exec_lo
	s_and_b32 s7, s7, exec_lo
	s_and_not1_b32 s29, s29, exec_lo
	s_and_b32 s34, s31, exec_lo
	s_or_b32 s33, s33, s7
	s_or_b32 s29, s29, s34
	s_and_not1_b32 exec_lo, exec_lo, s28
	s_cbranch_execz .LBB383_1143
.LBB383_1141:                           ; =>This Inner Loop Header: Depth=1
	global_load_b32 v34, v[28:29], off
	global_load_b32 v35, v[30:31], off
	s_and_not1_b32 s31, s31, exec_lo
	s_or_b32 s30, s30, exec_lo
	s_wait_loadcnt 0x0
	v_cmp_le_i32_e32 vcc_lo, v34, v35
	v_cmp_lt_i32_e64 s7, v34, v35
	s_and_b32 s34, vcc_lo, s33
	s_delay_alu instid0(SALU_CYCLE_1) | instskip(NEXT) | instid1(SALU_CYCLE_1)
	s_or_b32 s7, s7, s34
	s_and_b32 s34, s7, exec_lo
	s_delay_alu instid0(SALU_CYCLE_1)
	s_or_b32 s31, s31, s34
	s_mov_b32 s34, exec_lo
	v_cmpx_eq_u32_e64 v34, v35
	s_cbranch_execz .LBB383_1140
; %bb.1142:                             ;   in Loop: Header=BB383_1141 Depth=1
	s_add_nc_u64 s[8:9], s[8:9], -1
	v_add_nc_u64_e32 v[28:29], 4, v[28:29]
	s_cmp_eq_u64 s[8:9], 0
	v_add_nc_u64_e32 v[30:31], 4, v[30:31]
	s_cselect_b32 s33, -1, 0
	s_and_not1_b32 s30, s30, exec_lo
	s_and_b32 s33, s33, exec_lo
	s_and_not1_b32 s31, s31, exec_lo
	s_or_b32 s30, s30, s33
                                        ; implicit-def: $sgpr33
	s_branch .LBB383_1140
.LBB383_1143:
	s_or_b32 exec_lo, exec_lo, s28
	s_xor_b32 s7, s29, -1
	s_branch .LBB383_1145
.LBB383_1144:
	s_mov_b32 s7, -1
.LBB383_1145:
	s_delay_alu instid0(SALU_CYCLE_1)
	s_and_b32 s7, s7, exec_lo
.LBB383_1146:
	s_or_b32 exec_lo, exec_lo, s23
	s_delay_alu instid0(SALU_CYCLE_1)
	s_or_not1_b32 s23, s7, exec_lo
.LBB383_1147:
	s_or_b32 exec_lo, exec_lo, s27
	v_cndmask_b32_e64 v28, v32, v33, s23
	v_cndmask_b32_e64 v29, v48, v47, s23
	s_mov_b32 s27, exec_lo
	s_delay_alu instid0(VALU_DEP_2) | instskip(NEXT) | instid1(VALU_DEP_1)
	v_add_nc_u32_e32 v28, 1, v28
	v_add_min_u32_e64 v29, v29, -1, v28
	s_delay_alu instid0(VALU_DEP_1)
	v_lshl_add_u32 v29, v29, 3, v43
	ds_load_b64 v[30:31], v29
	v_cndmask_b32_e64 v50, v28, v32, s23
	s_wait_dscnt 0x0
	v_dual_cndmask_b32 v49, v33, v28, s23 :: v_dual_cndmask_b32 v29, v31, v9, s23
	v_dual_cndmask_b32 v28, v30, v8, s23 :: v_dual_cndmask_b32 v31, v27, v31, s23
	v_cndmask_b32_e64 v30, v26, v30, s23
	v_cmpx_lt_u32_e64 v50, v48
	s_cbranch_execz .LBB383_1158
; %bb.1148:
	s_mov_b32 s7, 0
	s_mov_b32 s22, exec_lo
	v_cmpx_lt_u32_e64 v49, v47
	s_cbranch_execz .LBB383_1157
; %bb.1149:
	s_and_not1_b32 vcc_lo, exec_lo, s26
	s_cbranch_vccnz .LBB383_1155
; %bb.1150:
	v_mul_u64_e32 v[32:33], s[16:17], v[28:29]
	v_mul_u64_e32 v[34:35], s[16:17], v[30:31]
	s_mov_b32 s28, 0
	s_mov_b64 s[8:9], s[16:17]
                                        ; implicit-def: $sgpr29
                                        ; implicit-def: $sgpr30
                                        ; implicit-def: $sgpr31
                                        ; implicit-def: $sgpr33
	s_delay_alu instid0(VALU_DEP_2) | instskip(NEXT) | instid1(VALU_DEP_2)
	v_lshl_add_u64 v[32:33], v[32:33], 2, s[18:19]
	v_lshl_add_u64 v[34:35], v[34:35], 2, s[18:19]
	s_branch .LBB383_1152
.LBB383_1151:                           ;   in Loop: Header=BB383_1152 Depth=1
	s_or_b32 exec_lo, exec_lo, s34
	s_delay_alu instid0(SALU_CYCLE_1) | instskip(NEXT) | instid1(SALU_CYCLE_1)
	s_and_b32 s34, exec_lo, s30
	s_or_b32 s28, s34, s28
	s_and_not1_b32 s33, s33, exec_lo
	s_and_b32 s7, s7, exec_lo
	s_and_not1_b32 s29, s29, exec_lo
	s_and_b32 s34, s31, exec_lo
	s_or_b32 s33, s33, s7
	s_or_b32 s29, s29, s34
	s_and_not1_b32 exec_lo, exec_lo, s28
	s_cbranch_execz .LBB383_1154
.LBB383_1152:                           ; =>This Inner Loop Header: Depth=1
	global_load_b32 v51, v[32:33], off
	global_load_b32 v52, v[34:35], off
	s_and_not1_b32 s31, s31, exec_lo
	s_or_b32 s30, s30, exec_lo
	s_wait_loadcnt 0x0
	v_cmp_le_i32_e32 vcc_lo, v51, v52
	v_cmp_lt_i32_e64 s7, v51, v52
	s_and_b32 s34, vcc_lo, s33
	s_delay_alu instid0(SALU_CYCLE_1) | instskip(NEXT) | instid1(SALU_CYCLE_1)
	s_or_b32 s7, s7, s34
	s_and_b32 s34, s7, exec_lo
	s_delay_alu instid0(SALU_CYCLE_1)
	s_or_b32 s31, s31, s34
	s_mov_b32 s34, exec_lo
	v_cmpx_eq_u32_e64 v51, v52
	s_cbranch_execz .LBB383_1151
; %bb.1153:                             ;   in Loop: Header=BB383_1152 Depth=1
	s_add_nc_u64 s[8:9], s[8:9], -1
	v_add_nc_u64_e32 v[32:33], 4, v[32:33]
	s_cmp_eq_u64 s[8:9], 0
	v_add_nc_u64_e32 v[34:35], 4, v[34:35]
	s_cselect_b32 s33, -1, 0
	s_and_not1_b32 s30, s30, exec_lo
	s_and_b32 s33, s33, exec_lo
	s_and_not1_b32 s31, s31, exec_lo
	s_or_b32 s30, s30, s33
                                        ; implicit-def: $sgpr33
	s_branch .LBB383_1151
.LBB383_1154:
	s_or_b32 exec_lo, exec_lo, s28
	s_xor_b32 s7, s29, -1
	s_branch .LBB383_1156
.LBB383_1155:
	s_mov_b32 s7, -1
.LBB383_1156:
	s_delay_alu instid0(SALU_CYCLE_1)
	s_and_b32 s7, s7, exec_lo
.LBB383_1157:
	s_or_b32 exec_lo, exec_lo, s22
	s_delay_alu instid0(SALU_CYCLE_1)
	s_or_not1_b32 s22, s7, exec_lo
.LBB383_1158:
	s_or_b32 exec_lo, exec_lo, s27
	v_dual_cndmask_b32 v32, v50, v49, s22 :: v_dual_cndmask_b32 v33, v48, v47, s22
	v_dual_cndmask_b32 v8, v8, v26, s23 :: v_dual_cndmask_b32 v7, v7, v25, s15
	v_dual_cndmask_b32 v6, v6, v24, s15 :: v_dual_cndmask_b32 v13, v13, v23, s14
	s_delay_alu instid0(VALU_DEP_3) | instskip(SKIP_2) | instid1(VALU_DEP_3)
	v_dual_add_nc_u32 v34, 1, v32 :: v_dual_cndmask_b32 v9, v9, v27, s23
	v_dual_cndmask_b32 v12, v12, v22, s14 :: v_dual_cndmask_b32 v11, v11, v17, s13
	v_dual_cndmask_b32 v10, v10, v16, s13 :: v_dual_cndmask_b32 v17, v5, v15, s12
	v_add_min_u32_e64 v32, v33, -1, v34
	v_dual_cndmask_b32 v16, v4, v14, s12 :: v_dual_cndmask_b32 v15, v3, v1, s11
	v_dual_cndmask_b32 v14, v2, v0, s11 :: v_dual_cndmask_b32 v3, v29, v31, s22
	s_delay_alu instid0(VALU_DEP_3)
	v_lshl_add_u32 v32, v32, 3, v43
	s_mov_b32 s11, exec_lo
	ds_load_b64 v[32:33], v32
	v_cndmask_b32_e64 v0, v34, v50, s22
	s_wait_dscnt 0x0
	v_dual_cndmask_b32 v2, v28, v30, s22 :: v_dual_cndmask_b32 v4, v30, v32, s22
	v_cndmask_b32_e64 v5, v31, v33, s22
	s_delay_alu instid0(VALU_DEP_3)
	v_cmpx_lt_u32_e64 v0, v48
	s_cbranch_execz .LBB383_1168
; %bb.1159:
	v_dual_cndmask_b32 v22, v49, v34, s22 :: v_dual_cndmask_b32 v0, v32, v28, s22
	v_cndmask_b32_e64 v1, v33, v29, s22
	s_mov_b32 s12, exec_lo
	s_delay_alu instid0(VALU_DEP_2)
	v_cmpx_lt_u32_e64 v22, v47
	s_cbranch_execz .LBB383_1167
; %bb.1160:
	s_and_not1_b32 vcc_lo, exec_lo, s26
	s_cbranch_vccnz .LBB383_1166
; %bb.1161:
	v_mul_u64_e32 v[22:23], s[16:17], v[0:1]
	v_mul_u64_e32 v[24:25], s[16:17], v[4:5]
	s_mov_b32 s13, 0
	s_mov_b64 s[8:9], s[16:17]
                                        ; implicit-def: $sgpr14
                                        ; implicit-def: $sgpr15
                                        ; implicit-def: $sgpr22
                                        ; implicit-def: $sgpr23
	s_delay_alu instid0(VALU_DEP_2) | instskip(NEXT) | instid1(VALU_DEP_2)
	v_lshl_add_u64 v[22:23], v[22:23], 2, s[18:19]
	v_lshl_add_u64 v[24:25], v[24:25], 2, s[18:19]
	s_branch .LBB383_1163
.LBB383_1162:                           ;   in Loop: Header=BB383_1163 Depth=1
	s_or_b32 exec_lo, exec_lo, s27
	s_delay_alu instid0(SALU_CYCLE_1) | instskip(NEXT) | instid1(SALU_CYCLE_1)
	s_and_b32 s27, exec_lo, s15
	s_or_b32 s13, s27, s13
	s_and_not1_b32 s23, s23, exec_lo
	s_and_b32 s7, s7, exec_lo
	s_and_not1_b32 s14, s14, exec_lo
	s_and_b32 s27, s22, exec_lo
	s_or_b32 s23, s23, s7
	s_or_b32 s14, s14, s27
	s_and_not1_b32 exec_lo, exec_lo, s13
	s_cbranch_execz .LBB383_1165
.LBB383_1163:                           ; =>This Inner Loop Header: Depth=1
	global_load_b32 v26, v[22:23], off
	global_load_b32 v27, v[24:25], off
	s_and_not1_b32 s22, s22, exec_lo
	s_or_b32 s15, s15, exec_lo
	s_wait_loadcnt 0x0
	v_cmp_le_i32_e32 vcc_lo, v26, v27
	v_cmp_lt_i32_e64 s7, v26, v27
	s_and_b32 s27, vcc_lo, s23
	s_delay_alu instid0(SALU_CYCLE_1) | instskip(NEXT) | instid1(SALU_CYCLE_1)
	s_or_b32 s7, s7, s27
	s_and_b32 s27, s7, exec_lo
	s_delay_alu instid0(SALU_CYCLE_1)
	s_or_b32 s22, s22, s27
	s_mov_b32 s27, exec_lo
	v_cmpx_eq_u32_e64 v26, v27
	s_cbranch_execz .LBB383_1162
; %bb.1164:                             ;   in Loop: Header=BB383_1163 Depth=1
	s_add_nc_u64 s[8:9], s[8:9], -1
	v_add_nc_u64_e32 v[22:23], 4, v[22:23]
	s_cmp_eq_u64 s[8:9], 0
	v_add_nc_u64_e32 v[24:25], 4, v[24:25]
	s_cselect_b32 s23, -1, 0
	s_and_not1_b32 s15, s15, exec_lo
	s_and_b32 s23, s23, exec_lo
	s_and_not1_b32 s22, s22, exec_lo
	s_or_b32 s15, s15, s23
                                        ; implicit-def: $sgpr23
	s_branch .LBB383_1162
.LBB383_1165:
	s_or_b32 exec_lo, exec_lo, s13
	v_dual_cndmask_b32 v5, v5, v1, s14 :: v_dual_cndmask_b32 v4, v4, v0, s14
.LBB383_1166:
	s_delay_alu instid0(VALU_DEP_1)
	v_mov_b64_e32 v[0:1], v[4:5]
.LBB383_1167:
	s_or_b32 exec_lo, exec_lo, s12
	s_delay_alu instid0(VALU_DEP_1)
	v_mov_b64_e32 v[4:5], v[0:1]
.LBB383_1168:
	s_or_b32 exec_lo, exec_lo, s11
.LBB383_1169:
	s_delay_alu instid0(SALU_CYCLE_1)
	s_or_b32 exec_lo, exec_lo, s10
	v_and_b32_e32 v26, 0xc0, v45
	s_mov_b32 s12, exec_lo
	; wave barrier
	ds_store_b128 v46, v[14:17]
	ds_store_b128 v46, v[10:13] offset:16
	v_or_b32_e32 v0, 32, v26
	v_lshl_add_u32 v25, v26, 3, v43
	ds_store_b128 v46, v[6:9] offset:32
	ds_store_b128 v46, v[2:5] offset:48
	; wave barrier
	v_min_u32_e32 v47, v44, v0
	v_and_b32_e32 v0, 56, v45
	s_delay_alu instid0(VALU_DEP_2) | instskip(NEXT) | instid1(VALU_DEP_2)
	v_add_min_u32_e64 v48, v47, 32, v44
	v_min_u32_e32 v27, v44, v0
	s_delay_alu instid0(VALU_DEP_2) | instskip(NEXT) | instid1(VALU_DEP_1)
	v_dual_sub_nc_u32 v1, v47, v26 :: v_dual_sub_nc_u32 v0, v48, v47
	v_min_u32_e32 v28, v27, v1
	s_delay_alu instid0(VALU_DEP_2) | instskip(NEXT) | instid1(VALU_DEP_1)
	v_sub_nc_u32_e64 v24, v27, v0 clamp
	v_cmpx_lt_u32_e64 v24, v28
	s_cbranch_execz .LBB383_1179
; %bb.1170:
	v_lshlrev_b32_e32 v0, 3, v47
	v_lshlrev_b32_e32 v1, 3, v27
	s_lshl_b64 s[8:9], s[16:17], 2
	s_mov_b32 s13, 0
	s_delay_alu instid0(VALU_DEP_1)
	v_add3_u32 v29, v43, v0, v1
	s_branch .LBB383_1173
.LBB383_1171:                           ;   in Loop: Header=BB383_1173 Depth=1
	s_or_b32 exec_lo, exec_lo, s15
.LBB383_1172:                           ;   in Loop: Header=BB383_1173 Depth=1
	s_delay_alu instid0(VALU_DEP_1) | instskip(NEXT) | instid1(VALU_DEP_1)
	v_dual_add_nc_u32 v0, 1, v30 :: v_dual_cndmask_b32 v28, v28, v30, s14
	v_cndmask_b32_e64 v24, v0, v24, s14
	s_delay_alu instid0(VALU_DEP_1) | instskip(SKIP_1) | instid1(SALU_CYCLE_1)
	v_cmp_ge_u32_e32 vcc_lo, v24, v28
	s_or_b32 s13, vcc_lo, s13
	s_and_not1_b32 exec_lo, exec_lo, s13
	s_cbranch_execz .LBB383_1178
.LBB383_1173:                           ; =>This Loop Header: Depth=1
                                        ;     Child Loop BB383_1176 Depth 2
	v_add_nc_u32_e32 v0, v28, v24
	s_and_not1_b32 vcc_lo, exec_lo, s26
	s_mov_b32 s14, 0
	s_delay_alu instid0(VALU_DEP_1)
	v_lshrrev_b32_e32 v30, 1, v0
	s_cbranch_vccnz .LBB383_1172
; %bb.1174:                             ;   in Loop: Header=BB383_1173 Depth=1
	s_delay_alu instid0(VALU_DEP_1) | instskip(SKIP_3) | instid1(VALU_DEP_2)
	v_not_b32_e32 v0, v30
	v_lshl_add_u32 v1, v30, 3, v25
	s_mov_b32 s15, 0
	s_mov_b64 s[10:11], s[16:17]
                                        ; implicit-def: $sgpr14
                                        ; implicit-def: $sgpr22
                                        ; implicit-def: $sgpr23
                                        ; implicit-def: $sgpr27
	v_lshl_add_u32 v0, v0, 3, v29
	ds_load_b64 v[32:33], v0
	ds_load_b64 v[34:35], v1
	s_wait_dscnt 0x1
	v_mad_nc_u64_u32 v[0:1], s8, v32, s[18:19]
	s_wait_dscnt 0x0
	v_mad_nc_u64_u32 v[22:23], s8, v34, s[18:19]
	s_delay_alu instid0(VALU_DEP_2) | instskip(NEXT) | instid1(VALU_DEP_2)
	v_mad_u32 v1, s9, v32, v1
	v_mad_u32 v23, s9, v34, v23
	s_delay_alu instid0(VALU_DEP_2) | instskip(NEXT) | instid1(VALU_DEP_2)
	v_mad_u32 v1, s8, v33, v1
	v_mad_u32 v23, s8, v35, v23
	s_branch .LBB383_1176
.LBB383_1175:                           ;   in Loop: Header=BB383_1176 Depth=2
	s_or_b32 exec_lo, exec_lo, s28
	s_delay_alu instid0(SALU_CYCLE_1) | instskip(NEXT) | instid1(SALU_CYCLE_1)
	s_and_b32 s28, exec_lo, s22
	s_or_b32 s15, s28, s15
	s_and_not1_b32 s27, s27, exec_lo
	s_and_b32 s7, s7, exec_lo
	s_and_not1_b32 s14, s14, exec_lo
	s_and_b32 s28, s23, exec_lo
	s_or_b32 s27, s27, s7
	s_or_b32 s14, s14, s28
	s_and_not1_b32 exec_lo, exec_lo, s15
	s_cbranch_execz .LBB383_1171
.LBB383_1176:                           ;   Parent Loop BB383_1173 Depth=1
                                        ; =>  This Inner Loop Header: Depth=2
	global_load_b32 v31, v[0:1], off
	global_load_b32 v32, v[22:23], off
	s_and_not1_b32 s23, s23, exec_lo
	s_or_b32 s22, s22, exec_lo
	s_wait_loadcnt 0x0
	v_cmp_le_i32_e32 vcc_lo, v31, v32
	v_cmp_lt_i32_e64 s7, v31, v32
	s_and_b32 s28, vcc_lo, s27
	s_delay_alu instid0(SALU_CYCLE_1) | instskip(NEXT) | instid1(SALU_CYCLE_1)
	s_or_b32 s7, s7, s28
	s_and_b32 s28, s7, exec_lo
	s_delay_alu instid0(SALU_CYCLE_1)
	s_or_b32 s23, s23, s28
	s_mov_b32 s28, exec_lo
	v_cmpx_eq_u32_e64 v31, v32
	s_cbranch_execz .LBB383_1175
; %bb.1177:                             ;   in Loop: Header=BB383_1176 Depth=2
	s_add_nc_u64 s[10:11], s[10:11], -1
	v_add_nc_u64_e32 v[0:1], 4, v[0:1]
	s_cmp_eq_u64 s[10:11], 0
	v_add_nc_u64_e32 v[22:23], 4, v[22:23]
	s_cselect_b32 s27, -1, 0
	s_and_not1_b32 s22, s22, exec_lo
	s_and_b32 s27, s27, exec_lo
	s_and_not1_b32 s23, s23, exec_lo
	s_or_b32 s22, s22, s27
                                        ; implicit-def: $sgpr27
	s_branch .LBB383_1175
.LBB383_1178:
	s_or_b32 exec_lo, exec_lo, s13
.LBB383_1179:
	s_delay_alu instid0(SALU_CYCLE_1) | instskip(SKIP_1) | instid1(VALU_DEP_1)
	s_or_b32 exec_lo, exec_lo, s12
	v_dual_add_nc_u32 v0, v47, v27 :: v_dual_add_nc_u32 v22, v24, v26
	v_sub_nc_u32_e32 v23, v0, v24
	s_delay_alu instid0(VALU_DEP_2) | instskip(NEXT) | instid1(VALU_DEP_2)
	v_cmp_le_u32_e32 vcc_lo, v22, v47
	v_cmp_le_u32_e64 s7, v23, v48
	s_or_b32 s7, vcc_lo, s7
	s_delay_alu instid0(SALU_CYCLE_1)
	s_and_saveexec_b32 s10, s7
	s_cbranch_execz .LBB383_1270
; %bb.1180:
	s_mov_b32 s8, exec_lo
	v_cmp_ge_u32_e32 vcc_lo, v22, v47
                                        ; implicit-def: $vgpr0_vgpr1
	v_cmpx_lt_u32_e64 v22, v47
; %bb.1181:
	v_lshl_add_u32 v0, v24, 3, v25
	ds_load_b64 v[0:1], v0
; %bb.1182:
	s_or_b32 exec_lo, exec_lo, s8
	v_cmp_ge_u32_e64 s11, v23, v48
	s_mov_b32 s8, exec_lo
                                        ; implicit-def: $vgpr2_vgpr3
	v_cmpx_lt_u32_e64 v23, v48
; %bb.1183:
	v_lshl_add_u32 v2, v23, 3, v43
	ds_load_b64 v[2:3], v2
; %bb.1184:
	s_or_b32 exec_lo, exec_lo, s8
	s_nor_b32 s7, vcc_lo, s11
	s_delay_alu instid0(SALU_CYCLE_1)
	s_and_saveexec_b32 s12, s7
	s_cbranch_execz .LBB383_1193
; %bb.1185:
	s_and_not1_b32 vcc_lo, exec_lo, s26
	s_cbranch_vccnz .LBB383_1191
; %bb.1186:
	s_wait_dscnt 0x0
	v_mul_u64_e32 v[4:5], s[16:17], v[2:3]
	v_mul_u64_e32 v[6:7], s[16:17], v[0:1]
	s_mov_b32 s13, 0
	s_mov_b64 s[8:9], s[16:17]
                                        ; implicit-def: $sgpr14
                                        ; implicit-def: $sgpr15
                                        ; implicit-def: $sgpr22
                                        ; implicit-def: $sgpr23
	s_delay_alu instid0(VALU_DEP_2) | instskip(NEXT) | instid1(VALU_DEP_2)
	v_lshl_add_u64 v[4:5], v[4:5], 2, s[18:19]
	v_lshl_add_u64 v[6:7], v[6:7], 2, s[18:19]
	s_branch .LBB383_1188
.LBB383_1187:                           ;   in Loop: Header=BB383_1188 Depth=1
	s_or_b32 exec_lo, exec_lo, s27
	s_delay_alu instid0(SALU_CYCLE_1) | instskip(NEXT) | instid1(SALU_CYCLE_1)
	s_and_b32 s27, exec_lo, s15
	s_or_b32 s13, s27, s13
	s_and_not1_b32 s23, s23, exec_lo
	s_and_b32 s7, s7, exec_lo
	s_and_not1_b32 s14, s14, exec_lo
	s_and_b32 s27, s22, exec_lo
	s_or_b32 s23, s23, s7
	s_or_b32 s14, s14, s27
	s_and_not1_b32 exec_lo, exec_lo, s13
	s_cbranch_execz .LBB383_1190
.LBB383_1188:                           ; =>This Inner Loop Header: Depth=1
	global_load_b32 v8, v[4:5], off
	global_load_b32 v9, v[6:7], off
	s_and_not1_b32 s22, s22, exec_lo
	s_or_b32 s15, s15, exec_lo
	s_wait_loadcnt 0x0
	v_cmp_le_i32_e32 vcc_lo, v8, v9
	v_cmp_lt_i32_e64 s7, v8, v9
	s_and_b32 s27, vcc_lo, s23
	s_delay_alu instid0(SALU_CYCLE_1) | instskip(NEXT) | instid1(SALU_CYCLE_1)
	s_or_b32 s7, s7, s27
	s_and_b32 s27, s7, exec_lo
	s_delay_alu instid0(SALU_CYCLE_1)
	s_or_b32 s22, s22, s27
	s_mov_b32 s27, exec_lo
	v_cmpx_eq_u32_e64 v8, v9
	s_cbranch_execz .LBB383_1187
; %bb.1189:                             ;   in Loop: Header=BB383_1188 Depth=1
	s_add_nc_u64 s[8:9], s[8:9], -1
	v_add_nc_u64_e32 v[4:5], 4, v[4:5]
	s_cmp_eq_u64 s[8:9], 0
	v_add_nc_u64_e32 v[6:7], 4, v[6:7]
	s_cselect_b32 s23, -1, 0
	s_and_not1_b32 s15, s15, exec_lo
	s_and_b32 s23, s23, exec_lo
	s_and_not1_b32 s22, s22, exec_lo
	s_or_b32 s15, s15, s23
                                        ; implicit-def: $sgpr23
	s_branch .LBB383_1187
.LBB383_1190:
	s_or_b32 exec_lo, exec_lo, s13
	s_xor_b32 s7, s14, -1
	s_branch .LBB383_1192
.LBB383_1191:
	s_mov_b32 s7, -1
.LBB383_1192:
	s_and_not1_b32 s8, s11, exec_lo
	s_and_b32 s7, s7, exec_lo
	s_delay_alu instid0(SALU_CYCLE_1)
	s_or_b32 s11, s8, s7
.LBB383_1193:
	s_or_b32 exec_lo, exec_lo, s12
	v_dual_cndmask_b32 v4, v23, v22, s11 :: v_dual_cndmask_b32 v5, v48, v47, s11
	s_mov_b32 s13, -1
	s_mov_b32 s12, -1
	s_mov_b32 s14, exec_lo
	s_delay_alu instid0(VALU_DEP_1) | instskip(NEXT) | instid1(VALU_DEP_1)
	v_add_nc_u32_e32 v4, 1, v4
	v_add_min_u32_e64 v5, v5, -1, v4
	s_delay_alu instid0(VALU_DEP_1)
	v_lshl_add_u32 v5, v5, 3, v43
	ds_load_b64 v[6:7], v5
	s_wait_dscnt 0x0
	v_cndmask_b32_e64 v5, v7, v3, s11
	v_dual_cndmask_b32 v10, v4, v23, s11 :: v_dual_cndmask_b32 v11, v22, v4, s11
	v_dual_cndmask_b32 v4, v6, v2, s11 :: v_dual_cndmask_b32 v15, v1, v7, s11
	v_cndmask_b32_e64 v14, v0, v6, s11
	s_delay_alu instid0(VALU_DEP_3)
	v_cmpx_lt_u32_e64 v10, v48
	s_cbranch_execz .LBB383_1204
; %bb.1194:
	s_mov_b32 s7, 0
	s_mov_b32 s12, exec_lo
	v_cmpx_lt_u32_e64 v11, v47
	s_cbranch_execz .LBB383_1203
; %bb.1195:
	s_and_not1_b32 vcc_lo, exec_lo, s26
	s_cbranch_vccnz .LBB383_1201
; %bb.1196:
	v_mul_u64_e32 v[6:7], s[16:17], v[4:5]
	v_mul_u64_e32 v[8:9], s[16:17], v[14:15]
	s_mov_b32 s15, 0
	s_mov_b64 s[8:9], s[16:17]
                                        ; implicit-def: $sgpr22
                                        ; implicit-def: $sgpr23
                                        ; implicit-def: $sgpr27
                                        ; implicit-def: $sgpr28
	s_delay_alu instid0(VALU_DEP_2) | instskip(NEXT) | instid1(VALU_DEP_2)
	v_lshl_add_u64 v[6:7], v[6:7], 2, s[18:19]
	v_lshl_add_u64 v[8:9], v[8:9], 2, s[18:19]
	s_branch .LBB383_1198
.LBB383_1197:                           ;   in Loop: Header=BB383_1198 Depth=1
	s_or_b32 exec_lo, exec_lo, s29
	s_delay_alu instid0(SALU_CYCLE_1) | instskip(NEXT) | instid1(SALU_CYCLE_1)
	s_and_b32 s29, exec_lo, s23
	s_or_b32 s15, s29, s15
	s_and_not1_b32 s28, s28, exec_lo
	s_and_b32 s7, s7, exec_lo
	s_and_not1_b32 s22, s22, exec_lo
	s_and_b32 s29, s27, exec_lo
	s_or_b32 s28, s28, s7
	s_or_b32 s22, s22, s29
	s_and_not1_b32 exec_lo, exec_lo, s15
	s_cbranch_execz .LBB383_1200
.LBB383_1198:                           ; =>This Inner Loop Header: Depth=1
	global_load_b32 v12, v[6:7], off
	global_load_b32 v13, v[8:9], off
	s_and_not1_b32 s27, s27, exec_lo
	s_or_b32 s23, s23, exec_lo
	s_wait_loadcnt 0x0
	v_cmp_le_i32_e32 vcc_lo, v12, v13
	v_cmp_lt_i32_e64 s7, v12, v13
	s_and_b32 s29, vcc_lo, s28
	s_delay_alu instid0(SALU_CYCLE_1) | instskip(NEXT) | instid1(SALU_CYCLE_1)
	s_or_b32 s7, s7, s29
	s_and_b32 s29, s7, exec_lo
	s_delay_alu instid0(SALU_CYCLE_1)
	s_or_b32 s27, s27, s29
	s_mov_b32 s29, exec_lo
	v_cmpx_eq_u32_e64 v12, v13
	s_cbranch_execz .LBB383_1197
; %bb.1199:                             ;   in Loop: Header=BB383_1198 Depth=1
	s_add_nc_u64 s[8:9], s[8:9], -1
	v_add_nc_u64_e32 v[6:7], 4, v[6:7]
	s_cmp_eq_u64 s[8:9], 0
	v_add_nc_u64_e32 v[8:9], 4, v[8:9]
	s_cselect_b32 s28, -1, 0
	s_and_not1_b32 s23, s23, exec_lo
	s_and_b32 s28, s28, exec_lo
	s_and_not1_b32 s27, s27, exec_lo
	s_or_b32 s23, s23, s28
                                        ; implicit-def: $sgpr28
	s_branch .LBB383_1197
.LBB383_1200:
	s_or_b32 exec_lo, exec_lo, s15
	s_xor_b32 s7, s22, -1
	s_branch .LBB383_1202
.LBB383_1201:
	s_mov_b32 s7, -1
.LBB383_1202:
	s_delay_alu instid0(SALU_CYCLE_1)
	s_and_b32 s7, s7, exec_lo
.LBB383_1203:
	s_or_b32 exec_lo, exec_lo, s12
	s_delay_alu instid0(SALU_CYCLE_1)
	s_or_not1_b32 s12, s7, exec_lo
.LBB383_1204:
	s_or_b32 exec_lo, exec_lo, s14
	v_cndmask_b32_e64 v6, v10, v11, s12
	v_cndmask_b32_e64 v7, v48, v47, s12
	s_mov_b32 s14, exec_lo
	s_delay_alu instid0(VALU_DEP_2) | instskip(NEXT) | instid1(VALU_DEP_1)
	v_add_nc_u32_e32 v8, 1, v6
	v_add_min_u32_e64 v6, v7, -1, v8
	v_cndmask_b32_e64 v12, v8, v10, s12
	s_delay_alu instid0(VALU_DEP_2)
	v_lshl_add_u32 v6, v6, 3, v43
	ds_load_b64 v[6:7], v6
	s_wait_dscnt 0x0
	v_dual_cndmask_b32 v13, v11, v8, s12 :: v_dual_cndmask_b32 v16, v14, v6, s12
	v_dual_cndmask_b32 v11, v7, v5, s12 :: v_dual_cndmask_b32 v10, v6, v4, s12
	v_cndmask_b32_e64 v17, v15, v7, s12
	v_cmpx_lt_u32_e64 v12, v48
	s_cbranch_execz .LBB383_1215
; %bb.1205:
	s_mov_b32 s7, 0
	s_mov_b32 s13, exec_lo
	v_cmpx_lt_u32_e64 v13, v47
	s_cbranch_execz .LBB383_1214
; %bb.1206:
	s_and_not1_b32 vcc_lo, exec_lo, s26
	s_cbranch_vccnz .LBB383_1212
; %bb.1207:
	v_mul_u64_e32 v[6:7], s[16:17], v[10:11]
	v_mul_u64_e32 v[8:9], s[16:17], v[16:17]
	s_mov_b32 s15, 0
	s_mov_b64 s[8:9], s[16:17]
                                        ; implicit-def: $sgpr22
                                        ; implicit-def: $sgpr23
                                        ; implicit-def: $sgpr27
                                        ; implicit-def: $sgpr28
	s_delay_alu instid0(VALU_DEP_2) | instskip(NEXT) | instid1(VALU_DEP_2)
	v_lshl_add_u64 v[6:7], v[6:7], 2, s[18:19]
	v_lshl_add_u64 v[8:9], v[8:9], 2, s[18:19]
	s_branch .LBB383_1209
.LBB383_1208:                           ;   in Loop: Header=BB383_1209 Depth=1
	s_or_b32 exec_lo, exec_lo, s29
	s_delay_alu instid0(SALU_CYCLE_1) | instskip(NEXT) | instid1(SALU_CYCLE_1)
	s_and_b32 s29, exec_lo, s23
	s_or_b32 s15, s29, s15
	s_and_not1_b32 s28, s28, exec_lo
	s_and_b32 s7, s7, exec_lo
	s_and_not1_b32 s22, s22, exec_lo
	s_and_b32 s29, s27, exec_lo
	s_or_b32 s28, s28, s7
	s_or_b32 s22, s22, s29
	s_and_not1_b32 exec_lo, exec_lo, s15
	s_cbranch_execz .LBB383_1211
.LBB383_1209:                           ; =>This Inner Loop Header: Depth=1
	global_load_b32 v22, v[6:7], off
	global_load_b32 v23, v[8:9], off
	s_and_not1_b32 s27, s27, exec_lo
	s_or_b32 s23, s23, exec_lo
	s_wait_loadcnt 0x0
	v_cmp_le_i32_e32 vcc_lo, v22, v23
	v_cmp_lt_i32_e64 s7, v22, v23
	s_and_b32 s29, vcc_lo, s28
	s_delay_alu instid0(SALU_CYCLE_1) | instskip(NEXT) | instid1(SALU_CYCLE_1)
	s_or_b32 s7, s7, s29
	s_and_b32 s29, s7, exec_lo
	s_delay_alu instid0(SALU_CYCLE_1)
	s_or_b32 s27, s27, s29
	s_mov_b32 s29, exec_lo
	v_cmpx_eq_u32_e64 v22, v23
	s_cbranch_execz .LBB383_1208
; %bb.1210:                             ;   in Loop: Header=BB383_1209 Depth=1
	s_add_nc_u64 s[8:9], s[8:9], -1
	v_add_nc_u64_e32 v[6:7], 4, v[6:7]
	s_cmp_eq_u64 s[8:9], 0
	v_add_nc_u64_e32 v[8:9], 4, v[8:9]
	s_cselect_b32 s28, -1, 0
	s_and_not1_b32 s23, s23, exec_lo
	s_and_b32 s28, s28, exec_lo
	s_and_not1_b32 s27, s27, exec_lo
	s_or_b32 s23, s23, s28
                                        ; implicit-def: $sgpr28
	s_branch .LBB383_1208
.LBB383_1211:
	s_or_b32 exec_lo, exec_lo, s15
	s_xor_b32 s7, s22, -1
	s_branch .LBB383_1213
.LBB383_1212:
	s_mov_b32 s7, -1
.LBB383_1213:
	s_delay_alu instid0(SALU_CYCLE_1)
	s_and_b32 s7, s7, exec_lo
.LBB383_1214:
	s_or_b32 exec_lo, exec_lo, s13
	s_delay_alu instid0(SALU_CYCLE_1)
	s_or_not1_b32 s13, s7, exec_lo
.LBB383_1215:
	s_or_b32 exec_lo, exec_lo, s14
	v_cndmask_b32_e64 v6, v12, v13, s13
	v_cndmask_b32_e64 v7, v48, v47, s13
	s_mov_b32 s15, -1
	s_mov_b32 s14, -1
	s_mov_b32 s22, exec_lo
	v_add_nc_u32_e32 v8, 1, v6
	s_delay_alu instid0(VALU_DEP_1) | instskip(SKIP_1) | instid1(VALU_DEP_2)
	v_add_min_u32_e64 v6, v7, -1, v8
	v_cndmask_b32_e64 v25, v13, v8, s13
	v_lshl_add_u32 v6, v6, 3, v43
	ds_load_b64 v[6:7], v6
	s_wait_dscnt 0x0
	v_dual_cndmask_b32 v24, v8, v12, s13 :: v_dual_cndmask_b32 v13, v7, v11, s13
	v_dual_cndmask_b32 v12, v6, v10, s13 :: v_dual_cndmask_b32 v23, v17, v7, s13
	v_cndmask_b32_e64 v22, v16, v6, s13
	s_delay_alu instid0(VALU_DEP_3)
	v_cmpx_lt_u32_e64 v24, v48
	s_cbranch_execz .LBB383_1226
; %bb.1216:
	s_mov_b32 s7, 0
	s_mov_b32 s14, exec_lo
	v_cmpx_lt_u32_e64 v25, v47
	s_cbranch_execz .LBB383_1225
; %bb.1217:
	s_and_not1_b32 vcc_lo, exec_lo, s26
	s_cbranch_vccnz .LBB383_1223
; %bb.1218:
	v_mul_u64_e32 v[6:7], s[16:17], v[12:13]
	v_mul_u64_e32 v[8:9], s[16:17], v[22:23]
	s_mov_b32 s23, 0
	s_mov_b64 s[8:9], s[16:17]
                                        ; implicit-def: $sgpr27
                                        ; implicit-def: $sgpr28
                                        ; implicit-def: $sgpr29
                                        ; implicit-def: $sgpr30
	s_delay_alu instid0(VALU_DEP_2) | instskip(NEXT) | instid1(VALU_DEP_2)
	v_lshl_add_u64 v[6:7], v[6:7], 2, s[18:19]
	v_lshl_add_u64 v[8:9], v[8:9], 2, s[18:19]
	s_branch .LBB383_1220
.LBB383_1219:                           ;   in Loop: Header=BB383_1220 Depth=1
	s_or_b32 exec_lo, exec_lo, s31
	s_delay_alu instid0(SALU_CYCLE_1) | instskip(NEXT) | instid1(SALU_CYCLE_1)
	s_and_b32 s31, exec_lo, s28
	s_or_b32 s23, s31, s23
	s_and_not1_b32 s30, s30, exec_lo
	s_and_b32 s7, s7, exec_lo
	s_and_not1_b32 s27, s27, exec_lo
	s_and_b32 s31, s29, exec_lo
	s_or_b32 s30, s30, s7
	s_or_b32 s27, s27, s31
	s_and_not1_b32 exec_lo, exec_lo, s23
	s_cbranch_execz .LBB383_1222
.LBB383_1220:                           ; =>This Inner Loop Header: Depth=1
	global_load_b32 v26, v[6:7], off
	global_load_b32 v27, v[8:9], off
	s_and_not1_b32 s29, s29, exec_lo
	s_or_b32 s28, s28, exec_lo
	s_wait_loadcnt 0x0
	v_cmp_le_i32_e32 vcc_lo, v26, v27
	v_cmp_lt_i32_e64 s7, v26, v27
	s_and_b32 s31, vcc_lo, s30
	s_delay_alu instid0(SALU_CYCLE_1) | instskip(NEXT) | instid1(SALU_CYCLE_1)
	s_or_b32 s7, s7, s31
	s_and_b32 s31, s7, exec_lo
	s_delay_alu instid0(SALU_CYCLE_1)
	s_or_b32 s29, s29, s31
	s_mov_b32 s31, exec_lo
	v_cmpx_eq_u32_e64 v26, v27
	s_cbranch_execz .LBB383_1219
; %bb.1221:                             ;   in Loop: Header=BB383_1220 Depth=1
	s_add_nc_u64 s[8:9], s[8:9], -1
	v_add_nc_u64_e32 v[6:7], 4, v[6:7]
	s_cmp_eq_u64 s[8:9], 0
	v_add_nc_u64_e32 v[8:9], 4, v[8:9]
	s_cselect_b32 s30, -1, 0
	s_and_not1_b32 s28, s28, exec_lo
	s_and_b32 s30, s30, exec_lo
	s_and_not1_b32 s29, s29, exec_lo
	s_or_b32 s28, s28, s30
                                        ; implicit-def: $sgpr30
	s_branch .LBB383_1219
.LBB383_1222:
	s_or_b32 exec_lo, exec_lo, s23
	s_xor_b32 s7, s27, -1
	s_branch .LBB383_1224
.LBB383_1223:
	s_mov_b32 s7, -1
.LBB383_1224:
	s_delay_alu instid0(SALU_CYCLE_1)
	s_and_b32 s7, s7, exec_lo
.LBB383_1225:
	s_or_b32 exec_lo, exec_lo, s14
	s_delay_alu instid0(SALU_CYCLE_1)
	s_or_not1_b32 s14, s7, exec_lo
.LBB383_1226:
	s_or_b32 exec_lo, exec_lo, s22
	v_cndmask_b32_e64 v6, v24, v25, s14
	v_cndmask_b32_e64 v7, v48, v47, s14
	s_mov_b32 s22, exec_lo
	s_delay_alu instid0(VALU_DEP_2) | instskip(NEXT) | instid1(VALU_DEP_1)
	v_add_nc_u32_e32 v6, 1, v6
	v_add_min_u32_e64 v7, v7, -1, v6
	v_dual_cndmask_b32 v28, v6, v24, s14 :: v_dual_cndmask_b32 v29, v25, v6, s14
	s_delay_alu instid0(VALU_DEP_2)
	v_lshl_add_u32 v7, v7, 3, v43
	ds_load_b64 v[8:9], v7
	s_wait_dscnt 0x0
	v_dual_cndmask_b32 v7, v9, v13, s14 :: v_dual_cndmask_b32 v6, v8, v12, s14
	v_dual_cndmask_b32 v25, v23, v9, s14 :: v_dual_cndmask_b32 v24, v22, v8, s14
	v_cmpx_lt_u32_e64 v28, v48
	s_cbranch_execz .LBB383_1237
; %bb.1227:
	s_mov_b32 s7, 0
	s_mov_b32 s15, exec_lo
	v_cmpx_lt_u32_e64 v29, v47
	s_cbranch_execz .LBB383_1236
; %bb.1228:
	s_and_not1_b32 vcc_lo, exec_lo, s26
	s_cbranch_vccnz .LBB383_1234
; %bb.1229:
	v_mul_u64_e32 v[8:9], s[16:17], v[6:7]
	v_mul_u64_e32 v[26:27], s[16:17], v[24:25]
	s_mov_b32 s23, 0
	s_mov_b64 s[8:9], s[16:17]
                                        ; implicit-def: $sgpr27
                                        ; implicit-def: $sgpr28
                                        ; implicit-def: $sgpr29
                                        ; implicit-def: $sgpr30
	s_delay_alu instid0(VALU_DEP_2) | instskip(NEXT) | instid1(VALU_DEP_2)
	v_lshl_add_u64 v[8:9], v[8:9], 2, s[18:19]
	v_lshl_add_u64 v[26:27], v[26:27], 2, s[18:19]
	s_branch .LBB383_1231
.LBB383_1230:                           ;   in Loop: Header=BB383_1231 Depth=1
	s_or_b32 exec_lo, exec_lo, s31
	s_delay_alu instid0(SALU_CYCLE_1) | instskip(NEXT) | instid1(SALU_CYCLE_1)
	s_and_b32 s31, exec_lo, s28
	s_or_b32 s23, s31, s23
	s_and_not1_b32 s30, s30, exec_lo
	s_and_b32 s7, s7, exec_lo
	s_and_not1_b32 s27, s27, exec_lo
	s_and_b32 s31, s29, exec_lo
	s_or_b32 s30, s30, s7
	s_or_b32 s27, s27, s31
	s_and_not1_b32 exec_lo, exec_lo, s23
	s_cbranch_execz .LBB383_1233
.LBB383_1231:                           ; =>This Inner Loop Header: Depth=1
	global_load_b32 v30, v[8:9], off
	global_load_b32 v31, v[26:27], off
	s_and_not1_b32 s29, s29, exec_lo
	s_or_b32 s28, s28, exec_lo
	s_wait_loadcnt 0x0
	v_cmp_le_i32_e32 vcc_lo, v30, v31
	v_cmp_lt_i32_e64 s7, v30, v31
	s_and_b32 s31, vcc_lo, s30
	s_delay_alu instid0(SALU_CYCLE_1) | instskip(NEXT) | instid1(SALU_CYCLE_1)
	s_or_b32 s7, s7, s31
	s_and_b32 s31, s7, exec_lo
	s_delay_alu instid0(SALU_CYCLE_1)
	s_or_b32 s29, s29, s31
	s_mov_b32 s31, exec_lo
	v_cmpx_eq_u32_e64 v30, v31
	s_cbranch_execz .LBB383_1230
; %bb.1232:                             ;   in Loop: Header=BB383_1231 Depth=1
	s_add_nc_u64 s[8:9], s[8:9], -1
	v_add_nc_u64_e32 v[8:9], 4, v[8:9]
	s_cmp_eq_u64 s[8:9], 0
	v_add_nc_u64_e32 v[26:27], 4, v[26:27]
	s_cselect_b32 s30, -1, 0
	s_and_not1_b32 s28, s28, exec_lo
	s_and_b32 s30, s30, exec_lo
	s_and_not1_b32 s29, s29, exec_lo
	s_or_b32 s28, s28, s30
                                        ; implicit-def: $sgpr30
	s_branch .LBB383_1230
.LBB383_1233:
	s_or_b32 exec_lo, exec_lo, s23
	s_xor_b32 s7, s27, -1
	s_branch .LBB383_1235
.LBB383_1234:
	s_mov_b32 s7, -1
.LBB383_1235:
	s_delay_alu instid0(SALU_CYCLE_1)
	s_and_b32 s7, s7, exec_lo
.LBB383_1236:
	s_or_b32 exec_lo, exec_lo, s15
	s_delay_alu instid0(SALU_CYCLE_1)
	s_or_not1_b32 s15, s7, exec_lo
.LBB383_1237:
	s_or_b32 exec_lo, exec_lo, s22
	v_cndmask_b32_e64 v8, v28, v29, s15
	v_cndmask_b32_e64 v9, v48, v47, s15
	s_mov_b32 s22, -1
	s_mov_b32 s23, -1
	s_mov_b32 s27, exec_lo
	v_add_nc_u32_e32 v8, 1, v8
	s_delay_alu instid0(VALU_DEP_1) | instskip(NEXT) | instid1(VALU_DEP_1)
	v_add_min_u32_e64 v9, v9, -1, v8
	v_lshl_add_u32 v9, v9, 3, v43
	ds_load_b64 v[26:27], v9
	v_cndmask_b32_e64 v32, v8, v28, s15
	s_wait_dscnt 0x0
	v_dual_cndmask_b32 v33, v29, v8, s15 :: v_dual_cndmask_b32 v9, v27, v7, s15
	v_dual_cndmask_b32 v8, v26, v6, s15 :: v_dual_cndmask_b32 v27, v25, v27, s15
	v_cndmask_b32_e64 v26, v24, v26, s15
	v_cmpx_lt_u32_e64 v32, v48
	s_cbranch_execz .LBB383_1248
; %bb.1238:
	s_mov_b32 s7, 0
	s_mov_b32 s23, exec_lo
	v_cmpx_lt_u32_e64 v33, v47
	s_cbranch_execz .LBB383_1247
; %bb.1239:
	s_and_not1_b32 vcc_lo, exec_lo, s26
	s_cbranch_vccnz .LBB383_1245
; %bb.1240:
	v_mul_u64_e32 v[28:29], s[16:17], v[8:9]
	v_mul_u64_e32 v[30:31], s[16:17], v[26:27]
	s_mov_b32 s28, 0
	s_mov_b64 s[8:9], s[16:17]
                                        ; implicit-def: $sgpr29
                                        ; implicit-def: $sgpr30
                                        ; implicit-def: $sgpr31
                                        ; implicit-def: $sgpr33
	s_delay_alu instid0(VALU_DEP_2) | instskip(NEXT) | instid1(VALU_DEP_2)
	v_lshl_add_u64 v[28:29], v[28:29], 2, s[18:19]
	v_lshl_add_u64 v[30:31], v[30:31], 2, s[18:19]
	s_branch .LBB383_1242
.LBB383_1241:                           ;   in Loop: Header=BB383_1242 Depth=1
	s_or_b32 exec_lo, exec_lo, s34
	s_delay_alu instid0(SALU_CYCLE_1) | instskip(NEXT) | instid1(SALU_CYCLE_1)
	s_and_b32 s34, exec_lo, s30
	s_or_b32 s28, s34, s28
	s_and_not1_b32 s33, s33, exec_lo
	s_and_b32 s7, s7, exec_lo
	s_and_not1_b32 s29, s29, exec_lo
	s_and_b32 s34, s31, exec_lo
	s_or_b32 s33, s33, s7
	s_or_b32 s29, s29, s34
	s_and_not1_b32 exec_lo, exec_lo, s28
	s_cbranch_execz .LBB383_1244
.LBB383_1242:                           ; =>This Inner Loop Header: Depth=1
	global_load_b32 v34, v[28:29], off
	global_load_b32 v35, v[30:31], off
	s_and_not1_b32 s31, s31, exec_lo
	s_or_b32 s30, s30, exec_lo
	s_wait_loadcnt 0x0
	v_cmp_le_i32_e32 vcc_lo, v34, v35
	v_cmp_lt_i32_e64 s7, v34, v35
	s_and_b32 s34, vcc_lo, s33
	s_delay_alu instid0(SALU_CYCLE_1) | instskip(NEXT) | instid1(SALU_CYCLE_1)
	s_or_b32 s7, s7, s34
	s_and_b32 s34, s7, exec_lo
	s_delay_alu instid0(SALU_CYCLE_1)
	s_or_b32 s31, s31, s34
	s_mov_b32 s34, exec_lo
	v_cmpx_eq_u32_e64 v34, v35
	s_cbranch_execz .LBB383_1241
; %bb.1243:                             ;   in Loop: Header=BB383_1242 Depth=1
	s_add_nc_u64 s[8:9], s[8:9], -1
	v_add_nc_u64_e32 v[28:29], 4, v[28:29]
	s_cmp_eq_u64 s[8:9], 0
	v_add_nc_u64_e32 v[30:31], 4, v[30:31]
	s_cselect_b32 s33, -1, 0
	s_and_not1_b32 s30, s30, exec_lo
	s_and_b32 s33, s33, exec_lo
	s_and_not1_b32 s31, s31, exec_lo
	s_or_b32 s30, s30, s33
                                        ; implicit-def: $sgpr33
	s_branch .LBB383_1241
.LBB383_1244:
	s_or_b32 exec_lo, exec_lo, s28
	s_xor_b32 s7, s29, -1
	s_branch .LBB383_1246
.LBB383_1245:
	s_mov_b32 s7, -1
.LBB383_1246:
	s_delay_alu instid0(SALU_CYCLE_1)
	s_and_b32 s7, s7, exec_lo
.LBB383_1247:
	s_or_b32 exec_lo, exec_lo, s23
	s_delay_alu instid0(SALU_CYCLE_1)
	s_or_not1_b32 s23, s7, exec_lo
.LBB383_1248:
	s_or_b32 exec_lo, exec_lo, s27
	v_cndmask_b32_e64 v28, v32, v33, s23
	v_cndmask_b32_e64 v29, v48, v47, s23
	s_mov_b32 s27, exec_lo
	s_delay_alu instid0(VALU_DEP_2) | instskip(NEXT) | instid1(VALU_DEP_1)
	v_add_nc_u32_e32 v28, 1, v28
	v_add_min_u32_e64 v29, v29, -1, v28
	s_delay_alu instid0(VALU_DEP_1)
	v_lshl_add_u32 v29, v29, 3, v43
	ds_load_b64 v[30:31], v29
	v_cndmask_b32_e64 v50, v28, v32, s23
	s_wait_dscnt 0x0
	v_dual_cndmask_b32 v49, v33, v28, s23 :: v_dual_cndmask_b32 v29, v31, v9, s23
	v_dual_cndmask_b32 v28, v30, v8, s23 :: v_dual_cndmask_b32 v31, v27, v31, s23
	v_cndmask_b32_e64 v30, v26, v30, s23
	v_cmpx_lt_u32_e64 v50, v48
	s_cbranch_execz .LBB383_1259
; %bb.1249:
	s_mov_b32 s7, 0
	s_mov_b32 s22, exec_lo
	v_cmpx_lt_u32_e64 v49, v47
	s_cbranch_execz .LBB383_1258
; %bb.1250:
	s_and_not1_b32 vcc_lo, exec_lo, s26
	s_cbranch_vccnz .LBB383_1256
; %bb.1251:
	v_mul_u64_e32 v[32:33], s[16:17], v[28:29]
	v_mul_u64_e32 v[34:35], s[16:17], v[30:31]
	s_mov_b32 s28, 0
	s_mov_b64 s[8:9], s[16:17]
                                        ; implicit-def: $sgpr29
                                        ; implicit-def: $sgpr30
                                        ; implicit-def: $sgpr31
                                        ; implicit-def: $sgpr33
	s_delay_alu instid0(VALU_DEP_2) | instskip(NEXT) | instid1(VALU_DEP_2)
	v_lshl_add_u64 v[32:33], v[32:33], 2, s[18:19]
	v_lshl_add_u64 v[34:35], v[34:35], 2, s[18:19]
	s_branch .LBB383_1253
.LBB383_1252:                           ;   in Loop: Header=BB383_1253 Depth=1
	s_or_b32 exec_lo, exec_lo, s34
	s_delay_alu instid0(SALU_CYCLE_1) | instskip(NEXT) | instid1(SALU_CYCLE_1)
	s_and_b32 s34, exec_lo, s30
	s_or_b32 s28, s34, s28
	s_and_not1_b32 s33, s33, exec_lo
	s_and_b32 s7, s7, exec_lo
	s_and_not1_b32 s29, s29, exec_lo
	s_and_b32 s34, s31, exec_lo
	s_or_b32 s33, s33, s7
	s_or_b32 s29, s29, s34
	s_and_not1_b32 exec_lo, exec_lo, s28
	s_cbranch_execz .LBB383_1255
.LBB383_1253:                           ; =>This Inner Loop Header: Depth=1
	global_load_b32 v51, v[32:33], off
	global_load_b32 v52, v[34:35], off
	s_and_not1_b32 s31, s31, exec_lo
	s_or_b32 s30, s30, exec_lo
	s_wait_loadcnt 0x0
	v_cmp_le_i32_e32 vcc_lo, v51, v52
	v_cmp_lt_i32_e64 s7, v51, v52
	s_and_b32 s34, vcc_lo, s33
	s_delay_alu instid0(SALU_CYCLE_1) | instskip(NEXT) | instid1(SALU_CYCLE_1)
	s_or_b32 s7, s7, s34
	s_and_b32 s34, s7, exec_lo
	s_delay_alu instid0(SALU_CYCLE_1)
	s_or_b32 s31, s31, s34
	s_mov_b32 s34, exec_lo
	v_cmpx_eq_u32_e64 v51, v52
	s_cbranch_execz .LBB383_1252
; %bb.1254:                             ;   in Loop: Header=BB383_1253 Depth=1
	s_add_nc_u64 s[8:9], s[8:9], -1
	v_add_nc_u64_e32 v[32:33], 4, v[32:33]
	s_cmp_eq_u64 s[8:9], 0
	v_add_nc_u64_e32 v[34:35], 4, v[34:35]
	s_cselect_b32 s33, -1, 0
	s_and_not1_b32 s30, s30, exec_lo
	s_and_b32 s33, s33, exec_lo
	s_and_not1_b32 s31, s31, exec_lo
	s_or_b32 s30, s30, s33
                                        ; implicit-def: $sgpr33
	s_branch .LBB383_1252
.LBB383_1255:
	s_or_b32 exec_lo, exec_lo, s28
	s_xor_b32 s7, s29, -1
	s_branch .LBB383_1257
.LBB383_1256:
	s_mov_b32 s7, -1
.LBB383_1257:
	s_delay_alu instid0(SALU_CYCLE_1)
	s_and_b32 s7, s7, exec_lo
.LBB383_1258:
	s_or_b32 exec_lo, exec_lo, s22
	s_delay_alu instid0(SALU_CYCLE_1)
	s_or_not1_b32 s22, s7, exec_lo
.LBB383_1259:
	s_or_b32 exec_lo, exec_lo, s27
	v_dual_cndmask_b32 v32, v50, v49, s22 :: v_dual_cndmask_b32 v33, v48, v47, s22
	v_dual_cndmask_b32 v8, v8, v26, s23 :: v_dual_cndmask_b32 v7, v7, v25, s15
	;; [unrolled: 1-line block ×3, first 2 shown]
	s_delay_alu instid0(VALU_DEP_3) | instskip(SKIP_2) | instid1(VALU_DEP_3)
	v_dual_add_nc_u32 v34, 1, v32 :: v_dual_cndmask_b32 v9, v9, v27, s23
	v_dual_cndmask_b32 v12, v12, v22, s14 :: v_dual_cndmask_b32 v11, v11, v17, s13
	v_dual_cndmask_b32 v10, v10, v16, s13 :: v_dual_cndmask_b32 v17, v5, v15, s12
	v_add_min_u32_e64 v32, v33, -1, v34
	v_dual_cndmask_b32 v16, v4, v14, s12 :: v_dual_cndmask_b32 v15, v3, v1, s11
	v_dual_cndmask_b32 v14, v2, v0, s11 :: v_dual_cndmask_b32 v3, v29, v31, s22
	s_delay_alu instid0(VALU_DEP_3)
	v_lshl_add_u32 v32, v32, 3, v43
	s_mov_b32 s11, exec_lo
	ds_load_b64 v[32:33], v32
	v_cndmask_b32_e64 v0, v34, v50, s22
	s_wait_dscnt 0x0
	v_dual_cndmask_b32 v2, v28, v30, s22 :: v_dual_cndmask_b32 v4, v30, v32, s22
	v_cndmask_b32_e64 v5, v31, v33, s22
	s_delay_alu instid0(VALU_DEP_3)
	v_cmpx_lt_u32_e64 v0, v48
	s_cbranch_execz .LBB383_1269
; %bb.1260:
	v_dual_cndmask_b32 v22, v49, v34, s22 :: v_dual_cndmask_b32 v0, v32, v28, s22
	v_cndmask_b32_e64 v1, v33, v29, s22
	s_mov_b32 s12, exec_lo
	s_delay_alu instid0(VALU_DEP_2)
	v_cmpx_lt_u32_e64 v22, v47
	s_cbranch_execz .LBB383_1268
; %bb.1261:
	s_and_not1_b32 vcc_lo, exec_lo, s26
	s_cbranch_vccnz .LBB383_1267
; %bb.1262:
	v_mul_u64_e32 v[22:23], s[16:17], v[0:1]
	v_mul_u64_e32 v[24:25], s[16:17], v[4:5]
	s_mov_b32 s13, 0
	s_mov_b64 s[8:9], s[16:17]
                                        ; implicit-def: $sgpr14
                                        ; implicit-def: $sgpr15
                                        ; implicit-def: $sgpr22
                                        ; implicit-def: $sgpr23
	s_delay_alu instid0(VALU_DEP_2) | instskip(NEXT) | instid1(VALU_DEP_2)
	v_lshl_add_u64 v[22:23], v[22:23], 2, s[18:19]
	v_lshl_add_u64 v[24:25], v[24:25], 2, s[18:19]
	s_branch .LBB383_1264
.LBB383_1263:                           ;   in Loop: Header=BB383_1264 Depth=1
	s_or_b32 exec_lo, exec_lo, s27
	s_delay_alu instid0(SALU_CYCLE_1) | instskip(NEXT) | instid1(SALU_CYCLE_1)
	s_and_b32 s27, exec_lo, s15
	s_or_b32 s13, s27, s13
	s_and_not1_b32 s23, s23, exec_lo
	s_and_b32 s7, s7, exec_lo
	s_and_not1_b32 s14, s14, exec_lo
	s_and_b32 s27, s22, exec_lo
	s_or_b32 s23, s23, s7
	s_or_b32 s14, s14, s27
	s_and_not1_b32 exec_lo, exec_lo, s13
	s_cbranch_execz .LBB383_1266
.LBB383_1264:                           ; =>This Inner Loop Header: Depth=1
	global_load_b32 v26, v[22:23], off
	global_load_b32 v27, v[24:25], off
	s_and_not1_b32 s22, s22, exec_lo
	s_or_b32 s15, s15, exec_lo
	s_wait_loadcnt 0x0
	v_cmp_le_i32_e32 vcc_lo, v26, v27
	v_cmp_lt_i32_e64 s7, v26, v27
	s_and_b32 s27, vcc_lo, s23
	s_delay_alu instid0(SALU_CYCLE_1) | instskip(NEXT) | instid1(SALU_CYCLE_1)
	s_or_b32 s7, s7, s27
	s_and_b32 s27, s7, exec_lo
	s_delay_alu instid0(SALU_CYCLE_1)
	s_or_b32 s22, s22, s27
	s_mov_b32 s27, exec_lo
	v_cmpx_eq_u32_e64 v26, v27
	s_cbranch_execz .LBB383_1263
; %bb.1265:                             ;   in Loop: Header=BB383_1264 Depth=1
	s_add_nc_u64 s[8:9], s[8:9], -1
	v_add_nc_u64_e32 v[22:23], 4, v[22:23]
	s_cmp_eq_u64 s[8:9], 0
	v_add_nc_u64_e32 v[24:25], 4, v[24:25]
	s_cselect_b32 s23, -1, 0
	s_and_not1_b32 s15, s15, exec_lo
	s_and_b32 s23, s23, exec_lo
	s_and_not1_b32 s22, s22, exec_lo
	s_or_b32 s15, s15, s23
                                        ; implicit-def: $sgpr23
	s_branch .LBB383_1263
.LBB383_1266:
	s_or_b32 exec_lo, exec_lo, s13
	v_dual_cndmask_b32 v5, v5, v1, s14 :: v_dual_cndmask_b32 v4, v4, v0, s14
.LBB383_1267:
	s_delay_alu instid0(VALU_DEP_1)
	v_mov_b64_e32 v[0:1], v[4:5]
.LBB383_1268:
	s_or_b32 exec_lo, exec_lo, s12
	s_delay_alu instid0(VALU_DEP_1)
	v_mov_b64_e32 v[4:5], v[0:1]
.LBB383_1269:
	s_or_b32 exec_lo, exec_lo, s11
.LBB383_1270:
	s_delay_alu instid0(SALU_CYCLE_1)
	s_or_b32 exec_lo, exec_lo, s10
	v_and_b32_e32 v26, 0x80, v45
	s_mov_b32 s12, exec_lo
	; wave barrier
	ds_store_b128 v46, v[14:17]
	ds_store_b128 v46, v[10:13] offset:16
	v_or_b32_e32 v0, 64, v26
	v_lshl_add_u32 v25, v26, 3, v43
	ds_store_b128 v46, v[6:9] offset:32
	ds_store_b128 v46, v[2:5] offset:48
	; wave barrier
	v_min_u32_e32 v47, v44, v0
	v_and_b32_e32 v0, 0x78, v45
	s_delay_alu instid0(VALU_DEP_2) | instskip(NEXT) | instid1(VALU_DEP_2)
	v_add_min_u32_e64 v45, v47, 64, v44
	v_min_u32_e32 v27, v44, v0
	s_delay_alu instid0(VALU_DEP_2) | instskip(NEXT) | instid1(VALU_DEP_1)
	v_dual_sub_nc_u32 v1, v47, v26 :: v_dual_sub_nc_u32 v0, v45, v47
	v_min_u32_e32 v28, v27, v1
	s_delay_alu instid0(VALU_DEP_2) | instskip(NEXT) | instid1(VALU_DEP_1)
	v_sub_nc_u32_e64 v24, v27, v0 clamp
	v_cmpx_lt_u32_e64 v24, v28
	s_cbranch_execz .LBB383_1280
; %bb.1271:
	v_lshlrev_b32_e32 v0, 3, v47
	v_lshlrev_b32_e32 v1, 3, v27
	s_lshl_b64 s[8:9], s[16:17], 2
	s_mov_b32 s13, 0
	s_delay_alu instid0(VALU_DEP_1)
	v_add3_u32 v29, v43, v0, v1
	s_branch .LBB383_1274
.LBB383_1272:                           ;   in Loop: Header=BB383_1274 Depth=1
	s_or_b32 exec_lo, exec_lo, s15
.LBB383_1273:                           ;   in Loop: Header=BB383_1274 Depth=1
	s_delay_alu instid0(VALU_DEP_1) | instskip(NEXT) | instid1(VALU_DEP_1)
	v_dual_add_nc_u32 v0, 1, v30 :: v_dual_cndmask_b32 v28, v28, v30, s14
	v_cndmask_b32_e64 v24, v0, v24, s14
	s_delay_alu instid0(VALU_DEP_1) | instskip(SKIP_1) | instid1(SALU_CYCLE_1)
	v_cmp_ge_u32_e32 vcc_lo, v24, v28
	s_or_b32 s13, vcc_lo, s13
	s_and_not1_b32 exec_lo, exec_lo, s13
	s_cbranch_execz .LBB383_1279
.LBB383_1274:                           ; =>This Loop Header: Depth=1
                                        ;     Child Loop BB383_1277 Depth 2
	v_add_nc_u32_e32 v0, v28, v24
	s_and_not1_b32 vcc_lo, exec_lo, s26
	s_mov_b32 s14, 0
	s_delay_alu instid0(VALU_DEP_1)
	v_lshrrev_b32_e32 v30, 1, v0
	s_cbranch_vccnz .LBB383_1273
; %bb.1275:                             ;   in Loop: Header=BB383_1274 Depth=1
	s_delay_alu instid0(VALU_DEP_1) | instskip(SKIP_3) | instid1(VALU_DEP_2)
	v_not_b32_e32 v0, v30
	v_lshl_add_u32 v1, v30, 3, v25
	s_mov_b32 s15, 0
	s_mov_b64 s[10:11], s[16:17]
                                        ; implicit-def: $sgpr14
                                        ; implicit-def: $sgpr22
                                        ; implicit-def: $sgpr23
                                        ; implicit-def: $sgpr27
	v_lshl_add_u32 v0, v0, 3, v29
	ds_load_b64 v[32:33], v0
	ds_load_b64 v[34:35], v1
	s_wait_dscnt 0x1
	v_mad_nc_u64_u32 v[0:1], s8, v32, s[18:19]
	s_wait_dscnt 0x0
	v_mad_nc_u64_u32 v[22:23], s8, v34, s[18:19]
	s_delay_alu instid0(VALU_DEP_2) | instskip(NEXT) | instid1(VALU_DEP_2)
	v_mad_u32 v1, s9, v32, v1
	v_mad_u32 v23, s9, v34, v23
	s_delay_alu instid0(VALU_DEP_2) | instskip(NEXT) | instid1(VALU_DEP_2)
	v_mad_u32 v1, s8, v33, v1
	v_mad_u32 v23, s8, v35, v23
	s_branch .LBB383_1277
.LBB383_1276:                           ;   in Loop: Header=BB383_1277 Depth=2
	s_or_b32 exec_lo, exec_lo, s28
	s_delay_alu instid0(SALU_CYCLE_1) | instskip(NEXT) | instid1(SALU_CYCLE_1)
	s_and_b32 s28, exec_lo, s22
	s_or_b32 s15, s28, s15
	s_and_not1_b32 s27, s27, exec_lo
	s_and_b32 s7, s7, exec_lo
	s_and_not1_b32 s14, s14, exec_lo
	s_and_b32 s28, s23, exec_lo
	s_or_b32 s27, s27, s7
	s_or_b32 s14, s14, s28
	s_and_not1_b32 exec_lo, exec_lo, s15
	s_cbranch_execz .LBB383_1272
.LBB383_1277:                           ;   Parent Loop BB383_1274 Depth=1
                                        ; =>  This Inner Loop Header: Depth=2
	global_load_b32 v31, v[0:1], off
	global_load_b32 v32, v[22:23], off
	s_and_not1_b32 s23, s23, exec_lo
	s_or_b32 s22, s22, exec_lo
	s_wait_loadcnt 0x0
	v_cmp_le_i32_e32 vcc_lo, v31, v32
	v_cmp_lt_i32_e64 s7, v31, v32
	s_and_b32 s28, vcc_lo, s27
	s_delay_alu instid0(SALU_CYCLE_1) | instskip(NEXT) | instid1(SALU_CYCLE_1)
	s_or_b32 s7, s7, s28
	s_and_b32 s28, s7, exec_lo
	s_delay_alu instid0(SALU_CYCLE_1)
	s_or_b32 s23, s23, s28
	s_mov_b32 s28, exec_lo
	v_cmpx_eq_u32_e64 v31, v32
	s_cbranch_execz .LBB383_1276
; %bb.1278:                             ;   in Loop: Header=BB383_1277 Depth=2
	s_add_nc_u64 s[10:11], s[10:11], -1
	v_add_nc_u64_e32 v[0:1], 4, v[0:1]
	s_cmp_eq_u64 s[10:11], 0
	v_add_nc_u64_e32 v[22:23], 4, v[22:23]
	s_cselect_b32 s27, -1, 0
	s_and_not1_b32 s22, s22, exec_lo
	s_and_b32 s27, s27, exec_lo
	s_and_not1_b32 s23, s23, exec_lo
	s_or_b32 s22, s22, s27
                                        ; implicit-def: $sgpr27
	s_branch .LBB383_1276
.LBB383_1279:
	s_or_b32 exec_lo, exec_lo, s13
.LBB383_1280:
	s_delay_alu instid0(SALU_CYCLE_1) | instskip(SKIP_1) | instid1(VALU_DEP_1)
	s_or_b32 exec_lo, exec_lo, s12
	v_dual_add_nc_u32 v0, v47, v27 :: v_dual_add_nc_u32 v22, v24, v26
	v_sub_nc_u32_e32 v23, v0, v24
	s_delay_alu instid0(VALU_DEP_2) | instskip(NEXT) | instid1(VALU_DEP_2)
	v_cmp_le_u32_e32 vcc_lo, v22, v47
	v_cmp_le_u32_e64 s7, v23, v45
	s_or_b32 s7, vcc_lo, s7
	s_delay_alu instid0(SALU_CYCLE_1)
	s_and_saveexec_b32 s10, s7
	s_cbranch_execz .LBB383_1371
; %bb.1281:
	s_mov_b32 s8, exec_lo
	v_cmp_ge_u32_e32 vcc_lo, v22, v47
                                        ; implicit-def: $vgpr0_vgpr1
	v_cmpx_lt_u32_e64 v22, v47
; %bb.1282:
	v_lshl_add_u32 v0, v24, 3, v25
	ds_load_b64 v[0:1], v0
; %bb.1283:
	s_or_b32 exec_lo, exec_lo, s8
	v_cmp_ge_u32_e64 s11, v23, v45
	s_mov_b32 s8, exec_lo
                                        ; implicit-def: $vgpr2_vgpr3
	v_cmpx_lt_u32_e64 v23, v45
; %bb.1284:
	v_lshl_add_u32 v2, v23, 3, v43
	ds_load_b64 v[2:3], v2
; %bb.1285:
	s_or_b32 exec_lo, exec_lo, s8
	s_nor_b32 s7, vcc_lo, s11
	s_delay_alu instid0(SALU_CYCLE_1)
	s_and_saveexec_b32 s12, s7
	s_cbranch_execz .LBB383_1294
; %bb.1286:
	s_and_not1_b32 vcc_lo, exec_lo, s26
	s_cbranch_vccnz .LBB383_1292
; %bb.1287:
	s_wait_dscnt 0x0
	v_mul_u64_e32 v[4:5], s[16:17], v[2:3]
	v_mul_u64_e32 v[6:7], s[16:17], v[0:1]
	s_mov_b32 s13, 0
	s_mov_b64 s[8:9], s[16:17]
                                        ; implicit-def: $sgpr14
                                        ; implicit-def: $sgpr15
                                        ; implicit-def: $sgpr22
                                        ; implicit-def: $sgpr23
	s_delay_alu instid0(VALU_DEP_2) | instskip(NEXT) | instid1(VALU_DEP_2)
	v_lshl_add_u64 v[4:5], v[4:5], 2, s[18:19]
	v_lshl_add_u64 v[6:7], v[6:7], 2, s[18:19]
	s_branch .LBB383_1289
.LBB383_1288:                           ;   in Loop: Header=BB383_1289 Depth=1
	s_or_b32 exec_lo, exec_lo, s27
	s_delay_alu instid0(SALU_CYCLE_1) | instskip(NEXT) | instid1(SALU_CYCLE_1)
	s_and_b32 s27, exec_lo, s15
	s_or_b32 s13, s27, s13
	s_and_not1_b32 s23, s23, exec_lo
	s_and_b32 s7, s7, exec_lo
	s_and_not1_b32 s14, s14, exec_lo
	s_and_b32 s27, s22, exec_lo
	s_or_b32 s23, s23, s7
	s_or_b32 s14, s14, s27
	s_and_not1_b32 exec_lo, exec_lo, s13
	s_cbranch_execz .LBB383_1291
.LBB383_1289:                           ; =>This Inner Loop Header: Depth=1
	global_load_b32 v8, v[4:5], off
	global_load_b32 v9, v[6:7], off
	s_and_not1_b32 s22, s22, exec_lo
	s_or_b32 s15, s15, exec_lo
	s_wait_loadcnt 0x0
	v_cmp_le_i32_e32 vcc_lo, v8, v9
	v_cmp_lt_i32_e64 s7, v8, v9
	s_and_b32 s27, vcc_lo, s23
	s_delay_alu instid0(SALU_CYCLE_1) | instskip(NEXT) | instid1(SALU_CYCLE_1)
	s_or_b32 s7, s7, s27
	s_and_b32 s27, s7, exec_lo
	s_delay_alu instid0(SALU_CYCLE_1)
	s_or_b32 s22, s22, s27
	s_mov_b32 s27, exec_lo
	v_cmpx_eq_u32_e64 v8, v9
	s_cbranch_execz .LBB383_1288
; %bb.1290:                             ;   in Loop: Header=BB383_1289 Depth=1
	s_add_nc_u64 s[8:9], s[8:9], -1
	v_add_nc_u64_e32 v[4:5], 4, v[4:5]
	s_cmp_eq_u64 s[8:9], 0
	v_add_nc_u64_e32 v[6:7], 4, v[6:7]
	s_cselect_b32 s23, -1, 0
	s_and_not1_b32 s15, s15, exec_lo
	s_and_b32 s23, s23, exec_lo
	s_and_not1_b32 s22, s22, exec_lo
	s_or_b32 s15, s15, s23
                                        ; implicit-def: $sgpr23
	s_branch .LBB383_1288
.LBB383_1291:
	s_or_b32 exec_lo, exec_lo, s13
	s_xor_b32 s7, s14, -1
	s_branch .LBB383_1293
.LBB383_1292:
	s_mov_b32 s7, -1
.LBB383_1293:
	s_and_not1_b32 s8, s11, exec_lo
	s_and_b32 s7, s7, exec_lo
	s_delay_alu instid0(SALU_CYCLE_1)
	s_or_b32 s11, s8, s7
.LBB383_1294:
	s_or_b32 exec_lo, exec_lo, s12
	v_dual_cndmask_b32 v4, v23, v22, s11 :: v_dual_cndmask_b32 v5, v45, v47, s11
	s_mov_b32 s13, -1
	s_mov_b32 s12, -1
	s_mov_b32 s14, exec_lo
	s_delay_alu instid0(VALU_DEP_1) | instskip(NEXT) | instid1(VALU_DEP_1)
	v_add_nc_u32_e32 v4, 1, v4
	v_add_min_u32_e64 v5, v5, -1, v4
	s_delay_alu instid0(VALU_DEP_1)
	v_lshl_add_u32 v5, v5, 3, v43
	ds_load_b64 v[6:7], v5
	s_wait_dscnt 0x0
	v_cndmask_b32_e64 v5, v7, v3, s11
	v_dual_cndmask_b32 v10, v4, v23, s11 :: v_dual_cndmask_b32 v11, v22, v4, s11
	v_dual_cndmask_b32 v4, v6, v2, s11 :: v_dual_cndmask_b32 v15, v1, v7, s11
	v_cndmask_b32_e64 v14, v0, v6, s11
	s_delay_alu instid0(VALU_DEP_3)
	v_cmpx_lt_u32_e64 v10, v45
	s_cbranch_execz .LBB383_1305
; %bb.1295:
	s_mov_b32 s7, 0
	s_mov_b32 s12, exec_lo
	v_cmpx_lt_u32_e64 v11, v47
	s_cbranch_execz .LBB383_1304
; %bb.1296:
	s_and_not1_b32 vcc_lo, exec_lo, s26
	s_cbranch_vccnz .LBB383_1302
; %bb.1297:
	v_mul_u64_e32 v[6:7], s[16:17], v[4:5]
	v_mul_u64_e32 v[8:9], s[16:17], v[14:15]
	s_mov_b32 s15, 0
	s_mov_b64 s[8:9], s[16:17]
                                        ; implicit-def: $sgpr22
                                        ; implicit-def: $sgpr23
                                        ; implicit-def: $sgpr27
                                        ; implicit-def: $sgpr28
	s_delay_alu instid0(VALU_DEP_2) | instskip(NEXT) | instid1(VALU_DEP_2)
	v_lshl_add_u64 v[6:7], v[6:7], 2, s[18:19]
	v_lshl_add_u64 v[8:9], v[8:9], 2, s[18:19]
	s_branch .LBB383_1299
.LBB383_1298:                           ;   in Loop: Header=BB383_1299 Depth=1
	s_or_b32 exec_lo, exec_lo, s29
	s_delay_alu instid0(SALU_CYCLE_1) | instskip(NEXT) | instid1(SALU_CYCLE_1)
	s_and_b32 s29, exec_lo, s23
	s_or_b32 s15, s29, s15
	s_and_not1_b32 s28, s28, exec_lo
	s_and_b32 s7, s7, exec_lo
	s_and_not1_b32 s22, s22, exec_lo
	s_and_b32 s29, s27, exec_lo
	s_or_b32 s28, s28, s7
	s_or_b32 s22, s22, s29
	s_and_not1_b32 exec_lo, exec_lo, s15
	s_cbranch_execz .LBB383_1301
.LBB383_1299:                           ; =>This Inner Loop Header: Depth=1
	global_load_b32 v12, v[6:7], off
	global_load_b32 v13, v[8:9], off
	s_and_not1_b32 s27, s27, exec_lo
	s_or_b32 s23, s23, exec_lo
	s_wait_loadcnt 0x0
	v_cmp_le_i32_e32 vcc_lo, v12, v13
	v_cmp_lt_i32_e64 s7, v12, v13
	s_and_b32 s29, vcc_lo, s28
	s_delay_alu instid0(SALU_CYCLE_1) | instskip(NEXT) | instid1(SALU_CYCLE_1)
	s_or_b32 s7, s7, s29
	s_and_b32 s29, s7, exec_lo
	s_delay_alu instid0(SALU_CYCLE_1)
	s_or_b32 s27, s27, s29
	s_mov_b32 s29, exec_lo
	v_cmpx_eq_u32_e64 v12, v13
	s_cbranch_execz .LBB383_1298
; %bb.1300:                             ;   in Loop: Header=BB383_1299 Depth=1
	s_add_nc_u64 s[8:9], s[8:9], -1
	v_add_nc_u64_e32 v[6:7], 4, v[6:7]
	s_cmp_eq_u64 s[8:9], 0
	v_add_nc_u64_e32 v[8:9], 4, v[8:9]
	s_cselect_b32 s28, -1, 0
	s_and_not1_b32 s23, s23, exec_lo
	s_and_b32 s28, s28, exec_lo
	s_and_not1_b32 s27, s27, exec_lo
	s_or_b32 s23, s23, s28
                                        ; implicit-def: $sgpr28
	s_branch .LBB383_1298
.LBB383_1301:
	s_or_b32 exec_lo, exec_lo, s15
	s_xor_b32 s7, s22, -1
	s_branch .LBB383_1303
.LBB383_1302:
	s_mov_b32 s7, -1
.LBB383_1303:
	s_delay_alu instid0(SALU_CYCLE_1)
	s_and_b32 s7, s7, exec_lo
.LBB383_1304:
	s_or_b32 exec_lo, exec_lo, s12
	s_delay_alu instid0(SALU_CYCLE_1)
	s_or_not1_b32 s12, s7, exec_lo
.LBB383_1305:
	s_or_b32 exec_lo, exec_lo, s14
	v_cndmask_b32_e64 v6, v10, v11, s12
	v_cndmask_b32_e64 v7, v45, v47, s12
	s_mov_b32 s14, exec_lo
	s_delay_alu instid0(VALU_DEP_2) | instskip(NEXT) | instid1(VALU_DEP_1)
	v_add_nc_u32_e32 v8, 1, v6
	v_add_min_u32_e64 v6, v7, -1, v8
	v_cndmask_b32_e64 v12, v8, v10, s12
	s_delay_alu instid0(VALU_DEP_2)
	v_lshl_add_u32 v6, v6, 3, v43
	ds_load_b64 v[6:7], v6
	s_wait_dscnt 0x0
	v_dual_cndmask_b32 v13, v11, v8, s12 :: v_dual_cndmask_b32 v16, v14, v6, s12
	v_dual_cndmask_b32 v11, v7, v5, s12 :: v_dual_cndmask_b32 v10, v6, v4, s12
	v_cndmask_b32_e64 v17, v15, v7, s12
	v_cmpx_lt_u32_e64 v12, v45
	s_cbranch_execz .LBB383_1316
; %bb.1306:
	s_mov_b32 s7, 0
	s_mov_b32 s13, exec_lo
	v_cmpx_lt_u32_e64 v13, v47
	s_cbranch_execz .LBB383_1315
; %bb.1307:
	s_and_not1_b32 vcc_lo, exec_lo, s26
	s_cbranch_vccnz .LBB383_1313
; %bb.1308:
	v_mul_u64_e32 v[6:7], s[16:17], v[10:11]
	v_mul_u64_e32 v[8:9], s[16:17], v[16:17]
	s_mov_b32 s15, 0
	s_mov_b64 s[8:9], s[16:17]
                                        ; implicit-def: $sgpr22
                                        ; implicit-def: $sgpr23
                                        ; implicit-def: $sgpr27
                                        ; implicit-def: $sgpr28
	s_delay_alu instid0(VALU_DEP_2) | instskip(NEXT) | instid1(VALU_DEP_2)
	v_lshl_add_u64 v[6:7], v[6:7], 2, s[18:19]
	v_lshl_add_u64 v[8:9], v[8:9], 2, s[18:19]
	s_branch .LBB383_1310
.LBB383_1309:                           ;   in Loop: Header=BB383_1310 Depth=1
	s_or_b32 exec_lo, exec_lo, s29
	s_delay_alu instid0(SALU_CYCLE_1) | instskip(NEXT) | instid1(SALU_CYCLE_1)
	s_and_b32 s29, exec_lo, s23
	s_or_b32 s15, s29, s15
	s_and_not1_b32 s28, s28, exec_lo
	s_and_b32 s7, s7, exec_lo
	s_and_not1_b32 s22, s22, exec_lo
	s_and_b32 s29, s27, exec_lo
	s_or_b32 s28, s28, s7
	s_or_b32 s22, s22, s29
	s_and_not1_b32 exec_lo, exec_lo, s15
	s_cbranch_execz .LBB383_1312
.LBB383_1310:                           ; =>This Inner Loop Header: Depth=1
	global_load_b32 v22, v[6:7], off
	global_load_b32 v23, v[8:9], off
	s_and_not1_b32 s27, s27, exec_lo
	s_or_b32 s23, s23, exec_lo
	s_wait_loadcnt 0x0
	v_cmp_le_i32_e32 vcc_lo, v22, v23
	v_cmp_lt_i32_e64 s7, v22, v23
	s_and_b32 s29, vcc_lo, s28
	s_delay_alu instid0(SALU_CYCLE_1) | instskip(NEXT) | instid1(SALU_CYCLE_1)
	s_or_b32 s7, s7, s29
	s_and_b32 s29, s7, exec_lo
	s_delay_alu instid0(SALU_CYCLE_1)
	s_or_b32 s27, s27, s29
	s_mov_b32 s29, exec_lo
	v_cmpx_eq_u32_e64 v22, v23
	s_cbranch_execz .LBB383_1309
; %bb.1311:                             ;   in Loop: Header=BB383_1310 Depth=1
	s_add_nc_u64 s[8:9], s[8:9], -1
	v_add_nc_u64_e32 v[6:7], 4, v[6:7]
	s_cmp_eq_u64 s[8:9], 0
	v_add_nc_u64_e32 v[8:9], 4, v[8:9]
	s_cselect_b32 s28, -1, 0
	s_and_not1_b32 s23, s23, exec_lo
	s_and_b32 s28, s28, exec_lo
	s_and_not1_b32 s27, s27, exec_lo
	s_or_b32 s23, s23, s28
                                        ; implicit-def: $sgpr28
	s_branch .LBB383_1309
.LBB383_1312:
	s_or_b32 exec_lo, exec_lo, s15
	s_xor_b32 s7, s22, -1
	s_branch .LBB383_1314
.LBB383_1313:
	s_mov_b32 s7, -1
.LBB383_1314:
	s_delay_alu instid0(SALU_CYCLE_1)
	s_and_b32 s7, s7, exec_lo
.LBB383_1315:
	s_or_b32 exec_lo, exec_lo, s13
	s_delay_alu instid0(SALU_CYCLE_1)
	s_or_not1_b32 s13, s7, exec_lo
.LBB383_1316:
	s_or_b32 exec_lo, exec_lo, s14
	v_dual_cndmask_b32 v6, v12, v13, s13 :: v_dual_cndmask_b32 v7, v45, v47, s13
	s_mov_b32 s15, -1
	s_mov_b32 s14, -1
	s_mov_b32 s22, exec_lo
	s_delay_alu instid0(VALU_DEP_1) | instskip(NEXT) | instid1(VALU_DEP_1)
	v_add_nc_u32_e32 v8, 1, v6
	v_add_min_u32_e64 v6, v7, -1, v8
	s_delay_alu instid0(VALU_DEP_1)
	v_lshl_add_u32 v6, v6, 3, v43
	ds_load_b64 v[6:7], v6
	s_wait_dscnt 0x0
	v_dual_cndmask_b32 v25, v13, v8, s13 :: v_dual_cndmask_b32 v22, v16, v6, s13
	v_dual_cndmask_b32 v13, v7, v11, s13 :: v_dual_cndmask_b32 v24, v8, v12, s13
	;; [unrolled: 1-line block ×3, first 2 shown]
	s_delay_alu instid0(VALU_DEP_2)
	v_cmpx_lt_u32_e64 v24, v45
	s_cbranch_execz .LBB383_1327
; %bb.1317:
	s_mov_b32 s7, 0
	s_mov_b32 s14, exec_lo
	v_cmpx_lt_u32_e64 v25, v47
	s_cbranch_execz .LBB383_1326
; %bb.1318:
	s_and_not1_b32 vcc_lo, exec_lo, s26
	s_cbranch_vccnz .LBB383_1324
; %bb.1319:
	v_mul_u64_e32 v[6:7], s[16:17], v[12:13]
	v_mul_u64_e32 v[8:9], s[16:17], v[22:23]
	s_mov_b32 s23, 0
	s_mov_b64 s[8:9], s[16:17]
                                        ; implicit-def: $sgpr27
                                        ; implicit-def: $sgpr28
                                        ; implicit-def: $sgpr29
                                        ; implicit-def: $sgpr30
	s_delay_alu instid0(VALU_DEP_2) | instskip(NEXT) | instid1(VALU_DEP_2)
	v_lshl_add_u64 v[6:7], v[6:7], 2, s[18:19]
	v_lshl_add_u64 v[8:9], v[8:9], 2, s[18:19]
	s_branch .LBB383_1321
.LBB383_1320:                           ;   in Loop: Header=BB383_1321 Depth=1
	s_or_b32 exec_lo, exec_lo, s31
	s_delay_alu instid0(SALU_CYCLE_1) | instskip(NEXT) | instid1(SALU_CYCLE_1)
	s_and_b32 s31, exec_lo, s28
	s_or_b32 s23, s31, s23
	s_and_not1_b32 s30, s30, exec_lo
	s_and_b32 s7, s7, exec_lo
	s_and_not1_b32 s27, s27, exec_lo
	s_and_b32 s31, s29, exec_lo
	s_or_b32 s30, s30, s7
	s_or_b32 s27, s27, s31
	s_and_not1_b32 exec_lo, exec_lo, s23
	s_cbranch_execz .LBB383_1323
.LBB383_1321:                           ; =>This Inner Loop Header: Depth=1
	global_load_b32 v26, v[6:7], off
	global_load_b32 v27, v[8:9], off
	s_and_not1_b32 s29, s29, exec_lo
	s_or_b32 s28, s28, exec_lo
	s_wait_loadcnt 0x0
	v_cmp_le_i32_e32 vcc_lo, v26, v27
	v_cmp_lt_i32_e64 s7, v26, v27
	s_and_b32 s31, vcc_lo, s30
	s_delay_alu instid0(SALU_CYCLE_1) | instskip(NEXT) | instid1(SALU_CYCLE_1)
	s_or_b32 s7, s7, s31
	s_and_b32 s31, s7, exec_lo
	s_delay_alu instid0(SALU_CYCLE_1)
	s_or_b32 s29, s29, s31
	s_mov_b32 s31, exec_lo
	v_cmpx_eq_u32_e64 v26, v27
	s_cbranch_execz .LBB383_1320
; %bb.1322:                             ;   in Loop: Header=BB383_1321 Depth=1
	s_add_nc_u64 s[8:9], s[8:9], -1
	v_add_nc_u64_e32 v[6:7], 4, v[6:7]
	s_cmp_eq_u64 s[8:9], 0
	v_add_nc_u64_e32 v[8:9], 4, v[8:9]
	s_cselect_b32 s30, -1, 0
	s_and_not1_b32 s28, s28, exec_lo
	s_and_b32 s30, s30, exec_lo
	s_and_not1_b32 s29, s29, exec_lo
	s_or_b32 s28, s28, s30
                                        ; implicit-def: $sgpr30
	s_branch .LBB383_1320
.LBB383_1323:
	s_or_b32 exec_lo, exec_lo, s23
	s_xor_b32 s7, s27, -1
	s_branch .LBB383_1325
.LBB383_1324:
	s_mov_b32 s7, -1
.LBB383_1325:
	s_delay_alu instid0(SALU_CYCLE_1)
	s_and_b32 s7, s7, exec_lo
.LBB383_1326:
	s_or_b32 exec_lo, exec_lo, s14
	s_delay_alu instid0(SALU_CYCLE_1)
	s_or_not1_b32 s14, s7, exec_lo
.LBB383_1327:
	s_or_b32 exec_lo, exec_lo, s22
	v_dual_cndmask_b32 v6, v24, v25, s14 :: v_dual_cndmask_b32 v7, v45, v47, s14
	s_mov_b32 s22, exec_lo
	s_delay_alu instid0(VALU_DEP_1) | instskip(NEXT) | instid1(VALU_DEP_1)
	v_add_nc_u32_e32 v6, 1, v6
	v_add_min_u32_e64 v7, v7, -1, v6
	s_delay_alu instid0(VALU_DEP_1)
	v_lshl_add_u32 v7, v7, 3, v43
	ds_load_b64 v[8:9], v7
	s_wait_dscnt 0x0
	v_dual_cndmask_b32 v7, v9, v13, s14 :: v_dual_cndmask_b32 v28, v6, v24, s14
	v_dual_cndmask_b32 v29, v25, v6, s14 :: v_dual_cndmask_b32 v6, v8, v12, s14
	;; [unrolled: 1-line block ×3, first 2 shown]
	s_delay_alu instid0(VALU_DEP_3)
	v_cmpx_lt_u32_e64 v28, v45
	s_cbranch_execz .LBB383_1338
; %bb.1328:
	s_mov_b32 s7, 0
	s_mov_b32 s15, exec_lo
	v_cmpx_lt_u32_e64 v29, v47
	s_cbranch_execz .LBB383_1337
; %bb.1329:
	s_and_not1_b32 vcc_lo, exec_lo, s26
	s_cbranch_vccnz .LBB383_1335
; %bb.1330:
	v_mul_u64_e32 v[8:9], s[16:17], v[6:7]
	v_mul_u64_e32 v[26:27], s[16:17], v[24:25]
	s_mov_b32 s23, 0
	s_mov_b64 s[8:9], s[16:17]
                                        ; implicit-def: $sgpr27
                                        ; implicit-def: $sgpr28
                                        ; implicit-def: $sgpr29
                                        ; implicit-def: $sgpr30
	s_delay_alu instid0(VALU_DEP_2) | instskip(NEXT) | instid1(VALU_DEP_2)
	v_lshl_add_u64 v[8:9], v[8:9], 2, s[18:19]
	v_lshl_add_u64 v[26:27], v[26:27], 2, s[18:19]
	s_branch .LBB383_1332
.LBB383_1331:                           ;   in Loop: Header=BB383_1332 Depth=1
	s_or_b32 exec_lo, exec_lo, s31
	s_delay_alu instid0(SALU_CYCLE_1) | instskip(NEXT) | instid1(SALU_CYCLE_1)
	s_and_b32 s31, exec_lo, s28
	s_or_b32 s23, s31, s23
	s_and_not1_b32 s30, s30, exec_lo
	s_and_b32 s7, s7, exec_lo
	s_and_not1_b32 s27, s27, exec_lo
	s_and_b32 s31, s29, exec_lo
	s_or_b32 s30, s30, s7
	s_or_b32 s27, s27, s31
	s_and_not1_b32 exec_lo, exec_lo, s23
	s_cbranch_execz .LBB383_1334
.LBB383_1332:                           ; =>This Inner Loop Header: Depth=1
	global_load_b32 v30, v[8:9], off
	global_load_b32 v31, v[26:27], off
	s_and_not1_b32 s29, s29, exec_lo
	s_or_b32 s28, s28, exec_lo
	s_wait_loadcnt 0x0
	v_cmp_le_i32_e32 vcc_lo, v30, v31
	v_cmp_lt_i32_e64 s7, v30, v31
	s_and_b32 s31, vcc_lo, s30
	s_delay_alu instid0(SALU_CYCLE_1) | instskip(NEXT) | instid1(SALU_CYCLE_1)
	s_or_b32 s7, s7, s31
	s_and_b32 s31, s7, exec_lo
	s_delay_alu instid0(SALU_CYCLE_1)
	s_or_b32 s29, s29, s31
	s_mov_b32 s31, exec_lo
	v_cmpx_eq_u32_e64 v30, v31
	s_cbranch_execz .LBB383_1331
; %bb.1333:                             ;   in Loop: Header=BB383_1332 Depth=1
	s_add_nc_u64 s[8:9], s[8:9], -1
	v_add_nc_u64_e32 v[8:9], 4, v[8:9]
	s_cmp_eq_u64 s[8:9], 0
	v_add_nc_u64_e32 v[26:27], 4, v[26:27]
	s_cselect_b32 s30, -1, 0
	s_and_not1_b32 s28, s28, exec_lo
	s_and_b32 s30, s30, exec_lo
	s_and_not1_b32 s29, s29, exec_lo
	s_or_b32 s28, s28, s30
                                        ; implicit-def: $sgpr30
	s_branch .LBB383_1331
.LBB383_1334:
	s_or_b32 exec_lo, exec_lo, s23
	s_xor_b32 s7, s27, -1
	s_branch .LBB383_1336
.LBB383_1335:
	s_mov_b32 s7, -1
.LBB383_1336:
	s_delay_alu instid0(SALU_CYCLE_1)
	s_and_b32 s7, s7, exec_lo
.LBB383_1337:
	s_or_b32 exec_lo, exec_lo, s15
	s_delay_alu instid0(SALU_CYCLE_1)
	s_or_not1_b32 s15, s7, exec_lo
.LBB383_1338:
	s_or_b32 exec_lo, exec_lo, s22
	v_dual_cndmask_b32 v8, v28, v29, s15 :: v_dual_cndmask_b32 v9, v45, v47, s15
	s_mov_b32 s22, -1
	s_mov_b32 s23, -1
	s_mov_b32 s27, exec_lo
	s_delay_alu instid0(VALU_DEP_1) | instskip(NEXT) | instid1(VALU_DEP_1)
	v_add_nc_u32_e32 v8, 1, v8
	v_add_min_u32_e64 v9, v9, -1, v8
	s_delay_alu instid0(VALU_DEP_1)
	v_lshl_add_u32 v9, v9, 3, v43
	ds_load_b64 v[26:27], v9
	s_wait_dscnt 0x0
	v_dual_cndmask_b32 v9, v27, v7, s15 :: v_dual_cndmask_b32 v32, v8, v28, s15
	v_dual_cndmask_b32 v33, v29, v8, s15 :: v_dual_cndmask_b32 v8, v26, v6, s15
	;; [unrolled: 1-line block ×3, first 2 shown]
	s_delay_alu instid0(VALU_DEP_3)
	v_cmpx_lt_u32_e64 v32, v45
	s_cbranch_execz .LBB383_1349
; %bb.1339:
	s_mov_b32 s7, 0
	s_mov_b32 s23, exec_lo
	v_cmpx_lt_u32_e64 v33, v47
	s_cbranch_execz .LBB383_1348
; %bb.1340:
	s_and_not1_b32 vcc_lo, exec_lo, s26
	s_cbranch_vccnz .LBB383_1346
; %bb.1341:
	v_mul_u64_e32 v[28:29], s[16:17], v[8:9]
	v_mul_u64_e32 v[30:31], s[16:17], v[26:27]
	s_mov_b32 s28, 0
	s_mov_b64 s[8:9], s[16:17]
                                        ; implicit-def: $sgpr29
                                        ; implicit-def: $sgpr30
                                        ; implicit-def: $sgpr31
                                        ; implicit-def: $sgpr33
	s_delay_alu instid0(VALU_DEP_2) | instskip(NEXT) | instid1(VALU_DEP_2)
	v_lshl_add_u64 v[28:29], v[28:29], 2, s[18:19]
	v_lshl_add_u64 v[30:31], v[30:31], 2, s[18:19]
	s_branch .LBB383_1343
.LBB383_1342:                           ;   in Loop: Header=BB383_1343 Depth=1
	s_or_b32 exec_lo, exec_lo, s34
	s_delay_alu instid0(SALU_CYCLE_1) | instskip(NEXT) | instid1(SALU_CYCLE_1)
	s_and_b32 s34, exec_lo, s30
	s_or_b32 s28, s34, s28
	s_and_not1_b32 s33, s33, exec_lo
	s_and_b32 s7, s7, exec_lo
	s_and_not1_b32 s29, s29, exec_lo
	s_and_b32 s34, s31, exec_lo
	s_or_b32 s33, s33, s7
	s_or_b32 s29, s29, s34
	s_and_not1_b32 exec_lo, exec_lo, s28
	s_cbranch_execz .LBB383_1345
.LBB383_1343:                           ; =>This Inner Loop Header: Depth=1
	global_load_b32 v34, v[28:29], off
	global_load_b32 v35, v[30:31], off
	s_and_not1_b32 s31, s31, exec_lo
	s_or_b32 s30, s30, exec_lo
	s_wait_loadcnt 0x0
	v_cmp_le_i32_e32 vcc_lo, v34, v35
	v_cmp_lt_i32_e64 s7, v34, v35
	s_and_b32 s34, vcc_lo, s33
	s_delay_alu instid0(SALU_CYCLE_1) | instskip(NEXT) | instid1(SALU_CYCLE_1)
	s_or_b32 s7, s7, s34
	s_and_b32 s34, s7, exec_lo
	s_delay_alu instid0(SALU_CYCLE_1)
	s_or_b32 s31, s31, s34
	s_mov_b32 s34, exec_lo
	v_cmpx_eq_u32_e64 v34, v35
	s_cbranch_execz .LBB383_1342
; %bb.1344:                             ;   in Loop: Header=BB383_1343 Depth=1
	s_add_nc_u64 s[8:9], s[8:9], -1
	v_add_nc_u64_e32 v[28:29], 4, v[28:29]
	s_cmp_eq_u64 s[8:9], 0
	v_add_nc_u64_e32 v[30:31], 4, v[30:31]
	s_cselect_b32 s33, -1, 0
	s_and_not1_b32 s30, s30, exec_lo
	s_and_b32 s33, s33, exec_lo
	s_and_not1_b32 s31, s31, exec_lo
	s_or_b32 s30, s30, s33
                                        ; implicit-def: $sgpr33
	s_branch .LBB383_1342
.LBB383_1345:
	s_or_b32 exec_lo, exec_lo, s28
	s_xor_b32 s7, s29, -1
	s_branch .LBB383_1347
.LBB383_1346:
	s_mov_b32 s7, -1
.LBB383_1347:
	s_delay_alu instid0(SALU_CYCLE_1)
	s_and_b32 s7, s7, exec_lo
.LBB383_1348:
	s_or_b32 exec_lo, exec_lo, s23
	s_delay_alu instid0(SALU_CYCLE_1)
	s_or_not1_b32 s23, s7, exec_lo
.LBB383_1349:
	s_or_b32 exec_lo, exec_lo, s27
	v_dual_cndmask_b32 v28, v32, v33, s23 :: v_dual_cndmask_b32 v29, v45, v47, s23
	s_mov_b32 s27, exec_lo
	s_delay_alu instid0(VALU_DEP_1) | instskip(NEXT) | instid1(VALU_DEP_1)
	v_add_nc_u32_e32 v28, 1, v28
	v_add_min_u32_e64 v29, v29, -1, v28
	s_delay_alu instid0(VALU_DEP_1)
	v_lshl_add_u32 v29, v29, 3, v43
	ds_load_b64 v[30:31], v29
	s_wait_dscnt 0x0
	v_dual_cndmask_b32 v29, v31, v9, s23 :: v_dual_cndmask_b32 v46, v28, v32, s23
	v_dual_cndmask_b32 v31, v27, v31, s23 :: v_dual_cndmask_b32 v44, v33, v28, s23
	v_cndmask_b32_e64 v28, v30, v8, s23
	v_cndmask_b32_e64 v30, v26, v30, s23
	s_delay_alu instid0(VALU_DEP_4)
	v_cmpx_lt_u32_e64 v46, v45
	s_cbranch_execz .LBB383_1360
; %bb.1350:
	s_mov_b32 s7, 0
	s_mov_b32 s22, exec_lo
	v_cmpx_lt_u32_e64 v44, v47
	s_cbranch_execz .LBB383_1359
; %bb.1351:
	s_and_not1_b32 vcc_lo, exec_lo, s26
	s_cbranch_vccnz .LBB383_1357
; %bb.1352:
	v_mul_u64_e32 v[32:33], s[16:17], v[28:29]
	v_mul_u64_e32 v[34:35], s[16:17], v[30:31]
	s_mov_b32 s28, 0
	s_mov_b64 s[8:9], s[16:17]
                                        ; implicit-def: $sgpr29
                                        ; implicit-def: $sgpr30
                                        ; implicit-def: $sgpr31
                                        ; implicit-def: $sgpr33
	s_delay_alu instid0(VALU_DEP_2) | instskip(NEXT) | instid1(VALU_DEP_2)
	v_lshl_add_u64 v[32:33], v[32:33], 2, s[18:19]
	v_lshl_add_u64 v[34:35], v[34:35], 2, s[18:19]
	s_branch .LBB383_1354
.LBB383_1353:                           ;   in Loop: Header=BB383_1354 Depth=1
	s_or_b32 exec_lo, exec_lo, s34
	s_delay_alu instid0(SALU_CYCLE_1) | instskip(NEXT) | instid1(SALU_CYCLE_1)
	s_and_b32 s34, exec_lo, s30
	s_or_b32 s28, s34, s28
	s_and_not1_b32 s33, s33, exec_lo
	s_and_b32 s7, s7, exec_lo
	s_and_not1_b32 s29, s29, exec_lo
	s_and_b32 s34, s31, exec_lo
	s_or_b32 s33, s33, s7
	s_or_b32 s29, s29, s34
	s_and_not1_b32 exec_lo, exec_lo, s28
	s_cbranch_execz .LBB383_1356
.LBB383_1354:                           ; =>This Inner Loop Header: Depth=1
	global_load_b32 v48, v[32:33], off
	global_load_b32 v49, v[34:35], off
	s_and_not1_b32 s31, s31, exec_lo
	s_or_b32 s30, s30, exec_lo
	s_wait_loadcnt 0x0
	v_cmp_le_i32_e32 vcc_lo, v48, v49
	v_cmp_lt_i32_e64 s7, v48, v49
	s_and_b32 s34, vcc_lo, s33
	s_delay_alu instid0(SALU_CYCLE_1) | instskip(NEXT) | instid1(SALU_CYCLE_1)
	s_or_b32 s7, s7, s34
	s_and_b32 s34, s7, exec_lo
	s_delay_alu instid0(SALU_CYCLE_1)
	s_or_b32 s31, s31, s34
	s_mov_b32 s34, exec_lo
	v_cmpx_eq_u32_e64 v48, v49
	s_cbranch_execz .LBB383_1353
; %bb.1355:                             ;   in Loop: Header=BB383_1354 Depth=1
	s_add_nc_u64 s[8:9], s[8:9], -1
	v_add_nc_u64_e32 v[32:33], 4, v[32:33]
	s_cmp_eq_u64 s[8:9], 0
	v_add_nc_u64_e32 v[34:35], 4, v[34:35]
	s_cselect_b32 s33, -1, 0
	s_and_not1_b32 s30, s30, exec_lo
	s_and_b32 s33, s33, exec_lo
	s_and_not1_b32 s31, s31, exec_lo
	s_or_b32 s30, s30, s33
                                        ; implicit-def: $sgpr33
	s_branch .LBB383_1353
.LBB383_1356:
	s_or_b32 exec_lo, exec_lo, s28
	s_xor_b32 s7, s29, -1
	s_branch .LBB383_1358
.LBB383_1357:
	s_mov_b32 s7, -1
.LBB383_1358:
	s_delay_alu instid0(SALU_CYCLE_1)
	s_and_b32 s7, s7, exec_lo
.LBB383_1359:
	s_or_b32 exec_lo, exec_lo, s22
	s_delay_alu instid0(SALU_CYCLE_1)
	s_or_not1_b32 s22, s7, exec_lo
.LBB383_1360:
	s_or_b32 exec_lo, exec_lo, s27
	v_dual_cndmask_b32 v32, v46, v44, s22 :: v_dual_cndmask_b32 v33, v45, v47, s22
	v_dual_cndmask_b32 v8, v8, v26, s23 :: v_dual_cndmask_b32 v7, v7, v25, s15
	;; [unrolled: 1-line block ×3, first 2 shown]
	s_delay_alu instid0(VALU_DEP_3) | instskip(SKIP_2) | instid1(VALU_DEP_3)
	v_dual_add_nc_u32 v34, 1, v32 :: v_dual_cndmask_b32 v9, v9, v27, s23
	v_dual_cndmask_b32 v12, v12, v22, s14 :: v_dual_cndmask_b32 v11, v11, v17, s13
	v_dual_cndmask_b32 v10, v10, v16, s13 :: v_dual_cndmask_b32 v17, v5, v15, s12
	v_add_min_u32_e64 v32, v33, -1, v34
	v_dual_cndmask_b32 v16, v4, v14, s12 :: v_dual_cndmask_b32 v15, v3, v1, s11
	v_dual_cndmask_b32 v14, v2, v0, s11 :: v_dual_cndmask_b32 v3, v29, v31, s22
	s_delay_alu instid0(VALU_DEP_3)
	v_lshl_add_u32 v32, v32, 3, v43
	s_mov_b32 s11, exec_lo
	ds_load_b64 v[32:33], v32
	v_cndmask_b32_e64 v0, v34, v46, s22
	s_wait_dscnt 0x0
	v_dual_cndmask_b32 v2, v28, v30, s22 :: v_dual_cndmask_b32 v4, v30, v32, s22
	v_cndmask_b32_e64 v5, v31, v33, s22
	s_delay_alu instid0(VALU_DEP_3)
	v_cmpx_lt_u32_e64 v0, v45
	s_cbranch_execz .LBB383_1370
; %bb.1361:
	v_dual_cndmask_b32 v22, v44, v34, s22 :: v_dual_cndmask_b32 v1, v33, v29, s22
	v_cndmask_b32_e64 v0, v32, v28, s22
	s_mov_b32 s12, exec_lo
	s_delay_alu instid0(VALU_DEP_2)
	v_cmpx_lt_u32_e64 v22, v47
	s_cbranch_execz .LBB383_1369
; %bb.1362:
	s_and_not1_b32 vcc_lo, exec_lo, s26
	s_cbranch_vccnz .LBB383_1368
; %bb.1363:
	v_mul_u64_e32 v[22:23], s[16:17], v[0:1]
	v_mul_u64_e32 v[24:25], s[16:17], v[4:5]
	s_mov_b32 s13, 0
	s_mov_b64 s[8:9], s[16:17]
                                        ; implicit-def: $sgpr14
                                        ; implicit-def: $sgpr15
                                        ; implicit-def: $sgpr22
                                        ; implicit-def: $sgpr23
	s_delay_alu instid0(VALU_DEP_2) | instskip(NEXT) | instid1(VALU_DEP_2)
	v_lshl_add_u64 v[22:23], v[22:23], 2, s[18:19]
	v_lshl_add_u64 v[24:25], v[24:25], 2, s[18:19]
	s_branch .LBB383_1365
.LBB383_1364:                           ;   in Loop: Header=BB383_1365 Depth=1
	s_or_b32 exec_lo, exec_lo, s27
	s_delay_alu instid0(SALU_CYCLE_1) | instskip(NEXT) | instid1(SALU_CYCLE_1)
	s_and_b32 s27, exec_lo, s15
	s_or_b32 s13, s27, s13
	s_and_not1_b32 s23, s23, exec_lo
	s_and_b32 s7, s7, exec_lo
	s_and_not1_b32 s14, s14, exec_lo
	s_and_b32 s27, s22, exec_lo
	s_or_b32 s23, s23, s7
	s_or_b32 s14, s14, s27
	s_and_not1_b32 exec_lo, exec_lo, s13
	s_cbranch_execz .LBB383_1367
.LBB383_1365:                           ; =>This Inner Loop Header: Depth=1
	global_load_b32 v26, v[22:23], off
	global_load_b32 v27, v[24:25], off
	s_and_not1_b32 s22, s22, exec_lo
	s_or_b32 s15, s15, exec_lo
	s_wait_loadcnt 0x0
	v_cmp_le_i32_e32 vcc_lo, v26, v27
	v_cmp_lt_i32_e64 s7, v26, v27
	s_and_b32 s27, vcc_lo, s23
	s_delay_alu instid0(SALU_CYCLE_1) | instskip(NEXT) | instid1(SALU_CYCLE_1)
	s_or_b32 s7, s7, s27
	s_and_b32 s27, s7, exec_lo
	s_delay_alu instid0(SALU_CYCLE_1)
	s_or_b32 s22, s22, s27
	s_mov_b32 s27, exec_lo
	v_cmpx_eq_u32_e64 v26, v27
	s_cbranch_execz .LBB383_1364
; %bb.1366:                             ;   in Loop: Header=BB383_1365 Depth=1
	s_add_nc_u64 s[8:9], s[8:9], -1
	v_add_nc_u64_e32 v[22:23], 4, v[22:23]
	s_cmp_eq_u64 s[8:9], 0
	v_add_nc_u64_e32 v[24:25], 4, v[24:25]
	s_cselect_b32 s23, -1, 0
	s_and_not1_b32 s15, s15, exec_lo
	s_and_b32 s23, s23, exec_lo
	s_and_not1_b32 s22, s22, exec_lo
	s_or_b32 s15, s15, s23
                                        ; implicit-def: $sgpr23
	s_branch .LBB383_1364
.LBB383_1367:
	s_or_b32 exec_lo, exec_lo, s13
	v_dual_cndmask_b32 v5, v5, v1, s14 :: v_dual_cndmask_b32 v4, v4, v0, s14
.LBB383_1368:
	s_delay_alu instid0(VALU_DEP_1)
	v_mov_b64_e32 v[0:1], v[4:5]
.LBB383_1369:
	s_or_b32 exec_lo, exec_lo, s12
	s_delay_alu instid0(VALU_DEP_1)
	v_mov_b64_e32 v[4:5], v[0:1]
.LBB383_1370:
	s_or_b32 exec_lo, exec_lo, s11
.LBB383_1371:
	s_delay_alu instid0(SALU_CYCLE_1)
	s_or_b32 exec_lo, exec_lo, s10
	s_cmp_lt_u32 s25, 0x81
	; wave barrier
	s_wait_dscnt 0x0
	s_barrier_signal -1
	s_barrier_wait -1
	s_cbranch_scc1 .LBB383_1475
; %bb.1372:
	v_lshlrev_b32_e32 v24, 3, v20
	s_lshl_b64 s[8:9], s[16:17], 2
	s_movk_i32 s12, 0x80
	s_branch .LBB383_1378
.LBB383_1373:                           ;   in Loop: Header=BB383_1378 Depth=1
	s_or_b32 exec_lo, exec_lo, s33
	v_dual_cndmask_b32 v5, v5, v7, s34 :: v_dual_cndmask_b32 v4, v4, v6, s34
.LBB383_1374:                           ;   in Loop: Header=BB383_1378 Depth=1
	s_delay_alu instid0(VALU_DEP_1)
	v_mov_b64_e32 v[6:7], v[4:5]
.LBB383_1375:                           ;   in Loop: Header=BB383_1378 Depth=1
	s_or_b32 exec_lo, exec_lo, s31
	s_delay_alu instid0(VALU_DEP_1)
	v_mov_b64_e32 v[4:5], v[6:7]
.LBB383_1376:                           ;   in Loop: Header=BB383_1378 Depth=1
	s_or_b32 exec_lo, exec_lo, s30
	v_dual_cndmask_b32 v9, v35, v44, s29 :: v_dual_cndmask_b32 v6, v32, v34, s27
	v_cndmask_b32_e64 v8, v43, v45, s29
	v_dual_cndmask_b32 v7, v31, v33, s27 :: v_dual_cndmask_b32 v11, v17, v27, s22
	v_dual_cndmask_b32 v13, v12, v13, s23 :: v_dual_cndmask_b32 v10, v23, v28, s22
	;; [unrolled: 1-line block ×3, first 2 shown]
	v_cndmask_b32_e64 v16, v15, v22, s15
	v_dual_cndmask_b32 v15, v3, v1, s14 :: v_dual_cndmask_b32 v14, v2, v0, s14
	v_dual_cndmask_b32 v3, v46, v48, s28 :: v_dual_cndmask_b32 v2, v47, v49, s28
.LBB383_1377:                           ;   in Loop: Header=BB383_1378 Depth=1
	s_or_b32 exec_lo, exec_lo, s13
	s_cmp_lt_u32 s12, s25
	s_barrier_signal -1
	s_barrier_wait -1
	s_cbranch_scc0 .LBB383_1475
.LBB383_1378:                           ; =>This Loop Header: Depth=1
                                        ;     Child Loop BB383_1382 Depth 2
                                        ;       Child Loop BB383_1385 Depth 3
                                        ;     Child Loop BB383_1397 Depth 2
                                        ;     Child Loop BB383_1407 Depth 2
	;; [unrolled: 1-line block ×8, first 2 shown]
	s_mov_b32 s7, s12
	s_lshl_b32 s12, s12, 1
	s_mov_b32 s13, exec_lo
	s_sub_co_i32 s10, 0, s12
	ds_store_b128 v24, v[14:17]
	ds_store_b128 v24, v[10:13] offset:16
	ds_store_b128 v24, v[6:9] offset:32
	;; [unrolled: 1-line block ×3, first 2 shown]
	v_and_b32_e32 v29, s10, v20
	s_add_co_i32 s10, s12, -1
	s_wait_dscnt 0x0
	s_barrier_signal -1
	s_barrier_wait -1
	v_add_min_u32_e64 v25, v29, s7, s25
	s_delay_alu instid0(VALU_DEP_1) | instskip(NEXT) | instid1(VALU_DEP_1)
	v_add_min_u32_e64 v26, v25, s7, s25
	v_dual_sub_nc_u32 v1, v26, v25 :: v_dual_bitop2_b32 v0, s10, v20 bitop3:0x40
	v_lshlrev_b32_e32 v28, 3, v29
	s_delay_alu instid0(VALU_DEP_2) | instskip(SKIP_1) | instid1(VALU_DEP_2)
	v_min_u32_e32 v30, s25, v0
	v_sub_nc_u32_e32 v0, v25, v29
	v_sub_nc_u32_e64 v27, v30, v1 clamp
	s_delay_alu instid0(VALU_DEP_2) | instskip(NEXT) | instid1(VALU_DEP_1)
	v_min_u32_e32 v31, v30, v0
	v_cmpx_lt_u32_e64 v27, v31
	s_cbranch_execz .LBB383_1388
; %bb.1379:                             ;   in Loop: Header=BB383_1378 Depth=1
	v_lshlrev_b32_e32 v0, 3, v30
	s_mov_b32 s14, 0
	s_delay_alu instid0(VALU_DEP_1)
	v_lshl_add_u32 v32, v25, 3, v0
	s_branch .LBB383_1382
.LBB383_1380:                           ;   in Loop: Header=BB383_1382 Depth=2
	s_or_b32 exec_lo, exec_lo, s22
.LBB383_1381:                           ;   in Loop: Header=BB383_1382 Depth=2
	s_delay_alu instid0(VALU_DEP_1) | instskip(NEXT) | instid1(VALU_DEP_1)
	v_dual_add_nc_u32 v0, 1, v33 :: v_dual_cndmask_b32 v31, v31, v33, s15
	v_cndmask_b32_e64 v27, v0, v27, s15
	s_delay_alu instid0(VALU_DEP_1) | instskip(SKIP_1) | instid1(SALU_CYCLE_1)
	v_cmp_ge_u32_e32 vcc_lo, v27, v31
	s_or_b32 s14, vcc_lo, s14
	s_and_not1_b32 exec_lo, exec_lo, s14
	s_cbranch_execz .LBB383_1387
.LBB383_1382:                           ;   Parent Loop BB383_1378 Depth=1
                                        ; =>  This Loop Header: Depth=2
                                        ;       Child Loop BB383_1385 Depth 3
	v_add_nc_u32_e32 v0, v31, v27
	s_and_not1_b32 vcc_lo, exec_lo, s26
	s_mov_b32 s15, 0
	s_delay_alu instid0(VALU_DEP_1)
	v_lshrrev_b32_e32 v33, 1, v0
	s_cbranch_vccnz .LBB383_1381
; %bb.1383:                             ;   in Loop: Header=BB383_1382 Depth=2
	s_delay_alu instid0(VALU_DEP_1) | instskip(SKIP_3) | instid1(VALU_DEP_2)
	v_not_b32_e32 v0, v33
	v_lshl_add_u32 v1, v33, 3, v28
	s_mov_b32 s22, 0
	s_mov_b64 s[10:11], s[16:17]
                                        ; implicit-def: $sgpr15
                                        ; implicit-def: $sgpr23
                                        ; implicit-def: $sgpr27
                                        ; implicit-def: $sgpr28
	v_lshl_add_u32 v0, v0, 3, v32
	ds_load_b64 v[34:35], v0
	ds_load_b64 v[44:45], v1
	s_wait_dscnt 0x1
	v_mad_nc_u64_u32 v[0:1], s8, v34, s[18:19]
	s_wait_dscnt 0x0
	v_mad_nc_u64_u32 v[22:23], s8, v44, s[18:19]
	s_delay_alu instid0(VALU_DEP_2) | instskip(NEXT) | instid1(VALU_DEP_2)
	v_mad_u32 v1, s9, v34, v1
	v_mad_u32 v23, s9, v44, v23
	s_delay_alu instid0(VALU_DEP_2) | instskip(NEXT) | instid1(VALU_DEP_2)
	v_mad_u32 v1, s8, v35, v1
	v_mad_u32 v23, s8, v45, v23
	s_branch .LBB383_1385
.LBB383_1384:                           ;   in Loop: Header=BB383_1385 Depth=3
	s_or_b32 exec_lo, exec_lo, s29
	s_delay_alu instid0(SALU_CYCLE_1) | instskip(NEXT) | instid1(SALU_CYCLE_1)
	s_and_b32 s29, exec_lo, s23
	s_or_b32 s22, s29, s22
	s_and_not1_b32 s28, s28, exec_lo
	s_and_b32 s7, s7, exec_lo
	s_and_not1_b32 s15, s15, exec_lo
	s_and_b32 s29, s27, exec_lo
	s_or_b32 s28, s28, s7
	s_or_b32 s15, s15, s29
	s_and_not1_b32 exec_lo, exec_lo, s22
	s_cbranch_execz .LBB383_1380
.LBB383_1385:                           ;   Parent Loop BB383_1378 Depth=1
                                        ;     Parent Loop BB383_1382 Depth=2
                                        ; =>    This Inner Loop Header: Depth=3
	global_load_b32 v34, v[0:1], off
	global_load_b32 v35, v[22:23], off
	s_and_not1_b32 s27, s27, exec_lo
	s_or_b32 s23, s23, exec_lo
	s_wait_loadcnt 0x0
	v_cmp_le_i32_e32 vcc_lo, v34, v35
	v_cmp_lt_i32_e64 s7, v34, v35
	s_and_b32 s29, vcc_lo, s28
	s_delay_alu instid0(SALU_CYCLE_1) | instskip(NEXT) | instid1(SALU_CYCLE_1)
	s_or_b32 s7, s7, s29
	s_and_b32 s29, s7, exec_lo
	s_delay_alu instid0(SALU_CYCLE_1)
	s_or_b32 s27, s27, s29
	s_mov_b32 s29, exec_lo
	v_cmpx_eq_u32_e64 v34, v35
	s_cbranch_execz .LBB383_1384
; %bb.1386:                             ;   in Loop: Header=BB383_1385 Depth=3
	s_add_nc_u64 s[10:11], s[10:11], -1
	v_add_nc_u64_e32 v[0:1], 4, v[0:1]
	s_cmp_eq_u64 s[10:11], 0
	v_add_nc_u64_e32 v[22:23], 4, v[22:23]
	s_cselect_b32 s28, -1, 0
	s_and_not1_b32 s23, s23, exec_lo
	s_and_b32 s28, s28, exec_lo
	s_and_not1_b32 s27, s27, exec_lo
	s_or_b32 s23, s23, s28
                                        ; implicit-def: $sgpr28
	s_branch .LBB383_1384
.LBB383_1387:                           ;   in Loop: Header=BB383_1378 Depth=1
	s_or_b32 exec_lo, exec_lo, s14
.LBB383_1388:                           ;   in Loop: Header=BB383_1378 Depth=1
	s_delay_alu instid0(SALU_CYCLE_1) | instskip(SKIP_1) | instid1(VALU_DEP_1)
	s_or_b32 exec_lo, exec_lo, s13
	v_dual_sub_nc_u32 v0, v30, v27 :: v_dual_add_nc_u32 v22, v27, v29
	v_add_nc_u32_e32 v23, v0, v25
	s_delay_alu instid0(VALU_DEP_2) | instskip(NEXT) | instid1(VALU_DEP_2)
	v_cmp_le_u32_e32 vcc_lo, v22, v25
	v_cmp_le_u32_e64 s7, v23, v26
	s_or_b32 s7, vcc_lo, s7
	s_delay_alu instid0(SALU_CYCLE_1)
	s_and_saveexec_b32 s13, s7
	s_cbranch_execz .LBB383_1377
; %bb.1389:                             ;   in Loop: Header=BB383_1378 Depth=1
	s_mov_b32 s10, exec_lo
	v_cmp_ge_u32_e32 vcc_lo, v22, v25
                                        ; implicit-def: $vgpr0_vgpr1
	v_cmpx_lt_u32_e64 v22, v25
; %bb.1390:                             ;   in Loop: Header=BB383_1378 Depth=1
	v_lshl_add_u32 v0, v27, 3, v28
	ds_load_b64 v[0:1], v0
; %bb.1391:                             ;   in Loop: Header=BB383_1378 Depth=1
	s_or_b32 exec_lo, exec_lo, s10
	v_cmp_ge_u32_e64 s14, v23, v26
	s_mov_b32 s10, exec_lo
                                        ; implicit-def: $vgpr2_vgpr3
	v_cmpx_lt_u32_e64 v23, v26
; %bb.1392:                             ;   in Loop: Header=BB383_1378 Depth=1
	v_lshlrev_b32_e32 v2, 3, v23
	ds_load_b64 v[2:3], v2
; %bb.1393:                             ;   in Loop: Header=BB383_1378 Depth=1
	s_or_b32 exec_lo, exec_lo, s10
	s_nor_b32 s7, vcc_lo, s14
	s_delay_alu instid0(SALU_CYCLE_1)
	s_and_saveexec_b32 s15, s7
	s_cbranch_execz .LBB383_1402
; %bb.1394:                             ;   in Loop: Header=BB383_1378 Depth=1
	s_and_not1_b32 vcc_lo, exec_lo, s26
	s_cbranch_vccnz .LBB383_1400
; %bb.1395:                             ;   in Loop: Header=BB383_1378 Depth=1
	s_wait_dscnt 0x0
	v_mad_nc_u64_u32 v[4:5], s8, v2, s[18:19]
	v_mad_nc_u64_u32 v[6:7], s8, v0, s[18:19]
	s_mov_b32 s22, 0
	s_mov_b64 s[10:11], s[16:17]
                                        ; implicit-def: $sgpr23
                                        ; implicit-def: $sgpr27
                                        ; implicit-def: $sgpr28
                                        ; implicit-def: $sgpr29
	s_delay_alu instid0(VALU_DEP_2) | instskip(NEXT) | instid1(VALU_DEP_2)
	v_mad_u32 v5, s9, v2, v5
	v_mad_u32 v7, s9, v0, v7
	s_delay_alu instid0(VALU_DEP_2) | instskip(NEXT) | instid1(VALU_DEP_2)
	v_mad_u32 v5, s8, v3, v5
	v_mad_u32 v7, s8, v1, v7
	s_branch .LBB383_1397
.LBB383_1396:                           ;   in Loop: Header=BB383_1397 Depth=2
	s_or_b32 exec_lo, exec_lo, s30
	s_delay_alu instid0(SALU_CYCLE_1) | instskip(NEXT) | instid1(SALU_CYCLE_1)
	s_and_b32 s30, exec_lo, s27
	s_or_b32 s22, s30, s22
	s_and_not1_b32 s29, s29, exec_lo
	s_and_b32 s7, s7, exec_lo
	s_and_not1_b32 s23, s23, exec_lo
	s_and_b32 s30, s28, exec_lo
	s_or_b32 s29, s29, s7
	s_or_b32 s23, s23, s30
	s_and_not1_b32 exec_lo, exec_lo, s22
	s_cbranch_execz .LBB383_1399
.LBB383_1397:                           ;   Parent Loop BB383_1378 Depth=1
                                        ; =>  This Inner Loop Header: Depth=2
	global_load_b32 v8, v[4:5], off
	global_load_b32 v9, v[6:7], off
	s_and_not1_b32 s28, s28, exec_lo
	s_or_b32 s27, s27, exec_lo
	s_wait_loadcnt 0x0
	v_cmp_le_i32_e32 vcc_lo, v8, v9
	v_cmp_lt_i32_e64 s7, v8, v9
	s_and_b32 s30, vcc_lo, s29
	s_delay_alu instid0(SALU_CYCLE_1) | instskip(NEXT) | instid1(SALU_CYCLE_1)
	s_or_b32 s7, s7, s30
	s_and_b32 s30, s7, exec_lo
	s_delay_alu instid0(SALU_CYCLE_1)
	s_or_b32 s28, s28, s30
	s_mov_b32 s30, exec_lo
	v_cmpx_eq_u32_e64 v8, v9
	s_cbranch_execz .LBB383_1396
; %bb.1398:                             ;   in Loop: Header=BB383_1397 Depth=2
	s_add_nc_u64 s[10:11], s[10:11], -1
	v_add_nc_u64_e32 v[4:5], 4, v[4:5]
	s_cmp_eq_u64 s[10:11], 0
	v_add_nc_u64_e32 v[6:7], 4, v[6:7]
	s_cselect_b32 s29, -1, 0
	s_and_not1_b32 s27, s27, exec_lo
	s_and_b32 s29, s29, exec_lo
	s_and_not1_b32 s28, s28, exec_lo
	s_or_b32 s27, s27, s29
                                        ; implicit-def: $sgpr29
	s_branch .LBB383_1396
.LBB383_1399:                           ;   in Loop: Header=BB383_1378 Depth=1
	s_or_b32 exec_lo, exec_lo, s22
	s_xor_b32 s7, s23, -1
	s_branch .LBB383_1401
.LBB383_1400:                           ;   in Loop: Header=BB383_1378 Depth=1
	s_mov_b32 s7, -1
.LBB383_1401:                           ;   in Loop: Header=BB383_1378 Depth=1
	s_and_not1_b32 s10, s14, exec_lo
	s_and_b32 s7, s7, exec_lo
	s_delay_alu instid0(SALU_CYCLE_1)
	s_or_b32 s14, s10, s7
.LBB383_1402:                           ;   in Loop: Header=BB383_1378 Depth=1
	s_or_b32 exec_lo, exec_lo, s15
	v_dual_cndmask_b32 v4, v23, v22, s14 :: v_dual_cndmask_b32 v5, v26, v25, s14
	s_mov_b32 s22, -1
	s_mov_b32 s15, -1
	s_mov_b32 s23, exec_lo
	s_delay_alu instid0(VALU_DEP_1) | instskip(NEXT) | instid1(VALU_DEP_1)
	v_add_nc_u32_e32 v6, 1, v4
	v_add_min_u32_e64 v4, v5, -1, v6
	s_delay_alu instid0(VALU_DEP_1)
	v_lshlrev_b32_e32 v4, 3, v4
	ds_load_b64 v[4:5], v4
	v_cndmask_b32_e64 v8, v6, v23, s14
	s_wait_dscnt 0x0
	v_dual_cndmask_b32 v9, v22, v6, s14 :: v_dual_cndmask_b32 v14, v5, v3, s14
	v_dual_cndmask_b32 v15, v4, v2, s14 :: v_dual_cndmask_b32 v16, v1, v5, s14
	v_cndmask_b32_e64 v22, v0, v4, s14
	v_cmpx_lt_u32_e64 v8, v26
	s_cbranch_execz .LBB383_1413
; %bb.1403:                             ;   in Loop: Header=BB383_1378 Depth=1
	s_mov_b32 s7, 0
	s_mov_b32 s15, exec_lo
	v_cmpx_lt_u32_e64 v9, v25
	s_cbranch_execz .LBB383_1412
; %bb.1404:                             ;   in Loop: Header=BB383_1378 Depth=1
	s_and_not1_b32 vcc_lo, exec_lo, s26
	s_cbranch_vccnz .LBB383_1410
; %bb.1405:                             ;   in Loop: Header=BB383_1378 Depth=1
	v_mad_nc_u64_u32 v[4:5], s8, v15, s[18:19]
	v_mad_nc_u64_u32 v[6:7], s8, v22, s[18:19]
	s_mov_b32 s27, 0
	s_mov_b64 s[10:11], s[16:17]
                                        ; implicit-def: $sgpr28
                                        ; implicit-def: $sgpr29
                                        ; implicit-def: $sgpr30
                                        ; implicit-def: $sgpr31
	s_delay_alu instid0(VALU_DEP_2) | instskip(NEXT) | instid1(VALU_DEP_2)
	v_mad_u32 v5, s9, v15, v5
	v_mad_u32 v7, s9, v22, v7
	s_delay_alu instid0(VALU_DEP_2) | instskip(NEXT) | instid1(VALU_DEP_2)
	v_mad_u32 v5, s8, v14, v5
	v_mad_u32 v7, s8, v16, v7
	s_branch .LBB383_1407
.LBB383_1406:                           ;   in Loop: Header=BB383_1407 Depth=2
	s_or_b32 exec_lo, exec_lo, s33
	s_delay_alu instid0(SALU_CYCLE_1) | instskip(NEXT) | instid1(SALU_CYCLE_1)
	s_and_b32 s33, exec_lo, s29
	s_or_b32 s27, s33, s27
	s_and_not1_b32 s31, s31, exec_lo
	s_and_b32 s7, s7, exec_lo
	s_and_not1_b32 s28, s28, exec_lo
	s_and_b32 s33, s30, exec_lo
	s_or_b32 s31, s31, s7
	s_or_b32 s28, s28, s33
	s_and_not1_b32 exec_lo, exec_lo, s27
	s_cbranch_execz .LBB383_1409
.LBB383_1407:                           ;   Parent Loop BB383_1378 Depth=1
                                        ; =>  This Inner Loop Header: Depth=2
	global_load_b32 v10, v[4:5], off
	global_load_b32 v11, v[6:7], off
	s_and_not1_b32 s30, s30, exec_lo
	s_or_b32 s29, s29, exec_lo
	s_wait_loadcnt 0x0
	v_cmp_le_i32_e32 vcc_lo, v10, v11
	v_cmp_lt_i32_e64 s7, v10, v11
	s_and_b32 s33, vcc_lo, s31
	s_delay_alu instid0(SALU_CYCLE_1) | instskip(NEXT) | instid1(SALU_CYCLE_1)
	s_or_b32 s7, s7, s33
	s_and_b32 s33, s7, exec_lo
	s_delay_alu instid0(SALU_CYCLE_1)
	s_or_b32 s30, s30, s33
	s_mov_b32 s33, exec_lo
	v_cmpx_eq_u32_e64 v10, v11
	s_cbranch_execz .LBB383_1406
; %bb.1408:                             ;   in Loop: Header=BB383_1407 Depth=2
	s_add_nc_u64 s[10:11], s[10:11], -1
	v_add_nc_u64_e32 v[4:5], 4, v[4:5]
	s_cmp_eq_u64 s[10:11], 0
	v_add_nc_u64_e32 v[6:7], 4, v[6:7]
	s_cselect_b32 s31, -1, 0
	s_and_not1_b32 s29, s29, exec_lo
	s_and_b32 s31, s31, exec_lo
	s_and_not1_b32 s30, s30, exec_lo
	s_or_b32 s29, s29, s31
                                        ; implicit-def: $sgpr31
	s_branch .LBB383_1406
.LBB383_1409:                           ;   in Loop: Header=BB383_1378 Depth=1
	s_or_b32 exec_lo, exec_lo, s27
	s_xor_b32 s7, s28, -1
	s_branch .LBB383_1411
.LBB383_1410:                           ;   in Loop: Header=BB383_1378 Depth=1
	s_mov_b32 s7, -1
.LBB383_1411:                           ;   in Loop: Header=BB383_1378 Depth=1
	s_delay_alu instid0(SALU_CYCLE_1)
	s_and_b32 s7, s7, exec_lo
.LBB383_1412:                           ;   in Loop: Header=BB383_1378 Depth=1
	s_or_b32 exec_lo, exec_lo, s15
	s_delay_alu instid0(SALU_CYCLE_1)
	s_or_not1_b32 s15, s7, exec_lo
.LBB383_1413:                           ;   in Loop: Header=BB383_1378 Depth=1
	s_or_b32 exec_lo, exec_lo, s23
	v_cndmask_b32_e64 v4, v8, v9, s15
	v_cndmask_b32_e64 v5, v26, v25, s15
	s_mov_b32 s23, exec_lo
	s_delay_alu instid0(VALU_DEP_2) | instskip(NEXT) | instid1(VALU_DEP_1)
	v_add_nc_u32_e32 v6, 1, v4
	v_add_min_u32_e64 v4, v5, -1, v6
	v_dual_cndmask_b32 v8, v6, v8, s15 :: v_dual_cndmask_b32 v9, v9, v6, s15
	s_delay_alu instid0(VALU_DEP_2)
	v_lshlrev_b32_e32 v4, 3, v4
	ds_load_b64 v[4:5], v4
	s_wait_dscnt 0x0
	v_dual_cndmask_b32 v17, v5, v14, s15 :: v_dual_cndmask_b32 v23, v4, v15, s15
	v_dual_cndmask_b32 v27, v16, v5, s15 :: v_dual_cndmask_b32 v28, v22, v4, s15
	v_cmpx_lt_u32_e64 v8, v26
	s_cbranch_execz .LBB383_1424
; %bb.1414:                             ;   in Loop: Header=BB383_1378 Depth=1
	s_mov_b32 s7, 0
	s_mov_b32 s22, exec_lo
	v_cmpx_lt_u32_e64 v9, v25
	s_cbranch_execz .LBB383_1423
; %bb.1415:                             ;   in Loop: Header=BB383_1378 Depth=1
	s_and_not1_b32 vcc_lo, exec_lo, s26
	s_cbranch_vccnz .LBB383_1421
; %bb.1416:                             ;   in Loop: Header=BB383_1378 Depth=1
	v_mad_nc_u64_u32 v[4:5], s8, v23, s[18:19]
	v_mad_nc_u64_u32 v[6:7], s8, v28, s[18:19]
	s_mov_b32 s27, 0
	s_mov_b64 s[10:11], s[16:17]
                                        ; implicit-def: $sgpr28
                                        ; implicit-def: $sgpr29
                                        ; implicit-def: $sgpr30
                                        ; implicit-def: $sgpr31
	s_delay_alu instid0(VALU_DEP_2) | instskip(NEXT) | instid1(VALU_DEP_2)
	v_mad_u32 v5, s9, v23, v5
	v_mad_u32 v7, s9, v28, v7
	s_delay_alu instid0(VALU_DEP_2) | instskip(NEXT) | instid1(VALU_DEP_2)
	v_mad_u32 v5, s8, v17, v5
	v_mad_u32 v7, s8, v27, v7
	s_branch .LBB383_1418
.LBB383_1417:                           ;   in Loop: Header=BB383_1418 Depth=2
	s_or_b32 exec_lo, exec_lo, s33
	s_delay_alu instid0(SALU_CYCLE_1) | instskip(NEXT) | instid1(SALU_CYCLE_1)
	s_and_b32 s33, exec_lo, s29
	s_or_b32 s27, s33, s27
	s_and_not1_b32 s31, s31, exec_lo
	s_and_b32 s7, s7, exec_lo
	s_and_not1_b32 s28, s28, exec_lo
	s_and_b32 s33, s30, exec_lo
	s_or_b32 s31, s31, s7
	s_or_b32 s28, s28, s33
	s_and_not1_b32 exec_lo, exec_lo, s27
	s_cbranch_execz .LBB383_1420
.LBB383_1418:                           ;   Parent Loop BB383_1378 Depth=1
                                        ; =>  This Inner Loop Header: Depth=2
	global_load_b32 v10, v[4:5], off
	global_load_b32 v11, v[6:7], off
	s_and_not1_b32 s30, s30, exec_lo
	s_or_b32 s29, s29, exec_lo
	s_wait_loadcnt 0x0
	v_cmp_le_i32_e32 vcc_lo, v10, v11
	v_cmp_lt_i32_e64 s7, v10, v11
	s_and_b32 s33, vcc_lo, s31
	s_delay_alu instid0(SALU_CYCLE_1) | instskip(NEXT) | instid1(SALU_CYCLE_1)
	s_or_b32 s7, s7, s33
	s_and_b32 s33, s7, exec_lo
	s_delay_alu instid0(SALU_CYCLE_1)
	s_or_b32 s30, s30, s33
	s_mov_b32 s33, exec_lo
	v_cmpx_eq_u32_e64 v10, v11
	s_cbranch_execz .LBB383_1417
; %bb.1419:                             ;   in Loop: Header=BB383_1418 Depth=2
	s_add_nc_u64 s[10:11], s[10:11], -1
	v_add_nc_u64_e32 v[4:5], 4, v[4:5]
	s_cmp_eq_u64 s[10:11], 0
	v_add_nc_u64_e32 v[6:7], 4, v[6:7]
	s_cselect_b32 s31, -1, 0
	s_and_not1_b32 s29, s29, exec_lo
	s_and_b32 s31, s31, exec_lo
	s_and_not1_b32 s30, s30, exec_lo
	s_or_b32 s29, s29, s31
                                        ; implicit-def: $sgpr31
	s_branch .LBB383_1417
.LBB383_1420:                           ;   in Loop: Header=BB383_1378 Depth=1
	s_or_b32 exec_lo, exec_lo, s27
	s_xor_b32 s7, s28, -1
	s_branch .LBB383_1422
.LBB383_1421:                           ;   in Loop: Header=BB383_1378 Depth=1
	s_mov_b32 s7, -1
.LBB383_1422:                           ;   in Loop: Header=BB383_1378 Depth=1
	s_delay_alu instid0(SALU_CYCLE_1)
	s_and_b32 s7, s7, exec_lo
.LBB383_1423:                           ;   in Loop: Header=BB383_1378 Depth=1
	s_or_b32 exec_lo, exec_lo, s22
	s_delay_alu instid0(SALU_CYCLE_1)
	s_or_not1_b32 s22, s7, exec_lo
.LBB383_1424:                           ;   in Loop: Header=BB383_1378 Depth=1
	s_or_b32 exec_lo, exec_lo, s23
	v_cndmask_b32_e64 v4, v8, v9, s22
	v_cndmask_b32_e64 v5, v26, v25, s22
	s_mov_b32 s27, -1
	s_mov_b32 s23, -1
	s_mov_b32 s28, exec_lo
	v_add_nc_u32_e32 v6, 1, v4
	s_delay_alu instid0(VALU_DEP_1) | instskip(SKIP_1) | instid1(VALU_DEP_2)
	v_add_min_u32_e64 v4, v5, -1, v6
	v_dual_cndmask_b32 v8, v6, v8, s22 :: v_dual_cndmask_b32 v9, v9, v6, s22
	v_lshlrev_b32_e32 v4, 3, v4
	ds_load_b64 v[4:5], v4
	s_wait_dscnt 0x0
	v_dual_cndmask_b32 v12, v5, v17, s22 :: v_dual_cndmask_b32 v29, v4, v23, s22
	v_dual_cndmask_b32 v13, v27, v5, s22 :: v_dual_cndmask_b32 v30, v28, v4, s22
	v_cmpx_lt_u32_e64 v8, v26
	s_cbranch_execz .LBB383_1435
; %bb.1425:                             ;   in Loop: Header=BB383_1378 Depth=1
	s_mov_b32 s7, 0
	s_mov_b32 s23, exec_lo
	v_cmpx_lt_u32_e64 v9, v25
	s_cbranch_execz .LBB383_1434
; %bb.1426:                             ;   in Loop: Header=BB383_1378 Depth=1
	s_and_not1_b32 vcc_lo, exec_lo, s26
	s_cbranch_vccnz .LBB383_1432
; %bb.1427:                             ;   in Loop: Header=BB383_1378 Depth=1
	v_mad_nc_u64_u32 v[4:5], s8, v29, s[18:19]
	v_mad_nc_u64_u32 v[6:7], s8, v30, s[18:19]
	s_mov_b32 s29, 0
	s_mov_b64 s[10:11], s[16:17]
                                        ; implicit-def: $sgpr30
                                        ; implicit-def: $sgpr31
                                        ; implicit-def: $sgpr33
                                        ; implicit-def: $sgpr34
	s_delay_alu instid0(VALU_DEP_2) | instskip(NEXT) | instid1(VALU_DEP_2)
	v_mad_u32 v5, s9, v29, v5
	v_mad_u32 v7, s9, v30, v7
	s_delay_alu instid0(VALU_DEP_2) | instskip(NEXT) | instid1(VALU_DEP_2)
	v_mad_u32 v5, s8, v12, v5
	v_mad_u32 v7, s8, v13, v7
	s_branch .LBB383_1429
.LBB383_1428:                           ;   in Loop: Header=BB383_1429 Depth=2
	s_or_b32 exec_lo, exec_lo, s35
	s_delay_alu instid0(SALU_CYCLE_1) | instskip(NEXT) | instid1(SALU_CYCLE_1)
	s_and_b32 s35, exec_lo, s31
	s_or_b32 s29, s35, s29
	s_and_not1_b32 s34, s34, exec_lo
	s_and_b32 s7, s7, exec_lo
	s_and_not1_b32 s30, s30, exec_lo
	s_and_b32 s35, s33, exec_lo
	s_or_b32 s34, s34, s7
	s_or_b32 s30, s30, s35
	s_and_not1_b32 exec_lo, exec_lo, s29
	s_cbranch_execz .LBB383_1431
.LBB383_1429:                           ;   Parent Loop BB383_1378 Depth=1
                                        ; =>  This Inner Loop Header: Depth=2
	global_load_b32 v10, v[4:5], off
	global_load_b32 v11, v[6:7], off
	s_and_not1_b32 s33, s33, exec_lo
	s_or_b32 s31, s31, exec_lo
	s_wait_loadcnt 0x0
	v_cmp_le_i32_e32 vcc_lo, v10, v11
	v_cmp_lt_i32_e64 s7, v10, v11
	s_and_b32 s35, vcc_lo, s34
	s_delay_alu instid0(SALU_CYCLE_1) | instskip(NEXT) | instid1(SALU_CYCLE_1)
	s_or_b32 s7, s7, s35
	s_and_b32 s35, s7, exec_lo
	s_delay_alu instid0(SALU_CYCLE_1)
	s_or_b32 s33, s33, s35
	s_mov_b32 s35, exec_lo
	v_cmpx_eq_u32_e64 v10, v11
	s_cbranch_execz .LBB383_1428
; %bb.1430:                             ;   in Loop: Header=BB383_1429 Depth=2
	s_add_nc_u64 s[10:11], s[10:11], -1
	v_add_nc_u64_e32 v[4:5], 4, v[4:5]
	s_cmp_eq_u64 s[10:11], 0
	v_add_nc_u64_e32 v[6:7], 4, v[6:7]
	s_cselect_b32 s34, -1, 0
	s_and_not1_b32 s31, s31, exec_lo
	s_and_b32 s34, s34, exec_lo
	s_and_not1_b32 s33, s33, exec_lo
	s_or_b32 s31, s31, s34
                                        ; implicit-def: $sgpr34
	s_branch .LBB383_1428
.LBB383_1431:                           ;   in Loop: Header=BB383_1378 Depth=1
	s_or_b32 exec_lo, exec_lo, s29
	s_xor_b32 s7, s30, -1
	s_branch .LBB383_1433
.LBB383_1432:                           ;   in Loop: Header=BB383_1378 Depth=1
	s_mov_b32 s7, -1
.LBB383_1433:                           ;   in Loop: Header=BB383_1378 Depth=1
	s_delay_alu instid0(SALU_CYCLE_1)
	s_and_b32 s7, s7, exec_lo
.LBB383_1434:                           ;   in Loop: Header=BB383_1378 Depth=1
	s_or_b32 exec_lo, exec_lo, s23
	s_delay_alu instid0(SALU_CYCLE_1)
	s_or_not1_b32 s23, s7, exec_lo
.LBB383_1435:                           ;   in Loop: Header=BB383_1378 Depth=1
	s_or_b32 exec_lo, exec_lo, s28
	v_cndmask_b32_e64 v4, v8, v9, s23
	v_cndmask_b32_e64 v5, v26, v25, s23
	s_mov_b32 s28, exec_lo
	s_delay_alu instid0(VALU_DEP_2) | instskip(NEXT) | instid1(VALU_DEP_1)
	v_add_nc_u32_e32 v6, 1, v4
	v_add_min_u32_e64 v4, v5, -1, v6
	v_dual_cndmask_b32 v8, v6, v8, s23 :: v_dual_cndmask_b32 v9, v9, v6, s23
	s_delay_alu instid0(VALU_DEP_2)
	v_lshlrev_b32_e32 v4, 3, v4
	ds_load_b64 v[4:5], v4
	s_wait_dscnt 0x0
	v_dual_cndmask_b32 v31, v5, v12, s23 :: v_dual_cndmask_b32 v32, v4, v29, s23
	v_dual_cndmask_b32 v33, v13, v5, s23 :: v_dual_cndmask_b32 v34, v30, v4, s23
	v_cmpx_lt_u32_e64 v8, v26
	s_cbranch_execz .LBB383_1446
; %bb.1436:                             ;   in Loop: Header=BB383_1378 Depth=1
	s_mov_b32 s7, 0
	s_mov_b32 s27, exec_lo
	v_cmpx_lt_u32_e64 v9, v25
	s_cbranch_execz .LBB383_1445
; %bb.1437:                             ;   in Loop: Header=BB383_1378 Depth=1
	s_and_not1_b32 vcc_lo, exec_lo, s26
	s_cbranch_vccnz .LBB383_1443
; %bb.1438:                             ;   in Loop: Header=BB383_1378 Depth=1
	v_mad_nc_u64_u32 v[4:5], s8, v32, s[18:19]
	v_mad_nc_u64_u32 v[6:7], s8, v34, s[18:19]
	s_mov_b32 s29, 0
	s_mov_b64 s[10:11], s[16:17]
                                        ; implicit-def: $sgpr30
                                        ; implicit-def: $sgpr31
                                        ; implicit-def: $sgpr33
                                        ; implicit-def: $sgpr34
	s_delay_alu instid0(VALU_DEP_2) | instskip(NEXT) | instid1(VALU_DEP_2)
	v_mad_u32 v5, s9, v32, v5
	v_mad_u32 v7, s9, v34, v7
	s_delay_alu instid0(VALU_DEP_2) | instskip(NEXT) | instid1(VALU_DEP_2)
	v_mad_u32 v5, s8, v31, v5
	v_mad_u32 v7, s8, v33, v7
	s_branch .LBB383_1440
.LBB383_1439:                           ;   in Loop: Header=BB383_1440 Depth=2
	s_or_b32 exec_lo, exec_lo, s35
	s_delay_alu instid0(SALU_CYCLE_1) | instskip(NEXT) | instid1(SALU_CYCLE_1)
	s_and_b32 s35, exec_lo, s31
	s_or_b32 s29, s35, s29
	s_and_not1_b32 s34, s34, exec_lo
	s_and_b32 s7, s7, exec_lo
	s_and_not1_b32 s30, s30, exec_lo
	s_and_b32 s35, s33, exec_lo
	s_or_b32 s34, s34, s7
	s_or_b32 s30, s30, s35
	s_and_not1_b32 exec_lo, exec_lo, s29
	s_cbranch_execz .LBB383_1442
.LBB383_1440:                           ;   Parent Loop BB383_1378 Depth=1
                                        ; =>  This Inner Loop Header: Depth=2
	global_load_b32 v10, v[4:5], off
	global_load_b32 v11, v[6:7], off
	s_and_not1_b32 s33, s33, exec_lo
	s_or_b32 s31, s31, exec_lo
	s_wait_loadcnt 0x0
	v_cmp_le_i32_e32 vcc_lo, v10, v11
	v_cmp_lt_i32_e64 s7, v10, v11
	s_and_b32 s35, vcc_lo, s34
	s_delay_alu instid0(SALU_CYCLE_1) | instskip(NEXT) | instid1(SALU_CYCLE_1)
	s_or_b32 s7, s7, s35
	s_and_b32 s35, s7, exec_lo
	s_delay_alu instid0(SALU_CYCLE_1)
	s_or_b32 s33, s33, s35
	s_mov_b32 s35, exec_lo
	v_cmpx_eq_u32_e64 v10, v11
	s_cbranch_execz .LBB383_1439
; %bb.1441:                             ;   in Loop: Header=BB383_1440 Depth=2
	s_add_nc_u64 s[10:11], s[10:11], -1
	v_add_nc_u64_e32 v[4:5], 4, v[4:5]
	s_cmp_eq_u64 s[10:11], 0
	v_add_nc_u64_e32 v[6:7], 4, v[6:7]
	s_cselect_b32 s34, -1, 0
	s_and_not1_b32 s31, s31, exec_lo
	s_and_b32 s34, s34, exec_lo
	s_and_not1_b32 s33, s33, exec_lo
	s_or_b32 s31, s31, s34
                                        ; implicit-def: $sgpr34
	s_branch .LBB383_1439
.LBB383_1442:                           ;   in Loop: Header=BB383_1378 Depth=1
	s_or_b32 exec_lo, exec_lo, s29
	s_xor_b32 s7, s30, -1
	s_branch .LBB383_1444
.LBB383_1443:                           ;   in Loop: Header=BB383_1378 Depth=1
	s_mov_b32 s7, -1
.LBB383_1444:                           ;   in Loop: Header=BB383_1378 Depth=1
	s_delay_alu instid0(SALU_CYCLE_1)
	s_and_b32 s7, s7, exec_lo
.LBB383_1445:                           ;   in Loop: Header=BB383_1378 Depth=1
	s_or_b32 exec_lo, exec_lo, s27
	s_delay_alu instid0(SALU_CYCLE_1)
	s_or_not1_b32 s27, s7, exec_lo
.LBB383_1446:                           ;   in Loop: Header=BB383_1378 Depth=1
	s_or_b32 exec_lo, exec_lo, s28
	v_cndmask_b32_e64 v4, v8, v9, s27
	v_cndmask_b32_e64 v5, v26, v25, s27
	s_mov_b32 s28, -1
	s_mov_b32 s29, -1
	s_mov_b32 s30, exec_lo
	v_add_nc_u32_e32 v6, 1, v4
	s_delay_alu instid0(VALU_DEP_1) | instskip(SKIP_1) | instid1(VALU_DEP_2)
	v_add_min_u32_e64 v4, v5, -1, v6
	v_dual_cndmask_b32 v8, v6, v8, s27 :: v_dual_cndmask_b32 v9, v9, v6, s27
	v_lshlrev_b32_e32 v4, 3, v4
	ds_load_b64 v[4:5], v4
	s_wait_dscnt 0x0
	v_dual_cndmask_b32 v35, v5, v31, s27 :: v_dual_cndmask_b32 v43, v4, v32, s27
	v_dual_cndmask_b32 v44, v33, v5, s27 :: v_dual_cndmask_b32 v45, v34, v4, s27
	v_cmpx_lt_u32_e64 v8, v26
	s_cbranch_execz .LBB383_1457
; %bb.1447:                             ;   in Loop: Header=BB383_1378 Depth=1
	s_mov_b32 s7, 0
	s_mov_b32 s29, exec_lo
	v_cmpx_lt_u32_e64 v9, v25
	s_cbranch_execz .LBB383_1456
; %bb.1448:                             ;   in Loop: Header=BB383_1378 Depth=1
	s_and_not1_b32 vcc_lo, exec_lo, s26
	s_cbranch_vccnz .LBB383_1454
; %bb.1449:                             ;   in Loop: Header=BB383_1378 Depth=1
	v_mad_nc_u64_u32 v[4:5], s8, v43, s[18:19]
	v_mad_nc_u64_u32 v[6:7], s8, v45, s[18:19]
	s_mov_b32 s31, 0
	s_mov_b64 s[10:11], s[16:17]
                                        ; implicit-def: $sgpr33
                                        ; implicit-def: $sgpr34
                                        ; implicit-def: $sgpr35
                                        ; implicit-def: $sgpr36
	s_delay_alu instid0(VALU_DEP_2) | instskip(NEXT) | instid1(VALU_DEP_2)
	v_mad_u32 v5, s9, v43, v5
	v_mad_u32 v7, s9, v45, v7
	s_delay_alu instid0(VALU_DEP_2) | instskip(NEXT) | instid1(VALU_DEP_2)
	v_mad_u32 v5, s8, v35, v5
	v_mad_u32 v7, s8, v44, v7
	s_branch .LBB383_1451
.LBB383_1450:                           ;   in Loop: Header=BB383_1451 Depth=2
	s_or_b32 exec_lo, exec_lo, s37
	s_delay_alu instid0(SALU_CYCLE_1) | instskip(NEXT) | instid1(SALU_CYCLE_1)
	s_and_b32 s37, exec_lo, s34
	s_or_b32 s31, s37, s31
	s_and_not1_b32 s36, s36, exec_lo
	s_and_b32 s7, s7, exec_lo
	s_and_not1_b32 s33, s33, exec_lo
	s_and_b32 s37, s35, exec_lo
	s_or_b32 s36, s36, s7
	s_or_b32 s33, s33, s37
	s_and_not1_b32 exec_lo, exec_lo, s31
	s_cbranch_execz .LBB383_1453
.LBB383_1451:                           ;   Parent Loop BB383_1378 Depth=1
                                        ; =>  This Inner Loop Header: Depth=2
	global_load_b32 v10, v[4:5], off
	global_load_b32 v11, v[6:7], off
	s_and_not1_b32 s35, s35, exec_lo
	s_or_b32 s34, s34, exec_lo
	s_wait_loadcnt 0x0
	v_cmp_le_i32_e32 vcc_lo, v10, v11
	v_cmp_lt_i32_e64 s7, v10, v11
	s_and_b32 s37, vcc_lo, s36
	s_delay_alu instid0(SALU_CYCLE_1) | instskip(NEXT) | instid1(SALU_CYCLE_1)
	s_or_b32 s7, s7, s37
	s_and_b32 s37, s7, exec_lo
	s_delay_alu instid0(SALU_CYCLE_1)
	s_or_b32 s35, s35, s37
	s_mov_b32 s37, exec_lo
	v_cmpx_eq_u32_e64 v10, v11
	s_cbranch_execz .LBB383_1450
; %bb.1452:                             ;   in Loop: Header=BB383_1451 Depth=2
	s_add_nc_u64 s[10:11], s[10:11], -1
	v_add_nc_u64_e32 v[4:5], 4, v[4:5]
	s_cmp_eq_u64 s[10:11], 0
	v_add_nc_u64_e32 v[6:7], 4, v[6:7]
	s_cselect_b32 s36, -1, 0
	s_and_not1_b32 s34, s34, exec_lo
	s_and_b32 s36, s36, exec_lo
	s_and_not1_b32 s35, s35, exec_lo
	s_or_b32 s34, s34, s36
                                        ; implicit-def: $sgpr36
	s_branch .LBB383_1450
.LBB383_1453:                           ;   in Loop: Header=BB383_1378 Depth=1
	s_or_b32 exec_lo, exec_lo, s31
	s_xor_b32 s7, s33, -1
	s_branch .LBB383_1455
.LBB383_1454:                           ;   in Loop: Header=BB383_1378 Depth=1
	s_mov_b32 s7, -1
.LBB383_1455:                           ;   in Loop: Header=BB383_1378 Depth=1
	s_delay_alu instid0(SALU_CYCLE_1)
	s_and_b32 s7, s7, exec_lo
.LBB383_1456:                           ;   in Loop: Header=BB383_1378 Depth=1
	s_or_b32 exec_lo, exec_lo, s29
	s_delay_alu instid0(SALU_CYCLE_1)
	s_or_not1_b32 s29, s7, exec_lo
.LBB383_1457:                           ;   in Loop: Header=BB383_1378 Depth=1
	s_or_b32 exec_lo, exec_lo, s30
	v_cndmask_b32_e64 v4, v8, v9, s29
	v_cndmask_b32_e64 v5, v26, v25, s29
	s_mov_b32 s30, exec_lo
	s_delay_alu instid0(VALU_DEP_2) | instskip(NEXT) | instid1(VALU_DEP_1)
	v_add_nc_u32_e32 v6, 1, v4
	v_add_min_u32_e64 v4, v5, -1, v6
	v_dual_cndmask_b32 v10, v6, v8, s29 :: v_dual_cndmask_b32 v8, v9, v6, s29
	s_delay_alu instid0(VALU_DEP_2)
	v_lshlrev_b32_e32 v4, 3, v4
	ds_load_b64 v[4:5], v4
	s_wait_dscnt 0x0
	v_dual_cndmask_b32 v46, v5, v35, s29 :: v_dual_cndmask_b32 v48, v44, v5, s29
	v_dual_cndmask_b32 v47, v4, v43, s29 :: v_dual_cndmask_b32 v49, v45, v4, s29
	v_cmpx_lt_u32_e64 v10, v26
	s_cbranch_execz .LBB383_1468
; %bb.1458:                             ;   in Loop: Header=BB383_1378 Depth=1
	s_mov_b32 s7, 0
	s_mov_b32 s28, exec_lo
	v_cmpx_lt_u32_e64 v8, v25
	s_cbranch_execz .LBB383_1467
; %bb.1459:                             ;   in Loop: Header=BB383_1378 Depth=1
	s_and_not1_b32 vcc_lo, exec_lo, s26
	s_cbranch_vccnz .LBB383_1465
; %bb.1460:                             ;   in Loop: Header=BB383_1378 Depth=1
	v_mad_nc_u64_u32 v[4:5], s8, v47, s[18:19]
	v_mad_nc_u64_u32 v[6:7], s8, v49, s[18:19]
	s_mov_b32 s31, 0
	s_mov_b64 s[10:11], s[16:17]
                                        ; implicit-def: $sgpr33
                                        ; implicit-def: $sgpr34
                                        ; implicit-def: $sgpr35
                                        ; implicit-def: $sgpr36
	s_delay_alu instid0(VALU_DEP_2) | instskip(NEXT) | instid1(VALU_DEP_2)
	v_mad_u32 v5, s9, v47, v5
	v_mad_u32 v7, s9, v49, v7
	s_delay_alu instid0(VALU_DEP_2) | instskip(NEXT) | instid1(VALU_DEP_2)
	v_mad_u32 v5, s8, v46, v5
	v_mad_u32 v7, s8, v48, v7
	s_branch .LBB383_1462
.LBB383_1461:                           ;   in Loop: Header=BB383_1462 Depth=2
	s_or_b32 exec_lo, exec_lo, s37
	s_delay_alu instid0(SALU_CYCLE_1) | instskip(NEXT) | instid1(SALU_CYCLE_1)
	s_and_b32 s37, exec_lo, s34
	s_or_b32 s31, s37, s31
	s_and_not1_b32 s36, s36, exec_lo
	s_and_b32 s7, s7, exec_lo
	s_and_not1_b32 s33, s33, exec_lo
	s_and_b32 s37, s35, exec_lo
	s_or_b32 s36, s36, s7
	s_or_b32 s33, s33, s37
	s_and_not1_b32 exec_lo, exec_lo, s31
	s_cbranch_execz .LBB383_1464
.LBB383_1462:                           ;   Parent Loop BB383_1378 Depth=1
                                        ; =>  This Inner Loop Header: Depth=2
	global_load_b32 v9, v[4:5], off
	global_load_b32 v11, v[6:7], off
	s_and_not1_b32 s35, s35, exec_lo
	s_or_b32 s34, s34, exec_lo
	s_wait_loadcnt 0x0
	v_cmp_le_i32_e32 vcc_lo, v9, v11
	v_cmp_lt_i32_e64 s7, v9, v11
	s_and_b32 s37, vcc_lo, s36
	s_delay_alu instid0(SALU_CYCLE_1) | instskip(NEXT) | instid1(SALU_CYCLE_1)
	s_or_b32 s7, s7, s37
	s_and_b32 s37, s7, exec_lo
	s_delay_alu instid0(SALU_CYCLE_1)
	s_or_b32 s35, s35, s37
	s_mov_b32 s37, exec_lo
	v_cmpx_eq_u32_e64 v9, v11
	s_cbranch_execz .LBB383_1461
; %bb.1463:                             ;   in Loop: Header=BB383_1462 Depth=2
	s_add_nc_u64 s[10:11], s[10:11], -1
	v_add_nc_u64_e32 v[4:5], 4, v[4:5]
	s_cmp_eq_u64 s[10:11], 0
	v_add_nc_u64_e32 v[6:7], 4, v[6:7]
	s_cselect_b32 s36, -1, 0
	s_and_not1_b32 s34, s34, exec_lo
	s_and_b32 s36, s36, exec_lo
	s_and_not1_b32 s35, s35, exec_lo
	s_or_b32 s34, s34, s36
                                        ; implicit-def: $sgpr36
	s_branch .LBB383_1461
.LBB383_1464:                           ;   in Loop: Header=BB383_1378 Depth=1
	s_or_b32 exec_lo, exec_lo, s31
	s_xor_b32 s7, s33, -1
	s_branch .LBB383_1466
.LBB383_1465:                           ;   in Loop: Header=BB383_1378 Depth=1
	s_mov_b32 s7, -1
.LBB383_1466:                           ;   in Loop: Header=BB383_1378 Depth=1
	s_delay_alu instid0(SALU_CYCLE_1)
	s_and_b32 s7, s7, exec_lo
.LBB383_1467:                           ;   in Loop: Header=BB383_1378 Depth=1
	s_or_b32 exec_lo, exec_lo, s28
	s_delay_alu instid0(SALU_CYCLE_1)
	s_or_not1_b32 s28, s7, exec_lo
.LBB383_1468:                           ;   in Loop: Header=BB383_1378 Depth=1
	s_or_b32 exec_lo, exec_lo, s30
	v_cndmask_b32_e64 v4, v10, v8, s28
	v_cndmask_b32_e64 v5, v26, v25, s28
	s_mov_b32 s30, exec_lo
	s_delay_alu instid0(VALU_DEP_2) | instskip(NEXT) | instid1(VALU_DEP_1)
	v_add_nc_u32_e32 v9, 1, v4
	v_add_min_u32_e64 v4, v5, -1, v9
	s_delay_alu instid0(VALU_DEP_1)
	v_dual_cndmask_b32 v10, v9, v10, s28 :: v_dual_lshlrev_b32 v4, 3, v4
	ds_load_b64 v[6:7], v4
	s_wait_dscnt 0x0
	v_dual_cndmask_b32 v5, v48, v7, s28 :: v_dual_cndmask_b32 v4, v49, v6, s28
	v_cmpx_lt_u32_e64 v10, v26
	s_cbranch_execz .LBB383_1376
; %bb.1469:                             ;   in Loop: Header=BB383_1378 Depth=1
	v_dual_cndmask_b32 v8, v8, v9, s28 :: v_dual_cndmask_b32 v7, v7, v46, s28
	v_cndmask_b32_e64 v6, v6, v47, s28
	s_mov_b32 s31, exec_lo
	s_delay_alu instid0(VALU_DEP_2)
	v_cmpx_lt_u32_e64 v8, v25
	s_cbranch_execz .LBB383_1375
; %bb.1470:                             ;   in Loop: Header=BB383_1378 Depth=1
	s_and_not1_b32 vcc_lo, exec_lo, s26
	s_cbranch_vccnz .LBB383_1374
; %bb.1471:                             ;   in Loop: Header=BB383_1378 Depth=1
	v_mad_nc_u64_u32 v[8:9], s8, v6, s[18:19]
	v_mad_nc_u64_u32 v[10:11], s8, v4, s[18:19]
	s_mov_b32 s33, 0
	s_mov_b64 s[10:11], s[16:17]
                                        ; implicit-def: $sgpr34
                                        ; implicit-def: $sgpr35
                                        ; implicit-def: $sgpr36
                                        ; implicit-def: $sgpr37
	s_delay_alu instid0(VALU_DEP_2) | instskip(NEXT) | instid1(VALU_DEP_2)
	v_mad_u32 v9, s9, v6, v9
	v_mad_u32 v11, s9, v4, v11
	s_delay_alu instid0(VALU_DEP_2) | instskip(NEXT) | instid1(VALU_DEP_2)
	v_mad_u32 v9, s8, v7, v9
	v_mad_u32 v11, s8, v5, v11
	s_branch .LBB383_1473
.LBB383_1472:                           ;   in Loop: Header=BB383_1473 Depth=2
	s_or_b32 exec_lo, exec_lo, s38
	s_delay_alu instid0(SALU_CYCLE_1) | instskip(NEXT) | instid1(SALU_CYCLE_1)
	s_and_b32 s38, exec_lo, s35
	s_or_b32 s33, s38, s33
	s_and_not1_b32 s37, s37, exec_lo
	s_and_b32 s7, s7, exec_lo
	s_and_not1_b32 s34, s34, exec_lo
	s_and_b32 s38, s36, exec_lo
	s_or_b32 s37, s37, s7
	s_or_b32 s34, s34, s38
	s_and_not1_b32 exec_lo, exec_lo, s33
	s_cbranch_execz .LBB383_1373
.LBB383_1473:                           ;   Parent Loop BB383_1378 Depth=1
                                        ; =>  This Inner Loop Header: Depth=2
	global_load_b32 v25, v[8:9], off
	global_load_b32 v26, v[10:11], off
	s_and_not1_b32 s36, s36, exec_lo
	s_or_b32 s35, s35, exec_lo
	s_wait_loadcnt 0x0
	v_cmp_le_i32_e32 vcc_lo, v25, v26
	v_cmp_lt_i32_e64 s7, v25, v26
	s_and_b32 s38, vcc_lo, s37
	s_delay_alu instid0(SALU_CYCLE_1) | instskip(NEXT) | instid1(SALU_CYCLE_1)
	s_or_b32 s7, s7, s38
	s_and_b32 s38, s7, exec_lo
	s_delay_alu instid0(SALU_CYCLE_1)
	s_or_b32 s36, s36, s38
	s_mov_b32 s38, exec_lo
	v_cmpx_eq_u32_e64 v25, v26
	s_cbranch_execz .LBB383_1472
; %bb.1474:                             ;   in Loop: Header=BB383_1473 Depth=2
	s_add_nc_u64 s[10:11], s[10:11], -1
	v_add_nc_u64_e32 v[8:9], 4, v[8:9]
	s_cmp_eq_u64 s[10:11], 0
	v_add_nc_u64_e32 v[10:11], 4, v[10:11]
	s_cselect_b32 s37, -1, 0
	s_and_not1_b32 s35, s35, exec_lo
	s_and_b32 s37, s37, exec_lo
	s_and_not1_b32 s36, s36, exec_lo
	s_or_b32 s35, s35, s37
                                        ; implicit-def: $sgpr37
	s_branch .LBB383_1472
.LBB383_1475:
	s_barrier_signal -1
	s_barrier_wait -1
	ds_store_2addr_b64 v42, v[14:15], v[16:17] offset1:1
	ds_store_2addr_b64 v42, v[10:11], v[12:13] offset0:2 offset1:3
	ds_store_2addr_b64 v42, v[6:7], v[8:9] offset0:4 offset1:5
	;; [unrolled: 1-line block ×3, first 2 shown]
	s_wait_dscnt 0x0
	s_barrier_signal -1
	s_barrier_wait -1
	ds_load_b64 v[14:15], v21 offset:2048
	ds_load_b64 v[12:13], v36 offset:4096
	;; [unrolled: 1-line block ×7, first 2 shown]
	v_mov_b32_e32 v21, 0
	s_delay_alu instid0(VALU_DEP_1)
	v_add_nc_u64_e32 v[4:5], s[20:21], v[20:21]
	s_and_saveexec_b32 s7, s0
	s_cbranch_execnz .LBB383_1487
; %bb.1476:
	s_or_b32 exec_lo, exec_lo, s7
	s_and_saveexec_b32 s0, s1
	s_cbranch_execnz .LBB383_1488
.LBB383_1477:
	s_or_b32 exec_lo, exec_lo, s0
	s_and_saveexec_b32 s0, s2
	s_cbranch_execnz .LBB383_1489
.LBB383_1478:
	s_or_b32 exec_lo, exec_lo, s0
	s_and_saveexec_b32 s0, s3
	s_cbranch_execnz .LBB383_1490
.LBB383_1479:
	s_or_b32 exec_lo, exec_lo, s0
	s_and_saveexec_b32 s0, s4
	s_cbranch_execnz .LBB383_1491
.LBB383_1480:
	s_or_b32 exec_lo, exec_lo, s0
	s_and_saveexec_b32 s0, s5
	s_cbranch_execnz .LBB383_1492
.LBB383_1481:
	s_or_b32 exec_lo, exec_lo, s0
	s_and_saveexec_b32 s0, s6
	s_cbranch_execz .LBB383_1483
.LBB383_1482:
	s_wait_dscnt 0x1
	global_store_b64 v[4:5], v[0:1], off offset:12288
.LBB383_1483:
	s_wait_xcnt 0x0
	s_or_b32 exec_lo, exec_lo, s0
	v_mov_b32_e32 v19, v21
.LBB383_1484:
	s_wait_xcnt 0x0
	s_and_saveexec_b32 s0, s24
	s_cbranch_execz .LBB383_1486
; %bb.1485:
	s_wait_dscnt 0x1
	v_lshl_add_u64 v[0:1], v[18:19], 3, s[20:21]
	s_wait_dscnt 0x0
	global_store_b64 v[0:1], v[2:3], off offset:14336
.LBB383_1486:
	s_endpgm
.LBB383_1487:
	ds_load_b64 v[16:17], v19
	s_wait_dscnt 0x0
	global_store_b64 v[4:5], v[16:17], off
	s_wait_xcnt 0x0
	s_or_b32 exec_lo, exec_lo, s7
	s_and_saveexec_b32 s0, s1
	s_cbranch_execz .LBB383_1477
.LBB383_1488:
	s_wait_dscnt 0x6
	global_store_b64 v[4:5], v[14:15], off offset:2048
	s_wait_xcnt 0x0
	s_or_b32 exec_lo, exec_lo, s0
	s_and_saveexec_b32 s0, s2
	s_cbranch_execz .LBB383_1478
.LBB383_1489:
	s_wait_dscnt 0x5
	global_store_b64 v[4:5], v[12:13], off offset:4096
	s_wait_xcnt 0x0
	s_or_b32 exec_lo, exec_lo, s0
	s_and_saveexec_b32 s0, s3
	s_cbranch_execz .LBB383_1479
.LBB383_1490:
	s_wait_dscnt 0x4
	global_store_b64 v[4:5], v[10:11], off offset:6144
	s_wait_xcnt 0x0
	s_or_b32 exec_lo, exec_lo, s0
	s_and_saveexec_b32 s0, s4
	s_cbranch_execz .LBB383_1480
.LBB383_1491:
	s_wait_dscnt 0x3
	global_store_b64 v[4:5], v[8:9], off offset:8192
	s_wait_xcnt 0x0
	s_or_b32 exec_lo, exec_lo, s0
	s_and_saveexec_b32 s0, s5
	s_cbranch_execz .LBB383_1481
.LBB383_1492:
	s_wait_dscnt 0x2
	global_store_b64 v[4:5], v[6:7], off offset:10240
	s_wait_xcnt 0x0
	s_or_b32 exec_lo, exec_lo, s0
	s_and_saveexec_b32 s0, s6
	s_cbranch_execnz .LBB383_1482
	s_branch .LBB383_1483
	.section	.rodata,"a",@progbits
	.p2align	6, 0x0
	.amdhsa_kernel _ZN7rocprim17ROCPRIM_400000_NS6detail17trampoline_kernelINS0_14default_configENS1_37merge_sort_block_sort_config_selectorIlNS0_10empty_typeEEEZNS1_21merge_sort_block_sortIS3_PlS8_PS5_S9_ZN2at6native12_GLOBAL__N_124unique_dim_cuda_templateIiEESt5tupleIJNSA_6TensorESF_SF_EERKSF_lbbbEUlllE_EE10hipError_tT0_T1_T2_T3_mRjT4_P12ihipStream_tbNS1_7vsmem_tEEUlT_E_NS1_11comp_targetILNS1_3genE0ELNS1_11target_archE4294967295ELNS1_3gpuE0ELNS1_3repE0EEENS1_30default_config_static_selectorELNS0_4arch9wavefront6targetE0EEEvSM_
		.amdhsa_group_segment_fixed_size 16896
		.amdhsa_private_segment_fixed_size 0
		.amdhsa_kernarg_size 328
		.amdhsa_user_sgpr_count 2
		.amdhsa_user_sgpr_dispatch_ptr 0
		.amdhsa_user_sgpr_queue_ptr 0
		.amdhsa_user_sgpr_kernarg_segment_ptr 1
		.amdhsa_user_sgpr_dispatch_id 0
		.amdhsa_user_sgpr_kernarg_preload_length 0
		.amdhsa_user_sgpr_kernarg_preload_offset 0
		.amdhsa_user_sgpr_private_segment_size 0
		.amdhsa_wavefront_size32 1
		.amdhsa_uses_dynamic_stack 0
		.amdhsa_enable_private_segment 0
		.amdhsa_system_sgpr_workgroup_id_x 1
		.amdhsa_system_sgpr_workgroup_id_y 1
		.amdhsa_system_sgpr_workgroup_id_z 1
		.amdhsa_system_sgpr_workgroup_info 0
		.amdhsa_system_vgpr_workitem_id 2
		.amdhsa_next_free_vgpr 56
		.amdhsa_next_free_sgpr 39
		.amdhsa_named_barrier_count 0
		.amdhsa_reserve_vcc 1
		.amdhsa_float_round_mode_32 0
		.amdhsa_float_round_mode_16_64 0
		.amdhsa_float_denorm_mode_32 3
		.amdhsa_float_denorm_mode_16_64 3
		.amdhsa_fp16_overflow 0
		.amdhsa_memory_ordered 1
		.amdhsa_forward_progress 1
		.amdhsa_inst_pref_size 255
		.amdhsa_round_robin_scheduling 0
		.amdhsa_exception_fp_ieee_invalid_op 0
		.amdhsa_exception_fp_denorm_src 0
		.amdhsa_exception_fp_ieee_div_zero 0
		.amdhsa_exception_fp_ieee_overflow 0
		.amdhsa_exception_fp_ieee_underflow 0
		.amdhsa_exception_fp_ieee_inexact 0
		.amdhsa_exception_int_div_zero 0
	.end_amdhsa_kernel
	.section	.text._ZN7rocprim17ROCPRIM_400000_NS6detail17trampoline_kernelINS0_14default_configENS1_37merge_sort_block_sort_config_selectorIlNS0_10empty_typeEEEZNS1_21merge_sort_block_sortIS3_PlS8_PS5_S9_ZN2at6native12_GLOBAL__N_124unique_dim_cuda_templateIiEESt5tupleIJNSA_6TensorESF_SF_EERKSF_lbbbEUlllE_EE10hipError_tT0_T1_T2_T3_mRjT4_P12ihipStream_tbNS1_7vsmem_tEEUlT_E_NS1_11comp_targetILNS1_3genE0ELNS1_11target_archE4294967295ELNS1_3gpuE0ELNS1_3repE0EEENS1_30default_config_static_selectorELNS0_4arch9wavefront6targetE0EEEvSM_,"axG",@progbits,_ZN7rocprim17ROCPRIM_400000_NS6detail17trampoline_kernelINS0_14default_configENS1_37merge_sort_block_sort_config_selectorIlNS0_10empty_typeEEEZNS1_21merge_sort_block_sortIS3_PlS8_PS5_S9_ZN2at6native12_GLOBAL__N_124unique_dim_cuda_templateIiEESt5tupleIJNSA_6TensorESF_SF_EERKSF_lbbbEUlllE_EE10hipError_tT0_T1_T2_T3_mRjT4_P12ihipStream_tbNS1_7vsmem_tEEUlT_E_NS1_11comp_targetILNS1_3genE0ELNS1_11target_archE4294967295ELNS1_3gpuE0ELNS1_3repE0EEENS1_30default_config_static_selectorELNS0_4arch9wavefront6targetE0EEEvSM_,comdat
.Lfunc_end383:
	.size	_ZN7rocprim17ROCPRIM_400000_NS6detail17trampoline_kernelINS0_14default_configENS1_37merge_sort_block_sort_config_selectorIlNS0_10empty_typeEEEZNS1_21merge_sort_block_sortIS3_PlS8_PS5_S9_ZN2at6native12_GLOBAL__N_124unique_dim_cuda_templateIiEESt5tupleIJNSA_6TensorESF_SF_EERKSF_lbbbEUlllE_EE10hipError_tT0_T1_T2_T3_mRjT4_P12ihipStream_tbNS1_7vsmem_tEEUlT_E_NS1_11comp_targetILNS1_3genE0ELNS1_11target_archE4294967295ELNS1_3gpuE0ELNS1_3repE0EEENS1_30default_config_static_selectorELNS0_4arch9wavefront6targetE0EEEvSM_, .Lfunc_end383-_ZN7rocprim17ROCPRIM_400000_NS6detail17trampoline_kernelINS0_14default_configENS1_37merge_sort_block_sort_config_selectorIlNS0_10empty_typeEEEZNS1_21merge_sort_block_sortIS3_PlS8_PS5_S9_ZN2at6native12_GLOBAL__N_124unique_dim_cuda_templateIiEESt5tupleIJNSA_6TensorESF_SF_EERKSF_lbbbEUlllE_EE10hipError_tT0_T1_T2_T3_mRjT4_P12ihipStream_tbNS1_7vsmem_tEEUlT_E_NS1_11comp_targetILNS1_3genE0ELNS1_11target_archE4294967295ELNS1_3gpuE0ELNS1_3repE0EEENS1_30default_config_static_selectorELNS0_4arch9wavefront6targetE0EEEvSM_
                                        ; -- End function
	.set _ZN7rocprim17ROCPRIM_400000_NS6detail17trampoline_kernelINS0_14default_configENS1_37merge_sort_block_sort_config_selectorIlNS0_10empty_typeEEEZNS1_21merge_sort_block_sortIS3_PlS8_PS5_S9_ZN2at6native12_GLOBAL__N_124unique_dim_cuda_templateIiEESt5tupleIJNSA_6TensorESF_SF_EERKSF_lbbbEUlllE_EE10hipError_tT0_T1_T2_T3_mRjT4_P12ihipStream_tbNS1_7vsmem_tEEUlT_E_NS1_11comp_targetILNS1_3genE0ELNS1_11target_archE4294967295ELNS1_3gpuE0ELNS1_3repE0EEENS1_30default_config_static_selectorELNS0_4arch9wavefront6targetE0EEEvSM_.num_vgpr, 56
	.set _ZN7rocprim17ROCPRIM_400000_NS6detail17trampoline_kernelINS0_14default_configENS1_37merge_sort_block_sort_config_selectorIlNS0_10empty_typeEEEZNS1_21merge_sort_block_sortIS3_PlS8_PS5_S9_ZN2at6native12_GLOBAL__N_124unique_dim_cuda_templateIiEESt5tupleIJNSA_6TensorESF_SF_EERKSF_lbbbEUlllE_EE10hipError_tT0_T1_T2_T3_mRjT4_P12ihipStream_tbNS1_7vsmem_tEEUlT_E_NS1_11comp_targetILNS1_3genE0ELNS1_11target_archE4294967295ELNS1_3gpuE0ELNS1_3repE0EEENS1_30default_config_static_selectorELNS0_4arch9wavefront6targetE0EEEvSM_.num_agpr, 0
	.set _ZN7rocprim17ROCPRIM_400000_NS6detail17trampoline_kernelINS0_14default_configENS1_37merge_sort_block_sort_config_selectorIlNS0_10empty_typeEEEZNS1_21merge_sort_block_sortIS3_PlS8_PS5_S9_ZN2at6native12_GLOBAL__N_124unique_dim_cuda_templateIiEESt5tupleIJNSA_6TensorESF_SF_EERKSF_lbbbEUlllE_EE10hipError_tT0_T1_T2_T3_mRjT4_P12ihipStream_tbNS1_7vsmem_tEEUlT_E_NS1_11comp_targetILNS1_3genE0ELNS1_11target_archE4294967295ELNS1_3gpuE0ELNS1_3repE0EEENS1_30default_config_static_selectorELNS0_4arch9wavefront6targetE0EEEvSM_.numbered_sgpr, 39
	.set _ZN7rocprim17ROCPRIM_400000_NS6detail17trampoline_kernelINS0_14default_configENS1_37merge_sort_block_sort_config_selectorIlNS0_10empty_typeEEEZNS1_21merge_sort_block_sortIS3_PlS8_PS5_S9_ZN2at6native12_GLOBAL__N_124unique_dim_cuda_templateIiEESt5tupleIJNSA_6TensorESF_SF_EERKSF_lbbbEUlllE_EE10hipError_tT0_T1_T2_T3_mRjT4_P12ihipStream_tbNS1_7vsmem_tEEUlT_E_NS1_11comp_targetILNS1_3genE0ELNS1_11target_archE4294967295ELNS1_3gpuE0ELNS1_3repE0EEENS1_30default_config_static_selectorELNS0_4arch9wavefront6targetE0EEEvSM_.num_named_barrier, 0
	.set _ZN7rocprim17ROCPRIM_400000_NS6detail17trampoline_kernelINS0_14default_configENS1_37merge_sort_block_sort_config_selectorIlNS0_10empty_typeEEEZNS1_21merge_sort_block_sortIS3_PlS8_PS5_S9_ZN2at6native12_GLOBAL__N_124unique_dim_cuda_templateIiEESt5tupleIJNSA_6TensorESF_SF_EERKSF_lbbbEUlllE_EE10hipError_tT0_T1_T2_T3_mRjT4_P12ihipStream_tbNS1_7vsmem_tEEUlT_E_NS1_11comp_targetILNS1_3genE0ELNS1_11target_archE4294967295ELNS1_3gpuE0ELNS1_3repE0EEENS1_30default_config_static_selectorELNS0_4arch9wavefront6targetE0EEEvSM_.private_seg_size, 0
	.set _ZN7rocprim17ROCPRIM_400000_NS6detail17trampoline_kernelINS0_14default_configENS1_37merge_sort_block_sort_config_selectorIlNS0_10empty_typeEEEZNS1_21merge_sort_block_sortIS3_PlS8_PS5_S9_ZN2at6native12_GLOBAL__N_124unique_dim_cuda_templateIiEESt5tupleIJNSA_6TensorESF_SF_EERKSF_lbbbEUlllE_EE10hipError_tT0_T1_T2_T3_mRjT4_P12ihipStream_tbNS1_7vsmem_tEEUlT_E_NS1_11comp_targetILNS1_3genE0ELNS1_11target_archE4294967295ELNS1_3gpuE0ELNS1_3repE0EEENS1_30default_config_static_selectorELNS0_4arch9wavefront6targetE0EEEvSM_.uses_vcc, 1
	.set _ZN7rocprim17ROCPRIM_400000_NS6detail17trampoline_kernelINS0_14default_configENS1_37merge_sort_block_sort_config_selectorIlNS0_10empty_typeEEEZNS1_21merge_sort_block_sortIS3_PlS8_PS5_S9_ZN2at6native12_GLOBAL__N_124unique_dim_cuda_templateIiEESt5tupleIJNSA_6TensorESF_SF_EERKSF_lbbbEUlllE_EE10hipError_tT0_T1_T2_T3_mRjT4_P12ihipStream_tbNS1_7vsmem_tEEUlT_E_NS1_11comp_targetILNS1_3genE0ELNS1_11target_archE4294967295ELNS1_3gpuE0ELNS1_3repE0EEENS1_30default_config_static_selectorELNS0_4arch9wavefront6targetE0EEEvSM_.uses_flat_scratch, 0
	.set _ZN7rocprim17ROCPRIM_400000_NS6detail17trampoline_kernelINS0_14default_configENS1_37merge_sort_block_sort_config_selectorIlNS0_10empty_typeEEEZNS1_21merge_sort_block_sortIS3_PlS8_PS5_S9_ZN2at6native12_GLOBAL__N_124unique_dim_cuda_templateIiEESt5tupleIJNSA_6TensorESF_SF_EERKSF_lbbbEUlllE_EE10hipError_tT0_T1_T2_T3_mRjT4_P12ihipStream_tbNS1_7vsmem_tEEUlT_E_NS1_11comp_targetILNS1_3genE0ELNS1_11target_archE4294967295ELNS1_3gpuE0ELNS1_3repE0EEENS1_30default_config_static_selectorELNS0_4arch9wavefront6targetE0EEEvSM_.has_dyn_sized_stack, 0
	.set _ZN7rocprim17ROCPRIM_400000_NS6detail17trampoline_kernelINS0_14default_configENS1_37merge_sort_block_sort_config_selectorIlNS0_10empty_typeEEEZNS1_21merge_sort_block_sortIS3_PlS8_PS5_S9_ZN2at6native12_GLOBAL__N_124unique_dim_cuda_templateIiEESt5tupleIJNSA_6TensorESF_SF_EERKSF_lbbbEUlllE_EE10hipError_tT0_T1_T2_T3_mRjT4_P12ihipStream_tbNS1_7vsmem_tEEUlT_E_NS1_11comp_targetILNS1_3genE0ELNS1_11target_archE4294967295ELNS1_3gpuE0ELNS1_3repE0EEENS1_30default_config_static_selectorELNS0_4arch9wavefront6targetE0EEEvSM_.has_recursion, 0
	.set _ZN7rocprim17ROCPRIM_400000_NS6detail17trampoline_kernelINS0_14default_configENS1_37merge_sort_block_sort_config_selectorIlNS0_10empty_typeEEEZNS1_21merge_sort_block_sortIS3_PlS8_PS5_S9_ZN2at6native12_GLOBAL__N_124unique_dim_cuda_templateIiEESt5tupleIJNSA_6TensorESF_SF_EERKSF_lbbbEUlllE_EE10hipError_tT0_T1_T2_T3_mRjT4_P12ihipStream_tbNS1_7vsmem_tEEUlT_E_NS1_11comp_targetILNS1_3genE0ELNS1_11target_archE4294967295ELNS1_3gpuE0ELNS1_3repE0EEENS1_30default_config_static_selectorELNS0_4arch9wavefront6targetE0EEEvSM_.has_indirect_call, 0
	.section	.AMDGPU.csdata,"",@progbits
; Kernel info:
; codeLenInByte = 56504
; TotalNumSgprs: 41
; NumVgprs: 56
; ScratchSize: 0
; MemoryBound: 0
; FloatMode: 240
; IeeeMode: 1
; LDSByteSize: 16896 bytes/workgroup (compile time only)
; SGPRBlocks: 0
; VGPRBlocks: 3
; NumSGPRsForWavesPerEU: 41
; NumVGPRsForWavesPerEU: 56
; NamedBarCnt: 0
; Occupancy: 16
; WaveLimiterHint : 1
; COMPUTE_PGM_RSRC2:SCRATCH_EN: 0
; COMPUTE_PGM_RSRC2:USER_SGPR: 2
; COMPUTE_PGM_RSRC2:TRAP_HANDLER: 0
; COMPUTE_PGM_RSRC2:TGID_X_EN: 1
; COMPUTE_PGM_RSRC2:TGID_Y_EN: 1
; COMPUTE_PGM_RSRC2:TGID_Z_EN: 1
; COMPUTE_PGM_RSRC2:TIDIG_COMP_CNT: 2
	.section	.text._ZN7rocprim17ROCPRIM_400000_NS6detail17trampoline_kernelINS0_14default_configENS1_37merge_sort_block_sort_config_selectorIlNS0_10empty_typeEEEZNS1_21merge_sort_block_sortIS3_PlS8_PS5_S9_ZN2at6native12_GLOBAL__N_124unique_dim_cuda_templateIiEESt5tupleIJNSA_6TensorESF_SF_EERKSF_lbbbEUlllE_EE10hipError_tT0_T1_T2_T3_mRjT4_P12ihipStream_tbNS1_7vsmem_tEEUlT_E_NS1_11comp_targetILNS1_3genE5ELNS1_11target_archE942ELNS1_3gpuE9ELNS1_3repE0EEENS1_30default_config_static_selectorELNS0_4arch9wavefront6targetE0EEEvSM_,"axG",@progbits,_ZN7rocprim17ROCPRIM_400000_NS6detail17trampoline_kernelINS0_14default_configENS1_37merge_sort_block_sort_config_selectorIlNS0_10empty_typeEEEZNS1_21merge_sort_block_sortIS3_PlS8_PS5_S9_ZN2at6native12_GLOBAL__N_124unique_dim_cuda_templateIiEESt5tupleIJNSA_6TensorESF_SF_EERKSF_lbbbEUlllE_EE10hipError_tT0_T1_T2_T3_mRjT4_P12ihipStream_tbNS1_7vsmem_tEEUlT_E_NS1_11comp_targetILNS1_3genE5ELNS1_11target_archE942ELNS1_3gpuE9ELNS1_3repE0EEENS1_30default_config_static_selectorELNS0_4arch9wavefront6targetE0EEEvSM_,comdat
	.globl	_ZN7rocprim17ROCPRIM_400000_NS6detail17trampoline_kernelINS0_14default_configENS1_37merge_sort_block_sort_config_selectorIlNS0_10empty_typeEEEZNS1_21merge_sort_block_sortIS3_PlS8_PS5_S9_ZN2at6native12_GLOBAL__N_124unique_dim_cuda_templateIiEESt5tupleIJNSA_6TensorESF_SF_EERKSF_lbbbEUlllE_EE10hipError_tT0_T1_T2_T3_mRjT4_P12ihipStream_tbNS1_7vsmem_tEEUlT_E_NS1_11comp_targetILNS1_3genE5ELNS1_11target_archE942ELNS1_3gpuE9ELNS1_3repE0EEENS1_30default_config_static_selectorELNS0_4arch9wavefront6targetE0EEEvSM_ ; -- Begin function _ZN7rocprim17ROCPRIM_400000_NS6detail17trampoline_kernelINS0_14default_configENS1_37merge_sort_block_sort_config_selectorIlNS0_10empty_typeEEEZNS1_21merge_sort_block_sortIS3_PlS8_PS5_S9_ZN2at6native12_GLOBAL__N_124unique_dim_cuda_templateIiEESt5tupleIJNSA_6TensorESF_SF_EERKSF_lbbbEUlllE_EE10hipError_tT0_T1_T2_T3_mRjT4_P12ihipStream_tbNS1_7vsmem_tEEUlT_E_NS1_11comp_targetILNS1_3genE5ELNS1_11target_archE942ELNS1_3gpuE9ELNS1_3repE0EEENS1_30default_config_static_selectorELNS0_4arch9wavefront6targetE0EEEvSM_
	.p2align	8
	.type	_ZN7rocprim17ROCPRIM_400000_NS6detail17trampoline_kernelINS0_14default_configENS1_37merge_sort_block_sort_config_selectorIlNS0_10empty_typeEEEZNS1_21merge_sort_block_sortIS3_PlS8_PS5_S9_ZN2at6native12_GLOBAL__N_124unique_dim_cuda_templateIiEESt5tupleIJNSA_6TensorESF_SF_EERKSF_lbbbEUlllE_EE10hipError_tT0_T1_T2_T3_mRjT4_P12ihipStream_tbNS1_7vsmem_tEEUlT_E_NS1_11comp_targetILNS1_3genE5ELNS1_11target_archE942ELNS1_3gpuE9ELNS1_3repE0EEENS1_30default_config_static_selectorELNS0_4arch9wavefront6targetE0EEEvSM_,@function
_ZN7rocprim17ROCPRIM_400000_NS6detail17trampoline_kernelINS0_14default_configENS1_37merge_sort_block_sort_config_selectorIlNS0_10empty_typeEEEZNS1_21merge_sort_block_sortIS3_PlS8_PS5_S9_ZN2at6native12_GLOBAL__N_124unique_dim_cuda_templateIiEESt5tupleIJNSA_6TensorESF_SF_EERKSF_lbbbEUlllE_EE10hipError_tT0_T1_T2_T3_mRjT4_P12ihipStream_tbNS1_7vsmem_tEEUlT_E_NS1_11comp_targetILNS1_3genE5ELNS1_11target_archE942ELNS1_3gpuE9ELNS1_3repE0EEENS1_30default_config_static_selectorELNS0_4arch9wavefront6targetE0EEEvSM_: ; @_ZN7rocprim17ROCPRIM_400000_NS6detail17trampoline_kernelINS0_14default_configENS1_37merge_sort_block_sort_config_selectorIlNS0_10empty_typeEEEZNS1_21merge_sort_block_sortIS3_PlS8_PS5_S9_ZN2at6native12_GLOBAL__N_124unique_dim_cuda_templateIiEESt5tupleIJNSA_6TensorESF_SF_EERKSF_lbbbEUlllE_EE10hipError_tT0_T1_T2_T3_mRjT4_P12ihipStream_tbNS1_7vsmem_tEEUlT_E_NS1_11comp_targetILNS1_3genE5ELNS1_11target_archE942ELNS1_3gpuE9ELNS1_3repE0EEENS1_30default_config_static_selectorELNS0_4arch9wavefront6targetE0EEEvSM_
; %bb.0:
	.section	.rodata,"a",@progbits
	.p2align	6, 0x0
	.amdhsa_kernel _ZN7rocprim17ROCPRIM_400000_NS6detail17trampoline_kernelINS0_14default_configENS1_37merge_sort_block_sort_config_selectorIlNS0_10empty_typeEEEZNS1_21merge_sort_block_sortIS3_PlS8_PS5_S9_ZN2at6native12_GLOBAL__N_124unique_dim_cuda_templateIiEESt5tupleIJNSA_6TensorESF_SF_EERKSF_lbbbEUlllE_EE10hipError_tT0_T1_T2_T3_mRjT4_P12ihipStream_tbNS1_7vsmem_tEEUlT_E_NS1_11comp_targetILNS1_3genE5ELNS1_11target_archE942ELNS1_3gpuE9ELNS1_3repE0EEENS1_30default_config_static_selectorELNS0_4arch9wavefront6targetE0EEEvSM_
		.amdhsa_group_segment_fixed_size 0
		.amdhsa_private_segment_fixed_size 0
		.amdhsa_kernarg_size 72
		.amdhsa_user_sgpr_count 2
		.amdhsa_user_sgpr_dispatch_ptr 0
		.amdhsa_user_sgpr_queue_ptr 0
		.amdhsa_user_sgpr_kernarg_segment_ptr 1
		.amdhsa_user_sgpr_dispatch_id 0
		.amdhsa_user_sgpr_kernarg_preload_length 0
		.amdhsa_user_sgpr_kernarg_preload_offset 0
		.amdhsa_user_sgpr_private_segment_size 0
		.amdhsa_wavefront_size32 1
		.amdhsa_uses_dynamic_stack 0
		.amdhsa_enable_private_segment 0
		.amdhsa_system_sgpr_workgroup_id_x 1
		.amdhsa_system_sgpr_workgroup_id_y 0
		.amdhsa_system_sgpr_workgroup_id_z 0
		.amdhsa_system_sgpr_workgroup_info 0
		.amdhsa_system_vgpr_workitem_id 0
		.amdhsa_next_free_vgpr 1
		.amdhsa_next_free_sgpr 1
		.amdhsa_named_barrier_count 0
		.amdhsa_reserve_vcc 0
		.amdhsa_float_round_mode_32 0
		.amdhsa_float_round_mode_16_64 0
		.amdhsa_float_denorm_mode_32 3
		.amdhsa_float_denorm_mode_16_64 3
		.amdhsa_fp16_overflow 0
		.amdhsa_memory_ordered 1
		.amdhsa_forward_progress 1
		.amdhsa_inst_pref_size 0
		.amdhsa_round_robin_scheduling 0
		.amdhsa_exception_fp_ieee_invalid_op 0
		.amdhsa_exception_fp_denorm_src 0
		.amdhsa_exception_fp_ieee_div_zero 0
		.amdhsa_exception_fp_ieee_overflow 0
		.amdhsa_exception_fp_ieee_underflow 0
		.amdhsa_exception_fp_ieee_inexact 0
		.amdhsa_exception_int_div_zero 0
	.end_amdhsa_kernel
	.section	.text._ZN7rocprim17ROCPRIM_400000_NS6detail17trampoline_kernelINS0_14default_configENS1_37merge_sort_block_sort_config_selectorIlNS0_10empty_typeEEEZNS1_21merge_sort_block_sortIS3_PlS8_PS5_S9_ZN2at6native12_GLOBAL__N_124unique_dim_cuda_templateIiEESt5tupleIJNSA_6TensorESF_SF_EERKSF_lbbbEUlllE_EE10hipError_tT0_T1_T2_T3_mRjT4_P12ihipStream_tbNS1_7vsmem_tEEUlT_E_NS1_11comp_targetILNS1_3genE5ELNS1_11target_archE942ELNS1_3gpuE9ELNS1_3repE0EEENS1_30default_config_static_selectorELNS0_4arch9wavefront6targetE0EEEvSM_,"axG",@progbits,_ZN7rocprim17ROCPRIM_400000_NS6detail17trampoline_kernelINS0_14default_configENS1_37merge_sort_block_sort_config_selectorIlNS0_10empty_typeEEEZNS1_21merge_sort_block_sortIS3_PlS8_PS5_S9_ZN2at6native12_GLOBAL__N_124unique_dim_cuda_templateIiEESt5tupleIJNSA_6TensorESF_SF_EERKSF_lbbbEUlllE_EE10hipError_tT0_T1_T2_T3_mRjT4_P12ihipStream_tbNS1_7vsmem_tEEUlT_E_NS1_11comp_targetILNS1_3genE5ELNS1_11target_archE942ELNS1_3gpuE9ELNS1_3repE0EEENS1_30default_config_static_selectorELNS0_4arch9wavefront6targetE0EEEvSM_,comdat
.Lfunc_end384:
	.size	_ZN7rocprim17ROCPRIM_400000_NS6detail17trampoline_kernelINS0_14default_configENS1_37merge_sort_block_sort_config_selectorIlNS0_10empty_typeEEEZNS1_21merge_sort_block_sortIS3_PlS8_PS5_S9_ZN2at6native12_GLOBAL__N_124unique_dim_cuda_templateIiEESt5tupleIJNSA_6TensorESF_SF_EERKSF_lbbbEUlllE_EE10hipError_tT0_T1_T2_T3_mRjT4_P12ihipStream_tbNS1_7vsmem_tEEUlT_E_NS1_11comp_targetILNS1_3genE5ELNS1_11target_archE942ELNS1_3gpuE9ELNS1_3repE0EEENS1_30default_config_static_selectorELNS0_4arch9wavefront6targetE0EEEvSM_, .Lfunc_end384-_ZN7rocprim17ROCPRIM_400000_NS6detail17trampoline_kernelINS0_14default_configENS1_37merge_sort_block_sort_config_selectorIlNS0_10empty_typeEEEZNS1_21merge_sort_block_sortIS3_PlS8_PS5_S9_ZN2at6native12_GLOBAL__N_124unique_dim_cuda_templateIiEESt5tupleIJNSA_6TensorESF_SF_EERKSF_lbbbEUlllE_EE10hipError_tT0_T1_T2_T3_mRjT4_P12ihipStream_tbNS1_7vsmem_tEEUlT_E_NS1_11comp_targetILNS1_3genE5ELNS1_11target_archE942ELNS1_3gpuE9ELNS1_3repE0EEENS1_30default_config_static_selectorELNS0_4arch9wavefront6targetE0EEEvSM_
                                        ; -- End function
	.set _ZN7rocprim17ROCPRIM_400000_NS6detail17trampoline_kernelINS0_14default_configENS1_37merge_sort_block_sort_config_selectorIlNS0_10empty_typeEEEZNS1_21merge_sort_block_sortIS3_PlS8_PS5_S9_ZN2at6native12_GLOBAL__N_124unique_dim_cuda_templateIiEESt5tupleIJNSA_6TensorESF_SF_EERKSF_lbbbEUlllE_EE10hipError_tT0_T1_T2_T3_mRjT4_P12ihipStream_tbNS1_7vsmem_tEEUlT_E_NS1_11comp_targetILNS1_3genE5ELNS1_11target_archE942ELNS1_3gpuE9ELNS1_3repE0EEENS1_30default_config_static_selectorELNS0_4arch9wavefront6targetE0EEEvSM_.num_vgpr, 0
	.set _ZN7rocprim17ROCPRIM_400000_NS6detail17trampoline_kernelINS0_14default_configENS1_37merge_sort_block_sort_config_selectorIlNS0_10empty_typeEEEZNS1_21merge_sort_block_sortIS3_PlS8_PS5_S9_ZN2at6native12_GLOBAL__N_124unique_dim_cuda_templateIiEESt5tupleIJNSA_6TensorESF_SF_EERKSF_lbbbEUlllE_EE10hipError_tT0_T1_T2_T3_mRjT4_P12ihipStream_tbNS1_7vsmem_tEEUlT_E_NS1_11comp_targetILNS1_3genE5ELNS1_11target_archE942ELNS1_3gpuE9ELNS1_3repE0EEENS1_30default_config_static_selectorELNS0_4arch9wavefront6targetE0EEEvSM_.num_agpr, 0
	.set _ZN7rocprim17ROCPRIM_400000_NS6detail17trampoline_kernelINS0_14default_configENS1_37merge_sort_block_sort_config_selectorIlNS0_10empty_typeEEEZNS1_21merge_sort_block_sortIS3_PlS8_PS5_S9_ZN2at6native12_GLOBAL__N_124unique_dim_cuda_templateIiEESt5tupleIJNSA_6TensorESF_SF_EERKSF_lbbbEUlllE_EE10hipError_tT0_T1_T2_T3_mRjT4_P12ihipStream_tbNS1_7vsmem_tEEUlT_E_NS1_11comp_targetILNS1_3genE5ELNS1_11target_archE942ELNS1_3gpuE9ELNS1_3repE0EEENS1_30default_config_static_selectorELNS0_4arch9wavefront6targetE0EEEvSM_.numbered_sgpr, 0
	.set _ZN7rocprim17ROCPRIM_400000_NS6detail17trampoline_kernelINS0_14default_configENS1_37merge_sort_block_sort_config_selectorIlNS0_10empty_typeEEEZNS1_21merge_sort_block_sortIS3_PlS8_PS5_S9_ZN2at6native12_GLOBAL__N_124unique_dim_cuda_templateIiEESt5tupleIJNSA_6TensorESF_SF_EERKSF_lbbbEUlllE_EE10hipError_tT0_T1_T2_T3_mRjT4_P12ihipStream_tbNS1_7vsmem_tEEUlT_E_NS1_11comp_targetILNS1_3genE5ELNS1_11target_archE942ELNS1_3gpuE9ELNS1_3repE0EEENS1_30default_config_static_selectorELNS0_4arch9wavefront6targetE0EEEvSM_.num_named_barrier, 0
	.set _ZN7rocprim17ROCPRIM_400000_NS6detail17trampoline_kernelINS0_14default_configENS1_37merge_sort_block_sort_config_selectorIlNS0_10empty_typeEEEZNS1_21merge_sort_block_sortIS3_PlS8_PS5_S9_ZN2at6native12_GLOBAL__N_124unique_dim_cuda_templateIiEESt5tupleIJNSA_6TensorESF_SF_EERKSF_lbbbEUlllE_EE10hipError_tT0_T1_T2_T3_mRjT4_P12ihipStream_tbNS1_7vsmem_tEEUlT_E_NS1_11comp_targetILNS1_3genE5ELNS1_11target_archE942ELNS1_3gpuE9ELNS1_3repE0EEENS1_30default_config_static_selectorELNS0_4arch9wavefront6targetE0EEEvSM_.private_seg_size, 0
	.set _ZN7rocprim17ROCPRIM_400000_NS6detail17trampoline_kernelINS0_14default_configENS1_37merge_sort_block_sort_config_selectorIlNS0_10empty_typeEEEZNS1_21merge_sort_block_sortIS3_PlS8_PS5_S9_ZN2at6native12_GLOBAL__N_124unique_dim_cuda_templateIiEESt5tupleIJNSA_6TensorESF_SF_EERKSF_lbbbEUlllE_EE10hipError_tT0_T1_T2_T3_mRjT4_P12ihipStream_tbNS1_7vsmem_tEEUlT_E_NS1_11comp_targetILNS1_3genE5ELNS1_11target_archE942ELNS1_3gpuE9ELNS1_3repE0EEENS1_30default_config_static_selectorELNS0_4arch9wavefront6targetE0EEEvSM_.uses_vcc, 0
	.set _ZN7rocprim17ROCPRIM_400000_NS6detail17trampoline_kernelINS0_14default_configENS1_37merge_sort_block_sort_config_selectorIlNS0_10empty_typeEEEZNS1_21merge_sort_block_sortIS3_PlS8_PS5_S9_ZN2at6native12_GLOBAL__N_124unique_dim_cuda_templateIiEESt5tupleIJNSA_6TensorESF_SF_EERKSF_lbbbEUlllE_EE10hipError_tT0_T1_T2_T3_mRjT4_P12ihipStream_tbNS1_7vsmem_tEEUlT_E_NS1_11comp_targetILNS1_3genE5ELNS1_11target_archE942ELNS1_3gpuE9ELNS1_3repE0EEENS1_30default_config_static_selectorELNS0_4arch9wavefront6targetE0EEEvSM_.uses_flat_scratch, 0
	.set _ZN7rocprim17ROCPRIM_400000_NS6detail17trampoline_kernelINS0_14default_configENS1_37merge_sort_block_sort_config_selectorIlNS0_10empty_typeEEEZNS1_21merge_sort_block_sortIS3_PlS8_PS5_S9_ZN2at6native12_GLOBAL__N_124unique_dim_cuda_templateIiEESt5tupleIJNSA_6TensorESF_SF_EERKSF_lbbbEUlllE_EE10hipError_tT0_T1_T2_T3_mRjT4_P12ihipStream_tbNS1_7vsmem_tEEUlT_E_NS1_11comp_targetILNS1_3genE5ELNS1_11target_archE942ELNS1_3gpuE9ELNS1_3repE0EEENS1_30default_config_static_selectorELNS0_4arch9wavefront6targetE0EEEvSM_.has_dyn_sized_stack, 0
	.set _ZN7rocprim17ROCPRIM_400000_NS6detail17trampoline_kernelINS0_14default_configENS1_37merge_sort_block_sort_config_selectorIlNS0_10empty_typeEEEZNS1_21merge_sort_block_sortIS3_PlS8_PS5_S9_ZN2at6native12_GLOBAL__N_124unique_dim_cuda_templateIiEESt5tupleIJNSA_6TensorESF_SF_EERKSF_lbbbEUlllE_EE10hipError_tT0_T1_T2_T3_mRjT4_P12ihipStream_tbNS1_7vsmem_tEEUlT_E_NS1_11comp_targetILNS1_3genE5ELNS1_11target_archE942ELNS1_3gpuE9ELNS1_3repE0EEENS1_30default_config_static_selectorELNS0_4arch9wavefront6targetE0EEEvSM_.has_recursion, 0
	.set _ZN7rocprim17ROCPRIM_400000_NS6detail17trampoline_kernelINS0_14default_configENS1_37merge_sort_block_sort_config_selectorIlNS0_10empty_typeEEEZNS1_21merge_sort_block_sortIS3_PlS8_PS5_S9_ZN2at6native12_GLOBAL__N_124unique_dim_cuda_templateIiEESt5tupleIJNSA_6TensorESF_SF_EERKSF_lbbbEUlllE_EE10hipError_tT0_T1_T2_T3_mRjT4_P12ihipStream_tbNS1_7vsmem_tEEUlT_E_NS1_11comp_targetILNS1_3genE5ELNS1_11target_archE942ELNS1_3gpuE9ELNS1_3repE0EEENS1_30default_config_static_selectorELNS0_4arch9wavefront6targetE0EEEvSM_.has_indirect_call, 0
	.section	.AMDGPU.csdata,"",@progbits
; Kernel info:
; codeLenInByte = 0
; TotalNumSgprs: 0
; NumVgprs: 0
; ScratchSize: 0
; MemoryBound: 0
; FloatMode: 240
; IeeeMode: 1
; LDSByteSize: 0 bytes/workgroup (compile time only)
; SGPRBlocks: 0
; VGPRBlocks: 0
; NumSGPRsForWavesPerEU: 1
; NumVGPRsForWavesPerEU: 1
; NamedBarCnt: 0
; Occupancy: 16
; WaveLimiterHint : 0
; COMPUTE_PGM_RSRC2:SCRATCH_EN: 0
; COMPUTE_PGM_RSRC2:USER_SGPR: 2
; COMPUTE_PGM_RSRC2:TRAP_HANDLER: 0
; COMPUTE_PGM_RSRC2:TGID_X_EN: 1
; COMPUTE_PGM_RSRC2:TGID_Y_EN: 0
; COMPUTE_PGM_RSRC2:TGID_Z_EN: 0
; COMPUTE_PGM_RSRC2:TIDIG_COMP_CNT: 0
	.section	.text._ZN7rocprim17ROCPRIM_400000_NS6detail17trampoline_kernelINS0_14default_configENS1_37merge_sort_block_sort_config_selectorIlNS0_10empty_typeEEEZNS1_21merge_sort_block_sortIS3_PlS8_PS5_S9_ZN2at6native12_GLOBAL__N_124unique_dim_cuda_templateIiEESt5tupleIJNSA_6TensorESF_SF_EERKSF_lbbbEUlllE_EE10hipError_tT0_T1_T2_T3_mRjT4_P12ihipStream_tbNS1_7vsmem_tEEUlT_E_NS1_11comp_targetILNS1_3genE4ELNS1_11target_archE910ELNS1_3gpuE8ELNS1_3repE0EEENS1_30default_config_static_selectorELNS0_4arch9wavefront6targetE0EEEvSM_,"axG",@progbits,_ZN7rocprim17ROCPRIM_400000_NS6detail17trampoline_kernelINS0_14default_configENS1_37merge_sort_block_sort_config_selectorIlNS0_10empty_typeEEEZNS1_21merge_sort_block_sortIS3_PlS8_PS5_S9_ZN2at6native12_GLOBAL__N_124unique_dim_cuda_templateIiEESt5tupleIJNSA_6TensorESF_SF_EERKSF_lbbbEUlllE_EE10hipError_tT0_T1_T2_T3_mRjT4_P12ihipStream_tbNS1_7vsmem_tEEUlT_E_NS1_11comp_targetILNS1_3genE4ELNS1_11target_archE910ELNS1_3gpuE8ELNS1_3repE0EEENS1_30default_config_static_selectorELNS0_4arch9wavefront6targetE0EEEvSM_,comdat
	.globl	_ZN7rocprim17ROCPRIM_400000_NS6detail17trampoline_kernelINS0_14default_configENS1_37merge_sort_block_sort_config_selectorIlNS0_10empty_typeEEEZNS1_21merge_sort_block_sortIS3_PlS8_PS5_S9_ZN2at6native12_GLOBAL__N_124unique_dim_cuda_templateIiEESt5tupleIJNSA_6TensorESF_SF_EERKSF_lbbbEUlllE_EE10hipError_tT0_T1_T2_T3_mRjT4_P12ihipStream_tbNS1_7vsmem_tEEUlT_E_NS1_11comp_targetILNS1_3genE4ELNS1_11target_archE910ELNS1_3gpuE8ELNS1_3repE0EEENS1_30default_config_static_selectorELNS0_4arch9wavefront6targetE0EEEvSM_ ; -- Begin function _ZN7rocprim17ROCPRIM_400000_NS6detail17trampoline_kernelINS0_14default_configENS1_37merge_sort_block_sort_config_selectorIlNS0_10empty_typeEEEZNS1_21merge_sort_block_sortIS3_PlS8_PS5_S9_ZN2at6native12_GLOBAL__N_124unique_dim_cuda_templateIiEESt5tupleIJNSA_6TensorESF_SF_EERKSF_lbbbEUlllE_EE10hipError_tT0_T1_T2_T3_mRjT4_P12ihipStream_tbNS1_7vsmem_tEEUlT_E_NS1_11comp_targetILNS1_3genE4ELNS1_11target_archE910ELNS1_3gpuE8ELNS1_3repE0EEENS1_30default_config_static_selectorELNS0_4arch9wavefront6targetE0EEEvSM_
	.p2align	8
	.type	_ZN7rocprim17ROCPRIM_400000_NS6detail17trampoline_kernelINS0_14default_configENS1_37merge_sort_block_sort_config_selectorIlNS0_10empty_typeEEEZNS1_21merge_sort_block_sortIS3_PlS8_PS5_S9_ZN2at6native12_GLOBAL__N_124unique_dim_cuda_templateIiEESt5tupleIJNSA_6TensorESF_SF_EERKSF_lbbbEUlllE_EE10hipError_tT0_T1_T2_T3_mRjT4_P12ihipStream_tbNS1_7vsmem_tEEUlT_E_NS1_11comp_targetILNS1_3genE4ELNS1_11target_archE910ELNS1_3gpuE8ELNS1_3repE0EEENS1_30default_config_static_selectorELNS0_4arch9wavefront6targetE0EEEvSM_,@function
_ZN7rocprim17ROCPRIM_400000_NS6detail17trampoline_kernelINS0_14default_configENS1_37merge_sort_block_sort_config_selectorIlNS0_10empty_typeEEEZNS1_21merge_sort_block_sortIS3_PlS8_PS5_S9_ZN2at6native12_GLOBAL__N_124unique_dim_cuda_templateIiEESt5tupleIJNSA_6TensorESF_SF_EERKSF_lbbbEUlllE_EE10hipError_tT0_T1_T2_T3_mRjT4_P12ihipStream_tbNS1_7vsmem_tEEUlT_E_NS1_11comp_targetILNS1_3genE4ELNS1_11target_archE910ELNS1_3gpuE8ELNS1_3repE0EEENS1_30default_config_static_selectorELNS0_4arch9wavefront6targetE0EEEvSM_: ; @_ZN7rocprim17ROCPRIM_400000_NS6detail17trampoline_kernelINS0_14default_configENS1_37merge_sort_block_sort_config_selectorIlNS0_10empty_typeEEEZNS1_21merge_sort_block_sortIS3_PlS8_PS5_S9_ZN2at6native12_GLOBAL__N_124unique_dim_cuda_templateIiEESt5tupleIJNSA_6TensorESF_SF_EERKSF_lbbbEUlllE_EE10hipError_tT0_T1_T2_T3_mRjT4_P12ihipStream_tbNS1_7vsmem_tEEUlT_E_NS1_11comp_targetILNS1_3genE4ELNS1_11target_archE910ELNS1_3gpuE8ELNS1_3repE0EEENS1_30default_config_static_selectorELNS0_4arch9wavefront6targetE0EEEvSM_
; %bb.0:
	.section	.rodata,"a",@progbits
	.p2align	6, 0x0
	.amdhsa_kernel _ZN7rocprim17ROCPRIM_400000_NS6detail17trampoline_kernelINS0_14default_configENS1_37merge_sort_block_sort_config_selectorIlNS0_10empty_typeEEEZNS1_21merge_sort_block_sortIS3_PlS8_PS5_S9_ZN2at6native12_GLOBAL__N_124unique_dim_cuda_templateIiEESt5tupleIJNSA_6TensorESF_SF_EERKSF_lbbbEUlllE_EE10hipError_tT0_T1_T2_T3_mRjT4_P12ihipStream_tbNS1_7vsmem_tEEUlT_E_NS1_11comp_targetILNS1_3genE4ELNS1_11target_archE910ELNS1_3gpuE8ELNS1_3repE0EEENS1_30default_config_static_selectorELNS0_4arch9wavefront6targetE0EEEvSM_
		.amdhsa_group_segment_fixed_size 0
		.amdhsa_private_segment_fixed_size 0
		.amdhsa_kernarg_size 72
		.amdhsa_user_sgpr_count 2
		.amdhsa_user_sgpr_dispatch_ptr 0
		.amdhsa_user_sgpr_queue_ptr 0
		.amdhsa_user_sgpr_kernarg_segment_ptr 1
		.amdhsa_user_sgpr_dispatch_id 0
		.amdhsa_user_sgpr_kernarg_preload_length 0
		.amdhsa_user_sgpr_kernarg_preload_offset 0
		.amdhsa_user_sgpr_private_segment_size 0
		.amdhsa_wavefront_size32 1
		.amdhsa_uses_dynamic_stack 0
		.amdhsa_enable_private_segment 0
		.amdhsa_system_sgpr_workgroup_id_x 1
		.amdhsa_system_sgpr_workgroup_id_y 0
		.amdhsa_system_sgpr_workgroup_id_z 0
		.amdhsa_system_sgpr_workgroup_info 0
		.amdhsa_system_vgpr_workitem_id 0
		.amdhsa_next_free_vgpr 1
		.amdhsa_next_free_sgpr 1
		.amdhsa_named_barrier_count 0
		.amdhsa_reserve_vcc 0
		.amdhsa_float_round_mode_32 0
		.amdhsa_float_round_mode_16_64 0
		.amdhsa_float_denorm_mode_32 3
		.amdhsa_float_denorm_mode_16_64 3
		.amdhsa_fp16_overflow 0
		.amdhsa_memory_ordered 1
		.amdhsa_forward_progress 1
		.amdhsa_inst_pref_size 0
		.amdhsa_round_robin_scheduling 0
		.amdhsa_exception_fp_ieee_invalid_op 0
		.amdhsa_exception_fp_denorm_src 0
		.amdhsa_exception_fp_ieee_div_zero 0
		.amdhsa_exception_fp_ieee_overflow 0
		.amdhsa_exception_fp_ieee_underflow 0
		.amdhsa_exception_fp_ieee_inexact 0
		.amdhsa_exception_int_div_zero 0
	.end_amdhsa_kernel
	.section	.text._ZN7rocprim17ROCPRIM_400000_NS6detail17trampoline_kernelINS0_14default_configENS1_37merge_sort_block_sort_config_selectorIlNS0_10empty_typeEEEZNS1_21merge_sort_block_sortIS3_PlS8_PS5_S9_ZN2at6native12_GLOBAL__N_124unique_dim_cuda_templateIiEESt5tupleIJNSA_6TensorESF_SF_EERKSF_lbbbEUlllE_EE10hipError_tT0_T1_T2_T3_mRjT4_P12ihipStream_tbNS1_7vsmem_tEEUlT_E_NS1_11comp_targetILNS1_3genE4ELNS1_11target_archE910ELNS1_3gpuE8ELNS1_3repE0EEENS1_30default_config_static_selectorELNS0_4arch9wavefront6targetE0EEEvSM_,"axG",@progbits,_ZN7rocprim17ROCPRIM_400000_NS6detail17trampoline_kernelINS0_14default_configENS1_37merge_sort_block_sort_config_selectorIlNS0_10empty_typeEEEZNS1_21merge_sort_block_sortIS3_PlS8_PS5_S9_ZN2at6native12_GLOBAL__N_124unique_dim_cuda_templateIiEESt5tupleIJNSA_6TensorESF_SF_EERKSF_lbbbEUlllE_EE10hipError_tT0_T1_T2_T3_mRjT4_P12ihipStream_tbNS1_7vsmem_tEEUlT_E_NS1_11comp_targetILNS1_3genE4ELNS1_11target_archE910ELNS1_3gpuE8ELNS1_3repE0EEENS1_30default_config_static_selectorELNS0_4arch9wavefront6targetE0EEEvSM_,comdat
.Lfunc_end385:
	.size	_ZN7rocprim17ROCPRIM_400000_NS6detail17trampoline_kernelINS0_14default_configENS1_37merge_sort_block_sort_config_selectorIlNS0_10empty_typeEEEZNS1_21merge_sort_block_sortIS3_PlS8_PS5_S9_ZN2at6native12_GLOBAL__N_124unique_dim_cuda_templateIiEESt5tupleIJNSA_6TensorESF_SF_EERKSF_lbbbEUlllE_EE10hipError_tT0_T1_T2_T3_mRjT4_P12ihipStream_tbNS1_7vsmem_tEEUlT_E_NS1_11comp_targetILNS1_3genE4ELNS1_11target_archE910ELNS1_3gpuE8ELNS1_3repE0EEENS1_30default_config_static_selectorELNS0_4arch9wavefront6targetE0EEEvSM_, .Lfunc_end385-_ZN7rocprim17ROCPRIM_400000_NS6detail17trampoline_kernelINS0_14default_configENS1_37merge_sort_block_sort_config_selectorIlNS0_10empty_typeEEEZNS1_21merge_sort_block_sortIS3_PlS8_PS5_S9_ZN2at6native12_GLOBAL__N_124unique_dim_cuda_templateIiEESt5tupleIJNSA_6TensorESF_SF_EERKSF_lbbbEUlllE_EE10hipError_tT0_T1_T2_T3_mRjT4_P12ihipStream_tbNS1_7vsmem_tEEUlT_E_NS1_11comp_targetILNS1_3genE4ELNS1_11target_archE910ELNS1_3gpuE8ELNS1_3repE0EEENS1_30default_config_static_selectorELNS0_4arch9wavefront6targetE0EEEvSM_
                                        ; -- End function
	.set _ZN7rocprim17ROCPRIM_400000_NS6detail17trampoline_kernelINS0_14default_configENS1_37merge_sort_block_sort_config_selectorIlNS0_10empty_typeEEEZNS1_21merge_sort_block_sortIS3_PlS8_PS5_S9_ZN2at6native12_GLOBAL__N_124unique_dim_cuda_templateIiEESt5tupleIJNSA_6TensorESF_SF_EERKSF_lbbbEUlllE_EE10hipError_tT0_T1_T2_T3_mRjT4_P12ihipStream_tbNS1_7vsmem_tEEUlT_E_NS1_11comp_targetILNS1_3genE4ELNS1_11target_archE910ELNS1_3gpuE8ELNS1_3repE0EEENS1_30default_config_static_selectorELNS0_4arch9wavefront6targetE0EEEvSM_.num_vgpr, 0
	.set _ZN7rocprim17ROCPRIM_400000_NS6detail17trampoline_kernelINS0_14default_configENS1_37merge_sort_block_sort_config_selectorIlNS0_10empty_typeEEEZNS1_21merge_sort_block_sortIS3_PlS8_PS5_S9_ZN2at6native12_GLOBAL__N_124unique_dim_cuda_templateIiEESt5tupleIJNSA_6TensorESF_SF_EERKSF_lbbbEUlllE_EE10hipError_tT0_T1_T2_T3_mRjT4_P12ihipStream_tbNS1_7vsmem_tEEUlT_E_NS1_11comp_targetILNS1_3genE4ELNS1_11target_archE910ELNS1_3gpuE8ELNS1_3repE0EEENS1_30default_config_static_selectorELNS0_4arch9wavefront6targetE0EEEvSM_.num_agpr, 0
	.set _ZN7rocprim17ROCPRIM_400000_NS6detail17trampoline_kernelINS0_14default_configENS1_37merge_sort_block_sort_config_selectorIlNS0_10empty_typeEEEZNS1_21merge_sort_block_sortIS3_PlS8_PS5_S9_ZN2at6native12_GLOBAL__N_124unique_dim_cuda_templateIiEESt5tupleIJNSA_6TensorESF_SF_EERKSF_lbbbEUlllE_EE10hipError_tT0_T1_T2_T3_mRjT4_P12ihipStream_tbNS1_7vsmem_tEEUlT_E_NS1_11comp_targetILNS1_3genE4ELNS1_11target_archE910ELNS1_3gpuE8ELNS1_3repE0EEENS1_30default_config_static_selectorELNS0_4arch9wavefront6targetE0EEEvSM_.numbered_sgpr, 0
	.set _ZN7rocprim17ROCPRIM_400000_NS6detail17trampoline_kernelINS0_14default_configENS1_37merge_sort_block_sort_config_selectorIlNS0_10empty_typeEEEZNS1_21merge_sort_block_sortIS3_PlS8_PS5_S9_ZN2at6native12_GLOBAL__N_124unique_dim_cuda_templateIiEESt5tupleIJNSA_6TensorESF_SF_EERKSF_lbbbEUlllE_EE10hipError_tT0_T1_T2_T3_mRjT4_P12ihipStream_tbNS1_7vsmem_tEEUlT_E_NS1_11comp_targetILNS1_3genE4ELNS1_11target_archE910ELNS1_3gpuE8ELNS1_3repE0EEENS1_30default_config_static_selectorELNS0_4arch9wavefront6targetE0EEEvSM_.num_named_barrier, 0
	.set _ZN7rocprim17ROCPRIM_400000_NS6detail17trampoline_kernelINS0_14default_configENS1_37merge_sort_block_sort_config_selectorIlNS0_10empty_typeEEEZNS1_21merge_sort_block_sortIS3_PlS8_PS5_S9_ZN2at6native12_GLOBAL__N_124unique_dim_cuda_templateIiEESt5tupleIJNSA_6TensorESF_SF_EERKSF_lbbbEUlllE_EE10hipError_tT0_T1_T2_T3_mRjT4_P12ihipStream_tbNS1_7vsmem_tEEUlT_E_NS1_11comp_targetILNS1_3genE4ELNS1_11target_archE910ELNS1_3gpuE8ELNS1_3repE0EEENS1_30default_config_static_selectorELNS0_4arch9wavefront6targetE0EEEvSM_.private_seg_size, 0
	.set _ZN7rocprim17ROCPRIM_400000_NS6detail17trampoline_kernelINS0_14default_configENS1_37merge_sort_block_sort_config_selectorIlNS0_10empty_typeEEEZNS1_21merge_sort_block_sortIS3_PlS8_PS5_S9_ZN2at6native12_GLOBAL__N_124unique_dim_cuda_templateIiEESt5tupleIJNSA_6TensorESF_SF_EERKSF_lbbbEUlllE_EE10hipError_tT0_T1_T2_T3_mRjT4_P12ihipStream_tbNS1_7vsmem_tEEUlT_E_NS1_11comp_targetILNS1_3genE4ELNS1_11target_archE910ELNS1_3gpuE8ELNS1_3repE0EEENS1_30default_config_static_selectorELNS0_4arch9wavefront6targetE0EEEvSM_.uses_vcc, 0
	.set _ZN7rocprim17ROCPRIM_400000_NS6detail17trampoline_kernelINS0_14default_configENS1_37merge_sort_block_sort_config_selectorIlNS0_10empty_typeEEEZNS1_21merge_sort_block_sortIS3_PlS8_PS5_S9_ZN2at6native12_GLOBAL__N_124unique_dim_cuda_templateIiEESt5tupleIJNSA_6TensorESF_SF_EERKSF_lbbbEUlllE_EE10hipError_tT0_T1_T2_T3_mRjT4_P12ihipStream_tbNS1_7vsmem_tEEUlT_E_NS1_11comp_targetILNS1_3genE4ELNS1_11target_archE910ELNS1_3gpuE8ELNS1_3repE0EEENS1_30default_config_static_selectorELNS0_4arch9wavefront6targetE0EEEvSM_.uses_flat_scratch, 0
	.set _ZN7rocprim17ROCPRIM_400000_NS6detail17trampoline_kernelINS0_14default_configENS1_37merge_sort_block_sort_config_selectorIlNS0_10empty_typeEEEZNS1_21merge_sort_block_sortIS3_PlS8_PS5_S9_ZN2at6native12_GLOBAL__N_124unique_dim_cuda_templateIiEESt5tupleIJNSA_6TensorESF_SF_EERKSF_lbbbEUlllE_EE10hipError_tT0_T1_T2_T3_mRjT4_P12ihipStream_tbNS1_7vsmem_tEEUlT_E_NS1_11comp_targetILNS1_3genE4ELNS1_11target_archE910ELNS1_3gpuE8ELNS1_3repE0EEENS1_30default_config_static_selectorELNS0_4arch9wavefront6targetE0EEEvSM_.has_dyn_sized_stack, 0
	.set _ZN7rocprim17ROCPRIM_400000_NS6detail17trampoline_kernelINS0_14default_configENS1_37merge_sort_block_sort_config_selectorIlNS0_10empty_typeEEEZNS1_21merge_sort_block_sortIS3_PlS8_PS5_S9_ZN2at6native12_GLOBAL__N_124unique_dim_cuda_templateIiEESt5tupleIJNSA_6TensorESF_SF_EERKSF_lbbbEUlllE_EE10hipError_tT0_T1_T2_T3_mRjT4_P12ihipStream_tbNS1_7vsmem_tEEUlT_E_NS1_11comp_targetILNS1_3genE4ELNS1_11target_archE910ELNS1_3gpuE8ELNS1_3repE0EEENS1_30default_config_static_selectorELNS0_4arch9wavefront6targetE0EEEvSM_.has_recursion, 0
	.set _ZN7rocprim17ROCPRIM_400000_NS6detail17trampoline_kernelINS0_14default_configENS1_37merge_sort_block_sort_config_selectorIlNS0_10empty_typeEEEZNS1_21merge_sort_block_sortIS3_PlS8_PS5_S9_ZN2at6native12_GLOBAL__N_124unique_dim_cuda_templateIiEESt5tupleIJNSA_6TensorESF_SF_EERKSF_lbbbEUlllE_EE10hipError_tT0_T1_T2_T3_mRjT4_P12ihipStream_tbNS1_7vsmem_tEEUlT_E_NS1_11comp_targetILNS1_3genE4ELNS1_11target_archE910ELNS1_3gpuE8ELNS1_3repE0EEENS1_30default_config_static_selectorELNS0_4arch9wavefront6targetE0EEEvSM_.has_indirect_call, 0
	.section	.AMDGPU.csdata,"",@progbits
; Kernel info:
; codeLenInByte = 0
; TotalNumSgprs: 0
; NumVgprs: 0
; ScratchSize: 0
; MemoryBound: 0
; FloatMode: 240
; IeeeMode: 1
; LDSByteSize: 0 bytes/workgroup (compile time only)
; SGPRBlocks: 0
; VGPRBlocks: 0
; NumSGPRsForWavesPerEU: 1
; NumVGPRsForWavesPerEU: 1
; NamedBarCnt: 0
; Occupancy: 16
; WaveLimiterHint : 0
; COMPUTE_PGM_RSRC2:SCRATCH_EN: 0
; COMPUTE_PGM_RSRC2:USER_SGPR: 2
; COMPUTE_PGM_RSRC2:TRAP_HANDLER: 0
; COMPUTE_PGM_RSRC2:TGID_X_EN: 1
; COMPUTE_PGM_RSRC2:TGID_Y_EN: 0
; COMPUTE_PGM_RSRC2:TGID_Z_EN: 0
; COMPUTE_PGM_RSRC2:TIDIG_COMP_CNT: 0
	.section	.text._ZN7rocprim17ROCPRIM_400000_NS6detail17trampoline_kernelINS0_14default_configENS1_37merge_sort_block_sort_config_selectorIlNS0_10empty_typeEEEZNS1_21merge_sort_block_sortIS3_PlS8_PS5_S9_ZN2at6native12_GLOBAL__N_124unique_dim_cuda_templateIiEESt5tupleIJNSA_6TensorESF_SF_EERKSF_lbbbEUlllE_EE10hipError_tT0_T1_T2_T3_mRjT4_P12ihipStream_tbNS1_7vsmem_tEEUlT_E_NS1_11comp_targetILNS1_3genE3ELNS1_11target_archE908ELNS1_3gpuE7ELNS1_3repE0EEENS1_30default_config_static_selectorELNS0_4arch9wavefront6targetE0EEEvSM_,"axG",@progbits,_ZN7rocprim17ROCPRIM_400000_NS6detail17trampoline_kernelINS0_14default_configENS1_37merge_sort_block_sort_config_selectorIlNS0_10empty_typeEEEZNS1_21merge_sort_block_sortIS3_PlS8_PS5_S9_ZN2at6native12_GLOBAL__N_124unique_dim_cuda_templateIiEESt5tupleIJNSA_6TensorESF_SF_EERKSF_lbbbEUlllE_EE10hipError_tT0_T1_T2_T3_mRjT4_P12ihipStream_tbNS1_7vsmem_tEEUlT_E_NS1_11comp_targetILNS1_3genE3ELNS1_11target_archE908ELNS1_3gpuE7ELNS1_3repE0EEENS1_30default_config_static_selectorELNS0_4arch9wavefront6targetE0EEEvSM_,comdat
	.globl	_ZN7rocprim17ROCPRIM_400000_NS6detail17trampoline_kernelINS0_14default_configENS1_37merge_sort_block_sort_config_selectorIlNS0_10empty_typeEEEZNS1_21merge_sort_block_sortIS3_PlS8_PS5_S9_ZN2at6native12_GLOBAL__N_124unique_dim_cuda_templateIiEESt5tupleIJNSA_6TensorESF_SF_EERKSF_lbbbEUlllE_EE10hipError_tT0_T1_T2_T3_mRjT4_P12ihipStream_tbNS1_7vsmem_tEEUlT_E_NS1_11comp_targetILNS1_3genE3ELNS1_11target_archE908ELNS1_3gpuE7ELNS1_3repE0EEENS1_30default_config_static_selectorELNS0_4arch9wavefront6targetE0EEEvSM_ ; -- Begin function _ZN7rocprim17ROCPRIM_400000_NS6detail17trampoline_kernelINS0_14default_configENS1_37merge_sort_block_sort_config_selectorIlNS0_10empty_typeEEEZNS1_21merge_sort_block_sortIS3_PlS8_PS5_S9_ZN2at6native12_GLOBAL__N_124unique_dim_cuda_templateIiEESt5tupleIJNSA_6TensorESF_SF_EERKSF_lbbbEUlllE_EE10hipError_tT0_T1_T2_T3_mRjT4_P12ihipStream_tbNS1_7vsmem_tEEUlT_E_NS1_11comp_targetILNS1_3genE3ELNS1_11target_archE908ELNS1_3gpuE7ELNS1_3repE0EEENS1_30default_config_static_selectorELNS0_4arch9wavefront6targetE0EEEvSM_
	.p2align	8
	.type	_ZN7rocprim17ROCPRIM_400000_NS6detail17trampoline_kernelINS0_14default_configENS1_37merge_sort_block_sort_config_selectorIlNS0_10empty_typeEEEZNS1_21merge_sort_block_sortIS3_PlS8_PS5_S9_ZN2at6native12_GLOBAL__N_124unique_dim_cuda_templateIiEESt5tupleIJNSA_6TensorESF_SF_EERKSF_lbbbEUlllE_EE10hipError_tT0_T1_T2_T3_mRjT4_P12ihipStream_tbNS1_7vsmem_tEEUlT_E_NS1_11comp_targetILNS1_3genE3ELNS1_11target_archE908ELNS1_3gpuE7ELNS1_3repE0EEENS1_30default_config_static_selectorELNS0_4arch9wavefront6targetE0EEEvSM_,@function
_ZN7rocprim17ROCPRIM_400000_NS6detail17trampoline_kernelINS0_14default_configENS1_37merge_sort_block_sort_config_selectorIlNS0_10empty_typeEEEZNS1_21merge_sort_block_sortIS3_PlS8_PS5_S9_ZN2at6native12_GLOBAL__N_124unique_dim_cuda_templateIiEESt5tupleIJNSA_6TensorESF_SF_EERKSF_lbbbEUlllE_EE10hipError_tT0_T1_T2_T3_mRjT4_P12ihipStream_tbNS1_7vsmem_tEEUlT_E_NS1_11comp_targetILNS1_3genE3ELNS1_11target_archE908ELNS1_3gpuE7ELNS1_3repE0EEENS1_30default_config_static_selectorELNS0_4arch9wavefront6targetE0EEEvSM_: ; @_ZN7rocprim17ROCPRIM_400000_NS6detail17trampoline_kernelINS0_14default_configENS1_37merge_sort_block_sort_config_selectorIlNS0_10empty_typeEEEZNS1_21merge_sort_block_sortIS3_PlS8_PS5_S9_ZN2at6native12_GLOBAL__N_124unique_dim_cuda_templateIiEESt5tupleIJNSA_6TensorESF_SF_EERKSF_lbbbEUlllE_EE10hipError_tT0_T1_T2_T3_mRjT4_P12ihipStream_tbNS1_7vsmem_tEEUlT_E_NS1_11comp_targetILNS1_3genE3ELNS1_11target_archE908ELNS1_3gpuE7ELNS1_3repE0EEENS1_30default_config_static_selectorELNS0_4arch9wavefront6targetE0EEEvSM_
; %bb.0:
	.section	.rodata,"a",@progbits
	.p2align	6, 0x0
	.amdhsa_kernel _ZN7rocprim17ROCPRIM_400000_NS6detail17trampoline_kernelINS0_14default_configENS1_37merge_sort_block_sort_config_selectorIlNS0_10empty_typeEEEZNS1_21merge_sort_block_sortIS3_PlS8_PS5_S9_ZN2at6native12_GLOBAL__N_124unique_dim_cuda_templateIiEESt5tupleIJNSA_6TensorESF_SF_EERKSF_lbbbEUlllE_EE10hipError_tT0_T1_T2_T3_mRjT4_P12ihipStream_tbNS1_7vsmem_tEEUlT_E_NS1_11comp_targetILNS1_3genE3ELNS1_11target_archE908ELNS1_3gpuE7ELNS1_3repE0EEENS1_30default_config_static_selectorELNS0_4arch9wavefront6targetE0EEEvSM_
		.amdhsa_group_segment_fixed_size 0
		.amdhsa_private_segment_fixed_size 0
		.amdhsa_kernarg_size 72
		.amdhsa_user_sgpr_count 2
		.amdhsa_user_sgpr_dispatch_ptr 0
		.amdhsa_user_sgpr_queue_ptr 0
		.amdhsa_user_sgpr_kernarg_segment_ptr 1
		.amdhsa_user_sgpr_dispatch_id 0
		.amdhsa_user_sgpr_kernarg_preload_length 0
		.amdhsa_user_sgpr_kernarg_preload_offset 0
		.amdhsa_user_sgpr_private_segment_size 0
		.amdhsa_wavefront_size32 1
		.amdhsa_uses_dynamic_stack 0
		.amdhsa_enable_private_segment 0
		.amdhsa_system_sgpr_workgroup_id_x 1
		.amdhsa_system_sgpr_workgroup_id_y 0
		.amdhsa_system_sgpr_workgroup_id_z 0
		.amdhsa_system_sgpr_workgroup_info 0
		.amdhsa_system_vgpr_workitem_id 0
		.amdhsa_next_free_vgpr 1
		.amdhsa_next_free_sgpr 1
		.amdhsa_named_barrier_count 0
		.amdhsa_reserve_vcc 0
		.amdhsa_float_round_mode_32 0
		.amdhsa_float_round_mode_16_64 0
		.amdhsa_float_denorm_mode_32 3
		.amdhsa_float_denorm_mode_16_64 3
		.amdhsa_fp16_overflow 0
		.amdhsa_memory_ordered 1
		.amdhsa_forward_progress 1
		.amdhsa_inst_pref_size 0
		.amdhsa_round_robin_scheduling 0
		.amdhsa_exception_fp_ieee_invalid_op 0
		.amdhsa_exception_fp_denorm_src 0
		.amdhsa_exception_fp_ieee_div_zero 0
		.amdhsa_exception_fp_ieee_overflow 0
		.amdhsa_exception_fp_ieee_underflow 0
		.amdhsa_exception_fp_ieee_inexact 0
		.amdhsa_exception_int_div_zero 0
	.end_amdhsa_kernel
	.section	.text._ZN7rocprim17ROCPRIM_400000_NS6detail17trampoline_kernelINS0_14default_configENS1_37merge_sort_block_sort_config_selectorIlNS0_10empty_typeEEEZNS1_21merge_sort_block_sortIS3_PlS8_PS5_S9_ZN2at6native12_GLOBAL__N_124unique_dim_cuda_templateIiEESt5tupleIJNSA_6TensorESF_SF_EERKSF_lbbbEUlllE_EE10hipError_tT0_T1_T2_T3_mRjT4_P12ihipStream_tbNS1_7vsmem_tEEUlT_E_NS1_11comp_targetILNS1_3genE3ELNS1_11target_archE908ELNS1_3gpuE7ELNS1_3repE0EEENS1_30default_config_static_selectorELNS0_4arch9wavefront6targetE0EEEvSM_,"axG",@progbits,_ZN7rocprim17ROCPRIM_400000_NS6detail17trampoline_kernelINS0_14default_configENS1_37merge_sort_block_sort_config_selectorIlNS0_10empty_typeEEEZNS1_21merge_sort_block_sortIS3_PlS8_PS5_S9_ZN2at6native12_GLOBAL__N_124unique_dim_cuda_templateIiEESt5tupleIJNSA_6TensorESF_SF_EERKSF_lbbbEUlllE_EE10hipError_tT0_T1_T2_T3_mRjT4_P12ihipStream_tbNS1_7vsmem_tEEUlT_E_NS1_11comp_targetILNS1_3genE3ELNS1_11target_archE908ELNS1_3gpuE7ELNS1_3repE0EEENS1_30default_config_static_selectorELNS0_4arch9wavefront6targetE0EEEvSM_,comdat
.Lfunc_end386:
	.size	_ZN7rocprim17ROCPRIM_400000_NS6detail17trampoline_kernelINS0_14default_configENS1_37merge_sort_block_sort_config_selectorIlNS0_10empty_typeEEEZNS1_21merge_sort_block_sortIS3_PlS8_PS5_S9_ZN2at6native12_GLOBAL__N_124unique_dim_cuda_templateIiEESt5tupleIJNSA_6TensorESF_SF_EERKSF_lbbbEUlllE_EE10hipError_tT0_T1_T2_T3_mRjT4_P12ihipStream_tbNS1_7vsmem_tEEUlT_E_NS1_11comp_targetILNS1_3genE3ELNS1_11target_archE908ELNS1_3gpuE7ELNS1_3repE0EEENS1_30default_config_static_selectorELNS0_4arch9wavefront6targetE0EEEvSM_, .Lfunc_end386-_ZN7rocprim17ROCPRIM_400000_NS6detail17trampoline_kernelINS0_14default_configENS1_37merge_sort_block_sort_config_selectorIlNS0_10empty_typeEEEZNS1_21merge_sort_block_sortIS3_PlS8_PS5_S9_ZN2at6native12_GLOBAL__N_124unique_dim_cuda_templateIiEESt5tupleIJNSA_6TensorESF_SF_EERKSF_lbbbEUlllE_EE10hipError_tT0_T1_T2_T3_mRjT4_P12ihipStream_tbNS1_7vsmem_tEEUlT_E_NS1_11comp_targetILNS1_3genE3ELNS1_11target_archE908ELNS1_3gpuE7ELNS1_3repE0EEENS1_30default_config_static_selectorELNS0_4arch9wavefront6targetE0EEEvSM_
                                        ; -- End function
	.set _ZN7rocprim17ROCPRIM_400000_NS6detail17trampoline_kernelINS0_14default_configENS1_37merge_sort_block_sort_config_selectorIlNS0_10empty_typeEEEZNS1_21merge_sort_block_sortIS3_PlS8_PS5_S9_ZN2at6native12_GLOBAL__N_124unique_dim_cuda_templateIiEESt5tupleIJNSA_6TensorESF_SF_EERKSF_lbbbEUlllE_EE10hipError_tT0_T1_T2_T3_mRjT4_P12ihipStream_tbNS1_7vsmem_tEEUlT_E_NS1_11comp_targetILNS1_3genE3ELNS1_11target_archE908ELNS1_3gpuE7ELNS1_3repE0EEENS1_30default_config_static_selectorELNS0_4arch9wavefront6targetE0EEEvSM_.num_vgpr, 0
	.set _ZN7rocprim17ROCPRIM_400000_NS6detail17trampoline_kernelINS0_14default_configENS1_37merge_sort_block_sort_config_selectorIlNS0_10empty_typeEEEZNS1_21merge_sort_block_sortIS3_PlS8_PS5_S9_ZN2at6native12_GLOBAL__N_124unique_dim_cuda_templateIiEESt5tupleIJNSA_6TensorESF_SF_EERKSF_lbbbEUlllE_EE10hipError_tT0_T1_T2_T3_mRjT4_P12ihipStream_tbNS1_7vsmem_tEEUlT_E_NS1_11comp_targetILNS1_3genE3ELNS1_11target_archE908ELNS1_3gpuE7ELNS1_3repE0EEENS1_30default_config_static_selectorELNS0_4arch9wavefront6targetE0EEEvSM_.num_agpr, 0
	.set _ZN7rocprim17ROCPRIM_400000_NS6detail17trampoline_kernelINS0_14default_configENS1_37merge_sort_block_sort_config_selectorIlNS0_10empty_typeEEEZNS1_21merge_sort_block_sortIS3_PlS8_PS5_S9_ZN2at6native12_GLOBAL__N_124unique_dim_cuda_templateIiEESt5tupleIJNSA_6TensorESF_SF_EERKSF_lbbbEUlllE_EE10hipError_tT0_T1_T2_T3_mRjT4_P12ihipStream_tbNS1_7vsmem_tEEUlT_E_NS1_11comp_targetILNS1_3genE3ELNS1_11target_archE908ELNS1_3gpuE7ELNS1_3repE0EEENS1_30default_config_static_selectorELNS0_4arch9wavefront6targetE0EEEvSM_.numbered_sgpr, 0
	.set _ZN7rocprim17ROCPRIM_400000_NS6detail17trampoline_kernelINS0_14default_configENS1_37merge_sort_block_sort_config_selectorIlNS0_10empty_typeEEEZNS1_21merge_sort_block_sortIS3_PlS8_PS5_S9_ZN2at6native12_GLOBAL__N_124unique_dim_cuda_templateIiEESt5tupleIJNSA_6TensorESF_SF_EERKSF_lbbbEUlllE_EE10hipError_tT0_T1_T2_T3_mRjT4_P12ihipStream_tbNS1_7vsmem_tEEUlT_E_NS1_11comp_targetILNS1_3genE3ELNS1_11target_archE908ELNS1_3gpuE7ELNS1_3repE0EEENS1_30default_config_static_selectorELNS0_4arch9wavefront6targetE0EEEvSM_.num_named_barrier, 0
	.set _ZN7rocprim17ROCPRIM_400000_NS6detail17trampoline_kernelINS0_14default_configENS1_37merge_sort_block_sort_config_selectorIlNS0_10empty_typeEEEZNS1_21merge_sort_block_sortIS3_PlS8_PS5_S9_ZN2at6native12_GLOBAL__N_124unique_dim_cuda_templateIiEESt5tupleIJNSA_6TensorESF_SF_EERKSF_lbbbEUlllE_EE10hipError_tT0_T1_T2_T3_mRjT4_P12ihipStream_tbNS1_7vsmem_tEEUlT_E_NS1_11comp_targetILNS1_3genE3ELNS1_11target_archE908ELNS1_3gpuE7ELNS1_3repE0EEENS1_30default_config_static_selectorELNS0_4arch9wavefront6targetE0EEEvSM_.private_seg_size, 0
	.set _ZN7rocprim17ROCPRIM_400000_NS6detail17trampoline_kernelINS0_14default_configENS1_37merge_sort_block_sort_config_selectorIlNS0_10empty_typeEEEZNS1_21merge_sort_block_sortIS3_PlS8_PS5_S9_ZN2at6native12_GLOBAL__N_124unique_dim_cuda_templateIiEESt5tupleIJNSA_6TensorESF_SF_EERKSF_lbbbEUlllE_EE10hipError_tT0_T1_T2_T3_mRjT4_P12ihipStream_tbNS1_7vsmem_tEEUlT_E_NS1_11comp_targetILNS1_3genE3ELNS1_11target_archE908ELNS1_3gpuE7ELNS1_3repE0EEENS1_30default_config_static_selectorELNS0_4arch9wavefront6targetE0EEEvSM_.uses_vcc, 0
	.set _ZN7rocprim17ROCPRIM_400000_NS6detail17trampoline_kernelINS0_14default_configENS1_37merge_sort_block_sort_config_selectorIlNS0_10empty_typeEEEZNS1_21merge_sort_block_sortIS3_PlS8_PS5_S9_ZN2at6native12_GLOBAL__N_124unique_dim_cuda_templateIiEESt5tupleIJNSA_6TensorESF_SF_EERKSF_lbbbEUlllE_EE10hipError_tT0_T1_T2_T3_mRjT4_P12ihipStream_tbNS1_7vsmem_tEEUlT_E_NS1_11comp_targetILNS1_3genE3ELNS1_11target_archE908ELNS1_3gpuE7ELNS1_3repE0EEENS1_30default_config_static_selectorELNS0_4arch9wavefront6targetE0EEEvSM_.uses_flat_scratch, 0
	.set _ZN7rocprim17ROCPRIM_400000_NS6detail17trampoline_kernelINS0_14default_configENS1_37merge_sort_block_sort_config_selectorIlNS0_10empty_typeEEEZNS1_21merge_sort_block_sortIS3_PlS8_PS5_S9_ZN2at6native12_GLOBAL__N_124unique_dim_cuda_templateIiEESt5tupleIJNSA_6TensorESF_SF_EERKSF_lbbbEUlllE_EE10hipError_tT0_T1_T2_T3_mRjT4_P12ihipStream_tbNS1_7vsmem_tEEUlT_E_NS1_11comp_targetILNS1_3genE3ELNS1_11target_archE908ELNS1_3gpuE7ELNS1_3repE0EEENS1_30default_config_static_selectorELNS0_4arch9wavefront6targetE0EEEvSM_.has_dyn_sized_stack, 0
	.set _ZN7rocprim17ROCPRIM_400000_NS6detail17trampoline_kernelINS0_14default_configENS1_37merge_sort_block_sort_config_selectorIlNS0_10empty_typeEEEZNS1_21merge_sort_block_sortIS3_PlS8_PS5_S9_ZN2at6native12_GLOBAL__N_124unique_dim_cuda_templateIiEESt5tupleIJNSA_6TensorESF_SF_EERKSF_lbbbEUlllE_EE10hipError_tT0_T1_T2_T3_mRjT4_P12ihipStream_tbNS1_7vsmem_tEEUlT_E_NS1_11comp_targetILNS1_3genE3ELNS1_11target_archE908ELNS1_3gpuE7ELNS1_3repE0EEENS1_30default_config_static_selectorELNS0_4arch9wavefront6targetE0EEEvSM_.has_recursion, 0
	.set _ZN7rocprim17ROCPRIM_400000_NS6detail17trampoline_kernelINS0_14default_configENS1_37merge_sort_block_sort_config_selectorIlNS0_10empty_typeEEEZNS1_21merge_sort_block_sortIS3_PlS8_PS5_S9_ZN2at6native12_GLOBAL__N_124unique_dim_cuda_templateIiEESt5tupleIJNSA_6TensorESF_SF_EERKSF_lbbbEUlllE_EE10hipError_tT0_T1_T2_T3_mRjT4_P12ihipStream_tbNS1_7vsmem_tEEUlT_E_NS1_11comp_targetILNS1_3genE3ELNS1_11target_archE908ELNS1_3gpuE7ELNS1_3repE0EEENS1_30default_config_static_selectorELNS0_4arch9wavefront6targetE0EEEvSM_.has_indirect_call, 0
	.section	.AMDGPU.csdata,"",@progbits
; Kernel info:
; codeLenInByte = 0
; TotalNumSgprs: 0
; NumVgprs: 0
; ScratchSize: 0
; MemoryBound: 0
; FloatMode: 240
; IeeeMode: 1
; LDSByteSize: 0 bytes/workgroup (compile time only)
; SGPRBlocks: 0
; VGPRBlocks: 0
; NumSGPRsForWavesPerEU: 1
; NumVGPRsForWavesPerEU: 1
; NamedBarCnt: 0
; Occupancy: 16
; WaveLimiterHint : 0
; COMPUTE_PGM_RSRC2:SCRATCH_EN: 0
; COMPUTE_PGM_RSRC2:USER_SGPR: 2
; COMPUTE_PGM_RSRC2:TRAP_HANDLER: 0
; COMPUTE_PGM_RSRC2:TGID_X_EN: 1
; COMPUTE_PGM_RSRC2:TGID_Y_EN: 0
; COMPUTE_PGM_RSRC2:TGID_Z_EN: 0
; COMPUTE_PGM_RSRC2:TIDIG_COMP_CNT: 0
	.section	.text._ZN7rocprim17ROCPRIM_400000_NS6detail17trampoline_kernelINS0_14default_configENS1_37merge_sort_block_sort_config_selectorIlNS0_10empty_typeEEEZNS1_21merge_sort_block_sortIS3_PlS8_PS5_S9_ZN2at6native12_GLOBAL__N_124unique_dim_cuda_templateIiEESt5tupleIJNSA_6TensorESF_SF_EERKSF_lbbbEUlllE_EE10hipError_tT0_T1_T2_T3_mRjT4_P12ihipStream_tbNS1_7vsmem_tEEUlT_E_NS1_11comp_targetILNS1_3genE2ELNS1_11target_archE906ELNS1_3gpuE6ELNS1_3repE0EEENS1_30default_config_static_selectorELNS0_4arch9wavefront6targetE0EEEvSM_,"axG",@progbits,_ZN7rocprim17ROCPRIM_400000_NS6detail17trampoline_kernelINS0_14default_configENS1_37merge_sort_block_sort_config_selectorIlNS0_10empty_typeEEEZNS1_21merge_sort_block_sortIS3_PlS8_PS5_S9_ZN2at6native12_GLOBAL__N_124unique_dim_cuda_templateIiEESt5tupleIJNSA_6TensorESF_SF_EERKSF_lbbbEUlllE_EE10hipError_tT0_T1_T2_T3_mRjT4_P12ihipStream_tbNS1_7vsmem_tEEUlT_E_NS1_11comp_targetILNS1_3genE2ELNS1_11target_archE906ELNS1_3gpuE6ELNS1_3repE0EEENS1_30default_config_static_selectorELNS0_4arch9wavefront6targetE0EEEvSM_,comdat
	.globl	_ZN7rocprim17ROCPRIM_400000_NS6detail17trampoline_kernelINS0_14default_configENS1_37merge_sort_block_sort_config_selectorIlNS0_10empty_typeEEEZNS1_21merge_sort_block_sortIS3_PlS8_PS5_S9_ZN2at6native12_GLOBAL__N_124unique_dim_cuda_templateIiEESt5tupleIJNSA_6TensorESF_SF_EERKSF_lbbbEUlllE_EE10hipError_tT0_T1_T2_T3_mRjT4_P12ihipStream_tbNS1_7vsmem_tEEUlT_E_NS1_11comp_targetILNS1_3genE2ELNS1_11target_archE906ELNS1_3gpuE6ELNS1_3repE0EEENS1_30default_config_static_selectorELNS0_4arch9wavefront6targetE0EEEvSM_ ; -- Begin function _ZN7rocprim17ROCPRIM_400000_NS6detail17trampoline_kernelINS0_14default_configENS1_37merge_sort_block_sort_config_selectorIlNS0_10empty_typeEEEZNS1_21merge_sort_block_sortIS3_PlS8_PS5_S9_ZN2at6native12_GLOBAL__N_124unique_dim_cuda_templateIiEESt5tupleIJNSA_6TensorESF_SF_EERKSF_lbbbEUlllE_EE10hipError_tT0_T1_T2_T3_mRjT4_P12ihipStream_tbNS1_7vsmem_tEEUlT_E_NS1_11comp_targetILNS1_3genE2ELNS1_11target_archE906ELNS1_3gpuE6ELNS1_3repE0EEENS1_30default_config_static_selectorELNS0_4arch9wavefront6targetE0EEEvSM_
	.p2align	8
	.type	_ZN7rocprim17ROCPRIM_400000_NS6detail17trampoline_kernelINS0_14default_configENS1_37merge_sort_block_sort_config_selectorIlNS0_10empty_typeEEEZNS1_21merge_sort_block_sortIS3_PlS8_PS5_S9_ZN2at6native12_GLOBAL__N_124unique_dim_cuda_templateIiEESt5tupleIJNSA_6TensorESF_SF_EERKSF_lbbbEUlllE_EE10hipError_tT0_T1_T2_T3_mRjT4_P12ihipStream_tbNS1_7vsmem_tEEUlT_E_NS1_11comp_targetILNS1_3genE2ELNS1_11target_archE906ELNS1_3gpuE6ELNS1_3repE0EEENS1_30default_config_static_selectorELNS0_4arch9wavefront6targetE0EEEvSM_,@function
_ZN7rocprim17ROCPRIM_400000_NS6detail17trampoline_kernelINS0_14default_configENS1_37merge_sort_block_sort_config_selectorIlNS0_10empty_typeEEEZNS1_21merge_sort_block_sortIS3_PlS8_PS5_S9_ZN2at6native12_GLOBAL__N_124unique_dim_cuda_templateIiEESt5tupleIJNSA_6TensorESF_SF_EERKSF_lbbbEUlllE_EE10hipError_tT0_T1_T2_T3_mRjT4_P12ihipStream_tbNS1_7vsmem_tEEUlT_E_NS1_11comp_targetILNS1_3genE2ELNS1_11target_archE906ELNS1_3gpuE6ELNS1_3repE0EEENS1_30default_config_static_selectorELNS0_4arch9wavefront6targetE0EEEvSM_: ; @_ZN7rocprim17ROCPRIM_400000_NS6detail17trampoline_kernelINS0_14default_configENS1_37merge_sort_block_sort_config_selectorIlNS0_10empty_typeEEEZNS1_21merge_sort_block_sortIS3_PlS8_PS5_S9_ZN2at6native12_GLOBAL__N_124unique_dim_cuda_templateIiEESt5tupleIJNSA_6TensorESF_SF_EERKSF_lbbbEUlllE_EE10hipError_tT0_T1_T2_T3_mRjT4_P12ihipStream_tbNS1_7vsmem_tEEUlT_E_NS1_11comp_targetILNS1_3genE2ELNS1_11target_archE906ELNS1_3gpuE6ELNS1_3repE0EEENS1_30default_config_static_selectorELNS0_4arch9wavefront6targetE0EEEvSM_
; %bb.0:
	.section	.rodata,"a",@progbits
	.p2align	6, 0x0
	.amdhsa_kernel _ZN7rocprim17ROCPRIM_400000_NS6detail17trampoline_kernelINS0_14default_configENS1_37merge_sort_block_sort_config_selectorIlNS0_10empty_typeEEEZNS1_21merge_sort_block_sortIS3_PlS8_PS5_S9_ZN2at6native12_GLOBAL__N_124unique_dim_cuda_templateIiEESt5tupleIJNSA_6TensorESF_SF_EERKSF_lbbbEUlllE_EE10hipError_tT0_T1_T2_T3_mRjT4_P12ihipStream_tbNS1_7vsmem_tEEUlT_E_NS1_11comp_targetILNS1_3genE2ELNS1_11target_archE906ELNS1_3gpuE6ELNS1_3repE0EEENS1_30default_config_static_selectorELNS0_4arch9wavefront6targetE0EEEvSM_
		.amdhsa_group_segment_fixed_size 0
		.amdhsa_private_segment_fixed_size 0
		.amdhsa_kernarg_size 72
		.amdhsa_user_sgpr_count 2
		.amdhsa_user_sgpr_dispatch_ptr 0
		.amdhsa_user_sgpr_queue_ptr 0
		.amdhsa_user_sgpr_kernarg_segment_ptr 1
		.amdhsa_user_sgpr_dispatch_id 0
		.amdhsa_user_sgpr_kernarg_preload_length 0
		.amdhsa_user_sgpr_kernarg_preload_offset 0
		.amdhsa_user_sgpr_private_segment_size 0
		.amdhsa_wavefront_size32 1
		.amdhsa_uses_dynamic_stack 0
		.amdhsa_enable_private_segment 0
		.amdhsa_system_sgpr_workgroup_id_x 1
		.amdhsa_system_sgpr_workgroup_id_y 0
		.amdhsa_system_sgpr_workgroup_id_z 0
		.amdhsa_system_sgpr_workgroup_info 0
		.amdhsa_system_vgpr_workitem_id 0
		.amdhsa_next_free_vgpr 1
		.amdhsa_next_free_sgpr 1
		.amdhsa_named_barrier_count 0
		.amdhsa_reserve_vcc 0
		.amdhsa_float_round_mode_32 0
		.amdhsa_float_round_mode_16_64 0
		.amdhsa_float_denorm_mode_32 3
		.amdhsa_float_denorm_mode_16_64 3
		.amdhsa_fp16_overflow 0
		.amdhsa_memory_ordered 1
		.amdhsa_forward_progress 1
		.amdhsa_inst_pref_size 0
		.amdhsa_round_robin_scheduling 0
		.amdhsa_exception_fp_ieee_invalid_op 0
		.amdhsa_exception_fp_denorm_src 0
		.amdhsa_exception_fp_ieee_div_zero 0
		.amdhsa_exception_fp_ieee_overflow 0
		.amdhsa_exception_fp_ieee_underflow 0
		.amdhsa_exception_fp_ieee_inexact 0
		.amdhsa_exception_int_div_zero 0
	.end_amdhsa_kernel
	.section	.text._ZN7rocprim17ROCPRIM_400000_NS6detail17trampoline_kernelINS0_14default_configENS1_37merge_sort_block_sort_config_selectorIlNS0_10empty_typeEEEZNS1_21merge_sort_block_sortIS3_PlS8_PS5_S9_ZN2at6native12_GLOBAL__N_124unique_dim_cuda_templateIiEESt5tupleIJNSA_6TensorESF_SF_EERKSF_lbbbEUlllE_EE10hipError_tT0_T1_T2_T3_mRjT4_P12ihipStream_tbNS1_7vsmem_tEEUlT_E_NS1_11comp_targetILNS1_3genE2ELNS1_11target_archE906ELNS1_3gpuE6ELNS1_3repE0EEENS1_30default_config_static_selectorELNS0_4arch9wavefront6targetE0EEEvSM_,"axG",@progbits,_ZN7rocprim17ROCPRIM_400000_NS6detail17trampoline_kernelINS0_14default_configENS1_37merge_sort_block_sort_config_selectorIlNS0_10empty_typeEEEZNS1_21merge_sort_block_sortIS3_PlS8_PS5_S9_ZN2at6native12_GLOBAL__N_124unique_dim_cuda_templateIiEESt5tupleIJNSA_6TensorESF_SF_EERKSF_lbbbEUlllE_EE10hipError_tT0_T1_T2_T3_mRjT4_P12ihipStream_tbNS1_7vsmem_tEEUlT_E_NS1_11comp_targetILNS1_3genE2ELNS1_11target_archE906ELNS1_3gpuE6ELNS1_3repE0EEENS1_30default_config_static_selectorELNS0_4arch9wavefront6targetE0EEEvSM_,comdat
.Lfunc_end387:
	.size	_ZN7rocprim17ROCPRIM_400000_NS6detail17trampoline_kernelINS0_14default_configENS1_37merge_sort_block_sort_config_selectorIlNS0_10empty_typeEEEZNS1_21merge_sort_block_sortIS3_PlS8_PS5_S9_ZN2at6native12_GLOBAL__N_124unique_dim_cuda_templateIiEESt5tupleIJNSA_6TensorESF_SF_EERKSF_lbbbEUlllE_EE10hipError_tT0_T1_T2_T3_mRjT4_P12ihipStream_tbNS1_7vsmem_tEEUlT_E_NS1_11comp_targetILNS1_3genE2ELNS1_11target_archE906ELNS1_3gpuE6ELNS1_3repE0EEENS1_30default_config_static_selectorELNS0_4arch9wavefront6targetE0EEEvSM_, .Lfunc_end387-_ZN7rocprim17ROCPRIM_400000_NS6detail17trampoline_kernelINS0_14default_configENS1_37merge_sort_block_sort_config_selectorIlNS0_10empty_typeEEEZNS1_21merge_sort_block_sortIS3_PlS8_PS5_S9_ZN2at6native12_GLOBAL__N_124unique_dim_cuda_templateIiEESt5tupleIJNSA_6TensorESF_SF_EERKSF_lbbbEUlllE_EE10hipError_tT0_T1_T2_T3_mRjT4_P12ihipStream_tbNS1_7vsmem_tEEUlT_E_NS1_11comp_targetILNS1_3genE2ELNS1_11target_archE906ELNS1_3gpuE6ELNS1_3repE0EEENS1_30default_config_static_selectorELNS0_4arch9wavefront6targetE0EEEvSM_
                                        ; -- End function
	.set _ZN7rocprim17ROCPRIM_400000_NS6detail17trampoline_kernelINS0_14default_configENS1_37merge_sort_block_sort_config_selectorIlNS0_10empty_typeEEEZNS1_21merge_sort_block_sortIS3_PlS8_PS5_S9_ZN2at6native12_GLOBAL__N_124unique_dim_cuda_templateIiEESt5tupleIJNSA_6TensorESF_SF_EERKSF_lbbbEUlllE_EE10hipError_tT0_T1_T2_T3_mRjT4_P12ihipStream_tbNS1_7vsmem_tEEUlT_E_NS1_11comp_targetILNS1_3genE2ELNS1_11target_archE906ELNS1_3gpuE6ELNS1_3repE0EEENS1_30default_config_static_selectorELNS0_4arch9wavefront6targetE0EEEvSM_.num_vgpr, 0
	.set _ZN7rocprim17ROCPRIM_400000_NS6detail17trampoline_kernelINS0_14default_configENS1_37merge_sort_block_sort_config_selectorIlNS0_10empty_typeEEEZNS1_21merge_sort_block_sortIS3_PlS8_PS5_S9_ZN2at6native12_GLOBAL__N_124unique_dim_cuda_templateIiEESt5tupleIJNSA_6TensorESF_SF_EERKSF_lbbbEUlllE_EE10hipError_tT0_T1_T2_T3_mRjT4_P12ihipStream_tbNS1_7vsmem_tEEUlT_E_NS1_11comp_targetILNS1_3genE2ELNS1_11target_archE906ELNS1_3gpuE6ELNS1_3repE0EEENS1_30default_config_static_selectorELNS0_4arch9wavefront6targetE0EEEvSM_.num_agpr, 0
	.set _ZN7rocprim17ROCPRIM_400000_NS6detail17trampoline_kernelINS0_14default_configENS1_37merge_sort_block_sort_config_selectorIlNS0_10empty_typeEEEZNS1_21merge_sort_block_sortIS3_PlS8_PS5_S9_ZN2at6native12_GLOBAL__N_124unique_dim_cuda_templateIiEESt5tupleIJNSA_6TensorESF_SF_EERKSF_lbbbEUlllE_EE10hipError_tT0_T1_T2_T3_mRjT4_P12ihipStream_tbNS1_7vsmem_tEEUlT_E_NS1_11comp_targetILNS1_3genE2ELNS1_11target_archE906ELNS1_3gpuE6ELNS1_3repE0EEENS1_30default_config_static_selectorELNS0_4arch9wavefront6targetE0EEEvSM_.numbered_sgpr, 0
	.set _ZN7rocprim17ROCPRIM_400000_NS6detail17trampoline_kernelINS0_14default_configENS1_37merge_sort_block_sort_config_selectorIlNS0_10empty_typeEEEZNS1_21merge_sort_block_sortIS3_PlS8_PS5_S9_ZN2at6native12_GLOBAL__N_124unique_dim_cuda_templateIiEESt5tupleIJNSA_6TensorESF_SF_EERKSF_lbbbEUlllE_EE10hipError_tT0_T1_T2_T3_mRjT4_P12ihipStream_tbNS1_7vsmem_tEEUlT_E_NS1_11comp_targetILNS1_3genE2ELNS1_11target_archE906ELNS1_3gpuE6ELNS1_3repE0EEENS1_30default_config_static_selectorELNS0_4arch9wavefront6targetE0EEEvSM_.num_named_barrier, 0
	.set _ZN7rocprim17ROCPRIM_400000_NS6detail17trampoline_kernelINS0_14default_configENS1_37merge_sort_block_sort_config_selectorIlNS0_10empty_typeEEEZNS1_21merge_sort_block_sortIS3_PlS8_PS5_S9_ZN2at6native12_GLOBAL__N_124unique_dim_cuda_templateIiEESt5tupleIJNSA_6TensorESF_SF_EERKSF_lbbbEUlllE_EE10hipError_tT0_T1_T2_T3_mRjT4_P12ihipStream_tbNS1_7vsmem_tEEUlT_E_NS1_11comp_targetILNS1_3genE2ELNS1_11target_archE906ELNS1_3gpuE6ELNS1_3repE0EEENS1_30default_config_static_selectorELNS0_4arch9wavefront6targetE0EEEvSM_.private_seg_size, 0
	.set _ZN7rocprim17ROCPRIM_400000_NS6detail17trampoline_kernelINS0_14default_configENS1_37merge_sort_block_sort_config_selectorIlNS0_10empty_typeEEEZNS1_21merge_sort_block_sortIS3_PlS8_PS5_S9_ZN2at6native12_GLOBAL__N_124unique_dim_cuda_templateIiEESt5tupleIJNSA_6TensorESF_SF_EERKSF_lbbbEUlllE_EE10hipError_tT0_T1_T2_T3_mRjT4_P12ihipStream_tbNS1_7vsmem_tEEUlT_E_NS1_11comp_targetILNS1_3genE2ELNS1_11target_archE906ELNS1_3gpuE6ELNS1_3repE0EEENS1_30default_config_static_selectorELNS0_4arch9wavefront6targetE0EEEvSM_.uses_vcc, 0
	.set _ZN7rocprim17ROCPRIM_400000_NS6detail17trampoline_kernelINS0_14default_configENS1_37merge_sort_block_sort_config_selectorIlNS0_10empty_typeEEEZNS1_21merge_sort_block_sortIS3_PlS8_PS5_S9_ZN2at6native12_GLOBAL__N_124unique_dim_cuda_templateIiEESt5tupleIJNSA_6TensorESF_SF_EERKSF_lbbbEUlllE_EE10hipError_tT0_T1_T2_T3_mRjT4_P12ihipStream_tbNS1_7vsmem_tEEUlT_E_NS1_11comp_targetILNS1_3genE2ELNS1_11target_archE906ELNS1_3gpuE6ELNS1_3repE0EEENS1_30default_config_static_selectorELNS0_4arch9wavefront6targetE0EEEvSM_.uses_flat_scratch, 0
	.set _ZN7rocprim17ROCPRIM_400000_NS6detail17trampoline_kernelINS0_14default_configENS1_37merge_sort_block_sort_config_selectorIlNS0_10empty_typeEEEZNS1_21merge_sort_block_sortIS3_PlS8_PS5_S9_ZN2at6native12_GLOBAL__N_124unique_dim_cuda_templateIiEESt5tupleIJNSA_6TensorESF_SF_EERKSF_lbbbEUlllE_EE10hipError_tT0_T1_T2_T3_mRjT4_P12ihipStream_tbNS1_7vsmem_tEEUlT_E_NS1_11comp_targetILNS1_3genE2ELNS1_11target_archE906ELNS1_3gpuE6ELNS1_3repE0EEENS1_30default_config_static_selectorELNS0_4arch9wavefront6targetE0EEEvSM_.has_dyn_sized_stack, 0
	.set _ZN7rocprim17ROCPRIM_400000_NS6detail17trampoline_kernelINS0_14default_configENS1_37merge_sort_block_sort_config_selectorIlNS0_10empty_typeEEEZNS1_21merge_sort_block_sortIS3_PlS8_PS5_S9_ZN2at6native12_GLOBAL__N_124unique_dim_cuda_templateIiEESt5tupleIJNSA_6TensorESF_SF_EERKSF_lbbbEUlllE_EE10hipError_tT0_T1_T2_T3_mRjT4_P12ihipStream_tbNS1_7vsmem_tEEUlT_E_NS1_11comp_targetILNS1_3genE2ELNS1_11target_archE906ELNS1_3gpuE6ELNS1_3repE0EEENS1_30default_config_static_selectorELNS0_4arch9wavefront6targetE0EEEvSM_.has_recursion, 0
	.set _ZN7rocprim17ROCPRIM_400000_NS6detail17trampoline_kernelINS0_14default_configENS1_37merge_sort_block_sort_config_selectorIlNS0_10empty_typeEEEZNS1_21merge_sort_block_sortIS3_PlS8_PS5_S9_ZN2at6native12_GLOBAL__N_124unique_dim_cuda_templateIiEESt5tupleIJNSA_6TensorESF_SF_EERKSF_lbbbEUlllE_EE10hipError_tT0_T1_T2_T3_mRjT4_P12ihipStream_tbNS1_7vsmem_tEEUlT_E_NS1_11comp_targetILNS1_3genE2ELNS1_11target_archE906ELNS1_3gpuE6ELNS1_3repE0EEENS1_30default_config_static_selectorELNS0_4arch9wavefront6targetE0EEEvSM_.has_indirect_call, 0
	.section	.AMDGPU.csdata,"",@progbits
; Kernel info:
; codeLenInByte = 0
; TotalNumSgprs: 0
; NumVgprs: 0
; ScratchSize: 0
; MemoryBound: 0
; FloatMode: 240
; IeeeMode: 1
; LDSByteSize: 0 bytes/workgroup (compile time only)
; SGPRBlocks: 0
; VGPRBlocks: 0
; NumSGPRsForWavesPerEU: 1
; NumVGPRsForWavesPerEU: 1
; NamedBarCnt: 0
; Occupancy: 16
; WaveLimiterHint : 0
; COMPUTE_PGM_RSRC2:SCRATCH_EN: 0
; COMPUTE_PGM_RSRC2:USER_SGPR: 2
; COMPUTE_PGM_RSRC2:TRAP_HANDLER: 0
; COMPUTE_PGM_RSRC2:TGID_X_EN: 1
; COMPUTE_PGM_RSRC2:TGID_Y_EN: 0
; COMPUTE_PGM_RSRC2:TGID_Z_EN: 0
; COMPUTE_PGM_RSRC2:TIDIG_COMP_CNT: 0
	.section	.text._ZN7rocprim17ROCPRIM_400000_NS6detail17trampoline_kernelINS0_14default_configENS1_37merge_sort_block_sort_config_selectorIlNS0_10empty_typeEEEZNS1_21merge_sort_block_sortIS3_PlS8_PS5_S9_ZN2at6native12_GLOBAL__N_124unique_dim_cuda_templateIiEESt5tupleIJNSA_6TensorESF_SF_EERKSF_lbbbEUlllE_EE10hipError_tT0_T1_T2_T3_mRjT4_P12ihipStream_tbNS1_7vsmem_tEEUlT_E_NS1_11comp_targetILNS1_3genE10ELNS1_11target_archE1201ELNS1_3gpuE5ELNS1_3repE0EEENS1_30default_config_static_selectorELNS0_4arch9wavefront6targetE0EEEvSM_,"axG",@progbits,_ZN7rocprim17ROCPRIM_400000_NS6detail17trampoline_kernelINS0_14default_configENS1_37merge_sort_block_sort_config_selectorIlNS0_10empty_typeEEEZNS1_21merge_sort_block_sortIS3_PlS8_PS5_S9_ZN2at6native12_GLOBAL__N_124unique_dim_cuda_templateIiEESt5tupleIJNSA_6TensorESF_SF_EERKSF_lbbbEUlllE_EE10hipError_tT0_T1_T2_T3_mRjT4_P12ihipStream_tbNS1_7vsmem_tEEUlT_E_NS1_11comp_targetILNS1_3genE10ELNS1_11target_archE1201ELNS1_3gpuE5ELNS1_3repE0EEENS1_30default_config_static_selectorELNS0_4arch9wavefront6targetE0EEEvSM_,comdat
	.globl	_ZN7rocprim17ROCPRIM_400000_NS6detail17trampoline_kernelINS0_14default_configENS1_37merge_sort_block_sort_config_selectorIlNS0_10empty_typeEEEZNS1_21merge_sort_block_sortIS3_PlS8_PS5_S9_ZN2at6native12_GLOBAL__N_124unique_dim_cuda_templateIiEESt5tupleIJNSA_6TensorESF_SF_EERKSF_lbbbEUlllE_EE10hipError_tT0_T1_T2_T3_mRjT4_P12ihipStream_tbNS1_7vsmem_tEEUlT_E_NS1_11comp_targetILNS1_3genE10ELNS1_11target_archE1201ELNS1_3gpuE5ELNS1_3repE0EEENS1_30default_config_static_selectorELNS0_4arch9wavefront6targetE0EEEvSM_ ; -- Begin function _ZN7rocprim17ROCPRIM_400000_NS6detail17trampoline_kernelINS0_14default_configENS1_37merge_sort_block_sort_config_selectorIlNS0_10empty_typeEEEZNS1_21merge_sort_block_sortIS3_PlS8_PS5_S9_ZN2at6native12_GLOBAL__N_124unique_dim_cuda_templateIiEESt5tupleIJNSA_6TensorESF_SF_EERKSF_lbbbEUlllE_EE10hipError_tT0_T1_T2_T3_mRjT4_P12ihipStream_tbNS1_7vsmem_tEEUlT_E_NS1_11comp_targetILNS1_3genE10ELNS1_11target_archE1201ELNS1_3gpuE5ELNS1_3repE0EEENS1_30default_config_static_selectorELNS0_4arch9wavefront6targetE0EEEvSM_
	.p2align	8
	.type	_ZN7rocprim17ROCPRIM_400000_NS6detail17trampoline_kernelINS0_14default_configENS1_37merge_sort_block_sort_config_selectorIlNS0_10empty_typeEEEZNS1_21merge_sort_block_sortIS3_PlS8_PS5_S9_ZN2at6native12_GLOBAL__N_124unique_dim_cuda_templateIiEESt5tupleIJNSA_6TensorESF_SF_EERKSF_lbbbEUlllE_EE10hipError_tT0_T1_T2_T3_mRjT4_P12ihipStream_tbNS1_7vsmem_tEEUlT_E_NS1_11comp_targetILNS1_3genE10ELNS1_11target_archE1201ELNS1_3gpuE5ELNS1_3repE0EEENS1_30default_config_static_selectorELNS0_4arch9wavefront6targetE0EEEvSM_,@function
_ZN7rocprim17ROCPRIM_400000_NS6detail17trampoline_kernelINS0_14default_configENS1_37merge_sort_block_sort_config_selectorIlNS0_10empty_typeEEEZNS1_21merge_sort_block_sortIS3_PlS8_PS5_S9_ZN2at6native12_GLOBAL__N_124unique_dim_cuda_templateIiEESt5tupleIJNSA_6TensorESF_SF_EERKSF_lbbbEUlllE_EE10hipError_tT0_T1_T2_T3_mRjT4_P12ihipStream_tbNS1_7vsmem_tEEUlT_E_NS1_11comp_targetILNS1_3genE10ELNS1_11target_archE1201ELNS1_3gpuE5ELNS1_3repE0EEENS1_30default_config_static_selectorELNS0_4arch9wavefront6targetE0EEEvSM_: ; @_ZN7rocprim17ROCPRIM_400000_NS6detail17trampoline_kernelINS0_14default_configENS1_37merge_sort_block_sort_config_selectorIlNS0_10empty_typeEEEZNS1_21merge_sort_block_sortIS3_PlS8_PS5_S9_ZN2at6native12_GLOBAL__N_124unique_dim_cuda_templateIiEESt5tupleIJNSA_6TensorESF_SF_EERKSF_lbbbEUlllE_EE10hipError_tT0_T1_T2_T3_mRjT4_P12ihipStream_tbNS1_7vsmem_tEEUlT_E_NS1_11comp_targetILNS1_3genE10ELNS1_11target_archE1201ELNS1_3gpuE5ELNS1_3repE0EEENS1_30default_config_static_selectorELNS0_4arch9wavefront6targetE0EEEvSM_
; %bb.0:
	.section	.rodata,"a",@progbits
	.p2align	6, 0x0
	.amdhsa_kernel _ZN7rocprim17ROCPRIM_400000_NS6detail17trampoline_kernelINS0_14default_configENS1_37merge_sort_block_sort_config_selectorIlNS0_10empty_typeEEEZNS1_21merge_sort_block_sortIS3_PlS8_PS5_S9_ZN2at6native12_GLOBAL__N_124unique_dim_cuda_templateIiEESt5tupleIJNSA_6TensorESF_SF_EERKSF_lbbbEUlllE_EE10hipError_tT0_T1_T2_T3_mRjT4_P12ihipStream_tbNS1_7vsmem_tEEUlT_E_NS1_11comp_targetILNS1_3genE10ELNS1_11target_archE1201ELNS1_3gpuE5ELNS1_3repE0EEENS1_30default_config_static_selectorELNS0_4arch9wavefront6targetE0EEEvSM_
		.amdhsa_group_segment_fixed_size 0
		.amdhsa_private_segment_fixed_size 0
		.amdhsa_kernarg_size 72
		.amdhsa_user_sgpr_count 2
		.amdhsa_user_sgpr_dispatch_ptr 0
		.amdhsa_user_sgpr_queue_ptr 0
		.amdhsa_user_sgpr_kernarg_segment_ptr 1
		.amdhsa_user_sgpr_dispatch_id 0
		.amdhsa_user_sgpr_kernarg_preload_length 0
		.amdhsa_user_sgpr_kernarg_preload_offset 0
		.amdhsa_user_sgpr_private_segment_size 0
		.amdhsa_wavefront_size32 1
		.amdhsa_uses_dynamic_stack 0
		.amdhsa_enable_private_segment 0
		.amdhsa_system_sgpr_workgroup_id_x 1
		.amdhsa_system_sgpr_workgroup_id_y 0
		.amdhsa_system_sgpr_workgroup_id_z 0
		.amdhsa_system_sgpr_workgroup_info 0
		.amdhsa_system_vgpr_workitem_id 0
		.amdhsa_next_free_vgpr 1
		.amdhsa_next_free_sgpr 1
		.amdhsa_named_barrier_count 0
		.amdhsa_reserve_vcc 0
		.amdhsa_float_round_mode_32 0
		.amdhsa_float_round_mode_16_64 0
		.amdhsa_float_denorm_mode_32 3
		.amdhsa_float_denorm_mode_16_64 3
		.amdhsa_fp16_overflow 0
		.amdhsa_memory_ordered 1
		.amdhsa_forward_progress 1
		.amdhsa_inst_pref_size 0
		.amdhsa_round_robin_scheduling 0
		.amdhsa_exception_fp_ieee_invalid_op 0
		.amdhsa_exception_fp_denorm_src 0
		.amdhsa_exception_fp_ieee_div_zero 0
		.amdhsa_exception_fp_ieee_overflow 0
		.amdhsa_exception_fp_ieee_underflow 0
		.amdhsa_exception_fp_ieee_inexact 0
		.amdhsa_exception_int_div_zero 0
	.end_amdhsa_kernel
	.section	.text._ZN7rocprim17ROCPRIM_400000_NS6detail17trampoline_kernelINS0_14default_configENS1_37merge_sort_block_sort_config_selectorIlNS0_10empty_typeEEEZNS1_21merge_sort_block_sortIS3_PlS8_PS5_S9_ZN2at6native12_GLOBAL__N_124unique_dim_cuda_templateIiEESt5tupleIJNSA_6TensorESF_SF_EERKSF_lbbbEUlllE_EE10hipError_tT0_T1_T2_T3_mRjT4_P12ihipStream_tbNS1_7vsmem_tEEUlT_E_NS1_11comp_targetILNS1_3genE10ELNS1_11target_archE1201ELNS1_3gpuE5ELNS1_3repE0EEENS1_30default_config_static_selectorELNS0_4arch9wavefront6targetE0EEEvSM_,"axG",@progbits,_ZN7rocprim17ROCPRIM_400000_NS6detail17trampoline_kernelINS0_14default_configENS1_37merge_sort_block_sort_config_selectorIlNS0_10empty_typeEEEZNS1_21merge_sort_block_sortIS3_PlS8_PS5_S9_ZN2at6native12_GLOBAL__N_124unique_dim_cuda_templateIiEESt5tupleIJNSA_6TensorESF_SF_EERKSF_lbbbEUlllE_EE10hipError_tT0_T1_T2_T3_mRjT4_P12ihipStream_tbNS1_7vsmem_tEEUlT_E_NS1_11comp_targetILNS1_3genE10ELNS1_11target_archE1201ELNS1_3gpuE5ELNS1_3repE0EEENS1_30default_config_static_selectorELNS0_4arch9wavefront6targetE0EEEvSM_,comdat
.Lfunc_end388:
	.size	_ZN7rocprim17ROCPRIM_400000_NS6detail17trampoline_kernelINS0_14default_configENS1_37merge_sort_block_sort_config_selectorIlNS0_10empty_typeEEEZNS1_21merge_sort_block_sortIS3_PlS8_PS5_S9_ZN2at6native12_GLOBAL__N_124unique_dim_cuda_templateIiEESt5tupleIJNSA_6TensorESF_SF_EERKSF_lbbbEUlllE_EE10hipError_tT0_T1_T2_T3_mRjT4_P12ihipStream_tbNS1_7vsmem_tEEUlT_E_NS1_11comp_targetILNS1_3genE10ELNS1_11target_archE1201ELNS1_3gpuE5ELNS1_3repE0EEENS1_30default_config_static_selectorELNS0_4arch9wavefront6targetE0EEEvSM_, .Lfunc_end388-_ZN7rocprim17ROCPRIM_400000_NS6detail17trampoline_kernelINS0_14default_configENS1_37merge_sort_block_sort_config_selectorIlNS0_10empty_typeEEEZNS1_21merge_sort_block_sortIS3_PlS8_PS5_S9_ZN2at6native12_GLOBAL__N_124unique_dim_cuda_templateIiEESt5tupleIJNSA_6TensorESF_SF_EERKSF_lbbbEUlllE_EE10hipError_tT0_T1_T2_T3_mRjT4_P12ihipStream_tbNS1_7vsmem_tEEUlT_E_NS1_11comp_targetILNS1_3genE10ELNS1_11target_archE1201ELNS1_3gpuE5ELNS1_3repE0EEENS1_30default_config_static_selectorELNS0_4arch9wavefront6targetE0EEEvSM_
                                        ; -- End function
	.set _ZN7rocprim17ROCPRIM_400000_NS6detail17trampoline_kernelINS0_14default_configENS1_37merge_sort_block_sort_config_selectorIlNS0_10empty_typeEEEZNS1_21merge_sort_block_sortIS3_PlS8_PS5_S9_ZN2at6native12_GLOBAL__N_124unique_dim_cuda_templateIiEESt5tupleIJNSA_6TensorESF_SF_EERKSF_lbbbEUlllE_EE10hipError_tT0_T1_T2_T3_mRjT4_P12ihipStream_tbNS1_7vsmem_tEEUlT_E_NS1_11comp_targetILNS1_3genE10ELNS1_11target_archE1201ELNS1_3gpuE5ELNS1_3repE0EEENS1_30default_config_static_selectorELNS0_4arch9wavefront6targetE0EEEvSM_.num_vgpr, 0
	.set _ZN7rocprim17ROCPRIM_400000_NS6detail17trampoline_kernelINS0_14default_configENS1_37merge_sort_block_sort_config_selectorIlNS0_10empty_typeEEEZNS1_21merge_sort_block_sortIS3_PlS8_PS5_S9_ZN2at6native12_GLOBAL__N_124unique_dim_cuda_templateIiEESt5tupleIJNSA_6TensorESF_SF_EERKSF_lbbbEUlllE_EE10hipError_tT0_T1_T2_T3_mRjT4_P12ihipStream_tbNS1_7vsmem_tEEUlT_E_NS1_11comp_targetILNS1_3genE10ELNS1_11target_archE1201ELNS1_3gpuE5ELNS1_3repE0EEENS1_30default_config_static_selectorELNS0_4arch9wavefront6targetE0EEEvSM_.num_agpr, 0
	.set _ZN7rocprim17ROCPRIM_400000_NS6detail17trampoline_kernelINS0_14default_configENS1_37merge_sort_block_sort_config_selectorIlNS0_10empty_typeEEEZNS1_21merge_sort_block_sortIS3_PlS8_PS5_S9_ZN2at6native12_GLOBAL__N_124unique_dim_cuda_templateIiEESt5tupleIJNSA_6TensorESF_SF_EERKSF_lbbbEUlllE_EE10hipError_tT0_T1_T2_T3_mRjT4_P12ihipStream_tbNS1_7vsmem_tEEUlT_E_NS1_11comp_targetILNS1_3genE10ELNS1_11target_archE1201ELNS1_3gpuE5ELNS1_3repE0EEENS1_30default_config_static_selectorELNS0_4arch9wavefront6targetE0EEEvSM_.numbered_sgpr, 0
	.set _ZN7rocprim17ROCPRIM_400000_NS6detail17trampoline_kernelINS0_14default_configENS1_37merge_sort_block_sort_config_selectorIlNS0_10empty_typeEEEZNS1_21merge_sort_block_sortIS3_PlS8_PS5_S9_ZN2at6native12_GLOBAL__N_124unique_dim_cuda_templateIiEESt5tupleIJNSA_6TensorESF_SF_EERKSF_lbbbEUlllE_EE10hipError_tT0_T1_T2_T3_mRjT4_P12ihipStream_tbNS1_7vsmem_tEEUlT_E_NS1_11comp_targetILNS1_3genE10ELNS1_11target_archE1201ELNS1_3gpuE5ELNS1_3repE0EEENS1_30default_config_static_selectorELNS0_4arch9wavefront6targetE0EEEvSM_.num_named_barrier, 0
	.set _ZN7rocprim17ROCPRIM_400000_NS6detail17trampoline_kernelINS0_14default_configENS1_37merge_sort_block_sort_config_selectorIlNS0_10empty_typeEEEZNS1_21merge_sort_block_sortIS3_PlS8_PS5_S9_ZN2at6native12_GLOBAL__N_124unique_dim_cuda_templateIiEESt5tupleIJNSA_6TensorESF_SF_EERKSF_lbbbEUlllE_EE10hipError_tT0_T1_T2_T3_mRjT4_P12ihipStream_tbNS1_7vsmem_tEEUlT_E_NS1_11comp_targetILNS1_3genE10ELNS1_11target_archE1201ELNS1_3gpuE5ELNS1_3repE0EEENS1_30default_config_static_selectorELNS0_4arch9wavefront6targetE0EEEvSM_.private_seg_size, 0
	.set _ZN7rocprim17ROCPRIM_400000_NS6detail17trampoline_kernelINS0_14default_configENS1_37merge_sort_block_sort_config_selectorIlNS0_10empty_typeEEEZNS1_21merge_sort_block_sortIS3_PlS8_PS5_S9_ZN2at6native12_GLOBAL__N_124unique_dim_cuda_templateIiEESt5tupleIJNSA_6TensorESF_SF_EERKSF_lbbbEUlllE_EE10hipError_tT0_T1_T2_T3_mRjT4_P12ihipStream_tbNS1_7vsmem_tEEUlT_E_NS1_11comp_targetILNS1_3genE10ELNS1_11target_archE1201ELNS1_3gpuE5ELNS1_3repE0EEENS1_30default_config_static_selectorELNS0_4arch9wavefront6targetE0EEEvSM_.uses_vcc, 0
	.set _ZN7rocprim17ROCPRIM_400000_NS6detail17trampoline_kernelINS0_14default_configENS1_37merge_sort_block_sort_config_selectorIlNS0_10empty_typeEEEZNS1_21merge_sort_block_sortIS3_PlS8_PS5_S9_ZN2at6native12_GLOBAL__N_124unique_dim_cuda_templateIiEESt5tupleIJNSA_6TensorESF_SF_EERKSF_lbbbEUlllE_EE10hipError_tT0_T1_T2_T3_mRjT4_P12ihipStream_tbNS1_7vsmem_tEEUlT_E_NS1_11comp_targetILNS1_3genE10ELNS1_11target_archE1201ELNS1_3gpuE5ELNS1_3repE0EEENS1_30default_config_static_selectorELNS0_4arch9wavefront6targetE0EEEvSM_.uses_flat_scratch, 0
	.set _ZN7rocprim17ROCPRIM_400000_NS6detail17trampoline_kernelINS0_14default_configENS1_37merge_sort_block_sort_config_selectorIlNS0_10empty_typeEEEZNS1_21merge_sort_block_sortIS3_PlS8_PS5_S9_ZN2at6native12_GLOBAL__N_124unique_dim_cuda_templateIiEESt5tupleIJNSA_6TensorESF_SF_EERKSF_lbbbEUlllE_EE10hipError_tT0_T1_T2_T3_mRjT4_P12ihipStream_tbNS1_7vsmem_tEEUlT_E_NS1_11comp_targetILNS1_3genE10ELNS1_11target_archE1201ELNS1_3gpuE5ELNS1_3repE0EEENS1_30default_config_static_selectorELNS0_4arch9wavefront6targetE0EEEvSM_.has_dyn_sized_stack, 0
	.set _ZN7rocprim17ROCPRIM_400000_NS6detail17trampoline_kernelINS0_14default_configENS1_37merge_sort_block_sort_config_selectorIlNS0_10empty_typeEEEZNS1_21merge_sort_block_sortIS3_PlS8_PS5_S9_ZN2at6native12_GLOBAL__N_124unique_dim_cuda_templateIiEESt5tupleIJNSA_6TensorESF_SF_EERKSF_lbbbEUlllE_EE10hipError_tT0_T1_T2_T3_mRjT4_P12ihipStream_tbNS1_7vsmem_tEEUlT_E_NS1_11comp_targetILNS1_3genE10ELNS1_11target_archE1201ELNS1_3gpuE5ELNS1_3repE0EEENS1_30default_config_static_selectorELNS0_4arch9wavefront6targetE0EEEvSM_.has_recursion, 0
	.set _ZN7rocprim17ROCPRIM_400000_NS6detail17trampoline_kernelINS0_14default_configENS1_37merge_sort_block_sort_config_selectorIlNS0_10empty_typeEEEZNS1_21merge_sort_block_sortIS3_PlS8_PS5_S9_ZN2at6native12_GLOBAL__N_124unique_dim_cuda_templateIiEESt5tupleIJNSA_6TensorESF_SF_EERKSF_lbbbEUlllE_EE10hipError_tT0_T1_T2_T3_mRjT4_P12ihipStream_tbNS1_7vsmem_tEEUlT_E_NS1_11comp_targetILNS1_3genE10ELNS1_11target_archE1201ELNS1_3gpuE5ELNS1_3repE0EEENS1_30default_config_static_selectorELNS0_4arch9wavefront6targetE0EEEvSM_.has_indirect_call, 0
	.section	.AMDGPU.csdata,"",@progbits
; Kernel info:
; codeLenInByte = 0
; TotalNumSgprs: 0
; NumVgprs: 0
; ScratchSize: 0
; MemoryBound: 0
; FloatMode: 240
; IeeeMode: 1
; LDSByteSize: 0 bytes/workgroup (compile time only)
; SGPRBlocks: 0
; VGPRBlocks: 0
; NumSGPRsForWavesPerEU: 1
; NumVGPRsForWavesPerEU: 1
; NamedBarCnt: 0
; Occupancy: 16
; WaveLimiterHint : 0
; COMPUTE_PGM_RSRC2:SCRATCH_EN: 0
; COMPUTE_PGM_RSRC2:USER_SGPR: 2
; COMPUTE_PGM_RSRC2:TRAP_HANDLER: 0
; COMPUTE_PGM_RSRC2:TGID_X_EN: 1
; COMPUTE_PGM_RSRC2:TGID_Y_EN: 0
; COMPUTE_PGM_RSRC2:TGID_Z_EN: 0
; COMPUTE_PGM_RSRC2:TIDIG_COMP_CNT: 0
	.section	.text._ZN7rocprim17ROCPRIM_400000_NS6detail17trampoline_kernelINS0_14default_configENS1_37merge_sort_block_sort_config_selectorIlNS0_10empty_typeEEEZNS1_21merge_sort_block_sortIS3_PlS8_PS5_S9_ZN2at6native12_GLOBAL__N_124unique_dim_cuda_templateIiEESt5tupleIJNSA_6TensorESF_SF_EERKSF_lbbbEUlllE_EE10hipError_tT0_T1_T2_T3_mRjT4_P12ihipStream_tbNS1_7vsmem_tEEUlT_E_NS1_11comp_targetILNS1_3genE10ELNS1_11target_archE1200ELNS1_3gpuE4ELNS1_3repE0EEENS1_30default_config_static_selectorELNS0_4arch9wavefront6targetE0EEEvSM_,"axG",@progbits,_ZN7rocprim17ROCPRIM_400000_NS6detail17trampoline_kernelINS0_14default_configENS1_37merge_sort_block_sort_config_selectorIlNS0_10empty_typeEEEZNS1_21merge_sort_block_sortIS3_PlS8_PS5_S9_ZN2at6native12_GLOBAL__N_124unique_dim_cuda_templateIiEESt5tupleIJNSA_6TensorESF_SF_EERKSF_lbbbEUlllE_EE10hipError_tT0_T1_T2_T3_mRjT4_P12ihipStream_tbNS1_7vsmem_tEEUlT_E_NS1_11comp_targetILNS1_3genE10ELNS1_11target_archE1200ELNS1_3gpuE4ELNS1_3repE0EEENS1_30default_config_static_selectorELNS0_4arch9wavefront6targetE0EEEvSM_,comdat
	.globl	_ZN7rocprim17ROCPRIM_400000_NS6detail17trampoline_kernelINS0_14default_configENS1_37merge_sort_block_sort_config_selectorIlNS0_10empty_typeEEEZNS1_21merge_sort_block_sortIS3_PlS8_PS5_S9_ZN2at6native12_GLOBAL__N_124unique_dim_cuda_templateIiEESt5tupleIJNSA_6TensorESF_SF_EERKSF_lbbbEUlllE_EE10hipError_tT0_T1_T2_T3_mRjT4_P12ihipStream_tbNS1_7vsmem_tEEUlT_E_NS1_11comp_targetILNS1_3genE10ELNS1_11target_archE1200ELNS1_3gpuE4ELNS1_3repE0EEENS1_30default_config_static_selectorELNS0_4arch9wavefront6targetE0EEEvSM_ ; -- Begin function _ZN7rocprim17ROCPRIM_400000_NS6detail17trampoline_kernelINS0_14default_configENS1_37merge_sort_block_sort_config_selectorIlNS0_10empty_typeEEEZNS1_21merge_sort_block_sortIS3_PlS8_PS5_S9_ZN2at6native12_GLOBAL__N_124unique_dim_cuda_templateIiEESt5tupleIJNSA_6TensorESF_SF_EERKSF_lbbbEUlllE_EE10hipError_tT0_T1_T2_T3_mRjT4_P12ihipStream_tbNS1_7vsmem_tEEUlT_E_NS1_11comp_targetILNS1_3genE10ELNS1_11target_archE1200ELNS1_3gpuE4ELNS1_3repE0EEENS1_30default_config_static_selectorELNS0_4arch9wavefront6targetE0EEEvSM_
	.p2align	8
	.type	_ZN7rocprim17ROCPRIM_400000_NS6detail17trampoline_kernelINS0_14default_configENS1_37merge_sort_block_sort_config_selectorIlNS0_10empty_typeEEEZNS1_21merge_sort_block_sortIS3_PlS8_PS5_S9_ZN2at6native12_GLOBAL__N_124unique_dim_cuda_templateIiEESt5tupleIJNSA_6TensorESF_SF_EERKSF_lbbbEUlllE_EE10hipError_tT0_T1_T2_T3_mRjT4_P12ihipStream_tbNS1_7vsmem_tEEUlT_E_NS1_11comp_targetILNS1_3genE10ELNS1_11target_archE1200ELNS1_3gpuE4ELNS1_3repE0EEENS1_30default_config_static_selectorELNS0_4arch9wavefront6targetE0EEEvSM_,@function
_ZN7rocprim17ROCPRIM_400000_NS6detail17trampoline_kernelINS0_14default_configENS1_37merge_sort_block_sort_config_selectorIlNS0_10empty_typeEEEZNS1_21merge_sort_block_sortIS3_PlS8_PS5_S9_ZN2at6native12_GLOBAL__N_124unique_dim_cuda_templateIiEESt5tupleIJNSA_6TensorESF_SF_EERKSF_lbbbEUlllE_EE10hipError_tT0_T1_T2_T3_mRjT4_P12ihipStream_tbNS1_7vsmem_tEEUlT_E_NS1_11comp_targetILNS1_3genE10ELNS1_11target_archE1200ELNS1_3gpuE4ELNS1_3repE0EEENS1_30default_config_static_selectorELNS0_4arch9wavefront6targetE0EEEvSM_: ; @_ZN7rocprim17ROCPRIM_400000_NS6detail17trampoline_kernelINS0_14default_configENS1_37merge_sort_block_sort_config_selectorIlNS0_10empty_typeEEEZNS1_21merge_sort_block_sortIS3_PlS8_PS5_S9_ZN2at6native12_GLOBAL__N_124unique_dim_cuda_templateIiEESt5tupleIJNSA_6TensorESF_SF_EERKSF_lbbbEUlllE_EE10hipError_tT0_T1_T2_T3_mRjT4_P12ihipStream_tbNS1_7vsmem_tEEUlT_E_NS1_11comp_targetILNS1_3genE10ELNS1_11target_archE1200ELNS1_3gpuE4ELNS1_3repE0EEENS1_30default_config_static_selectorELNS0_4arch9wavefront6targetE0EEEvSM_
; %bb.0:
	.section	.rodata,"a",@progbits
	.p2align	6, 0x0
	.amdhsa_kernel _ZN7rocprim17ROCPRIM_400000_NS6detail17trampoline_kernelINS0_14default_configENS1_37merge_sort_block_sort_config_selectorIlNS0_10empty_typeEEEZNS1_21merge_sort_block_sortIS3_PlS8_PS5_S9_ZN2at6native12_GLOBAL__N_124unique_dim_cuda_templateIiEESt5tupleIJNSA_6TensorESF_SF_EERKSF_lbbbEUlllE_EE10hipError_tT0_T1_T2_T3_mRjT4_P12ihipStream_tbNS1_7vsmem_tEEUlT_E_NS1_11comp_targetILNS1_3genE10ELNS1_11target_archE1200ELNS1_3gpuE4ELNS1_3repE0EEENS1_30default_config_static_selectorELNS0_4arch9wavefront6targetE0EEEvSM_
		.amdhsa_group_segment_fixed_size 0
		.amdhsa_private_segment_fixed_size 0
		.amdhsa_kernarg_size 72
		.amdhsa_user_sgpr_count 2
		.amdhsa_user_sgpr_dispatch_ptr 0
		.amdhsa_user_sgpr_queue_ptr 0
		.amdhsa_user_sgpr_kernarg_segment_ptr 1
		.amdhsa_user_sgpr_dispatch_id 0
		.amdhsa_user_sgpr_kernarg_preload_length 0
		.amdhsa_user_sgpr_kernarg_preload_offset 0
		.amdhsa_user_sgpr_private_segment_size 0
		.amdhsa_wavefront_size32 1
		.amdhsa_uses_dynamic_stack 0
		.amdhsa_enable_private_segment 0
		.amdhsa_system_sgpr_workgroup_id_x 1
		.amdhsa_system_sgpr_workgroup_id_y 0
		.amdhsa_system_sgpr_workgroup_id_z 0
		.amdhsa_system_sgpr_workgroup_info 0
		.amdhsa_system_vgpr_workitem_id 0
		.amdhsa_next_free_vgpr 1
		.amdhsa_next_free_sgpr 1
		.amdhsa_named_barrier_count 0
		.amdhsa_reserve_vcc 0
		.amdhsa_float_round_mode_32 0
		.amdhsa_float_round_mode_16_64 0
		.amdhsa_float_denorm_mode_32 3
		.amdhsa_float_denorm_mode_16_64 3
		.amdhsa_fp16_overflow 0
		.amdhsa_memory_ordered 1
		.amdhsa_forward_progress 1
		.amdhsa_inst_pref_size 0
		.amdhsa_round_robin_scheduling 0
		.amdhsa_exception_fp_ieee_invalid_op 0
		.amdhsa_exception_fp_denorm_src 0
		.amdhsa_exception_fp_ieee_div_zero 0
		.amdhsa_exception_fp_ieee_overflow 0
		.amdhsa_exception_fp_ieee_underflow 0
		.amdhsa_exception_fp_ieee_inexact 0
		.amdhsa_exception_int_div_zero 0
	.end_amdhsa_kernel
	.section	.text._ZN7rocprim17ROCPRIM_400000_NS6detail17trampoline_kernelINS0_14default_configENS1_37merge_sort_block_sort_config_selectorIlNS0_10empty_typeEEEZNS1_21merge_sort_block_sortIS3_PlS8_PS5_S9_ZN2at6native12_GLOBAL__N_124unique_dim_cuda_templateIiEESt5tupleIJNSA_6TensorESF_SF_EERKSF_lbbbEUlllE_EE10hipError_tT0_T1_T2_T3_mRjT4_P12ihipStream_tbNS1_7vsmem_tEEUlT_E_NS1_11comp_targetILNS1_3genE10ELNS1_11target_archE1200ELNS1_3gpuE4ELNS1_3repE0EEENS1_30default_config_static_selectorELNS0_4arch9wavefront6targetE0EEEvSM_,"axG",@progbits,_ZN7rocprim17ROCPRIM_400000_NS6detail17trampoline_kernelINS0_14default_configENS1_37merge_sort_block_sort_config_selectorIlNS0_10empty_typeEEEZNS1_21merge_sort_block_sortIS3_PlS8_PS5_S9_ZN2at6native12_GLOBAL__N_124unique_dim_cuda_templateIiEESt5tupleIJNSA_6TensorESF_SF_EERKSF_lbbbEUlllE_EE10hipError_tT0_T1_T2_T3_mRjT4_P12ihipStream_tbNS1_7vsmem_tEEUlT_E_NS1_11comp_targetILNS1_3genE10ELNS1_11target_archE1200ELNS1_3gpuE4ELNS1_3repE0EEENS1_30default_config_static_selectorELNS0_4arch9wavefront6targetE0EEEvSM_,comdat
.Lfunc_end389:
	.size	_ZN7rocprim17ROCPRIM_400000_NS6detail17trampoline_kernelINS0_14default_configENS1_37merge_sort_block_sort_config_selectorIlNS0_10empty_typeEEEZNS1_21merge_sort_block_sortIS3_PlS8_PS5_S9_ZN2at6native12_GLOBAL__N_124unique_dim_cuda_templateIiEESt5tupleIJNSA_6TensorESF_SF_EERKSF_lbbbEUlllE_EE10hipError_tT0_T1_T2_T3_mRjT4_P12ihipStream_tbNS1_7vsmem_tEEUlT_E_NS1_11comp_targetILNS1_3genE10ELNS1_11target_archE1200ELNS1_3gpuE4ELNS1_3repE0EEENS1_30default_config_static_selectorELNS0_4arch9wavefront6targetE0EEEvSM_, .Lfunc_end389-_ZN7rocprim17ROCPRIM_400000_NS6detail17trampoline_kernelINS0_14default_configENS1_37merge_sort_block_sort_config_selectorIlNS0_10empty_typeEEEZNS1_21merge_sort_block_sortIS3_PlS8_PS5_S9_ZN2at6native12_GLOBAL__N_124unique_dim_cuda_templateIiEESt5tupleIJNSA_6TensorESF_SF_EERKSF_lbbbEUlllE_EE10hipError_tT0_T1_T2_T3_mRjT4_P12ihipStream_tbNS1_7vsmem_tEEUlT_E_NS1_11comp_targetILNS1_3genE10ELNS1_11target_archE1200ELNS1_3gpuE4ELNS1_3repE0EEENS1_30default_config_static_selectorELNS0_4arch9wavefront6targetE0EEEvSM_
                                        ; -- End function
	.set _ZN7rocprim17ROCPRIM_400000_NS6detail17trampoline_kernelINS0_14default_configENS1_37merge_sort_block_sort_config_selectorIlNS0_10empty_typeEEEZNS1_21merge_sort_block_sortIS3_PlS8_PS5_S9_ZN2at6native12_GLOBAL__N_124unique_dim_cuda_templateIiEESt5tupleIJNSA_6TensorESF_SF_EERKSF_lbbbEUlllE_EE10hipError_tT0_T1_T2_T3_mRjT4_P12ihipStream_tbNS1_7vsmem_tEEUlT_E_NS1_11comp_targetILNS1_3genE10ELNS1_11target_archE1200ELNS1_3gpuE4ELNS1_3repE0EEENS1_30default_config_static_selectorELNS0_4arch9wavefront6targetE0EEEvSM_.num_vgpr, 0
	.set _ZN7rocprim17ROCPRIM_400000_NS6detail17trampoline_kernelINS0_14default_configENS1_37merge_sort_block_sort_config_selectorIlNS0_10empty_typeEEEZNS1_21merge_sort_block_sortIS3_PlS8_PS5_S9_ZN2at6native12_GLOBAL__N_124unique_dim_cuda_templateIiEESt5tupleIJNSA_6TensorESF_SF_EERKSF_lbbbEUlllE_EE10hipError_tT0_T1_T2_T3_mRjT4_P12ihipStream_tbNS1_7vsmem_tEEUlT_E_NS1_11comp_targetILNS1_3genE10ELNS1_11target_archE1200ELNS1_3gpuE4ELNS1_3repE0EEENS1_30default_config_static_selectorELNS0_4arch9wavefront6targetE0EEEvSM_.num_agpr, 0
	.set _ZN7rocprim17ROCPRIM_400000_NS6detail17trampoline_kernelINS0_14default_configENS1_37merge_sort_block_sort_config_selectorIlNS0_10empty_typeEEEZNS1_21merge_sort_block_sortIS3_PlS8_PS5_S9_ZN2at6native12_GLOBAL__N_124unique_dim_cuda_templateIiEESt5tupleIJNSA_6TensorESF_SF_EERKSF_lbbbEUlllE_EE10hipError_tT0_T1_T2_T3_mRjT4_P12ihipStream_tbNS1_7vsmem_tEEUlT_E_NS1_11comp_targetILNS1_3genE10ELNS1_11target_archE1200ELNS1_3gpuE4ELNS1_3repE0EEENS1_30default_config_static_selectorELNS0_4arch9wavefront6targetE0EEEvSM_.numbered_sgpr, 0
	.set _ZN7rocprim17ROCPRIM_400000_NS6detail17trampoline_kernelINS0_14default_configENS1_37merge_sort_block_sort_config_selectorIlNS0_10empty_typeEEEZNS1_21merge_sort_block_sortIS3_PlS8_PS5_S9_ZN2at6native12_GLOBAL__N_124unique_dim_cuda_templateIiEESt5tupleIJNSA_6TensorESF_SF_EERKSF_lbbbEUlllE_EE10hipError_tT0_T1_T2_T3_mRjT4_P12ihipStream_tbNS1_7vsmem_tEEUlT_E_NS1_11comp_targetILNS1_3genE10ELNS1_11target_archE1200ELNS1_3gpuE4ELNS1_3repE0EEENS1_30default_config_static_selectorELNS0_4arch9wavefront6targetE0EEEvSM_.num_named_barrier, 0
	.set _ZN7rocprim17ROCPRIM_400000_NS6detail17trampoline_kernelINS0_14default_configENS1_37merge_sort_block_sort_config_selectorIlNS0_10empty_typeEEEZNS1_21merge_sort_block_sortIS3_PlS8_PS5_S9_ZN2at6native12_GLOBAL__N_124unique_dim_cuda_templateIiEESt5tupleIJNSA_6TensorESF_SF_EERKSF_lbbbEUlllE_EE10hipError_tT0_T1_T2_T3_mRjT4_P12ihipStream_tbNS1_7vsmem_tEEUlT_E_NS1_11comp_targetILNS1_3genE10ELNS1_11target_archE1200ELNS1_3gpuE4ELNS1_3repE0EEENS1_30default_config_static_selectorELNS0_4arch9wavefront6targetE0EEEvSM_.private_seg_size, 0
	.set _ZN7rocprim17ROCPRIM_400000_NS6detail17trampoline_kernelINS0_14default_configENS1_37merge_sort_block_sort_config_selectorIlNS0_10empty_typeEEEZNS1_21merge_sort_block_sortIS3_PlS8_PS5_S9_ZN2at6native12_GLOBAL__N_124unique_dim_cuda_templateIiEESt5tupleIJNSA_6TensorESF_SF_EERKSF_lbbbEUlllE_EE10hipError_tT0_T1_T2_T3_mRjT4_P12ihipStream_tbNS1_7vsmem_tEEUlT_E_NS1_11comp_targetILNS1_3genE10ELNS1_11target_archE1200ELNS1_3gpuE4ELNS1_3repE0EEENS1_30default_config_static_selectorELNS0_4arch9wavefront6targetE0EEEvSM_.uses_vcc, 0
	.set _ZN7rocprim17ROCPRIM_400000_NS6detail17trampoline_kernelINS0_14default_configENS1_37merge_sort_block_sort_config_selectorIlNS0_10empty_typeEEEZNS1_21merge_sort_block_sortIS3_PlS8_PS5_S9_ZN2at6native12_GLOBAL__N_124unique_dim_cuda_templateIiEESt5tupleIJNSA_6TensorESF_SF_EERKSF_lbbbEUlllE_EE10hipError_tT0_T1_T2_T3_mRjT4_P12ihipStream_tbNS1_7vsmem_tEEUlT_E_NS1_11comp_targetILNS1_3genE10ELNS1_11target_archE1200ELNS1_3gpuE4ELNS1_3repE0EEENS1_30default_config_static_selectorELNS0_4arch9wavefront6targetE0EEEvSM_.uses_flat_scratch, 0
	.set _ZN7rocprim17ROCPRIM_400000_NS6detail17trampoline_kernelINS0_14default_configENS1_37merge_sort_block_sort_config_selectorIlNS0_10empty_typeEEEZNS1_21merge_sort_block_sortIS3_PlS8_PS5_S9_ZN2at6native12_GLOBAL__N_124unique_dim_cuda_templateIiEESt5tupleIJNSA_6TensorESF_SF_EERKSF_lbbbEUlllE_EE10hipError_tT0_T1_T2_T3_mRjT4_P12ihipStream_tbNS1_7vsmem_tEEUlT_E_NS1_11comp_targetILNS1_3genE10ELNS1_11target_archE1200ELNS1_3gpuE4ELNS1_3repE0EEENS1_30default_config_static_selectorELNS0_4arch9wavefront6targetE0EEEvSM_.has_dyn_sized_stack, 0
	.set _ZN7rocprim17ROCPRIM_400000_NS6detail17trampoline_kernelINS0_14default_configENS1_37merge_sort_block_sort_config_selectorIlNS0_10empty_typeEEEZNS1_21merge_sort_block_sortIS3_PlS8_PS5_S9_ZN2at6native12_GLOBAL__N_124unique_dim_cuda_templateIiEESt5tupleIJNSA_6TensorESF_SF_EERKSF_lbbbEUlllE_EE10hipError_tT0_T1_T2_T3_mRjT4_P12ihipStream_tbNS1_7vsmem_tEEUlT_E_NS1_11comp_targetILNS1_3genE10ELNS1_11target_archE1200ELNS1_3gpuE4ELNS1_3repE0EEENS1_30default_config_static_selectorELNS0_4arch9wavefront6targetE0EEEvSM_.has_recursion, 0
	.set _ZN7rocprim17ROCPRIM_400000_NS6detail17trampoline_kernelINS0_14default_configENS1_37merge_sort_block_sort_config_selectorIlNS0_10empty_typeEEEZNS1_21merge_sort_block_sortIS3_PlS8_PS5_S9_ZN2at6native12_GLOBAL__N_124unique_dim_cuda_templateIiEESt5tupleIJNSA_6TensorESF_SF_EERKSF_lbbbEUlllE_EE10hipError_tT0_T1_T2_T3_mRjT4_P12ihipStream_tbNS1_7vsmem_tEEUlT_E_NS1_11comp_targetILNS1_3genE10ELNS1_11target_archE1200ELNS1_3gpuE4ELNS1_3repE0EEENS1_30default_config_static_selectorELNS0_4arch9wavefront6targetE0EEEvSM_.has_indirect_call, 0
	.section	.AMDGPU.csdata,"",@progbits
; Kernel info:
; codeLenInByte = 0
; TotalNumSgprs: 0
; NumVgprs: 0
; ScratchSize: 0
; MemoryBound: 0
; FloatMode: 240
; IeeeMode: 1
; LDSByteSize: 0 bytes/workgroup (compile time only)
; SGPRBlocks: 0
; VGPRBlocks: 0
; NumSGPRsForWavesPerEU: 1
; NumVGPRsForWavesPerEU: 1
; NamedBarCnt: 0
; Occupancy: 16
; WaveLimiterHint : 0
; COMPUTE_PGM_RSRC2:SCRATCH_EN: 0
; COMPUTE_PGM_RSRC2:USER_SGPR: 2
; COMPUTE_PGM_RSRC2:TRAP_HANDLER: 0
; COMPUTE_PGM_RSRC2:TGID_X_EN: 1
; COMPUTE_PGM_RSRC2:TGID_Y_EN: 0
; COMPUTE_PGM_RSRC2:TGID_Z_EN: 0
; COMPUTE_PGM_RSRC2:TIDIG_COMP_CNT: 0
	.section	.text._ZN7rocprim17ROCPRIM_400000_NS6detail17trampoline_kernelINS0_14default_configENS1_37merge_sort_block_sort_config_selectorIlNS0_10empty_typeEEEZNS1_21merge_sort_block_sortIS3_PlS8_PS5_S9_ZN2at6native12_GLOBAL__N_124unique_dim_cuda_templateIiEESt5tupleIJNSA_6TensorESF_SF_EERKSF_lbbbEUlllE_EE10hipError_tT0_T1_T2_T3_mRjT4_P12ihipStream_tbNS1_7vsmem_tEEUlT_E_NS1_11comp_targetILNS1_3genE9ELNS1_11target_archE1100ELNS1_3gpuE3ELNS1_3repE0EEENS1_30default_config_static_selectorELNS0_4arch9wavefront6targetE0EEEvSM_,"axG",@progbits,_ZN7rocprim17ROCPRIM_400000_NS6detail17trampoline_kernelINS0_14default_configENS1_37merge_sort_block_sort_config_selectorIlNS0_10empty_typeEEEZNS1_21merge_sort_block_sortIS3_PlS8_PS5_S9_ZN2at6native12_GLOBAL__N_124unique_dim_cuda_templateIiEESt5tupleIJNSA_6TensorESF_SF_EERKSF_lbbbEUlllE_EE10hipError_tT0_T1_T2_T3_mRjT4_P12ihipStream_tbNS1_7vsmem_tEEUlT_E_NS1_11comp_targetILNS1_3genE9ELNS1_11target_archE1100ELNS1_3gpuE3ELNS1_3repE0EEENS1_30default_config_static_selectorELNS0_4arch9wavefront6targetE0EEEvSM_,comdat
	.globl	_ZN7rocprim17ROCPRIM_400000_NS6detail17trampoline_kernelINS0_14default_configENS1_37merge_sort_block_sort_config_selectorIlNS0_10empty_typeEEEZNS1_21merge_sort_block_sortIS3_PlS8_PS5_S9_ZN2at6native12_GLOBAL__N_124unique_dim_cuda_templateIiEESt5tupleIJNSA_6TensorESF_SF_EERKSF_lbbbEUlllE_EE10hipError_tT0_T1_T2_T3_mRjT4_P12ihipStream_tbNS1_7vsmem_tEEUlT_E_NS1_11comp_targetILNS1_3genE9ELNS1_11target_archE1100ELNS1_3gpuE3ELNS1_3repE0EEENS1_30default_config_static_selectorELNS0_4arch9wavefront6targetE0EEEvSM_ ; -- Begin function _ZN7rocprim17ROCPRIM_400000_NS6detail17trampoline_kernelINS0_14default_configENS1_37merge_sort_block_sort_config_selectorIlNS0_10empty_typeEEEZNS1_21merge_sort_block_sortIS3_PlS8_PS5_S9_ZN2at6native12_GLOBAL__N_124unique_dim_cuda_templateIiEESt5tupleIJNSA_6TensorESF_SF_EERKSF_lbbbEUlllE_EE10hipError_tT0_T1_T2_T3_mRjT4_P12ihipStream_tbNS1_7vsmem_tEEUlT_E_NS1_11comp_targetILNS1_3genE9ELNS1_11target_archE1100ELNS1_3gpuE3ELNS1_3repE0EEENS1_30default_config_static_selectorELNS0_4arch9wavefront6targetE0EEEvSM_
	.p2align	8
	.type	_ZN7rocprim17ROCPRIM_400000_NS6detail17trampoline_kernelINS0_14default_configENS1_37merge_sort_block_sort_config_selectorIlNS0_10empty_typeEEEZNS1_21merge_sort_block_sortIS3_PlS8_PS5_S9_ZN2at6native12_GLOBAL__N_124unique_dim_cuda_templateIiEESt5tupleIJNSA_6TensorESF_SF_EERKSF_lbbbEUlllE_EE10hipError_tT0_T1_T2_T3_mRjT4_P12ihipStream_tbNS1_7vsmem_tEEUlT_E_NS1_11comp_targetILNS1_3genE9ELNS1_11target_archE1100ELNS1_3gpuE3ELNS1_3repE0EEENS1_30default_config_static_selectorELNS0_4arch9wavefront6targetE0EEEvSM_,@function
_ZN7rocprim17ROCPRIM_400000_NS6detail17trampoline_kernelINS0_14default_configENS1_37merge_sort_block_sort_config_selectorIlNS0_10empty_typeEEEZNS1_21merge_sort_block_sortIS3_PlS8_PS5_S9_ZN2at6native12_GLOBAL__N_124unique_dim_cuda_templateIiEESt5tupleIJNSA_6TensorESF_SF_EERKSF_lbbbEUlllE_EE10hipError_tT0_T1_T2_T3_mRjT4_P12ihipStream_tbNS1_7vsmem_tEEUlT_E_NS1_11comp_targetILNS1_3genE9ELNS1_11target_archE1100ELNS1_3gpuE3ELNS1_3repE0EEENS1_30default_config_static_selectorELNS0_4arch9wavefront6targetE0EEEvSM_: ; @_ZN7rocprim17ROCPRIM_400000_NS6detail17trampoline_kernelINS0_14default_configENS1_37merge_sort_block_sort_config_selectorIlNS0_10empty_typeEEEZNS1_21merge_sort_block_sortIS3_PlS8_PS5_S9_ZN2at6native12_GLOBAL__N_124unique_dim_cuda_templateIiEESt5tupleIJNSA_6TensorESF_SF_EERKSF_lbbbEUlllE_EE10hipError_tT0_T1_T2_T3_mRjT4_P12ihipStream_tbNS1_7vsmem_tEEUlT_E_NS1_11comp_targetILNS1_3genE9ELNS1_11target_archE1100ELNS1_3gpuE3ELNS1_3repE0EEENS1_30default_config_static_selectorELNS0_4arch9wavefront6targetE0EEEvSM_
; %bb.0:
	.section	.rodata,"a",@progbits
	.p2align	6, 0x0
	.amdhsa_kernel _ZN7rocprim17ROCPRIM_400000_NS6detail17trampoline_kernelINS0_14default_configENS1_37merge_sort_block_sort_config_selectorIlNS0_10empty_typeEEEZNS1_21merge_sort_block_sortIS3_PlS8_PS5_S9_ZN2at6native12_GLOBAL__N_124unique_dim_cuda_templateIiEESt5tupleIJNSA_6TensorESF_SF_EERKSF_lbbbEUlllE_EE10hipError_tT0_T1_T2_T3_mRjT4_P12ihipStream_tbNS1_7vsmem_tEEUlT_E_NS1_11comp_targetILNS1_3genE9ELNS1_11target_archE1100ELNS1_3gpuE3ELNS1_3repE0EEENS1_30default_config_static_selectorELNS0_4arch9wavefront6targetE0EEEvSM_
		.amdhsa_group_segment_fixed_size 0
		.amdhsa_private_segment_fixed_size 0
		.amdhsa_kernarg_size 72
		.amdhsa_user_sgpr_count 2
		.amdhsa_user_sgpr_dispatch_ptr 0
		.amdhsa_user_sgpr_queue_ptr 0
		.amdhsa_user_sgpr_kernarg_segment_ptr 1
		.amdhsa_user_sgpr_dispatch_id 0
		.amdhsa_user_sgpr_kernarg_preload_length 0
		.amdhsa_user_sgpr_kernarg_preload_offset 0
		.amdhsa_user_sgpr_private_segment_size 0
		.amdhsa_wavefront_size32 1
		.amdhsa_uses_dynamic_stack 0
		.amdhsa_enable_private_segment 0
		.amdhsa_system_sgpr_workgroup_id_x 1
		.amdhsa_system_sgpr_workgroup_id_y 0
		.amdhsa_system_sgpr_workgroup_id_z 0
		.amdhsa_system_sgpr_workgroup_info 0
		.amdhsa_system_vgpr_workitem_id 0
		.amdhsa_next_free_vgpr 1
		.amdhsa_next_free_sgpr 1
		.amdhsa_named_barrier_count 0
		.amdhsa_reserve_vcc 0
		.amdhsa_float_round_mode_32 0
		.amdhsa_float_round_mode_16_64 0
		.amdhsa_float_denorm_mode_32 3
		.amdhsa_float_denorm_mode_16_64 3
		.amdhsa_fp16_overflow 0
		.amdhsa_memory_ordered 1
		.amdhsa_forward_progress 1
		.amdhsa_inst_pref_size 0
		.amdhsa_round_robin_scheduling 0
		.amdhsa_exception_fp_ieee_invalid_op 0
		.amdhsa_exception_fp_denorm_src 0
		.amdhsa_exception_fp_ieee_div_zero 0
		.amdhsa_exception_fp_ieee_overflow 0
		.amdhsa_exception_fp_ieee_underflow 0
		.amdhsa_exception_fp_ieee_inexact 0
		.amdhsa_exception_int_div_zero 0
	.end_amdhsa_kernel
	.section	.text._ZN7rocprim17ROCPRIM_400000_NS6detail17trampoline_kernelINS0_14default_configENS1_37merge_sort_block_sort_config_selectorIlNS0_10empty_typeEEEZNS1_21merge_sort_block_sortIS3_PlS8_PS5_S9_ZN2at6native12_GLOBAL__N_124unique_dim_cuda_templateIiEESt5tupleIJNSA_6TensorESF_SF_EERKSF_lbbbEUlllE_EE10hipError_tT0_T1_T2_T3_mRjT4_P12ihipStream_tbNS1_7vsmem_tEEUlT_E_NS1_11comp_targetILNS1_3genE9ELNS1_11target_archE1100ELNS1_3gpuE3ELNS1_3repE0EEENS1_30default_config_static_selectorELNS0_4arch9wavefront6targetE0EEEvSM_,"axG",@progbits,_ZN7rocprim17ROCPRIM_400000_NS6detail17trampoline_kernelINS0_14default_configENS1_37merge_sort_block_sort_config_selectorIlNS0_10empty_typeEEEZNS1_21merge_sort_block_sortIS3_PlS8_PS5_S9_ZN2at6native12_GLOBAL__N_124unique_dim_cuda_templateIiEESt5tupleIJNSA_6TensorESF_SF_EERKSF_lbbbEUlllE_EE10hipError_tT0_T1_T2_T3_mRjT4_P12ihipStream_tbNS1_7vsmem_tEEUlT_E_NS1_11comp_targetILNS1_3genE9ELNS1_11target_archE1100ELNS1_3gpuE3ELNS1_3repE0EEENS1_30default_config_static_selectorELNS0_4arch9wavefront6targetE0EEEvSM_,comdat
.Lfunc_end390:
	.size	_ZN7rocprim17ROCPRIM_400000_NS6detail17trampoline_kernelINS0_14default_configENS1_37merge_sort_block_sort_config_selectorIlNS0_10empty_typeEEEZNS1_21merge_sort_block_sortIS3_PlS8_PS5_S9_ZN2at6native12_GLOBAL__N_124unique_dim_cuda_templateIiEESt5tupleIJNSA_6TensorESF_SF_EERKSF_lbbbEUlllE_EE10hipError_tT0_T1_T2_T3_mRjT4_P12ihipStream_tbNS1_7vsmem_tEEUlT_E_NS1_11comp_targetILNS1_3genE9ELNS1_11target_archE1100ELNS1_3gpuE3ELNS1_3repE0EEENS1_30default_config_static_selectorELNS0_4arch9wavefront6targetE0EEEvSM_, .Lfunc_end390-_ZN7rocprim17ROCPRIM_400000_NS6detail17trampoline_kernelINS0_14default_configENS1_37merge_sort_block_sort_config_selectorIlNS0_10empty_typeEEEZNS1_21merge_sort_block_sortIS3_PlS8_PS5_S9_ZN2at6native12_GLOBAL__N_124unique_dim_cuda_templateIiEESt5tupleIJNSA_6TensorESF_SF_EERKSF_lbbbEUlllE_EE10hipError_tT0_T1_T2_T3_mRjT4_P12ihipStream_tbNS1_7vsmem_tEEUlT_E_NS1_11comp_targetILNS1_3genE9ELNS1_11target_archE1100ELNS1_3gpuE3ELNS1_3repE0EEENS1_30default_config_static_selectorELNS0_4arch9wavefront6targetE0EEEvSM_
                                        ; -- End function
	.set _ZN7rocprim17ROCPRIM_400000_NS6detail17trampoline_kernelINS0_14default_configENS1_37merge_sort_block_sort_config_selectorIlNS0_10empty_typeEEEZNS1_21merge_sort_block_sortIS3_PlS8_PS5_S9_ZN2at6native12_GLOBAL__N_124unique_dim_cuda_templateIiEESt5tupleIJNSA_6TensorESF_SF_EERKSF_lbbbEUlllE_EE10hipError_tT0_T1_T2_T3_mRjT4_P12ihipStream_tbNS1_7vsmem_tEEUlT_E_NS1_11comp_targetILNS1_3genE9ELNS1_11target_archE1100ELNS1_3gpuE3ELNS1_3repE0EEENS1_30default_config_static_selectorELNS0_4arch9wavefront6targetE0EEEvSM_.num_vgpr, 0
	.set _ZN7rocprim17ROCPRIM_400000_NS6detail17trampoline_kernelINS0_14default_configENS1_37merge_sort_block_sort_config_selectorIlNS0_10empty_typeEEEZNS1_21merge_sort_block_sortIS3_PlS8_PS5_S9_ZN2at6native12_GLOBAL__N_124unique_dim_cuda_templateIiEESt5tupleIJNSA_6TensorESF_SF_EERKSF_lbbbEUlllE_EE10hipError_tT0_T1_T2_T3_mRjT4_P12ihipStream_tbNS1_7vsmem_tEEUlT_E_NS1_11comp_targetILNS1_3genE9ELNS1_11target_archE1100ELNS1_3gpuE3ELNS1_3repE0EEENS1_30default_config_static_selectorELNS0_4arch9wavefront6targetE0EEEvSM_.num_agpr, 0
	.set _ZN7rocprim17ROCPRIM_400000_NS6detail17trampoline_kernelINS0_14default_configENS1_37merge_sort_block_sort_config_selectorIlNS0_10empty_typeEEEZNS1_21merge_sort_block_sortIS3_PlS8_PS5_S9_ZN2at6native12_GLOBAL__N_124unique_dim_cuda_templateIiEESt5tupleIJNSA_6TensorESF_SF_EERKSF_lbbbEUlllE_EE10hipError_tT0_T1_T2_T3_mRjT4_P12ihipStream_tbNS1_7vsmem_tEEUlT_E_NS1_11comp_targetILNS1_3genE9ELNS1_11target_archE1100ELNS1_3gpuE3ELNS1_3repE0EEENS1_30default_config_static_selectorELNS0_4arch9wavefront6targetE0EEEvSM_.numbered_sgpr, 0
	.set _ZN7rocprim17ROCPRIM_400000_NS6detail17trampoline_kernelINS0_14default_configENS1_37merge_sort_block_sort_config_selectorIlNS0_10empty_typeEEEZNS1_21merge_sort_block_sortIS3_PlS8_PS5_S9_ZN2at6native12_GLOBAL__N_124unique_dim_cuda_templateIiEESt5tupleIJNSA_6TensorESF_SF_EERKSF_lbbbEUlllE_EE10hipError_tT0_T1_T2_T3_mRjT4_P12ihipStream_tbNS1_7vsmem_tEEUlT_E_NS1_11comp_targetILNS1_3genE9ELNS1_11target_archE1100ELNS1_3gpuE3ELNS1_3repE0EEENS1_30default_config_static_selectorELNS0_4arch9wavefront6targetE0EEEvSM_.num_named_barrier, 0
	.set _ZN7rocprim17ROCPRIM_400000_NS6detail17trampoline_kernelINS0_14default_configENS1_37merge_sort_block_sort_config_selectorIlNS0_10empty_typeEEEZNS1_21merge_sort_block_sortIS3_PlS8_PS5_S9_ZN2at6native12_GLOBAL__N_124unique_dim_cuda_templateIiEESt5tupleIJNSA_6TensorESF_SF_EERKSF_lbbbEUlllE_EE10hipError_tT0_T1_T2_T3_mRjT4_P12ihipStream_tbNS1_7vsmem_tEEUlT_E_NS1_11comp_targetILNS1_3genE9ELNS1_11target_archE1100ELNS1_3gpuE3ELNS1_3repE0EEENS1_30default_config_static_selectorELNS0_4arch9wavefront6targetE0EEEvSM_.private_seg_size, 0
	.set _ZN7rocprim17ROCPRIM_400000_NS6detail17trampoline_kernelINS0_14default_configENS1_37merge_sort_block_sort_config_selectorIlNS0_10empty_typeEEEZNS1_21merge_sort_block_sortIS3_PlS8_PS5_S9_ZN2at6native12_GLOBAL__N_124unique_dim_cuda_templateIiEESt5tupleIJNSA_6TensorESF_SF_EERKSF_lbbbEUlllE_EE10hipError_tT0_T1_T2_T3_mRjT4_P12ihipStream_tbNS1_7vsmem_tEEUlT_E_NS1_11comp_targetILNS1_3genE9ELNS1_11target_archE1100ELNS1_3gpuE3ELNS1_3repE0EEENS1_30default_config_static_selectorELNS0_4arch9wavefront6targetE0EEEvSM_.uses_vcc, 0
	.set _ZN7rocprim17ROCPRIM_400000_NS6detail17trampoline_kernelINS0_14default_configENS1_37merge_sort_block_sort_config_selectorIlNS0_10empty_typeEEEZNS1_21merge_sort_block_sortIS3_PlS8_PS5_S9_ZN2at6native12_GLOBAL__N_124unique_dim_cuda_templateIiEESt5tupleIJNSA_6TensorESF_SF_EERKSF_lbbbEUlllE_EE10hipError_tT0_T1_T2_T3_mRjT4_P12ihipStream_tbNS1_7vsmem_tEEUlT_E_NS1_11comp_targetILNS1_3genE9ELNS1_11target_archE1100ELNS1_3gpuE3ELNS1_3repE0EEENS1_30default_config_static_selectorELNS0_4arch9wavefront6targetE0EEEvSM_.uses_flat_scratch, 0
	.set _ZN7rocprim17ROCPRIM_400000_NS6detail17trampoline_kernelINS0_14default_configENS1_37merge_sort_block_sort_config_selectorIlNS0_10empty_typeEEEZNS1_21merge_sort_block_sortIS3_PlS8_PS5_S9_ZN2at6native12_GLOBAL__N_124unique_dim_cuda_templateIiEESt5tupleIJNSA_6TensorESF_SF_EERKSF_lbbbEUlllE_EE10hipError_tT0_T1_T2_T3_mRjT4_P12ihipStream_tbNS1_7vsmem_tEEUlT_E_NS1_11comp_targetILNS1_3genE9ELNS1_11target_archE1100ELNS1_3gpuE3ELNS1_3repE0EEENS1_30default_config_static_selectorELNS0_4arch9wavefront6targetE0EEEvSM_.has_dyn_sized_stack, 0
	.set _ZN7rocprim17ROCPRIM_400000_NS6detail17trampoline_kernelINS0_14default_configENS1_37merge_sort_block_sort_config_selectorIlNS0_10empty_typeEEEZNS1_21merge_sort_block_sortIS3_PlS8_PS5_S9_ZN2at6native12_GLOBAL__N_124unique_dim_cuda_templateIiEESt5tupleIJNSA_6TensorESF_SF_EERKSF_lbbbEUlllE_EE10hipError_tT0_T1_T2_T3_mRjT4_P12ihipStream_tbNS1_7vsmem_tEEUlT_E_NS1_11comp_targetILNS1_3genE9ELNS1_11target_archE1100ELNS1_3gpuE3ELNS1_3repE0EEENS1_30default_config_static_selectorELNS0_4arch9wavefront6targetE0EEEvSM_.has_recursion, 0
	.set _ZN7rocprim17ROCPRIM_400000_NS6detail17trampoline_kernelINS0_14default_configENS1_37merge_sort_block_sort_config_selectorIlNS0_10empty_typeEEEZNS1_21merge_sort_block_sortIS3_PlS8_PS5_S9_ZN2at6native12_GLOBAL__N_124unique_dim_cuda_templateIiEESt5tupleIJNSA_6TensorESF_SF_EERKSF_lbbbEUlllE_EE10hipError_tT0_T1_T2_T3_mRjT4_P12ihipStream_tbNS1_7vsmem_tEEUlT_E_NS1_11comp_targetILNS1_3genE9ELNS1_11target_archE1100ELNS1_3gpuE3ELNS1_3repE0EEENS1_30default_config_static_selectorELNS0_4arch9wavefront6targetE0EEEvSM_.has_indirect_call, 0
	.section	.AMDGPU.csdata,"",@progbits
; Kernel info:
; codeLenInByte = 0
; TotalNumSgprs: 0
; NumVgprs: 0
; ScratchSize: 0
; MemoryBound: 0
; FloatMode: 240
; IeeeMode: 1
; LDSByteSize: 0 bytes/workgroup (compile time only)
; SGPRBlocks: 0
; VGPRBlocks: 0
; NumSGPRsForWavesPerEU: 1
; NumVGPRsForWavesPerEU: 1
; NamedBarCnt: 0
; Occupancy: 16
; WaveLimiterHint : 0
; COMPUTE_PGM_RSRC2:SCRATCH_EN: 0
; COMPUTE_PGM_RSRC2:USER_SGPR: 2
; COMPUTE_PGM_RSRC2:TRAP_HANDLER: 0
; COMPUTE_PGM_RSRC2:TGID_X_EN: 1
; COMPUTE_PGM_RSRC2:TGID_Y_EN: 0
; COMPUTE_PGM_RSRC2:TGID_Z_EN: 0
; COMPUTE_PGM_RSRC2:TIDIG_COMP_CNT: 0
	.section	.text._ZN7rocprim17ROCPRIM_400000_NS6detail17trampoline_kernelINS0_14default_configENS1_37merge_sort_block_sort_config_selectorIlNS0_10empty_typeEEEZNS1_21merge_sort_block_sortIS3_PlS8_PS5_S9_ZN2at6native12_GLOBAL__N_124unique_dim_cuda_templateIiEESt5tupleIJNSA_6TensorESF_SF_EERKSF_lbbbEUlllE_EE10hipError_tT0_T1_T2_T3_mRjT4_P12ihipStream_tbNS1_7vsmem_tEEUlT_E_NS1_11comp_targetILNS1_3genE8ELNS1_11target_archE1030ELNS1_3gpuE2ELNS1_3repE0EEENS1_30default_config_static_selectorELNS0_4arch9wavefront6targetE0EEEvSM_,"axG",@progbits,_ZN7rocprim17ROCPRIM_400000_NS6detail17trampoline_kernelINS0_14default_configENS1_37merge_sort_block_sort_config_selectorIlNS0_10empty_typeEEEZNS1_21merge_sort_block_sortIS3_PlS8_PS5_S9_ZN2at6native12_GLOBAL__N_124unique_dim_cuda_templateIiEESt5tupleIJNSA_6TensorESF_SF_EERKSF_lbbbEUlllE_EE10hipError_tT0_T1_T2_T3_mRjT4_P12ihipStream_tbNS1_7vsmem_tEEUlT_E_NS1_11comp_targetILNS1_3genE8ELNS1_11target_archE1030ELNS1_3gpuE2ELNS1_3repE0EEENS1_30default_config_static_selectorELNS0_4arch9wavefront6targetE0EEEvSM_,comdat
	.globl	_ZN7rocprim17ROCPRIM_400000_NS6detail17trampoline_kernelINS0_14default_configENS1_37merge_sort_block_sort_config_selectorIlNS0_10empty_typeEEEZNS1_21merge_sort_block_sortIS3_PlS8_PS5_S9_ZN2at6native12_GLOBAL__N_124unique_dim_cuda_templateIiEESt5tupleIJNSA_6TensorESF_SF_EERKSF_lbbbEUlllE_EE10hipError_tT0_T1_T2_T3_mRjT4_P12ihipStream_tbNS1_7vsmem_tEEUlT_E_NS1_11comp_targetILNS1_3genE8ELNS1_11target_archE1030ELNS1_3gpuE2ELNS1_3repE0EEENS1_30default_config_static_selectorELNS0_4arch9wavefront6targetE0EEEvSM_ ; -- Begin function _ZN7rocprim17ROCPRIM_400000_NS6detail17trampoline_kernelINS0_14default_configENS1_37merge_sort_block_sort_config_selectorIlNS0_10empty_typeEEEZNS1_21merge_sort_block_sortIS3_PlS8_PS5_S9_ZN2at6native12_GLOBAL__N_124unique_dim_cuda_templateIiEESt5tupleIJNSA_6TensorESF_SF_EERKSF_lbbbEUlllE_EE10hipError_tT0_T1_T2_T3_mRjT4_P12ihipStream_tbNS1_7vsmem_tEEUlT_E_NS1_11comp_targetILNS1_3genE8ELNS1_11target_archE1030ELNS1_3gpuE2ELNS1_3repE0EEENS1_30default_config_static_selectorELNS0_4arch9wavefront6targetE0EEEvSM_
	.p2align	8
	.type	_ZN7rocprim17ROCPRIM_400000_NS6detail17trampoline_kernelINS0_14default_configENS1_37merge_sort_block_sort_config_selectorIlNS0_10empty_typeEEEZNS1_21merge_sort_block_sortIS3_PlS8_PS5_S9_ZN2at6native12_GLOBAL__N_124unique_dim_cuda_templateIiEESt5tupleIJNSA_6TensorESF_SF_EERKSF_lbbbEUlllE_EE10hipError_tT0_T1_T2_T3_mRjT4_P12ihipStream_tbNS1_7vsmem_tEEUlT_E_NS1_11comp_targetILNS1_3genE8ELNS1_11target_archE1030ELNS1_3gpuE2ELNS1_3repE0EEENS1_30default_config_static_selectorELNS0_4arch9wavefront6targetE0EEEvSM_,@function
_ZN7rocprim17ROCPRIM_400000_NS6detail17trampoline_kernelINS0_14default_configENS1_37merge_sort_block_sort_config_selectorIlNS0_10empty_typeEEEZNS1_21merge_sort_block_sortIS3_PlS8_PS5_S9_ZN2at6native12_GLOBAL__N_124unique_dim_cuda_templateIiEESt5tupleIJNSA_6TensorESF_SF_EERKSF_lbbbEUlllE_EE10hipError_tT0_T1_T2_T3_mRjT4_P12ihipStream_tbNS1_7vsmem_tEEUlT_E_NS1_11comp_targetILNS1_3genE8ELNS1_11target_archE1030ELNS1_3gpuE2ELNS1_3repE0EEENS1_30default_config_static_selectorELNS0_4arch9wavefront6targetE0EEEvSM_: ; @_ZN7rocprim17ROCPRIM_400000_NS6detail17trampoline_kernelINS0_14default_configENS1_37merge_sort_block_sort_config_selectorIlNS0_10empty_typeEEEZNS1_21merge_sort_block_sortIS3_PlS8_PS5_S9_ZN2at6native12_GLOBAL__N_124unique_dim_cuda_templateIiEESt5tupleIJNSA_6TensorESF_SF_EERKSF_lbbbEUlllE_EE10hipError_tT0_T1_T2_T3_mRjT4_P12ihipStream_tbNS1_7vsmem_tEEUlT_E_NS1_11comp_targetILNS1_3genE8ELNS1_11target_archE1030ELNS1_3gpuE2ELNS1_3repE0EEENS1_30default_config_static_selectorELNS0_4arch9wavefront6targetE0EEEvSM_
; %bb.0:
	.section	.rodata,"a",@progbits
	.p2align	6, 0x0
	.amdhsa_kernel _ZN7rocprim17ROCPRIM_400000_NS6detail17trampoline_kernelINS0_14default_configENS1_37merge_sort_block_sort_config_selectorIlNS0_10empty_typeEEEZNS1_21merge_sort_block_sortIS3_PlS8_PS5_S9_ZN2at6native12_GLOBAL__N_124unique_dim_cuda_templateIiEESt5tupleIJNSA_6TensorESF_SF_EERKSF_lbbbEUlllE_EE10hipError_tT0_T1_T2_T3_mRjT4_P12ihipStream_tbNS1_7vsmem_tEEUlT_E_NS1_11comp_targetILNS1_3genE8ELNS1_11target_archE1030ELNS1_3gpuE2ELNS1_3repE0EEENS1_30default_config_static_selectorELNS0_4arch9wavefront6targetE0EEEvSM_
		.amdhsa_group_segment_fixed_size 0
		.amdhsa_private_segment_fixed_size 0
		.amdhsa_kernarg_size 72
		.amdhsa_user_sgpr_count 2
		.amdhsa_user_sgpr_dispatch_ptr 0
		.amdhsa_user_sgpr_queue_ptr 0
		.amdhsa_user_sgpr_kernarg_segment_ptr 1
		.amdhsa_user_sgpr_dispatch_id 0
		.amdhsa_user_sgpr_kernarg_preload_length 0
		.amdhsa_user_sgpr_kernarg_preload_offset 0
		.amdhsa_user_sgpr_private_segment_size 0
		.amdhsa_wavefront_size32 1
		.amdhsa_uses_dynamic_stack 0
		.amdhsa_enable_private_segment 0
		.amdhsa_system_sgpr_workgroup_id_x 1
		.amdhsa_system_sgpr_workgroup_id_y 0
		.amdhsa_system_sgpr_workgroup_id_z 0
		.amdhsa_system_sgpr_workgroup_info 0
		.amdhsa_system_vgpr_workitem_id 0
		.amdhsa_next_free_vgpr 1
		.amdhsa_next_free_sgpr 1
		.amdhsa_named_barrier_count 0
		.amdhsa_reserve_vcc 0
		.amdhsa_float_round_mode_32 0
		.amdhsa_float_round_mode_16_64 0
		.amdhsa_float_denorm_mode_32 3
		.amdhsa_float_denorm_mode_16_64 3
		.amdhsa_fp16_overflow 0
		.amdhsa_memory_ordered 1
		.amdhsa_forward_progress 1
		.amdhsa_inst_pref_size 0
		.amdhsa_round_robin_scheduling 0
		.amdhsa_exception_fp_ieee_invalid_op 0
		.amdhsa_exception_fp_denorm_src 0
		.amdhsa_exception_fp_ieee_div_zero 0
		.amdhsa_exception_fp_ieee_overflow 0
		.amdhsa_exception_fp_ieee_underflow 0
		.amdhsa_exception_fp_ieee_inexact 0
		.amdhsa_exception_int_div_zero 0
	.end_amdhsa_kernel
	.section	.text._ZN7rocprim17ROCPRIM_400000_NS6detail17trampoline_kernelINS0_14default_configENS1_37merge_sort_block_sort_config_selectorIlNS0_10empty_typeEEEZNS1_21merge_sort_block_sortIS3_PlS8_PS5_S9_ZN2at6native12_GLOBAL__N_124unique_dim_cuda_templateIiEESt5tupleIJNSA_6TensorESF_SF_EERKSF_lbbbEUlllE_EE10hipError_tT0_T1_T2_T3_mRjT4_P12ihipStream_tbNS1_7vsmem_tEEUlT_E_NS1_11comp_targetILNS1_3genE8ELNS1_11target_archE1030ELNS1_3gpuE2ELNS1_3repE0EEENS1_30default_config_static_selectorELNS0_4arch9wavefront6targetE0EEEvSM_,"axG",@progbits,_ZN7rocprim17ROCPRIM_400000_NS6detail17trampoline_kernelINS0_14default_configENS1_37merge_sort_block_sort_config_selectorIlNS0_10empty_typeEEEZNS1_21merge_sort_block_sortIS3_PlS8_PS5_S9_ZN2at6native12_GLOBAL__N_124unique_dim_cuda_templateIiEESt5tupleIJNSA_6TensorESF_SF_EERKSF_lbbbEUlllE_EE10hipError_tT0_T1_T2_T3_mRjT4_P12ihipStream_tbNS1_7vsmem_tEEUlT_E_NS1_11comp_targetILNS1_3genE8ELNS1_11target_archE1030ELNS1_3gpuE2ELNS1_3repE0EEENS1_30default_config_static_selectorELNS0_4arch9wavefront6targetE0EEEvSM_,comdat
.Lfunc_end391:
	.size	_ZN7rocprim17ROCPRIM_400000_NS6detail17trampoline_kernelINS0_14default_configENS1_37merge_sort_block_sort_config_selectorIlNS0_10empty_typeEEEZNS1_21merge_sort_block_sortIS3_PlS8_PS5_S9_ZN2at6native12_GLOBAL__N_124unique_dim_cuda_templateIiEESt5tupleIJNSA_6TensorESF_SF_EERKSF_lbbbEUlllE_EE10hipError_tT0_T1_T2_T3_mRjT4_P12ihipStream_tbNS1_7vsmem_tEEUlT_E_NS1_11comp_targetILNS1_3genE8ELNS1_11target_archE1030ELNS1_3gpuE2ELNS1_3repE0EEENS1_30default_config_static_selectorELNS0_4arch9wavefront6targetE0EEEvSM_, .Lfunc_end391-_ZN7rocprim17ROCPRIM_400000_NS6detail17trampoline_kernelINS0_14default_configENS1_37merge_sort_block_sort_config_selectorIlNS0_10empty_typeEEEZNS1_21merge_sort_block_sortIS3_PlS8_PS5_S9_ZN2at6native12_GLOBAL__N_124unique_dim_cuda_templateIiEESt5tupleIJNSA_6TensorESF_SF_EERKSF_lbbbEUlllE_EE10hipError_tT0_T1_T2_T3_mRjT4_P12ihipStream_tbNS1_7vsmem_tEEUlT_E_NS1_11comp_targetILNS1_3genE8ELNS1_11target_archE1030ELNS1_3gpuE2ELNS1_3repE0EEENS1_30default_config_static_selectorELNS0_4arch9wavefront6targetE0EEEvSM_
                                        ; -- End function
	.set _ZN7rocprim17ROCPRIM_400000_NS6detail17trampoline_kernelINS0_14default_configENS1_37merge_sort_block_sort_config_selectorIlNS0_10empty_typeEEEZNS1_21merge_sort_block_sortIS3_PlS8_PS5_S9_ZN2at6native12_GLOBAL__N_124unique_dim_cuda_templateIiEESt5tupleIJNSA_6TensorESF_SF_EERKSF_lbbbEUlllE_EE10hipError_tT0_T1_T2_T3_mRjT4_P12ihipStream_tbNS1_7vsmem_tEEUlT_E_NS1_11comp_targetILNS1_3genE8ELNS1_11target_archE1030ELNS1_3gpuE2ELNS1_3repE0EEENS1_30default_config_static_selectorELNS0_4arch9wavefront6targetE0EEEvSM_.num_vgpr, 0
	.set _ZN7rocprim17ROCPRIM_400000_NS6detail17trampoline_kernelINS0_14default_configENS1_37merge_sort_block_sort_config_selectorIlNS0_10empty_typeEEEZNS1_21merge_sort_block_sortIS3_PlS8_PS5_S9_ZN2at6native12_GLOBAL__N_124unique_dim_cuda_templateIiEESt5tupleIJNSA_6TensorESF_SF_EERKSF_lbbbEUlllE_EE10hipError_tT0_T1_T2_T3_mRjT4_P12ihipStream_tbNS1_7vsmem_tEEUlT_E_NS1_11comp_targetILNS1_3genE8ELNS1_11target_archE1030ELNS1_3gpuE2ELNS1_3repE0EEENS1_30default_config_static_selectorELNS0_4arch9wavefront6targetE0EEEvSM_.num_agpr, 0
	.set _ZN7rocprim17ROCPRIM_400000_NS6detail17trampoline_kernelINS0_14default_configENS1_37merge_sort_block_sort_config_selectorIlNS0_10empty_typeEEEZNS1_21merge_sort_block_sortIS3_PlS8_PS5_S9_ZN2at6native12_GLOBAL__N_124unique_dim_cuda_templateIiEESt5tupleIJNSA_6TensorESF_SF_EERKSF_lbbbEUlllE_EE10hipError_tT0_T1_T2_T3_mRjT4_P12ihipStream_tbNS1_7vsmem_tEEUlT_E_NS1_11comp_targetILNS1_3genE8ELNS1_11target_archE1030ELNS1_3gpuE2ELNS1_3repE0EEENS1_30default_config_static_selectorELNS0_4arch9wavefront6targetE0EEEvSM_.numbered_sgpr, 0
	.set _ZN7rocprim17ROCPRIM_400000_NS6detail17trampoline_kernelINS0_14default_configENS1_37merge_sort_block_sort_config_selectorIlNS0_10empty_typeEEEZNS1_21merge_sort_block_sortIS3_PlS8_PS5_S9_ZN2at6native12_GLOBAL__N_124unique_dim_cuda_templateIiEESt5tupleIJNSA_6TensorESF_SF_EERKSF_lbbbEUlllE_EE10hipError_tT0_T1_T2_T3_mRjT4_P12ihipStream_tbNS1_7vsmem_tEEUlT_E_NS1_11comp_targetILNS1_3genE8ELNS1_11target_archE1030ELNS1_3gpuE2ELNS1_3repE0EEENS1_30default_config_static_selectorELNS0_4arch9wavefront6targetE0EEEvSM_.num_named_barrier, 0
	.set _ZN7rocprim17ROCPRIM_400000_NS6detail17trampoline_kernelINS0_14default_configENS1_37merge_sort_block_sort_config_selectorIlNS0_10empty_typeEEEZNS1_21merge_sort_block_sortIS3_PlS8_PS5_S9_ZN2at6native12_GLOBAL__N_124unique_dim_cuda_templateIiEESt5tupleIJNSA_6TensorESF_SF_EERKSF_lbbbEUlllE_EE10hipError_tT0_T1_T2_T3_mRjT4_P12ihipStream_tbNS1_7vsmem_tEEUlT_E_NS1_11comp_targetILNS1_3genE8ELNS1_11target_archE1030ELNS1_3gpuE2ELNS1_3repE0EEENS1_30default_config_static_selectorELNS0_4arch9wavefront6targetE0EEEvSM_.private_seg_size, 0
	.set _ZN7rocprim17ROCPRIM_400000_NS6detail17trampoline_kernelINS0_14default_configENS1_37merge_sort_block_sort_config_selectorIlNS0_10empty_typeEEEZNS1_21merge_sort_block_sortIS3_PlS8_PS5_S9_ZN2at6native12_GLOBAL__N_124unique_dim_cuda_templateIiEESt5tupleIJNSA_6TensorESF_SF_EERKSF_lbbbEUlllE_EE10hipError_tT0_T1_T2_T3_mRjT4_P12ihipStream_tbNS1_7vsmem_tEEUlT_E_NS1_11comp_targetILNS1_3genE8ELNS1_11target_archE1030ELNS1_3gpuE2ELNS1_3repE0EEENS1_30default_config_static_selectorELNS0_4arch9wavefront6targetE0EEEvSM_.uses_vcc, 0
	.set _ZN7rocprim17ROCPRIM_400000_NS6detail17trampoline_kernelINS0_14default_configENS1_37merge_sort_block_sort_config_selectorIlNS0_10empty_typeEEEZNS1_21merge_sort_block_sortIS3_PlS8_PS5_S9_ZN2at6native12_GLOBAL__N_124unique_dim_cuda_templateIiEESt5tupleIJNSA_6TensorESF_SF_EERKSF_lbbbEUlllE_EE10hipError_tT0_T1_T2_T3_mRjT4_P12ihipStream_tbNS1_7vsmem_tEEUlT_E_NS1_11comp_targetILNS1_3genE8ELNS1_11target_archE1030ELNS1_3gpuE2ELNS1_3repE0EEENS1_30default_config_static_selectorELNS0_4arch9wavefront6targetE0EEEvSM_.uses_flat_scratch, 0
	.set _ZN7rocprim17ROCPRIM_400000_NS6detail17trampoline_kernelINS0_14default_configENS1_37merge_sort_block_sort_config_selectorIlNS0_10empty_typeEEEZNS1_21merge_sort_block_sortIS3_PlS8_PS5_S9_ZN2at6native12_GLOBAL__N_124unique_dim_cuda_templateIiEESt5tupleIJNSA_6TensorESF_SF_EERKSF_lbbbEUlllE_EE10hipError_tT0_T1_T2_T3_mRjT4_P12ihipStream_tbNS1_7vsmem_tEEUlT_E_NS1_11comp_targetILNS1_3genE8ELNS1_11target_archE1030ELNS1_3gpuE2ELNS1_3repE0EEENS1_30default_config_static_selectorELNS0_4arch9wavefront6targetE0EEEvSM_.has_dyn_sized_stack, 0
	.set _ZN7rocprim17ROCPRIM_400000_NS6detail17trampoline_kernelINS0_14default_configENS1_37merge_sort_block_sort_config_selectorIlNS0_10empty_typeEEEZNS1_21merge_sort_block_sortIS3_PlS8_PS5_S9_ZN2at6native12_GLOBAL__N_124unique_dim_cuda_templateIiEESt5tupleIJNSA_6TensorESF_SF_EERKSF_lbbbEUlllE_EE10hipError_tT0_T1_T2_T3_mRjT4_P12ihipStream_tbNS1_7vsmem_tEEUlT_E_NS1_11comp_targetILNS1_3genE8ELNS1_11target_archE1030ELNS1_3gpuE2ELNS1_3repE0EEENS1_30default_config_static_selectorELNS0_4arch9wavefront6targetE0EEEvSM_.has_recursion, 0
	.set _ZN7rocprim17ROCPRIM_400000_NS6detail17trampoline_kernelINS0_14default_configENS1_37merge_sort_block_sort_config_selectorIlNS0_10empty_typeEEEZNS1_21merge_sort_block_sortIS3_PlS8_PS5_S9_ZN2at6native12_GLOBAL__N_124unique_dim_cuda_templateIiEESt5tupleIJNSA_6TensorESF_SF_EERKSF_lbbbEUlllE_EE10hipError_tT0_T1_T2_T3_mRjT4_P12ihipStream_tbNS1_7vsmem_tEEUlT_E_NS1_11comp_targetILNS1_3genE8ELNS1_11target_archE1030ELNS1_3gpuE2ELNS1_3repE0EEENS1_30default_config_static_selectorELNS0_4arch9wavefront6targetE0EEEvSM_.has_indirect_call, 0
	.section	.AMDGPU.csdata,"",@progbits
; Kernel info:
; codeLenInByte = 0
; TotalNumSgprs: 0
; NumVgprs: 0
; ScratchSize: 0
; MemoryBound: 0
; FloatMode: 240
; IeeeMode: 1
; LDSByteSize: 0 bytes/workgroup (compile time only)
; SGPRBlocks: 0
; VGPRBlocks: 0
; NumSGPRsForWavesPerEU: 1
; NumVGPRsForWavesPerEU: 1
; NamedBarCnt: 0
; Occupancy: 16
; WaveLimiterHint : 0
; COMPUTE_PGM_RSRC2:SCRATCH_EN: 0
; COMPUTE_PGM_RSRC2:USER_SGPR: 2
; COMPUTE_PGM_RSRC2:TRAP_HANDLER: 0
; COMPUTE_PGM_RSRC2:TGID_X_EN: 1
; COMPUTE_PGM_RSRC2:TGID_Y_EN: 0
; COMPUTE_PGM_RSRC2:TGID_Z_EN: 0
; COMPUTE_PGM_RSRC2:TIDIG_COMP_CNT: 0
	.section	.text._ZN7rocprim17ROCPRIM_400000_NS6detail17trampoline_kernelINS0_14default_configENS1_38merge_sort_block_merge_config_selectorIlNS0_10empty_typeEEEZZNS1_27merge_sort_block_merge_implIS3_PlPS5_mZN2at6native12_GLOBAL__N_124unique_dim_cuda_templateIiEESt5tupleIJNSA_6TensorESF_SF_EERKSF_lbbbEUlllE_EE10hipError_tT0_T1_T2_jT3_P12ihipStream_tbPNSt15iterator_traitsISL_E10value_typeEPNSR_ISM_E10value_typeEPSN_NS1_7vsmem_tEENKUlT_SL_SM_SN_E_clIS8_S8_S9_S9_EESK_S10_SL_SM_SN_EUlS10_E_NS1_11comp_targetILNS1_3genE0ELNS1_11target_archE4294967295ELNS1_3gpuE0ELNS1_3repE0EEENS1_48merge_mergepath_partition_config_static_selectorELNS0_4arch9wavefront6targetE0EEEvSM_,"axG",@progbits,_ZN7rocprim17ROCPRIM_400000_NS6detail17trampoline_kernelINS0_14default_configENS1_38merge_sort_block_merge_config_selectorIlNS0_10empty_typeEEEZZNS1_27merge_sort_block_merge_implIS3_PlPS5_mZN2at6native12_GLOBAL__N_124unique_dim_cuda_templateIiEESt5tupleIJNSA_6TensorESF_SF_EERKSF_lbbbEUlllE_EE10hipError_tT0_T1_T2_jT3_P12ihipStream_tbPNSt15iterator_traitsISL_E10value_typeEPNSR_ISM_E10value_typeEPSN_NS1_7vsmem_tEENKUlT_SL_SM_SN_E_clIS8_S8_S9_S9_EESK_S10_SL_SM_SN_EUlS10_E_NS1_11comp_targetILNS1_3genE0ELNS1_11target_archE4294967295ELNS1_3gpuE0ELNS1_3repE0EEENS1_48merge_mergepath_partition_config_static_selectorELNS0_4arch9wavefront6targetE0EEEvSM_,comdat
	.globl	_ZN7rocprim17ROCPRIM_400000_NS6detail17trampoline_kernelINS0_14default_configENS1_38merge_sort_block_merge_config_selectorIlNS0_10empty_typeEEEZZNS1_27merge_sort_block_merge_implIS3_PlPS5_mZN2at6native12_GLOBAL__N_124unique_dim_cuda_templateIiEESt5tupleIJNSA_6TensorESF_SF_EERKSF_lbbbEUlllE_EE10hipError_tT0_T1_T2_jT3_P12ihipStream_tbPNSt15iterator_traitsISL_E10value_typeEPNSR_ISM_E10value_typeEPSN_NS1_7vsmem_tEENKUlT_SL_SM_SN_E_clIS8_S8_S9_S9_EESK_S10_SL_SM_SN_EUlS10_E_NS1_11comp_targetILNS1_3genE0ELNS1_11target_archE4294967295ELNS1_3gpuE0ELNS1_3repE0EEENS1_48merge_mergepath_partition_config_static_selectorELNS0_4arch9wavefront6targetE0EEEvSM_ ; -- Begin function _ZN7rocprim17ROCPRIM_400000_NS6detail17trampoline_kernelINS0_14default_configENS1_38merge_sort_block_merge_config_selectorIlNS0_10empty_typeEEEZZNS1_27merge_sort_block_merge_implIS3_PlPS5_mZN2at6native12_GLOBAL__N_124unique_dim_cuda_templateIiEESt5tupleIJNSA_6TensorESF_SF_EERKSF_lbbbEUlllE_EE10hipError_tT0_T1_T2_jT3_P12ihipStream_tbPNSt15iterator_traitsISL_E10value_typeEPNSR_ISM_E10value_typeEPSN_NS1_7vsmem_tEENKUlT_SL_SM_SN_E_clIS8_S8_S9_S9_EESK_S10_SL_SM_SN_EUlS10_E_NS1_11comp_targetILNS1_3genE0ELNS1_11target_archE4294967295ELNS1_3gpuE0ELNS1_3repE0EEENS1_48merge_mergepath_partition_config_static_selectorELNS0_4arch9wavefront6targetE0EEEvSM_
	.p2align	8
	.type	_ZN7rocprim17ROCPRIM_400000_NS6detail17trampoline_kernelINS0_14default_configENS1_38merge_sort_block_merge_config_selectorIlNS0_10empty_typeEEEZZNS1_27merge_sort_block_merge_implIS3_PlPS5_mZN2at6native12_GLOBAL__N_124unique_dim_cuda_templateIiEESt5tupleIJNSA_6TensorESF_SF_EERKSF_lbbbEUlllE_EE10hipError_tT0_T1_T2_jT3_P12ihipStream_tbPNSt15iterator_traitsISL_E10value_typeEPNSR_ISM_E10value_typeEPSN_NS1_7vsmem_tEENKUlT_SL_SM_SN_E_clIS8_S8_S9_S9_EESK_S10_SL_SM_SN_EUlS10_E_NS1_11comp_targetILNS1_3genE0ELNS1_11target_archE4294967295ELNS1_3gpuE0ELNS1_3repE0EEENS1_48merge_mergepath_partition_config_static_selectorELNS0_4arch9wavefront6targetE0EEEvSM_,@function
_ZN7rocprim17ROCPRIM_400000_NS6detail17trampoline_kernelINS0_14default_configENS1_38merge_sort_block_merge_config_selectorIlNS0_10empty_typeEEEZZNS1_27merge_sort_block_merge_implIS3_PlPS5_mZN2at6native12_GLOBAL__N_124unique_dim_cuda_templateIiEESt5tupleIJNSA_6TensorESF_SF_EERKSF_lbbbEUlllE_EE10hipError_tT0_T1_T2_jT3_P12ihipStream_tbPNSt15iterator_traitsISL_E10value_typeEPNSR_ISM_E10value_typeEPSN_NS1_7vsmem_tEENKUlT_SL_SM_SN_E_clIS8_S8_S9_S9_EESK_S10_SL_SM_SN_EUlS10_E_NS1_11comp_targetILNS1_3genE0ELNS1_11target_archE4294967295ELNS1_3gpuE0ELNS1_3repE0EEENS1_48merge_mergepath_partition_config_static_selectorELNS0_4arch9wavefront6targetE0EEEvSM_: ; @_ZN7rocprim17ROCPRIM_400000_NS6detail17trampoline_kernelINS0_14default_configENS1_38merge_sort_block_merge_config_selectorIlNS0_10empty_typeEEEZZNS1_27merge_sort_block_merge_implIS3_PlPS5_mZN2at6native12_GLOBAL__N_124unique_dim_cuda_templateIiEESt5tupleIJNSA_6TensorESF_SF_EERKSF_lbbbEUlllE_EE10hipError_tT0_T1_T2_jT3_P12ihipStream_tbPNSt15iterator_traitsISL_E10value_typeEPNSR_ISM_E10value_typeEPSN_NS1_7vsmem_tEENKUlT_SL_SM_SN_E_clIS8_S8_S9_S9_EESK_S10_SL_SM_SN_EUlS10_E_NS1_11comp_targetILNS1_3genE0ELNS1_11target_archE4294967295ELNS1_3gpuE0ELNS1_3repE0EEENS1_48merge_mergepath_partition_config_static_selectorELNS0_4arch9wavefront6targetE0EEEvSM_
; %bb.0:
	s_load_b32 s2, s[0:1], 0x0
	s_bfe_u32 s3, ttmp6, 0x4000c
	s_and_b32 s4, ttmp6, 15
	s_add_co_i32 s3, s3, 1
	s_getreg_b32 s5, hwreg(HW_REG_IB_STS2, 6, 4)
	s_mul_i32 s3, ttmp9, s3
	s_delay_alu instid0(SALU_CYCLE_1) | instskip(SKIP_2) | instid1(SALU_CYCLE_1)
	s_add_co_i32 s4, s4, s3
	s_cmp_eq_u32 s5, 0
	s_cselect_b32 s3, ttmp9, s4
	v_lshl_or_b32 v16, s3, 7, v0
	s_wait_kmcnt 0x0
	s_delay_alu instid0(VALU_DEP_1)
	v_cmp_gt_u32_e32 vcc_lo, s2, v16
	s_and_saveexec_b32 s2, vcc_lo
	s_cbranch_execz .LBB392_12
; %bb.1:
	s_load_b128 s[4:7], s[0:1], 0x8
	s_wait_kmcnt 0x0
	s_lshr_b64 s[2:3], s[4:5], 9
	s_delay_alu instid0(SALU_CYCLE_1) | instskip(NEXT) | instid1(SALU_CYCLE_1)
	s_and_b32 s2, s2, -2
	s_sub_co_i32 s3, 0, s2
	s_delay_alu instid0(SALU_CYCLE_1) | instskip(SKIP_1) | instid1(VALU_DEP_1)
	v_dual_mov_b32 v3, 0 :: v_dual_bitop2_b32 v2, s3, v16 bitop3:0x40
	s_add_co_i32 s2, s2, -1
	v_lshlrev_b64_e32 v[0:1], 10, v[2:3]
	v_and_b32_e32 v2, s2, v16
	s_delay_alu instid0(VALU_DEP_1) | instskip(NEXT) | instid1(VALU_DEP_3)
	v_lshlrev_b64_e32 v[2:3], 10, v[2:3]
	v_add_nc_u64_e32 v[4:5], s[4:5], v[0:1]
	v_min_u64 v[0:1], s[6:7], v[0:1]
	s_delay_alu instid0(VALU_DEP_2) | instskip(NEXT) | instid1(VALU_DEP_1)
	v_min_u64 v[6:7], s[6:7], v[4:5]
	v_add_nc_u64_e32 v[4:5], s[4:5], v[6:7]
	s_delay_alu instid0(VALU_DEP_1) | instskip(SKIP_3) | instid1(VALU_DEP_1)
	v_min_u64 v[4:5], s[6:7], v[4:5]
	s_load_b256 s[4:11], s[0:1], 0x18
	s_wait_xcnt 0x0
	s_mov_b32 s1, exec_lo
	v_sub_nc_u64_e32 v[8:9], v[4:5], v[0:1]
	s_delay_alu instid0(VALU_DEP_1) | instskip(SKIP_2) | instid1(VALU_DEP_2)
	v_min_u64 v[8:9], v[8:9], v[2:3]
	v_sub_nc_u64_e32 v[2:3], v[4:5], v[6:7]
	v_sub_nc_u64_e32 v[4:5], v[6:7], v[0:1]
	v_max_u64 v[10:11], v[8:9], v[2:3]
	s_delay_alu instid0(VALU_DEP_2) | instskip(NEXT) | instid1(VALU_DEP_2)
	v_min_u64 v[4:5], v[8:9], v[4:5]
	v_sub_nc_u64_e32 v[2:3], v[10:11], v[2:3]
	s_delay_alu instid0(VALU_DEP_1)
	v_cmpx_lt_u64_e64 v[2:3], v[4:5]
	s_cbranch_execz .LBB392_11
; %bb.2:
	s_wait_kmcnt 0x0
	v_lshl_add_u64 v[10:11], v[6:7], 3, s[4:5]
	v_cmp_gt_i64_e64 s12, s[6:7], 0
	v_lshl_add_u64 v[6:7], v[0:1], 3, s[4:5]
	s_lshl_b64 s[2:3], s[6:7], 2
	s_mov_b32 s13, 0
	v_lshl_add_u64 v[8:9], v[8:9], 3, v[10:11]
	s_branch .LBB392_5
.LBB392_3:                              ;   in Loop: Header=BB392_5 Depth=1
	s_or_b32 exec_lo, exec_lo, s15
.LBB392_4:                              ;   in Loop: Header=BB392_5 Depth=1
	s_delay_alu instid0(VALU_DEP_1) | instskip(SKIP_1) | instid1(VALU_DEP_2)
	v_add_nc_u64_e32 v[12:13], 1, v[10:11]
	v_dual_cndmask_b32 v5, v5, v11, s14 :: v_dual_cndmask_b32 v4, v4, v10, s14
	v_dual_cndmask_b32 v3, v13, v3, s14 :: v_dual_cndmask_b32 v2, v12, v2, s14
	s_delay_alu instid0(VALU_DEP_1) | instskip(SKIP_1) | instid1(SALU_CYCLE_1)
	v_cmp_ge_u64_e32 vcc_lo, v[2:3], v[4:5]
	s_or_b32 s13, vcc_lo, s13
	s_and_not1_b32 exec_lo, exec_lo, s13
	s_cbranch_execz .LBB392_10
.LBB392_5:                              ; =>This Loop Header: Depth=1
                                        ;     Child Loop BB392_8 Depth 2
	v_add_nc_u64_e32 v[10:11], v[4:5], v[2:3]
	s_and_not1_b32 vcc_lo, exec_lo, s12
	s_mov_b32 s14, 0
	s_delay_alu instid0(VALU_DEP_1)
	v_lshrrev_b64 v[10:11], 1, v[10:11]
	s_cbranch_vccnz .LBB392_4
; %bb.6:                                ;   in Loop: Header=BB392_5 Depth=1
	s_delay_alu instid0(VALU_DEP_1) | instskip(NEXT) | instid1(VALU_DEP_2)
	v_not_b32_e32 v13, v11
	v_not_b32_e32 v12, v10
	v_lshl_add_u64 v[14:15], v[10:11], 3, v[6:7]
	s_mov_b32 s15, 0
	s_mov_b64 s[4:5], s[6:7]
                                        ; implicit-def: $sgpr14
                                        ; implicit-def: $sgpr16
                                        ; implicit-def: $sgpr17
                                        ; implicit-def: $sgpr18
	s_delay_alu instid0(VALU_DEP_2)
	v_lshl_add_u64 v[12:13], v[12:13], 3, v[8:9]
	s_clause 0x1
	global_load_b64 v[18:19], v[12:13], off
	global_load_b64 v[20:21], v[14:15], off
	s_wait_loadcnt 0x1
	s_wait_xcnt 0x1
	v_mad_nc_u64_u32 v[12:13], s2, v18, s[8:9]
	s_wait_loadcnt 0x0
	v_mad_nc_u64_u32 v[14:15], s2, v20, s[8:9]
	s_delay_alu instid0(VALU_DEP_2) | instskip(NEXT) | instid1(VALU_DEP_2)
	v_mad_u32 v13, s3, v18, v13
	v_mad_u32 v15, s3, v20, v15
	s_delay_alu instid0(VALU_DEP_2) | instskip(NEXT) | instid1(VALU_DEP_2)
	v_mad_u32 v13, s2, v19, v13
	v_mad_u32 v15, s2, v21, v15
	s_branch .LBB392_8
.LBB392_7:                              ;   in Loop: Header=BB392_8 Depth=2
	s_or_b32 exec_lo, exec_lo, s19
	s_delay_alu instid0(SALU_CYCLE_1) | instskip(NEXT) | instid1(SALU_CYCLE_1)
	s_and_b32 s19, exec_lo, s16
	s_or_b32 s15, s19, s15
	s_and_not1_b32 s18, s18, exec_lo
	s_and_b32 s0, s0, exec_lo
	s_and_not1_b32 s14, s14, exec_lo
	s_and_b32 s19, s17, exec_lo
	s_or_b32 s18, s18, s0
	s_or_b32 s14, s14, s19
	s_and_not1_b32 exec_lo, exec_lo, s15
	s_cbranch_execz .LBB392_3
.LBB392_8:                              ;   Parent Loop BB392_5 Depth=1
                                        ; =>  This Inner Loop Header: Depth=2
	global_load_b32 v17, v[12:13], off
	global_load_b32 v18, v[14:15], off
	s_and_not1_b32 s17, s17, exec_lo
	s_or_b32 s16, s16, exec_lo
	s_wait_loadcnt 0x0
	v_cmp_le_i32_e32 vcc_lo, v17, v18
	v_cmp_lt_i32_e64 s0, v17, v18
	s_and_b32 s19, vcc_lo, s18
	s_delay_alu instid0(SALU_CYCLE_1) | instskip(NEXT) | instid1(SALU_CYCLE_1)
	s_or_b32 s0, s0, s19
	s_and_b32 s19, s0, exec_lo
	s_delay_alu instid0(SALU_CYCLE_1)
	s_or_b32 s17, s17, s19
	s_mov_b32 s19, exec_lo
	v_cmpx_eq_u32_e64 v17, v18
	s_cbranch_execz .LBB392_7
; %bb.9:                                ;   in Loop: Header=BB392_8 Depth=2
	s_add_nc_u64 s[4:5], s[4:5], -1
	v_add_nc_u64_e32 v[12:13], 4, v[12:13]
	s_cmp_eq_u64 s[4:5], 0
	v_add_nc_u64_e32 v[14:15], 4, v[14:15]
	s_cselect_b32 s18, -1, 0
	s_and_not1_b32 s16, s16, exec_lo
	s_and_b32 s18, s18, exec_lo
	s_and_not1_b32 s17, s17, exec_lo
	s_or_b32 s16, s16, s18
                                        ; implicit-def: $sgpr18
	s_branch .LBB392_7
.LBB392_10:
	s_or_b32 exec_lo, exec_lo, s13
.LBB392_11:
	s_delay_alu instid0(SALU_CYCLE_1)
	s_or_b32 exec_lo, exec_lo, s1
	v_add_nc_u64_e32 v[0:1], v[2:3], v[0:1]
	s_wait_kmcnt 0x0
	global_store_b64 v16, v[0:1], s[10:11] scale_offset
.LBB392_12:
	s_endpgm
	.section	.rodata,"a",@progbits
	.p2align	6, 0x0
	.amdhsa_kernel _ZN7rocprim17ROCPRIM_400000_NS6detail17trampoline_kernelINS0_14default_configENS1_38merge_sort_block_merge_config_selectorIlNS0_10empty_typeEEEZZNS1_27merge_sort_block_merge_implIS3_PlPS5_mZN2at6native12_GLOBAL__N_124unique_dim_cuda_templateIiEESt5tupleIJNSA_6TensorESF_SF_EERKSF_lbbbEUlllE_EE10hipError_tT0_T1_T2_jT3_P12ihipStream_tbPNSt15iterator_traitsISL_E10value_typeEPNSR_ISM_E10value_typeEPSN_NS1_7vsmem_tEENKUlT_SL_SM_SN_E_clIS8_S8_S9_S9_EESK_S10_SL_SM_SN_EUlS10_E_NS1_11comp_targetILNS1_3genE0ELNS1_11target_archE4294967295ELNS1_3gpuE0ELNS1_3repE0EEENS1_48merge_mergepath_partition_config_static_selectorELNS0_4arch9wavefront6targetE0EEEvSM_
		.amdhsa_group_segment_fixed_size 0
		.amdhsa_private_segment_fixed_size 0
		.amdhsa_kernarg_size 56
		.amdhsa_user_sgpr_count 2
		.amdhsa_user_sgpr_dispatch_ptr 0
		.amdhsa_user_sgpr_queue_ptr 0
		.amdhsa_user_sgpr_kernarg_segment_ptr 1
		.amdhsa_user_sgpr_dispatch_id 0
		.amdhsa_user_sgpr_kernarg_preload_length 0
		.amdhsa_user_sgpr_kernarg_preload_offset 0
		.amdhsa_user_sgpr_private_segment_size 0
		.amdhsa_wavefront_size32 1
		.amdhsa_uses_dynamic_stack 0
		.amdhsa_enable_private_segment 0
		.amdhsa_system_sgpr_workgroup_id_x 1
		.amdhsa_system_sgpr_workgroup_id_y 0
		.amdhsa_system_sgpr_workgroup_id_z 0
		.amdhsa_system_sgpr_workgroup_info 0
		.amdhsa_system_vgpr_workitem_id 0
		.amdhsa_next_free_vgpr 22
		.amdhsa_next_free_sgpr 20
		.amdhsa_named_barrier_count 0
		.amdhsa_reserve_vcc 1
		.amdhsa_float_round_mode_32 0
		.amdhsa_float_round_mode_16_64 0
		.amdhsa_float_denorm_mode_32 3
		.amdhsa_float_denorm_mode_16_64 3
		.amdhsa_fp16_overflow 0
		.amdhsa_memory_ordered 1
		.amdhsa_forward_progress 1
		.amdhsa_inst_pref_size 6
		.amdhsa_round_robin_scheduling 0
		.amdhsa_exception_fp_ieee_invalid_op 0
		.amdhsa_exception_fp_denorm_src 0
		.amdhsa_exception_fp_ieee_div_zero 0
		.amdhsa_exception_fp_ieee_overflow 0
		.amdhsa_exception_fp_ieee_underflow 0
		.amdhsa_exception_fp_ieee_inexact 0
		.amdhsa_exception_int_div_zero 0
	.end_amdhsa_kernel
	.section	.text._ZN7rocprim17ROCPRIM_400000_NS6detail17trampoline_kernelINS0_14default_configENS1_38merge_sort_block_merge_config_selectorIlNS0_10empty_typeEEEZZNS1_27merge_sort_block_merge_implIS3_PlPS5_mZN2at6native12_GLOBAL__N_124unique_dim_cuda_templateIiEESt5tupleIJNSA_6TensorESF_SF_EERKSF_lbbbEUlllE_EE10hipError_tT0_T1_T2_jT3_P12ihipStream_tbPNSt15iterator_traitsISL_E10value_typeEPNSR_ISM_E10value_typeEPSN_NS1_7vsmem_tEENKUlT_SL_SM_SN_E_clIS8_S8_S9_S9_EESK_S10_SL_SM_SN_EUlS10_E_NS1_11comp_targetILNS1_3genE0ELNS1_11target_archE4294967295ELNS1_3gpuE0ELNS1_3repE0EEENS1_48merge_mergepath_partition_config_static_selectorELNS0_4arch9wavefront6targetE0EEEvSM_,"axG",@progbits,_ZN7rocprim17ROCPRIM_400000_NS6detail17trampoline_kernelINS0_14default_configENS1_38merge_sort_block_merge_config_selectorIlNS0_10empty_typeEEEZZNS1_27merge_sort_block_merge_implIS3_PlPS5_mZN2at6native12_GLOBAL__N_124unique_dim_cuda_templateIiEESt5tupleIJNSA_6TensorESF_SF_EERKSF_lbbbEUlllE_EE10hipError_tT0_T1_T2_jT3_P12ihipStream_tbPNSt15iterator_traitsISL_E10value_typeEPNSR_ISM_E10value_typeEPSN_NS1_7vsmem_tEENKUlT_SL_SM_SN_E_clIS8_S8_S9_S9_EESK_S10_SL_SM_SN_EUlS10_E_NS1_11comp_targetILNS1_3genE0ELNS1_11target_archE4294967295ELNS1_3gpuE0ELNS1_3repE0EEENS1_48merge_mergepath_partition_config_static_selectorELNS0_4arch9wavefront6targetE0EEEvSM_,comdat
.Lfunc_end392:
	.size	_ZN7rocprim17ROCPRIM_400000_NS6detail17trampoline_kernelINS0_14default_configENS1_38merge_sort_block_merge_config_selectorIlNS0_10empty_typeEEEZZNS1_27merge_sort_block_merge_implIS3_PlPS5_mZN2at6native12_GLOBAL__N_124unique_dim_cuda_templateIiEESt5tupleIJNSA_6TensorESF_SF_EERKSF_lbbbEUlllE_EE10hipError_tT0_T1_T2_jT3_P12ihipStream_tbPNSt15iterator_traitsISL_E10value_typeEPNSR_ISM_E10value_typeEPSN_NS1_7vsmem_tEENKUlT_SL_SM_SN_E_clIS8_S8_S9_S9_EESK_S10_SL_SM_SN_EUlS10_E_NS1_11comp_targetILNS1_3genE0ELNS1_11target_archE4294967295ELNS1_3gpuE0ELNS1_3repE0EEENS1_48merge_mergepath_partition_config_static_selectorELNS0_4arch9wavefront6targetE0EEEvSM_, .Lfunc_end392-_ZN7rocprim17ROCPRIM_400000_NS6detail17trampoline_kernelINS0_14default_configENS1_38merge_sort_block_merge_config_selectorIlNS0_10empty_typeEEEZZNS1_27merge_sort_block_merge_implIS3_PlPS5_mZN2at6native12_GLOBAL__N_124unique_dim_cuda_templateIiEESt5tupleIJNSA_6TensorESF_SF_EERKSF_lbbbEUlllE_EE10hipError_tT0_T1_T2_jT3_P12ihipStream_tbPNSt15iterator_traitsISL_E10value_typeEPNSR_ISM_E10value_typeEPSN_NS1_7vsmem_tEENKUlT_SL_SM_SN_E_clIS8_S8_S9_S9_EESK_S10_SL_SM_SN_EUlS10_E_NS1_11comp_targetILNS1_3genE0ELNS1_11target_archE4294967295ELNS1_3gpuE0ELNS1_3repE0EEENS1_48merge_mergepath_partition_config_static_selectorELNS0_4arch9wavefront6targetE0EEEvSM_
                                        ; -- End function
	.set _ZN7rocprim17ROCPRIM_400000_NS6detail17trampoline_kernelINS0_14default_configENS1_38merge_sort_block_merge_config_selectorIlNS0_10empty_typeEEEZZNS1_27merge_sort_block_merge_implIS3_PlPS5_mZN2at6native12_GLOBAL__N_124unique_dim_cuda_templateIiEESt5tupleIJNSA_6TensorESF_SF_EERKSF_lbbbEUlllE_EE10hipError_tT0_T1_T2_jT3_P12ihipStream_tbPNSt15iterator_traitsISL_E10value_typeEPNSR_ISM_E10value_typeEPSN_NS1_7vsmem_tEENKUlT_SL_SM_SN_E_clIS8_S8_S9_S9_EESK_S10_SL_SM_SN_EUlS10_E_NS1_11comp_targetILNS1_3genE0ELNS1_11target_archE4294967295ELNS1_3gpuE0ELNS1_3repE0EEENS1_48merge_mergepath_partition_config_static_selectorELNS0_4arch9wavefront6targetE0EEEvSM_.num_vgpr, 22
	.set _ZN7rocprim17ROCPRIM_400000_NS6detail17trampoline_kernelINS0_14default_configENS1_38merge_sort_block_merge_config_selectorIlNS0_10empty_typeEEEZZNS1_27merge_sort_block_merge_implIS3_PlPS5_mZN2at6native12_GLOBAL__N_124unique_dim_cuda_templateIiEESt5tupleIJNSA_6TensorESF_SF_EERKSF_lbbbEUlllE_EE10hipError_tT0_T1_T2_jT3_P12ihipStream_tbPNSt15iterator_traitsISL_E10value_typeEPNSR_ISM_E10value_typeEPSN_NS1_7vsmem_tEENKUlT_SL_SM_SN_E_clIS8_S8_S9_S9_EESK_S10_SL_SM_SN_EUlS10_E_NS1_11comp_targetILNS1_3genE0ELNS1_11target_archE4294967295ELNS1_3gpuE0ELNS1_3repE0EEENS1_48merge_mergepath_partition_config_static_selectorELNS0_4arch9wavefront6targetE0EEEvSM_.num_agpr, 0
	.set _ZN7rocprim17ROCPRIM_400000_NS6detail17trampoline_kernelINS0_14default_configENS1_38merge_sort_block_merge_config_selectorIlNS0_10empty_typeEEEZZNS1_27merge_sort_block_merge_implIS3_PlPS5_mZN2at6native12_GLOBAL__N_124unique_dim_cuda_templateIiEESt5tupleIJNSA_6TensorESF_SF_EERKSF_lbbbEUlllE_EE10hipError_tT0_T1_T2_jT3_P12ihipStream_tbPNSt15iterator_traitsISL_E10value_typeEPNSR_ISM_E10value_typeEPSN_NS1_7vsmem_tEENKUlT_SL_SM_SN_E_clIS8_S8_S9_S9_EESK_S10_SL_SM_SN_EUlS10_E_NS1_11comp_targetILNS1_3genE0ELNS1_11target_archE4294967295ELNS1_3gpuE0ELNS1_3repE0EEENS1_48merge_mergepath_partition_config_static_selectorELNS0_4arch9wavefront6targetE0EEEvSM_.numbered_sgpr, 20
	.set _ZN7rocprim17ROCPRIM_400000_NS6detail17trampoline_kernelINS0_14default_configENS1_38merge_sort_block_merge_config_selectorIlNS0_10empty_typeEEEZZNS1_27merge_sort_block_merge_implIS3_PlPS5_mZN2at6native12_GLOBAL__N_124unique_dim_cuda_templateIiEESt5tupleIJNSA_6TensorESF_SF_EERKSF_lbbbEUlllE_EE10hipError_tT0_T1_T2_jT3_P12ihipStream_tbPNSt15iterator_traitsISL_E10value_typeEPNSR_ISM_E10value_typeEPSN_NS1_7vsmem_tEENKUlT_SL_SM_SN_E_clIS8_S8_S9_S9_EESK_S10_SL_SM_SN_EUlS10_E_NS1_11comp_targetILNS1_3genE0ELNS1_11target_archE4294967295ELNS1_3gpuE0ELNS1_3repE0EEENS1_48merge_mergepath_partition_config_static_selectorELNS0_4arch9wavefront6targetE0EEEvSM_.num_named_barrier, 0
	.set _ZN7rocprim17ROCPRIM_400000_NS6detail17trampoline_kernelINS0_14default_configENS1_38merge_sort_block_merge_config_selectorIlNS0_10empty_typeEEEZZNS1_27merge_sort_block_merge_implIS3_PlPS5_mZN2at6native12_GLOBAL__N_124unique_dim_cuda_templateIiEESt5tupleIJNSA_6TensorESF_SF_EERKSF_lbbbEUlllE_EE10hipError_tT0_T1_T2_jT3_P12ihipStream_tbPNSt15iterator_traitsISL_E10value_typeEPNSR_ISM_E10value_typeEPSN_NS1_7vsmem_tEENKUlT_SL_SM_SN_E_clIS8_S8_S9_S9_EESK_S10_SL_SM_SN_EUlS10_E_NS1_11comp_targetILNS1_3genE0ELNS1_11target_archE4294967295ELNS1_3gpuE0ELNS1_3repE0EEENS1_48merge_mergepath_partition_config_static_selectorELNS0_4arch9wavefront6targetE0EEEvSM_.private_seg_size, 0
	.set _ZN7rocprim17ROCPRIM_400000_NS6detail17trampoline_kernelINS0_14default_configENS1_38merge_sort_block_merge_config_selectorIlNS0_10empty_typeEEEZZNS1_27merge_sort_block_merge_implIS3_PlPS5_mZN2at6native12_GLOBAL__N_124unique_dim_cuda_templateIiEESt5tupleIJNSA_6TensorESF_SF_EERKSF_lbbbEUlllE_EE10hipError_tT0_T1_T2_jT3_P12ihipStream_tbPNSt15iterator_traitsISL_E10value_typeEPNSR_ISM_E10value_typeEPSN_NS1_7vsmem_tEENKUlT_SL_SM_SN_E_clIS8_S8_S9_S9_EESK_S10_SL_SM_SN_EUlS10_E_NS1_11comp_targetILNS1_3genE0ELNS1_11target_archE4294967295ELNS1_3gpuE0ELNS1_3repE0EEENS1_48merge_mergepath_partition_config_static_selectorELNS0_4arch9wavefront6targetE0EEEvSM_.uses_vcc, 1
	.set _ZN7rocprim17ROCPRIM_400000_NS6detail17trampoline_kernelINS0_14default_configENS1_38merge_sort_block_merge_config_selectorIlNS0_10empty_typeEEEZZNS1_27merge_sort_block_merge_implIS3_PlPS5_mZN2at6native12_GLOBAL__N_124unique_dim_cuda_templateIiEESt5tupleIJNSA_6TensorESF_SF_EERKSF_lbbbEUlllE_EE10hipError_tT0_T1_T2_jT3_P12ihipStream_tbPNSt15iterator_traitsISL_E10value_typeEPNSR_ISM_E10value_typeEPSN_NS1_7vsmem_tEENKUlT_SL_SM_SN_E_clIS8_S8_S9_S9_EESK_S10_SL_SM_SN_EUlS10_E_NS1_11comp_targetILNS1_3genE0ELNS1_11target_archE4294967295ELNS1_3gpuE0ELNS1_3repE0EEENS1_48merge_mergepath_partition_config_static_selectorELNS0_4arch9wavefront6targetE0EEEvSM_.uses_flat_scratch, 0
	.set _ZN7rocprim17ROCPRIM_400000_NS6detail17trampoline_kernelINS0_14default_configENS1_38merge_sort_block_merge_config_selectorIlNS0_10empty_typeEEEZZNS1_27merge_sort_block_merge_implIS3_PlPS5_mZN2at6native12_GLOBAL__N_124unique_dim_cuda_templateIiEESt5tupleIJNSA_6TensorESF_SF_EERKSF_lbbbEUlllE_EE10hipError_tT0_T1_T2_jT3_P12ihipStream_tbPNSt15iterator_traitsISL_E10value_typeEPNSR_ISM_E10value_typeEPSN_NS1_7vsmem_tEENKUlT_SL_SM_SN_E_clIS8_S8_S9_S9_EESK_S10_SL_SM_SN_EUlS10_E_NS1_11comp_targetILNS1_3genE0ELNS1_11target_archE4294967295ELNS1_3gpuE0ELNS1_3repE0EEENS1_48merge_mergepath_partition_config_static_selectorELNS0_4arch9wavefront6targetE0EEEvSM_.has_dyn_sized_stack, 0
	.set _ZN7rocprim17ROCPRIM_400000_NS6detail17trampoline_kernelINS0_14default_configENS1_38merge_sort_block_merge_config_selectorIlNS0_10empty_typeEEEZZNS1_27merge_sort_block_merge_implIS3_PlPS5_mZN2at6native12_GLOBAL__N_124unique_dim_cuda_templateIiEESt5tupleIJNSA_6TensorESF_SF_EERKSF_lbbbEUlllE_EE10hipError_tT0_T1_T2_jT3_P12ihipStream_tbPNSt15iterator_traitsISL_E10value_typeEPNSR_ISM_E10value_typeEPSN_NS1_7vsmem_tEENKUlT_SL_SM_SN_E_clIS8_S8_S9_S9_EESK_S10_SL_SM_SN_EUlS10_E_NS1_11comp_targetILNS1_3genE0ELNS1_11target_archE4294967295ELNS1_3gpuE0ELNS1_3repE0EEENS1_48merge_mergepath_partition_config_static_selectorELNS0_4arch9wavefront6targetE0EEEvSM_.has_recursion, 0
	.set _ZN7rocprim17ROCPRIM_400000_NS6detail17trampoline_kernelINS0_14default_configENS1_38merge_sort_block_merge_config_selectorIlNS0_10empty_typeEEEZZNS1_27merge_sort_block_merge_implIS3_PlPS5_mZN2at6native12_GLOBAL__N_124unique_dim_cuda_templateIiEESt5tupleIJNSA_6TensorESF_SF_EERKSF_lbbbEUlllE_EE10hipError_tT0_T1_T2_jT3_P12ihipStream_tbPNSt15iterator_traitsISL_E10value_typeEPNSR_ISM_E10value_typeEPSN_NS1_7vsmem_tEENKUlT_SL_SM_SN_E_clIS8_S8_S9_S9_EESK_S10_SL_SM_SN_EUlS10_E_NS1_11comp_targetILNS1_3genE0ELNS1_11target_archE4294967295ELNS1_3gpuE0ELNS1_3repE0EEENS1_48merge_mergepath_partition_config_static_selectorELNS0_4arch9wavefront6targetE0EEEvSM_.has_indirect_call, 0
	.section	.AMDGPU.csdata,"",@progbits
; Kernel info:
; codeLenInByte = 744
; TotalNumSgprs: 22
; NumVgprs: 22
; ScratchSize: 0
; MemoryBound: 0
; FloatMode: 240
; IeeeMode: 1
; LDSByteSize: 0 bytes/workgroup (compile time only)
; SGPRBlocks: 0
; VGPRBlocks: 1
; NumSGPRsForWavesPerEU: 22
; NumVGPRsForWavesPerEU: 22
; NamedBarCnt: 0
; Occupancy: 16
; WaveLimiterHint : 0
; COMPUTE_PGM_RSRC2:SCRATCH_EN: 0
; COMPUTE_PGM_RSRC2:USER_SGPR: 2
; COMPUTE_PGM_RSRC2:TRAP_HANDLER: 0
; COMPUTE_PGM_RSRC2:TGID_X_EN: 1
; COMPUTE_PGM_RSRC2:TGID_Y_EN: 0
; COMPUTE_PGM_RSRC2:TGID_Z_EN: 0
; COMPUTE_PGM_RSRC2:TIDIG_COMP_CNT: 0
	.section	.text._ZN7rocprim17ROCPRIM_400000_NS6detail17trampoline_kernelINS0_14default_configENS1_38merge_sort_block_merge_config_selectorIlNS0_10empty_typeEEEZZNS1_27merge_sort_block_merge_implIS3_PlPS5_mZN2at6native12_GLOBAL__N_124unique_dim_cuda_templateIiEESt5tupleIJNSA_6TensorESF_SF_EERKSF_lbbbEUlllE_EE10hipError_tT0_T1_T2_jT3_P12ihipStream_tbPNSt15iterator_traitsISL_E10value_typeEPNSR_ISM_E10value_typeEPSN_NS1_7vsmem_tEENKUlT_SL_SM_SN_E_clIS8_S8_S9_S9_EESK_S10_SL_SM_SN_EUlS10_E_NS1_11comp_targetILNS1_3genE10ELNS1_11target_archE1201ELNS1_3gpuE5ELNS1_3repE0EEENS1_48merge_mergepath_partition_config_static_selectorELNS0_4arch9wavefront6targetE0EEEvSM_,"axG",@progbits,_ZN7rocprim17ROCPRIM_400000_NS6detail17trampoline_kernelINS0_14default_configENS1_38merge_sort_block_merge_config_selectorIlNS0_10empty_typeEEEZZNS1_27merge_sort_block_merge_implIS3_PlPS5_mZN2at6native12_GLOBAL__N_124unique_dim_cuda_templateIiEESt5tupleIJNSA_6TensorESF_SF_EERKSF_lbbbEUlllE_EE10hipError_tT0_T1_T2_jT3_P12ihipStream_tbPNSt15iterator_traitsISL_E10value_typeEPNSR_ISM_E10value_typeEPSN_NS1_7vsmem_tEENKUlT_SL_SM_SN_E_clIS8_S8_S9_S9_EESK_S10_SL_SM_SN_EUlS10_E_NS1_11comp_targetILNS1_3genE10ELNS1_11target_archE1201ELNS1_3gpuE5ELNS1_3repE0EEENS1_48merge_mergepath_partition_config_static_selectorELNS0_4arch9wavefront6targetE0EEEvSM_,comdat
	.globl	_ZN7rocprim17ROCPRIM_400000_NS6detail17trampoline_kernelINS0_14default_configENS1_38merge_sort_block_merge_config_selectorIlNS0_10empty_typeEEEZZNS1_27merge_sort_block_merge_implIS3_PlPS5_mZN2at6native12_GLOBAL__N_124unique_dim_cuda_templateIiEESt5tupleIJNSA_6TensorESF_SF_EERKSF_lbbbEUlllE_EE10hipError_tT0_T1_T2_jT3_P12ihipStream_tbPNSt15iterator_traitsISL_E10value_typeEPNSR_ISM_E10value_typeEPSN_NS1_7vsmem_tEENKUlT_SL_SM_SN_E_clIS8_S8_S9_S9_EESK_S10_SL_SM_SN_EUlS10_E_NS1_11comp_targetILNS1_3genE10ELNS1_11target_archE1201ELNS1_3gpuE5ELNS1_3repE0EEENS1_48merge_mergepath_partition_config_static_selectorELNS0_4arch9wavefront6targetE0EEEvSM_ ; -- Begin function _ZN7rocprim17ROCPRIM_400000_NS6detail17trampoline_kernelINS0_14default_configENS1_38merge_sort_block_merge_config_selectorIlNS0_10empty_typeEEEZZNS1_27merge_sort_block_merge_implIS3_PlPS5_mZN2at6native12_GLOBAL__N_124unique_dim_cuda_templateIiEESt5tupleIJNSA_6TensorESF_SF_EERKSF_lbbbEUlllE_EE10hipError_tT0_T1_T2_jT3_P12ihipStream_tbPNSt15iterator_traitsISL_E10value_typeEPNSR_ISM_E10value_typeEPSN_NS1_7vsmem_tEENKUlT_SL_SM_SN_E_clIS8_S8_S9_S9_EESK_S10_SL_SM_SN_EUlS10_E_NS1_11comp_targetILNS1_3genE10ELNS1_11target_archE1201ELNS1_3gpuE5ELNS1_3repE0EEENS1_48merge_mergepath_partition_config_static_selectorELNS0_4arch9wavefront6targetE0EEEvSM_
	.p2align	8
	.type	_ZN7rocprim17ROCPRIM_400000_NS6detail17trampoline_kernelINS0_14default_configENS1_38merge_sort_block_merge_config_selectorIlNS0_10empty_typeEEEZZNS1_27merge_sort_block_merge_implIS3_PlPS5_mZN2at6native12_GLOBAL__N_124unique_dim_cuda_templateIiEESt5tupleIJNSA_6TensorESF_SF_EERKSF_lbbbEUlllE_EE10hipError_tT0_T1_T2_jT3_P12ihipStream_tbPNSt15iterator_traitsISL_E10value_typeEPNSR_ISM_E10value_typeEPSN_NS1_7vsmem_tEENKUlT_SL_SM_SN_E_clIS8_S8_S9_S9_EESK_S10_SL_SM_SN_EUlS10_E_NS1_11comp_targetILNS1_3genE10ELNS1_11target_archE1201ELNS1_3gpuE5ELNS1_3repE0EEENS1_48merge_mergepath_partition_config_static_selectorELNS0_4arch9wavefront6targetE0EEEvSM_,@function
_ZN7rocprim17ROCPRIM_400000_NS6detail17trampoline_kernelINS0_14default_configENS1_38merge_sort_block_merge_config_selectorIlNS0_10empty_typeEEEZZNS1_27merge_sort_block_merge_implIS3_PlPS5_mZN2at6native12_GLOBAL__N_124unique_dim_cuda_templateIiEESt5tupleIJNSA_6TensorESF_SF_EERKSF_lbbbEUlllE_EE10hipError_tT0_T1_T2_jT3_P12ihipStream_tbPNSt15iterator_traitsISL_E10value_typeEPNSR_ISM_E10value_typeEPSN_NS1_7vsmem_tEENKUlT_SL_SM_SN_E_clIS8_S8_S9_S9_EESK_S10_SL_SM_SN_EUlS10_E_NS1_11comp_targetILNS1_3genE10ELNS1_11target_archE1201ELNS1_3gpuE5ELNS1_3repE0EEENS1_48merge_mergepath_partition_config_static_selectorELNS0_4arch9wavefront6targetE0EEEvSM_: ; @_ZN7rocprim17ROCPRIM_400000_NS6detail17trampoline_kernelINS0_14default_configENS1_38merge_sort_block_merge_config_selectorIlNS0_10empty_typeEEEZZNS1_27merge_sort_block_merge_implIS3_PlPS5_mZN2at6native12_GLOBAL__N_124unique_dim_cuda_templateIiEESt5tupleIJNSA_6TensorESF_SF_EERKSF_lbbbEUlllE_EE10hipError_tT0_T1_T2_jT3_P12ihipStream_tbPNSt15iterator_traitsISL_E10value_typeEPNSR_ISM_E10value_typeEPSN_NS1_7vsmem_tEENKUlT_SL_SM_SN_E_clIS8_S8_S9_S9_EESK_S10_SL_SM_SN_EUlS10_E_NS1_11comp_targetILNS1_3genE10ELNS1_11target_archE1201ELNS1_3gpuE5ELNS1_3repE0EEENS1_48merge_mergepath_partition_config_static_selectorELNS0_4arch9wavefront6targetE0EEEvSM_
; %bb.0:
	.section	.rodata,"a",@progbits
	.p2align	6, 0x0
	.amdhsa_kernel _ZN7rocprim17ROCPRIM_400000_NS6detail17trampoline_kernelINS0_14default_configENS1_38merge_sort_block_merge_config_selectorIlNS0_10empty_typeEEEZZNS1_27merge_sort_block_merge_implIS3_PlPS5_mZN2at6native12_GLOBAL__N_124unique_dim_cuda_templateIiEESt5tupleIJNSA_6TensorESF_SF_EERKSF_lbbbEUlllE_EE10hipError_tT0_T1_T2_jT3_P12ihipStream_tbPNSt15iterator_traitsISL_E10value_typeEPNSR_ISM_E10value_typeEPSN_NS1_7vsmem_tEENKUlT_SL_SM_SN_E_clIS8_S8_S9_S9_EESK_S10_SL_SM_SN_EUlS10_E_NS1_11comp_targetILNS1_3genE10ELNS1_11target_archE1201ELNS1_3gpuE5ELNS1_3repE0EEENS1_48merge_mergepath_partition_config_static_selectorELNS0_4arch9wavefront6targetE0EEEvSM_
		.amdhsa_group_segment_fixed_size 0
		.amdhsa_private_segment_fixed_size 0
		.amdhsa_kernarg_size 56
		.amdhsa_user_sgpr_count 2
		.amdhsa_user_sgpr_dispatch_ptr 0
		.amdhsa_user_sgpr_queue_ptr 0
		.amdhsa_user_sgpr_kernarg_segment_ptr 1
		.amdhsa_user_sgpr_dispatch_id 0
		.amdhsa_user_sgpr_kernarg_preload_length 0
		.amdhsa_user_sgpr_kernarg_preload_offset 0
		.amdhsa_user_sgpr_private_segment_size 0
		.amdhsa_wavefront_size32 1
		.amdhsa_uses_dynamic_stack 0
		.amdhsa_enable_private_segment 0
		.amdhsa_system_sgpr_workgroup_id_x 1
		.amdhsa_system_sgpr_workgroup_id_y 0
		.amdhsa_system_sgpr_workgroup_id_z 0
		.amdhsa_system_sgpr_workgroup_info 0
		.amdhsa_system_vgpr_workitem_id 0
		.amdhsa_next_free_vgpr 1
		.amdhsa_next_free_sgpr 1
		.amdhsa_named_barrier_count 0
		.amdhsa_reserve_vcc 0
		.amdhsa_float_round_mode_32 0
		.amdhsa_float_round_mode_16_64 0
		.amdhsa_float_denorm_mode_32 3
		.amdhsa_float_denorm_mode_16_64 3
		.amdhsa_fp16_overflow 0
		.amdhsa_memory_ordered 1
		.amdhsa_forward_progress 1
		.amdhsa_inst_pref_size 0
		.amdhsa_round_robin_scheduling 0
		.amdhsa_exception_fp_ieee_invalid_op 0
		.amdhsa_exception_fp_denorm_src 0
		.amdhsa_exception_fp_ieee_div_zero 0
		.amdhsa_exception_fp_ieee_overflow 0
		.amdhsa_exception_fp_ieee_underflow 0
		.amdhsa_exception_fp_ieee_inexact 0
		.amdhsa_exception_int_div_zero 0
	.end_amdhsa_kernel
	.section	.text._ZN7rocprim17ROCPRIM_400000_NS6detail17trampoline_kernelINS0_14default_configENS1_38merge_sort_block_merge_config_selectorIlNS0_10empty_typeEEEZZNS1_27merge_sort_block_merge_implIS3_PlPS5_mZN2at6native12_GLOBAL__N_124unique_dim_cuda_templateIiEESt5tupleIJNSA_6TensorESF_SF_EERKSF_lbbbEUlllE_EE10hipError_tT0_T1_T2_jT3_P12ihipStream_tbPNSt15iterator_traitsISL_E10value_typeEPNSR_ISM_E10value_typeEPSN_NS1_7vsmem_tEENKUlT_SL_SM_SN_E_clIS8_S8_S9_S9_EESK_S10_SL_SM_SN_EUlS10_E_NS1_11comp_targetILNS1_3genE10ELNS1_11target_archE1201ELNS1_3gpuE5ELNS1_3repE0EEENS1_48merge_mergepath_partition_config_static_selectorELNS0_4arch9wavefront6targetE0EEEvSM_,"axG",@progbits,_ZN7rocprim17ROCPRIM_400000_NS6detail17trampoline_kernelINS0_14default_configENS1_38merge_sort_block_merge_config_selectorIlNS0_10empty_typeEEEZZNS1_27merge_sort_block_merge_implIS3_PlPS5_mZN2at6native12_GLOBAL__N_124unique_dim_cuda_templateIiEESt5tupleIJNSA_6TensorESF_SF_EERKSF_lbbbEUlllE_EE10hipError_tT0_T1_T2_jT3_P12ihipStream_tbPNSt15iterator_traitsISL_E10value_typeEPNSR_ISM_E10value_typeEPSN_NS1_7vsmem_tEENKUlT_SL_SM_SN_E_clIS8_S8_S9_S9_EESK_S10_SL_SM_SN_EUlS10_E_NS1_11comp_targetILNS1_3genE10ELNS1_11target_archE1201ELNS1_3gpuE5ELNS1_3repE0EEENS1_48merge_mergepath_partition_config_static_selectorELNS0_4arch9wavefront6targetE0EEEvSM_,comdat
.Lfunc_end393:
	.size	_ZN7rocprim17ROCPRIM_400000_NS6detail17trampoline_kernelINS0_14default_configENS1_38merge_sort_block_merge_config_selectorIlNS0_10empty_typeEEEZZNS1_27merge_sort_block_merge_implIS3_PlPS5_mZN2at6native12_GLOBAL__N_124unique_dim_cuda_templateIiEESt5tupleIJNSA_6TensorESF_SF_EERKSF_lbbbEUlllE_EE10hipError_tT0_T1_T2_jT3_P12ihipStream_tbPNSt15iterator_traitsISL_E10value_typeEPNSR_ISM_E10value_typeEPSN_NS1_7vsmem_tEENKUlT_SL_SM_SN_E_clIS8_S8_S9_S9_EESK_S10_SL_SM_SN_EUlS10_E_NS1_11comp_targetILNS1_3genE10ELNS1_11target_archE1201ELNS1_3gpuE5ELNS1_3repE0EEENS1_48merge_mergepath_partition_config_static_selectorELNS0_4arch9wavefront6targetE0EEEvSM_, .Lfunc_end393-_ZN7rocprim17ROCPRIM_400000_NS6detail17trampoline_kernelINS0_14default_configENS1_38merge_sort_block_merge_config_selectorIlNS0_10empty_typeEEEZZNS1_27merge_sort_block_merge_implIS3_PlPS5_mZN2at6native12_GLOBAL__N_124unique_dim_cuda_templateIiEESt5tupleIJNSA_6TensorESF_SF_EERKSF_lbbbEUlllE_EE10hipError_tT0_T1_T2_jT3_P12ihipStream_tbPNSt15iterator_traitsISL_E10value_typeEPNSR_ISM_E10value_typeEPSN_NS1_7vsmem_tEENKUlT_SL_SM_SN_E_clIS8_S8_S9_S9_EESK_S10_SL_SM_SN_EUlS10_E_NS1_11comp_targetILNS1_3genE10ELNS1_11target_archE1201ELNS1_3gpuE5ELNS1_3repE0EEENS1_48merge_mergepath_partition_config_static_selectorELNS0_4arch9wavefront6targetE0EEEvSM_
                                        ; -- End function
	.set _ZN7rocprim17ROCPRIM_400000_NS6detail17trampoline_kernelINS0_14default_configENS1_38merge_sort_block_merge_config_selectorIlNS0_10empty_typeEEEZZNS1_27merge_sort_block_merge_implIS3_PlPS5_mZN2at6native12_GLOBAL__N_124unique_dim_cuda_templateIiEESt5tupleIJNSA_6TensorESF_SF_EERKSF_lbbbEUlllE_EE10hipError_tT0_T1_T2_jT3_P12ihipStream_tbPNSt15iterator_traitsISL_E10value_typeEPNSR_ISM_E10value_typeEPSN_NS1_7vsmem_tEENKUlT_SL_SM_SN_E_clIS8_S8_S9_S9_EESK_S10_SL_SM_SN_EUlS10_E_NS1_11comp_targetILNS1_3genE10ELNS1_11target_archE1201ELNS1_3gpuE5ELNS1_3repE0EEENS1_48merge_mergepath_partition_config_static_selectorELNS0_4arch9wavefront6targetE0EEEvSM_.num_vgpr, 0
	.set _ZN7rocprim17ROCPRIM_400000_NS6detail17trampoline_kernelINS0_14default_configENS1_38merge_sort_block_merge_config_selectorIlNS0_10empty_typeEEEZZNS1_27merge_sort_block_merge_implIS3_PlPS5_mZN2at6native12_GLOBAL__N_124unique_dim_cuda_templateIiEESt5tupleIJNSA_6TensorESF_SF_EERKSF_lbbbEUlllE_EE10hipError_tT0_T1_T2_jT3_P12ihipStream_tbPNSt15iterator_traitsISL_E10value_typeEPNSR_ISM_E10value_typeEPSN_NS1_7vsmem_tEENKUlT_SL_SM_SN_E_clIS8_S8_S9_S9_EESK_S10_SL_SM_SN_EUlS10_E_NS1_11comp_targetILNS1_3genE10ELNS1_11target_archE1201ELNS1_3gpuE5ELNS1_3repE0EEENS1_48merge_mergepath_partition_config_static_selectorELNS0_4arch9wavefront6targetE0EEEvSM_.num_agpr, 0
	.set _ZN7rocprim17ROCPRIM_400000_NS6detail17trampoline_kernelINS0_14default_configENS1_38merge_sort_block_merge_config_selectorIlNS0_10empty_typeEEEZZNS1_27merge_sort_block_merge_implIS3_PlPS5_mZN2at6native12_GLOBAL__N_124unique_dim_cuda_templateIiEESt5tupleIJNSA_6TensorESF_SF_EERKSF_lbbbEUlllE_EE10hipError_tT0_T1_T2_jT3_P12ihipStream_tbPNSt15iterator_traitsISL_E10value_typeEPNSR_ISM_E10value_typeEPSN_NS1_7vsmem_tEENKUlT_SL_SM_SN_E_clIS8_S8_S9_S9_EESK_S10_SL_SM_SN_EUlS10_E_NS1_11comp_targetILNS1_3genE10ELNS1_11target_archE1201ELNS1_3gpuE5ELNS1_3repE0EEENS1_48merge_mergepath_partition_config_static_selectorELNS0_4arch9wavefront6targetE0EEEvSM_.numbered_sgpr, 0
	.set _ZN7rocprim17ROCPRIM_400000_NS6detail17trampoline_kernelINS0_14default_configENS1_38merge_sort_block_merge_config_selectorIlNS0_10empty_typeEEEZZNS1_27merge_sort_block_merge_implIS3_PlPS5_mZN2at6native12_GLOBAL__N_124unique_dim_cuda_templateIiEESt5tupleIJNSA_6TensorESF_SF_EERKSF_lbbbEUlllE_EE10hipError_tT0_T1_T2_jT3_P12ihipStream_tbPNSt15iterator_traitsISL_E10value_typeEPNSR_ISM_E10value_typeEPSN_NS1_7vsmem_tEENKUlT_SL_SM_SN_E_clIS8_S8_S9_S9_EESK_S10_SL_SM_SN_EUlS10_E_NS1_11comp_targetILNS1_3genE10ELNS1_11target_archE1201ELNS1_3gpuE5ELNS1_3repE0EEENS1_48merge_mergepath_partition_config_static_selectorELNS0_4arch9wavefront6targetE0EEEvSM_.num_named_barrier, 0
	.set _ZN7rocprim17ROCPRIM_400000_NS6detail17trampoline_kernelINS0_14default_configENS1_38merge_sort_block_merge_config_selectorIlNS0_10empty_typeEEEZZNS1_27merge_sort_block_merge_implIS3_PlPS5_mZN2at6native12_GLOBAL__N_124unique_dim_cuda_templateIiEESt5tupleIJNSA_6TensorESF_SF_EERKSF_lbbbEUlllE_EE10hipError_tT0_T1_T2_jT3_P12ihipStream_tbPNSt15iterator_traitsISL_E10value_typeEPNSR_ISM_E10value_typeEPSN_NS1_7vsmem_tEENKUlT_SL_SM_SN_E_clIS8_S8_S9_S9_EESK_S10_SL_SM_SN_EUlS10_E_NS1_11comp_targetILNS1_3genE10ELNS1_11target_archE1201ELNS1_3gpuE5ELNS1_3repE0EEENS1_48merge_mergepath_partition_config_static_selectorELNS0_4arch9wavefront6targetE0EEEvSM_.private_seg_size, 0
	.set _ZN7rocprim17ROCPRIM_400000_NS6detail17trampoline_kernelINS0_14default_configENS1_38merge_sort_block_merge_config_selectorIlNS0_10empty_typeEEEZZNS1_27merge_sort_block_merge_implIS3_PlPS5_mZN2at6native12_GLOBAL__N_124unique_dim_cuda_templateIiEESt5tupleIJNSA_6TensorESF_SF_EERKSF_lbbbEUlllE_EE10hipError_tT0_T1_T2_jT3_P12ihipStream_tbPNSt15iterator_traitsISL_E10value_typeEPNSR_ISM_E10value_typeEPSN_NS1_7vsmem_tEENKUlT_SL_SM_SN_E_clIS8_S8_S9_S9_EESK_S10_SL_SM_SN_EUlS10_E_NS1_11comp_targetILNS1_3genE10ELNS1_11target_archE1201ELNS1_3gpuE5ELNS1_3repE0EEENS1_48merge_mergepath_partition_config_static_selectorELNS0_4arch9wavefront6targetE0EEEvSM_.uses_vcc, 0
	.set _ZN7rocprim17ROCPRIM_400000_NS6detail17trampoline_kernelINS0_14default_configENS1_38merge_sort_block_merge_config_selectorIlNS0_10empty_typeEEEZZNS1_27merge_sort_block_merge_implIS3_PlPS5_mZN2at6native12_GLOBAL__N_124unique_dim_cuda_templateIiEESt5tupleIJNSA_6TensorESF_SF_EERKSF_lbbbEUlllE_EE10hipError_tT0_T1_T2_jT3_P12ihipStream_tbPNSt15iterator_traitsISL_E10value_typeEPNSR_ISM_E10value_typeEPSN_NS1_7vsmem_tEENKUlT_SL_SM_SN_E_clIS8_S8_S9_S9_EESK_S10_SL_SM_SN_EUlS10_E_NS1_11comp_targetILNS1_3genE10ELNS1_11target_archE1201ELNS1_3gpuE5ELNS1_3repE0EEENS1_48merge_mergepath_partition_config_static_selectorELNS0_4arch9wavefront6targetE0EEEvSM_.uses_flat_scratch, 0
	.set _ZN7rocprim17ROCPRIM_400000_NS6detail17trampoline_kernelINS0_14default_configENS1_38merge_sort_block_merge_config_selectorIlNS0_10empty_typeEEEZZNS1_27merge_sort_block_merge_implIS3_PlPS5_mZN2at6native12_GLOBAL__N_124unique_dim_cuda_templateIiEESt5tupleIJNSA_6TensorESF_SF_EERKSF_lbbbEUlllE_EE10hipError_tT0_T1_T2_jT3_P12ihipStream_tbPNSt15iterator_traitsISL_E10value_typeEPNSR_ISM_E10value_typeEPSN_NS1_7vsmem_tEENKUlT_SL_SM_SN_E_clIS8_S8_S9_S9_EESK_S10_SL_SM_SN_EUlS10_E_NS1_11comp_targetILNS1_3genE10ELNS1_11target_archE1201ELNS1_3gpuE5ELNS1_3repE0EEENS1_48merge_mergepath_partition_config_static_selectorELNS0_4arch9wavefront6targetE0EEEvSM_.has_dyn_sized_stack, 0
	.set _ZN7rocprim17ROCPRIM_400000_NS6detail17trampoline_kernelINS0_14default_configENS1_38merge_sort_block_merge_config_selectorIlNS0_10empty_typeEEEZZNS1_27merge_sort_block_merge_implIS3_PlPS5_mZN2at6native12_GLOBAL__N_124unique_dim_cuda_templateIiEESt5tupleIJNSA_6TensorESF_SF_EERKSF_lbbbEUlllE_EE10hipError_tT0_T1_T2_jT3_P12ihipStream_tbPNSt15iterator_traitsISL_E10value_typeEPNSR_ISM_E10value_typeEPSN_NS1_7vsmem_tEENKUlT_SL_SM_SN_E_clIS8_S8_S9_S9_EESK_S10_SL_SM_SN_EUlS10_E_NS1_11comp_targetILNS1_3genE10ELNS1_11target_archE1201ELNS1_3gpuE5ELNS1_3repE0EEENS1_48merge_mergepath_partition_config_static_selectorELNS0_4arch9wavefront6targetE0EEEvSM_.has_recursion, 0
	.set _ZN7rocprim17ROCPRIM_400000_NS6detail17trampoline_kernelINS0_14default_configENS1_38merge_sort_block_merge_config_selectorIlNS0_10empty_typeEEEZZNS1_27merge_sort_block_merge_implIS3_PlPS5_mZN2at6native12_GLOBAL__N_124unique_dim_cuda_templateIiEESt5tupleIJNSA_6TensorESF_SF_EERKSF_lbbbEUlllE_EE10hipError_tT0_T1_T2_jT3_P12ihipStream_tbPNSt15iterator_traitsISL_E10value_typeEPNSR_ISM_E10value_typeEPSN_NS1_7vsmem_tEENKUlT_SL_SM_SN_E_clIS8_S8_S9_S9_EESK_S10_SL_SM_SN_EUlS10_E_NS1_11comp_targetILNS1_3genE10ELNS1_11target_archE1201ELNS1_3gpuE5ELNS1_3repE0EEENS1_48merge_mergepath_partition_config_static_selectorELNS0_4arch9wavefront6targetE0EEEvSM_.has_indirect_call, 0
	.section	.AMDGPU.csdata,"",@progbits
; Kernel info:
; codeLenInByte = 0
; TotalNumSgprs: 0
; NumVgprs: 0
; ScratchSize: 0
; MemoryBound: 0
; FloatMode: 240
; IeeeMode: 1
; LDSByteSize: 0 bytes/workgroup (compile time only)
; SGPRBlocks: 0
; VGPRBlocks: 0
; NumSGPRsForWavesPerEU: 1
; NumVGPRsForWavesPerEU: 1
; NamedBarCnt: 0
; Occupancy: 16
; WaveLimiterHint : 0
; COMPUTE_PGM_RSRC2:SCRATCH_EN: 0
; COMPUTE_PGM_RSRC2:USER_SGPR: 2
; COMPUTE_PGM_RSRC2:TRAP_HANDLER: 0
; COMPUTE_PGM_RSRC2:TGID_X_EN: 1
; COMPUTE_PGM_RSRC2:TGID_Y_EN: 0
; COMPUTE_PGM_RSRC2:TGID_Z_EN: 0
; COMPUTE_PGM_RSRC2:TIDIG_COMP_CNT: 0
	.section	.text._ZN7rocprim17ROCPRIM_400000_NS6detail17trampoline_kernelINS0_14default_configENS1_38merge_sort_block_merge_config_selectorIlNS0_10empty_typeEEEZZNS1_27merge_sort_block_merge_implIS3_PlPS5_mZN2at6native12_GLOBAL__N_124unique_dim_cuda_templateIiEESt5tupleIJNSA_6TensorESF_SF_EERKSF_lbbbEUlllE_EE10hipError_tT0_T1_T2_jT3_P12ihipStream_tbPNSt15iterator_traitsISL_E10value_typeEPNSR_ISM_E10value_typeEPSN_NS1_7vsmem_tEENKUlT_SL_SM_SN_E_clIS8_S8_S9_S9_EESK_S10_SL_SM_SN_EUlS10_E_NS1_11comp_targetILNS1_3genE5ELNS1_11target_archE942ELNS1_3gpuE9ELNS1_3repE0EEENS1_48merge_mergepath_partition_config_static_selectorELNS0_4arch9wavefront6targetE0EEEvSM_,"axG",@progbits,_ZN7rocprim17ROCPRIM_400000_NS6detail17trampoline_kernelINS0_14default_configENS1_38merge_sort_block_merge_config_selectorIlNS0_10empty_typeEEEZZNS1_27merge_sort_block_merge_implIS3_PlPS5_mZN2at6native12_GLOBAL__N_124unique_dim_cuda_templateIiEESt5tupleIJNSA_6TensorESF_SF_EERKSF_lbbbEUlllE_EE10hipError_tT0_T1_T2_jT3_P12ihipStream_tbPNSt15iterator_traitsISL_E10value_typeEPNSR_ISM_E10value_typeEPSN_NS1_7vsmem_tEENKUlT_SL_SM_SN_E_clIS8_S8_S9_S9_EESK_S10_SL_SM_SN_EUlS10_E_NS1_11comp_targetILNS1_3genE5ELNS1_11target_archE942ELNS1_3gpuE9ELNS1_3repE0EEENS1_48merge_mergepath_partition_config_static_selectorELNS0_4arch9wavefront6targetE0EEEvSM_,comdat
	.globl	_ZN7rocprim17ROCPRIM_400000_NS6detail17trampoline_kernelINS0_14default_configENS1_38merge_sort_block_merge_config_selectorIlNS0_10empty_typeEEEZZNS1_27merge_sort_block_merge_implIS3_PlPS5_mZN2at6native12_GLOBAL__N_124unique_dim_cuda_templateIiEESt5tupleIJNSA_6TensorESF_SF_EERKSF_lbbbEUlllE_EE10hipError_tT0_T1_T2_jT3_P12ihipStream_tbPNSt15iterator_traitsISL_E10value_typeEPNSR_ISM_E10value_typeEPSN_NS1_7vsmem_tEENKUlT_SL_SM_SN_E_clIS8_S8_S9_S9_EESK_S10_SL_SM_SN_EUlS10_E_NS1_11comp_targetILNS1_3genE5ELNS1_11target_archE942ELNS1_3gpuE9ELNS1_3repE0EEENS1_48merge_mergepath_partition_config_static_selectorELNS0_4arch9wavefront6targetE0EEEvSM_ ; -- Begin function _ZN7rocprim17ROCPRIM_400000_NS6detail17trampoline_kernelINS0_14default_configENS1_38merge_sort_block_merge_config_selectorIlNS0_10empty_typeEEEZZNS1_27merge_sort_block_merge_implIS3_PlPS5_mZN2at6native12_GLOBAL__N_124unique_dim_cuda_templateIiEESt5tupleIJNSA_6TensorESF_SF_EERKSF_lbbbEUlllE_EE10hipError_tT0_T1_T2_jT3_P12ihipStream_tbPNSt15iterator_traitsISL_E10value_typeEPNSR_ISM_E10value_typeEPSN_NS1_7vsmem_tEENKUlT_SL_SM_SN_E_clIS8_S8_S9_S9_EESK_S10_SL_SM_SN_EUlS10_E_NS1_11comp_targetILNS1_3genE5ELNS1_11target_archE942ELNS1_3gpuE9ELNS1_3repE0EEENS1_48merge_mergepath_partition_config_static_selectorELNS0_4arch9wavefront6targetE0EEEvSM_
	.p2align	8
	.type	_ZN7rocprim17ROCPRIM_400000_NS6detail17trampoline_kernelINS0_14default_configENS1_38merge_sort_block_merge_config_selectorIlNS0_10empty_typeEEEZZNS1_27merge_sort_block_merge_implIS3_PlPS5_mZN2at6native12_GLOBAL__N_124unique_dim_cuda_templateIiEESt5tupleIJNSA_6TensorESF_SF_EERKSF_lbbbEUlllE_EE10hipError_tT0_T1_T2_jT3_P12ihipStream_tbPNSt15iterator_traitsISL_E10value_typeEPNSR_ISM_E10value_typeEPSN_NS1_7vsmem_tEENKUlT_SL_SM_SN_E_clIS8_S8_S9_S9_EESK_S10_SL_SM_SN_EUlS10_E_NS1_11comp_targetILNS1_3genE5ELNS1_11target_archE942ELNS1_3gpuE9ELNS1_3repE0EEENS1_48merge_mergepath_partition_config_static_selectorELNS0_4arch9wavefront6targetE0EEEvSM_,@function
_ZN7rocprim17ROCPRIM_400000_NS6detail17trampoline_kernelINS0_14default_configENS1_38merge_sort_block_merge_config_selectorIlNS0_10empty_typeEEEZZNS1_27merge_sort_block_merge_implIS3_PlPS5_mZN2at6native12_GLOBAL__N_124unique_dim_cuda_templateIiEESt5tupleIJNSA_6TensorESF_SF_EERKSF_lbbbEUlllE_EE10hipError_tT0_T1_T2_jT3_P12ihipStream_tbPNSt15iterator_traitsISL_E10value_typeEPNSR_ISM_E10value_typeEPSN_NS1_7vsmem_tEENKUlT_SL_SM_SN_E_clIS8_S8_S9_S9_EESK_S10_SL_SM_SN_EUlS10_E_NS1_11comp_targetILNS1_3genE5ELNS1_11target_archE942ELNS1_3gpuE9ELNS1_3repE0EEENS1_48merge_mergepath_partition_config_static_selectorELNS0_4arch9wavefront6targetE0EEEvSM_: ; @_ZN7rocprim17ROCPRIM_400000_NS6detail17trampoline_kernelINS0_14default_configENS1_38merge_sort_block_merge_config_selectorIlNS0_10empty_typeEEEZZNS1_27merge_sort_block_merge_implIS3_PlPS5_mZN2at6native12_GLOBAL__N_124unique_dim_cuda_templateIiEESt5tupleIJNSA_6TensorESF_SF_EERKSF_lbbbEUlllE_EE10hipError_tT0_T1_T2_jT3_P12ihipStream_tbPNSt15iterator_traitsISL_E10value_typeEPNSR_ISM_E10value_typeEPSN_NS1_7vsmem_tEENKUlT_SL_SM_SN_E_clIS8_S8_S9_S9_EESK_S10_SL_SM_SN_EUlS10_E_NS1_11comp_targetILNS1_3genE5ELNS1_11target_archE942ELNS1_3gpuE9ELNS1_3repE0EEENS1_48merge_mergepath_partition_config_static_selectorELNS0_4arch9wavefront6targetE0EEEvSM_
; %bb.0:
	.section	.rodata,"a",@progbits
	.p2align	6, 0x0
	.amdhsa_kernel _ZN7rocprim17ROCPRIM_400000_NS6detail17trampoline_kernelINS0_14default_configENS1_38merge_sort_block_merge_config_selectorIlNS0_10empty_typeEEEZZNS1_27merge_sort_block_merge_implIS3_PlPS5_mZN2at6native12_GLOBAL__N_124unique_dim_cuda_templateIiEESt5tupleIJNSA_6TensorESF_SF_EERKSF_lbbbEUlllE_EE10hipError_tT0_T1_T2_jT3_P12ihipStream_tbPNSt15iterator_traitsISL_E10value_typeEPNSR_ISM_E10value_typeEPSN_NS1_7vsmem_tEENKUlT_SL_SM_SN_E_clIS8_S8_S9_S9_EESK_S10_SL_SM_SN_EUlS10_E_NS1_11comp_targetILNS1_3genE5ELNS1_11target_archE942ELNS1_3gpuE9ELNS1_3repE0EEENS1_48merge_mergepath_partition_config_static_selectorELNS0_4arch9wavefront6targetE0EEEvSM_
		.amdhsa_group_segment_fixed_size 0
		.amdhsa_private_segment_fixed_size 0
		.amdhsa_kernarg_size 56
		.amdhsa_user_sgpr_count 2
		.amdhsa_user_sgpr_dispatch_ptr 0
		.amdhsa_user_sgpr_queue_ptr 0
		.amdhsa_user_sgpr_kernarg_segment_ptr 1
		.amdhsa_user_sgpr_dispatch_id 0
		.amdhsa_user_sgpr_kernarg_preload_length 0
		.amdhsa_user_sgpr_kernarg_preload_offset 0
		.amdhsa_user_sgpr_private_segment_size 0
		.amdhsa_wavefront_size32 1
		.amdhsa_uses_dynamic_stack 0
		.amdhsa_enable_private_segment 0
		.amdhsa_system_sgpr_workgroup_id_x 1
		.amdhsa_system_sgpr_workgroup_id_y 0
		.amdhsa_system_sgpr_workgroup_id_z 0
		.amdhsa_system_sgpr_workgroup_info 0
		.amdhsa_system_vgpr_workitem_id 0
		.amdhsa_next_free_vgpr 1
		.amdhsa_next_free_sgpr 1
		.amdhsa_named_barrier_count 0
		.amdhsa_reserve_vcc 0
		.amdhsa_float_round_mode_32 0
		.amdhsa_float_round_mode_16_64 0
		.amdhsa_float_denorm_mode_32 3
		.amdhsa_float_denorm_mode_16_64 3
		.amdhsa_fp16_overflow 0
		.amdhsa_memory_ordered 1
		.amdhsa_forward_progress 1
		.amdhsa_inst_pref_size 0
		.amdhsa_round_robin_scheduling 0
		.amdhsa_exception_fp_ieee_invalid_op 0
		.amdhsa_exception_fp_denorm_src 0
		.amdhsa_exception_fp_ieee_div_zero 0
		.amdhsa_exception_fp_ieee_overflow 0
		.amdhsa_exception_fp_ieee_underflow 0
		.amdhsa_exception_fp_ieee_inexact 0
		.amdhsa_exception_int_div_zero 0
	.end_amdhsa_kernel
	.section	.text._ZN7rocprim17ROCPRIM_400000_NS6detail17trampoline_kernelINS0_14default_configENS1_38merge_sort_block_merge_config_selectorIlNS0_10empty_typeEEEZZNS1_27merge_sort_block_merge_implIS3_PlPS5_mZN2at6native12_GLOBAL__N_124unique_dim_cuda_templateIiEESt5tupleIJNSA_6TensorESF_SF_EERKSF_lbbbEUlllE_EE10hipError_tT0_T1_T2_jT3_P12ihipStream_tbPNSt15iterator_traitsISL_E10value_typeEPNSR_ISM_E10value_typeEPSN_NS1_7vsmem_tEENKUlT_SL_SM_SN_E_clIS8_S8_S9_S9_EESK_S10_SL_SM_SN_EUlS10_E_NS1_11comp_targetILNS1_3genE5ELNS1_11target_archE942ELNS1_3gpuE9ELNS1_3repE0EEENS1_48merge_mergepath_partition_config_static_selectorELNS0_4arch9wavefront6targetE0EEEvSM_,"axG",@progbits,_ZN7rocprim17ROCPRIM_400000_NS6detail17trampoline_kernelINS0_14default_configENS1_38merge_sort_block_merge_config_selectorIlNS0_10empty_typeEEEZZNS1_27merge_sort_block_merge_implIS3_PlPS5_mZN2at6native12_GLOBAL__N_124unique_dim_cuda_templateIiEESt5tupleIJNSA_6TensorESF_SF_EERKSF_lbbbEUlllE_EE10hipError_tT0_T1_T2_jT3_P12ihipStream_tbPNSt15iterator_traitsISL_E10value_typeEPNSR_ISM_E10value_typeEPSN_NS1_7vsmem_tEENKUlT_SL_SM_SN_E_clIS8_S8_S9_S9_EESK_S10_SL_SM_SN_EUlS10_E_NS1_11comp_targetILNS1_3genE5ELNS1_11target_archE942ELNS1_3gpuE9ELNS1_3repE0EEENS1_48merge_mergepath_partition_config_static_selectorELNS0_4arch9wavefront6targetE0EEEvSM_,comdat
.Lfunc_end394:
	.size	_ZN7rocprim17ROCPRIM_400000_NS6detail17trampoline_kernelINS0_14default_configENS1_38merge_sort_block_merge_config_selectorIlNS0_10empty_typeEEEZZNS1_27merge_sort_block_merge_implIS3_PlPS5_mZN2at6native12_GLOBAL__N_124unique_dim_cuda_templateIiEESt5tupleIJNSA_6TensorESF_SF_EERKSF_lbbbEUlllE_EE10hipError_tT0_T1_T2_jT3_P12ihipStream_tbPNSt15iterator_traitsISL_E10value_typeEPNSR_ISM_E10value_typeEPSN_NS1_7vsmem_tEENKUlT_SL_SM_SN_E_clIS8_S8_S9_S9_EESK_S10_SL_SM_SN_EUlS10_E_NS1_11comp_targetILNS1_3genE5ELNS1_11target_archE942ELNS1_3gpuE9ELNS1_3repE0EEENS1_48merge_mergepath_partition_config_static_selectorELNS0_4arch9wavefront6targetE0EEEvSM_, .Lfunc_end394-_ZN7rocprim17ROCPRIM_400000_NS6detail17trampoline_kernelINS0_14default_configENS1_38merge_sort_block_merge_config_selectorIlNS0_10empty_typeEEEZZNS1_27merge_sort_block_merge_implIS3_PlPS5_mZN2at6native12_GLOBAL__N_124unique_dim_cuda_templateIiEESt5tupleIJNSA_6TensorESF_SF_EERKSF_lbbbEUlllE_EE10hipError_tT0_T1_T2_jT3_P12ihipStream_tbPNSt15iterator_traitsISL_E10value_typeEPNSR_ISM_E10value_typeEPSN_NS1_7vsmem_tEENKUlT_SL_SM_SN_E_clIS8_S8_S9_S9_EESK_S10_SL_SM_SN_EUlS10_E_NS1_11comp_targetILNS1_3genE5ELNS1_11target_archE942ELNS1_3gpuE9ELNS1_3repE0EEENS1_48merge_mergepath_partition_config_static_selectorELNS0_4arch9wavefront6targetE0EEEvSM_
                                        ; -- End function
	.set _ZN7rocprim17ROCPRIM_400000_NS6detail17trampoline_kernelINS0_14default_configENS1_38merge_sort_block_merge_config_selectorIlNS0_10empty_typeEEEZZNS1_27merge_sort_block_merge_implIS3_PlPS5_mZN2at6native12_GLOBAL__N_124unique_dim_cuda_templateIiEESt5tupleIJNSA_6TensorESF_SF_EERKSF_lbbbEUlllE_EE10hipError_tT0_T1_T2_jT3_P12ihipStream_tbPNSt15iterator_traitsISL_E10value_typeEPNSR_ISM_E10value_typeEPSN_NS1_7vsmem_tEENKUlT_SL_SM_SN_E_clIS8_S8_S9_S9_EESK_S10_SL_SM_SN_EUlS10_E_NS1_11comp_targetILNS1_3genE5ELNS1_11target_archE942ELNS1_3gpuE9ELNS1_3repE0EEENS1_48merge_mergepath_partition_config_static_selectorELNS0_4arch9wavefront6targetE0EEEvSM_.num_vgpr, 0
	.set _ZN7rocprim17ROCPRIM_400000_NS6detail17trampoline_kernelINS0_14default_configENS1_38merge_sort_block_merge_config_selectorIlNS0_10empty_typeEEEZZNS1_27merge_sort_block_merge_implIS3_PlPS5_mZN2at6native12_GLOBAL__N_124unique_dim_cuda_templateIiEESt5tupleIJNSA_6TensorESF_SF_EERKSF_lbbbEUlllE_EE10hipError_tT0_T1_T2_jT3_P12ihipStream_tbPNSt15iterator_traitsISL_E10value_typeEPNSR_ISM_E10value_typeEPSN_NS1_7vsmem_tEENKUlT_SL_SM_SN_E_clIS8_S8_S9_S9_EESK_S10_SL_SM_SN_EUlS10_E_NS1_11comp_targetILNS1_3genE5ELNS1_11target_archE942ELNS1_3gpuE9ELNS1_3repE0EEENS1_48merge_mergepath_partition_config_static_selectorELNS0_4arch9wavefront6targetE0EEEvSM_.num_agpr, 0
	.set _ZN7rocprim17ROCPRIM_400000_NS6detail17trampoline_kernelINS0_14default_configENS1_38merge_sort_block_merge_config_selectorIlNS0_10empty_typeEEEZZNS1_27merge_sort_block_merge_implIS3_PlPS5_mZN2at6native12_GLOBAL__N_124unique_dim_cuda_templateIiEESt5tupleIJNSA_6TensorESF_SF_EERKSF_lbbbEUlllE_EE10hipError_tT0_T1_T2_jT3_P12ihipStream_tbPNSt15iterator_traitsISL_E10value_typeEPNSR_ISM_E10value_typeEPSN_NS1_7vsmem_tEENKUlT_SL_SM_SN_E_clIS8_S8_S9_S9_EESK_S10_SL_SM_SN_EUlS10_E_NS1_11comp_targetILNS1_3genE5ELNS1_11target_archE942ELNS1_3gpuE9ELNS1_3repE0EEENS1_48merge_mergepath_partition_config_static_selectorELNS0_4arch9wavefront6targetE0EEEvSM_.numbered_sgpr, 0
	.set _ZN7rocprim17ROCPRIM_400000_NS6detail17trampoline_kernelINS0_14default_configENS1_38merge_sort_block_merge_config_selectorIlNS0_10empty_typeEEEZZNS1_27merge_sort_block_merge_implIS3_PlPS5_mZN2at6native12_GLOBAL__N_124unique_dim_cuda_templateIiEESt5tupleIJNSA_6TensorESF_SF_EERKSF_lbbbEUlllE_EE10hipError_tT0_T1_T2_jT3_P12ihipStream_tbPNSt15iterator_traitsISL_E10value_typeEPNSR_ISM_E10value_typeEPSN_NS1_7vsmem_tEENKUlT_SL_SM_SN_E_clIS8_S8_S9_S9_EESK_S10_SL_SM_SN_EUlS10_E_NS1_11comp_targetILNS1_3genE5ELNS1_11target_archE942ELNS1_3gpuE9ELNS1_3repE0EEENS1_48merge_mergepath_partition_config_static_selectorELNS0_4arch9wavefront6targetE0EEEvSM_.num_named_barrier, 0
	.set _ZN7rocprim17ROCPRIM_400000_NS6detail17trampoline_kernelINS0_14default_configENS1_38merge_sort_block_merge_config_selectorIlNS0_10empty_typeEEEZZNS1_27merge_sort_block_merge_implIS3_PlPS5_mZN2at6native12_GLOBAL__N_124unique_dim_cuda_templateIiEESt5tupleIJNSA_6TensorESF_SF_EERKSF_lbbbEUlllE_EE10hipError_tT0_T1_T2_jT3_P12ihipStream_tbPNSt15iterator_traitsISL_E10value_typeEPNSR_ISM_E10value_typeEPSN_NS1_7vsmem_tEENKUlT_SL_SM_SN_E_clIS8_S8_S9_S9_EESK_S10_SL_SM_SN_EUlS10_E_NS1_11comp_targetILNS1_3genE5ELNS1_11target_archE942ELNS1_3gpuE9ELNS1_3repE0EEENS1_48merge_mergepath_partition_config_static_selectorELNS0_4arch9wavefront6targetE0EEEvSM_.private_seg_size, 0
	.set _ZN7rocprim17ROCPRIM_400000_NS6detail17trampoline_kernelINS0_14default_configENS1_38merge_sort_block_merge_config_selectorIlNS0_10empty_typeEEEZZNS1_27merge_sort_block_merge_implIS3_PlPS5_mZN2at6native12_GLOBAL__N_124unique_dim_cuda_templateIiEESt5tupleIJNSA_6TensorESF_SF_EERKSF_lbbbEUlllE_EE10hipError_tT0_T1_T2_jT3_P12ihipStream_tbPNSt15iterator_traitsISL_E10value_typeEPNSR_ISM_E10value_typeEPSN_NS1_7vsmem_tEENKUlT_SL_SM_SN_E_clIS8_S8_S9_S9_EESK_S10_SL_SM_SN_EUlS10_E_NS1_11comp_targetILNS1_3genE5ELNS1_11target_archE942ELNS1_3gpuE9ELNS1_3repE0EEENS1_48merge_mergepath_partition_config_static_selectorELNS0_4arch9wavefront6targetE0EEEvSM_.uses_vcc, 0
	.set _ZN7rocprim17ROCPRIM_400000_NS6detail17trampoline_kernelINS0_14default_configENS1_38merge_sort_block_merge_config_selectorIlNS0_10empty_typeEEEZZNS1_27merge_sort_block_merge_implIS3_PlPS5_mZN2at6native12_GLOBAL__N_124unique_dim_cuda_templateIiEESt5tupleIJNSA_6TensorESF_SF_EERKSF_lbbbEUlllE_EE10hipError_tT0_T1_T2_jT3_P12ihipStream_tbPNSt15iterator_traitsISL_E10value_typeEPNSR_ISM_E10value_typeEPSN_NS1_7vsmem_tEENKUlT_SL_SM_SN_E_clIS8_S8_S9_S9_EESK_S10_SL_SM_SN_EUlS10_E_NS1_11comp_targetILNS1_3genE5ELNS1_11target_archE942ELNS1_3gpuE9ELNS1_3repE0EEENS1_48merge_mergepath_partition_config_static_selectorELNS0_4arch9wavefront6targetE0EEEvSM_.uses_flat_scratch, 0
	.set _ZN7rocprim17ROCPRIM_400000_NS6detail17trampoline_kernelINS0_14default_configENS1_38merge_sort_block_merge_config_selectorIlNS0_10empty_typeEEEZZNS1_27merge_sort_block_merge_implIS3_PlPS5_mZN2at6native12_GLOBAL__N_124unique_dim_cuda_templateIiEESt5tupleIJNSA_6TensorESF_SF_EERKSF_lbbbEUlllE_EE10hipError_tT0_T1_T2_jT3_P12ihipStream_tbPNSt15iterator_traitsISL_E10value_typeEPNSR_ISM_E10value_typeEPSN_NS1_7vsmem_tEENKUlT_SL_SM_SN_E_clIS8_S8_S9_S9_EESK_S10_SL_SM_SN_EUlS10_E_NS1_11comp_targetILNS1_3genE5ELNS1_11target_archE942ELNS1_3gpuE9ELNS1_3repE0EEENS1_48merge_mergepath_partition_config_static_selectorELNS0_4arch9wavefront6targetE0EEEvSM_.has_dyn_sized_stack, 0
	.set _ZN7rocprim17ROCPRIM_400000_NS6detail17trampoline_kernelINS0_14default_configENS1_38merge_sort_block_merge_config_selectorIlNS0_10empty_typeEEEZZNS1_27merge_sort_block_merge_implIS3_PlPS5_mZN2at6native12_GLOBAL__N_124unique_dim_cuda_templateIiEESt5tupleIJNSA_6TensorESF_SF_EERKSF_lbbbEUlllE_EE10hipError_tT0_T1_T2_jT3_P12ihipStream_tbPNSt15iterator_traitsISL_E10value_typeEPNSR_ISM_E10value_typeEPSN_NS1_7vsmem_tEENKUlT_SL_SM_SN_E_clIS8_S8_S9_S9_EESK_S10_SL_SM_SN_EUlS10_E_NS1_11comp_targetILNS1_3genE5ELNS1_11target_archE942ELNS1_3gpuE9ELNS1_3repE0EEENS1_48merge_mergepath_partition_config_static_selectorELNS0_4arch9wavefront6targetE0EEEvSM_.has_recursion, 0
	.set _ZN7rocprim17ROCPRIM_400000_NS6detail17trampoline_kernelINS0_14default_configENS1_38merge_sort_block_merge_config_selectorIlNS0_10empty_typeEEEZZNS1_27merge_sort_block_merge_implIS3_PlPS5_mZN2at6native12_GLOBAL__N_124unique_dim_cuda_templateIiEESt5tupleIJNSA_6TensorESF_SF_EERKSF_lbbbEUlllE_EE10hipError_tT0_T1_T2_jT3_P12ihipStream_tbPNSt15iterator_traitsISL_E10value_typeEPNSR_ISM_E10value_typeEPSN_NS1_7vsmem_tEENKUlT_SL_SM_SN_E_clIS8_S8_S9_S9_EESK_S10_SL_SM_SN_EUlS10_E_NS1_11comp_targetILNS1_3genE5ELNS1_11target_archE942ELNS1_3gpuE9ELNS1_3repE0EEENS1_48merge_mergepath_partition_config_static_selectorELNS0_4arch9wavefront6targetE0EEEvSM_.has_indirect_call, 0
	.section	.AMDGPU.csdata,"",@progbits
; Kernel info:
; codeLenInByte = 0
; TotalNumSgprs: 0
; NumVgprs: 0
; ScratchSize: 0
; MemoryBound: 0
; FloatMode: 240
; IeeeMode: 1
; LDSByteSize: 0 bytes/workgroup (compile time only)
; SGPRBlocks: 0
; VGPRBlocks: 0
; NumSGPRsForWavesPerEU: 1
; NumVGPRsForWavesPerEU: 1
; NamedBarCnt: 0
; Occupancy: 16
; WaveLimiterHint : 0
; COMPUTE_PGM_RSRC2:SCRATCH_EN: 0
; COMPUTE_PGM_RSRC2:USER_SGPR: 2
; COMPUTE_PGM_RSRC2:TRAP_HANDLER: 0
; COMPUTE_PGM_RSRC2:TGID_X_EN: 1
; COMPUTE_PGM_RSRC2:TGID_Y_EN: 0
; COMPUTE_PGM_RSRC2:TGID_Z_EN: 0
; COMPUTE_PGM_RSRC2:TIDIG_COMP_CNT: 0
	.section	.text._ZN7rocprim17ROCPRIM_400000_NS6detail17trampoline_kernelINS0_14default_configENS1_38merge_sort_block_merge_config_selectorIlNS0_10empty_typeEEEZZNS1_27merge_sort_block_merge_implIS3_PlPS5_mZN2at6native12_GLOBAL__N_124unique_dim_cuda_templateIiEESt5tupleIJNSA_6TensorESF_SF_EERKSF_lbbbEUlllE_EE10hipError_tT0_T1_T2_jT3_P12ihipStream_tbPNSt15iterator_traitsISL_E10value_typeEPNSR_ISM_E10value_typeEPSN_NS1_7vsmem_tEENKUlT_SL_SM_SN_E_clIS8_S8_S9_S9_EESK_S10_SL_SM_SN_EUlS10_E_NS1_11comp_targetILNS1_3genE4ELNS1_11target_archE910ELNS1_3gpuE8ELNS1_3repE0EEENS1_48merge_mergepath_partition_config_static_selectorELNS0_4arch9wavefront6targetE0EEEvSM_,"axG",@progbits,_ZN7rocprim17ROCPRIM_400000_NS6detail17trampoline_kernelINS0_14default_configENS1_38merge_sort_block_merge_config_selectorIlNS0_10empty_typeEEEZZNS1_27merge_sort_block_merge_implIS3_PlPS5_mZN2at6native12_GLOBAL__N_124unique_dim_cuda_templateIiEESt5tupleIJNSA_6TensorESF_SF_EERKSF_lbbbEUlllE_EE10hipError_tT0_T1_T2_jT3_P12ihipStream_tbPNSt15iterator_traitsISL_E10value_typeEPNSR_ISM_E10value_typeEPSN_NS1_7vsmem_tEENKUlT_SL_SM_SN_E_clIS8_S8_S9_S9_EESK_S10_SL_SM_SN_EUlS10_E_NS1_11comp_targetILNS1_3genE4ELNS1_11target_archE910ELNS1_3gpuE8ELNS1_3repE0EEENS1_48merge_mergepath_partition_config_static_selectorELNS0_4arch9wavefront6targetE0EEEvSM_,comdat
	.globl	_ZN7rocprim17ROCPRIM_400000_NS6detail17trampoline_kernelINS0_14default_configENS1_38merge_sort_block_merge_config_selectorIlNS0_10empty_typeEEEZZNS1_27merge_sort_block_merge_implIS3_PlPS5_mZN2at6native12_GLOBAL__N_124unique_dim_cuda_templateIiEESt5tupleIJNSA_6TensorESF_SF_EERKSF_lbbbEUlllE_EE10hipError_tT0_T1_T2_jT3_P12ihipStream_tbPNSt15iterator_traitsISL_E10value_typeEPNSR_ISM_E10value_typeEPSN_NS1_7vsmem_tEENKUlT_SL_SM_SN_E_clIS8_S8_S9_S9_EESK_S10_SL_SM_SN_EUlS10_E_NS1_11comp_targetILNS1_3genE4ELNS1_11target_archE910ELNS1_3gpuE8ELNS1_3repE0EEENS1_48merge_mergepath_partition_config_static_selectorELNS0_4arch9wavefront6targetE0EEEvSM_ ; -- Begin function _ZN7rocprim17ROCPRIM_400000_NS6detail17trampoline_kernelINS0_14default_configENS1_38merge_sort_block_merge_config_selectorIlNS0_10empty_typeEEEZZNS1_27merge_sort_block_merge_implIS3_PlPS5_mZN2at6native12_GLOBAL__N_124unique_dim_cuda_templateIiEESt5tupleIJNSA_6TensorESF_SF_EERKSF_lbbbEUlllE_EE10hipError_tT0_T1_T2_jT3_P12ihipStream_tbPNSt15iterator_traitsISL_E10value_typeEPNSR_ISM_E10value_typeEPSN_NS1_7vsmem_tEENKUlT_SL_SM_SN_E_clIS8_S8_S9_S9_EESK_S10_SL_SM_SN_EUlS10_E_NS1_11comp_targetILNS1_3genE4ELNS1_11target_archE910ELNS1_3gpuE8ELNS1_3repE0EEENS1_48merge_mergepath_partition_config_static_selectorELNS0_4arch9wavefront6targetE0EEEvSM_
	.p2align	8
	.type	_ZN7rocprim17ROCPRIM_400000_NS6detail17trampoline_kernelINS0_14default_configENS1_38merge_sort_block_merge_config_selectorIlNS0_10empty_typeEEEZZNS1_27merge_sort_block_merge_implIS3_PlPS5_mZN2at6native12_GLOBAL__N_124unique_dim_cuda_templateIiEESt5tupleIJNSA_6TensorESF_SF_EERKSF_lbbbEUlllE_EE10hipError_tT0_T1_T2_jT3_P12ihipStream_tbPNSt15iterator_traitsISL_E10value_typeEPNSR_ISM_E10value_typeEPSN_NS1_7vsmem_tEENKUlT_SL_SM_SN_E_clIS8_S8_S9_S9_EESK_S10_SL_SM_SN_EUlS10_E_NS1_11comp_targetILNS1_3genE4ELNS1_11target_archE910ELNS1_3gpuE8ELNS1_3repE0EEENS1_48merge_mergepath_partition_config_static_selectorELNS0_4arch9wavefront6targetE0EEEvSM_,@function
_ZN7rocprim17ROCPRIM_400000_NS6detail17trampoline_kernelINS0_14default_configENS1_38merge_sort_block_merge_config_selectorIlNS0_10empty_typeEEEZZNS1_27merge_sort_block_merge_implIS3_PlPS5_mZN2at6native12_GLOBAL__N_124unique_dim_cuda_templateIiEESt5tupleIJNSA_6TensorESF_SF_EERKSF_lbbbEUlllE_EE10hipError_tT0_T1_T2_jT3_P12ihipStream_tbPNSt15iterator_traitsISL_E10value_typeEPNSR_ISM_E10value_typeEPSN_NS1_7vsmem_tEENKUlT_SL_SM_SN_E_clIS8_S8_S9_S9_EESK_S10_SL_SM_SN_EUlS10_E_NS1_11comp_targetILNS1_3genE4ELNS1_11target_archE910ELNS1_3gpuE8ELNS1_3repE0EEENS1_48merge_mergepath_partition_config_static_selectorELNS0_4arch9wavefront6targetE0EEEvSM_: ; @_ZN7rocprim17ROCPRIM_400000_NS6detail17trampoline_kernelINS0_14default_configENS1_38merge_sort_block_merge_config_selectorIlNS0_10empty_typeEEEZZNS1_27merge_sort_block_merge_implIS3_PlPS5_mZN2at6native12_GLOBAL__N_124unique_dim_cuda_templateIiEESt5tupleIJNSA_6TensorESF_SF_EERKSF_lbbbEUlllE_EE10hipError_tT0_T1_T2_jT3_P12ihipStream_tbPNSt15iterator_traitsISL_E10value_typeEPNSR_ISM_E10value_typeEPSN_NS1_7vsmem_tEENKUlT_SL_SM_SN_E_clIS8_S8_S9_S9_EESK_S10_SL_SM_SN_EUlS10_E_NS1_11comp_targetILNS1_3genE4ELNS1_11target_archE910ELNS1_3gpuE8ELNS1_3repE0EEENS1_48merge_mergepath_partition_config_static_selectorELNS0_4arch9wavefront6targetE0EEEvSM_
; %bb.0:
	.section	.rodata,"a",@progbits
	.p2align	6, 0x0
	.amdhsa_kernel _ZN7rocprim17ROCPRIM_400000_NS6detail17trampoline_kernelINS0_14default_configENS1_38merge_sort_block_merge_config_selectorIlNS0_10empty_typeEEEZZNS1_27merge_sort_block_merge_implIS3_PlPS5_mZN2at6native12_GLOBAL__N_124unique_dim_cuda_templateIiEESt5tupleIJNSA_6TensorESF_SF_EERKSF_lbbbEUlllE_EE10hipError_tT0_T1_T2_jT3_P12ihipStream_tbPNSt15iterator_traitsISL_E10value_typeEPNSR_ISM_E10value_typeEPSN_NS1_7vsmem_tEENKUlT_SL_SM_SN_E_clIS8_S8_S9_S9_EESK_S10_SL_SM_SN_EUlS10_E_NS1_11comp_targetILNS1_3genE4ELNS1_11target_archE910ELNS1_3gpuE8ELNS1_3repE0EEENS1_48merge_mergepath_partition_config_static_selectorELNS0_4arch9wavefront6targetE0EEEvSM_
		.amdhsa_group_segment_fixed_size 0
		.amdhsa_private_segment_fixed_size 0
		.amdhsa_kernarg_size 56
		.amdhsa_user_sgpr_count 2
		.amdhsa_user_sgpr_dispatch_ptr 0
		.amdhsa_user_sgpr_queue_ptr 0
		.amdhsa_user_sgpr_kernarg_segment_ptr 1
		.amdhsa_user_sgpr_dispatch_id 0
		.amdhsa_user_sgpr_kernarg_preload_length 0
		.amdhsa_user_sgpr_kernarg_preload_offset 0
		.amdhsa_user_sgpr_private_segment_size 0
		.amdhsa_wavefront_size32 1
		.amdhsa_uses_dynamic_stack 0
		.amdhsa_enable_private_segment 0
		.amdhsa_system_sgpr_workgroup_id_x 1
		.amdhsa_system_sgpr_workgroup_id_y 0
		.amdhsa_system_sgpr_workgroup_id_z 0
		.amdhsa_system_sgpr_workgroup_info 0
		.amdhsa_system_vgpr_workitem_id 0
		.amdhsa_next_free_vgpr 1
		.amdhsa_next_free_sgpr 1
		.amdhsa_named_barrier_count 0
		.amdhsa_reserve_vcc 0
		.amdhsa_float_round_mode_32 0
		.amdhsa_float_round_mode_16_64 0
		.amdhsa_float_denorm_mode_32 3
		.amdhsa_float_denorm_mode_16_64 3
		.amdhsa_fp16_overflow 0
		.amdhsa_memory_ordered 1
		.amdhsa_forward_progress 1
		.amdhsa_inst_pref_size 0
		.amdhsa_round_robin_scheduling 0
		.amdhsa_exception_fp_ieee_invalid_op 0
		.amdhsa_exception_fp_denorm_src 0
		.amdhsa_exception_fp_ieee_div_zero 0
		.amdhsa_exception_fp_ieee_overflow 0
		.amdhsa_exception_fp_ieee_underflow 0
		.amdhsa_exception_fp_ieee_inexact 0
		.amdhsa_exception_int_div_zero 0
	.end_amdhsa_kernel
	.section	.text._ZN7rocprim17ROCPRIM_400000_NS6detail17trampoline_kernelINS0_14default_configENS1_38merge_sort_block_merge_config_selectorIlNS0_10empty_typeEEEZZNS1_27merge_sort_block_merge_implIS3_PlPS5_mZN2at6native12_GLOBAL__N_124unique_dim_cuda_templateIiEESt5tupleIJNSA_6TensorESF_SF_EERKSF_lbbbEUlllE_EE10hipError_tT0_T1_T2_jT3_P12ihipStream_tbPNSt15iterator_traitsISL_E10value_typeEPNSR_ISM_E10value_typeEPSN_NS1_7vsmem_tEENKUlT_SL_SM_SN_E_clIS8_S8_S9_S9_EESK_S10_SL_SM_SN_EUlS10_E_NS1_11comp_targetILNS1_3genE4ELNS1_11target_archE910ELNS1_3gpuE8ELNS1_3repE0EEENS1_48merge_mergepath_partition_config_static_selectorELNS0_4arch9wavefront6targetE0EEEvSM_,"axG",@progbits,_ZN7rocprim17ROCPRIM_400000_NS6detail17trampoline_kernelINS0_14default_configENS1_38merge_sort_block_merge_config_selectorIlNS0_10empty_typeEEEZZNS1_27merge_sort_block_merge_implIS3_PlPS5_mZN2at6native12_GLOBAL__N_124unique_dim_cuda_templateIiEESt5tupleIJNSA_6TensorESF_SF_EERKSF_lbbbEUlllE_EE10hipError_tT0_T1_T2_jT3_P12ihipStream_tbPNSt15iterator_traitsISL_E10value_typeEPNSR_ISM_E10value_typeEPSN_NS1_7vsmem_tEENKUlT_SL_SM_SN_E_clIS8_S8_S9_S9_EESK_S10_SL_SM_SN_EUlS10_E_NS1_11comp_targetILNS1_3genE4ELNS1_11target_archE910ELNS1_3gpuE8ELNS1_3repE0EEENS1_48merge_mergepath_partition_config_static_selectorELNS0_4arch9wavefront6targetE0EEEvSM_,comdat
.Lfunc_end395:
	.size	_ZN7rocprim17ROCPRIM_400000_NS6detail17trampoline_kernelINS0_14default_configENS1_38merge_sort_block_merge_config_selectorIlNS0_10empty_typeEEEZZNS1_27merge_sort_block_merge_implIS3_PlPS5_mZN2at6native12_GLOBAL__N_124unique_dim_cuda_templateIiEESt5tupleIJNSA_6TensorESF_SF_EERKSF_lbbbEUlllE_EE10hipError_tT0_T1_T2_jT3_P12ihipStream_tbPNSt15iterator_traitsISL_E10value_typeEPNSR_ISM_E10value_typeEPSN_NS1_7vsmem_tEENKUlT_SL_SM_SN_E_clIS8_S8_S9_S9_EESK_S10_SL_SM_SN_EUlS10_E_NS1_11comp_targetILNS1_3genE4ELNS1_11target_archE910ELNS1_3gpuE8ELNS1_3repE0EEENS1_48merge_mergepath_partition_config_static_selectorELNS0_4arch9wavefront6targetE0EEEvSM_, .Lfunc_end395-_ZN7rocprim17ROCPRIM_400000_NS6detail17trampoline_kernelINS0_14default_configENS1_38merge_sort_block_merge_config_selectorIlNS0_10empty_typeEEEZZNS1_27merge_sort_block_merge_implIS3_PlPS5_mZN2at6native12_GLOBAL__N_124unique_dim_cuda_templateIiEESt5tupleIJNSA_6TensorESF_SF_EERKSF_lbbbEUlllE_EE10hipError_tT0_T1_T2_jT3_P12ihipStream_tbPNSt15iterator_traitsISL_E10value_typeEPNSR_ISM_E10value_typeEPSN_NS1_7vsmem_tEENKUlT_SL_SM_SN_E_clIS8_S8_S9_S9_EESK_S10_SL_SM_SN_EUlS10_E_NS1_11comp_targetILNS1_3genE4ELNS1_11target_archE910ELNS1_3gpuE8ELNS1_3repE0EEENS1_48merge_mergepath_partition_config_static_selectorELNS0_4arch9wavefront6targetE0EEEvSM_
                                        ; -- End function
	.set _ZN7rocprim17ROCPRIM_400000_NS6detail17trampoline_kernelINS0_14default_configENS1_38merge_sort_block_merge_config_selectorIlNS0_10empty_typeEEEZZNS1_27merge_sort_block_merge_implIS3_PlPS5_mZN2at6native12_GLOBAL__N_124unique_dim_cuda_templateIiEESt5tupleIJNSA_6TensorESF_SF_EERKSF_lbbbEUlllE_EE10hipError_tT0_T1_T2_jT3_P12ihipStream_tbPNSt15iterator_traitsISL_E10value_typeEPNSR_ISM_E10value_typeEPSN_NS1_7vsmem_tEENKUlT_SL_SM_SN_E_clIS8_S8_S9_S9_EESK_S10_SL_SM_SN_EUlS10_E_NS1_11comp_targetILNS1_3genE4ELNS1_11target_archE910ELNS1_3gpuE8ELNS1_3repE0EEENS1_48merge_mergepath_partition_config_static_selectorELNS0_4arch9wavefront6targetE0EEEvSM_.num_vgpr, 0
	.set _ZN7rocprim17ROCPRIM_400000_NS6detail17trampoline_kernelINS0_14default_configENS1_38merge_sort_block_merge_config_selectorIlNS0_10empty_typeEEEZZNS1_27merge_sort_block_merge_implIS3_PlPS5_mZN2at6native12_GLOBAL__N_124unique_dim_cuda_templateIiEESt5tupleIJNSA_6TensorESF_SF_EERKSF_lbbbEUlllE_EE10hipError_tT0_T1_T2_jT3_P12ihipStream_tbPNSt15iterator_traitsISL_E10value_typeEPNSR_ISM_E10value_typeEPSN_NS1_7vsmem_tEENKUlT_SL_SM_SN_E_clIS8_S8_S9_S9_EESK_S10_SL_SM_SN_EUlS10_E_NS1_11comp_targetILNS1_3genE4ELNS1_11target_archE910ELNS1_3gpuE8ELNS1_3repE0EEENS1_48merge_mergepath_partition_config_static_selectorELNS0_4arch9wavefront6targetE0EEEvSM_.num_agpr, 0
	.set _ZN7rocprim17ROCPRIM_400000_NS6detail17trampoline_kernelINS0_14default_configENS1_38merge_sort_block_merge_config_selectorIlNS0_10empty_typeEEEZZNS1_27merge_sort_block_merge_implIS3_PlPS5_mZN2at6native12_GLOBAL__N_124unique_dim_cuda_templateIiEESt5tupleIJNSA_6TensorESF_SF_EERKSF_lbbbEUlllE_EE10hipError_tT0_T1_T2_jT3_P12ihipStream_tbPNSt15iterator_traitsISL_E10value_typeEPNSR_ISM_E10value_typeEPSN_NS1_7vsmem_tEENKUlT_SL_SM_SN_E_clIS8_S8_S9_S9_EESK_S10_SL_SM_SN_EUlS10_E_NS1_11comp_targetILNS1_3genE4ELNS1_11target_archE910ELNS1_3gpuE8ELNS1_3repE0EEENS1_48merge_mergepath_partition_config_static_selectorELNS0_4arch9wavefront6targetE0EEEvSM_.numbered_sgpr, 0
	.set _ZN7rocprim17ROCPRIM_400000_NS6detail17trampoline_kernelINS0_14default_configENS1_38merge_sort_block_merge_config_selectorIlNS0_10empty_typeEEEZZNS1_27merge_sort_block_merge_implIS3_PlPS5_mZN2at6native12_GLOBAL__N_124unique_dim_cuda_templateIiEESt5tupleIJNSA_6TensorESF_SF_EERKSF_lbbbEUlllE_EE10hipError_tT0_T1_T2_jT3_P12ihipStream_tbPNSt15iterator_traitsISL_E10value_typeEPNSR_ISM_E10value_typeEPSN_NS1_7vsmem_tEENKUlT_SL_SM_SN_E_clIS8_S8_S9_S9_EESK_S10_SL_SM_SN_EUlS10_E_NS1_11comp_targetILNS1_3genE4ELNS1_11target_archE910ELNS1_3gpuE8ELNS1_3repE0EEENS1_48merge_mergepath_partition_config_static_selectorELNS0_4arch9wavefront6targetE0EEEvSM_.num_named_barrier, 0
	.set _ZN7rocprim17ROCPRIM_400000_NS6detail17trampoline_kernelINS0_14default_configENS1_38merge_sort_block_merge_config_selectorIlNS0_10empty_typeEEEZZNS1_27merge_sort_block_merge_implIS3_PlPS5_mZN2at6native12_GLOBAL__N_124unique_dim_cuda_templateIiEESt5tupleIJNSA_6TensorESF_SF_EERKSF_lbbbEUlllE_EE10hipError_tT0_T1_T2_jT3_P12ihipStream_tbPNSt15iterator_traitsISL_E10value_typeEPNSR_ISM_E10value_typeEPSN_NS1_7vsmem_tEENKUlT_SL_SM_SN_E_clIS8_S8_S9_S9_EESK_S10_SL_SM_SN_EUlS10_E_NS1_11comp_targetILNS1_3genE4ELNS1_11target_archE910ELNS1_3gpuE8ELNS1_3repE0EEENS1_48merge_mergepath_partition_config_static_selectorELNS0_4arch9wavefront6targetE0EEEvSM_.private_seg_size, 0
	.set _ZN7rocprim17ROCPRIM_400000_NS6detail17trampoline_kernelINS0_14default_configENS1_38merge_sort_block_merge_config_selectorIlNS0_10empty_typeEEEZZNS1_27merge_sort_block_merge_implIS3_PlPS5_mZN2at6native12_GLOBAL__N_124unique_dim_cuda_templateIiEESt5tupleIJNSA_6TensorESF_SF_EERKSF_lbbbEUlllE_EE10hipError_tT0_T1_T2_jT3_P12ihipStream_tbPNSt15iterator_traitsISL_E10value_typeEPNSR_ISM_E10value_typeEPSN_NS1_7vsmem_tEENKUlT_SL_SM_SN_E_clIS8_S8_S9_S9_EESK_S10_SL_SM_SN_EUlS10_E_NS1_11comp_targetILNS1_3genE4ELNS1_11target_archE910ELNS1_3gpuE8ELNS1_3repE0EEENS1_48merge_mergepath_partition_config_static_selectorELNS0_4arch9wavefront6targetE0EEEvSM_.uses_vcc, 0
	.set _ZN7rocprim17ROCPRIM_400000_NS6detail17trampoline_kernelINS0_14default_configENS1_38merge_sort_block_merge_config_selectorIlNS0_10empty_typeEEEZZNS1_27merge_sort_block_merge_implIS3_PlPS5_mZN2at6native12_GLOBAL__N_124unique_dim_cuda_templateIiEESt5tupleIJNSA_6TensorESF_SF_EERKSF_lbbbEUlllE_EE10hipError_tT0_T1_T2_jT3_P12ihipStream_tbPNSt15iterator_traitsISL_E10value_typeEPNSR_ISM_E10value_typeEPSN_NS1_7vsmem_tEENKUlT_SL_SM_SN_E_clIS8_S8_S9_S9_EESK_S10_SL_SM_SN_EUlS10_E_NS1_11comp_targetILNS1_3genE4ELNS1_11target_archE910ELNS1_3gpuE8ELNS1_3repE0EEENS1_48merge_mergepath_partition_config_static_selectorELNS0_4arch9wavefront6targetE0EEEvSM_.uses_flat_scratch, 0
	.set _ZN7rocprim17ROCPRIM_400000_NS6detail17trampoline_kernelINS0_14default_configENS1_38merge_sort_block_merge_config_selectorIlNS0_10empty_typeEEEZZNS1_27merge_sort_block_merge_implIS3_PlPS5_mZN2at6native12_GLOBAL__N_124unique_dim_cuda_templateIiEESt5tupleIJNSA_6TensorESF_SF_EERKSF_lbbbEUlllE_EE10hipError_tT0_T1_T2_jT3_P12ihipStream_tbPNSt15iterator_traitsISL_E10value_typeEPNSR_ISM_E10value_typeEPSN_NS1_7vsmem_tEENKUlT_SL_SM_SN_E_clIS8_S8_S9_S9_EESK_S10_SL_SM_SN_EUlS10_E_NS1_11comp_targetILNS1_3genE4ELNS1_11target_archE910ELNS1_3gpuE8ELNS1_3repE0EEENS1_48merge_mergepath_partition_config_static_selectorELNS0_4arch9wavefront6targetE0EEEvSM_.has_dyn_sized_stack, 0
	.set _ZN7rocprim17ROCPRIM_400000_NS6detail17trampoline_kernelINS0_14default_configENS1_38merge_sort_block_merge_config_selectorIlNS0_10empty_typeEEEZZNS1_27merge_sort_block_merge_implIS3_PlPS5_mZN2at6native12_GLOBAL__N_124unique_dim_cuda_templateIiEESt5tupleIJNSA_6TensorESF_SF_EERKSF_lbbbEUlllE_EE10hipError_tT0_T1_T2_jT3_P12ihipStream_tbPNSt15iterator_traitsISL_E10value_typeEPNSR_ISM_E10value_typeEPSN_NS1_7vsmem_tEENKUlT_SL_SM_SN_E_clIS8_S8_S9_S9_EESK_S10_SL_SM_SN_EUlS10_E_NS1_11comp_targetILNS1_3genE4ELNS1_11target_archE910ELNS1_3gpuE8ELNS1_3repE0EEENS1_48merge_mergepath_partition_config_static_selectorELNS0_4arch9wavefront6targetE0EEEvSM_.has_recursion, 0
	.set _ZN7rocprim17ROCPRIM_400000_NS6detail17trampoline_kernelINS0_14default_configENS1_38merge_sort_block_merge_config_selectorIlNS0_10empty_typeEEEZZNS1_27merge_sort_block_merge_implIS3_PlPS5_mZN2at6native12_GLOBAL__N_124unique_dim_cuda_templateIiEESt5tupleIJNSA_6TensorESF_SF_EERKSF_lbbbEUlllE_EE10hipError_tT0_T1_T2_jT3_P12ihipStream_tbPNSt15iterator_traitsISL_E10value_typeEPNSR_ISM_E10value_typeEPSN_NS1_7vsmem_tEENKUlT_SL_SM_SN_E_clIS8_S8_S9_S9_EESK_S10_SL_SM_SN_EUlS10_E_NS1_11comp_targetILNS1_3genE4ELNS1_11target_archE910ELNS1_3gpuE8ELNS1_3repE0EEENS1_48merge_mergepath_partition_config_static_selectorELNS0_4arch9wavefront6targetE0EEEvSM_.has_indirect_call, 0
	.section	.AMDGPU.csdata,"",@progbits
; Kernel info:
; codeLenInByte = 0
; TotalNumSgprs: 0
; NumVgprs: 0
; ScratchSize: 0
; MemoryBound: 0
; FloatMode: 240
; IeeeMode: 1
; LDSByteSize: 0 bytes/workgroup (compile time only)
; SGPRBlocks: 0
; VGPRBlocks: 0
; NumSGPRsForWavesPerEU: 1
; NumVGPRsForWavesPerEU: 1
; NamedBarCnt: 0
; Occupancy: 16
; WaveLimiterHint : 0
; COMPUTE_PGM_RSRC2:SCRATCH_EN: 0
; COMPUTE_PGM_RSRC2:USER_SGPR: 2
; COMPUTE_PGM_RSRC2:TRAP_HANDLER: 0
; COMPUTE_PGM_RSRC2:TGID_X_EN: 1
; COMPUTE_PGM_RSRC2:TGID_Y_EN: 0
; COMPUTE_PGM_RSRC2:TGID_Z_EN: 0
; COMPUTE_PGM_RSRC2:TIDIG_COMP_CNT: 0
	.section	.text._ZN7rocprim17ROCPRIM_400000_NS6detail17trampoline_kernelINS0_14default_configENS1_38merge_sort_block_merge_config_selectorIlNS0_10empty_typeEEEZZNS1_27merge_sort_block_merge_implIS3_PlPS5_mZN2at6native12_GLOBAL__N_124unique_dim_cuda_templateIiEESt5tupleIJNSA_6TensorESF_SF_EERKSF_lbbbEUlllE_EE10hipError_tT0_T1_T2_jT3_P12ihipStream_tbPNSt15iterator_traitsISL_E10value_typeEPNSR_ISM_E10value_typeEPSN_NS1_7vsmem_tEENKUlT_SL_SM_SN_E_clIS8_S8_S9_S9_EESK_S10_SL_SM_SN_EUlS10_E_NS1_11comp_targetILNS1_3genE3ELNS1_11target_archE908ELNS1_3gpuE7ELNS1_3repE0EEENS1_48merge_mergepath_partition_config_static_selectorELNS0_4arch9wavefront6targetE0EEEvSM_,"axG",@progbits,_ZN7rocprim17ROCPRIM_400000_NS6detail17trampoline_kernelINS0_14default_configENS1_38merge_sort_block_merge_config_selectorIlNS0_10empty_typeEEEZZNS1_27merge_sort_block_merge_implIS3_PlPS5_mZN2at6native12_GLOBAL__N_124unique_dim_cuda_templateIiEESt5tupleIJNSA_6TensorESF_SF_EERKSF_lbbbEUlllE_EE10hipError_tT0_T1_T2_jT3_P12ihipStream_tbPNSt15iterator_traitsISL_E10value_typeEPNSR_ISM_E10value_typeEPSN_NS1_7vsmem_tEENKUlT_SL_SM_SN_E_clIS8_S8_S9_S9_EESK_S10_SL_SM_SN_EUlS10_E_NS1_11comp_targetILNS1_3genE3ELNS1_11target_archE908ELNS1_3gpuE7ELNS1_3repE0EEENS1_48merge_mergepath_partition_config_static_selectorELNS0_4arch9wavefront6targetE0EEEvSM_,comdat
	.globl	_ZN7rocprim17ROCPRIM_400000_NS6detail17trampoline_kernelINS0_14default_configENS1_38merge_sort_block_merge_config_selectorIlNS0_10empty_typeEEEZZNS1_27merge_sort_block_merge_implIS3_PlPS5_mZN2at6native12_GLOBAL__N_124unique_dim_cuda_templateIiEESt5tupleIJNSA_6TensorESF_SF_EERKSF_lbbbEUlllE_EE10hipError_tT0_T1_T2_jT3_P12ihipStream_tbPNSt15iterator_traitsISL_E10value_typeEPNSR_ISM_E10value_typeEPSN_NS1_7vsmem_tEENKUlT_SL_SM_SN_E_clIS8_S8_S9_S9_EESK_S10_SL_SM_SN_EUlS10_E_NS1_11comp_targetILNS1_3genE3ELNS1_11target_archE908ELNS1_3gpuE7ELNS1_3repE0EEENS1_48merge_mergepath_partition_config_static_selectorELNS0_4arch9wavefront6targetE0EEEvSM_ ; -- Begin function _ZN7rocprim17ROCPRIM_400000_NS6detail17trampoline_kernelINS0_14default_configENS1_38merge_sort_block_merge_config_selectorIlNS0_10empty_typeEEEZZNS1_27merge_sort_block_merge_implIS3_PlPS5_mZN2at6native12_GLOBAL__N_124unique_dim_cuda_templateIiEESt5tupleIJNSA_6TensorESF_SF_EERKSF_lbbbEUlllE_EE10hipError_tT0_T1_T2_jT3_P12ihipStream_tbPNSt15iterator_traitsISL_E10value_typeEPNSR_ISM_E10value_typeEPSN_NS1_7vsmem_tEENKUlT_SL_SM_SN_E_clIS8_S8_S9_S9_EESK_S10_SL_SM_SN_EUlS10_E_NS1_11comp_targetILNS1_3genE3ELNS1_11target_archE908ELNS1_3gpuE7ELNS1_3repE0EEENS1_48merge_mergepath_partition_config_static_selectorELNS0_4arch9wavefront6targetE0EEEvSM_
	.p2align	8
	.type	_ZN7rocprim17ROCPRIM_400000_NS6detail17trampoline_kernelINS0_14default_configENS1_38merge_sort_block_merge_config_selectorIlNS0_10empty_typeEEEZZNS1_27merge_sort_block_merge_implIS3_PlPS5_mZN2at6native12_GLOBAL__N_124unique_dim_cuda_templateIiEESt5tupleIJNSA_6TensorESF_SF_EERKSF_lbbbEUlllE_EE10hipError_tT0_T1_T2_jT3_P12ihipStream_tbPNSt15iterator_traitsISL_E10value_typeEPNSR_ISM_E10value_typeEPSN_NS1_7vsmem_tEENKUlT_SL_SM_SN_E_clIS8_S8_S9_S9_EESK_S10_SL_SM_SN_EUlS10_E_NS1_11comp_targetILNS1_3genE3ELNS1_11target_archE908ELNS1_3gpuE7ELNS1_3repE0EEENS1_48merge_mergepath_partition_config_static_selectorELNS0_4arch9wavefront6targetE0EEEvSM_,@function
_ZN7rocprim17ROCPRIM_400000_NS6detail17trampoline_kernelINS0_14default_configENS1_38merge_sort_block_merge_config_selectorIlNS0_10empty_typeEEEZZNS1_27merge_sort_block_merge_implIS3_PlPS5_mZN2at6native12_GLOBAL__N_124unique_dim_cuda_templateIiEESt5tupleIJNSA_6TensorESF_SF_EERKSF_lbbbEUlllE_EE10hipError_tT0_T1_T2_jT3_P12ihipStream_tbPNSt15iterator_traitsISL_E10value_typeEPNSR_ISM_E10value_typeEPSN_NS1_7vsmem_tEENKUlT_SL_SM_SN_E_clIS8_S8_S9_S9_EESK_S10_SL_SM_SN_EUlS10_E_NS1_11comp_targetILNS1_3genE3ELNS1_11target_archE908ELNS1_3gpuE7ELNS1_3repE0EEENS1_48merge_mergepath_partition_config_static_selectorELNS0_4arch9wavefront6targetE0EEEvSM_: ; @_ZN7rocprim17ROCPRIM_400000_NS6detail17trampoline_kernelINS0_14default_configENS1_38merge_sort_block_merge_config_selectorIlNS0_10empty_typeEEEZZNS1_27merge_sort_block_merge_implIS3_PlPS5_mZN2at6native12_GLOBAL__N_124unique_dim_cuda_templateIiEESt5tupleIJNSA_6TensorESF_SF_EERKSF_lbbbEUlllE_EE10hipError_tT0_T1_T2_jT3_P12ihipStream_tbPNSt15iterator_traitsISL_E10value_typeEPNSR_ISM_E10value_typeEPSN_NS1_7vsmem_tEENKUlT_SL_SM_SN_E_clIS8_S8_S9_S9_EESK_S10_SL_SM_SN_EUlS10_E_NS1_11comp_targetILNS1_3genE3ELNS1_11target_archE908ELNS1_3gpuE7ELNS1_3repE0EEENS1_48merge_mergepath_partition_config_static_selectorELNS0_4arch9wavefront6targetE0EEEvSM_
; %bb.0:
	.section	.rodata,"a",@progbits
	.p2align	6, 0x0
	.amdhsa_kernel _ZN7rocprim17ROCPRIM_400000_NS6detail17trampoline_kernelINS0_14default_configENS1_38merge_sort_block_merge_config_selectorIlNS0_10empty_typeEEEZZNS1_27merge_sort_block_merge_implIS3_PlPS5_mZN2at6native12_GLOBAL__N_124unique_dim_cuda_templateIiEESt5tupleIJNSA_6TensorESF_SF_EERKSF_lbbbEUlllE_EE10hipError_tT0_T1_T2_jT3_P12ihipStream_tbPNSt15iterator_traitsISL_E10value_typeEPNSR_ISM_E10value_typeEPSN_NS1_7vsmem_tEENKUlT_SL_SM_SN_E_clIS8_S8_S9_S9_EESK_S10_SL_SM_SN_EUlS10_E_NS1_11comp_targetILNS1_3genE3ELNS1_11target_archE908ELNS1_3gpuE7ELNS1_3repE0EEENS1_48merge_mergepath_partition_config_static_selectorELNS0_4arch9wavefront6targetE0EEEvSM_
		.amdhsa_group_segment_fixed_size 0
		.amdhsa_private_segment_fixed_size 0
		.amdhsa_kernarg_size 56
		.amdhsa_user_sgpr_count 2
		.amdhsa_user_sgpr_dispatch_ptr 0
		.amdhsa_user_sgpr_queue_ptr 0
		.amdhsa_user_sgpr_kernarg_segment_ptr 1
		.amdhsa_user_sgpr_dispatch_id 0
		.amdhsa_user_sgpr_kernarg_preload_length 0
		.amdhsa_user_sgpr_kernarg_preload_offset 0
		.amdhsa_user_sgpr_private_segment_size 0
		.amdhsa_wavefront_size32 1
		.amdhsa_uses_dynamic_stack 0
		.amdhsa_enable_private_segment 0
		.amdhsa_system_sgpr_workgroup_id_x 1
		.amdhsa_system_sgpr_workgroup_id_y 0
		.amdhsa_system_sgpr_workgroup_id_z 0
		.amdhsa_system_sgpr_workgroup_info 0
		.amdhsa_system_vgpr_workitem_id 0
		.amdhsa_next_free_vgpr 1
		.amdhsa_next_free_sgpr 1
		.amdhsa_named_barrier_count 0
		.amdhsa_reserve_vcc 0
		.amdhsa_float_round_mode_32 0
		.amdhsa_float_round_mode_16_64 0
		.amdhsa_float_denorm_mode_32 3
		.amdhsa_float_denorm_mode_16_64 3
		.amdhsa_fp16_overflow 0
		.amdhsa_memory_ordered 1
		.amdhsa_forward_progress 1
		.amdhsa_inst_pref_size 0
		.amdhsa_round_robin_scheduling 0
		.amdhsa_exception_fp_ieee_invalid_op 0
		.amdhsa_exception_fp_denorm_src 0
		.amdhsa_exception_fp_ieee_div_zero 0
		.amdhsa_exception_fp_ieee_overflow 0
		.amdhsa_exception_fp_ieee_underflow 0
		.amdhsa_exception_fp_ieee_inexact 0
		.amdhsa_exception_int_div_zero 0
	.end_amdhsa_kernel
	.section	.text._ZN7rocprim17ROCPRIM_400000_NS6detail17trampoline_kernelINS0_14default_configENS1_38merge_sort_block_merge_config_selectorIlNS0_10empty_typeEEEZZNS1_27merge_sort_block_merge_implIS3_PlPS5_mZN2at6native12_GLOBAL__N_124unique_dim_cuda_templateIiEESt5tupleIJNSA_6TensorESF_SF_EERKSF_lbbbEUlllE_EE10hipError_tT0_T1_T2_jT3_P12ihipStream_tbPNSt15iterator_traitsISL_E10value_typeEPNSR_ISM_E10value_typeEPSN_NS1_7vsmem_tEENKUlT_SL_SM_SN_E_clIS8_S8_S9_S9_EESK_S10_SL_SM_SN_EUlS10_E_NS1_11comp_targetILNS1_3genE3ELNS1_11target_archE908ELNS1_3gpuE7ELNS1_3repE0EEENS1_48merge_mergepath_partition_config_static_selectorELNS0_4arch9wavefront6targetE0EEEvSM_,"axG",@progbits,_ZN7rocprim17ROCPRIM_400000_NS6detail17trampoline_kernelINS0_14default_configENS1_38merge_sort_block_merge_config_selectorIlNS0_10empty_typeEEEZZNS1_27merge_sort_block_merge_implIS3_PlPS5_mZN2at6native12_GLOBAL__N_124unique_dim_cuda_templateIiEESt5tupleIJNSA_6TensorESF_SF_EERKSF_lbbbEUlllE_EE10hipError_tT0_T1_T2_jT3_P12ihipStream_tbPNSt15iterator_traitsISL_E10value_typeEPNSR_ISM_E10value_typeEPSN_NS1_7vsmem_tEENKUlT_SL_SM_SN_E_clIS8_S8_S9_S9_EESK_S10_SL_SM_SN_EUlS10_E_NS1_11comp_targetILNS1_3genE3ELNS1_11target_archE908ELNS1_3gpuE7ELNS1_3repE0EEENS1_48merge_mergepath_partition_config_static_selectorELNS0_4arch9wavefront6targetE0EEEvSM_,comdat
.Lfunc_end396:
	.size	_ZN7rocprim17ROCPRIM_400000_NS6detail17trampoline_kernelINS0_14default_configENS1_38merge_sort_block_merge_config_selectorIlNS0_10empty_typeEEEZZNS1_27merge_sort_block_merge_implIS3_PlPS5_mZN2at6native12_GLOBAL__N_124unique_dim_cuda_templateIiEESt5tupleIJNSA_6TensorESF_SF_EERKSF_lbbbEUlllE_EE10hipError_tT0_T1_T2_jT3_P12ihipStream_tbPNSt15iterator_traitsISL_E10value_typeEPNSR_ISM_E10value_typeEPSN_NS1_7vsmem_tEENKUlT_SL_SM_SN_E_clIS8_S8_S9_S9_EESK_S10_SL_SM_SN_EUlS10_E_NS1_11comp_targetILNS1_3genE3ELNS1_11target_archE908ELNS1_3gpuE7ELNS1_3repE0EEENS1_48merge_mergepath_partition_config_static_selectorELNS0_4arch9wavefront6targetE0EEEvSM_, .Lfunc_end396-_ZN7rocprim17ROCPRIM_400000_NS6detail17trampoline_kernelINS0_14default_configENS1_38merge_sort_block_merge_config_selectorIlNS0_10empty_typeEEEZZNS1_27merge_sort_block_merge_implIS3_PlPS5_mZN2at6native12_GLOBAL__N_124unique_dim_cuda_templateIiEESt5tupleIJNSA_6TensorESF_SF_EERKSF_lbbbEUlllE_EE10hipError_tT0_T1_T2_jT3_P12ihipStream_tbPNSt15iterator_traitsISL_E10value_typeEPNSR_ISM_E10value_typeEPSN_NS1_7vsmem_tEENKUlT_SL_SM_SN_E_clIS8_S8_S9_S9_EESK_S10_SL_SM_SN_EUlS10_E_NS1_11comp_targetILNS1_3genE3ELNS1_11target_archE908ELNS1_3gpuE7ELNS1_3repE0EEENS1_48merge_mergepath_partition_config_static_selectorELNS0_4arch9wavefront6targetE0EEEvSM_
                                        ; -- End function
	.set _ZN7rocprim17ROCPRIM_400000_NS6detail17trampoline_kernelINS0_14default_configENS1_38merge_sort_block_merge_config_selectorIlNS0_10empty_typeEEEZZNS1_27merge_sort_block_merge_implIS3_PlPS5_mZN2at6native12_GLOBAL__N_124unique_dim_cuda_templateIiEESt5tupleIJNSA_6TensorESF_SF_EERKSF_lbbbEUlllE_EE10hipError_tT0_T1_T2_jT3_P12ihipStream_tbPNSt15iterator_traitsISL_E10value_typeEPNSR_ISM_E10value_typeEPSN_NS1_7vsmem_tEENKUlT_SL_SM_SN_E_clIS8_S8_S9_S9_EESK_S10_SL_SM_SN_EUlS10_E_NS1_11comp_targetILNS1_3genE3ELNS1_11target_archE908ELNS1_3gpuE7ELNS1_3repE0EEENS1_48merge_mergepath_partition_config_static_selectorELNS0_4arch9wavefront6targetE0EEEvSM_.num_vgpr, 0
	.set _ZN7rocprim17ROCPRIM_400000_NS6detail17trampoline_kernelINS0_14default_configENS1_38merge_sort_block_merge_config_selectorIlNS0_10empty_typeEEEZZNS1_27merge_sort_block_merge_implIS3_PlPS5_mZN2at6native12_GLOBAL__N_124unique_dim_cuda_templateIiEESt5tupleIJNSA_6TensorESF_SF_EERKSF_lbbbEUlllE_EE10hipError_tT0_T1_T2_jT3_P12ihipStream_tbPNSt15iterator_traitsISL_E10value_typeEPNSR_ISM_E10value_typeEPSN_NS1_7vsmem_tEENKUlT_SL_SM_SN_E_clIS8_S8_S9_S9_EESK_S10_SL_SM_SN_EUlS10_E_NS1_11comp_targetILNS1_3genE3ELNS1_11target_archE908ELNS1_3gpuE7ELNS1_3repE0EEENS1_48merge_mergepath_partition_config_static_selectorELNS0_4arch9wavefront6targetE0EEEvSM_.num_agpr, 0
	.set _ZN7rocprim17ROCPRIM_400000_NS6detail17trampoline_kernelINS0_14default_configENS1_38merge_sort_block_merge_config_selectorIlNS0_10empty_typeEEEZZNS1_27merge_sort_block_merge_implIS3_PlPS5_mZN2at6native12_GLOBAL__N_124unique_dim_cuda_templateIiEESt5tupleIJNSA_6TensorESF_SF_EERKSF_lbbbEUlllE_EE10hipError_tT0_T1_T2_jT3_P12ihipStream_tbPNSt15iterator_traitsISL_E10value_typeEPNSR_ISM_E10value_typeEPSN_NS1_7vsmem_tEENKUlT_SL_SM_SN_E_clIS8_S8_S9_S9_EESK_S10_SL_SM_SN_EUlS10_E_NS1_11comp_targetILNS1_3genE3ELNS1_11target_archE908ELNS1_3gpuE7ELNS1_3repE0EEENS1_48merge_mergepath_partition_config_static_selectorELNS0_4arch9wavefront6targetE0EEEvSM_.numbered_sgpr, 0
	.set _ZN7rocprim17ROCPRIM_400000_NS6detail17trampoline_kernelINS0_14default_configENS1_38merge_sort_block_merge_config_selectorIlNS0_10empty_typeEEEZZNS1_27merge_sort_block_merge_implIS3_PlPS5_mZN2at6native12_GLOBAL__N_124unique_dim_cuda_templateIiEESt5tupleIJNSA_6TensorESF_SF_EERKSF_lbbbEUlllE_EE10hipError_tT0_T1_T2_jT3_P12ihipStream_tbPNSt15iterator_traitsISL_E10value_typeEPNSR_ISM_E10value_typeEPSN_NS1_7vsmem_tEENKUlT_SL_SM_SN_E_clIS8_S8_S9_S9_EESK_S10_SL_SM_SN_EUlS10_E_NS1_11comp_targetILNS1_3genE3ELNS1_11target_archE908ELNS1_3gpuE7ELNS1_3repE0EEENS1_48merge_mergepath_partition_config_static_selectorELNS0_4arch9wavefront6targetE0EEEvSM_.num_named_barrier, 0
	.set _ZN7rocprim17ROCPRIM_400000_NS6detail17trampoline_kernelINS0_14default_configENS1_38merge_sort_block_merge_config_selectorIlNS0_10empty_typeEEEZZNS1_27merge_sort_block_merge_implIS3_PlPS5_mZN2at6native12_GLOBAL__N_124unique_dim_cuda_templateIiEESt5tupleIJNSA_6TensorESF_SF_EERKSF_lbbbEUlllE_EE10hipError_tT0_T1_T2_jT3_P12ihipStream_tbPNSt15iterator_traitsISL_E10value_typeEPNSR_ISM_E10value_typeEPSN_NS1_7vsmem_tEENKUlT_SL_SM_SN_E_clIS8_S8_S9_S9_EESK_S10_SL_SM_SN_EUlS10_E_NS1_11comp_targetILNS1_3genE3ELNS1_11target_archE908ELNS1_3gpuE7ELNS1_3repE0EEENS1_48merge_mergepath_partition_config_static_selectorELNS0_4arch9wavefront6targetE0EEEvSM_.private_seg_size, 0
	.set _ZN7rocprim17ROCPRIM_400000_NS6detail17trampoline_kernelINS0_14default_configENS1_38merge_sort_block_merge_config_selectorIlNS0_10empty_typeEEEZZNS1_27merge_sort_block_merge_implIS3_PlPS5_mZN2at6native12_GLOBAL__N_124unique_dim_cuda_templateIiEESt5tupleIJNSA_6TensorESF_SF_EERKSF_lbbbEUlllE_EE10hipError_tT0_T1_T2_jT3_P12ihipStream_tbPNSt15iterator_traitsISL_E10value_typeEPNSR_ISM_E10value_typeEPSN_NS1_7vsmem_tEENKUlT_SL_SM_SN_E_clIS8_S8_S9_S9_EESK_S10_SL_SM_SN_EUlS10_E_NS1_11comp_targetILNS1_3genE3ELNS1_11target_archE908ELNS1_3gpuE7ELNS1_3repE0EEENS1_48merge_mergepath_partition_config_static_selectorELNS0_4arch9wavefront6targetE0EEEvSM_.uses_vcc, 0
	.set _ZN7rocprim17ROCPRIM_400000_NS6detail17trampoline_kernelINS0_14default_configENS1_38merge_sort_block_merge_config_selectorIlNS0_10empty_typeEEEZZNS1_27merge_sort_block_merge_implIS3_PlPS5_mZN2at6native12_GLOBAL__N_124unique_dim_cuda_templateIiEESt5tupleIJNSA_6TensorESF_SF_EERKSF_lbbbEUlllE_EE10hipError_tT0_T1_T2_jT3_P12ihipStream_tbPNSt15iterator_traitsISL_E10value_typeEPNSR_ISM_E10value_typeEPSN_NS1_7vsmem_tEENKUlT_SL_SM_SN_E_clIS8_S8_S9_S9_EESK_S10_SL_SM_SN_EUlS10_E_NS1_11comp_targetILNS1_3genE3ELNS1_11target_archE908ELNS1_3gpuE7ELNS1_3repE0EEENS1_48merge_mergepath_partition_config_static_selectorELNS0_4arch9wavefront6targetE0EEEvSM_.uses_flat_scratch, 0
	.set _ZN7rocprim17ROCPRIM_400000_NS6detail17trampoline_kernelINS0_14default_configENS1_38merge_sort_block_merge_config_selectorIlNS0_10empty_typeEEEZZNS1_27merge_sort_block_merge_implIS3_PlPS5_mZN2at6native12_GLOBAL__N_124unique_dim_cuda_templateIiEESt5tupleIJNSA_6TensorESF_SF_EERKSF_lbbbEUlllE_EE10hipError_tT0_T1_T2_jT3_P12ihipStream_tbPNSt15iterator_traitsISL_E10value_typeEPNSR_ISM_E10value_typeEPSN_NS1_7vsmem_tEENKUlT_SL_SM_SN_E_clIS8_S8_S9_S9_EESK_S10_SL_SM_SN_EUlS10_E_NS1_11comp_targetILNS1_3genE3ELNS1_11target_archE908ELNS1_3gpuE7ELNS1_3repE0EEENS1_48merge_mergepath_partition_config_static_selectorELNS0_4arch9wavefront6targetE0EEEvSM_.has_dyn_sized_stack, 0
	.set _ZN7rocprim17ROCPRIM_400000_NS6detail17trampoline_kernelINS0_14default_configENS1_38merge_sort_block_merge_config_selectorIlNS0_10empty_typeEEEZZNS1_27merge_sort_block_merge_implIS3_PlPS5_mZN2at6native12_GLOBAL__N_124unique_dim_cuda_templateIiEESt5tupleIJNSA_6TensorESF_SF_EERKSF_lbbbEUlllE_EE10hipError_tT0_T1_T2_jT3_P12ihipStream_tbPNSt15iterator_traitsISL_E10value_typeEPNSR_ISM_E10value_typeEPSN_NS1_7vsmem_tEENKUlT_SL_SM_SN_E_clIS8_S8_S9_S9_EESK_S10_SL_SM_SN_EUlS10_E_NS1_11comp_targetILNS1_3genE3ELNS1_11target_archE908ELNS1_3gpuE7ELNS1_3repE0EEENS1_48merge_mergepath_partition_config_static_selectorELNS0_4arch9wavefront6targetE0EEEvSM_.has_recursion, 0
	.set _ZN7rocprim17ROCPRIM_400000_NS6detail17trampoline_kernelINS0_14default_configENS1_38merge_sort_block_merge_config_selectorIlNS0_10empty_typeEEEZZNS1_27merge_sort_block_merge_implIS3_PlPS5_mZN2at6native12_GLOBAL__N_124unique_dim_cuda_templateIiEESt5tupleIJNSA_6TensorESF_SF_EERKSF_lbbbEUlllE_EE10hipError_tT0_T1_T2_jT3_P12ihipStream_tbPNSt15iterator_traitsISL_E10value_typeEPNSR_ISM_E10value_typeEPSN_NS1_7vsmem_tEENKUlT_SL_SM_SN_E_clIS8_S8_S9_S9_EESK_S10_SL_SM_SN_EUlS10_E_NS1_11comp_targetILNS1_3genE3ELNS1_11target_archE908ELNS1_3gpuE7ELNS1_3repE0EEENS1_48merge_mergepath_partition_config_static_selectorELNS0_4arch9wavefront6targetE0EEEvSM_.has_indirect_call, 0
	.section	.AMDGPU.csdata,"",@progbits
; Kernel info:
; codeLenInByte = 0
; TotalNumSgprs: 0
; NumVgprs: 0
; ScratchSize: 0
; MemoryBound: 0
; FloatMode: 240
; IeeeMode: 1
; LDSByteSize: 0 bytes/workgroup (compile time only)
; SGPRBlocks: 0
; VGPRBlocks: 0
; NumSGPRsForWavesPerEU: 1
; NumVGPRsForWavesPerEU: 1
; NamedBarCnt: 0
; Occupancy: 16
; WaveLimiterHint : 0
; COMPUTE_PGM_RSRC2:SCRATCH_EN: 0
; COMPUTE_PGM_RSRC2:USER_SGPR: 2
; COMPUTE_PGM_RSRC2:TRAP_HANDLER: 0
; COMPUTE_PGM_RSRC2:TGID_X_EN: 1
; COMPUTE_PGM_RSRC2:TGID_Y_EN: 0
; COMPUTE_PGM_RSRC2:TGID_Z_EN: 0
; COMPUTE_PGM_RSRC2:TIDIG_COMP_CNT: 0
	.section	.text._ZN7rocprim17ROCPRIM_400000_NS6detail17trampoline_kernelINS0_14default_configENS1_38merge_sort_block_merge_config_selectorIlNS0_10empty_typeEEEZZNS1_27merge_sort_block_merge_implIS3_PlPS5_mZN2at6native12_GLOBAL__N_124unique_dim_cuda_templateIiEESt5tupleIJNSA_6TensorESF_SF_EERKSF_lbbbEUlllE_EE10hipError_tT0_T1_T2_jT3_P12ihipStream_tbPNSt15iterator_traitsISL_E10value_typeEPNSR_ISM_E10value_typeEPSN_NS1_7vsmem_tEENKUlT_SL_SM_SN_E_clIS8_S8_S9_S9_EESK_S10_SL_SM_SN_EUlS10_E_NS1_11comp_targetILNS1_3genE2ELNS1_11target_archE906ELNS1_3gpuE6ELNS1_3repE0EEENS1_48merge_mergepath_partition_config_static_selectorELNS0_4arch9wavefront6targetE0EEEvSM_,"axG",@progbits,_ZN7rocprim17ROCPRIM_400000_NS6detail17trampoline_kernelINS0_14default_configENS1_38merge_sort_block_merge_config_selectorIlNS0_10empty_typeEEEZZNS1_27merge_sort_block_merge_implIS3_PlPS5_mZN2at6native12_GLOBAL__N_124unique_dim_cuda_templateIiEESt5tupleIJNSA_6TensorESF_SF_EERKSF_lbbbEUlllE_EE10hipError_tT0_T1_T2_jT3_P12ihipStream_tbPNSt15iterator_traitsISL_E10value_typeEPNSR_ISM_E10value_typeEPSN_NS1_7vsmem_tEENKUlT_SL_SM_SN_E_clIS8_S8_S9_S9_EESK_S10_SL_SM_SN_EUlS10_E_NS1_11comp_targetILNS1_3genE2ELNS1_11target_archE906ELNS1_3gpuE6ELNS1_3repE0EEENS1_48merge_mergepath_partition_config_static_selectorELNS0_4arch9wavefront6targetE0EEEvSM_,comdat
	.globl	_ZN7rocprim17ROCPRIM_400000_NS6detail17trampoline_kernelINS0_14default_configENS1_38merge_sort_block_merge_config_selectorIlNS0_10empty_typeEEEZZNS1_27merge_sort_block_merge_implIS3_PlPS5_mZN2at6native12_GLOBAL__N_124unique_dim_cuda_templateIiEESt5tupleIJNSA_6TensorESF_SF_EERKSF_lbbbEUlllE_EE10hipError_tT0_T1_T2_jT3_P12ihipStream_tbPNSt15iterator_traitsISL_E10value_typeEPNSR_ISM_E10value_typeEPSN_NS1_7vsmem_tEENKUlT_SL_SM_SN_E_clIS8_S8_S9_S9_EESK_S10_SL_SM_SN_EUlS10_E_NS1_11comp_targetILNS1_3genE2ELNS1_11target_archE906ELNS1_3gpuE6ELNS1_3repE0EEENS1_48merge_mergepath_partition_config_static_selectorELNS0_4arch9wavefront6targetE0EEEvSM_ ; -- Begin function _ZN7rocprim17ROCPRIM_400000_NS6detail17trampoline_kernelINS0_14default_configENS1_38merge_sort_block_merge_config_selectorIlNS0_10empty_typeEEEZZNS1_27merge_sort_block_merge_implIS3_PlPS5_mZN2at6native12_GLOBAL__N_124unique_dim_cuda_templateIiEESt5tupleIJNSA_6TensorESF_SF_EERKSF_lbbbEUlllE_EE10hipError_tT0_T1_T2_jT3_P12ihipStream_tbPNSt15iterator_traitsISL_E10value_typeEPNSR_ISM_E10value_typeEPSN_NS1_7vsmem_tEENKUlT_SL_SM_SN_E_clIS8_S8_S9_S9_EESK_S10_SL_SM_SN_EUlS10_E_NS1_11comp_targetILNS1_3genE2ELNS1_11target_archE906ELNS1_3gpuE6ELNS1_3repE0EEENS1_48merge_mergepath_partition_config_static_selectorELNS0_4arch9wavefront6targetE0EEEvSM_
	.p2align	8
	.type	_ZN7rocprim17ROCPRIM_400000_NS6detail17trampoline_kernelINS0_14default_configENS1_38merge_sort_block_merge_config_selectorIlNS0_10empty_typeEEEZZNS1_27merge_sort_block_merge_implIS3_PlPS5_mZN2at6native12_GLOBAL__N_124unique_dim_cuda_templateIiEESt5tupleIJNSA_6TensorESF_SF_EERKSF_lbbbEUlllE_EE10hipError_tT0_T1_T2_jT3_P12ihipStream_tbPNSt15iterator_traitsISL_E10value_typeEPNSR_ISM_E10value_typeEPSN_NS1_7vsmem_tEENKUlT_SL_SM_SN_E_clIS8_S8_S9_S9_EESK_S10_SL_SM_SN_EUlS10_E_NS1_11comp_targetILNS1_3genE2ELNS1_11target_archE906ELNS1_3gpuE6ELNS1_3repE0EEENS1_48merge_mergepath_partition_config_static_selectorELNS0_4arch9wavefront6targetE0EEEvSM_,@function
_ZN7rocprim17ROCPRIM_400000_NS6detail17trampoline_kernelINS0_14default_configENS1_38merge_sort_block_merge_config_selectorIlNS0_10empty_typeEEEZZNS1_27merge_sort_block_merge_implIS3_PlPS5_mZN2at6native12_GLOBAL__N_124unique_dim_cuda_templateIiEESt5tupleIJNSA_6TensorESF_SF_EERKSF_lbbbEUlllE_EE10hipError_tT0_T1_T2_jT3_P12ihipStream_tbPNSt15iterator_traitsISL_E10value_typeEPNSR_ISM_E10value_typeEPSN_NS1_7vsmem_tEENKUlT_SL_SM_SN_E_clIS8_S8_S9_S9_EESK_S10_SL_SM_SN_EUlS10_E_NS1_11comp_targetILNS1_3genE2ELNS1_11target_archE906ELNS1_3gpuE6ELNS1_3repE0EEENS1_48merge_mergepath_partition_config_static_selectorELNS0_4arch9wavefront6targetE0EEEvSM_: ; @_ZN7rocprim17ROCPRIM_400000_NS6detail17trampoline_kernelINS0_14default_configENS1_38merge_sort_block_merge_config_selectorIlNS0_10empty_typeEEEZZNS1_27merge_sort_block_merge_implIS3_PlPS5_mZN2at6native12_GLOBAL__N_124unique_dim_cuda_templateIiEESt5tupleIJNSA_6TensorESF_SF_EERKSF_lbbbEUlllE_EE10hipError_tT0_T1_T2_jT3_P12ihipStream_tbPNSt15iterator_traitsISL_E10value_typeEPNSR_ISM_E10value_typeEPSN_NS1_7vsmem_tEENKUlT_SL_SM_SN_E_clIS8_S8_S9_S9_EESK_S10_SL_SM_SN_EUlS10_E_NS1_11comp_targetILNS1_3genE2ELNS1_11target_archE906ELNS1_3gpuE6ELNS1_3repE0EEENS1_48merge_mergepath_partition_config_static_selectorELNS0_4arch9wavefront6targetE0EEEvSM_
; %bb.0:
	.section	.rodata,"a",@progbits
	.p2align	6, 0x0
	.amdhsa_kernel _ZN7rocprim17ROCPRIM_400000_NS6detail17trampoline_kernelINS0_14default_configENS1_38merge_sort_block_merge_config_selectorIlNS0_10empty_typeEEEZZNS1_27merge_sort_block_merge_implIS3_PlPS5_mZN2at6native12_GLOBAL__N_124unique_dim_cuda_templateIiEESt5tupleIJNSA_6TensorESF_SF_EERKSF_lbbbEUlllE_EE10hipError_tT0_T1_T2_jT3_P12ihipStream_tbPNSt15iterator_traitsISL_E10value_typeEPNSR_ISM_E10value_typeEPSN_NS1_7vsmem_tEENKUlT_SL_SM_SN_E_clIS8_S8_S9_S9_EESK_S10_SL_SM_SN_EUlS10_E_NS1_11comp_targetILNS1_3genE2ELNS1_11target_archE906ELNS1_3gpuE6ELNS1_3repE0EEENS1_48merge_mergepath_partition_config_static_selectorELNS0_4arch9wavefront6targetE0EEEvSM_
		.amdhsa_group_segment_fixed_size 0
		.amdhsa_private_segment_fixed_size 0
		.amdhsa_kernarg_size 56
		.amdhsa_user_sgpr_count 2
		.amdhsa_user_sgpr_dispatch_ptr 0
		.amdhsa_user_sgpr_queue_ptr 0
		.amdhsa_user_sgpr_kernarg_segment_ptr 1
		.amdhsa_user_sgpr_dispatch_id 0
		.amdhsa_user_sgpr_kernarg_preload_length 0
		.amdhsa_user_sgpr_kernarg_preload_offset 0
		.amdhsa_user_sgpr_private_segment_size 0
		.amdhsa_wavefront_size32 1
		.amdhsa_uses_dynamic_stack 0
		.amdhsa_enable_private_segment 0
		.amdhsa_system_sgpr_workgroup_id_x 1
		.amdhsa_system_sgpr_workgroup_id_y 0
		.amdhsa_system_sgpr_workgroup_id_z 0
		.amdhsa_system_sgpr_workgroup_info 0
		.amdhsa_system_vgpr_workitem_id 0
		.amdhsa_next_free_vgpr 1
		.amdhsa_next_free_sgpr 1
		.amdhsa_named_barrier_count 0
		.amdhsa_reserve_vcc 0
		.amdhsa_float_round_mode_32 0
		.amdhsa_float_round_mode_16_64 0
		.amdhsa_float_denorm_mode_32 3
		.amdhsa_float_denorm_mode_16_64 3
		.amdhsa_fp16_overflow 0
		.amdhsa_memory_ordered 1
		.amdhsa_forward_progress 1
		.amdhsa_inst_pref_size 0
		.amdhsa_round_robin_scheduling 0
		.amdhsa_exception_fp_ieee_invalid_op 0
		.amdhsa_exception_fp_denorm_src 0
		.amdhsa_exception_fp_ieee_div_zero 0
		.amdhsa_exception_fp_ieee_overflow 0
		.amdhsa_exception_fp_ieee_underflow 0
		.amdhsa_exception_fp_ieee_inexact 0
		.amdhsa_exception_int_div_zero 0
	.end_amdhsa_kernel
	.section	.text._ZN7rocprim17ROCPRIM_400000_NS6detail17trampoline_kernelINS0_14default_configENS1_38merge_sort_block_merge_config_selectorIlNS0_10empty_typeEEEZZNS1_27merge_sort_block_merge_implIS3_PlPS5_mZN2at6native12_GLOBAL__N_124unique_dim_cuda_templateIiEESt5tupleIJNSA_6TensorESF_SF_EERKSF_lbbbEUlllE_EE10hipError_tT0_T1_T2_jT3_P12ihipStream_tbPNSt15iterator_traitsISL_E10value_typeEPNSR_ISM_E10value_typeEPSN_NS1_7vsmem_tEENKUlT_SL_SM_SN_E_clIS8_S8_S9_S9_EESK_S10_SL_SM_SN_EUlS10_E_NS1_11comp_targetILNS1_3genE2ELNS1_11target_archE906ELNS1_3gpuE6ELNS1_3repE0EEENS1_48merge_mergepath_partition_config_static_selectorELNS0_4arch9wavefront6targetE0EEEvSM_,"axG",@progbits,_ZN7rocprim17ROCPRIM_400000_NS6detail17trampoline_kernelINS0_14default_configENS1_38merge_sort_block_merge_config_selectorIlNS0_10empty_typeEEEZZNS1_27merge_sort_block_merge_implIS3_PlPS5_mZN2at6native12_GLOBAL__N_124unique_dim_cuda_templateIiEESt5tupleIJNSA_6TensorESF_SF_EERKSF_lbbbEUlllE_EE10hipError_tT0_T1_T2_jT3_P12ihipStream_tbPNSt15iterator_traitsISL_E10value_typeEPNSR_ISM_E10value_typeEPSN_NS1_7vsmem_tEENKUlT_SL_SM_SN_E_clIS8_S8_S9_S9_EESK_S10_SL_SM_SN_EUlS10_E_NS1_11comp_targetILNS1_3genE2ELNS1_11target_archE906ELNS1_3gpuE6ELNS1_3repE0EEENS1_48merge_mergepath_partition_config_static_selectorELNS0_4arch9wavefront6targetE0EEEvSM_,comdat
.Lfunc_end397:
	.size	_ZN7rocprim17ROCPRIM_400000_NS6detail17trampoline_kernelINS0_14default_configENS1_38merge_sort_block_merge_config_selectorIlNS0_10empty_typeEEEZZNS1_27merge_sort_block_merge_implIS3_PlPS5_mZN2at6native12_GLOBAL__N_124unique_dim_cuda_templateIiEESt5tupleIJNSA_6TensorESF_SF_EERKSF_lbbbEUlllE_EE10hipError_tT0_T1_T2_jT3_P12ihipStream_tbPNSt15iterator_traitsISL_E10value_typeEPNSR_ISM_E10value_typeEPSN_NS1_7vsmem_tEENKUlT_SL_SM_SN_E_clIS8_S8_S9_S9_EESK_S10_SL_SM_SN_EUlS10_E_NS1_11comp_targetILNS1_3genE2ELNS1_11target_archE906ELNS1_3gpuE6ELNS1_3repE0EEENS1_48merge_mergepath_partition_config_static_selectorELNS0_4arch9wavefront6targetE0EEEvSM_, .Lfunc_end397-_ZN7rocprim17ROCPRIM_400000_NS6detail17trampoline_kernelINS0_14default_configENS1_38merge_sort_block_merge_config_selectorIlNS0_10empty_typeEEEZZNS1_27merge_sort_block_merge_implIS3_PlPS5_mZN2at6native12_GLOBAL__N_124unique_dim_cuda_templateIiEESt5tupleIJNSA_6TensorESF_SF_EERKSF_lbbbEUlllE_EE10hipError_tT0_T1_T2_jT3_P12ihipStream_tbPNSt15iterator_traitsISL_E10value_typeEPNSR_ISM_E10value_typeEPSN_NS1_7vsmem_tEENKUlT_SL_SM_SN_E_clIS8_S8_S9_S9_EESK_S10_SL_SM_SN_EUlS10_E_NS1_11comp_targetILNS1_3genE2ELNS1_11target_archE906ELNS1_3gpuE6ELNS1_3repE0EEENS1_48merge_mergepath_partition_config_static_selectorELNS0_4arch9wavefront6targetE0EEEvSM_
                                        ; -- End function
	.set _ZN7rocprim17ROCPRIM_400000_NS6detail17trampoline_kernelINS0_14default_configENS1_38merge_sort_block_merge_config_selectorIlNS0_10empty_typeEEEZZNS1_27merge_sort_block_merge_implIS3_PlPS5_mZN2at6native12_GLOBAL__N_124unique_dim_cuda_templateIiEESt5tupleIJNSA_6TensorESF_SF_EERKSF_lbbbEUlllE_EE10hipError_tT0_T1_T2_jT3_P12ihipStream_tbPNSt15iterator_traitsISL_E10value_typeEPNSR_ISM_E10value_typeEPSN_NS1_7vsmem_tEENKUlT_SL_SM_SN_E_clIS8_S8_S9_S9_EESK_S10_SL_SM_SN_EUlS10_E_NS1_11comp_targetILNS1_3genE2ELNS1_11target_archE906ELNS1_3gpuE6ELNS1_3repE0EEENS1_48merge_mergepath_partition_config_static_selectorELNS0_4arch9wavefront6targetE0EEEvSM_.num_vgpr, 0
	.set _ZN7rocprim17ROCPRIM_400000_NS6detail17trampoline_kernelINS0_14default_configENS1_38merge_sort_block_merge_config_selectorIlNS0_10empty_typeEEEZZNS1_27merge_sort_block_merge_implIS3_PlPS5_mZN2at6native12_GLOBAL__N_124unique_dim_cuda_templateIiEESt5tupleIJNSA_6TensorESF_SF_EERKSF_lbbbEUlllE_EE10hipError_tT0_T1_T2_jT3_P12ihipStream_tbPNSt15iterator_traitsISL_E10value_typeEPNSR_ISM_E10value_typeEPSN_NS1_7vsmem_tEENKUlT_SL_SM_SN_E_clIS8_S8_S9_S9_EESK_S10_SL_SM_SN_EUlS10_E_NS1_11comp_targetILNS1_3genE2ELNS1_11target_archE906ELNS1_3gpuE6ELNS1_3repE0EEENS1_48merge_mergepath_partition_config_static_selectorELNS0_4arch9wavefront6targetE0EEEvSM_.num_agpr, 0
	.set _ZN7rocprim17ROCPRIM_400000_NS6detail17trampoline_kernelINS0_14default_configENS1_38merge_sort_block_merge_config_selectorIlNS0_10empty_typeEEEZZNS1_27merge_sort_block_merge_implIS3_PlPS5_mZN2at6native12_GLOBAL__N_124unique_dim_cuda_templateIiEESt5tupleIJNSA_6TensorESF_SF_EERKSF_lbbbEUlllE_EE10hipError_tT0_T1_T2_jT3_P12ihipStream_tbPNSt15iterator_traitsISL_E10value_typeEPNSR_ISM_E10value_typeEPSN_NS1_7vsmem_tEENKUlT_SL_SM_SN_E_clIS8_S8_S9_S9_EESK_S10_SL_SM_SN_EUlS10_E_NS1_11comp_targetILNS1_3genE2ELNS1_11target_archE906ELNS1_3gpuE6ELNS1_3repE0EEENS1_48merge_mergepath_partition_config_static_selectorELNS0_4arch9wavefront6targetE0EEEvSM_.numbered_sgpr, 0
	.set _ZN7rocprim17ROCPRIM_400000_NS6detail17trampoline_kernelINS0_14default_configENS1_38merge_sort_block_merge_config_selectorIlNS0_10empty_typeEEEZZNS1_27merge_sort_block_merge_implIS3_PlPS5_mZN2at6native12_GLOBAL__N_124unique_dim_cuda_templateIiEESt5tupleIJNSA_6TensorESF_SF_EERKSF_lbbbEUlllE_EE10hipError_tT0_T1_T2_jT3_P12ihipStream_tbPNSt15iterator_traitsISL_E10value_typeEPNSR_ISM_E10value_typeEPSN_NS1_7vsmem_tEENKUlT_SL_SM_SN_E_clIS8_S8_S9_S9_EESK_S10_SL_SM_SN_EUlS10_E_NS1_11comp_targetILNS1_3genE2ELNS1_11target_archE906ELNS1_3gpuE6ELNS1_3repE0EEENS1_48merge_mergepath_partition_config_static_selectorELNS0_4arch9wavefront6targetE0EEEvSM_.num_named_barrier, 0
	.set _ZN7rocprim17ROCPRIM_400000_NS6detail17trampoline_kernelINS0_14default_configENS1_38merge_sort_block_merge_config_selectorIlNS0_10empty_typeEEEZZNS1_27merge_sort_block_merge_implIS3_PlPS5_mZN2at6native12_GLOBAL__N_124unique_dim_cuda_templateIiEESt5tupleIJNSA_6TensorESF_SF_EERKSF_lbbbEUlllE_EE10hipError_tT0_T1_T2_jT3_P12ihipStream_tbPNSt15iterator_traitsISL_E10value_typeEPNSR_ISM_E10value_typeEPSN_NS1_7vsmem_tEENKUlT_SL_SM_SN_E_clIS8_S8_S9_S9_EESK_S10_SL_SM_SN_EUlS10_E_NS1_11comp_targetILNS1_3genE2ELNS1_11target_archE906ELNS1_3gpuE6ELNS1_3repE0EEENS1_48merge_mergepath_partition_config_static_selectorELNS0_4arch9wavefront6targetE0EEEvSM_.private_seg_size, 0
	.set _ZN7rocprim17ROCPRIM_400000_NS6detail17trampoline_kernelINS0_14default_configENS1_38merge_sort_block_merge_config_selectorIlNS0_10empty_typeEEEZZNS1_27merge_sort_block_merge_implIS3_PlPS5_mZN2at6native12_GLOBAL__N_124unique_dim_cuda_templateIiEESt5tupleIJNSA_6TensorESF_SF_EERKSF_lbbbEUlllE_EE10hipError_tT0_T1_T2_jT3_P12ihipStream_tbPNSt15iterator_traitsISL_E10value_typeEPNSR_ISM_E10value_typeEPSN_NS1_7vsmem_tEENKUlT_SL_SM_SN_E_clIS8_S8_S9_S9_EESK_S10_SL_SM_SN_EUlS10_E_NS1_11comp_targetILNS1_3genE2ELNS1_11target_archE906ELNS1_3gpuE6ELNS1_3repE0EEENS1_48merge_mergepath_partition_config_static_selectorELNS0_4arch9wavefront6targetE0EEEvSM_.uses_vcc, 0
	.set _ZN7rocprim17ROCPRIM_400000_NS6detail17trampoline_kernelINS0_14default_configENS1_38merge_sort_block_merge_config_selectorIlNS0_10empty_typeEEEZZNS1_27merge_sort_block_merge_implIS3_PlPS5_mZN2at6native12_GLOBAL__N_124unique_dim_cuda_templateIiEESt5tupleIJNSA_6TensorESF_SF_EERKSF_lbbbEUlllE_EE10hipError_tT0_T1_T2_jT3_P12ihipStream_tbPNSt15iterator_traitsISL_E10value_typeEPNSR_ISM_E10value_typeEPSN_NS1_7vsmem_tEENKUlT_SL_SM_SN_E_clIS8_S8_S9_S9_EESK_S10_SL_SM_SN_EUlS10_E_NS1_11comp_targetILNS1_3genE2ELNS1_11target_archE906ELNS1_3gpuE6ELNS1_3repE0EEENS1_48merge_mergepath_partition_config_static_selectorELNS0_4arch9wavefront6targetE0EEEvSM_.uses_flat_scratch, 0
	.set _ZN7rocprim17ROCPRIM_400000_NS6detail17trampoline_kernelINS0_14default_configENS1_38merge_sort_block_merge_config_selectorIlNS0_10empty_typeEEEZZNS1_27merge_sort_block_merge_implIS3_PlPS5_mZN2at6native12_GLOBAL__N_124unique_dim_cuda_templateIiEESt5tupleIJNSA_6TensorESF_SF_EERKSF_lbbbEUlllE_EE10hipError_tT0_T1_T2_jT3_P12ihipStream_tbPNSt15iterator_traitsISL_E10value_typeEPNSR_ISM_E10value_typeEPSN_NS1_7vsmem_tEENKUlT_SL_SM_SN_E_clIS8_S8_S9_S9_EESK_S10_SL_SM_SN_EUlS10_E_NS1_11comp_targetILNS1_3genE2ELNS1_11target_archE906ELNS1_3gpuE6ELNS1_3repE0EEENS1_48merge_mergepath_partition_config_static_selectorELNS0_4arch9wavefront6targetE0EEEvSM_.has_dyn_sized_stack, 0
	.set _ZN7rocprim17ROCPRIM_400000_NS6detail17trampoline_kernelINS0_14default_configENS1_38merge_sort_block_merge_config_selectorIlNS0_10empty_typeEEEZZNS1_27merge_sort_block_merge_implIS3_PlPS5_mZN2at6native12_GLOBAL__N_124unique_dim_cuda_templateIiEESt5tupleIJNSA_6TensorESF_SF_EERKSF_lbbbEUlllE_EE10hipError_tT0_T1_T2_jT3_P12ihipStream_tbPNSt15iterator_traitsISL_E10value_typeEPNSR_ISM_E10value_typeEPSN_NS1_7vsmem_tEENKUlT_SL_SM_SN_E_clIS8_S8_S9_S9_EESK_S10_SL_SM_SN_EUlS10_E_NS1_11comp_targetILNS1_3genE2ELNS1_11target_archE906ELNS1_3gpuE6ELNS1_3repE0EEENS1_48merge_mergepath_partition_config_static_selectorELNS0_4arch9wavefront6targetE0EEEvSM_.has_recursion, 0
	.set _ZN7rocprim17ROCPRIM_400000_NS6detail17trampoline_kernelINS0_14default_configENS1_38merge_sort_block_merge_config_selectorIlNS0_10empty_typeEEEZZNS1_27merge_sort_block_merge_implIS3_PlPS5_mZN2at6native12_GLOBAL__N_124unique_dim_cuda_templateIiEESt5tupleIJNSA_6TensorESF_SF_EERKSF_lbbbEUlllE_EE10hipError_tT0_T1_T2_jT3_P12ihipStream_tbPNSt15iterator_traitsISL_E10value_typeEPNSR_ISM_E10value_typeEPSN_NS1_7vsmem_tEENKUlT_SL_SM_SN_E_clIS8_S8_S9_S9_EESK_S10_SL_SM_SN_EUlS10_E_NS1_11comp_targetILNS1_3genE2ELNS1_11target_archE906ELNS1_3gpuE6ELNS1_3repE0EEENS1_48merge_mergepath_partition_config_static_selectorELNS0_4arch9wavefront6targetE0EEEvSM_.has_indirect_call, 0
	.section	.AMDGPU.csdata,"",@progbits
; Kernel info:
; codeLenInByte = 0
; TotalNumSgprs: 0
; NumVgprs: 0
; ScratchSize: 0
; MemoryBound: 0
; FloatMode: 240
; IeeeMode: 1
; LDSByteSize: 0 bytes/workgroup (compile time only)
; SGPRBlocks: 0
; VGPRBlocks: 0
; NumSGPRsForWavesPerEU: 1
; NumVGPRsForWavesPerEU: 1
; NamedBarCnt: 0
; Occupancy: 16
; WaveLimiterHint : 0
; COMPUTE_PGM_RSRC2:SCRATCH_EN: 0
; COMPUTE_PGM_RSRC2:USER_SGPR: 2
; COMPUTE_PGM_RSRC2:TRAP_HANDLER: 0
; COMPUTE_PGM_RSRC2:TGID_X_EN: 1
; COMPUTE_PGM_RSRC2:TGID_Y_EN: 0
; COMPUTE_PGM_RSRC2:TGID_Z_EN: 0
; COMPUTE_PGM_RSRC2:TIDIG_COMP_CNT: 0
	.section	.text._ZN7rocprim17ROCPRIM_400000_NS6detail17trampoline_kernelINS0_14default_configENS1_38merge_sort_block_merge_config_selectorIlNS0_10empty_typeEEEZZNS1_27merge_sort_block_merge_implIS3_PlPS5_mZN2at6native12_GLOBAL__N_124unique_dim_cuda_templateIiEESt5tupleIJNSA_6TensorESF_SF_EERKSF_lbbbEUlllE_EE10hipError_tT0_T1_T2_jT3_P12ihipStream_tbPNSt15iterator_traitsISL_E10value_typeEPNSR_ISM_E10value_typeEPSN_NS1_7vsmem_tEENKUlT_SL_SM_SN_E_clIS8_S8_S9_S9_EESK_S10_SL_SM_SN_EUlS10_E_NS1_11comp_targetILNS1_3genE9ELNS1_11target_archE1100ELNS1_3gpuE3ELNS1_3repE0EEENS1_48merge_mergepath_partition_config_static_selectorELNS0_4arch9wavefront6targetE0EEEvSM_,"axG",@progbits,_ZN7rocprim17ROCPRIM_400000_NS6detail17trampoline_kernelINS0_14default_configENS1_38merge_sort_block_merge_config_selectorIlNS0_10empty_typeEEEZZNS1_27merge_sort_block_merge_implIS3_PlPS5_mZN2at6native12_GLOBAL__N_124unique_dim_cuda_templateIiEESt5tupleIJNSA_6TensorESF_SF_EERKSF_lbbbEUlllE_EE10hipError_tT0_T1_T2_jT3_P12ihipStream_tbPNSt15iterator_traitsISL_E10value_typeEPNSR_ISM_E10value_typeEPSN_NS1_7vsmem_tEENKUlT_SL_SM_SN_E_clIS8_S8_S9_S9_EESK_S10_SL_SM_SN_EUlS10_E_NS1_11comp_targetILNS1_3genE9ELNS1_11target_archE1100ELNS1_3gpuE3ELNS1_3repE0EEENS1_48merge_mergepath_partition_config_static_selectorELNS0_4arch9wavefront6targetE0EEEvSM_,comdat
	.globl	_ZN7rocprim17ROCPRIM_400000_NS6detail17trampoline_kernelINS0_14default_configENS1_38merge_sort_block_merge_config_selectorIlNS0_10empty_typeEEEZZNS1_27merge_sort_block_merge_implIS3_PlPS5_mZN2at6native12_GLOBAL__N_124unique_dim_cuda_templateIiEESt5tupleIJNSA_6TensorESF_SF_EERKSF_lbbbEUlllE_EE10hipError_tT0_T1_T2_jT3_P12ihipStream_tbPNSt15iterator_traitsISL_E10value_typeEPNSR_ISM_E10value_typeEPSN_NS1_7vsmem_tEENKUlT_SL_SM_SN_E_clIS8_S8_S9_S9_EESK_S10_SL_SM_SN_EUlS10_E_NS1_11comp_targetILNS1_3genE9ELNS1_11target_archE1100ELNS1_3gpuE3ELNS1_3repE0EEENS1_48merge_mergepath_partition_config_static_selectorELNS0_4arch9wavefront6targetE0EEEvSM_ ; -- Begin function _ZN7rocprim17ROCPRIM_400000_NS6detail17trampoline_kernelINS0_14default_configENS1_38merge_sort_block_merge_config_selectorIlNS0_10empty_typeEEEZZNS1_27merge_sort_block_merge_implIS3_PlPS5_mZN2at6native12_GLOBAL__N_124unique_dim_cuda_templateIiEESt5tupleIJNSA_6TensorESF_SF_EERKSF_lbbbEUlllE_EE10hipError_tT0_T1_T2_jT3_P12ihipStream_tbPNSt15iterator_traitsISL_E10value_typeEPNSR_ISM_E10value_typeEPSN_NS1_7vsmem_tEENKUlT_SL_SM_SN_E_clIS8_S8_S9_S9_EESK_S10_SL_SM_SN_EUlS10_E_NS1_11comp_targetILNS1_3genE9ELNS1_11target_archE1100ELNS1_3gpuE3ELNS1_3repE0EEENS1_48merge_mergepath_partition_config_static_selectorELNS0_4arch9wavefront6targetE0EEEvSM_
	.p2align	8
	.type	_ZN7rocprim17ROCPRIM_400000_NS6detail17trampoline_kernelINS0_14default_configENS1_38merge_sort_block_merge_config_selectorIlNS0_10empty_typeEEEZZNS1_27merge_sort_block_merge_implIS3_PlPS5_mZN2at6native12_GLOBAL__N_124unique_dim_cuda_templateIiEESt5tupleIJNSA_6TensorESF_SF_EERKSF_lbbbEUlllE_EE10hipError_tT0_T1_T2_jT3_P12ihipStream_tbPNSt15iterator_traitsISL_E10value_typeEPNSR_ISM_E10value_typeEPSN_NS1_7vsmem_tEENKUlT_SL_SM_SN_E_clIS8_S8_S9_S9_EESK_S10_SL_SM_SN_EUlS10_E_NS1_11comp_targetILNS1_3genE9ELNS1_11target_archE1100ELNS1_3gpuE3ELNS1_3repE0EEENS1_48merge_mergepath_partition_config_static_selectorELNS0_4arch9wavefront6targetE0EEEvSM_,@function
_ZN7rocprim17ROCPRIM_400000_NS6detail17trampoline_kernelINS0_14default_configENS1_38merge_sort_block_merge_config_selectorIlNS0_10empty_typeEEEZZNS1_27merge_sort_block_merge_implIS3_PlPS5_mZN2at6native12_GLOBAL__N_124unique_dim_cuda_templateIiEESt5tupleIJNSA_6TensorESF_SF_EERKSF_lbbbEUlllE_EE10hipError_tT0_T1_T2_jT3_P12ihipStream_tbPNSt15iterator_traitsISL_E10value_typeEPNSR_ISM_E10value_typeEPSN_NS1_7vsmem_tEENKUlT_SL_SM_SN_E_clIS8_S8_S9_S9_EESK_S10_SL_SM_SN_EUlS10_E_NS1_11comp_targetILNS1_3genE9ELNS1_11target_archE1100ELNS1_3gpuE3ELNS1_3repE0EEENS1_48merge_mergepath_partition_config_static_selectorELNS0_4arch9wavefront6targetE0EEEvSM_: ; @_ZN7rocprim17ROCPRIM_400000_NS6detail17trampoline_kernelINS0_14default_configENS1_38merge_sort_block_merge_config_selectorIlNS0_10empty_typeEEEZZNS1_27merge_sort_block_merge_implIS3_PlPS5_mZN2at6native12_GLOBAL__N_124unique_dim_cuda_templateIiEESt5tupleIJNSA_6TensorESF_SF_EERKSF_lbbbEUlllE_EE10hipError_tT0_T1_T2_jT3_P12ihipStream_tbPNSt15iterator_traitsISL_E10value_typeEPNSR_ISM_E10value_typeEPSN_NS1_7vsmem_tEENKUlT_SL_SM_SN_E_clIS8_S8_S9_S9_EESK_S10_SL_SM_SN_EUlS10_E_NS1_11comp_targetILNS1_3genE9ELNS1_11target_archE1100ELNS1_3gpuE3ELNS1_3repE0EEENS1_48merge_mergepath_partition_config_static_selectorELNS0_4arch9wavefront6targetE0EEEvSM_
; %bb.0:
	.section	.rodata,"a",@progbits
	.p2align	6, 0x0
	.amdhsa_kernel _ZN7rocprim17ROCPRIM_400000_NS6detail17trampoline_kernelINS0_14default_configENS1_38merge_sort_block_merge_config_selectorIlNS0_10empty_typeEEEZZNS1_27merge_sort_block_merge_implIS3_PlPS5_mZN2at6native12_GLOBAL__N_124unique_dim_cuda_templateIiEESt5tupleIJNSA_6TensorESF_SF_EERKSF_lbbbEUlllE_EE10hipError_tT0_T1_T2_jT3_P12ihipStream_tbPNSt15iterator_traitsISL_E10value_typeEPNSR_ISM_E10value_typeEPSN_NS1_7vsmem_tEENKUlT_SL_SM_SN_E_clIS8_S8_S9_S9_EESK_S10_SL_SM_SN_EUlS10_E_NS1_11comp_targetILNS1_3genE9ELNS1_11target_archE1100ELNS1_3gpuE3ELNS1_3repE0EEENS1_48merge_mergepath_partition_config_static_selectorELNS0_4arch9wavefront6targetE0EEEvSM_
		.amdhsa_group_segment_fixed_size 0
		.amdhsa_private_segment_fixed_size 0
		.amdhsa_kernarg_size 56
		.amdhsa_user_sgpr_count 2
		.amdhsa_user_sgpr_dispatch_ptr 0
		.amdhsa_user_sgpr_queue_ptr 0
		.amdhsa_user_sgpr_kernarg_segment_ptr 1
		.amdhsa_user_sgpr_dispatch_id 0
		.amdhsa_user_sgpr_kernarg_preload_length 0
		.amdhsa_user_sgpr_kernarg_preload_offset 0
		.amdhsa_user_sgpr_private_segment_size 0
		.amdhsa_wavefront_size32 1
		.amdhsa_uses_dynamic_stack 0
		.amdhsa_enable_private_segment 0
		.amdhsa_system_sgpr_workgroup_id_x 1
		.amdhsa_system_sgpr_workgroup_id_y 0
		.amdhsa_system_sgpr_workgroup_id_z 0
		.amdhsa_system_sgpr_workgroup_info 0
		.amdhsa_system_vgpr_workitem_id 0
		.amdhsa_next_free_vgpr 1
		.amdhsa_next_free_sgpr 1
		.amdhsa_named_barrier_count 0
		.amdhsa_reserve_vcc 0
		.amdhsa_float_round_mode_32 0
		.amdhsa_float_round_mode_16_64 0
		.amdhsa_float_denorm_mode_32 3
		.amdhsa_float_denorm_mode_16_64 3
		.amdhsa_fp16_overflow 0
		.amdhsa_memory_ordered 1
		.amdhsa_forward_progress 1
		.amdhsa_inst_pref_size 0
		.amdhsa_round_robin_scheduling 0
		.amdhsa_exception_fp_ieee_invalid_op 0
		.amdhsa_exception_fp_denorm_src 0
		.amdhsa_exception_fp_ieee_div_zero 0
		.amdhsa_exception_fp_ieee_overflow 0
		.amdhsa_exception_fp_ieee_underflow 0
		.amdhsa_exception_fp_ieee_inexact 0
		.amdhsa_exception_int_div_zero 0
	.end_amdhsa_kernel
	.section	.text._ZN7rocprim17ROCPRIM_400000_NS6detail17trampoline_kernelINS0_14default_configENS1_38merge_sort_block_merge_config_selectorIlNS0_10empty_typeEEEZZNS1_27merge_sort_block_merge_implIS3_PlPS5_mZN2at6native12_GLOBAL__N_124unique_dim_cuda_templateIiEESt5tupleIJNSA_6TensorESF_SF_EERKSF_lbbbEUlllE_EE10hipError_tT0_T1_T2_jT3_P12ihipStream_tbPNSt15iterator_traitsISL_E10value_typeEPNSR_ISM_E10value_typeEPSN_NS1_7vsmem_tEENKUlT_SL_SM_SN_E_clIS8_S8_S9_S9_EESK_S10_SL_SM_SN_EUlS10_E_NS1_11comp_targetILNS1_3genE9ELNS1_11target_archE1100ELNS1_3gpuE3ELNS1_3repE0EEENS1_48merge_mergepath_partition_config_static_selectorELNS0_4arch9wavefront6targetE0EEEvSM_,"axG",@progbits,_ZN7rocprim17ROCPRIM_400000_NS6detail17trampoline_kernelINS0_14default_configENS1_38merge_sort_block_merge_config_selectorIlNS0_10empty_typeEEEZZNS1_27merge_sort_block_merge_implIS3_PlPS5_mZN2at6native12_GLOBAL__N_124unique_dim_cuda_templateIiEESt5tupleIJNSA_6TensorESF_SF_EERKSF_lbbbEUlllE_EE10hipError_tT0_T1_T2_jT3_P12ihipStream_tbPNSt15iterator_traitsISL_E10value_typeEPNSR_ISM_E10value_typeEPSN_NS1_7vsmem_tEENKUlT_SL_SM_SN_E_clIS8_S8_S9_S9_EESK_S10_SL_SM_SN_EUlS10_E_NS1_11comp_targetILNS1_3genE9ELNS1_11target_archE1100ELNS1_3gpuE3ELNS1_3repE0EEENS1_48merge_mergepath_partition_config_static_selectorELNS0_4arch9wavefront6targetE0EEEvSM_,comdat
.Lfunc_end398:
	.size	_ZN7rocprim17ROCPRIM_400000_NS6detail17trampoline_kernelINS0_14default_configENS1_38merge_sort_block_merge_config_selectorIlNS0_10empty_typeEEEZZNS1_27merge_sort_block_merge_implIS3_PlPS5_mZN2at6native12_GLOBAL__N_124unique_dim_cuda_templateIiEESt5tupleIJNSA_6TensorESF_SF_EERKSF_lbbbEUlllE_EE10hipError_tT0_T1_T2_jT3_P12ihipStream_tbPNSt15iterator_traitsISL_E10value_typeEPNSR_ISM_E10value_typeEPSN_NS1_7vsmem_tEENKUlT_SL_SM_SN_E_clIS8_S8_S9_S9_EESK_S10_SL_SM_SN_EUlS10_E_NS1_11comp_targetILNS1_3genE9ELNS1_11target_archE1100ELNS1_3gpuE3ELNS1_3repE0EEENS1_48merge_mergepath_partition_config_static_selectorELNS0_4arch9wavefront6targetE0EEEvSM_, .Lfunc_end398-_ZN7rocprim17ROCPRIM_400000_NS6detail17trampoline_kernelINS0_14default_configENS1_38merge_sort_block_merge_config_selectorIlNS0_10empty_typeEEEZZNS1_27merge_sort_block_merge_implIS3_PlPS5_mZN2at6native12_GLOBAL__N_124unique_dim_cuda_templateIiEESt5tupleIJNSA_6TensorESF_SF_EERKSF_lbbbEUlllE_EE10hipError_tT0_T1_T2_jT3_P12ihipStream_tbPNSt15iterator_traitsISL_E10value_typeEPNSR_ISM_E10value_typeEPSN_NS1_7vsmem_tEENKUlT_SL_SM_SN_E_clIS8_S8_S9_S9_EESK_S10_SL_SM_SN_EUlS10_E_NS1_11comp_targetILNS1_3genE9ELNS1_11target_archE1100ELNS1_3gpuE3ELNS1_3repE0EEENS1_48merge_mergepath_partition_config_static_selectorELNS0_4arch9wavefront6targetE0EEEvSM_
                                        ; -- End function
	.set _ZN7rocprim17ROCPRIM_400000_NS6detail17trampoline_kernelINS0_14default_configENS1_38merge_sort_block_merge_config_selectorIlNS0_10empty_typeEEEZZNS1_27merge_sort_block_merge_implIS3_PlPS5_mZN2at6native12_GLOBAL__N_124unique_dim_cuda_templateIiEESt5tupleIJNSA_6TensorESF_SF_EERKSF_lbbbEUlllE_EE10hipError_tT0_T1_T2_jT3_P12ihipStream_tbPNSt15iterator_traitsISL_E10value_typeEPNSR_ISM_E10value_typeEPSN_NS1_7vsmem_tEENKUlT_SL_SM_SN_E_clIS8_S8_S9_S9_EESK_S10_SL_SM_SN_EUlS10_E_NS1_11comp_targetILNS1_3genE9ELNS1_11target_archE1100ELNS1_3gpuE3ELNS1_3repE0EEENS1_48merge_mergepath_partition_config_static_selectorELNS0_4arch9wavefront6targetE0EEEvSM_.num_vgpr, 0
	.set _ZN7rocprim17ROCPRIM_400000_NS6detail17trampoline_kernelINS0_14default_configENS1_38merge_sort_block_merge_config_selectorIlNS0_10empty_typeEEEZZNS1_27merge_sort_block_merge_implIS3_PlPS5_mZN2at6native12_GLOBAL__N_124unique_dim_cuda_templateIiEESt5tupleIJNSA_6TensorESF_SF_EERKSF_lbbbEUlllE_EE10hipError_tT0_T1_T2_jT3_P12ihipStream_tbPNSt15iterator_traitsISL_E10value_typeEPNSR_ISM_E10value_typeEPSN_NS1_7vsmem_tEENKUlT_SL_SM_SN_E_clIS8_S8_S9_S9_EESK_S10_SL_SM_SN_EUlS10_E_NS1_11comp_targetILNS1_3genE9ELNS1_11target_archE1100ELNS1_3gpuE3ELNS1_3repE0EEENS1_48merge_mergepath_partition_config_static_selectorELNS0_4arch9wavefront6targetE0EEEvSM_.num_agpr, 0
	.set _ZN7rocprim17ROCPRIM_400000_NS6detail17trampoline_kernelINS0_14default_configENS1_38merge_sort_block_merge_config_selectorIlNS0_10empty_typeEEEZZNS1_27merge_sort_block_merge_implIS3_PlPS5_mZN2at6native12_GLOBAL__N_124unique_dim_cuda_templateIiEESt5tupleIJNSA_6TensorESF_SF_EERKSF_lbbbEUlllE_EE10hipError_tT0_T1_T2_jT3_P12ihipStream_tbPNSt15iterator_traitsISL_E10value_typeEPNSR_ISM_E10value_typeEPSN_NS1_7vsmem_tEENKUlT_SL_SM_SN_E_clIS8_S8_S9_S9_EESK_S10_SL_SM_SN_EUlS10_E_NS1_11comp_targetILNS1_3genE9ELNS1_11target_archE1100ELNS1_3gpuE3ELNS1_3repE0EEENS1_48merge_mergepath_partition_config_static_selectorELNS0_4arch9wavefront6targetE0EEEvSM_.numbered_sgpr, 0
	.set _ZN7rocprim17ROCPRIM_400000_NS6detail17trampoline_kernelINS0_14default_configENS1_38merge_sort_block_merge_config_selectorIlNS0_10empty_typeEEEZZNS1_27merge_sort_block_merge_implIS3_PlPS5_mZN2at6native12_GLOBAL__N_124unique_dim_cuda_templateIiEESt5tupleIJNSA_6TensorESF_SF_EERKSF_lbbbEUlllE_EE10hipError_tT0_T1_T2_jT3_P12ihipStream_tbPNSt15iterator_traitsISL_E10value_typeEPNSR_ISM_E10value_typeEPSN_NS1_7vsmem_tEENKUlT_SL_SM_SN_E_clIS8_S8_S9_S9_EESK_S10_SL_SM_SN_EUlS10_E_NS1_11comp_targetILNS1_3genE9ELNS1_11target_archE1100ELNS1_3gpuE3ELNS1_3repE0EEENS1_48merge_mergepath_partition_config_static_selectorELNS0_4arch9wavefront6targetE0EEEvSM_.num_named_barrier, 0
	.set _ZN7rocprim17ROCPRIM_400000_NS6detail17trampoline_kernelINS0_14default_configENS1_38merge_sort_block_merge_config_selectorIlNS0_10empty_typeEEEZZNS1_27merge_sort_block_merge_implIS3_PlPS5_mZN2at6native12_GLOBAL__N_124unique_dim_cuda_templateIiEESt5tupleIJNSA_6TensorESF_SF_EERKSF_lbbbEUlllE_EE10hipError_tT0_T1_T2_jT3_P12ihipStream_tbPNSt15iterator_traitsISL_E10value_typeEPNSR_ISM_E10value_typeEPSN_NS1_7vsmem_tEENKUlT_SL_SM_SN_E_clIS8_S8_S9_S9_EESK_S10_SL_SM_SN_EUlS10_E_NS1_11comp_targetILNS1_3genE9ELNS1_11target_archE1100ELNS1_3gpuE3ELNS1_3repE0EEENS1_48merge_mergepath_partition_config_static_selectorELNS0_4arch9wavefront6targetE0EEEvSM_.private_seg_size, 0
	.set _ZN7rocprim17ROCPRIM_400000_NS6detail17trampoline_kernelINS0_14default_configENS1_38merge_sort_block_merge_config_selectorIlNS0_10empty_typeEEEZZNS1_27merge_sort_block_merge_implIS3_PlPS5_mZN2at6native12_GLOBAL__N_124unique_dim_cuda_templateIiEESt5tupleIJNSA_6TensorESF_SF_EERKSF_lbbbEUlllE_EE10hipError_tT0_T1_T2_jT3_P12ihipStream_tbPNSt15iterator_traitsISL_E10value_typeEPNSR_ISM_E10value_typeEPSN_NS1_7vsmem_tEENKUlT_SL_SM_SN_E_clIS8_S8_S9_S9_EESK_S10_SL_SM_SN_EUlS10_E_NS1_11comp_targetILNS1_3genE9ELNS1_11target_archE1100ELNS1_3gpuE3ELNS1_3repE0EEENS1_48merge_mergepath_partition_config_static_selectorELNS0_4arch9wavefront6targetE0EEEvSM_.uses_vcc, 0
	.set _ZN7rocprim17ROCPRIM_400000_NS6detail17trampoline_kernelINS0_14default_configENS1_38merge_sort_block_merge_config_selectorIlNS0_10empty_typeEEEZZNS1_27merge_sort_block_merge_implIS3_PlPS5_mZN2at6native12_GLOBAL__N_124unique_dim_cuda_templateIiEESt5tupleIJNSA_6TensorESF_SF_EERKSF_lbbbEUlllE_EE10hipError_tT0_T1_T2_jT3_P12ihipStream_tbPNSt15iterator_traitsISL_E10value_typeEPNSR_ISM_E10value_typeEPSN_NS1_7vsmem_tEENKUlT_SL_SM_SN_E_clIS8_S8_S9_S9_EESK_S10_SL_SM_SN_EUlS10_E_NS1_11comp_targetILNS1_3genE9ELNS1_11target_archE1100ELNS1_3gpuE3ELNS1_3repE0EEENS1_48merge_mergepath_partition_config_static_selectorELNS0_4arch9wavefront6targetE0EEEvSM_.uses_flat_scratch, 0
	.set _ZN7rocprim17ROCPRIM_400000_NS6detail17trampoline_kernelINS0_14default_configENS1_38merge_sort_block_merge_config_selectorIlNS0_10empty_typeEEEZZNS1_27merge_sort_block_merge_implIS3_PlPS5_mZN2at6native12_GLOBAL__N_124unique_dim_cuda_templateIiEESt5tupleIJNSA_6TensorESF_SF_EERKSF_lbbbEUlllE_EE10hipError_tT0_T1_T2_jT3_P12ihipStream_tbPNSt15iterator_traitsISL_E10value_typeEPNSR_ISM_E10value_typeEPSN_NS1_7vsmem_tEENKUlT_SL_SM_SN_E_clIS8_S8_S9_S9_EESK_S10_SL_SM_SN_EUlS10_E_NS1_11comp_targetILNS1_3genE9ELNS1_11target_archE1100ELNS1_3gpuE3ELNS1_3repE0EEENS1_48merge_mergepath_partition_config_static_selectorELNS0_4arch9wavefront6targetE0EEEvSM_.has_dyn_sized_stack, 0
	.set _ZN7rocprim17ROCPRIM_400000_NS6detail17trampoline_kernelINS0_14default_configENS1_38merge_sort_block_merge_config_selectorIlNS0_10empty_typeEEEZZNS1_27merge_sort_block_merge_implIS3_PlPS5_mZN2at6native12_GLOBAL__N_124unique_dim_cuda_templateIiEESt5tupleIJNSA_6TensorESF_SF_EERKSF_lbbbEUlllE_EE10hipError_tT0_T1_T2_jT3_P12ihipStream_tbPNSt15iterator_traitsISL_E10value_typeEPNSR_ISM_E10value_typeEPSN_NS1_7vsmem_tEENKUlT_SL_SM_SN_E_clIS8_S8_S9_S9_EESK_S10_SL_SM_SN_EUlS10_E_NS1_11comp_targetILNS1_3genE9ELNS1_11target_archE1100ELNS1_3gpuE3ELNS1_3repE0EEENS1_48merge_mergepath_partition_config_static_selectorELNS0_4arch9wavefront6targetE0EEEvSM_.has_recursion, 0
	.set _ZN7rocprim17ROCPRIM_400000_NS6detail17trampoline_kernelINS0_14default_configENS1_38merge_sort_block_merge_config_selectorIlNS0_10empty_typeEEEZZNS1_27merge_sort_block_merge_implIS3_PlPS5_mZN2at6native12_GLOBAL__N_124unique_dim_cuda_templateIiEESt5tupleIJNSA_6TensorESF_SF_EERKSF_lbbbEUlllE_EE10hipError_tT0_T1_T2_jT3_P12ihipStream_tbPNSt15iterator_traitsISL_E10value_typeEPNSR_ISM_E10value_typeEPSN_NS1_7vsmem_tEENKUlT_SL_SM_SN_E_clIS8_S8_S9_S9_EESK_S10_SL_SM_SN_EUlS10_E_NS1_11comp_targetILNS1_3genE9ELNS1_11target_archE1100ELNS1_3gpuE3ELNS1_3repE0EEENS1_48merge_mergepath_partition_config_static_selectorELNS0_4arch9wavefront6targetE0EEEvSM_.has_indirect_call, 0
	.section	.AMDGPU.csdata,"",@progbits
; Kernel info:
; codeLenInByte = 0
; TotalNumSgprs: 0
; NumVgprs: 0
; ScratchSize: 0
; MemoryBound: 0
; FloatMode: 240
; IeeeMode: 1
; LDSByteSize: 0 bytes/workgroup (compile time only)
; SGPRBlocks: 0
; VGPRBlocks: 0
; NumSGPRsForWavesPerEU: 1
; NumVGPRsForWavesPerEU: 1
; NamedBarCnt: 0
; Occupancy: 16
; WaveLimiterHint : 0
; COMPUTE_PGM_RSRC2:SCRATCH_EN: 0
; COMPUTE_PGM_RSRC2:USER_SGPR: 2
; COMPUTE_PGM_RSRC2:TRAP_HANDLER: 0
; COMPUTE_PGM_RSRC2:TGID_X_EN: 1
; COMPUTE_PGM_RSRC2:TGID_Y_EN: 0
; COMPUTE_PGM_RSRC2:TGID_Z_EN: 0
; COMPUTE_PGM_RSRC2:TIDIG_COMP_CNT: 0
	.section	.text._ZN7rocprim17ROCPRIM_400000_NS6detail17trampoline_kernelINS0_14default_configENS1_38merge_sort_block_merge_config_selectorIlNS0_10empty_typeEEEZZNS1_27merge_sort_block_merge_implIS3_PlPS5_mZN2at6native12_GLOBAL__N_124unique_dim_cuda_templateIiEESt5tupleIJNSA_6TensorESF_SF_EERKSF_lbbbEUlllE_EE10hipError_tT0_T1_T2_jT3_P12ihipStream_tbPNSt15iterator_traitsISL_E10value_typeEPNSR_ISM_E10value_typeEPSN_NS1_7vsmem_tEENKUlT_SL_SM_SN_E_clIS8_S8_S9_S9_EESK_S10_SL_SM_SN_EUlS10_E_NS1_11comp_targetILNS1_3genE8ELNS1_11target_archE1030ELNS1_3gpuE2ELNS1_3repE0EEENS1_48merge_mergepath_partition_config_static_selectorELNS0_4arch9wavefront6targetE0EEEvSM_,"axG",@progbits,_ZN7rocprim17ROCPRIM_400000_NS6detail17trampoline_kernelINS0_14default_configENS1_38merge_sort_block_merge_config_selectorIlNS0_10empty_typeEEEZZNS1_27merge_sort_block_merge_implIS3_PlPS5_mZN2at6native12_GLOBAL__N_124unique_dim_cuda_templateIiEESt5tupleIJNSA_6TensorESF_SF_EERKSF_lbbbEUlllE_EE10hipError_tT0_T1_T2_jT3_P12ihipStream_tbPNSt15iterator_traitsISL_E10value_typeEPNSR_ISM_E10value_typeEPSN_NS1_7vsmem_tEENKUlT_SL_SM_SN_E_clIS8_S8_S9_S9_EESK_S10_SL_SM_SN_EUlS10_E_NS1_11comp_targetILNS1_3genE8ELNS1_11target_archE1030ELNS1_3gpuE2ELNS1_3repE0EEENS1_48merge_mergepath_partition_config_static_selectorELNS0_4arch9wavefront6targetE0EEEvSM_,comdat
	.globl	_ZN7rocprim17ROCPRIM_400000_NS6detail17trampoline_kernelINS0_14default_configENS1_38merge_sort_block_merge_config_selectorIlNS0_10empty_typeEEEZZNS1_27merge_sort_block_merge_implIS3_PlPS5_mZN2at6native12_GLOBAL__N_124unique_dim_cuda_templateIiEESt5tupleIJNSA_6TensorESF_SF_EERKSF_lbbbEUlllE_EE10hipError_tT0_T1_T2_jT3_P12ihipStream_tbPNSt15iterator_traitsISL_E10value_typeEPNSR_ISM_E10value_typeEPSN_NS1_7vsmem_tEENKUlT_SL_SM_SN_E_clIS8_S8_S9_S9_EESK_S10_SL_SM_SN_EUlS10_E_NS1_11comp_targetILNS1_3genE8ELNS1_11target_archE1030ELNS1_3gpuE2ELNS1_3repE0EEENS1_48merge_mergepath_partition_config_static_selectorELNS0_4arch9wavefront6targetE0EEEvSM_ ; -- Begin function _ZN7rocprim17ROCPRIM_400000_NS6detail17trampoline_kernelINS0_14default_configENS1_38merge_sort_block_merge_config_selectorIlNS0_10empty_typeEEEZZNS1_27merge_sort_block_merge_implIS3_PlPS5_mZN2at6native12_GLOBAL__N_124unique_dim_cuda_templateIiEESt5tupleIJNSA_6TensorESF_SF_EERKSF_lbbbEUlllE_EE10hipError_tT0_T1_T2_jT3_P12ihipStream_tbPNSt15iterator_traitsISL_E10value_typeEPNSR_ISM_E10value_typeEPSN_NS1_7vsmem_tEENKUlT_SL_SM_SN_E_clIS8_S8_S9_S9_EESK_S10_SL_SM_SN_EUlS10_E_NS1_11comp_targetILNS1_3genE8ELNS1_11target_archE1030ELNS1_3gpuE2ELNS1_3repE0EEENS1_48merge_mergepath_partition_config_static_selectorELNS0_4arch9wavefront6targetE0EEEvSM_
	.p2align	8
	.type	_ZN7rocprim17ROCPRIM_400000_NS6detail17trampoline_kernelINS0_14default_configENS1_38merge_sort_block_merge_config_selectorIlNS0_10empty_typeEEEZZNS1_27merge_sort_block_merge_implIS3_PlPS5_mZN2at6native12_GLOBAL__N_124unique_dim_cuda_templateIiEESt5tupleIJNSA_6TensorESF_SF_EERKSF_lbbbEUlllE_EE10hipError_tT0_T1_T2_jT3_P12ihipStream_tbPNSt15iterator_traitsISL_E10value_typeEPNSR_ISM_E10value_typeEPSN_NS1_7vsmem_tEENKUlT_SL_SM_SN_E_clIS8_S8_S9_S9_EESK_S10_SL_SM_SN_EUlS10_E_NS1_11comp_targetILNS1_3genE8ELNS1_11target_archE1030ELNS1_3gpuE2ELNS1_3repE0EEENS1_48merge_mergepath_partition_config_static_selectorELNS0_4arch9wavefront6targetE0EEEvSM_,@function
_ZN7rocprim17ROCPRIM_400000_NS6detail17trampoline_kernelINS0_14default_configENS1_38merge_sort_block_merge_config_selectorIlNS0_10empty_typeEEEZZNS1_27merge_sort_block_merge_implIS3_PlPS5_mZN2at6native12_GLOBAL__N_124unique_dim_cuda_templateIiEESt5tupleIJNSA_6TensorESF_SF_EERKSF_lbbbEUlllE_EE10hipError_tT0_T1_T2_jT3_P12ihipStream_tbPNSt15iterator_traitsISL_E10value_typeEPNSR_ISM_E10value_typeEPSN_NS1_7vsmem_tEENKUlT_SL_SM_SN_E_clIS8_S8_S9_S9_EESK_S10_SL_SM_SN_EUlS10_E_NS1_11comp_targetILNS1_3genE8ELNS1_11target_archE1030ELNS1_3gpuE2ELNS1_3repE0EEENS1_48merge_mergepath_partition_config_static_selectorELNS0_4arch9wavefront6targetE0EEEvSM_: ; @_ZN7rocprim17ROCPRIM_400000_NS6detail17trampoline_kernelINS0_14default_configENS1_38merge_sort_block_merge_config_selectorIlNS0_10empty_typeEEEZZNS1_27merge_sort_block_merge_implIS3_PlPS5_mZN2at6native12_GLOBAL__N_124unique_dim_cuda_templateIiEESt5tupleIJNSA_6TensorESF_SF_EERKSF_lbbbEUlllE_EE10hipError_tT0_T1_T2_jT3_P12ihipStream_tbPNSt15iterator_traitsISL_E10value_typeEPNSR_ISM_E10value_typeEPSN_NS1_7vsmem_tEENKUlT_SL_SM_SN_E_clIS8_S8_S9_S9_EESK_S10_SL_SM_SN_EUlS10_E_NS1_11comp_targetILNS1_3genE8ELNS1_11target_archE1030ELNS1_3gpuE2ELNS1_3repE0EEENS1_48merge_mergepath_partition_config_static_selectorELNS0_4arch9wavefront6targetE0EEEvSM_
; %bb.0:
	.section	.rodata,"a",@progbits
	.p2align	6, 0x0
	.amdhsa_kernel _ZN7rocprim17ROCPRIM_400000_NS6detail17trampoline_kernelINS0_14default_configENS1_38merge_sort_block_merge_config_selectorIlNS0_10empty_typeEEEZZNS1_27merge_sort_block_merge_implIS3_PlPS5_mZN2at6native12_GLOBAL__N_124unique_dim_cuda_templateIiEESt5tupleIJNSA_6TensorESF_SF_EERKSF_lbbbEUlllE_EE10hipError_tT0_T1_T2_jT3_P12ihipStream_tbPNSt15iterator_traitsISL_E10value_typeEPNSR_ISM_E10value_typeEPSN_NS1_7vsmem_tEENKUlT_SL_SM_SN_E_clIS8_S8_S9_S9_EESK_S10_SL_SM_SN_EUlS10_E_NS1_11comp_targetILNS1_3genE8ELNS1_11target_archE1030ELNS1_3gpuE2ELNS1_3repE0EEENS1_48merge_mergepath_partition_config_static_selectorELNS0_4arch9wavefront6targetE0EEEvSM_
		.amdhsa_group_segment_fixed_size 0
		.amdhsa_private_segment_fixed_size 0
		.amdhsa_kernarg_size 56
		.amdhsa_user_sgpr_count 2
		.amdhsa_user_sgpr_dispatch_ptr 0
		.amdhsa_user_sgpr_queue_ptr 0
		.amdhsa_user_sgpr_kernarg_segment_ptr 1
		.amdhsa_user_sgpr_dispatch_id 0
		.amdhsa_user_sgpr_kernarg_preload_length 0
		.amdhsa_user_sgpr_kernarg_preload_offset 0
		.amdhsa_user_sgpr_private_segment_size 0
		.amdhsa_wavefront_size32 1
		.amdhsa_uses_dynamic_stack 0
		.amdhsa_enable_private_segment 0
		.amdhsa_system_sgpr_workgroup_id_x 1
		.amdhsa_system_sgpr_workgroup_id_y 0
		.amdhsa_system_sgpr_workgroup_id_z 0
		.amdhsa_system_sgpr_workgroup_info 0
		.amdhsa_system_vgpr_workitem_id 0
		.amdhsa_next_free_vgpr 1
		.amdhsa_next_free_sgpr 1
		.amdhsa_named_barrier_count 0
		.amdhsa_reserve_vcc 0
		.amdhsa_float_round_mode_32 0
		.amdhsa_float_round_mode_16_64 0
		.amdhsa_float_denorm_mode_32 3
		.amdhsa_float_denorm_mode_16_64 3
		.amdhsa_fp16_overflow 0
		.amdhsa_memory_ordered 1
		.amdhsa_forward_progress 1
		.amdhsa_inst_pref_size 0
		.amdhsa_round_robin_scheduling 0
		.amdhsa_exception_fp_ieee_invalid_op 0
		.amdhsa_exception_fp_denorm_src 0
		.amdhsa_exception_fp_ieee_div_zero 0
		.amdhsa_exception_fp_ieee_overflow 0
		.amdhsa_exception_fp_ieee_underflow 0
		.amdhsa_exception_fp_ieee_inexact 0
		.amdhsa_exception_int_div_zero 0
	.end_amdhsa_kernel
	.section	.text._ZN7rocprim17ROCPRIM_400000_NS6detail17trampoline_kernelINS0_14default_configENS1_38merge_sort_block_merge_config_selectorIlNS0_10empty_typeEEEZZNS1_27merge_sort_block_merge_implIS3_PlPS5_mZN2at6native12_GLOBAL__N_124unique_dim_cuda_templateIiEESt5tupleIJNSA_6TensorESF_SF_EERKSF_lbbbEUlllE_EE10hipError_tT0_T1_T2_jT3_P12ihipStream_tbPNSt15iterator_traitsISL_E10value_typeEPNSR_ISM_E10value_typeEPSN_NS1_7vsmem_tEENKUlT_SL_SM_SN_E_clIS8_S8_S9_S9_EESK_S10_SL_SM_SN_EUlS10_E_NS1_11comp_targetILNS1_3genE8ELNS1_11target_archE1030ELNS1_3gpuE2ELNS1_3repE0EEENS1_48merge_mergepath_partition_config_static_selectorELNS0_4arch9wavefront6targetE0EEEvSM_,"axG",@progbits,_ZN7rocprim17ROCPRIM_400000_NS6detail17trampoline_kernelINS0_14default_configENS1_38merge_sort_block_merge_config_selectorIlNS0_10empty_typeEEEZZNS1_27merge_sort_block_merge_implIS3_PlPS5_mZN2at6native12_GLOBAL__N_124unique_dim_cuda_templateIiEESt5tupleIJNSA_6TensorESF_SF_EERKSF_lbbbEUlllE_EE10hipError_tT0_T1_T2_jT3_P12ihipStream_tbPNSt15iterator_traitsISL_E10value_typeEPNSR_ISM_E10value_typeEPSN_NS1_7vsmem_tEENKUlT_SL_SM_SN_E_clIS8_S8_S9_S9_EESK_S10_SL_SM_SN_EUlS10_E_NS1_11comp_targetILNS1_3genE8ELNS1_11target_archE1030ELNS1_3gpuE2ELNS1_3repE0EEENS1_48merge_mergepath_partition_config_static_selectorELNS0_4arch9wavefront6targetE0EEEvSM_,comdat
.Lfunc_end399:
	.size	_ZN7rocprim17ROCPRIM_400000_NS6detail17trampoline_kernelINS0_14default_configENS1_38merge_sort_block_merge_config_selectorIlNS0_10empty_typeEEEZZNS1_27merge_sort_block_merge_implIS3_PlPS5_mZN2at6native12_GLOBAL__N_124unique_dim_cuda_templateIiEESt5tupleIJNSA_6TensorESF_SF_EERKSF_lbbbEUlllE_EE10hipError_tT0_T1_T2_jT3_P12ihipStream_tbPNSt15iterator_traitsISL_E10value_typeEPNSR_ISM_E10value_typeEPSN_NS1_7vsmem_tEENKUlT_SL_SM_SN_E_clIS8_S8_S9_S9_EESK_S10_SL_SM_SN_EUlS10_E_NS1_11comp_targetILNS1_3genE8ELNS1_11target_archE1030ELNS1_3gpuE2ELNS1_3repE0EEENS1_48merge_mergepath_partition_config_static_selectorELNS0_4arch9wavefront6targetE0EEEvSM_, .Lfunc_end399-_ZN7rocprim17ROCPRIM_400000_NS6detail17trampoline_kernelINS0_14default_configENS1_38merge_sort_block_merge_config_selectorIlNS0_10empty_typeEEEZZNS1_27merge_sort_block_merge_implIS3_PlPS5_mZN2at6native12_GLOBAL__N_124unique_dim_cuda_templateIiEESt5tupleIJNSA_6TensorESF_SF_EERKSF_lbbbEUlllE_EE10hipError_tT0_T1_T2_jT3_P12ihipStream_tbPNSt15iterator_traitsISL_E10value_typeEPNSR_ISM_E10value_typeEPSN_NS1_7vsmem_tEENKUlT_SL_SM_SN_E_clIS8_S8_S9_S9_EESK_S10_SL_SM_SN_EUlS10_E_NS1_11comp_targetILNS1_3genE8ELNS1_11target_archE1030ELNS1_3gpuE2ELNS1_3repE0EEENS1_48merge_mergepath_partition_config_static_selectorELNS0_4arch9wavefront6targetE0EEEvSM_
                                        ; -- End function
	.set _ZN7rocprim17ROCPRIM_400000_NS6detail17trampoline_kernelINS0_14default_configENS1_38merge_sort_block_merge_config_selectorIlNS0_10empty_typeEEEZZNS1_27merge_sort_block_merge_implIS3_PlPS5_mZN2at6native12_GLOBAL__N_124unique_dim_cuda_templateIiEESt5tupleIJNSA_6TensorESF_SF_EERKSF_lbbbEUlllE_EE10hipError_tT0_T1_T2_jT3_P12ihipStream_tbPNSt15iterator_traitsISL_E10value_typeEPNSR_ISM_E10value_typeEPSN_NS1_7vsmem_tEENKUlT_SL_SM_SN_E_clIS8_S8_S9_S9_EESK_S10_SL_SM_SN_EUlS10_E_NS1_11comp_targetILNS1_3genE8ELNS1_11target_archE1030ELNS1_3gpuE2ELNS1_3repE0EEENS1_48merge_mergepath_partition_config_static_selectorELNS0_4arch9wavefront6targetE0EEEvSM_.num_vgpr, 0
	.set _ZN7rocprim17ROCPRIM_400000_NS6detail17trampoline_kernelINS0_14default_configENS1_38merge_sort_block_merge_config_selectorIlNS0_10empty_typeEEEZZNS1_27merge_sort_block_merge_implIS3_PlPS5_mZN2at6native12_GLOBAL__N_124unique_dim_cuda_templateIiEESt5tupleIJNSA_6TensorESF_SF_EERKSF_lbbbEUlllE_EE10hipError_tT0_T1_T2_jT3_P12ihipStream_tbPNSt15iterator_traitsISL_E10value_typeEPNSR_ISM_E10value_typeEPSN_NS1_7vsmem_tEENKUlT_SL_SM_SN_E_clIS8_S8_S9_S9_EESK_S10_SL_SM_SN_EUlS10_E_NS1_11comp_targetILNS1_3genE8ELNS1_11target_archE1030ELNS1_3gpuE2ELNS1_3repE0EEENS1_48merge_mergepath_partition_config_static_selectorELNS0_4arch9wavefront6targetE0EEEvSM_.num_agpr, 0
	.set _ZN7rocprim17ROCPRIM_400000_NS6detail17trampoline_kernelINS0_14default_configENS1_38merge_sort_block_merge_config_selectorIlNS0_10empty_typeEEEZZNS1_27merge_sort_block_merge_implIS3_PlPS5_mZN2at6native12_GLOBAL__N_124unique_dim_cuda_templateIiEESt5tupleIJNSA_6TensorESF_SF_EERKSF_lbbbEUlllE_EE10hipError_tT0_T1_T2_jT3_P12ihipStream_tbPNSt15iterator_traitsISL_E10value_typeEPNSR_ISM_E10value_typeEPSN_NS1_7vsmem_tEENKUlT_SL_SM_SN_E_clIS8_S8_S9_S9_EESK_S10_SL_SM_SN_EUlS10_E_NS1_11comp_targetILNS1_3genE8ELNS1_11target_archE1030ELNS1_3gpuE2ELNS1_3repE0EEENS1_48merge_mergepath_partition_config_static_selectorELNS0_4arch9wavefront6targetE0EEEvSM_.numbered_sgpr, 0
	.set _ZN7rocprim17ROCPRIM_400000_NS6detail17trampoline_kernelINS0_14default_configENS1_38merge_sort_block_merge_config_selectorIlNS0_10empty_typeEEEZZNS1_27merge_sort_block_merge_implIS3_PlPS5_mZN2at6native12_GLOBAL__N_124unique_dim_cuda_templateIiEESt5tupleIJNSA_6TensorESF_SF_EERKSF_lbbbEUlllE_EE10hipError_tT0_T1_T2_jT3_P12ihipStream_tbPNSt15iterator_traitsISL_E10value_typeEPNSR_ISM_E10value_typeEPSN_NS1_7vsmem_tEENKUlT_SL_SM_SN_E_clIS8_S8_S9_S9_EESK_S10_SL_SM_SN_EUlS10_E_NS1_11comp_targetILNS1_3genE8ELNS1_11target_archE1030ELNS1_3gpuE2ELNS1_3repE0EEENS1_48merge_mergepath_partition_config_static_selectorELNS0_4arch9wavefront6targetE0EEEvSM_.num_named_barrier, 0
	.set _ZN7rocprim17ROCPRIM_400000_NS6detail17trampoline_kernelINS0_14default_configENS1_38merge_sort_block_merge_config_selectorIlNS0_10empty_typeEEEZZNS1_27merge_sort_block_merge_implIS3_PlPS5_mZN2at6native12_GLOBAL__N_124unique_dim_cuda_templateIiEESt5tupleIJNSA_6TensorESF_SF_EERKSF_lbbbEUlllE_EE10hipError_tT0_T1_T2_jT3_P12ihipStream_tbPNSt15iterator_traitsISL_E10value_typeEPNSR_ISM_E10value_typeEPSN_NS1_7vsmem_tEENKUlT_SL_SM_SN_E_clIS8_S8_S9_S9_EESK_S10_SL_SM_SN_EUlS10_E_NS1_11comp_targetILNS1_3genE8ELNS1_11target_archE1030ELNS1_3gpuE2ELNS1_3repE0EEENS1_48merge_mergepath_partition_config_static_selectorELNS0_4arch9wavefront6targetE0EEEvSM_.private_seg_size, 0
	.set _ZN7rocprim17ROCPRIM_400000_NS6detail17trampoline_kernelINS0_14default_configENS1_38merge_sort_block_merge_config_selectorIlNS0_10empty_typeEEEZZNS1_27merge_sort_block_merge_implIS3_PlPS5_mZN2at6native12_GLOBAL__N_124unique_dim_cuda_templateIiEESt5tupleIJNSA_6TensorESF_SF_EERKSF_lbbbEUlllE_EE10hipError_tT0_T1_T2_jT3_P12ihipStream_tbPNSt15iterator_traitsISL_E10value_typeEPNSR_ISM_E10value_typeEPSN_NS1_7vsmem_tEENKUlT_SL_SM_SN_E_clIS8_S8_S9_S9_EESK_S10_SL_SM_SN_EUlS10_E_NS1_11comp_targetILNS1_3genE8ELNS1_11target_archE1030ELNS1_3gpuE2ELNS1_3repE0EEENS1_48merge_mergepath_partition_config_static_selectorELNS0_4arch9wavefront6targetE0EEEvSM_.uses_vcc, 0
	.set _ZN7rocprim17ROCPRIM_400000_NS6detail17trampoline_kernelINS0_14default_configENS1_38merge_sort_block_merge_config_selectorIlNS0_10empty_typeEEEZZNS1_27merge_sort_block_merge_implIS3_PlPS5_mZN2at6native12_GLOBAL__N_124unique_dim_cuda_templateIiEESt5tupleIJNSA_6TensorESF_SF_EERKSF_lbbbEUlllE_EE10hipError_tT0_T1_T2_jT3_P12ihipStream_tbPNSt15iterator_traitsISL_E10value_typeEPNSR_ISM_E10value_typeEPSN_NS1_7vsmem_tEENKUlT_SL_SM_SN_E_clIS8_S8_S9_S9_EESK_S10_SL_SM_SN_EUlS10_E_NS1_11comp_targetILNS1_3genE8ELNS1_11target_archE1030ELNS1_3gpuE2ELNS1_3repE0EEENS1_48merge_mergepath_partition_config_static_selectorELNS0_4arch9wavefront6targetE0EEEvSM_.uses_flat_scratch, 0
	.set _ZN7rocprim17ROCPRIM_400000_NS6detail17trampoline_kernelINS0_14default_configENS1_38merge_sort_block_merge_config_selectorIlNS0_10empty_typeEEEZZNS1_27merge_sort_block_merge_implIS3_PlPS5_mZN2at6native12_GLOBAL__N_124unique_dim_cuda_templateIiEESt5tupleIJNSA_6TensorESF_SF_EERKSF_lbbbEUlllE_EE10hipError_tT0_T1_T2_jT3_P12ihipStream_tbPNSt15iterator_traitsISL_E10value_typeEPNSR_ISM_E10value_typeEPSN_NS1_7vsmem_tEENKUlT_SL_SM_SN_E_clIS8_S8_S9_S9_EESK_S10_SL_SM_SN_EUlS10_E_NS1_11comp_targetILNS1_3genE8ELNS1_11target_archE1030ELNS1_3gpuE2ELNS1_3repE0EEENS1_48merge_mergepath_partition_config_static_selectorELNS0_4arch9wavefront6targetE0EEEvSM_.has_dyn_sized_stack, 0
	.set _ZN7rocprim17ROCPRIM_400000_NS6detail17trampoline_kernelINS0_14default_configENS1_38merge_sort_block_merge_config_selectorIlNS0_10empty_typeEEEZZNS1_27merge_sort_block_merge_implIS3_PlPS5_mZN2at6native12_GLOBAL__N_124unique_dim_cuda_templateIiEESt5tupleIJNSA_6TensorESF_SF_EERKSF_lbbbEUlllE_EE10hipError_tT0_T1_T2_jT3_P12ihipStream_tbPNSt15iterator_traitsISL_E10value_typeEPNSR_ISM_E10value_typeEPSN_NS1_7vsmem_tEENKUlT_SL_SM_SN_E_clIS8_S8_S9_S9_EESK_S10_SL_SM_SN_EUlS10_E_NS1_11comp_targetILNS1_3genE8ELNS1_11target_archE1030ELNS1_3gpuE2ELNS1_3repE0EEENS1_48merge_mergepath_partition_config_static_selectorELNS0_4arch9wavefront6targetE0EEEvSM_.has_recursion, 0
	.set _ZN7rocprim17ROCPRIM_400000_NS6detail17trampoline_kernelINS0_14default_configENS1_38merge_sort_block_merge_config_selectorIlNS0_10empty_typeEEEZZNS1_27merge_sort_block_merge_implIS3_PlPS5_mZN2at6native12_GLOBAL__N_124unique_dim_cuda_templateIiEESt5tupleIJNSA_6TensorESF_SF_EERKSF_lbbbEUlllE_EE10hipError_tT0_T1_T2_jT3_P12ihipStream_tbPNSt15iterator_traitsISL_E10value_typeEPNSR_ISM_E10value_typeEPSN_NS1_7vsmem_tEENKUlT_SL_SM_SN_E_clIS8_S8_S9_S9_EESK_S10_SL_SM_SN_EUlS10_E_NS1_11comp_targetILNS1_3genE8ELNS1_11target_archE1030ELNS1_3gpuE2ELNS1_3repE0EEENS1_48merge_mergepath_partition_config_static_selectorELNS0_4arch9wavefront6targetE0EEEvSM_.has_indirect_call, 0
	.section	.AMDGPU.csdata,"",@progbits
; Kernel info:
; codeLenInByte = 0
; TotalNumSgprs: 0
; NumVgprs: 0
; ScratchSize: 0
; MemoryBound: 0
; FloatMode: 240
; IeeeMode: 1
; LDSByteSize: 0 bytes/workgroup (compile time only)
; SGPRBlocks: 0
; VGPRBlocks: 0
; NumSGPRsForWavesPerEU: 1
; NumVGPRsForWavesPerEU: 1
; NamedBarCnt: 0
; Occupancy: 16
; WaveLimiterHint : 0
; COMPUTE_PGM_RSRC2:SCRATCH_EN: 0
; COMPUTE_PGM_RSRC2:USER_SGPR: 2
; COMPUTE_PGM_RSRC2:TRAP_HANDLER: 0
; COMPUTE_PGM_RSRC2:TGID_X_EN: 1
; COMPUTE_PGM_RSRC2:TGID_Y_EN: 0
; COMPUTE_PGM_RSRC2:TGID_Z_EN: 0
; COMPUTE_PGM_RSRC2:TIDIG_COMP_CNT: 0
	.section	.text._ZN7rocprim17ROCPRIM_400000_NS6detail17trampoline_kernelINS0_14default_configENS1_38merge_sort_block_merge_config_selectorIlNS0_10empty_typeEEEZZNS1_27merge_sort_block_merge_implIS3_PlPS5_mZN2at6native12_GLOBAL__N_124unique_dim_cuda_templateIiEESt5tupleIJNSA_6TensorESF_SF_EERKSF_lbbbEUlllE_EE10hipError_tT0_T1_T2_jT3_P12ihipStream_tbPNSt15iterator_traitsISL_E10value_typeEPNSR_ISM_E10value_typeEPSN_NS1_7vsmem_tEENKUlT_SL_SM_SN_E_clIS8_S8_S9_S9_EESK_S10_SL_SM_SN_EUlS10_E0_NS1_11comp_targetILNS1_3genE0ELNS1_11target_archE4294967295ELNS1_3gpuE0ELNS1_3repE0EEENS1_38merge_mergepath_config_static_selectorELNS0_4arch9wavefront6targetE0EEEvSM_,"axG",@progbits,_ZN7rocprim17ROCPRIM_400000_NS6detail17trampoline_kernelINS0_14default_configENS1_38merge_sort_block_merge_config_selectorIlNS0_10empty_typeEEEZZNS1_27merge_sort_block_merge_implIS3_PlPS5_mZN2at6native12_GLOBAL__N_124unique_dim_cuda_templateIiEESt5tupleIJNSA_6TensorESF_SF_EERKSF_lbbbEUlllE_EE10hipError_tT0_T1_T2_jT3_P12ihipStream_tbPNSt15iterator_traitsISL_E10value_typeEPNSR_ISM_E10value_typeEPSN_NS1_7vsmem_tEENKUlT_SL_SM_SN_E_clIS8_S8_S9_S9_EESK_S10_SL_SM_SN_EUlS10_E0_NS1_11comp_targetILNS1_3genE0ELNS1_11target_archE4294967295ELNS1_3gpuE0ELNS1_3repE0EEENS1_38merge_mergepath_config_static_selectorELNS0_4arch9wavefront6targetE0EEEvSM_,comdat
	.globl	_ZN7rocprim17ROCPRIM_400000_NS6detail17trampoline_kernelINS0_14default_configENS1_38merge_sort_block_merge_config_selectorIlNS0_10empty_typeEEEZZNS1_27merge_sort_block_merge_implIS3_PlPS5_mZN2at6native12_GLOBAL__N_124unique_dim_cuda_templateIiEESt5tupleIJNSA_6TensorESF_SF_EERKSF_lbbbEUlllE_EE10hipError_tT0_T1_T2_jT3_P12ihipStream_tbPNSt15iterator_traitsISL_E10value_typeEPNSR_ISM_E10value_typeEPSN_NS1_7vsmem_tEENKUlT_SL_SM_SN_E_clIS8_S8_S9_S9_EESK_S10_SL_SM_SN_EUlS10_E0_NS1_11comp_targetILNS1_3genE0ELNS1_11target_archE4294967295ELNS1_3gpuE0ELNS1_3repE0EEENS1_38merge_mergepath_config_static_selectorELNS0_4arch9wavefront6targetE0EEEvSM_ ; -- Begin function _ZN7rocprim17ROCPRIM_400000_NS6detail17trampoline_kernelINS0_14default_configENS1_38merge_sort_block_merge_config_selectorIlNS0_10empty_typeEEEZZNS1_27merge_sort_block_merge_implIS3_PlPS5_mZN2at6native12_GLOBAL__N_124unique_dim_cuda_templateIiEESt5tupleIJNSA_6TensorESF_SF_EERKSF_lbbbEUlllE_EE10hipError_tT0_T1_T2_jT3_P12ihipStream_tbPNSt15iterator_traitsISL_E10value_typeEPNSR_ISM_E10value_typeEPSN_NS1_7vsmem_tEENKUlT_SL_SM_SN_E_clIS8_S8_S9_S9_EESK_S10_SL_SM_SN_EUlS10_E0_NS1_11comp_targetILNS1_3genE0ELNS1_11target_archE4294967295ELNS1_3gpuE0ELNS1_3repE0EEENS1_38merge_mergepath_config_static_selectorELNS0_4arch9wavefront6targetE0EEEvSM_
	.p2align	8
	.type	_ZN7rocprim17ROCPRIM_400000_NS6detail17trampoline_kernelINS0_14default_configENS1_38merge_sort_block_merge_config_selectorIlNS0_10empty_typeEEEZZNS1_27merge_sort_block_merge_implIS3_PlPS5_mZN2at6native12_GLOBAL__N_124unique_dim_cuda_templateIiEESt5tupleIJNSA_6TensorESF_SF_EERKSF_lbbbEUlllE_EE10hipError_tT0_T1_T2_jT3_P12ihipStream_tbPNSt15iterator_traitsISL_E10value_typeEPNSR_ISM_E10value_typeEPSN_NS1_7vsmem_tEENKUlT_SL_SM_SN_E_clIS8_S8_S9_S9_EESK_S10_SL_SM_SN_EUlS10_E0_NS1_11comp_targetILNS1_3genE0ELNS1_11target_archE4294967295ELNS1_3gpuE0ELNS1_3repE0EEENS1_38merge_mergepath_config_static_selectorELNS0_4arch9wavefront6targetE0EEEvSM_,@function
_ZN7rocprim17ROCPRIM_400000_NS6detail17trampoline_kernelINS0_14default_configENS1_38merge_sort_block_merge_config_selectorIlNS0_10empty_typeEEEZZNS1_27merge_sort_block_merge_implIS3_PlPS5_mZN2at6native12_GLOBAL__N_124unique_dim_cuda_templateIiEESt5tupleIJNSA_6TensorESF_SF_EERKSF_lbbbEUlllE_EE10hipError_tT0_T1_T2_jT3_P12ihipStream_tbPNSt15iterator_traitsISL_E10value_typeEPNSR_ISM_E10value_typeEPSN_NS1_7vsmem_tEENKUlT_SL_SM_SN_E_clIS8_S8_S9_S9_EESK_S10_SL_SM_SN_EUlS10_E0_NS1_11comp_targetILNS1_3genE0ELNS1_11target_archE4294967295ELNS1_3gpuE0ELNS1_3repE0EEENS1_38merge_mergepath_config_static_selectorELNS0_4arch9wavefront6targetE0EEEvSM_: ; @_ZN7rocprim17ROCPRIM_400000_NS6detail17trampoline_kernelINS0_14default_configENS1_38merge_sort_block_merge_config_selectorIlNS0_10empty_typeEEEZZNS1_27merge_sort_block_merge_implIS3_PlPS5_mZN2at6native12_GLOBAL__N_124unique_dim_cuda_templateIiEESt5tupleIJNSA_6TensorESF_SF_EERKSF_lbbbEUlllE_EE10hipError_tT0_T1_T2_jT3_P12ihipStream_tbPNSt15iterator_traitsISL_E10value_typeEPNSR_ISM_E10value_typeEPSN_NS1_7vsmem_tEENKUlT_SL_SM_SN_E_clIS8_S8_S9_S9_EESK_S10_SL_SM_SN_EUlS10_E0_NS1_11comp_targetILNS1_3genE0ELNS1_11target_archE4294967295ELNS1_3gpuE0ELNS1_3repE0EEENS1_38merge_mergepath_config_static_selectorELNS0_4arch9wavefront6targetE0EEEvSM_
; %bb.0:
	s_bfe_u32 s2, ttmp6, 0x40010
	s_and_b32 s4, ttmp7, 0xffff
	s_add_co_i32 s5, s2, 1
	s_clause 0x1
	s_load_b32 s6, s[0:1], 0x38
	s_load_b64 s[2:3], s[0:1], 0x58
	s_bfe_u32 s8, ttmp6, 0x4000c
	s_mul_i32 s5, s4, s5
	s_bfe_u32 s7, ttmp6, 0x40004
	s_add_co_i32 s8, s8, 1
	s_bfe_u32 s9, ttmp6, 0x40014
	s_add_co_i32 s7, s7, s5
	s_and_b32 s5, ttmp6, 15
	s_mul_i32 s8, ttmp9, s8
	s_lshr_b32 s10, ttmp7, 16
	s_add_co_i32 s9, s9, 1
	s_add_co_i32 s5, s5, s8
	s_mul_i32 s8, s10, s9
	s_bfe_u32 s9, ttmp6, 0x40008
	s_getreg_b32 s11, hwreg(HW_REG_IB_STS2, 6, 4)
	s_add_co_i32 s9, s9, s8
	s_cmp_eq_u32 s11, 0
	s_mov_b32 s19, 0
	s_cselect_b32 s8, s10, s9
	s_cselect_b32 s4, s4, s7
	s_wait_kmcnt 0x0
	s_mul_i32 s8, s3, s8
	s_cselect_b32 s3, ttmp9, s5
	s_add_co_i32 s4, s8, s4
	s_delay_alu instid0(SALU_CYCLE_1) | instskip(NEXT) | instid1(SALU_CYCLE_1)
	s_mul_i32 s4, s4, s2
	s_add_co_i32 s18, s4, s3
	s_delay_alu instid0(SALU_CYCLE_1)
	s_cmp_ge_u32 s18, s6
	s_cbranch_scc1 .LBB400_139
; %bb.1:
	s_clause 0x1
	s_load_b64 s[4:5], s[0:1], 0x50
	s_load_b128 s[8:11], s[0:1], 0x28
	s_lshl_b64 s[6:7], s[18:19], 3
	s_mov_b32 s23, s19
	s_add_nc_u64 s[20:21], s[0:1], 0x58
	s_wait_kmcnt 0x0
	s_add_nc_u64 s[16:17], s[4:5], s[6:7]
	s_load_b128 s[12:15], s[16:17], 0x0
	s_load_b128 s[4:7], s[0:1], 0x8
	s_wait_xcnt 0x0
	s_lshr_b64 s[16:17], s[10:11], 9
	s_delay_alu instid0(SALU_CYCLE_1) | instskip(NEXT) | instid1(SALU_CYCLE_1)
	s_and_b32 s16, s16, -2
	s_sub_co_i32 s30, 0, s16
	s_lshl_b64 s[16:17], s[18:19], 10
	s_and_b32 s22, s18, s30
	s_or_b32 s30, s18, s30
	s_lshl_b64 s[24:25], s[22:23], 10
	s_lshl_b64 s[22:23], s[22:23], 11
	s_sub_nc_u64 s[28:29], s[16:17], s[24:25]
	s_add_nc_u64 s[26:27], s[22:23], s[10:11]
	s_cmp_lg_u32 s30, -1
	s_add_nc_u64 s[22:23], s[26:27], s[28:29]
	s_mov_b32 s28, -1
	s_cbranch_scc0 .LBB400_3
; %bb.2:
	s_wait_kmcnt 0x0
	s_sub_nc_u64 s[10:11], s[22:23], s[14:15]
	v_mov_b64_e32 v[2:3], s[14:15]
	s_add_nc_u64 s[10:11], s[10:11], 0x400
	s_branch .LBB400_4
.LBB400_3:
	s_wait_kmcnt 0x0
	s_sub_nc_u64 s[14:15], s[26:27], s[24:25]
	s_delay_alu instid0(SALU_CYCLE_1)
	v_min_u64 v[2:3], s[8:9], s[14:15]
	s_add_nc_u64 s[10:11], s[14:15], s[10:11]
.LBB400_4:
	v_mov_b32_e32 v21, 0
	v_min_u64 v[4:5], s[8:9], s[10:11]
	s_sub_nc_u64 s[10:11], s[22:23], s[12:13]
	v_lshlrev_b32_e32 v20, 3, v0
	v_min_u64 v[6:7], s[8:9], s[10:11]
	global_load_b32 v1, v21, s[20:21] offset:14
	s_lshr_b64 s[10:11], s[8:9], 10
	s_delay_alu instid0(SALU_CYCLE_1)
	s_cmp_lg_u64 s[10:11], s[18:19]
	s_cselect_b32 s9, -1, 0
	s_lshl_b64 s[14:15], s[12:13], 3
	s_cmp_lt_u32 s3, s2
	s_mov_b32 s3, 0
	s_cselect_b32 s2, 12, 18
	s_cmp_eq_u64 s[10:11], s[18:19]
	s_add_nc_u64 s[2:3], s[20:21], s[2:3]
	s_add_nc_u64 s[10:11], s[4:5], s[14:15]
	s_load_u16 s2, s[2:3], 0x0
	v_lshlrev_b64_e32 v[8:9], 3, v[6:7]
	v_sub_nc_u32_e32 v24, v4, v6
	s_delay_alu instid0(VALU_DEP_2) | instskip(SKIP_3) | instid1(VALU_DEP_1)
	v_add_nc_u64_e32 v[22:23], s[4:5], v[8:9]
	s_wait_loadcnt 0x0
	v_lshrrev_b32_e32 v3, 16, v1
	v_and_b32_e32 v1, 0xffff, v1
	v_mul_lo_u32 v1, v1, v3
	s_wait_kmcnt 0x0
	s_delay_alu instid0(VALU_DEP_1)
	v_mul_lo_u32 v25, v1, s2
	v_subrev_nc_u32_e32 v1, s12, v2
	s_cbranch_scc1 .LBB400_6
; %bb.5:
	s_delay_alu instid0(VALU_DEP_1) | instskip(SKIP_3) | instid1(VALU_DEP_3)
	v_sub_co_u32 v4, vcc_lo, v0, v1
	v_dual_mov_b32 v5, v21 :: v_dual_mov_b32 v7, v21
	v_add_nc_u64_e32 v[2:3], s[10:11], v[20:21]
	v_dual_mov_b32 v17, v21 :: v_dual_mov_b32 v19, v21
	v_lshl_add_u64 v[4:5], v[4:5], 3, v[22:23]
	v_add_nc_u32_e32 v6, v25, v0
	s_delay_alu instid0(VALU_DEP_2) | instskip(NEXT) | instid1(VALU_DEP_2)
	v_dual_add_nc_u32 v36, v1, v24 :: v_dual_cndmask_b32 v2, v4, v2, vcc_lo
	v_lshl_add_u64 v[8:9], v[6:7], 3, s[10:11]
	v_sub_co_u32 v10, s2, v6, v1
	v_dual_mov_b32 v11, v21 :: v_dual_add_nc_u32 v6, v6, v25
	v_cndmask_b32_e32 v3, v5, v3, vcc_lo
	s_delay_alu instid0(VALU_DEP_2) | instskip(NEXT) | instid1(VALU_DEP_3)
	v_lshl_add_u64 v[4:5], v[10:11], 3, v[22:23]
	v_lshl_add_u64 v[10:11], v[6:7], 3, s[10:11]
	v_sub_co_u32 v12, vcc_lo, v6, v1
	s_delay_alu instid0(VALU_DEP_3) | instskip(SKIP_3) | instid1(VALU_DEP_4)
	v_dual_mov_b32 v13, v21 :: v_dual_cndmask_b32 v4, v4, v8, s2
	v_add_nc_u32_e32 v6, v6, v25
	v_cndmask_b32_e64 v5, v5, v9, s2
	v_mov_b32_e32 v15, v21
	v_lshl_add_u64 v[8:9], v[12:13], 3, v[22:23]
	global_load_b64 v[2:3], v[2:3], off
	v_lshl_add_u64 v[12:13], v[6:7], 3, s[10:11]
	v_sub_co_u32 v14, s2, v6, v1
	v_dual_cndmask_b32 v9, v9, v11 :: v_dual_add_nc_u32 v6, v6, v25
	v_cndmask_b32_e32 v8, v8, v10, vcc_lo
	s_delay_alu instid0(VALU_DEP_3) | instskip(SKIP_4) | instid1(VALU_DEP_3)
	v_lshl_add_u64 v[10:11], v[14:15], 3, v[22:23]
	global_load_b64 v[4:5], v[4:5], off
	v_add_nc_u32_e32 v18, v6, v25
	v_sub_co_u32 v16, vcc_lo, v6, v1
	v_dual_cndmask_b32 v27, v11, v13, s2 :: v_dual_cndmask_b32 v26, v10, v12, s2
	v_dual_mov_b32 v13, v21 :: v_dual_add_nc_u32 v12, v18, v25
	v_lshl_add_u64 v[14:15], v[6:7], 3, s[10:11]
	global_load_b64 v[6:7], v[8:9], off
	s_wait_xcnt 0x0
	v_lshl_add_u64 v[8:9], v[16:17], 3, v[22:23]
	v_lshl_add_u64 v[10:11], v[18:19], 3, s[10:11]
	v_sub_co_u32 v16, s2, v18, v1
	s_delay_alu instid0(VALU_DEP_3) | instskip(SKIP_2) | instid1(VALU_DEP_3)
	v_dual_cndmask_b32 v33, v9, v15 :: v_dual_add_nc_u32 v18, v12, v25
	v_lshl_add_u64 v[28:29], v[12:13], 3, s[10:11]
	v_sub_co_u32 v12, s3, v12, v1
	v_lshl_add_u64 v[30:31], v[18:19], 3, s[10:11]
	v_sub_co_u32 v18, s4, v18, v1
	v_lshl_add_u64 v[16:17], v[16:17], 3, v[22:23]
	s_delay_alu instid0(VALU_DEP_4) | instskip(SKIP_1) | instid1(VALU_DEP_4)
	v_lshl_add_u64 v[12:13], v[12:13], 3, v[22:23]
	v_cndmask_b32_e32 v32, v8, v14, vcc_lo
	v_lshl_add_u64 v[8:9], v[18:19], 3, v[22:23]
	s_delay_alu instid0(VALU_DEP_4) | instskip(NEXT) | instid1(VALU_DEP_4)
	v_dual_cndmask_b32 v19, v17, v11, s2 :: v_dual_cndmask_b32 v18, v16, v10, s2
	v_dual_cndmask_b32 v29, v13, v29, s3 :: v_dual_cndmask_b32 v28, v12, v28, s3
	s_delay_alu instid0(VALU_DEP_3)
	v_dual_cndmask_b32 v31, v9, v31, s4 :: v_dual_cndmask_b32 v30, v8, v30, s4
	global_load_b64 v[8:9], v[26:27], off
	global_load_b64 v[10:11], v[32:33], off
	global_load_b64 v[12:13], v[18:19], off
	global_load_b64 v[14:15], v[28:29], off
	global_load_b64 v[16:17], v[30:31], off
	s_cbranch_execz .LBB400_7
	s_branch .LBB400_24
.LBB400_6:
                                        ; implicit-def: $vgpr2_vgpr3_vgpr4_vgpr5_vgpr6_vgpr7_vgpr8_vgpr9_vgpr10_vgpr11_vgpr12_vgpr13_vgpr14_vgpr15_vgpr16_vgpr17
                                        ; implicit-def: $vgpr36
	s_and_not1_b32 vcc_lo, exec_lo, s28
	s_cbranch_vccnz .LBB400_24
.LBB400_7:
	s_wait_loadcnt 0x7
	v_dual_add_nc_u32 v36, v1, v24 :: v_dual_mov_b32 v2, 0
	s_mov_b32 s2, exec_lo
	s_wait_loadcnt 0x6
	s_delay_alu instid0(VALU_DEP_1)
	v_dual_mov_b32 v3, v2 :: v_dual_mov_b32 v4, v2
	s_wait_loadcnt 0x5
	v_dual_mov_b32 v5, v2 :: v_dual_mov_b32 v6, v2
	s_wait_loadcnt 0x4
	;; [unrolled: 2-line block ×6, first 2 shown]
	v_dual_mov_b32 v15, v2 :: v_dual_mov_b32 v16, v2
	v_mov_b32_e32 v17, v2
	v_cmpx_lt_u32_e64 v0, v36
	s_cbranch_execz .LBB400_9
; %bb.8:
	v_dual_mov_b32 v21, v2 :: v_dual_mov_b32 v5, v2
	v_sub_co_u32 v4, vcc_lo, v0, v1
	v_dual_mov_b32 v18, v2 :: v_dual_mov_b32 v19, v2
	s_delay_alu instid0(VALU_DEP_3) | instskip(NEXT) | instid1(VALU_DEP_3)
	v_add_nc_u64_e32 v[6:7], s[10:11], v[20:21]
	v_lshl_add_u64 v[4:5], v[4:5], 3, v[22:23]
	v_dual_mov_b32 v8, v2 :: v_dual_mov_b32 v9, v2
	v_dual_mov_b32 v10, v2 :: v_dual_mov_b32 v11, v2
	;; [unrolled: 1-line block ×3, first 2 shown]
	s_delay_alu instid0(VALU_DEP_4)
	v_dual_cndmask_b32 v5, v5, v7 :: v_dual_cndmask_b32 v4, v4, v6
	v_dual_mov_b32 v6, v2 :: v_dual_mov_b32 v7, v2
	v_dual_mov_b32 v14, v2 :: v_dual_mov_b32 v15, v2
	global_load_b64 v[4:5], v[4:5], off
	v_dual_mov_b32 v16, v2 :: v_dual_mov_b32 v17, v2
	s_wait_loadcnt 0x0
	v_mov_b64_e32 v[2:3], v[4:5]
	v_mov_b64_e32 v[4:5], v[6:7]
	;; [unrolled: 1-line block ×8, first 2 shown]
.LBB400_9:
	s_or_b32 exec_lo, exec_lo, s2
	v_add_nc_u32_e32 v18, v25, v0
	s_mov_b32 s2, exec_lo
	s_delay_alu instid0(VALU_DEP_1)
	v_cmpx_lt_u32_e64 v18, v36
	s_cbranch_execz .LBB400_11
; %bb.10:
	v_sub_co_u32 v26, vcc_lo, v18, v1
	v_mov_b32_e32 v19, 0
	s_delay_alu instid0(VALU_DEP_1) | instskip(SKIP_1) | instid1(VALU_DEP_1)
	v_lshl_add_u64 v[4:5], v[18:19], 3, s[10:11]
	v_mov_b32_e32 v27, v19
	v_lshl_add_u64 v[26:27], v[26:27], 3, v[22:23]
	s_delay_alu instid0(VALU_DEP_1)
	v_dual_cndmask_b32 v5, v27, v5 :: v_dual_cndmask_b32 v4, v26, v4
	global_load_b64 v[4:5], v[4:5], off
.LBB400_11:
	s_wait_xcnt 0x0
	s_or_b32 exec_lo, exec_lo, s2
	v_add_nc_u32_e32 v18, v18, v25
	s_mov_b32 s2, exec_lo
	s_delay_alu instid0(VALU_DEP_1)
	v_cmpx_lt_u32_e64 v18, v36
	s_cbranch_execz .LBB400_13
; %bb.12:
	v_sub_co_u32 v26, vcc_lo, v18, v1
	v_mov_b32_e32 v19, 0
	s_delay_alu instid0(VALU_DEP_1) | instskip(SKIP_1) | instid1(VALU_DEP_1)
	v_lshl_add_u64 v[6:7], v[18:19], 3, s[10:11]
	v_mov_b32_e32 v27, v19
	v_lshl_add_u64 v[26:27], v[26:27], 3, v[22:23]
	s_delay_alu instid0(VALU_DEP_1)
	v_dual_cndmask_b32 v7, v27, v7 :: v_dual_cndmask_b32 v6, v26, v6
	global_load_b64 v[6:7], v[6:7], off
.LBB400_13:
	s_wait_xcnt 0x0
	;; [unrolled: 18-line block ×6, first 2 shown]
	s_or_b32 exec_lo, exec_lo, s2
	v_add_nc_u32_e32 v18, v18, v25
	s_mov_b32 s2, exec_lo
	s_delay_alu instid0(VALU_DEP_1)
	v_cmpx_lt_u32_e64 v18, v36
	s_cbranch_execz .LBB400_23
; %bb.22:
	v_mov_b32_e32 v19, 0
	s_delay_alu instid0(VALU_DEP_1) | instskip(SKIP_1) | instid1(VALU_DEP_1)
	v_lshl_add_u64 v[16:17], v[18:19], 3, s[10:11]
	v_sub_co_u32 v18, vcc_lo, v18, v1
	v_lshl_add_u64 v[18:19], v[18:19], 3, v[22:23]
	s_delay_alu instid0(VALU_DEP_1)
	v_dual_cndmask_b32 v17, v19, v17 :: v_dual_cndmask_b32 v16, v18, v16
	global_load_b64 v[16:17], v[16:17], off
.LBB400_23:
	s_wait_xcnt 0x0
	s_or_b32 exec_lo, exec_lo, s2
.LBB400_24:
	s_load_b128 s[12:15], s[0:1], 0x40
	v_min_u32_e32 v25, v36, v20
	s_wait_xcnt 0x0
	s_mov_b32 s1, exec_lo
	s_wait_loadcnt 0x0
	ds_store_2addr_stride64_b64 v20, v[2:3], v[4:5] offset1:2
	ds_store_2addr_stride64_b64 v20, v[6:7], v[8:9] offset0:4 offset1:6
	ds_store_2addr_stride64_b64 v20, v[10:11], v[12:13] offset0:8 offset1:10
	;; [unrolled: 1-line block ×3, first 2 shown]
	s_wait_dscnt 0x0
	s_barrier_signal -1
	v_sub_nc_u32_e64 v21, v25, v24 clamp
	v_min_u32_e32 v24, v25, v1
	s_barrier_wait -1
	s_delay_alu instid0(VALU_DEP_1)
	v_cmpx_lt_u32_e64 v21, v24
	s_cbranch_execz .LBB400_34
; %bb.25:
	v_lshlrev_b32_e32 v18, 3, v25
	s_wait_kmcnt 0x0
	v_cmp_gt_i64_e64 s10, s[12:13], 0
	s_lshl_b64 s[2:3], s[12:13], 2
	s_mov_b32 s11, 0
	v_lshl_add_u32 v26, v1, 3, v18
	s_branch .LBB400_28
.LBB400_26:                             ;   in Loop: Header=BB400_28 Depth=1
	s_or_b32 exec_lo, exec_lo, s19
.LBB400_27:                             ;   in Loop: Header=BB400_28 Depth=1
	s_delay_alu instid0(VALU_DEP_1) | instskip(NEXT) | instid1(VALU_DEP_1)
	v_dual_add_nc_u32 v18, 1, v27 :: v_dual_cndmask_b32 v24, v24, v27, s18
	v_cndmask_b32_e64 v21, v18, v21, s18
	s_delay_alu instid0(VALU_DEP_1) | instskip(SKIP_1) | instid1(SALU_CYCLE_1)
	v_cmp_ge_u32_e32 vcc_lo, v21, v24
	s_or_b32 s11, vcc_lo, s11
	s_and_not1_b32 exec_lo, exec_lo, s11
	s_cbranch_execz .LBB400_33
.LBB400_28:                             ; =>This Loop Header: Depth=1
                                        ;     Child Loop BB400_31 Depth 2
	v_add_nc_u32_e32 v18, v24, v21
	s_and_not1_b32 vcc_lo, exec_lo, s10
	s_mov_b32 s18, 0
	s_delay_alu instid0(VALU_DEP_1)
	v_lshrrev_b32_e32 v27, 1, v18
	s_cbranch_vccnz .LBB400_27
; %bb.29:                               ;   in Loop: Header=BB400_28 Depth=1
	s_delay_alu instid0(VALU_DEP_1) | instskip(SKIP_3) | instid1(VALU_DEP_2)
	v_not_b32_e32 v18, v27
	v_lshlrev_b32_e32 v19, 3, v27
	s_mov_b32 s19, 0
	s_mov_b64 s[4:5], s[12:13]
                                        ; implicit-def: $sgpr18
                                        ; implicit-def: $sgpr20
                                        ; implicit-def: $sgpr21
                                        ; implicit-def: $sgpr22
	v_lshl_add_u32 v18, v18, 3, v26
	ds_load_b64 v[28:29], v18
	ds_load_b64 v[30:31], v19
	s_wait_dscnt 0x1
	v_mad_nc_u64_u32 v[18:19], s2, v28, s[14:15]
	s_wait_dscnt 0x0
	v_mad_nc_u64_u32 v[22:23], s2, v30, s[14:15]
	s_delay_alu instid0(VALU_DEP_2) | instskip(NEXT) | instid1(VALU_DEP_2)
	v_mad_u32 v19, s3, v28, v19
	v_mad_u32 v23, s3, v30, v23
	s_delay_alu instid0(VALU_DEP_2) | instskip(NEXT) | instid1(VALU_DEP_2)
	v_mad_u32 v19, s2, v29, v19
	v_mad_u32 v23, s2, v31, v23
	s_branch .LBB400_31
.LBB400_30:                             ;   in Loop: Header=BB400_31 Depth=2
	s_or_b32 exec_lo, exec_lo, s23
	s_delay_alu instid0(SALU_CYCLE_1) | instskip(NEXT) | instid1(SALU_CYCLE_1)
	s_and_b32 s23, exec_lo, s20
	s_or_b32 s19, s23, s19
	s_and_not1_b32 s22, s22, exec_lo
	s_and_b32 s0, s0, exec_lo
	s_and_not1_b32 s18, s18, exec_lo
	s_and_b32 s23, s21, exec_lo
	s_or_b32 s22, s22, s0
	s_or_b32 s18, s18, s23
	s_and_not1_b32 exec_lo, exec_lo, s19
	s_cbranch_execz .LBB400_26
.LBB400_31:                             ;   Parent Loop BB400_28 Depth=1
                                        ; =>  This Inner Loop Header: Depth=2
	global_load_b32 v28, v[18:19], off
	global_load_b32 v29, v[22:23], off
	s_and_not1_b32 s21, s21, exec_lo
	s_or_b32 s20, s20, exec_lo
	s_wait_loadcnt 0x0
	v_cmp_le_i32_e32 vcc_lo, v28, v29
	v_cmp_lt_i32_e64 s0, v28, v29
	s_and_b32 s23, vcc_lo, s22
	s_delay_alu instid0(SALU_CYCLE_1) | instskip(NEXT) | instid1(SALU_CYCLE_1)
	s_or_b32 s0, s0, s23
	s_and_b32 s23, s0, exec_lo
	s_delay_alu instid0(SALU_CYCLE_1)
	s_or_b32 s21, s21, s23
	s_mov_b32 s23, exec_lo
	v_cmpx_eq_u32_e64 v28, v29
	s_cbranch_execz .LBB400_30
; %bb.32:                               ;   in Loop: Header=BB400_31 Depth=2
	s_add_nc_u64 s[4:5], s[4:5], -1
	v_add_nc_u64_e32 v[18:19], 4, v[18:19]
	s_cmp_eq_u64 s[4:5], 0
	v_add_nc_u64_e32 v[22:23], 4, v[22:23]
	s_cselect_b32 s22, -1, 0
	s_and_not1_b32 s20, s20, exec_lo
	s_and_b32 s22, s22, exec_lo
	s_and_not1_b32 s21, s21, exec_lo
	s_or_b32 s20, s20, s22
                                        ; implicit-def: $sgpr22
	s_branch .LBB400_30
.LBB400_33:
	s_or_b32 exec_lo, exec_lo, s11
.LBB400_34:
	s_delay_alu instid0(SALU_CYCLE_1) | instskip(SKIP_2) | instid1(VALU_DEP_2)
	s_or_b32 exec_lo, exec_lo, s1
	v_sub_nc_u32_e32 v18, v25, v21
	v_cmp_le_u32_e32 vcc_lo, v21, v1
	v_add_nc_u32_e32 v18, v18, v1
	s_delay_alu instid0(VALU_DEP_1) | instskip(SKIP_1) | instid1(SALU_CYCLE_1)
	v_cmp_le_u32_e64 s0, v18, v36
	s_or_b32 s0, vcc_lo, s0
	s_and_saveexec_b32 s1, s0
	s_cbranch_execz .LBB400_125
; %bb.35:
	s_mov_b32 s2, exec_lo
	v_cmp_ge_u32_e32 vcc_lo, v21, v1
                                        ; implicit-def: $vgpr2_vgpr3
	v_cmpx_lt_u32_e64 v21, v1
; %bb.36:
	v_lshlrev_b32_e32 v2, 3, v21
	ds_load_b64 v[2:3], v2
; %bb.37:
	s_or_b32 exec_lo, exec_lo, s2
	v_cmp_ge_u32_e64 s5, v18, v36
	s_mov_b32 s2, exec_lo
                                        ; implicit-def: $vgpr14_vgpr15
	v_cmpx_lt_u32_e64 v18, v36
; %bb.38:
	v_lshlrev_b32_e32 v4, 3, v18
	ds_load_b64 v[14:15], v4
; %bb.39:
	s_or_b32 exec_lo, exec_lo, s2
	s_wait_kmcnt 0x0
	v_cmp_gt_i64_e64 s4, s[12:13], 0
	s_nor_b32 s0, vcc_lo, s5
	s_delay_alu instid0(SALU_CYCLE_1)
	s_and_saveexec_b32 s10, s0
	s_cbranch_execz .LBB400_48
; %bb.40:
	s_and_not1_b32 vcc_lo, exec_lo, s4
	s_cbranch_vccnz .LBB400_46
; %bb.41:
	s_wait_dscnt 0x0
	v_mul_u64_e32 v[4:5], s[12:13], v[14:15]
	v_mul_u64_e32 v[6:7], s[12:13], v[2:3]
	s_mov_b32 s11, 0
	s_mov_b64 s[2:3], s[12:13]
                                        ; implicit-def: $sgpr18
                                        ; implicit-def: $sgpr19
                                        ; implicit-def: $sgpr20
                                        ; implicit-def: $sgpr21
	s_delay_alu instid0(VALU_DEP_2) | instskip(NEXT) | instid1(VALU_DEP_2)
	v_lshl_add_u64 v[4:5], v[4:5], 2, s[14:15]
	v_lshl_add_u64 v[6:7], v[6:7], 2, s[14:15]
	s_branch .LBB400_43
.LBB400_42:                             ;   in Loop: Header=BB400_43 Depth=1
	s_or_b32 exec_lo, exec_lo, s22
	s_delay_alu instid0(SALU_CYCLE_1) | instskip(NEXT) | instid1(SALU_CYCLE_1)
	s_and_b32 s22, exec_lo, s19
	s_or_b32 s11, s22, s11
	s_and_not1_b32 s21, s21, exec_lo
	s_and_b32 s0, s0, exec_lo
	s_and_not1_b32 s18, s18, exec_lo
	s_and_b32 s22, s20, exec_lo
	s_or_b32 s21, s21, s0
	s_or_b32 s18, s18, s22
	s_and_not1_b32 exec_lo, exec_lo, s11
	s_cbranch_execz .LBB400_45
.LBB400_43:                             ; =>This Inner Loop Header: Depth=1
	global_load_b32 v8, v[4:5], off
	global_load_b32 v9, v[6:7], off
	s_and_not1_b32 s20, s20, exec_lo
	s_or_b32 s19, s19, exec_lo
	s_wait_loadcnt 0x0
	v_cmp_le_i32_e32 vcc_lo, v8, v9
	v_cmp_lt_i32_e64 s0, v8, v9
	s_and_b32 s22, vcc_lo, s21
	s_delay_alu instid0(SALU_CYCLE_1) | instskip(NEXT) | instid1(SALU_CYCLE_1)
	s_or_b32 s0, s0, s22
	s_and_b32 s22, s0, exec_lo
	s_delay_alu instid0(SALU_CYCLE_1)
	s_or_b32 s20, s20, s22
	s_mov_b32 s22, exec_lo
	v_cmpx_eq_u32_e64 v8, v9
	s_cbranch_execz .LBB400_42
; %bb.44:                               ;   in Loop: Header=BB400_43 Depth=1
	s_add_nc_u64 s[2:3], s[2:3], -1
	v_add_nc_u64_e32 v[4:5], 4, v[4:5]
	s_cmp_eq_u64 s[2:3], 0
	v_add_nc_u64_e32 v[6:7], 4, v[6:7]
	s_cselect_b32 s21, -1, 0
	s_and_not1_b32 s19, s19, exec_lo
	s_and_b32 s21, s21, exec_lo
	s_and_not1_b32 s20, s20, exec_lo
	s_or_b32 s19, s19, s21
                                        ; implicit-def: $sgpr21
	s_branch .LBB400_42
.LBB400_45:
	s_or_b32 exec_lo, exec_lo, s11
	s_xor_b32 s0, s18, -1
	s_branch .LBB400_47
.LBB400_46:
	s_mov_b32 s0, -1
.LBB400_47:
	s_and_not1_b32 s2, s5, exec_lo
	s_and_b32 s0, s0, exec_lo
	s_delay_alu instid0(SALU_CYCLE_1)
	s_or_b32 s5, s2, s0
.LBB400_48:
	s_or_b32 exec_lo, exec_lo, s10
	v_cndmask_b32_e64 v4, v18, v21, s5
	v_cndmask_b32_e64 v5, v36, v1, s5
	s_mov_b32 s11, -1
	s_mov_b32 s10, -1
	s_mov_b32 s18, exec_lo
	v_add_nc_u32_e32 v4, 1, v4
	s_delay_alu instid0(VALU_DEP_1) | instskip(NEXT) | instid1(VALU_DEP_1)
	v_add_min_u32_e64 v5, v5, -1, v4
	v_dual_cndmask_b32 v10, v4, v18, s5 :: v_dual_lshlrev_b32 v5, 3, v5
	ds_load_b64 v[6:7], v5
	s_wait_dscnt 0x0
	v_dual_cndmask_b32 v11, v21, v4, s5 :: v_dual_cndmask_b32 v4, v6, v14, s5
	v_cndmask_b32_e64 v5, v7, v15, s5
	v_dual_cndmask_b32 v17, v3, v7, s5 :: v_dual_cndmask_b32 v16, v2, v6, s5
	v_cmpx_lt_u32_e64 v10, v36
	s_cbranch_execz .LBB400_59
; %bb.49:
	s_mov_b32 s0, 0
	s_mov_b32 s10, exec_lo
	v_cmpx_lt_u32_e64 v11, v1
	s_cbranch_execz .LBB400_58
; %bb.50:
	s_and_not1_b32 vcc_lo, exec_lo, s4
	s_cbranch_vccnz .LBB400_56
; %bb.51:
	v_mul_u64_e32 v[6:7], s[12:13], v[4:5]
	v_mul_u64_e32 v[8:9], s[12:13], v[16:17]
	s_mov_b32 s19, 0
	s_mov_b64 s[2:3], s[12:13]
                                        ; implicit-def: $sgpr20
                                        ; implicit-def: $sgpr21
                                        ; implicit-def: $sgpr22
                                        ; implicit-def: $sgpr23
	s_delay_alu instid0(VALU_DEP_2) | instskip(NEXT) | instid1(VALU_DEP_2)
	v_lshl_add_u64 v[6:7], v[6:7], 2, s[14:15]
	v_lshl_add_u64 v[8:9], v[8:9], 2, s[14:15]
	s_branch .LBB400_53
.LBB400_52:                             ;   in Loop: Header=BB400_53 Depth=1
	s_or_b32 exec_lo, exec_lo, s24
	s_delay_alu instid0(SALU_CYCLE_1) | instskip(NEXT) | instid1(SALU_CYCLE_1)
	s_and_b32 s24, exec_lo, s21
	s_or_b32 s19, s24, s19
	s_and_not1_b32 s23, s23, exec_lo
	s_and_b32 s0, s0, exec_lo
	s_and_not1_b32 s20, s20, exec_lo
	s_and_b32 s24, s22, exec_lo
	s_or_b32 s23, s23, s0
	s_or_b32 s20, s20, s24
	s_and_not1_b32 exec_lo, exec_lo, s19
	s_cbranch_execz .LBB400_55
.LBB400_53:                             ; =>This Inner Loop Header: Depth=1
	global_load_b32 v12, v[6:7], off
	global_load_b32 v13, v[8:9], off
	s_and_not1_b32 s22, s22, exec_lo
	s_or_b32 s21, s21, exec_lo
	s_wait_loadcnt 0x0
	v_cmp_le_i32_e32 vcc_lo, v12, v13
	v_cmp_lt_i32_e64 s0, v12, v13
	s_and_b32 s24, vcc_lo, s23
	s_delay_alu instid0(SALU_CYCLE_1) | instskip(NEXT) | instid1(SALU_CYCLE_1)
	s_or_b32 s0, s0, s24
	s_and_b32 s24, s0, exec_lo
	s_delay_alu instid0(SALU_CYCLE_1)
	s_or_b32 s22, s22, s24
	s_mov_b32 s24, exec_lo
	v_cmpx_eq_u32_e64 v12, v13
	s_cbranch_execz .LBB400_52
; %bb.54:                               ;   in Loop: Header=BB400_53 Depth=1
	s_add_nc_u64 s[2:3], s[2:3], -1
	v_add_nc_u64_e32 v[6:7], 4, v[6:7]
	s_cmp_eq_u64 s[2:3], 0
	v_add_nc_u64_e32 v[8:9], 4, v[8:9]
	s_cselect_b32 s23, -1, 0
	s_and_not1_b32 s21, s21, exec_lo
	s_and_b32 s23, s23, exec_lo
	s_and_not1_b32 s22, s22, exec_lo
	s_or_b32 s21, s21, s23
                                        ; implicit-def: $sgpr23
	s_branch .LBB400_52
.LBB400_55:
	s_or_b32 exec_lo, exec_lo, s19
	s_xor_b32 s0, s20, -1
	s_branch .LBB400_57
.LBB400_56:
	s_mov_b32 s0, -1
.LBB400_57:
	s_delay_alu instid0(SALU_CYCLE_1)
	s_and_b32 s0, s0, exec_lo
.LBB400_58:
	s_or_b32 exec_lo, exec_lo, s10
	s_delay_alu instid0(SALU_CYCLE_1)
	s_or_not1_b32 s10, s0, exec_lo
.LBB400_59:
	s_or_b32 exec_lo, exec_lo, s18
	v_dual_cndmask_b32 v6, v10, v11, s10 :: v_dual_cndmask_b32 v7, v36, v1, s10
	s_mov_b32 s18, exec_lo
	s_delay_alu instid0(VALU_DEP_1) | instskip(NEXT) | instid1(VALU_DEP_1)
	v_add_nc_u32_e32 v6, 1, v6
	v_add_min_u32_e64 v7, v7, -1, v6
	s_delay_alu instid0(VALU_DEP_1)
	v_lshlrev_b32_e32 v7, 3, v7
	ds_load_b64 v[8:9], v7
	v_cndmask_b32_e64 v12, v6, v10, s10
	s_wait_dscnt 0x0
	v_dual_cndmask_b32 v13, v11, v6, s10 :: v_dual_cndmask_b32 v6, v8, v4, s10
	v_cndmask_b32_e64 v7, v9, v5, s10
	v_dual_cndmask_b32 v19, v17, v9, s10 :: v_dual_cndmask_b32 v18, v16, v8, s10
	v_cmpx_lt_u32_e64 v12, v36
	s_cbranch_execz .LBB400_70
; %bb.60:
	s_mov_b32 s0, 0
	s_mov_b32 s11, exec_lo
	v_cmpx_lt_u32_e64 v13, v1
	s_cbranch_execz .LBB400_69
; %bb.61:
	s_and_not1_b32 vcc_lo, exec_lo, s4
	s_cbranch_vccnz .LBB400_67
; %bb.62:
	v_mul_u64_e32 v[8:9], s[12:13], v[6:7]
	v_mul_u64_e32 v[10:11], s[12:13], v[18:19]
	s_mov_b32 s19, 0
	s_mov_b64 s[2:3], s[12:13]
                                        ; implicit-def: $sgpr20
                                        ; implicit-def: $sgpr21
                                        ; implicit-def: $sgpr22
                                        ; implicit-def: $sgpr23
	s_delay_alu instid0(VALU_DEP_2) | instskip(NEXT) | instid1(VALU_DEP_2)
	v_lshl_add_u64 v[8:9], v[8:9], 2, s[14:15]
	v_lshl_add_u64 v[10:11], v[10:11], 2, s[14:15]
	s_branch .LBB400_64
.LBB400_63:                             ;   in Loop: Header=BB400_64 Depth=1
	s_or_b32 exec_lo, exec_lo, s24
	s_delay_alu instid0(SALU_CYCLE_1) | instskip(NEXT) | instid1(SALU_CYCLE_1)
	s_and_b32 s24, exec_lo, s21
	s_or_b32 s19, s24, s19
	s_and_not1_b32 s23, s23, exec_lo
	s_and_b32 s0, s0, exec_lo
	s_and_not1_b32 s20, s20, exec_lo
	s_and_b32 s24, s22, exec_lo
	s_or_b32 s23, s23, s0
	s_or_b32 s20, s20, s24
	s_and_not1_b32 exec_lo, exec_lo, s19
	s_cbranch_execz .LBB400_66
.LBB400_64:                             ; =>This Inner Loop Header: Depth=1
	global_load_b32 v21, v[8:9], off
	global_load_b32 v22, v[10:11], off
	s_and_not1_b32 s22, s22, exec_lo
	s_or_b32 s21, s21, exec_lo
	s_wait_loadcnt 0x0
	v_cmp_le_i32_e32 vcc_lo, v21, v22
	v_cmp_lt_i32_e64 s0, v21, v22
	s_and_b32 s24, vcc_lo, s23
	s_delay_alu instid0(SALU_CYCLE_1) | instskip(NEXT) | instid1(SALU_CYCLE_1)
	s_or_b32 s0, s0, s24
	s_and_b32 s24, s0, exec_lo
	s_delay_alu instid0(SALU_CYCLE_1)
	s_or_b32 s22, s22, s24
	s_mov_b32 s24, exec_lo
	v_cmpx_eq_u32_e64 v21, v22
	s_cbranch_execz .LBB400_63
; %bb.65:                               ;   in Loop: Header=BB400_64 Depth=1
	s_add_nc_u64 s[2:3], s[2:3], -1
	v_add_nc_u64_e32 v[8:9], 4, v[8:9]
	s_cmp_eq_u64 s[2:3], 0
	v_add_nc_u64_e32 v[10:11], 4, v[10:11]
	s_cselect_b32 s23, -1, 0
	s_and_not1_b32 s21, s21, exec_lo
	s_and_b32 s23, s23, exec_lo
	s_and_not1_b32 s22, s22, exec_lo
	s_or_b32 s21, s21, s23
                                        ; implicit-def: $sgpr23
	s_branch .LBB400_63
.LBB400_66:
	s_or_b32 exec_lo, exec_lo, s19
	s_xor_b32 s0, s20, -1
	s_branch .LBB400_68
.LBB400_67:
	s_mov_b32 s0, -1
.LBB400_68:
	s_delay_alu instid0(SALU_CYCLE_1)
	s_and_b32 s0, s0, exec_lo
.LBB400_69:
	s_or_b32 exec_lo, exec_lo, s11
	s_delay_alu instid0(SALU_CYCLE_1)
	s_or_not1_b32 s11, s0, exec_lo
.LBB400_70:
	s_or_b32 exec_lo, exec_lo, s18
	v_cndmask_b32_e64 v8, v12, v13, s11
	v_cndmask_b32_e64 v9, v36, v1, s11
	s_mov_b32 s19, -1
	s_mov_b32 s18, -1
	s_mov_b32 s20, exec_lo
	v_add_nc_u32_e32 v8, 1, v8
	s_delay_alu instid0(VALU_DEP_1) | instskip(NEXT) | instid1(VALU_DEP_1)
	v_add_min_u32_e64 v9, v9, -1, v8
	v_dual_cndmask_b32 v21, v8, v12, s11 :: v_dual_lshlrev_b32 v9, 3, v9
	ds_load_b64 v[10:11], v9
	s_wait_dscnt 0x0
	v_dual_cndmask_b32 v24, v13, v8, s11 :: v_dual_cndmask_b32 v8, v10, v6, s11
	v_cndmask_b32_e64 v9, v11, v7, s11
	v_dual_cndmask_b32 v23, v19, v11, s11 :: v_dual_cndmask_b32 v22, v18, v10, s11
	v_cmpx_lt_u32_e64 v21, v36
	s_cbranch_execz .LBB400_81
; %bb.71:
	s_mov_b32 s0, 0
	s_mov_b32 s18, exec_lo
	v_cmpx_lt_u32_e64 v24, v1
	s_cbranch_execz .LBB400_80
; %bb.72:
	s_and_not1_b32 vcc_lo, exec_lo, s4
	s_cbranch_vccnz .LBB400_78
; %bb.73:
	v_mul_u64_e32 v[10:11], s[12:13], v[8:9]
	v_mul_u64_e32 v[12:13], s[12:13], v[22:23]
	s_mov_b32 s21, 0
	s_mov_b64 s[2:3], s[12:13]
                                        ; implicit-def: $sgpr22
                                        ; implicit-def: $sgpr23
                                        ; implicit-def: $sgpr24
                                        ; implicit-def: $sgpr25
	s_delay_alu instid0(VALU_DEP_2) | instskip(NEXT) | instid1(VALU_DEP_2)
	v_lshl_add_u64 v[10:11], v[10:11], 2, s[14:15]
	v_lshl_add_u64 v[12:13], v[12:13], 2, s[14:15]
	s_branch .LBB400_75
.LBB400_74:                             ;   in Loop: Header=BB400_75 Depth=1
	s_or_b32 exec_lo, exec_lo, s26
	s_delay_alu instid0(SALU_CYCLE_1) | instskip(NEXT) | instid1(SALU_CYCLE_1)
	s_and_b32 s26, exec_lo, s23
	s_or_b32 s21, s26, s21
	s_and_not1_b32 s25, s25, exec_lo
	s_and_b32 s0, s0, exec_lo
	s_and_not1_b32 s22, s22, exec_lo
	s_and_b32 s26, s24, exec_lo
	s_or_b32 s25, s25, s0
	s_or_b32 s22, s22, s26
	s_and_not1_b32 exec_lo, exec_lo, s21
	s_cbranch_execz .LBB400_77
.LBB400_75:                             ; =>This Inner Loop Header: Depth=1
	global_load_b32 v25, v[10:11], off
	global_load_b32 v26, v[12:13], off
	s_and_not1_b32 s24, s24, exec_lo
	s_or_b32 s23, s23, exec_lo
	s_wait_loadcnt 0x0
	v_cmp_le_i32_e32 vcc_lo, v25, v26
	v_cmp_lt_i32_e64 s0, v25, v26
	s_and_b32 s26, vcc_lo, s25
	s_delay_alu instid0(SALU_CYCLE_1) | instskip(NEXT) | instid1(SALU_CYCLE_1)
	s_or_b32 s0, s0, s26
	s_and_b32 s26, s0, exec_lo
	s_delay_alu instid0(SALU_CYCLE_1)
	s_or_b32 s24, s24, s26
	s_mov_b32 s26, exec_lo
	v_cmpx_eq_u32_e64 v25, v26
	s_cbranch_execz .LBB400_74
; %bb.76:                               ;   in Loop: Header=BB400_75 Depth=1
	s_add_nc_u64 s[2:3], s[2:3], -1
	v_add_nc_u64_e32 v[10:11], 4, v[10:11]
	s_cmp_eq_u64 s[2:3], 0
	v_add_nc_u64_e32 v[12:13], 4, v[12:13]
	s_cselect_b32 s25, -1, 0
	s_and_not1_b32 s23, s23, exec_lo
	s_and_b32 s25, s25, exec_lo
	s_and_not1_b32 s24, s24, exec_lo
	s_or_b32 s23, s23, s25
                                        ; implicit-def: $sgpr25
	s_branch .LBB400_74
.LBB400_77:
	s_or_b32 exec_lo, exec_lo, s21
	s_xor_b32 s0, s22, -1
	s_branch .LBB400_79
.LBB400_78:
	s_mov_b32 s0, -1
.LBB400_79:
	s_delay_alu instid0(SALU_CYCLE_1)
	s_and_b32 s0, s0, exec_lo
.LBB400_80:
	s_or_b32 exec_lo, exec_lo, s18
	s_delay_alu instid0(SALU_CYCLE_1)
	s_or_not1_b32 s18, s0, exec_lo
.LBB400_81:
	s_or_b32 exec_lo, exec_lo, s20
	v_dual_cndmask_b32 v10, v21, v24, s18 :: v_dual_cndmask_b32 v11, v36, v1, s18
	s_mov_b32 s20, exec_lo
	s_delay_alu instid0(VALU_DEP_1) | instskip(NEXT) | instid1(VALU_DEP_1)
	v_add_nc_u32_e32 v10, 1, v10
	v_add_min_u32_e64 v11, v11, -1, v10
	s_delay_alu instid0(VALU_DEP_1)
	v_dual_lshlrev_b32 v11, 3, v11 :: v_dual_cndmask_b32 v21, v10, v21, s18
	v_cndmask_b32_e64 v28, v24, v10, s18
	ds_load_b64 v[12:13], v11
	s_wait_dscnt 0x0
	v_dual_cndmask_b32 v11, v13, v9, s18 :: v_dual_cndmask_b32 v10, v12, v8, s18
	v_dual_cndmask_b32 v25, v23, v13, s18 :: v_dual_cndmask_b32 v24, v22, v12, s18
	v_cmpx_lt_u32_e64 v21, v36
	s_cbranch_execz .LBB400_92
; %bb.82:
	s_mov_b32 s0, 0
	s_mov_b32 s19, exec_lo
	v_cmpx_lt_u32_e64 v28, v1
	s_cbranch_execz .LBB400_91
; %bb.83:
	s_and_not1_b32 vcc_lo, exec_lo, s4
	s_cbranch_vccnz .LBB400_89
; %bb.84:
	v_mul_u64_e32 v[12:13], s[12:13], v[10:11]
	v_mul_u64_e32 v[26:27], s[12:13], v[24:25]
	s_mov_b32 s21, 0
	s_mov_b64 s[2:3], s[12:13]
                                        ; implicit-def: $sgpr22
                                        ; implicit-def: $sgpr23
                                        ; implicit-def: $sgpr24
                                        ; implicit-def: $sgpr25
	s_delay_alu instid0(VALU_DEP_2) | instskip(NEXT) | instid1(VALU_DEP_2)
	v_lshl_add_u64 v[12:13], v[12:13], 2, s[14:15]
	v_lshl_add_u64 v[26:27], v[26:27], 2, s[14:15]
	s_branch .LBB400_86
.LBB400_85:                             ;   in Loop: Header=BB400_86 Depth=1
	s_or_b32 exec_lo, exec_lo, s26
	s_delay_alu instid0(SALU_CYCLE_1) | instskip(NEXT) | instid1(SALU_CYCLE_1)
	s_and_b32 s26, exec_lo, s23
	s_or_b32 s21, s26, s21
	s_and_not1_b32 s25, s25, exec_lo
	s_and_b32 s0, s0, exec_lo
	s_and_not1_b32 s22, s22, exec_lo
	s_and_b32 s26, s24, exec_lo
	s_or_b32 s25, s25, s0
	s_or_b32 s22, s22, s26
	s_and_not1_b32 exec_lo, exec_lo, s21
	s_cbranch_execz .LBB400_88
.LBB400_86:                             ; =>This Inner Loop Header: Depth=1
	global_load_b32 v29, v[12:13], off
	global_load_b32 v30, v[26:27], off
	s_and_not1_b32 s24, s24, exec_lo
	s_or_b32 s23, s23, exec_lo
	s_wait_loadcnt 0x0
	v_cmp_le_i32_e32 vcc_lo, v29, v30
	v_cmp_lt_i32_e64 s0, v29, v30
	s_and_b32 s26, vcc_lo, s25
	s_delay_alu instid0(SALU_CYCLE_1) | instskip(NEXT) | instid1(SALU_CYCLE_1)
	s_or_b32 s0, s0, s26
	s_and_b32 s26, s0, exec_lo
	s_delay_alu instid0(SALU_CYCLE_1)
	s_or_b32 s24, s24, s26
	s_mov_b32 s26, exec_lo
	v_cmpx_eq_u32_e64 v29, v30
	s_cbranch_execz .LBB400_85
; %bb.87:                               ;   in Loop: Header=BB400_86 Depth=1
	s_add_nc_u64 s[2:3], s[2:3], -1
	v_add_nc_u64_e32 v[12:13], 4, v[12:13]
	s_cmp_eq_u64 s[2:3], 0
	v_add_nc_u64_e32 v[26:27], 4, v[26:27]
	s_cselect_b32 s25, -1, 0
	s_and_not1_b32 s23, s23, exec_lo
	s_and_b32 s25, s25, exec_lo
	s_and_not1_b32 s24, s24, exec_lo
	s_or_b32 s23, s23, s25
                                        ; implicit-def: $sgpr25
	s_branch .LBB400_85
.LBB400_88:
	s_or_b32 exec_lo, exec_lo, s21
	s_xor_b32 s0, s22, -1
	s_branch .LBB400_90
.LBB400_89:
	s_mov_b32 s0, -1
.LBB400_90:
	s_delay_alu instid0(SALU_CYCLE_1)
	s_and_b32 s0, s0, exec_lo
.LBB400_91:
	s_or_b32 exec_lo, exec_lo, s19
	s_delay_alu instid0(SALU_CYCLE_1)
	s_or_not1_b32 s19, s0, exec_lo
.LBB400_92:
	s_or_b32 exec_lo, exec_lo, s20
	v_dual_cndmask_b32 v12, v21, v28, s19 :: v_dual_cndmask_b32 v13, v36, v1, s19
	s_mov_b32 s20, -1
	s_mov_b32 s21, -1
	s_mov_b32 s22, exec_lo
	s_delay_alu instid0(VALU_DEP_1) | instskip(NEXT) | instid1(VALU_DEP_1)
	v_add_nc_u32_e32 v12, 1, v12
	v_add_min_u32_e64 v13, v13, -1, v12
	s_delay_alu instid0(VALU_DEP_1)
	v_lshlrev_b32_e32 v13, 3, v13
	ds_load_b64 v[26:27], v13
	v_cndmask_b32_e64 v21, v12, v21, s19
	s_wait_dscnt 0x0
	v_dual_cndmask_b32 v32, v28, v12, s19 :: v_dual_cndmask_b32 v12, v26, v10, s19
	v_cndmask_b32_e64 v13, v27, v11, s19
	v_dual_cndmask_b32 v27, v25, v27, s19 :: v_dual_cndmask_b32 v26, v24, v26, s19
	v_cmpx_lt_u32_e64 v21, v36
	s_cbranch_execz .LBB400_103
; %bb.93:
	s_mov_b32 s0, 0
	s_mov_b32 s21, exec_lo
	v_cmpx_lt_u32_e64 v32, v1
	s_cbranch_execz .LBB400_102
; %bb.94:
	s_and_not1_b32 vcc_lo, exec_lo, s4
	s_cbranch_vccnz .LBB400_100
; %bb.95:
	v_mul_u64_e32 v[28:29], s[12:13], v[12:13]
	v_mul_u64_e32 v[30:31], s[12:13], v[26:27]
	s_mov_b32 s23, 0
	s_mov_b64 s[2:3], s[12:13]
                                        ; implicit-def: $sgpr24
                                        ; implicit-def: $sgpr25
                                        ; implicit-def: $sgpr26
                                        ; implicit-def: $sgpr27
	s_delay_alu instid0(VALU_DEP_2) | instskip(NEXT) | instid1(VALU_DEP_2)
	v_lshl_add_u64 v[28:29], v[28:29], 2, s[14:15]
	v_lshl_add_u64 v[30:31], v[30:31], 2, s[14:15]
	s_branch .LBB400_97
.LBB400_96:                             ;   in Loop: Header=BB400_97 Depth=1
	s_or_b32 exec_lo, exec_lo, s28
	s_delay_alu instid0(SALU_CYCLE_1) | instskip(NEXT) | instid1(SALU_CYCLE_1)
	s_and_b32 s28, exec_lo, s25
	s_or_b32 s23, s28, s23
	s_and_not1_b32 s27, s27, exec_lo
	s_and_b32 s0, s0, exec_lo
	s_and_not1_b32 s24, s24, exec_lo
	s_and_b32 s28, s26, exec_lo
	s_or_b32 s27, s27, s0
	s_or_b32 s24, s24, s28
	s_and_not1_b32 exec_lo, exec_lo, s23
	s_cbranch_execz .LBB400_99
.LBB400_97:                             ; =>This Inner Loop Header: Depth=1
	global_load_b32 v33, v[28:29], off
	global_load_b32 v34, v[30:31], off
	s_and_not1_b32 s26, s26, exec_lo
	s_or_b32 s25, s25, exec_lo
	s_wait_loadcnt 0x0
	v_cmp_le_i32_e32 vcc_lo, v33, v34
	v_cmp_lt_i32_e64 s0, v33, v34
	s_and_b32 s28, vcc_lo, s27
	s_delay_alu instid0(SALU_CYCLE_1) | instskip(NEXT) | instid1(SALU_CYCLE_1)
	s_or_b32 s0, s0, s28
	s_and_b32 s28, s0, exec_lo
	s_delay_alu instid0(SALU_CYCLE_1)
	s_or_b32 s26, s26, s28
	s_mov_b32 s28, exec_lo
	v_cmpx_eq_u32_e64 v33, v34
	s_cbranch_execz .LBB400_96
; %bb.98:                               ;   in Loop: Header=BB400_97 Depth=1
	s_add_nc_u64 s[2:3], s[2:3], -1
	v_add_nc_u64_e32 v[28:29], 4, v[28:29]
	s_cmp_eq_u64 s[2:3], 0
	v_add_nc_u64_e32 v[30:31], 4, v[30:31]
	s_cselect_b32 s27, -1, 0
	s_and_not1_b32 s25, s25, exec_lo
	s_and_b32 s27, s27, exec_lo
	s_and_not1_b32 s26, s26, exec_lo
	s_or_b32 s25, s25, s27
                                        ; implicit-def: $sgpr27
	s_branch .LBB400_96
.LBB400_99:
	s_or_b32 exec_lo, exec_lo, s23
	s_xor_b32 s0, s24, -1
	s_branch .LBB400_101
.LBB400_100:
	s_mov_b32 s0, -1
.LBB400_101:
	s_delay_alu instid0(SALU_CYCLE_1)
	s_and_b32 s0, s0, exec_lo
.LBB400_102:
	s_or_b32 exec_lo, exec_lo, s21
	s_delay_alu instid0(SALU_CYCLE_1)
	s_or_not1_b32 s21, s0, exec_lo
.LBB400_103:
	s_or_b32 exec_lo, exec_lo, s22
	v_dual_cndmask_b32 v28, v21, v32, s21 :: v_dual_cndmask_b32 v29, v36, v1, s21
	s_mov_b32 s22, exec_lo
	s_delay_alu instid0(VALU_DEP_1) | instskip(NEXT) | instid1(VALU_DEP_1)
	v_add_nc_u32_e32 v28, 1, v28
	v_add_min_u32_e64 v29, v29, -1, v28
	s_delay_alu instid0(VALU_DEP_1)
	v_lshlrev_b32_e32 v29, 3, v29
	ds_load_b64 v[30:31], v29
	v_cndmask_b32_e64 v37, v28, v21, s21
	s_wait_dscnt 0x0
	v_dual_cndmask_b32 v21, v32, v28, s21 :: v_dual_cndmask_b32 v29, v31, v13, s21
	v_dual_cndmask_b32 v28, v30, v12, s21 :: v_dual_cndmask_b32 v31, v27, v31, s21
	v_cndmask_b32_e64 v30, v26, v30, s21
	v_cmpx_lt_u32_e64 v37, v36
	s_cbranch_execz .LBB400_114
; %bb.104:
	s_mov_b32 s0, 0
	s_mov_b32 s20, exec_lo
	v_cmpx_lt_u32_e64 v21, v1
	s_cbranch_execz .LBB400_113
; %bb.105:
	s_and_not1_b32 vcc_lo, exec_lo, s4
	s_cbranch_vccnz .LBB400_111
; %bb.106:
	v_mul_u64_e32 v[32:33], s[12:13], v[28:29]
	v_mul_u64_e32 v[34:35], s[12:13], v[30:31]
	s_mov_b32 s23, 0
	s_mov_b64 s[2:3], s[12:13]
                                        ; implicit-def: $sgpr24
                                        ; implicit-def: $sgpr25
                                        ; implicit-def: $sgpr26
                                        ; implicit-def: $sgpr27
	s_delay_alu instid0(VALU_DEP_2) | instskip(NEXT) | instid1(VALU_DEP_2)
	v_lshl_add_u64 v[32:33], v[32:33], 2, s[14:15]
	v_lshl_add_u64 v[34:35], v[34:35], 2, s[14:15]
	s_branch .LBB400_108
.LBB400_107:                            ;   in Loop: Header=BB400_108 Depth=1
	s_or_b32 exec_lo, exec_lo, s28
	s_delay_alu instid0(SALU_CYCLE_1) | instskip(NEXT) | instid1(SALU_CYCLE_1)
	s_and_b32 s28, exec_lo, s25
	s_or_b32 s23, s28, s23
	s_and_not1_b32 s27, s27, exec_lo
	s_and_b32 s0, s0, exec_lo
	s_and_not1_b32 s24, s24, exec_lo
	s_and_b32 s28, s26, exec_lo
	s_or_b32 s27, s27, s0
	s_or_b32 s24, s24, s28
	s_and_not1_b32 exec_lo, exec_lo, s23
	s_cbranch_execz .LBB400_110
.LBB400_108:                            ; =>This Inner Loop Header: Depth=1
	global_load_b32 v38, v[32:33], off
	global_load_b32 v39, v[34:35], off
	s_and_not1_b32 s26, s26, exec_lo
	s_or_b32 s25, s25, exec_lo
	s_wait_loadcnt 0x0
	v_cmp_le_i32_e32 vcc_lo, v38, v39
	v_cmp_lt_i32_e64 s0, v38, v39
	s_and_b32 s28, vcc_lo, s27
	s_delay_alu instid0(SALU_CYCLE_1) | instskip(NEXT) | instid1(SALU_CYCLE_1)
	s_or_b32 s0, s0, s28
	s_and_b32 s28, s0, exec_lo
	s_delay_alu instid0(SALU_CYCLE_1)
	s_or_b32 s26, s26, s28
	s_mov_b32 s28, exec_lo
	v_cmpx_eq_u32_e64 v38, v39
	s_cbranch_execz .LBB400_107
; %bb.109:                              ;   in Loop: Header=BB400_108 Depth=1
	s_add_nc_u64 s[2:3], s[2:3], -1
	v_add_nc_u64_e32 v[32:33], 4, v[32:33]
	s_cmp_eq_u64 s[2:3], 0
	v_add_nc_u64_e32 v[34:35], 4, v[34:35]
	s_cselect_b32 s27, -1, 0
	s_and_not1_b32 s25, s25, exec_lo
	s_and_b32 s27, s27, exec_lo
	s_and_not1_b32 s26, s26, exec_lo
	s_or_b32 s25, s25, s27
                                        ; implicit-def: $sgpr27
	s_branch .LBB400_107
.LBB400_110:
	s_or_b32 exec_lo, exec_lo, s23
	s_xor_b32 s0, s24, -1
	s_branch .LBB400_112
.LBB400_111:
	s_mov_b32 s0, -1
.LBB400_112:
	s_delay_alu instid0(SALU_CYCLE_1)
	s_and_b32 s0, s0, exec_lo
.LBB400_113:
	s_or_b32 exec_lo, exec_lo, s20
	s_delay_alu instid0(SALU_CYCLE_1)
	s_or_not1_b32 s20, s0, exec_lo
.LBB400_114:
	s_or_b32 exec_lo, exec_lo, s22
	v_dual_cndmask_b32 v32, v37, v21, s20 :: v_dual_cndmask_b32 v12, v12, v26, s21
	v_cndmask_b32_e64 v33, v36, v1, s20
	v_dual_cndmask_b32 v11, v11, v25, s19 :: v_dual_cndmask_b32 v10, v10, v24, s19
	s_delay_alu instid0(VALU_DEP_3) | instskip(SKIP_2) | instid1(VALU_DEP_3)
	v_dual_add_nc_u32 v34, 1, v32 :: v_dual_cndmask_b32 v9, v9, v23, s18
	v_dual_cndmask_b32 v8, v8, v22, s18 :: v_dual_cndmask_b32 v7, v7, v19, s11
	v_cndmask_b32_e64 v6, v6, v18, s11
	v_add_min_u32_e64 v32, v33, -1, v34
	v_dual_cndmask_b32 v5, v5, v17, s10 :: v_dual_cndmask_b32 v4, v4, v16, s10
	v_dual_cndmask_b32 v3, v15, v3, s5 :: v_dual_cndmask_b32 v2, v14, v2, s5
	s_delay_alu instid0(VALU_DEP_3)
	v_dual_lshlrev_b32 v32, 3, v32 :: v_dual_cndmask_b32 v13, v13, v27, s21
	v_dual_cndmask_b32 v18, v34, v37, s20 :: v_dual_cndmask_b32 v15, v29, v31, s20
	s_mov_b32 s2, exec_lo
	ds_load_b64 v[32:33], v32
	s_wait_dscnt 0x0
	v_dual_cndmask_b32 v14, v28, v30, s20 :: v_dual_cndmask_b32 v17, v31, v33, s20
	v_cndmask_b32_e64 v16, v30, v32, s20
	v_cmpx_lt_u32_e64 v18, v36
	s_cbranch_execz .LBB400_124
; %bb.115:
	v_dual_cndmask_b32 v21, v21, v34, s20 :: v_dual_cndmask_b32 v18, v32, v28, s20
	v_cndmask_b32_e64 v19, v33, v29, s20
	s_mov_b32 s3, exec_lo
	s_delay_alu instid0(VALU_DEP_2)
	v_cmpx_lt_u32_e64 v21, v1
	s_cbranch_execz .LBB400_123
; %bb.116:
	s_and_not1_b32 vcc_lo, exec_lo, s4
	s_cbranch_vccnz .LBB400_122
; %bb.117:
	v_mul_u64_e32 v[22:23], s[12:13], v[18:19]
	v_mul_u64_e32 v[24:25], s[12:13], v[16:17]
	s_mov_b32 s4, 0
                                        ; implicit-def: $sgpr5
                                        ; implicit-def: $sgpr10
                                        ; implicit-def: $sgpr11
	s_delay_alu instid0(VALU_DEP_2) | instskip(NEXT) | instid1(VALU_DEP_2)
	v_lshl_add_u64 v[22:23], v[22:23], 2, s[14:15]
	v_lshl_add_u64 v[24:25], v[24:25], 2, s[14:15]
                                        ; implicit-def: $sgpr14
	s_branch .LBB400_119
.LBB400_118:                            ;   in Loop: Header=BB400_119 Depth=1
	s_or_b32 exec_lo, exec_lo, s15
	s_delay_alu instid0(SALU_CYCLE_1) | instskip(NEXT) | instid1(SALU_CYCLE_1)
	s_and_b32 s15, exec_lo, s10
	s_or_b32 s4, s15, s4
	s_and_not1_b32 s14, s14, exec_lo
	s_and_b32 s0, s0, exec_lo
	s_and_not1_b32 s5, s5, exec_lo
	s_and_b32 s15, s11, exec_lo
	s_or_b32 s14, s14, s0
	s_or_b32 s5, s5, s15
	s_and_not1_b32 exec_lo, exec_lo, s4
	s_cbranch_execz .LBB400_121
.LBB400_119:                            ; =>This Inner Loop Header: Depth=1
	global_load_b32 v1, v[22:23], off
	global_load_b32 v21, v[24:25], off
	s_and_not1_b32 s11, s11, exec_lo
	s_or_b32 s10, s10, exec_lo
	s_wait_loadcnt 0x0
	v_cmp_le_i32_e32 vcc_lo, v1, v21
	v_cmp_lt_i32_e64 s0, v1, v21
	s_and_b32 s15, vcc_lo, s14
	s_delay_alu instid0(SALU_CYCLE_1) | instskip(NEXT) | instid1(SALU_CYCLE_1)
	s_or_b32 s0, s0, s15
	s_and_b32 s15, s0, exec_lo
	s_delay_alu instid0(SALU_CYCLE_1)
	s_or_b32 s11, s11, s15
	s_mov_b32 s15, exec_lo
	v_cmpx_eq_u32_e64 v1, v21
	s_cbranch_execz .LBB400_118
; %bb.120:                              ;   in Loop: Header=BB400_119 Depth=1
	s_add_nc_u64 s[12:13], s[12:13], -1
	v_add_nc_u64_e32 v[22:23], 4, v[22:23]
	s_cmp_eq_u64 s[12:13], 0
	v_add_nc_u64_e32 v[24:25], 4, v[24:25]
	s_cselect_b32 s14, -1, 0
	s_and_not1_b32 s10, s10, exec_lo
	s_and_b32 s14, s14, exec_lo
	s_and_not1_b32 s11, s11, exec_lo
	s_or_b32 s10, s10, s14
                                        ; implicit-def: $sgpr14
	s_branch .LBB400_118
.LBB400_121:
	s_or_b32 exec_lo, exec_lo, s4
	v_dual_cndmask_b32 v17, v17, v19, s5 :: v_dual_cndmask_b32 v16, v16, v18, s5
.LBB400_122:
	s_delay_alu instid0(VALU_DEP_1)
	v_mov_b64_e32 v[18:19], v[16:17]
.LBB400_123:
	s_or_b32 exec_lo, exec_lo, s3
	s_delay_alu instid0(VALU_DEP_1)
	v_mov_b64_e32 v[16:17], v[18:19]
.LBB400_124:
	s_or_b32 exec_lo, exec_lo, s2
.LBB400_125:
	s_delay_alu instid0(SALU_CYCLE_1) | instskip(SKIP_4) | instid1(VALU_DEP_4)
	s_or_b32 exec_lo, exec_lo, s1
	v_or_b32_e32 v25, 0x80, v0
	v_lshrrev_b32_e32 v1, 2, v0
	v_or_b32_e32 v22, 0x100, v0
	v_lshlrev_b32_e32 v18, 3, v20
	v_lshrrev_b32_e32 v19, 2, v25
	s_barrier_signal -1
	s_delay_alu instid0(VALU_DEP_3) | instskip(NEXT) | instid1(VALU_DEP_3)
	v_lshrrev_b32_e32 v21, 2, v22
	v_lshl_add_u32 v18, v1, 3, v18
	s_barrier_wait -1
	s_barrier_signal -1
	s_barrier_wait -1
	ds_store_2addr_b64 v18, v[2:3], v[4:5] offset1:1
	ds_store_2addr_b64 v18, v[6:7], v[8:9] offset0:2 offset1:3
	v_and_b32_e32 v2, 56, v19
	v_and_b32_e32 v1, 24, v1
	v_or_b32_e32 v24, 0x180, v0
	v_and_b32_e32 v3, 0x58, v21
	v_or_b32_e32 v23, 0x200, v0
	s_delay_alu instid0(VALU_DEP_4) | instskip(NEXT) | instid1(VALU_DEP_4)
	v_dual_add_nc_u32 v6, v2, v20 :: v_dual_add_nc_u32 v26, v1, v20
	v_lshrrev_b32_e32 v1, 2, v24
	ds_store_2addr_b64 v18, v[10:11], v[12:13] offset0:4 offset1:5
	ds_store_2addr_b64 v18, v[14:15], v[16:17] offset0:6 offset1:7
	v_or_b32_e32 v19, 0x280, v0
	v_add_nc_u32_e32 v7, v3, v20
	v_or_b32_e32 v18, 0x300, v0
	v_lshrrev_b32_e32 v3, 2, v23
	v_and_b32_e32 v2, 0x78, v1
	v_or_b32_e32 v1, 0x380, v0
	s_delay_alu instid0(VALU_DEP_4) | instskip(NEXT) | instid1(VALU_DEP_4)
	v_dual_lshrrev_b32 v4, 2, v19 :: v_dual_lshrrev_b32 v5, 2, v18
	v_and_b32_e32 v3, 0x98, v3
	s_delay_alu instid0(VALU_DEP_3)
	v_dual_add_nc_u32 v8, v2, v20 :: v_dual_lshrrev_b32 v2, 2, v1
	v_mov_b32_e32 v21, 0
	s_lshl_b64 s[0:1], s[16:17], 3
	v_and_b32_e32 v4, 0xb8, v4
	v_and_b32_e32 v5, 0xd8, v5
	;; [unrolled: 1-line block ×3, first 2 shown]
	s_add_nc_u64 s[0:1], s[6:7], s[0:1]
	s_delay_alu instid0(VALU_DEP_3) | instskip(SKIP_1) | instid1(VALU_DEP_3)
	v_dual_add_nc_u32 v9, v3, v20 :: v_dual_add_nc_u32 v27, v4, v20
	v_add_nc_u64_e32 v[2:3], s[0:1], v[20:21]
	v_dual_add_nc_u32 v28, v5, v20 :: v_dual_add_nc_u32 v20, v10, v20
	s_and_b32 vcc_lo, exec_lo, s9
	s_wait_dscnt 0x0
	s_cbranch_vccz .LBB400_127
; %bb.126:
	s_barrier_signal -1
	s_barrier_wait -1
	ds_load_b64 v[10:11], v26
	ds_load_b64 v[12:13], v6 offset:1024
	ds_load_b64 v[14:15], v7 offset:2048
	ds_load_b64 v[16:17], v8 offset:3072
	ds_load_b64 v[30:31], v9 offset:4096
	ds_load_b64 v[32:33], v27 offset:5120
	ds_load_b64 v[34:35], v28 offset:6144
	ds_load_b64 v[4:5], v20 offset:7168
	s_mov_b32 s0, -1
	s_wait_dscnt 0x7
	global_store_b64 v[2:3], v[10:11], off
	s_wait_dscnt 0x6
	global_store_b64 v[2:3], v[12:13], off offset:1024
	s_wait_dscnt 0x5
	global_store_b64 v[2:3], v[14:15], off offset:2048
	;; [unrolled: 2-line block ×6, first 2 shown]
	s_cbranch_execz .LBB400_128
	s_branch .LBB400_137
.LBB400_127:
	s_mov_b32 s0, 0
                                        ; implicit-def: $vgpr4_vgpr5
.LBB400_128:
	s_barrier_signal -1
	s_barrier_wait -1
	s_wait_storecnt_dscnt 0x0
	s_wait_xcnt 0x3
	ds_load_b64 v[16:17], v6 offset:1024
	ds_load_b64 v[14:15], v7 offset:2048
	;; [unrolled: 1-line block ×7, first 2 shown]
	s_sub_co_i32 s0, s8, s16
	s_mov_b32 s1, exec_lo
	s_wait_xcnt 0x0
	v_cmpx_gt_u32_e64 s0, v0
	s_cbranch_execnz .LBB400_140
; %bb.129:
	s_or_b32 exec_lo, exec_lo, s1
	s_delay_alu instid0(SALU_CYCLE_1)
	s_mov_b32 s1, exec_lo
	v_cmpx_gt_u32_e64 s0, v25
	s_cbranch_execnz .LBB400_141
.LBB400_130:
	s_or_b32 exec_lo, exec_lo, s1
	s_delay_alu instid0(SALU_CYCLE_1)
	s_mov_b32 s1, exec_lo
	v_cmpx_gt_u32_e64 s0, v22
	s_cbranch_execnz .LBB400_142
.LBB400_131:
	s_or_b32 exec_lo, exec_lo, s1
	s_delay_alu instid0(SALU_CYCLE_1)
	s_mov_b32 s1, exec_lo
	v_cmpx_gt_u32_e64 s0, v24
	s_cbranch_execnz .LBB400_143
.LBB400_132:
	s_or_b32 exec_lo, exec_lo, s1
	s_delay_alu instid0(SALU_CYCLE_1)
	s_mov_b32 s1, exec_lo
	v_cmpx_gt_u32_e64 s0, v23
	s_cbranch_execnz .LBB400_144
.LBB400_133:
	s_or_b32 exec_lo, exec_lo, s1
	s_delay_alu instid0(SALU_CYCLE_1)
	s_mov_b32 s1, exec_lo
	v_cmpx_gt_u32_e64 s0, v19
	s_cbranch_execnz .LBB400_145
.LBB400_134:
	s_or_b32 exec_lo, exec_lo, s1
	s_delay_alu instid0(SALU_CYCLE_1)
	s_mov_b32 s1, exec_lo
	v_cmpx_gt_u32_e64 s0, v18
	s_cbranch_execz .LBB400_136
.LBB400_135:
	s_wait_dscnt 0x1
	global_store_b64 v[2:3], v[6:7], off offset:6144
.LBB400_136:
	s_wait_xcnt 0x0
	s_or_b32 exec_lo, exec_lo, s1
	v_cmp_gt_u32_e64 s0, s0, v1
.LBB400_137:
	s_wait_xcnt 0x0
	s_delay_alu instid0(VALU_DEP_1)
	s_and_saveexec_b32 s1, s0
	s_cbranch_execz .LBB400_139
; %bb.138:
	s_wait_dscnt 0x0
	global_store_b64 v[2:3], v[4:5], off offset:7168
.LBB400_139:
	s_endpgm
.LBB400_140:
	ds_load_b64 v[20:21], v26
	s_wait_dscnt 0x0
	global_store_b64 v[2:3], v[20:21], off
	s_wait_xcnt 0x0
	s_or_b32 exec_lo, exec_lo, s1
	s_delay_alu instid0(SALU_CYCLE_1)
	s_mov_b32 s1, exec_lo
	v_cmpx_gt_u32_e64 s0, v25
	s_cbranch_execz .LBB400_130
.LBB400_141:
	s_wait_dscnt 0x6
	global_store_b64 v[2:3], v[16:17], off offset:1024
	s_wait_xcnt 0x0
	s_or_b32 exec_lo, exec_lo, s1
	s_delay_alu instid0(SALU_CYCLE_1)
	s_mov_b32 s1, exec_lo
	v_cmpx_gt_u32_e64 s0, v22
	s_cbranch_execz .LBB400_131
.LBB400_142:
	s_wait_dscnt 0x5
	global_store_b64 v[2:3], v[14:15], off offset:2048
	s_wait_xcnt 0x0
	s_or_b32 exec_lo, exec_lo, s1
	s_delay_alu instid0(SALU_CYCLE_1)
	s_mov_b32 s1, exec_lo
	v_cmpx_gt_u32_e64 s0, v24
	s_cbranch_execz .LBB400_132
.LBB400_143:
	s_wait_dscnt 0x4
	global_store_b64 v[2:3], v[12:13], off offset:3072
	s_wait_xcnt 0x0
	s_or_b32 exec_lo, exec_lo, s1
	s_delay_alu instid0(SALU_CYCLE_1)
	s_mov_b32 s1, exec_lo
	v_cmpx_gt_u32_e64 s0, v23
	s_cbranch_execz .LBB400_133
.LBB400_144:
	s_wait_dscnt 0x3
	global_store_b64 v[2:3], v[10:11], off offset:4096
	s_wait_xcnt 0x0
	s_or_b32 exec_lo, exec_lo, s1
	s_delay_alu instid0(SALU_CYCLE_1)
	s_mov_b32 s1, exec_lo
	v_cmpx_gt_u32_e64 s0, v19
	s_cbranch_execz .LBB400_134
.LBB400_145:
	s_wait_dscnt 0x2
	global_store_b64 v[2:3], v[8:9], off offset:5120
	s_wait_xcnt 0x0
	s_or_b32 exec_lo, exec_lo, s1
	s_delay_alu instid0(SALU_CYCLE_1)
	s_mov_b32 s1, exec_lo
	v_cmpx_gt_u32_e64 s0, v18
	s_cbranch_execnz .LBB400_135
	s_branch .LBB400_136
	.section	.rodata,"a",@progbits
	.p2align	6, 0x0
	.amdhsa_kernel _ZN7rocprim17ROCPRIM_400000_NS6detail17trampoline_kernelINS0_14default_configENS1_38merge_sort_block_merge_config_selectorIlNS0_10empty_typeEEEZZNS1_27merge_sort_block_merge_implIS3_PlPS5_mZN2at6native12_GLOBAL__N_124unique_dim_cuda_templateIiEESt5tupleIJNSA_6TensorESF_SF_EERKSF_lbbbEUlllE_EE10hipError_tT0_T1_T2_jT3_P12ihipStream_tbPNSt15iterator_traitsISL_E10value_typeEPNSR_ISM_E10value_typeEPSN_NS1_7vsmem_tEENKUlT_SL_SM_SN_E_clIS8_S8_S9_S9_EESK_S10_SL_SM_SN_EUlS10_E0_NS1_11comp_targetILNS1_3genE0ELNS1_11target_archE4294967295ELNS1_3gpuE0ELNS1_3repE0EEENS1_38merge_mergepath_config_static_selectorELNS0_4arch9wavefront6targetE0EEEvSM_
		.amdhsa_group_segment_fixed_size 8448
		.amdhsa_private_segment_fixed_size 0
		.amdhsa_kernarg_size 344
		.amdhsa_user_sgpr_count 2
		.amdhsa_user_sgpr_dispatch_ptr 0
		.amdhsa_user_sgpr_queue_ptr 0
		.amdhsa_user_sgpr_kernarg_segment_ptr 1
		.amdhsa_user_sgpr_dispatch_id 0
		.amdhsa_user_sgpr_kernarg_preload_length 0
		.amdhsa_user_sgpr_kernarg_preload_offset 0
		.amdhsa_user_sgpr_private_segment_size 0
		.amdhsa_wavefront_size32 1
		.amdhsa_uses_dynamic_stack 0
		.amdhsa_enable_private_segment 0
		.amdhsa_system_sgpr_workgroup_id_x 1
		.amdhsa_system_sgpr_workgroup_id_y 1
		.amdhsa_system_sgpr_workgroup_id_z 1
		.amdhsa_system_sgpr_workgroup_info 0
		.amdhsa_system_vgpr_workitem_id 0
		.amdhsa_next_free_vgpr 40
		.amdhsa_next_free_sgpr 31
		.amdhsa_named_barrier_count 0
		.amdhsa_reserve_vcc 1
		.amdhsa_float_round_mode_32 0
		.amdhsa_float_round_mode_16_64 0
		.amdhsa_float_denorm_mode_32 3
		.amdhsa_float_denorm_mode_16_64 3
		.amdhsa_fp16_overflow 0
		.amdhsa_memory_ordered 1
		.amdhsa_forward_progress 1
		.amdhsa_inst_pref_size 53
		.amdhsa_round_robin_scheduling 0
		.amdhsa_exception_fp_ieee_invalid_op 0
		.amdhsa_exception_fp_denorm_src 0
		.amdhsa_exception_fp_ieee_div_zero 0
		.amdhsa_exception_fp_ieee_overflow 0
		.amdhsa_exception_fp_ieee_underflow 0
		.amdhsa_exception_fp_ieee_inexact 0
		.amdhsa_exception_int_div_zero 0
	.end_amdhsa_kernel
	.section	.text._ZN7rocprim17ROCPRIM_400000_NS6detail17trampoline_kernelINS0_14default_configENS1_38merge_sort_block_merge_config_selectorIlNS0_10empty_typeEEEZZNS1_27merge_sort_block_merge_implIS3_PlPS5_mZN2at6native12_GLOBAL__N_124unique_dim_cuda_templateIiEESt5tupleIJNSA_6TensorESF_SF_EERKSF_lbbbEUlllE_EE10hipError_tT0_T1_T2_jT3_P12ihipStream_tbPNSt15iterator_traitsISL_E10value_typeEPNSR_ISM_E10value_typeEPSN_NS1_7vsmem_tEENKUlT_SL_SM_SN_E_clIS8_S8_S9_S9_EESK_S10_SL_SM_SN_EUlS10_E0_NS1_11comp_targetILNS1_3genE0ELNS1_11target_archE4294967295ELNS1_3gpuE0ELNS1_3repE0EEENS1_38merge_mergepath_config_static_selectorELNS0_4arch9wavefront6targetE0EEEvSM_,"axG",@progbits,_ZN7rocprim17ROCPRIM_400000_NS6detail17trampoline_kernelINS0_14default_configENS1_38merge_sort_block_merge_config_selectorIlNS0_10empty_typeEEEZZNS1_27merge_sort_block_merge_implIS3_PlPS5_mZN2at6native12_GLOBAL__N_124unique_dim_cuda_templateIiEESt5tupleIJNSA_6TensorESF_SF_EERKSF_lbbbEUlllE_EE10hipError_tT0_T1_T2_jT3_P12ihipStream_tbPNSt15iterator_traitsISL_E10value_typeEPNSR_ISM_E10value_typeEPSN_NS1_7vsmem_tEENKUlT_SL_SM_SN_E_clIS8_S8_S9_S9_EESK_S10_SL_SM_SN_EUlS10_E0_NS1_11comp_targetILNS1_3genE0ELNS1_11target_archE4294967295ELNS1_3gpuE0ELNS1_3repE0EEENS1_38merge_mergepath_config_static_selectorELNS0_4arch9wavefront6targetE0EEEvSM_,comdat
.Lfunc_end400:
	.size	_ZN7rocprim17ROCPRIM_400000_NS6detail17trampoline_kernelINS0_14default_configENS1_38merge_sort_block_merge_config_selectorIlNS0_10empty_typeEEEZZNS1_27merge_sort_block_merge_implIS3_PlPS5_mZN2at6native12_GLOBAL__N_124unique_dim_cuda_templateIiEESt5tupleIJNSA_6TensorESF_SF_EERKSF_lbbbEUlllE_EE10hipError_tT0_T1_T2_jT3_P12ihipStream_tbPNSt15iterator_traitsISL_E10value_typeEPNSR_ISM_E10value_typeEPSN_NS1_7vsmem_tEENKUlT_SL_SM_SN_E_clIS8_S8_S9_S9_EESK_S10_SL_SM_SN_EUlS10_E0_NS1_11comp_targetILNS1_3genE0ELNS1_11target_archE4294967295ELNS1_3gpuE0ELNS1_3repE0EEENS1_38merge_mergepath_config_static_selectorELNS0_4arch9wavefront6targetE0EEEvSM_, .Lfunc_end400-_ZN7rocprim17ROCPRIM_400000_NS6detail17trampoline_kernelINS0_14default_configENS1_38merge_sort_block_merge_config_selectorIlNS0_10empty_typeEEEZZNS1_27merge_sort_block_merge_implIS3_PlPS5_mZN2at6native12_GLOBAL__N_124unique_dim_cuda_templateIiEESt5tupleIJNSA_6TensorESF_SF_EERKSF_lbbbEUlllE_EE10hipError_tT0_T1_T2_jT3_P12ihipStream_tbPNSt15iterator_traitsISL_E10value_typeEPNSR_ISM_E10value_typeEPSN_NS1_7vsmem_tEENKUlT_SL_SM_SN_E_clIS8_S8_S9_S9_EESK_S10_SL_SM_SN_EUlS10_E0_NS1_11comp_targetILNS1_3genE0ELNS1_11target_archE4294967295ELNS1_3gpuE0ELNS1_3repE0EEENS1_38merge_mergepath_config_static_selectorELNS0_4arch9wavefront6targetE0EEEvSM_
                                        ; -- End function
	.set _ZN7rocprim17ROCPRIM_400000_NS6detail17trampoline_kernelINS0_14default_configENS1_38merge_sort_block_merge_config_selectorIlNS0_10empty_typeEEEZZNS1_27merge_sort_block_merge_implIS3_PlPS5_mZN2at6native12_GLOBAL__N_124unique_dim_cuda_templateIiEESt5tupleIJNSA_6TensorESF_SF_EERKSF_lbbbEUlllE_EE10hipError_tT0_T1_T2_jT3_P12ihipStream_tbPNSt15iterator_traitsISL_E10value_typeEPNSR_ISM_E10value_typeEPSN_NS1_7vsmem_tEENKUlT_SL_SM_SN_E_clIS8_S8_S9_S9_EESK_S10_SL_SM_SN_EUlS10_E0_NS1_11comp_targetILNS1_3genE0ELNS1_11target_archE4294967295ELNS1_3gpuE0ELNS1_3repE0EEENS1_38merge_mergepath_config_static_selectorELNS0_4arch9wavefront6targetE0EEEvSM_.num_vgpr, 40
	.set _ZN7rocprim17ROCPRIM_400000_NS6detail17trampoline_kernelINS0_14default_configENS1_38merge_sort_block_merge_config_selectorIlNS0_10empty_typeEEEZZNS1_27merge_sort_block_merge_implIS3_PlPS5_mZN2at6native12_GLOBAL__N_124unique_dim_cuda_templateIiEESt5tupleIJNSA_6TensorESF_SF_EERKSF_lbbbEUlllE_EE10hipError_tT0_T1_T2_jT3_P12ihipStream_tbPNSt15iterator_traitsISL_E10value_typeEPNSR_ISM_E10value_typeEPSN_NS1_7vsmem_tEENKUlT_SL_SM_SN_E_clIS8_S8_S9_S9_EESK_S10_SL_SM_SN_EUlS10_E0_NS1_11comp_targetILNS1_3genE0ELNS1_11target_archE4294967295ELNS1_3gpuE0ELNS1_3repE0EEENS1_38merge_mergepath_config_static_selectorELNS0_4arch9wavefront6targetE0EEEvSM_.num_agpr, 0
	.set _ZN7rocprim17ROCPRIM_400000_NS6detail17trampoline_kernelINS0_14default_configENS1_38merge_sort_block_merge_config_selectorIlNS0_10empty_typeEEEZZNS1_27merge_sort_block_merge_implIS3_PlPS5_mZN2at6native12_GLOBAL__N_124unique_dim_cuda_templateIiEESt5tupleIJNSA_6TensorESF_SF_EERKSF_lbbbEUlllE_EE10hipError_tT0_T1_T2_jT3_P12ihipStream_tbPNSt15iterator_traitsISL_E10value_typeEPNSR_ISM_E10value_typeEPSN_NS1_7vsmem_tEENKUlT_SL_SM_SN_E_clIS8_S8_S9_S9_EESK_S10_SL_SM_SN_EUlS10_E0_NS1_11comp_targetILNS1_3genE0ELNS1_11target_archE4294967295ELNS1_3gpuE0ELNS1_3repE0EEENS1_38merge_mergepath_config_static_selectorELNS0_4arch9wavefront6targetE0EEEvSM_.numbered_sgpr, 31
	.set _ZN7rocprim17ROCPRIM_400000_NS6detail17trampoline_kernelINS0_14default_configENS1_38merge_sort_block_merge_config_selectorIlNS0_10empty_typeEEEZZNS1_27merge_sort_block_merge_implIS3_PlPS5_mZN2at6native12_GLOBAL__N_124unique_dim_cuda_templateIiEESt5tupleIJNSA_6TensorESF_SF_EERKSF_lbbbEUlllE_EE10hipError_tT0_T1_T2_jT3_P12ihipStream_tbPNSt15iterator_traitsISL_E10value_typeEPNSR_ISM_E10value_typeEPSN_NS1_7vsmem_tEENKUlT_SL_SM_SN_E_clIS8_S8_S9_S9_EESK_S10_SL_SM_SN_EUlS10_E0_NS1_11comp_targetILNS1_3genE0ELNS1_11target_archE4294967295ELNS1_3gpuE0ELNS1_3repE0EEENS1_38merge_mergepath_config_static_selectorELNS0_4arch9wavefront6targetE0EEEvSM_.num_named_barrier, 0
	.set _ZN7rocprim17ROCPRIM_400000_NS6detail17trampoline_kernelINS0_14default_configENS1_38merge_sort_block_merge_config_selectorIlNS0_10empty_typeEEEZZNS1_27merge_sort_block_merge_implIS3_PlPS5_mZN2at6native12_GLOBAL__N_124unique_dim_cuda_templateIiEESt5tupleIJNSA_6TensorESF_SF_EERKSF_lbbbEUlllE_EE10hipError_tT0_T1_T2_jT3_P12ihipStream_tbPNSt15iterator_traitsISL_E10value_typeEPNSR_ISM_E10value_typeEPSN_NS1_7vsmem_tEENKUlT_SL_SM_SN_E_clIS8_S8_S9_S9_EESK_S10_SL_SM_SN_EUlS10_E0_NS1_11comp_targetILNS1_3genE0ELNS1_11target_archE4294967295ELNS1_3gpuE0ELNS1_3repE0EEENS1_38merge_mergepath_config_static_selectorELNS0_4arch9wavefront6targetE0EEEvSM_.private_seg_size, 0
	.set _ZN7rocprim17ROCPRIM_400000_NS6detail17trampoline_kernelINS0_14default_configENS1_38merge_sort_block_merge_config_selectorIlNS0_10empty_typeEEEZZNS1_27merge_sort_block_merge_implIS3_PlPS5_mZN2at6native12_GLOBAL__N_124unique_dim_cuda_templateIiEESt5tupleIJNSA_6TensorESF_SF_EERKSF_lbbbEUlllE_EE10hipError_tT0_T1_T2_jT3_P12ihipStream_tbPNSt15iterator_traitsISL_E10value_typeEPNSR_ISM_E10value_typeEPSN_NS1_7vsmem_tEENKUlT_SL_SM_SN_E_clIS8_S8_S9_S9_EESK_S10_SL_SM_SN_EUlS10_E0_NS1_11comp_targetILNS1_3genE0ELNS1_11target_archE4294967295ELNS1_3gpuE0ELNS1_3repE0EEENS1_38merge_mergepath_config_static_selectorELNS0_4arch9wavefront6targetE0EEEvSM_.uses_vcc, 1
	.set _ZN7rocprim17ROCPRIM_400000_NS6detail17trampoline_kernelINS0_14default_configENS1_38merge_sort_block_merge_config_selectorIlNS0_10empty_typeEEEZZNS1_27merge_sort_block_merge_implIS3_PlPS5_mZN2at6native12_GLOBAL__N_124unique_dim_cuda_templateIiEESt5tupleIJNSA_6TensorESF_SF_EERKSF_lbbbEUlllE_EE10hipError_tT0_T1_T2_jT3_P12ihipStream_tbPNSt15iterator_traitsISL_E10value_typeEPNSR_ISM_E10value_typeEPSN_NS1_7vsmem_tEENKUlT_SL_SM_SN_E_clIS8_S8_S9_S9_EESK_S10_SL_SM_SN_EUlS10_E0_NS1_11comp_targetILNS1_3genE0ELNS1_11target_archE4294967295ELNS1_3gpuE0ELNS1_3repE0EEENS1_38merge_mergepath_config_static_selectorELNS0_4arch9wavefront6targetE0EEEvSM_.uses_flat_scratch, 0
	.set _ZN7rocprim17ROCPRIM_400000_NS6detail17trampoline_kernelINS0_14default_configENS1_38merge_sort_block_merge_config_selectorIlNS0_10empty_typeEEEZZNS1_27merge_sort_block_merge_implIS3_PlPS5_mZN2at6native12_GLOBAL__N_124unique_dim_cuda_templateIiEESt5tupleIJNSA_6TensorESF_SF_EERKSF_lbbbEUlllE_EE10hipError_tT0_T1_T2_jT3_P12ihipStream_tbPNSt15iterator_traitsISL_E10value_typeEPNSR_ISM_E10value_typeEPSN_NS1_7vsmem_tEENKUlT_SL_SM_SN_E_clIS8_S8_S9_S9_EESK_S10_SL_SM_SN_EUlS10_E0_NS1_11comp_targetILNS1_3genE0ELNS1_11target_archE4294967295ELNS1_3gpuE0ELNS1_3repE0EEENS1_38merge_mergepath_config_static_selectorELNS0_4arch9wavefront6targetE0EEEvSM_.has_dyn_sized_stack, 0
	.set _ZN7rocprim17ROCPRIM_400000_NS6detail17trampoline_kernelINS0_14default_configENS1_38merge_sort_block_merge_config_selectorIlNS0_10empty_typeEEEZZNS1_27merge_sort_block_merge_implIS3_PlPS5_mZN2at6native12_GLOBAL__N_124unique_dim_cuda_templateIiEESt5tupleIJNSA_6TensorESF_SF_EERKSF_lbbbEUlllE_EE10hipError_tT0_T1_T2_jT3_P12ihipStream_tbPNSt15iterator_traitsISL_E10value_typeEPNSR_ISM_E10value_typeEPSN_NS1_7vsmem_tEENKUlT_SL_SM_SN_E_clIS8_S8_S9_S9_EESK_S10_SL_SM_SN_EUlS10_E0_NS1_11comp_targetILNS1_3genE0ELNS1_11target_archE4294967295ELNS1_3gpuE0ELNS1_3repE0EEENS1_38merge_mergepath_config_static_selectorELNS0_4arch9wavefront6targetE0EEEvSM_.has_recursion, 0
	.set _ZN7rocprim17ROCPRIM_400000_NS6detail17trampoline_kernelINS0_14default_configENS1_38merge_sort_block_merge_config_selectorIlNS0_10empty_typeEEEZZNS1_27merge_sort_block_merge_implIS3_PlPS5_mZN2at6native12_GLOBAL__N_124unique_dim_cuda_templateIiEESt5tupleIJNSA_6TensorESF_SF_EERKSF_lbbbEUlllE_EE10hipError_tT0_T1_T2_jT3_P12ihipStream_tbPNSt15iterator_traitsISL_E10value_typeEPNSR_ISM_E10value_typeEPSN_NS1_7vsmem_tEENKUlT_SL_SM_SN_E_clIS8_S8_S9_S9_EESK_S10_SL_SM_SN_EUlS10_E0_NS1_11comp_targetILNS1_3genE0ELNS1_11target_archE4294967295ELNS1_3gpuE0ELNS1_3repE0EEENS1_38merge_mergepath_config_static_selectorELNS0_4arch9wavefront6targetE0EEEvSM_.has_indirect_call, 0
	.section	.AMDGPU.csdata,"",@progbits
; Kernel info:
; codeLenInByte = 6748
; TotalNumSgprs: 33
; NumVgprs: 40
; ScratchSize: 0
; MemoryBound: 0
; FloatMode: 240
; IeeeMode: 1
; LDSByteSize: 8448 bytes/workgroup (compile time only)
; SGPRBlocks: 0
; VGPRBlocks: 2
; NumSGPRsForWavesPerEU: 33
; NumVGPRsForWavesPerEU: 40
; NamedBarCnt: 0
; Occupancy: 16
; WaveLimiterHint : 1
; COMPUTE_PGM_RSRC2:SCRATCH_EN: 0
; COMPUTE_PGM_RSRC2:USER_SGPR: 2
; COMPUTE_PGM_RSRC2:TRAP_HANDLER: 0
; COMPUTE_PGM_RSRC2:TGID_X_EN: 1
; COMPUTE_PGM_RSRC2:TGID_Y_EN: 1
; COMPUTE_PGM_RSRC2:TGID_Z_EN: 1
; COMPUTE_PGM_RSRC2:TIDIG_COMP_CNT: 0
	.section	.text._ZN7rocprim17ROCPRIM_400000_NS6detail17trampoline_kernelINS0_14default_configENS1_38merge_sort_block_merge_config_selectorIlNS0_10empty_typeEEEZZNS1_27merge_sort_block_merge_implIS3_PlPS5_mZN2at6native12_GLOBAL__N_124unique_dim_cuda_templateIiEESt5tupleIJNSA_6TensorESF_SF_EERKSF_lbbbEUlllE_EE10hipError_tT0_T1_T2_jT3_P12ihipStream_tbPNSt15iterator_traitsISL_E10value_typeEPNSR_ISM_E10value_typeEPSN_NS1_7vsmem_tEENKUlT_SL_SM_SN_E_clIS8_S8_S9_S9_EESK_S10_SL_SM_SN_EUlS10_E0_NS1_11comp_targetILNS1_3genE10ELNS1_11target_archE1201ELNS1_3gpuE5ELNS1_3repE0EEENS1_38merge_mergepath_config_static_selectorELNS0_4arch9wavefront6targetE0EEEvSM_,"axG",@progbits,_ZN7rocprim17ROCPRIM_400000_NS6detail17trampoline_kernelINS0_14default_configENS1_38merge_sort_block_merge_config_selectorIlNS0_10empty_typeEEEZZNS1_27merge_sort_block_merge_implIS3_PlPS5_mZN2at6native12_GLOBAL__N_124unique_dim_cuda_templateIiEESt5tupleIJNSA_6TensorESF_SF_EERKSF_lbbbEUlllE_EE10hipError_tT0_T1_T2_jT3_P12ihipStream_tbPNSt15iterator_traitsISL_E10value_typeEPNSR_ISM_E10value_typeEPSN_NS1_7vsmem_tEENKUlT_SL_SM_SN_E_clIS8_S8_S9_S9_EESK_S10_SL_SM_SN_EUlS10_E0_NS1_11comp_targetILNS1_3genE10ELNS1_11target_archE1201ELNS1_3gpuE5ELNS1_3repE0EEENS1_38merge_mergepath_config_static_selectorELNS0_4arch9wavefront6targetE0EEEvSM_,comdat
	.globl	_ZN7rocprim17ROCPRIM_400000_NS6detail17trampoline_kernelINS0_14default_configENS1_38merge_sort_block_merge_config_selectorIlNS0_10empty_typeEEEZZNS1_27merge_sort_block_merge_implIS3_PlPS5_mZN2at6native12_GLOBAL__N_124unique_dim_cuda_templateIiEESt5tupleIJNSA_6TensorESF_SF_EERKSF_lbbbEUlllE_EE10hipError_tT0_T1_T2_jT3_P12ihipStream_tbPNSt15iterator_traitsISL_E10value_typeEPNSR_ISM_E10value_typeEPSN_NS1_7vsmem_tEENKUlT_SL_SM_SN_E_clIS8_S8_S9_S9_EESK_S10_SL_SM_SN_EUlS10_E0_NS1_11comp_targetILNS1_3genE10ELNS1_11target_archE1201ELNS1_3gpuE5ELNS1_3repE0EEENS1_38merge_mergepath_config_static_selectorELNS0_4arch9wavefront6targetE0EEEvSM_ ; -- Begin function _ZN7rocprim17ROCPRIM_400000_NS6detail17trampoline_kernelINS0_14default_configENS1_38merge_sort_block_merge_config_selectorIlNS0_10empty_typeEEEZZNS1_27merge_sort_block_merge_implIS3_PlPS5_mZN2at6native12_GLOBAL__N_124unique_dim_cuda_templateIiEESt5tupleIJNSA_6TensorESF_SF_EERKSF_lbbbEUlllE_EE10hipError_tT0_T1_T2_jT3_P12ihipStream_tbPNSt15iterator_traitsISL_E10value_typeEPNSR_ISM_E10value_typeEPSN_NS1_7vsmem_tEENKUlT_SL_SM_SN_E_clIS8_S8_S9_S9_EESK_S10_SL_SM_SN_EUlS10_E0_NS1_11comp_targetILNS1_3genE10ELNS1_11target_archE1201ELNS1_3gpuE5ELNS1_3repE0EEENS1_38merge_mergepath_config_static_selectorELNS0_4arch9wavefront6targetE0EEEvSM_
	.p2align	8
	.type	_ZN7rocprim17ROCPRIM_400000_NS6detail17trampoline_kernelINS0_14default_configENS1_38merge_sort_block_merge_config_selectorIlNS0_10empty_typeEEEZZNS1_27merge_sort_block_merge_implIS3_PlPS5_mZN2at6native12_GLOBAL__N_124unique_dim_cuda_templateIiEESt5tupleIJNSA_6TensorESF_SF_EERKSF_lbbbEUlllE_EE10hipError_tT0_T1_T2_jT3_P12ihipStream_tbPNSt15iterator_traitsISL_E10value_typeEPNSR_ISM_E10value_typeEPSN_NS1_7vsmem_tEENKUlT_SL_SM_SN_E_clIS8_S8_S9_S9_EESK_S10_SL_SM_SN_EUlS10_E0_NS1_11comp_targetILNS1_3genE10ELNS1_11target_archE1201ELNS1_3gpuE5ELNS1_3repE0EEENS1_38merge_mergepath_config_static_selectorELNS0_4arch9wavefront6targetE0EEEvSM_,@function
_ZN7rocprim17ROCPRIM_400000_NS6detail17trampoline_kernelINS0_14default_configENS1_38merge_sort_block_merge_config_selectorIlNS0_10empty_typeEEEZZNS1_27merge_sort_block_merge_implIS3_PlPS5_mZN2at6native12_GLOBAL__N_124unique_dim_cuda_templateIiEESt5tupleIJNSA_6TensorESF_SF_EERKSF_lbbbEUlllE_EE10hipError_tT0_T1_T2_jT3_P12ihipStream_tbPNSt15iterator_traitsISL_E10value_typeEPNSR_ISM_E10value_typeEPSN_NS1_7vsmem_tEENKUlT_SL_SM_SN_E_clIS8_S8_S9_S9_EESK_S10_SL_SM_SN_EUlS10_E0_NS1_11comp_targetILNS1_3genE10ELNS1_11target_archE1201ELNS1_3gpuE5ELNS1_3repE0EEENS1_38merge_mergepath_config_static_selectorELNS0_4arch9wavefront6targetE0EEEvSM_: ; @_ZN7rocprim17ROCPRIM_400000_NS6detail17trampoline_kernelINS0_14default_configENS1_38merge_sort_block_merge_config_selectorIlNS0_10empty_typeEEEZZNS1_27merge_sort_block_merge_implIS3_PlPS5_mZN2at6native12_GLOBAL__N_124unique_dim_cuda_templateIiEESt5tupleIJNSA_6TensorESF_SF_EERKSF_lbbbEUlllE_EE10hipError_tT0_T1_T2_jT3_P12ihipStream_tbPNSt15iterator_traitsISL_E10value_typeEPNSR_ISM_E10value_typeEPSN_NS1_7vsmem_tEENKUlT_SL_SM_SN_E_clIS8_S8_S9_S9_EESK_S10_SL_SM_SN_EUlS10_E0_NS1_11comp_targetILNS1_3genE10ELNS1_11target_archE1201ELNS1_3gpuE5ELNS1_3repE0EEENS1_38merge_mergepath_config_static_selectorELNS0_4arch9wavefront6targetE0EEEvSM_
; %bb.0:
	.section	.rodata,"a",@progbits
	.p2align	6, 0x0
	.amdhsa_kernel _ZN7rocprim17ROCPRIM_400000_NS6detail17trampoline_kernelINS0_14default_configENS1_38merge_sort_block_merge_config_selectorIlNS0_10empty_typeEEEZZNS1_27merge_sort_block_merge_implIS3_PlPS5_mZN2at6native12_GLOBAL__N_124unique_dim_cuda_templateIiEESt5tupleIJNSA_6TensorESF_SF_EERKSF_lbbbEUlllE_EE10hipError_tT0_T1_T2_jT3_P12ihipStream_tbPNSt15iterator_traitsISL_E10value_typeEPNSR_ISM_E10value_typeEPSN_NS1_7vsmem_tEENKUlT_SL_SM_SN_E_clIS8_S8_S9_S9_EESK_S10_SL_SM_SN_EUlS10_E0_NS1_11comp_targetILNS1_3genE10ELNS1_11target_archE1201ELNS1_3gpuE5ELNS1_3repE0EEENS1_38merge_mergepath_config_static_selectorELNS0_4arch9wavefront6targetE0EEEvSM_
		.amdhsa_group_segment_fixed_size 0
		.amdhsa_private_segment_fixed_size 0
		.amdhsa_kernarg_size 88
		.amdhsa_user_sgpr_count 2
		.amdhsa_user_sgpr_dispatch_ptr 0
		.amdhsa_user_sgpr_queue_ptr 0
		.amdhsa_user_sgpr_kernarg_segment_ptr 1
		.amdhsa_user_sgpr_dispatch_id 0
		.amdhsa_user_sgpr_kernarg_preload_length 0
		.amdhsa_user_sgpr_kernarg_preload_offset 0
		.amdhsa_user_sgpr_private_segment_size 0
		.amdhsa_wavefront_size32 1
		.amdhsa_uses_dynamic_stack 0
		.amdhsa_enable_private_segment 0
		.amdhsa_system_sgpr_workgroup_id_x 1
		.amdhsa_system_sgpr_workgroup_id_y 0
		.amdhsa_system_sgpr_workgroup_id_z 0
		.amdhsa_system_sgpr_workgroup_info 0
		.amdhsa_system_vgpr_workitem_id 0
		.amdhsa_next_free_vgpr 1
		.amdhsa_next_free_sgpr 1
		.amdhsa_named_barrier_count 0
		.amdhsa_reserve_vcc 0
		.amdhsa_float_round_mode_32 0
		.amdhsa_float_round_mode_16_64 0
		.amdhsa_float_denorm_mode_32 3
		.amdhsa_float_denorm_mode_16_64 3
		.amdhsa_fp16_overflow 0
		.amdhsa_memory_ordered 1
		.amdhsa_forward_progress 1
		.amdhsa_inst_pref_size 0
		.amdhsa_round_robin_scheduling 0
		.amdhsa_exception_fp_ieee_invalid_op 0
		.amdhsa_exception_fp_denorm_src 0
		.amdhsa_exception_fp_ieee_div_zero 0
		.amdhsa_exception_fp_ieee_overflow 0
		.amdhsa_exception_fp_ieee_underflow 0
		.amdhsa_exception_fp_ieee_inexact 0
		.amdhsa_exception_int_div_zero 0
	.end_amdhsa_kernel
	.section	.text._ZN7rocprim17ROCPRIM_400000_NS6detail17trampoline_kernelINS0_14default_configENS1_38merge_sort_block_merge_config_selectorIlNS0_10empty_typeEEEZZNS1_27merge_sort_block_merge_implIS3_PlPS5_mZN2at6native12_GLOBAL__N_124unique_dim_cuda_templateIiEESt5tupleIJNSA_6TensorESF_SF_EERKSF_lbbbEUlllE_EE10hipError_tT0_T1_T2_jT3_P12ihipStream_tbPNSt15iterator_traitsISL_E10value_typeEPNSR_ISM_E10value_typeEPSN_NS1_7vsmem_tEENKUlT_SL_SM_SN_E_clIS8_S8_S9_S9_EESK_S10_SL_SM_SN_EUlS10_E0_NS1_11comp_targetILNS1_3genE10ELNS1_11target_archE1201ELNS1_3gpuE5ELNS1_3repE0EEENS1_38merge_mergepath_config_static_selectorELNS0_4arch9wavefront6targetE0EEEvSM_,"axG",@progbits,_ZN7rocprim17ROCPRIM_400000_NS6detail17trampoline_kernelINS0_14default_configENS1_38merge_sort_block_merge_config_selectorIlNS0_10empty_typeEEEZZNS1_27merge_sort_block_merge_implIS3_PlPS5_mZN2at6native12_GLOBAL__N_124unique_dim_cuda_templateIiEESt5tupleIJNSA_6TensorESF_SF_EERKSF_lbbbEUlllE_EE10hipError_tT0_T1_T2_jT3_P12ihipStream_tbPNSt15iterator_traitsISL_E10value_typeEPNSR_ISM_E10value_typeEPSN_NS1_7vsmem_tEENKUlT_SL_SM_SN_E_clIS8_S8_S9_S9_EESK_S10_SL_SM_SN_EUlS10_E0_NS1_11comp_targetILNS1_3genE10ELNS1_11target_archE1201ELNS1_3gpuE5ELNS1_3repE0EEENS1_38merge_mergepath_config_static_selectorELNS0_4arch9wavefront6targetE0EEEvSM_,comdat
.Lfunc_end401:
	.size	_ZN7rocprim17ROCPRIM_400000_NS6detail17trampoline_kernelINS0_14default_configENS1_38merge_sort_block_merge_config_selectorIlNS0_10empty_typeEEEZZNS1_27merge_sort_block_merge_implIS3_PlPS5_mZN2at6native12_GLOBAL__N_124unique_dim_cuda_templateIiEESt5tupleIJNSA_6TensorESF_SF_EERKSF_lbbbEUlllE_EE10hipError_tT0_T1_T2_jT3_P12ihipStream_tbPNSt15iterator_traitsISL_E10value_typeEPNSR_ISM_E10value_typeEPSN_NS1_7vsmem_tEENKUlT_SL_SM_SN_E_clIS8_S8_S9_S9_EESK_S10_SL_SM_SN_EUlS10_E0_NS1_11comp_targetILNS1_3genE10ELNS1_11target_archE1201ELNS1_3gpuE5ELNS1_3repE0EEENS1_38merge_mergepath_config_static_selectorELNS0_4arch9wavefront6targetE0EEEvSM_, .Lfunc_end401-_ZN7rocprim17ROCPRIM_400000_NS6detail17trampoline_kernelINS0_14default_configENS1_38merge_sort_block_merge_config_selectorIlNS0_10empty_typeEEEZZNS1_27merge_sort_block_merge_implIS3_PlPS5_mZN2at6native12_GLOBAL__N_124unique_dim_cuda_templateIiEESt5tupleIJNSA_6TensorESF_SF_EERKSF_lbbbEUlllE_EE10hipError_tT0_T1_T2_jT3_P12ihipStream_tbPNSt15iterator_traitsISL_E10value_typeEPNSR_ISM_E10value_typeEPSN_NS1_7vsmem_tEENKUlT_SL_SM_SN_E_clIS8_S8_S9_S9_EESK_S10_SL_SM_SN_EUlS10_E0_NS1_11comp_targetILNS1_3genE10ELNS1_11target_archE1201ELNS1_3gpuE5ELNS1_3repE0EEENS1_38merge_mergepath_config_static_selectorELNS0_4arch9wavefront6targetE0EEEvSM_
                                        ; -- End function
	.set _ZN7rocprim17ROCPRIM_400000_NS6detail17trampoline_kernelINS0_14default_configENS1_38merge_sort_block_merge_config_selectorIlNS0_10empty_typeEEEZZNS1_27merge_sort_block_merge_implIS3_PlPS5_mZN2at6native12_GLOBAL__N_124unique_dim_cuda_templateIiEESt5tupleIJNSA_6TensorESF_SF_EERKSF_lbbbEUlllE_EE10hipError_tT0_T1_T2_jT3_P12ihipStream_tbPNSt15iterator_traitsISL_E10value_typeEPNSR_ISM_E10value_typeEPSN_NS1_7vsmem_tEENKUlT_SL_SM_SN_E_clIS8_S8_S9_S9_EESK_S10_SL_SM_SN_EUlS10_E0_NS1_11comp_targetILNS1_3genE10ELNS1_11target_archE1201ELNS1_3gpuE5ELNS1_3repE0EEENS1_38merge_mergepath_config_static_selectorELNS0_4arch9wavefront6targetE0EEEvSM_.num_vgpr, 0
	.set _ZN7rocprim17ROCPRIM_400000_NS6detail17trampoline_kernelINS0_14default_configENS1_38merge_sort_block_merge_config_selectorIlNS0_10empty_typeEEEZZNS1_27merge_sort_block_merge_implIS3_PlPS5_mZN2at6native12_GLOBAL__N_124unique_dim_cuda_templateIiEESt5tupleIJNSA_6TensorESF_SF_EERKSF_lbbbEUlllE_EE10hipError_tT0_T1_T2_jT3_P12ihipStream_tbPNSt15iterator_traitsISL_E10value_typeEPNSR_ISM_E10value_typeEPSN_NS1_7vsmem_tEENKUlT_SL_SM_SN_E_clIS8_S8_S9_S9_EESK_S10_SL_SM_SN_EUlS10_E0_NS1_11comp_targetILNS1_3genE10ELNS1_11target_archE1201ELNS1_3gpuE5ELNS1_3repE0EEENS1_38merge_mergepath_config_static_selectorELNS0_4arch9wavefront6targetE0EEEvSM_.num_agpr, 0
	.set _ZN7rocprim17ROCPRIM_400000_NS6detail17trampoline_kernelINS0_14default_configENS1_38merge_sort_block_merge_config_selectorIlNS0_10empty_typeEEEZZNS1_27merge_sort_block_merge_implIS3_PlPS5_mZN2at6native12_GLOBAL__N_124unique_dim_cuda_templateIiEESt5tupleIJNSA_6TensorESF_SF_EERKSF_lbbbEUlllE_EE10hipError_tT0_T1_T2_jT3_P12ihipStream_tbPNSt15iterator_traitsISL_E10value_typeEPNSR_ISM_E10value_typeEPSN_NS1_7vsmem_tEENKUlT_SL_SM_SN_E_clIS8_S8_S9_S9_EESK_S10_SL_SM_SN_EUlS10_E0_NS1_11comp_targetILNS1_3genE10ELNS1_11target_archE1201ELNS1_3gpuE5ELNS1_3repE0EEENS1_38merge_mergepath_config_static_selectorELNS0_4arch9wavefront6targetE0EEEvSM_.numbered_sgpr, 0
	.set _ZN7rocprim17ROCPRIM_400000_NS6detail17trampoline_kernelINS0_14default_configENS1_38merge_sort_block_merge_config_selectorIlNS0_10empty_typeEEEZZNS1_27merge_sort_block_merge_implIS3_PlPS5_mZN2at6native12_GLOBAL__N_124unique_dim_cuda_templateIiEESt5tupleIJNSA_6TensorESF_SF_EERKSF_lbbbEUlllE_EE10hipError_tT0_T1_T2_jT3_P12ihipStream_tbPNSt15iterator_traitsISL_E10value_typeEPNSR_ISM_E10value_typeEPSN_NS1_7vsmem_tEENKUlT_SL_SM_SN_E_clIS8_S8_S9_S9_EESK_S10_SL_SM_SN_EUlS10_E0_NS1_11comp_targetILNS1_3genE10ELNS1_11target_archE1201ELNS1_3gpuE5ELNS1_3repE0EEENS1_38merge_mergepath_config_static_selectorELNS0_4arch9wavefront6targetE0EEEvSM_.num_named_barrier, 0
	.set _ZN7rocprim17ROCPRIM_400000_NS6detail17trampoline_kernelINS0_14default_configENS1_38merge_sort_block_merge_config_selectorIlNS0_10empty_typeEEEZZNS1_27merge_sort_block_merge_implIS3_PlPS5_mZN2at6native12_GLOBAL__N_124unique_dim_cuda_templateIiEESt5tupleIJNSA_6TensorESF_SF_EERKSF_lbbbEUlllE_EE10hipError_tT0_T1_T2_jT3_P12ihipStream_tbPNSt15iterator_traitsISL_E10value_typeEPNSR_ISM_E10value_typeEPSN_NS1_7vsmem_tEENKUlT_SL_SM_SN_E_clIS8_S8_S9_S9_EESK_S10_SL_SM_SN_EUlS10_E0_NS1_11comp_targetILNS1_3genE10ELNS1_11target_archE1201ELNS1_3gpuE5ELNS1_3repE0EEENS1_38merge_mergepath_config_static_selectorELNS0_4arch9wavefront6targetE0EEEvSM_.private_seg_size, 0
	.set _ZN7rocprim17ROCPRIM_400000_NS6detail17trampoline_kernelINS0_14default_configENS1_38merge_sort_block_merge_config_selectorIlNS0_10empty_typeEEEZZNS1_27merge_sort_block_merge_implIS3_PlPS5_mZN2at6native12_GLOBAL__N_124unique_dim_cuda_templateIiEESt5tupleIJNSA_6TensorESF_SF_EERKSF_lbbbEUlllE_EE10hipError_tT0_T1_T2_jT3_P12ihipStream_tbPNSt15iterator_traitsISL_E10value_typeEPNSR_ISM_E10value_typeEPSN_NS1_7vsmem_tEENKUlT_SL_SM_SN_E_clIS8_S8_S9_S9_EESK_S10_SL_SM_SN_EUlS10_E0_NS1_11comp_targetILNS1_3genE10ELNS1_11target_archE1201ELNS1_3gpuE5ELNS1_3repE0EEENS1_38merge_mergepath_config_static_selectorELNS0_4arch9wavefront6targetE0EEEvSM_.uses_vcc, 0
	.set _ZN7rocprim17ROCPRIM_400000_NS6detail17trampoline_kernelINS0_14default_configENS1_38merge_sort_block_merge_config_selectorIlNS0_10empty_typeEEEZZNS1_27merge_sort_block_merge_implIS3_PlPS5_mZN2at6native12_GLOBAL__N_124unique_dim_cuda_templateIiEESt5tupleIJNSA_6TensorESF_SF_EERKSF_lbbbEUlllE_EE10hipError_tT0_T1_T2_jT3_P12ihipStream_tbPNSt15iterator_traitsISL_E10value_typeEPNSR_ISM_E10value_typeEPSN_NS1_7vsmem_tEENKUlT_SL_SM_SN_E_clIS8_S8_S9_S9_EESK_S10_SL_SM_SN_EUlS10_E0_NS1_11comp_targetILNS1_3genE10ELNS1_11target_archE1201ELNS1_3gpuE5ELNS1_3repE0EEENS1_38merge_mergepath_config_static_selectorELNS0_4arch9wavefront6targetE0EEEvSM_.uses_flat_scratch, 0
	.set _ZN7rocprim17ROCPRIM_400000_NS6detail17trampoline_kernelINS0_14default_configENS1_38merge_sort_block_merge_config_selectorIlNS0_10empty_typeEEEZZNS1_27merge_sort_block_merge_implIS3_PlPS5_mZN2at6native12_GLOBAL__N_124unique_dim_cuda_templateIiEESt5tupleIJNSA_6TensorESF_SF_EERKSF_lbbbEUlllE_EE10hipError_tT0_T1_T2_jT3_P12ihipStream_tbPNSt15iterator_traitsISL_E10value_typeEPNSR_ISM_E10value_typeEPSN_NS1_7vsmem_tEENKUlT_SL_SM_SN_E_clIS8_S8_S9_S9_EESK_S10_SL_SM_SN_EUlS10_E0_NS1_11comp_targetILNS1_3genE10ELNS1_11target_archE1201ELNS1_3gpuE5ELNS1_3repE0EEENS1_38merge_mergepath_config_static_selectorELNS0_4arch9wavefront6targetE0EEEvSM_.has_dyn_sized_stack, 0
	.set _ZN7rocprim17ROCPRIM_400000_NS6detail17trampoline_kernelINS0_14default_configENS1_38merge_sort_block_merge_config_selectorIlNS0_10empty_typeEEEZZNS1_27merge_sort_block_merge_implIS3_PlPS5_mZN2at6native12_GLOBAL__N_124unique_dim_cuda_templateIiEESt5tupleIJNSA_6TensorESF_SF_EERKSF_lbbbEUlllE_EE10hipError_tT0_T1_T2_jT3_P12ihipStream_tbPNSt15iterator_traitsISL_E10value_typeEPNSR_ISM_E10value_typeEPSN_NS1_7vsmem_tEENKUlT_SL_SM_SN_E_clIS8_S8_S9_S9_EESK_S10_SL_SM_SN_EUlS10_E0_NS1_11comp_targetILNS1_3genE10ELNS1_11target_archE1201ELNS1_3gpuE5ELNS1_3repE0EEENS1_38merge_mergepath_config_static_selectorELNS0_4arch9wavefront6targetE0EEEvSM_.has_recursion, 0
	.set _ZN7rocprim17ROCPRIM_400000_NS6detail17trampoline_kernelINS0_14default_configENS1_38merge_sort_block_merge_config_selectorIlNS0_10empty_typeEEEZZNS1_27merge_sort_block_merge_implIS3_PlPS5_mZN2at6native12_GLOBAL__N_124unique_dim_cuda_templateIiEESt5tupleIJNSA_6TensorESF_SF_EERKSF_lbbbEUlllE_EE10hipError_tT0_T1_T2_jT3_P12ihipStream_tbPNSt15iterator_traitsISL_E10value_typeEPNSR_ISM_E10value_typeEPSN_NS1_7vsmem_tEENKUlT_SL_SM_SN_E_clIS8_S8_S9_S9_EESK_S10_SL_SM_SN_EUlS10_E0_NS1_11comp_targetILNS1_3genE10ELNS1_11target_archE1201ELNS1_3gpuE5ELNS1_3repE0EEENS1_38merge_mergepath_config_static_selectorELNS0_4arch9wavefront6targetE0EEEvSM_.has_indirect_call, 0
	.section	.AMDGPU.csdata,"",@progbits
; Kernel info:
; codeLenInByte = 0
; TotalNumSgprs: 0
; NumVgprs: 0
; ScratchSize: 0
; MemoryBound: 0
; FloatMode: 240
; IeeeMode: 1
; LDSByteSize: 0 bytes/workgroup (compile time only)
; SGPRBlocks: 0
; VGPRBlocks: 0
; NumSGPRsForWavesPerEU: 1
; NumVGPRsForWavesPerEU: 1
; NamedBarCnt: 0
; Occupancy: 16
; WaveLimiterHint : 0
; COMPUTE_PGM_RSRC2:SCRATCH_EN: 0
; COMPUTE_PGM_RSRC2:USER_SGPR: 2
; COMPUTE_PGM_RSRC2:TRAP_HANDLER: 0
; COMPUTE_PGM_RSRC2:TGID_X_EN: 1
; COMPUTE_PGM_RSRC2:TGID_Y_EN: 0
; COMPUTE_PGM_RSRC2:TGID_Z_EN: 0
; COMPUTE_PGM_RSRC2:TIDIG_COMP_CNT: 0
	.section	.text._ZN7rocprim17ROCPRIM_400000_NS6detail17trampoline_kernelINS0_14default_configENS1_38merge_sort_block_merge_config_selectorIlNS0_10empty_typeEEEZZNS1_27merge_sort_block_merge_implIS3_PlPS5_mZN2at6native12_GLOBAL__N_124unique_dim_cuda_templateIiEESt5tupleIJNSA_6TensorESF_SF_EERKSF_lbbbEUlllE_EE10hipError_tT0_T1_T2_jT3_P12ihipStream_tbPNSt15iterator_traitsISL_E10value_typeEPNSR_ISM_E10value_typeEPSN_NS1_7vsmem_tEENKUlT_SL_SM_SN_E_clIS8_S8_S9_S9_EESK_S10_SL_SM_SN_EUlS10_E0_NS1_11comp_targetILNS1_3genE5ELNS1_11target_archE942ELNS1_3gpuE9ELNS1_3repE0EEENS1_38merge_mergepath_config_static_selectorELNS0_4arch9wavefront6targetE0EEEvSM_,"axG",@progbits,_ZN7rocprim17ROCPRIM_400000_NS6detail17trampoline_kernelINS0_14default_configENS1_38merge_sort_block_merge_config_selectorIlNS0_10empty_typeEEEZZNS1_27merge_sort_block_merge_implIS3_PlPS5_mZN2at6native12_GLOBAL__N_124unique_dim_cuda_templateIiEESt5tupleIJNSA_6TensorESF_SF_EERKSF_lbbbEUlllE_EE10hipError_tT0_T1_T2_jT3_P12ihipStream_tbPNSt15iterator_traitsISL_E10value_typeEPNSR_ISM_E10value_typeEPSN_NS1_7vsmem_tEENKUlT_SL_SM_SN_E_clIS8_S8_S9_S9_EESK_S10_SL_SM_SN_EUlS10_E0_NS1_11comp_targetILNS1_3genE5ELNS1_11target_archE942ELNS1_3gpuE9ELNS1_3repE0EEENS1_38merge_mergepath_config_static_selectorELNS0_4arch9wavefront6targetE0EEEvSM_,comdat
	.globl	_ZN7rocprim17ROCPRIM_400000_NS6detail17trampoline_kernelINS0_14default_configENS1_38merge_sort_block_merge_config_selectorIlNS0_10empty_typeEEEZZNS1_27merge_sort_block_merge_implIS3_PlPS5_mZN2at6native12_GLOBAL__N_124unique_dim_cuda_templateIiEESt5tupleIJNSA_6TensorESF_SF_EERKSF_lbbbEUlllE_EE10hipError_tT0_T1_T2_jT3_P12ihipStream_tbPNSt15iterator_traitsISL_E10value_typeEPNSR_ISM_E10value_typeEPSN_NS1_7vsmem_tEENKUlT_SL_SM_SN_E_clIS8_S8_S9_S9_EESK_S10_SL_SM_SN_EUlS10_E0_NS1_11comp_targetILNS1_3genE5ELNS1_11target_archE942ELNS1_3gpuE9ELNS1_3repE0EEENS1_38merge_mergepath_config_static_selectorELNS0_4arch9wavefront6targetE0EEEvSM_ ; -- Begin function _ZN7rocprim17ROCPRIM_400000_NS6detail17trampoline_kernelINS0_14default_configENS1_38merge_sort_block_merge_config_selectorIlNS0_10empty_typeEEEZZNS1_27merge_sort_block_merge_implIS3_PlPS5_mZN2at6native12_GLOBAL__N_124unique_dim_cuda_templateIiEESt5tupleIJNSA_6TensorESF_SF_EERKSF_lbbbEUlllE_EE10hipError_tT0_T1_T2_jT3_P12ihipStream_tbPNSt15iterator_traitsISL_E10value_typeEPNSR_ISM_E10value_typeEPSN_NS1_7vsmem_tEENKUlT_SL_SM_SN_E_clIS8_S8_S9_S9_EESK_S10_SL_SM_SN_EUlS10_E0_NS1_11comp_targetILNS1_3genE5ELNS1_11target_archE942ELNS1_3gpuE9ELNS1_3repE0EEENS1_38merge_mergepath_config_static_selectorELNS0_4arch9wavefront6targetE0EEEvSM_
	.p2align	8
	.type	_ZN7rocprim17ROCPRIM_400000_NS6detail17trampoline_kernelINS0_14default_configENS1_38merge_sort_block_merge_config_selectorIlNS0_10empty_typeEEEZZNS1_27merge_sort_block_merge_implIS3_PlPS5_mZN2at6native12_GLOBAL__N_124unique_dim_cuda_templateIiEESt5tupleIJNSA_6TensorESF_SF_EERKSF_lbbbEUlllE_EE10hipError_tT0_T1_T2_jT3_P12ihipStream_tbPNSt15iterator_traitsISL_E10value_typeEPNSR_ISM_E10value_typeEPSN_NS1_7vsmem_tEENKUlT_SL_SM_SN_E_clIS8_S8_S9_S9_EESK_S10_SL_SM_SN_EUlS10_E0_NS1_11comp_targetILNS1_3genE5ELNS1_11target_archE942ELNS1_3gpuE9ELNS1_3repE0EEENS1_38merge_mergepath_config_static_selectorELNS0_4arch9wavefront6targetE0EEEvSM_,@function
_ZN7rocprim17ROCPRIM_400000_NS6detail17trampoline_kernelINS0_14default_configENS1_38merge_sort_block_merge_config_selectorIlNS0_10empty_typeEEEZZNS1_27merge_sort_block_merge_implIS3_PlPS5_mZN2at6native12_GLOBAL__N_124unique_dim_cuda_templateIiEESt5tupleIJNSA_6TensorESF_SF_EERKSF_lbbbEUlllE_EE10hipError_tT0_T1_T2_jT3_P12ihipStream_tbPNSt15iterator_traitsISL_E10value_typeEPNSR_ISM_E10value_typeEPSN_NS1_7vsmem_tEENKUlT_SL_SM_SN_E_clIS8_S8_S9_S9_EESK_S10_SL_SM_SN_EUlS10_E0_NS1_11comp_targetILNS1_3genE5ELNS1_11target_archE942ELNS1_3gpuE9ELNS1_3repE0EEENS1_38merge_mergepath_config_static_selectorELNS0_4arch9wavefront6targetE0EEEvSM_: ; @_ZN7rocprim17ROCPRIM_400000_NS6detail17trampoline_kernelINS0_14default_configENS1_38merge_sort_block_merge_config_selectorIlNS0_10empty_typeEEEZZNS1_27merge_sort_block_merge_implIS3_PlPS5_mZN2at6native12_GLOBAL__N_124unique_dim_cuda_templateIiEESt5tupleIJNSA_6TensorESF_SF_EERKSF_lbbbEUlllE_EE10hipError_tT0_T1_T2_jT3_P12ihipStream_tbPNSt15iterator_traitsISL_E10value_typeEPNSR_ISM_E10value_typeEPSN_NS1_7vsmem_tEENKUlT_SL_SM_SN_E_clIS8_S8_S9_S9_EESK_S10_SL_SM_SN_EUlS10_E0_NS1_11comp_targetILNS1_3genE5ELNS1_11target_archE942ELNS1_3gpuE9ELNS1_3repE0EEENS1_38merge_mergepath_config_static_selectorELNS0_4arch9wavefront6targetE0EEEvSM_
; %bb.0:
	.section	.rodata,"a",@progbits
	.p2align	6, 0x0
	.amdhsa_kernel _ZN7rocprim17ROCPRIM_400000_NS6detail17trampoline_kernelINS0_14default_configENS1_38merge_sort_block_merge_config_selectorIlNS0_10empty_typeEEEZZNS1_27merge_sort_block_merge_implIS3_PlPS5_mZN2at6native12_GLOBAL__N_124unique_dim_cuda_templateIiEESt5tupleIJNSA_6TensorESF_SF_EERKSF_lbbbEUlllE_EE10hipError_tT0_T1_T2_jT3_P12ihipStream_tbPNSt15iterator_traitsISL_E10value_typeEPNSR_ISM_E10value_typeEPSN_NS1_7vsmem_tEENKUlT_SL_SM_SN_E_clIS8_S8_S9_S9_EESK_S10_SL_SM_SN_EUlS10_E0_NS1_11comp_targetILNS1_3genE5ELNS1_11target_archE942ELNS1_3gpuE9ELNS1_3repE0EEENS1_38merge_mergepath_config_static_selectorELNS0_4arch9wavefront6targetE0EEEvSM_
		.amdhsa_group_segment_fixed_size 0
		.amdhsa_private_segment_fixed_size 0
		.amdhsa_kernarg_size 88
		.amdhsa_user_sgpr_count 2
		.amdhsa_user_sgpr_dispatch_ptr 0
		.amdhsa_user_sgpr_queue_ptr 0
		.amdhsa_user_sgpr_kernarg_segment_ptr 1
		.amdhsa_user_sgpr_dispatch_id 0
		.amdhsa_user_sgpr_kernarg_preload_length 0
		.amdhsa_user_sgpr_kernarg_preload_offset 0
		.amdhsa_user_sgpr_private_segment_size 0
		.amdhsa_wavefront_size32 1
		.amdhsa_uses_dynamic_stack 0
		.amdhsa_enable_private_segment 0
		.amdhsa_system_sgpr_workgroup_id_x 1
		.amdhsa_system_sgpr_workgroup_id_y 0
		.amdhsa_system_sgpr_workgroup_id_z 0
		.amdhsa_system_sgpr_workgroup_info 0
		.amdhsa_system_vgpr_workitem_id 0
		.amdhsa_next_free_vgpr 1
		.amdhsa_next_free_sgpr 1
		.amdhsa_named_barrier_count 0
		.amdhsa_reserve_vcc 0
		.amdhsa_float_round_mode_32 0
		.amdhsa_float_round_mode_16_64 0
		.amdhsa_float_denorm_mode_32 3
		.amdhsa_float_denorm_mode_16_64 3
		.amdhsa_fp16_overflow 0
		.amdhsa_memory_ordered 1
		.amdhsa_forward_progress 1
		.amdhsa_inst_pref_size 0
		.amdhsa_round_robin_scheduling 0
		.amdhsa_exception_fp_ieee_invalid_op 0
		.amdhsa_exception_fp_denorm_src 0
		.amdhsa_exception_fp_ieee_div_zero 0
		.amdhsa_exception_fp_ieee_overflow 0
		.amdhsa_exception_fp_ieee_underflow 0
		.amdhsa_exception_fp_ieee_inexact 0
		.amdhsa_exception_int_div_zero 0
	.end_amdhsa_kernel
	.section	.text._ZN7rocprim17ROCPRIM_400000_NS6detail17trampoline_kernelINS0_14default_configENS1_38merge_sort_block_merge_config_selectorIlNS0_10empty_typeEEEZZNS1_27merge_sort_block_merge_implIS3_PlPS5_mZN2at6native12_GLOBAL__N_124unique_dim_cuda_templateIiEESt5tupleIJNSA_6TensorESF_SF_EERKSF_lbbbEUlllE_EE10hipError_tT0_T1_T2_jT3_P12ihipStream_tbPNSt15iterator_traitsISL_E10value_typeEPNSR_ISM_E10value_typeEPSN_NS1_7vsmem_tEENKUlT_SL_SM_SN_E_clIS8_S8_S9_S9_EESK_S10_SL_SM_SN_EUlS10_E0_NS1_11comp_targetILNS1_3genE5ELNS1_11target_archE942ELNS1_3gpuE9ELNS1_3repE0EEENS1_38merge_mergepath_config_static_selectorELNS0_4arch9wavefront6targetE0EEEvSM_,"axG",@progbits,_ZN7rocprim17ROCPRIM_400000_NS6detail17trampoline_kernelINS0_14default_configENS1_38merge_sort_block_merge_config_selectorIlNS0_10empty_typeEEEZZNS1_27merge_sort_block_merge_implIS3_PlPS5_mZN2at6native12_GLOBAL__N_124unique_dim_cuda_templateIiEESt5tupleIJNSA_6TensorESF_SF_EERKSF_lbbbEUlllE_EE10hipError_tT0_T1_T2_jT3_P12ihipStream_tbPNSt15iterator_traitsISL_E10value_typeEPNSR_ISM_E10value_typeEPSN_NS1_7vsmem_tEENKUlT_SL_SM_SN_E_clIS8_S8_S9_S9_EESK_S10_SL_SM_SN_EUlS10_E0_NS1_11comp_targetILNS1_3genE5ELNS1_11target_archE942ELNS1_3gpuE9ELNS1_3repE0EEENS1_38merge_mergepath_config_static_selectorELNS0_4arch9wavefront6targetE0EEEvSM_,comdat
.Lfunc_end402:
	.size	_ZN7rocprim17ROCPRIM_400000_NS6detail17trampoline_kernelINS0_14default_configENS1_38merge_sort_block_merge_config_selectorIlNS0_10empty_typeEEEZZNS1_27merge_sort_block_merge_implIS3_PlPS5_mZN2at6native12_GLOBAL__N_124unique_dim_cuda_templateIiEESt5tupleIJNSA_6TensorESF_SF_EERKSF_lbbbEUlllE_EE10hipError_tT0_T1_T2_jT3_P12ihipStream_tbPNSt15iterator_traitsISL_E10value_typeEPNSR_ISM_E10value_typeEPSN_NS1_7vsmem_tEENKUlT_SL_SM_SN_E_clIS8_S8_S9_S9_EESK_S10_SL_SM_SN_EUlS10_E0_NS1_11comp_targetILNS1_3genE5ELNS1_11target_archE942ELNS1_3gpuE9ELNS1_3repE0EEENS1_38merge_mergepath_config_static_selectorELNS0_4arch9wavefront6targetE0EEEvSM_, .Lfunc_end402-_ZN7rocprim17ROCPRIM_400000_NS6detail17trampoline_kernelINS0_14default_configENS1_38merge_sort_block_merge_config_selectorIlNS0_10empty_typeEEEZZNS1_27merge_sort_block_merge_implIS3_PlPS5_mZN2at6native12_GLOBAL__N_124unique_dim_cuda_templateIiEESt5tupleIJNSA_6TensorESF_SF_EERKSF_lbbbEUlllE_EE10hipError_tT0_T1_T2_jT3_P12ihipStream_tbPNSt15iterator_traitsISL_E10value_typeEPNSR_ISM_E10value_typeEPSN_NS1_7vsmem_tEENKUlT_SL_SM_SN_E_clIS8_S8_S9_S9_EESK_S10_SL_SM_SN_EUlS10_E0_NS1_11comp_targetILNS1_3genE5ELNS1_11target_archE942ELNS1_3gpuE9ELNS1_3repE0EEENS1_38merge_mergepath_config_static_selectorELNS0_4arch9wavefront6targetE0EEEvSM_
                                        ; -- End function
	.set _ZN7rocprim17ROCPRIM_400000_NS6detail17trampoline_kernelINS0_14default_configENS1_38merge_sort_block_merge_config_selectorIlNS0_10empty_typeEEEZZNS1_27merge_sort_block_merge_implIS3_PlPS5_mZN2at6native12_GLOBAL__N_124unique_dim_cuda_templateIiEESt5tupleIJNSA_6TensorESF_SF_EERKSF_lbbbEUlllE_EE10hipError_tT0_T1_T2_jT3_P12ihipStream_tbPNSt15iterator_traitsISL_E10value_typeEPNSR_ISM_E10value_typeEPSN_NS1_7vsmem_tEENKUlT_SL_SM_SN_E_clIS8_S8_S9_S9_EESK_S10_SL_SM_SN_EUlS10_E0_NS1_11comp_targetILNS1_3genE5ELNS1_11target_archE942ELNS1_3gpuE9ELNS1_3repE0EEENS1_38merge_mergepath_config_static_selectorELNS0_4arch9wavefront6targetE0EEEvSM_.num_vgpr, 0
	.set _ZN7rocprim17ROCPRIM_400000_NS6detail17trampoline_kernelINS0_14default_configENS1_38merge_sort_block_merge_config_selectorIlNS0_10empty_typeEEEZZNS1_27merge_sort_block_merge_implIS3_PlPS5_mZN2at6native12_GLOBAL__N_124unique_dim_cuda_templateIiEESt5tupleIJNSA_6TensorESF_SF_EERKSF_lbbbEUlllE_EE10hipError_tT0_T1_T2_jT3_P12ihipStream_tbPNSt15iterator_traitsISL_E10value_typeEPNSR_ISM_E10value_typeEPSN_NS1_7vsmem_tEENKUlT_SL_SM_SN_E_clIS8_S8_S9_S9_EESK_S10_SL_SM_SN_EUlS10_E0_NS1_11comp_targetILNS1_3genE5ELNS1_11target_archE942ELNS1_3gpuE9ELNS1_3repE0EEENS1_38merge_mergepath_config_static_selectorELNS0_4arch9wavefront6targetE0EEEvSM_.num_agpr, 0
	.set _ZN7rocprim17ROCPRIM_400000_NS6detail17trampoline_kernelINS0_14default_configENS1_38merge_sort_block_merge_config_selectorIlNS0_10empty_typeEEEZZNS1_27merge_sort_block_merge_implIS3_PlPS5_mZN2at6native12_GLOBAL__N_124unique_dim_cuda_templateIiEESt5tupleIJNSA_6TensorESF_SF_EERKSF_lbbbEUlllE_EE10hipError_tT0_T1_T2_jT3_P12ihipStream_tbPNSt15iterator_traitsISL_E10value_typeEPNSR_ISM_E10value_typeEPSN_NS1_7vsmem_tEENKUlT_SL_SM_SN_E_clIS8_S8_S9_S9_EESK_S10_SL_SM_SN_EUlS10_E0_NS1_11comp_targetILNS1_3genE5ELNS1_11target_archE942ELNS1_3gpuE9ELNS1_3repE0EEENS1_38merge_mergepath_config_static_selectorELNS0_4arch9wavefront6targetE0EEEvSM_.numbered_sgpr, 0
	.set _ZN7rocprim17ROCPRIM_400000_NS6detail17trampoline_kernelINS0_14default_configENS1_38merge_sort_block_merge_config_selectorIlNS0_10empty_typeEEEZZNS1_27merge_sort_block_merge_implIS3_PlPS5_mZN2at6native12_GLOBAL__N_124unique_dim_cuda_templateIiEESt5tupleIJNSA_6TensorESF_SF_EERKSF_lbbbEUlllE_EE10hipError_tT0_T1_T2_jT3_P12ihipStream_tbPNSt15iterator_traitsISL_E10value_typeEPNSR_ISM_E10value_typeEPSN_NS1_7vsmem_tEENKUlT_SL_SM_SN_E_clIS8_S8_S9_S9_EESK_S10_SL_SM_SN_EUlS10_E0_NS1_11comp_targetILNS1_3genE5ELNS1_11target_archE942ELNS1_3gpuE9ELNS1_3repE0EEENS1_38merge_mergepath_config_static_selectorELNS0_4arch9wavefront6targetE0EEEvSM_.num_named_barrier, 0
	.set _ZN7rocprim17ROCPRIM_400000_NS6detail17trampoline_kernelINS0_14default_configENS1_38merge_sort_block_merge_config_selectorIlNS0_10empty_typeEEEZZNS1_27merge_sort_block_merge_implIS3_PlPS5_mZN2at6native12_GLOBAL__N_124unique_dim_cuda_templateIiEESt5tupleIJNSA_6TensorESF_SF_EERKSF_lbbbEUlllE_EE10hipError_tT0_T1_T2_jT3_P12ihipStream_tbPNSt15iterator_traitsISL_E10value_typeEPNSR_ISM_E10value_typeEPSN_NS1_7vsmem_tEENKUlT_SL_SM_SN_E_clIS8_S8_S9_S9_EESK_S10_SL_SM_SN_EUlS10_E0_NS1_11comp_targetILNS1_3genE5ELNS1_11target_archE942ELNS1_3gpuE9ELNS1_3repE0EEENS1_38merge_mergepath_config_static_selectorELNS0_4arch9wavefront6targetE0EEEvSM_.private_seg_size, 0
	.set _ZN7rocprim17ROCPRIM_400000_NS6detail17trampoline_kernelINS0_14default_configENS1_38merge_sort_block_merge_config_selectorIlNS0_10empty_typeEEEZZNS1_27merge_sort_block_merge_implIS3_PlPS5_mZN2at6native12_GLOBAL__N_124unique_dim_cuda_templateIiEESt5tupleIJNSA_6TensorESF_SF_EERKSF_lbbbEUlllE_EE10hipError_tT0_T1_T2_jT3_P12ihipStream_tbPNSt15iterator_traitsISL_E10value_typeEPNSR_ISM_E10value_typeEPSN_NS1_7vsmem_tEENKUlT_SL_SM_SN_E_clIS8_S8_S9_S9_EESK_S10_SL_SM_SN_EUlS10_E0_NS1_11comp_targetILNS1_3genE5ELNS1_11target_archE942ELNS1_3gpuE9ELNS1_3repE0EEENS1_38merge_mergepath_config_static_selectorELNS0_4arch9wavefront6targetE0EEEvSM_.uses_vcc, 0
	.set _ZN7rocprim17ROCPRIM_400000_NS6detail17trampoline_kernelINS0_14default_configENS1_38merge_sort_block_merge_config_selectorIlNS0_10empty_typeEEEZZNS1_27merge_sort_block_merge_implIS3_PlPS5_mZN2at6native12_GLOBAL__N_124unique_dim_cuda_templateIiEESt5tupleIJNSA_6TensorESF_SF_EERKSF_lbbbEUlllE_EE10hipError_tT0_T1_T2_jT3_P12ihipStream_tbPNSt15iterator_traitsISL_E10value_typeEPNSR_ISM_E10value_typeEPSN_NS1_7vsmem_tEENKUlT_SL_SM_SN_E_clIS8_S8_S9_S9_EESK_S10_SL_SM_SN_EUlS10_E0_NS1_11comp_targetILNS1_3genE5ELNS1_11target_archE942ELNS1_3gpuE9ELNS1_3repE0EEENS1_38merge_mergepath_config_static_selectorELNS0_4arch9wavefront6targetE0EEEvSM_.uses_flat_scratch, 0
	.set _ZN7rocprim17ROCPRIM_400000_NS6detail17trampoline_kernelINS0_14default_configENS1_38merge_sort_block_merge_config_selectorIlNS0_10empty_typeEEEZZNS1_27merge_sort_block_merge_implIS3_PlPS5_mZN2at6native12_GLOBAL__N_124unique_dim_cuda_templateIiEESt5tupleIJNSA_6TensorESF_SF_EERKSF_lbbbEUlllE_EE10hipError_tT0_T1_T2_jT3_P12ihipStream_tbPNSt15iterator_traitsISL_E10value_typeEPNSR_ISM_E10value_typeEPSN_NS1_7vsmem_tEENKUlT_SL_SM_SN_E_clIS8_S8_S9_S9_EESK_S10_SL_SM_SN_EUlS10_E0_NS1_11comp_targetILNS1_3genE5ELNS1_11target_archE942ELNS1_3gpuE9ELNS1_3repE0EEENS1_38merge_mergepath_config_static_selectorELNS0_4arch9wavefront6targetE0EEEvSM_.has_dyn_sized_stack, 0
	.set _ZN7rocprim17ROCPRIM_400000_NS6detail17trampoline_kernelINS0_14default_configENS1_38merge_sort_block_merge_config_selectorIlNS0_10empty_typeEEEZZNS1_27merge_sort_block_merge_implIS3_PlPS5_mZN2at6native12_GLOBAL__N_124unique_dim_cuda_templateIiEESt5tupleIJNSA_6TensorESF_SF_EERKSF_lbbbEUlllE_EE10hipError_tT0_T1_T2_jT3_P12ihipStream_tbPNSt15iterator_traitsISL_E10value_typeEPNSR_ISM_E10value_typeEPSN_NS1_7vsmem_tEENKUlT_SL_SM_SN_E_clIS8_S8_S9_S9_EESK_S10_SL_SM_SN_EUlS10_E0_NS1_11comp_targetILNS1_3genE5ELNS1_11target_archE942ELNS1_3gpuE9ELNS1_3repE0EEENS1_38merge_mergepath_config_static_selectorELNS0_4arch9wavefront6targetE0EEEvSM_.has_recursion, 0
	.set _ZN7rocprim17ROCPRIM_400000_NS6detail17trampoline_kernelINS0_14default_configENS1_38merge_sort_block_merge_config_selectorIlNS0_10empty_typeEEEZZNS1_27merge_sort_block_merge_implIS3_PlPS5_mZN2at6native12_GLOBAL__N_124unique_dim_cuda_templateIiEESt5tupleIJNSA_6TensorESF_SF_EERKSF_lbbbEUlllE_EE10hipError_tT0_T1_T2_jT3_P12ihipStream_tbPNSt15iterator_traitsISL_E10value_typeEPNSR_ISM_E10value_typeEPSN_NS1_7vsmem_tEENKUlT_SL_SM_SN_E_clIS8_S8_S9_S9_EESK_S10_SL_SM_SN_EUlS10_E0_NS1_11comp_targetILNS1_3genE5ELNS1_11target_archE942ELNS1_3gpuE9ELNS1_3repE0EEENS1_38merge_mergepath_config_static_selectorELNS0_4arch9wavefront6targetE0EEEvSM_.has_indirect_call, 0
	.section	.AMDGPU.csdata,"",@progbits
; Kernel info:
; codeLenInByte = 0
; TotalNumSgprs: 0
; NumVgprs: 0
; ScratchSize: 0
; MemoryBound: 0
; FloatMode: 240
; IeeeMode: 1
; LDSByteSize: 0 bytes/workgroup (compile time only)
; SGPRBlocks: 0
; VGPRBlocks: 0
; NumSGPRsForWavesPerEU: 1
; NumVGPRsForWavesPerEU: 1
; NamedBarCnt: 0
; Occupancy: 16
; WaveLimiterHint : 0
; COMPUTE_PGM_RSRC2:SCRATCH_EN: 0
; COMPUTE_PGM_RSRC2:USER_SGPR: 2
; COMPUTE_PGM_RSRC2:TRAP_HANDLER: 0
; COMPUTE_PGM_RSRC2:TGID_X_EN: 1
; COMPUTE_PGM_RSRC2:TGID_Y_EN: 0
; COMPUTE_PGM_RSRC2:TGID_Z_EN: 0
; COMPUTE_PGM_RSRC2:TIDIG_COMP_CNT: 0
	.section	.text._ZN7rocprim17ROCPRIM_400000_NS6detail17trampoline_kernelINS0_14default_configENS1_38merge_sort_block_merge_config_selectorIlNS0_10empty_typeEEEZZNS1_27merge_sort_block_merge_implIS3_PlPS5_mZN2at6native12_GLOBAL__N_124unique_dim_cuda_templateIiEESt5tupleIJNSA_6TensorESF_SF_EERKSF_lbbbEUlllE_EE10hipError_tT0_T1_T2_jT3_P12ihipStream_tbPNSt15iterator_traitsISL_E10value_typeEPNSR_ISM_E10value_typeEPSN_NS1_7vsmem_tEENKUlT_SL_SM_SN_E_clIS8_S8_S9_S9_EESK_S10_SL_SM_SN_EUlS10_E0_NS1_11comp_targetILNS1_3genE4ELNS1_11target_archE910ELNS1_3gpuE8ELNS1_3repE0EEENS1_38merge_mergepath_config_static_selectorELNS0_4arch9wavefront6targetE0EEEvSM_,"axG",@progbits,_ZN7rocprim17ROCPRIM_400000_NS6detail17trampoline_kernelINS0_14default_configENS1_38merge_sort_block_merge_config_selectorIlNS0_10empty_typeEEEZZNS1_27merge_sort_block_merge_implIS3_PlPS5_mZN2at6native12_GLOBAL__N_124unique_dim_cuda_templateIiEESt5tupleIJNSA_6TensorESF_SF_EERKSF_lbbbEUlllE_EE10hipError_tT0_T1_T2_jT3_P12ihipStream_tbPNSt15iterator_traitsISL_E10value_typeEPNSR_ISM_E10value_typeEPSN_NS1_7vsmem_tEENKUlT_SL_SM_SN_E_clIS8_S8_S9_S9_EESK_S10_SL_SM_SN_EUlS10_E0_NS1_11comp_targetILNS1_3genE4ELNS1_11target_archE910ELNS1_3gpuE8ELNS1_3repE0EEENS1_38merge_mergepath_config_static_selectorELNS0_4arch9wavefront6targetE0EEEvSM_,comdat
	.globl	_ZN7rocprim17ROCPRIM_400000_NS6detail17trampoline_kernelINS0_14default_configENS1_38merge_sort_block_merge_config_selectorIlNS0_10empty_typeEEEZZNS1_27merge_sort_block_merge_implIS3_PlPS5_mZN2at6native12_GLOBAL__N_124unique_dim_cuda_templateIiEESt5tupleIJNSA_6TensorESF_SF_EERKSF_lbbbEUlllE_EE10hipError_tT0_T1_T2_jT3_P12ihipStream_tbPNSt15iterator_traitsISL_E10value_typeEPNSR_ISM_E10value_typeEPSN_NS1_7vsmem_tEENKUlT_SL_SM_SN_E_clIS8_S8_S9_S9_EESK_S10_SL_SM_SN_EUlS10_E0_NS1_11comp_targetILNS1_3genE4ELNS1_11target_archE910ELNS1_3gpuE8ELNS1_3repE0EEENS1_38merge_mergepath_config_static_selectorELNS0_4arch9wavefront6targetE0EEEvSM_ ; -- Begin function _ZN7rocprim17ROCPRIM_400000_NS6detail17trampoline_kernelINS0_14default_configENS1_38merge_sort_block_merge_config_selectorIlNS0_10empty_typeEEEZZNS1_27merge_sort_block_merge_implIS3_PlPS5_mZN2at6native12_GLOBAL__N_124unique_dim_cuda_templateIiEESt5tupleIJNSA_6TensorESF_SF_EERKSF_lbbbEUlllE_EE10hipError_tT0_T1_T2_jT3_P12ihipStream_tbPNSt15iterator_traitsISL_E10value_typeEPNSR_ISM_E10value_typeEPSN_NS1_7vsmem_tEENKUlT_SL_SM_SN_E_clIS8_S8_S9_S9_EESK_S10_SL_SM_SN_EUlS10_E0_NS1_11comp_targetILNS1_3genE4ELNS1_11target_archE910ELNS1_3gpuE8ELNS1_3repE0EEENS1_38merge_mergepath_config_static_selectorELNS0_4arch9wavefront6targetE0EEEvSM_
	.p2align	8
	.type	_ZN7rocprim17ROCPRIM_400000_NS6detail17trampoline_kernelINS0_14default_configENS1_38merge_sort_block_merge_config_selectorIlNS0_10empty_typeEEEZZNS1_27merge_sort_block_merge_implIS3_PlPS5_mZN2at6native12_GLOBAL__N_124unique_dim_cuda_templateIiEESt5tupleIJNSA_6TensorESF_SF_EERKSF_lbbbEUlllE_EE10hipError_tT0_T1_T2_jT3_P12ihipStream_tbPNSt15iterator_traitsISL_E10value_typeEPNSR_ISM_E10value_typeEPSN_NS1_7vsmem_tEENKUlT_SL_SM_SN_E_clIS8_S8_S9_S9_EESK_S10_SL_SM_SN_EUlS10_E0_NS1_11comp_targetILNS1_3genE4ELNS1_11target_archE910ELNS1_3gpuE8ELNS1_3repE0EEENS1_38merge_mergepath_config_static_selectorELNS0_4arch9wavefront6targetE0EEEvSM_,@function
_ZN7rocprim17ROCPRIM_400000_NS6detail17trampoline_kernelINS0_14default_configENS1_38merge_sort_block_merge_config_selectorIlNS0_10empty_typeEEEZZNS1_27merge_sort_block_merge_implIS3_PlPS5_mZN2at6native12_GLOBAL__N_124unique_dim_cuda_templateIiEESt5tupleIJNSA_6TensorESF_SF_EERKSF_lbbbEUlllE_EE10hipError_tT0_T1_T2_jT3_P12ihipStream_tbPNSt15iterator_traitsISL_E10value_typeEPNSR_ISM_E10value_typeEPSN_NS1_7vsmem_tEENKUlT_SL_SM_SN_E_clIS8_S8_S9_S9_EESK_S10_SL_SM_SN_EUlS10_E0_NS1_11comp_targetILNS1_3genE4ELNS1_11target_archE910ELNS1_3gpuE8ELNS1_3repE0EEENS1_38merge_mergepath_config_static_selectorELNS0_4arch9wavefront6targetE0EEEvSM_: ; @_ZN7rocprim17ROCPRIM_400000_NS6detail17trampoline_kernelINS0_14default_configENS1_38merge_sort_block_merge_config_selectorIlNS0_10empty_typeEEEZZNS1_27merge_sort_block_merge_implIS3_PlPS5_mZN2at6native12_GLOBAL__N_124unique_dim_cuda_templateIiEESt5tupleIJNSA_6TensorESF_SF_EERKSF_lbbbEUlllE_EE10hipError_tT0_T1_T2_jT3_P12ihipStream_tbPNSt15iterator_traitsISL_E10value_typeEPNSR_ISM_E10value_typeEPSN_NS1_7vsmem_tEENKUlT_SL_SM_SN_E_clIS8_S8_S9_S9_EESK_S10_SL_SM_SN_EUlS10_E0_NS1_11comp_targetILNS1_3genE4ELNS1_11target_archE910ELNS1_3gpuE8ELNS1_3repE0EEENS1_38merge_mergepath_config_static_selectorELNS0_4arch9wavefront6targetE0EEEvSM_
; %bb.0:
	.section	.rodata,"a",@progbits
	.p2align	6, 0x0
	.amdhsa_kernel _ZN7rocprim17ROCPRIM_400000_NS6detail17trampoline_kernelINS0_14default_configENS1_38merge_sort_block_merge_config_selectorIlNS0_10empty_typeEEEZZNS1_27merge_sort_block_merge_implIS3_PlPS5_mZN2at6native12_GLOBAL__N_124unique_dim_cuda_templateIiEESt5tupleIJNSA_6TensorESF_SF_EERKSF_lbbbEUlllE_EE10hipError_tT0_T1_T2_jT3_P12ihipStream_tbPNSt15iterator_traitsISL_E10value_typeEPNSR_ISM_E10value_typeEPSN_NS1_7vsmem_tEENKUlT_SL_SM_SN_E_clIS8_S8_S9_S9_EESK_S10_SL_SM_SN_EUlS10_E0_NS1_11comp_targetILNS1_3genE4ELNS1_11target_archE910ELNS1_3gpuE8ELNS1_3repE0EEENS1_38merge_mergepath_config_static_selectorELNS0_4arch9wavefront6targetE0EEEvSM_
		.amdhsa_group_segment_fixed_size 0
		.amdhsa_private_segment_fixed_size 0
		.amdhsa_kernarg_size 88
		.amdhsa_user_sgpr_count 2
		.amdhsa_user_sgpr_dispatch_ptr 0
		.amdhsa_user_sgpr_queue_ptr 0
		.amdhsa_user_sgpr_kernarg_segment_ptr 1
		.amdhsa_user_sgpr_dispatch_id 0
		.amdhsa_user_sgpr_kernarg_preload_length 0
		.amdhsa_user_sgpr_kernarg_preload_offset 0
		.amdhsa_user_sgpr_private_segment_size 0
		.amdhsa_wavefront_size32 1
		.amdhsa_uses_dynamic_stack 0
		.amdhsa_enable_private_segment 0
		.amdhsa_system_sgpr_workgroup_id_x 1
		.amdhsa_system_sgpr_workgroup_id_y 0
		.amdhsa_system_sgpr_workgroup_id_z 0
		.amdhsa_system_sgpr_workgroup_info 0
		.amdhsa_system_vgpr_workitem_id 0
		.amdhsa_next_free_vgpr 1
		.amdhsa_next_free_sgpr 1
		.amdhsa_named_barrier_count 0
		.amdhsa_reserve_vcc 0
		.amdhsa_float_round_mode_32 0
		.amdhsa_float_round_mode_16_64 0
		.amdhsa_float_denorm_mode_32 3
		.amdhsa_float_denorm_mode_16_64 3
		.amdhsa_fp16_overflow 0
		.amdhsa_memory_ordered 1
		.amdhsa_forward_progress 1
		.amdhsa_inst_pref_size 0
		.amdhsa_round_robin_scheduling 0
		.amdhsa_exception_fp_ieee_invalid_op 0
		.amdhsa_exception_fp_denorm_src 0
		.amdhsa_exception_fp_ieee_div_zero 0
		.amdhsa_exception_fp_ieee_overflow 0
		.amdhsa_exception_fp_ieee_underflow 0
		.amdhsa_exception_fp_ieee_inexact 0
		.amdhsa_exception_int_div_zero 0
	.end_amdhsa_kernel
	.section	.text._ZN7rocprim17ROCPRIM_400000_NS6detail17trampoline_kernelINS0_14default_configENS1_38merge_sort_block_merge_config_selectorIlNS0_10empty_typeEEEZZNS1_27merge_sort_block_merge_implIS3_PlPS5_mZN2at6native12_GLOBAL__N_124unique_dim_cuda_templateIiEESt5tupleIJNSA_6TensorESF_SF_EERKSF_lbbbEUlllE_EE10hipError_tT0_T1_T2_jT3_P12ihipStream_tbPNSt15iterator_traitsISL_E10value_typeEPNSR_ISM_E10value_typeEPSN_NS1_7vsmem_tEENKUlT_SL_SM_SN_E_clIS8_S8_S9_S9_EESK_S10_SL_SM_SN_EUlS10_E0_NS1_11comp_targetILNS1_3genE4ELNS1_11target_archE910ELNS1_3gpuE8ELNS1_3repE0EEENS1_38merge_mergepath_config_static_selectorELNS0_4arch9wavefront6targetE0EEEvSM_,"axG",@progbits,_ZN7rocprim17ROCPRIM_400000_NS6detail17trampoline_kernelINS0_14default_configENS1_38merge_sort_block_merge_config_selectorIlNS0_10empty_typeEEEZZNS1_27merge_sort_block_merge_implIS3_PlPS5_mZN2at6native12_GLOBAL__N_124unique_dim_cuda_templateIiEESt5tupleIJNSA_6TensorESF_SF_EERKSF_lbbbEUlllE_EE10hipError_tT0_T1_T2_jT3_P12ihipStream_tbPNSt15iterator_traitsISL_E10value_typeEPNSR_ISM_E10value_typeEPSN_NS1_7vsmem_tEENKUlT_SL_SM_SN_E_clIS8_S8_S9_S9_EESK_S10_SL_SM_SN_EUlS10_E0_NS1_11comp_targetILNS1_3genE4ELNS1_11target_archE910ELNS1_3gpuE8ELNS1_3repE0EEENS1_38merge_mergepath_config_static_selectorELNS0_4arch9wavefront6targetE0EEEvSM_,comdat
.Lfunc_end403:
	.size	_ZN7rocprim17ROCPRIM_400000_NS6detail17trampoline_kernelINS0_14default_configENS1_38merge_sort_block_merge_config_selectorIlNS0_10empty_typeEEEZZNS1_27merge_sort_block_merge_implIS3_PlPS5_mZN2at6native12_GLOBAL__N_124unique_dim_cuda_templateIiEESt5tupleIJNSA_6TensorESF_SF_EERKSF_lbbbEUlllE_EE10hipError_tT0_T1_T2_jT3_P12ihipStream_tbPNSt15iterator_traitsISL_E10value_typeEPNSR_ISM_E10value_typeEPSN_NS1_7vsmem_tEENKUlT_SL_SM_SN_E_clIS8_S8_S9_S9_EESK_S10_SL_SM_SN_EUlS10_E0_NS1_11comp_targetILNS1_3genE4ELNS1_11target_archE910ELNS1_3gpuE8ELNS1_3repE0EEENS1_38merge_mergepath_config_static_selectorELNS0_4arch9wavefront6targetE0EEEvSM_, .Lfunc_end403-_ZN7rocprim17ROCPRIM_400000_NS6detail17trampoline_kernelINS0_14default_configENS1_38merge_sort_block_merge_config_selectorIlNS0_10empty_typeEEEZZNS1_27merge_sort_block_merge_implIS3_PlPS5_mZN2at6native12_GLOBAL__N_124unique_dim_cuda_templateIiEESt5tupleIJNSA_6TensorESF_SF_EERKSF_lbbbEUlllE_EE10hipError_tT0_T1_T2_jT3_P12ihipStream_tbPNSt15iterator_traitsISL_E10value_typeEPNSR_ISM_E10value_typeEPSN_NS1_7vsmem_tEENKUlT_SL_SM_SN_E_clIS8_S8_S9_S9_EESK_S10_SL_SM_SN_EUlS10_E0_NS1_11comp_targetILNS1_3genE4ELNS1_11target_archE910ELNS1_3gpuE8ELNS1_3repE0EEENS1_38merge_mergepath_config_static_selectorELNS0_4arch9wavefront6targetE0EEEvSM_
                                        ; -- End function
	.set _ZN7rocprim17ROCPRIM_400000_NS6detail17trampoline_kernelINS0_14default_configENS1_38merge_sort_block_merge_config_selectorIlNS0_10empty_typeEEEZZNS1_27merge_sort_block_merge_implIS3_PlPS5_mZN2at6native12_GLOBAL__N_124unique_dim_cuda_templateIiEESt5tupleIJNSA_6TensorESF_SF_EERKSF_lbbbEUlllE_EE10hipError_tT0_T1_T2_jT3_P12ihipStream_tbPNSt15iterator_traitsISL_E10value_typeEPNSR_ISM_E10value_typeEPSN_NS1_7vsmem_tEENKUlT_SL_SM_SN_E_clIS8_S8_S9_S9_EESK_S10_SL_SM_SN_EUlS10_E0_NS1_11comp_targetILNS1_3genE4ELNS1_11target_archE910ELNS1_3gpuE8ELNS1_3repE0EEENS1_38merge_mergepath_config_static_selectorELNS0_4arch9wavefront6targetE0EEEvSM_.num_vgpr, 0
	.set _ZN7rocprim17ROCPRIM_400000_NS6detail17trampoline_kernelINS0_14default_configENS1_38merge_sort_block_merge_config_selectorIlNS0_10empty_typeEEEZZNS1_27merge_sort_block_merge_implIS3_PlPS5_mZN2at6native12_GLOBAL__N_124unique_dim_cuda_templateIiEESt5tupleIJNSA_6TensorESF_SF_EERKSF_lbbbEUlllE_EE10hipError_tT0_T1_T2_jT3_P12ihipStream_tbPNSt15iterator_traitsISL_E10value_typeEPNSR_ISM_E10value_typeEPSN_NS1_7vsmem_tEENKUlT_SL_SM_SN_E_clIS8_S8_S9_S9_EESK_S10_SL_SM_SN_EUlS10_E0_NS1_11comp_targetILNS1_3genE4ELNS1_11target_archE910ELNS1_3gpuE8ELNS1_3repE0EEENS1_38merge_mergepath_config_static_selectorELNS0_4arch9wavefront6targetE0EEEvSM_.num_agpr, 0
	.set _ZN7rocprim17ROCPRIM_400000_NS6detail17trampoline_kernelINS0_14default_configENS1_38merge_sort_block_merge_config_selectorIlNS0_10empty_typeEEEZZNS1_27merge_sort_block_merge_implIS3_PlPS5_mZN2at6native12_GLOBAL__N_124unique_dim_cuda_templateIiEESt5tupleIJNSA_6TensorESF_SF_EERKSF_lbbbEUlllE_EE10hipError_tT0_T1_T2_jT3_P12ihipStream_tbPNSt15iterator_traitsISL_E10value_typeEPNSR_ISM_E10value_typeEPSN_NS1_7vsmem_tEENKUlT_SL_SM_SN_E_clIS8_S8_S9_S9_EESK_S10_SL_SM_SN_EUlS10_E0_NS1_11comp_targetILNS1_3genE4ELNS1_11target_archE910ELNS1_3gpuE8ELNS1_3repE0EEENS1_38merge_mergepath_config_static_selectorELNS0_4arch9wavefront6targetE0EEEvSM_.numbered_sgpr, 0
	.set _ZN7rocprim17ROCPRIM_400000_NS6detail17trampoline_kernelINS0_14default_configENS1_38merge_sort_block_merge_config_selectorIlNS0_10empty_typeEEEZZNS1_27merge_sort_block_merge_implIS3_PlPS5_mZN2at6native12_GLOBAL__N_124unique_dim_cuda_templateIiEESt5tupleIJNSA_6TensorESF_SF_EERKSF_lbbbEUlllE_EE10hipError_tT0_T1_T2_jT3_P12ihipStream_tbPNSt15iterator_traitsISL_E10value_typeEPNSR_ISM_E10value_typeEPSN_NS1_7vsmem_tEENKUlT_SL_SM_SN_E_clIS8_S8_S9_S9_EESK_S10_SL_SM_SN_EUlS10_E0_NS1_11comp_targetILNS1_3genE4ELNS1_11target_archE910ELNS1_3gpuE8ELNS1_3repE0EEENS1_38merge_mergepath_config_static_selectorELNS0_4arch9wavefront6targetE0EEEvSM_.num_named_barrier, 0
	.set _ZN7rocprim17ROCPRIM_400000_NS6detail17trampoline_kernelINS0_14default_configENS1_38merge_sort_block_merge_config_selectorIlNS0_10empty_typeEEEZZNS1_27merge_sort_block_merge_implIS3_PlPS5_mZN2at6native12_GLOBAL__N_124unique_dim_cuda_templateIiEESt5tupleIJNSA_6TensorESF_SF_EERKSF_lbbbEUlllE_EE10hipError_tT0_T1_T2_jT3_P12ihipStream_tbPNSt15iterator_traitsISL_E10value_typeEPNSR_ISM_E10value_typeEPSN_NS1_7vsmem_tEENKUlT_SL_SM_SN_E_clIS8_S8_S9_S9_EESK_S10_SL_SM_SN_EUlS10_E0_NS1_11comp_targetILNS1_3genE4ELNS1_11target_archE910ELNS1_3gpuE8ELNS1_3repE0EEENS1_38merge_mergepath_config_static_selectorELNS0_4arch9wavefront6targetE0EEEvSM_.private_seg_size, 0
	.set _ZN7rocprim17ROCPRIM_400000_NS6detail17trampoline_kernelINS0_14default_configENS1_38merge_sort_block_merge_config_selectorIlNS0_10empty_typeEEEZZNS1_27merge_sort_block_merge_implIS3_PlPS5_mZN2at6native12_GLOBAL__N_124unique_dim_cuda_templateIiEESt5tupleIJNSA_6TensorESF_SF_EERKSF_lbbbEUlllE_EE10hipError_tT0_T1_T2_jT3_P12ihipStream_tbPNSt15iterator_traitsISL_E10value_typeEPNSR_ISM_E10value_typeEPSN_NS1_7vsmem_tEENKUlT_SL_SM_SN_E_clIS8_S8_S9_S9_EESK_S10_SL_SM_SN_EUlS10_E0_NS1_11comp_targetILNS1_3genE4ELNS1_11target_archE910ELNS1_3gpuE8ELNS1_3repE0EEENS1_38merge_mergepath_config_static_selectorELNS0_4arch9wavefront6targetE0EEEvSM_.uses_vcc, 0
	.set _ZN7rocprim17ROCPRIM_400000_NS6detail17trampoline_kernelINS0_14default_configENS1_38merge_sort_block_merge_config_selectorIlNS0_10empty_typeEEEZZNS1_27merge_sort_block_merge_implIS3_PlPS5_mZN2at6native12_GLOBAL__N_124unique_dim_cuda_templateIiEESt5tupleIJNSA_6TensorESF_SF_EERKSF_lbbbEUlllE_EE10hipError_tT0_T1_T2_jT3_P12ihipStream_tbPNSt15iterator_traitsISL_E10value_typeEPNSR_ISM_E10value_typeEPSN_NS1_7vsmem_tEENKUlT_SL_SM_SN_E_clIS8_S8_S9_S9_EESK_S10_SL_SM_SN_EUlS10_E0_NS1_11comp_targetILNS1_3genE4ELNS1_11target_archE910ELNS1_3gpuE8ELNS1_3repE0EEENS1_38merge_mergepath_config_static_selectorELNS0_4arch9wavefront6targetE0EEEvSM_.uses_flat_scratch, 0
	.set _ZN7rocprim17ROCPRIM_400000_NS6detail17trampoline_kernelINS0_14default_configENS1_38merge_sort_block_merge_config_selectorIlNS0_10empty_typeEEEZZNS1_27merge_sort_block_merge_implIS3_PlPS5_mZN2at6native12_GLOBAL__N_124unique_dim_cuda_templateIiEESt5tupleIJNSA_6TensorESF_SF_EERKSF_lbbbEUlllE_EE10hipError_tT0_T1_T2_jT3_P12ihipStream_tbPNSt15iterator_traitsISL_E10value_typeEPNSR_ISM_E10value_typeEPSN_NS1_7vsmem_tEENKUlT_SL_SM_SN_E_clIS8_S8_S9_S9_EESK_S10_SL_SM_SN_EUlS10_E0_NS1_11comp_targetILNS1_3genE4ELNS1_11target_archE910ELNS1_3gpuE8ELNS1_3repE0EEENS1_38merge_mergepath_config_static_selectorELNS0_4arch9wavefront6targetE0EEEvSM_.has_dyn_sized_stack, 0
	.set _ZN7rocprim17ROCPRIM_400000_NS6detail17trampoline_kernelINS0_14default_configENS1_38merge_sort_block_merge_config_selectorIlNS0_10empty_typeEEEZZNS1_27merge_sort_block_merge_implIS3_PlPS5_mZN2at6native12_GLOBAL__N_124unique_dim_cuda_templateIiEESt5tupleIJNSA_6TensorESF_SF_EERKSF_lbbbEUlllE_EE10hipError_tT0_T1_T2_jT3_P12ihipStream_tbPNSt15iterator_traitsISL_E10value_typeEPNSR_ISM_E10value_typeEPSN_NS1_7vsmem_tEENKUlT_SL_SM_SN_E_clIS8_S8_S9_S9_EESK_S10_SL_SM_SN_EUlS10_E0_NS1_11comp_targetILNS1_3genE4ELNS1_11target_archE910ELNS1_3gpuE8ELNS1_3repE0EEENS1_38merge_mergepath_config_static_selectorELNS0_4arch9wavefront6targetE0EEEvSM_.has_recursion, 0
	.set _ZN7rocprim17ROCPRIM_400000_NS6detail17trampoline_kernelINS0_14default_configENS1_38merge_sort_block_merge_config_selectorIlNS0_10empty_typeEEEZZNS1_27merge_sort_block_merge_implIS3_PlPS5_mZN2at6native12_GLOBAL__N_124unique_dim_cuda_templateIiEESt5tupleIJNSA_6TensorESF_SF_EERKSF_lbbbEUlllE_EE10hipError_tT0_T1_T2_jT3_P12ihipStream_tbPNSt15iterator_traitsISL_E10value_typeEPNSR_ISM_E10value_typeEPSN_NS1_7vsmem_tEENKUlT_SL_SM_SN_E_clIS8_S8_S9_S9_EESK_S10_SL_SM_SN_EUlS10_E0_NS1_11comp_targetILNS1_3genE4ELNS1_11target_archE910ELNS1_3gpuE8ELNS1_3repE0EEENS1_38merge_mergepath_config_static_selectorELNS0_4arch9wavefront6targetE0EEEvSM_.has_indirect_call, 0
	.section	.AMDGPU.csdata,"",@progbits
; Kernel info:
; codeLenInByte = 0
; TotalNumSgprs: 0
; NumVgprs: 0
; ScratchSize: 0
; MemoryBound: 0
; FloatMode: 240
; IeeeMode: 1
; LDSByteSize: 0 bytes/workgroup (compile time only)
; SGPRBlocks: 0
; VGPRBlocks: 0
; NumSGPRsForWavesPerEU: 1
; NumVGPRsForWavesPerEU: 1
; NamedBarCnt: 0
; Occupancy: 16
; WaveLimiterHint : 0
; COMPUTE_PGM_RSRC2:SCRATCH_EN: 0
; COMPUTE_PGM_RSRC2:USER_SGPR: 2
; COMPUTE_PGM_RSRC2:TRAP_HANDLER: 0
; COMPUTE_PGM_RSRC2:TGID_X_EN: 1
; COMPUTE_PGM_RSRC2:TGID_Y_EN: 0
; COMPUTE_PGM_RSRC2:TGID_Z_EN: 0
; COMPUTE_PGM_RSRC2:TIDIG_COMP_CNT: 0
	.section	.text._ZN7rocprim17ROCPRIM_400000_NS6detail17trampoline_kernelINS0_14default_configENS1_38merge_sort_block_merge_config_selectorIlNS0_10empty_typeEEEZZNS1_27merge_sort_block_merge_implIS3_PlPS5_mZN2at6native12_GLOBAL__N_124unique_dim_cuda_templateIiEESt5tupleIJNSA_6TensorESF_SF_EERKSF_lbbbEUlllE_EE10hipError_tT0_T1_T2_jT3_P12ihipStream_tbPNSt15iterator_traitsISL_E10value_typeEPNSR_ISM_E10value_typeEPSN_NS1_7vsmem_tEENKUlT_SL_SM_SN_E_clIS8_S8_S9_S9_EESK_S10_SL_SM_SN_EUlS10_E0_NS1_11comp_targetILNS1_3genE3ELNS1_11target_archE908ELNS1_3gpuE7ELNS1_3repE0EEENS1_38merge_mergepath_config_static_selectorELNS0_4arch9wavefront6targetE0EEEvSM_,"axG",@progbits,_ZN7rocprim17ROCPRIM_400000_NS6detail17trampoline_kernelINS0_14default_configENS1_38merge_sort_block_merge_config_selectorIlNS0_10empty_typeEEEZZNS1_27merge_sort_block_merge_implIS3_PlPS5_mZN2at6native12_GLOBAL__N_124unique_dim_cuda_templateIiEESt5tupleIJNSA_6TensorESF_SF_EERKSF_lbbbEUlllE_EE10hipError_tT0_T1_T2_jT3_P12ihipStream_tbPNSt15iterator_traitsISL_E10value_typeEPNSR_ISM_E10value_typeEPSN_NS1_7vsmem_tEENKUlT_SL_SM_SN_E_clIS8_S8_S9_S9_EESK_S10_SL_SM_SN_EUlS10_E0_NS1_11comp_targetILNS1_3genE3ELNS1_11target_archE908ELNS1_3gpuE7ELNS1_3repE0EEENS1_38merge_mergepath_config_static_selectorELNS0_4arch9wavefront6targetE0EEEvSM_,comdat
	.globl	_ZN7rocprim17ROCPRIM_400000_NS6detail17trampoline_kernelINS0_14default_configENS1_38merge_sort_block_merge_config_selectorIlNS0_10empty_typeEEEZZNS1_27merge_sort_block_merge_implIS3_PlPS5_mZN2at6native12_GLOBAL__N_124unique_dim_cuda_templateIiEESt5tupleIJNSA_6TensorESF_SF_EERKSF_lbbbEUlllE_EE10hipError_tT0_T1_T2_jT3_P12ihipStream_tbPNSt15iterator_traitsISL_E10value_typeEPNSR_ISM_E10value_typeEPSN_NS1_7vsmem_tEENKUlT_SL_SM_SN_E_clIS8_S8_S9_S9_EESK_S10_SL_SM_SN_EUlS10_E0_NS1_11comp_targetILNS1_3genE3ELNS1_11target_archE908ELNS1_3gpuE7ELNS1_3repE0EEENS1_38merge_mergepath_config_static_selectorELNS0_4arch9wavefront6targetE0EEEvSM_ ; -- Begin function _ZN7rocprim17ROCPRIM_400000_NS6detail17trampoline_kernelINS0_14default_configENS1_38merge_sort_block_merge_config_selectorIlNS0_10empty_typeEEEZZNS1_27merge_sort_block_merge_implIS3_PlPS5_mZN2at6native12_GLOBAL__N_124unique_dim_cuda_templateIiEESt5tupleIJNSA_6TensorESF_SF_EERKSF_lbbbEUlllE_EE10hipError_tT0_T1_T2_jT3_P12ihipStream_tbPNSt15iterator_traitsISL_E10value_typeEPNSR_ISM_E10value_typeEPSN_NS1_7vsmem_tEENKUlT_SL_SM_SN_E_clIS8_S8_S9_S9_EESK_S10_SL_SM_SN_EUlS10_E0_NS1_11comp_targetILNS1_3genE3ELNS1_11target_archE908ELNS1_3gpuE7ELNS1_3repE0EEENS1_38merge_mergepath_config_static_selectorELNS0_4arch9wavefront6targetE0EEEvSM_
	.p2align	8
	.type	_ZN7rocprim17ROCPRIM_400000_NS6detail17trampoline_kernelINS0_14default_configENS1_38merge_sort_block_merge_config_selectorIlNS0_10empty_typeEEEZZNS1_27merge_sort_block_merge_implIS3_PlPS5_mZN2at6native12_GLOBAL__N_124unique_dim_cuda_templateIiEESt5tupleIJNSA_6TensorESF_SF_EERKSF_lbbbEUlllE_EE10hipError_tT0_T1_T2_jT3_P12ihipStream_tbPNSt15iterator_traitsISL_E10value_typeEPNSR_ISM_E10value_typeEPSN_NS1_7vsmem_tEENKUlT_SL_SM_SN_E_clIS8_S8_S9_S9_EESK_S10_SL_SM_SN_EUlS10_E0_NS1_11comp_targetILNS1_3genE3ELNS1_11target_archE908ELNS1_3gpuE7ELNS1_3repE0EEENS1_38merge_mergepath_config_static_selectorELNS0_4arch9wavefront6targetE0EEEvSM_,@function
_ZN7rocprim17ROCPRIM_400000_NS6detail17trampoline_kernelINS0_14default_configENS1_38merge_sort_block_merge_config_selectorIlNS0_10empty_typeEEEZZNS1_27merge_sort_block_merge_implIS3_PlPS5_mZN2at6native12_GLOBAL__N_124unique_dim_cuda_templateIiEESt5tupleIJNSA_6TensorESF_SF_EERKSF_lbbbEUlllE_EE10hipError_tT0_T1_T2_jT3_P12ihipStream_tbPNSt15iterator_traitsISL_E10value_typeEPNSR_ISM_E10value_typeEPSN_NS1_7vsmem_tEENKUlT_SL_SM_SN_E_clIS8_S8_S9_S9_EESK_S10_SL_SM_SN_EUlS10_E0_NS1_11comp_targetILNS1_3genE3ELNS1_11target_archE908ELNS1_3gpuE7ELNS1_3repE0EEENS1_38merge_mergepath_config_static_selectorELNS0_4arch9wavefront6targetE0EEEvSM_: ; @_ZN7rocprim17ROCPRIM_400000_NS6detail17trampoline_kernelINS0_14default_configENS1_38merge_sort_block_merge_config_selectorIlNS0_10empty_typeEEEZZNS1_27merge_sort_block_merge_implIS3_PlPS5_mZN2at6native12_GLOBAL__N_124unique_dim_cuda_templateIiEESt5tupleIJNSA_6TensorESF_SF_EERKSF_lbbbEUlllE_EE10hipError_tT0_T1_T2_jT3_P12ihipStream_tbPNSt15iterator_traitsISL_E10value_typeEPNSR_ISM_E10value_typeEPSN_NS1_7vsmem_tEENKUlT_SL_SM_SN_E_clIS8_S8_S9_S9_EESK_S10_SL_SM_SN_EUlS10_E0_NS1_11comp_targetILNS1_3genE3ELNS1_11target_archE908ELNS1_3gpuE7ELNS1_3repE0EEENS1_38merge_mergepath_config_static_selectorELNS0_4arch9wavefront6targetE0EEEvSM_
; %bb.0:
	.section	.rodata,"a",@progbits
	.p2align	6, 0x0
	.amdhsa_kernel _ZN7rocprim17ROCPRIM_400000_NS6detail17trampoline_kernelINS0_14default_configENS1_38merge_sort_block_merge_config_selectorIlNS0_10empty_typeEEEZZNS1_27merge_sort_block_merge_implIS3_PlPS5_mZN2at6native12_GLOBAL__N_124unique_dim_cuda_templateIiEESt5tupleIJNSA_6TensorESF_SF_EERKSF_lbbbEUlllE_EE10hipError_tT0_T1_T2_jT3_P12ihipStream_tbPNSt15iterator_traitsISL_E10value_typeEPNSR_ISM_E10value_typeEPSN_NS1_7vsmem_tEENKUlT_SL_SM_SN_E_clIS8_S8_S9_S9_EESK_S10_SL_SM_SN_EUlS10_E0_NS1_11comp_targetILNS1_3genE3ELNS1_11target_archE908ELNS1_3gpuE7ELNS1_3repE0EEENS1_38merge_mergepath_config_static_selectorELNS0_4arch9wavefront6targetE0EEEvSM_
		.amdhsa_group_segment_fixed_size 0
		.amdhsa_private_segment_fixed_size 0
		.amdhsa_kernarg_size 88
		.amdhsa_user_sgpr_count 2
		.amdhsa_user_sgpr_dispatch_ptr 0
		.amdhsa_user_sgpr_queue_ptr 0
		.amdhsa_user_sgpr_kernarg_segment_ptr 1
		.amdhsa_user_sgpr_dispatch_id 0
		.amdhsa_user_sgpr_kernarg_preload_length 0
		.amdhsa_user_sgpr_kernarg_preload_offset 0
		.amdhsa_user_sgpr_private_segment_size 0
		.amdhsa_wavefront_size32 1
		.amdhsa_uses_dynamic_stack 0
		.amdhsa_enable_private_segment 0
		.amdhsa_system_sgpr_workgroup_id_x 1
		.amdhsa_system_sgpr_workgroup_id_y 0
		.amdhsa_system_sgpr_workgroup_id_z 0
		.amdhsa_system_sgpr_workgroup_info 0
		.amdhsa_system_vgpr_workitem_id 0
		.amdhsa_next_free_vgpr 1
		.amdhsa_next_free_sgpr 1
		.amdhsa_named_barrier_count 0
		.amdhsa_reserve_vcc 0
		.amdhsa_float_round_mode_32 0
		.amdhsa_float_round_mode_16_64 0
		.amdhsa_float_denorm_mode_32 3
		.amdhsa_float_denorm_mode_16_64 3
		.amdhsa_fp16_overflow 0
		.amdhsa_memory_ordered 1
		.amdhsa_forward_progress 1
		.amdhsa_inst_pref_size 0
		.amdhsa_round_robin_scheduling 0
		.amdhsa_exception_fp_ieee_invalid_op 0
		.amdhsa_exception_fp_denorm_src 0
		.amdhsa_exception_fp_ieee_div_zero 0
		.amdhsa_exception_fp_ieee_overflow 0
		.amdhsa_exception_fp_ieee_underflow 0
		.amdhsa_exception_fp_ieee_inexact 0
		.amdhsa_exception_int_div_zero 0
	.end_amdhsa_kernel
	.section	.text._ZN7rocprim17ROCPRIM_400000_NS6detail17trampoline_kernelINS0_14default_configENS1_38merge_sort_block_merge_config_selectorIlNS0_10empty_typeEEEZZNS1_27merge_sort_block_merge_implIS3_PlPS5_mZN2at6native12_GLOBAL__N_124unique_dim_cuda_templateIiEESt5tupleIJNSA_6TensorESF_SF_EERKSF_lbbbEUlllE_EE10hipError_tT0_T1_T2_jT3_P12ihipStream_tbPNSt15iterator_traitsISL_E10value_typeEPNSR_ISM_E10value_typeEPSN_NS1_7vsmem_tEENKUlT_SL_SM_SN_E_clIS8_S8_S9_S9_EESK_S10_SL_SM_SN_EUlS10_E0_NS1_11comp_targetILNS1_3genE3ELNS1_11target_archE908ELNS1_3gpuE7ELNS1_3repE0EEENS1_38merge_mergepath_config_static_selectorELNS0_4arch9wavefront6targetE0EEEvSM_,"axG",@progbits,_ZN7rocprim17ROCPRIM_400000_NS6detail17trampoline_kernelINS0_14default_configENS1_38merge_sort_block_merge_config_selectorIlNS0_10empty_typeEEEZZNS1_27merge_sort_block_merge_implIS3_PlPS5_mZN2at6native12_GLOBAL__N_124unique_dim_cuda_templateIiEESt5tupleIJNSA_6TensorESF_SF_EERKSF_lbbbEUlllE_EE10hipError_tT0_T1_T2_jT3_P12ihipStream_tbPNSt15iterator_traitsISL_E10value_typeEPNSR_ISM_E10value_typeEPSN_NS1_7vsmem_tEENKUlT_SL_SM_SN_E_clIS8_S8_S9_S9_EESK_S10_SL_SM_SN_EUlS10_E0_NS1_11comp_targetILNS1_3genE3ELNS1_11target_archE908ELNS1_3gpuE7ELNS1_3repE0EEENS1_38merge_mergepath_config_static_selectorELNS0_4arch9wavefront6targetE0EEEvSM_,comdat
.Lfunc_end404:
	.size	_ZN7rocprim17ROCPRIM_400000_NS6detail17trampoline_kernelINS0_14default_configENS1_38merge_sort_block_merge_config_selectorIlNS0_10empty_typeEEEZZNS1_27merge_sort_block_merge_implIS3_PlPS5_mZN2at6native12_GLOBAL__N_124unique_dim_cuda_templateIiEESt5tupleIJNSA_6TensorESF_SF_EERKSF_lbbbEUlllE_EE10hipError_tT0_T1_T2_jT3_P12ihipStream_tbPNSt15iterator_traitsISL_E10value_typeEPNSR_ISM_E10value_typeEPSN_NS1_7vsmem_tEENKUlT_SL_SM_SN_E_clIS8_S8_S9_S9_EESK_S10_SL_SM_SN_EUlS10_E0_NS1_11comp_targetILNS1_3genE3ELNS1_11target_archE908ELNS1_3gpuE7ELNS1_3repE0EEENS1_38merge_mergepath_config_static_selectorELNS0_4arch9wavefront6targetE0EEEvSM_, .Lfunc_end404-_ZN7rocprim17ROCPRIM_400000_NS6detail17trampoline_kernelINS0_14default_configENS1_38merge_sort_block_merge_config_selectorIlNS0_10empty_typeEEEZZNS1_27merge_sort_block_merge_implIS3_PlPS5_mZN2at6native12_GLOBAL__N_124unique_dim_cuda_templateIiEESt5tupleIJNSA_6TensorESF_SF_EERKSF_lbbbEUlllE_EE10hipError_tT0_T1_T2_jT3_P12ihipStream_tbPNSt15iterator_traitsISL_E10value_typeEPNSR_ISM_E10value_typeEPSN_NS1_7vsmem_tEENKUlT_SL_SM_SN_E_clIS8_S8_S9_S9_EESK_S10_SL_SM_SN_EUlS10_E0_NS1_11comp_targetILNS1_3genE3ELNS1_11target_archE908ELNS1_3gpuE7ELNS1_3repE0EEENS1_38merge_mergepath_config_static_selectorELNS0_4arch9wavefront6targetE0EEEvSM_
                                        ; -- End function
	.set _ZN7rocprim17ROCPRIM_400000_NS6detail17trampoline_kernelINS0_14default_configENS1_38merge_sort_block_merge_config_selectorIlNS0_10empty_typeEEEZZNS1_27merge_sort_block_merge_implIS3_PlPS5_mZN2at6native12_GLOBAL__N_124unique_dim_cuda_templateIiEESt5tupleIJNSA_6TensorESF_SF_EERKSF_lbbbEUlllE_EE10hipError_tT0_T1_T2_jT3_P12ihipStream_tbPNSt15iterator_traitsISL_E10value_typeEPNSR_ISM_E10value_typeEPSN_NS1_7vsmem_tEENKUlT_SL_SM_SN_E_clIS8_S8_S9_S9_EESK_S10_SL_SM_SN_EUlS10_E0_NS1_11comp_targetILNS1_3genE3ELNS1_11target_archE908ELNS1_3gpuE7ELNS1_3repE0EEENS1_38merge_mergepath_config_static_selectorELNS0_4arch9wavefront6targetE0EEEvSM_.num_vgpr, 0
	.set _ZN7rocprim17ROCPRIM_400000_NS6detail17trampoline_kernelINS0_14default_configENS1_38merge_sort_block_merge_config_selectorIlNS0_10empty_typeEEEZZNS1_27merge_sort_block_merge_implIS3_PlPS5_mZN2at6native12_GLOBAL__N_124unique_dim_cuda_templateIiEESt5tupleIJNSA_6TensorESF_SF_EERKSF_lbbbEUlllE_EE10hipError_tT0_T1_T2_jT3_P12ihipStream_tbPNSt15iterator_traitsISL_E10value_typeEPNSR_ISM_E10value_typeEPSN_NS1_7vsmem_tEENKUlT_SL_SM_SN_E_clIS8_S8_S9_S9_EESK_S10_SL_SM_SN_EUlS10_E0_NS1_11comp_targetILNS1_3genE3ELNS1_11target_archE908ELNS1_3gpuE7ELNS1_3repE0EEENS1_38merge_mergepath_config_static_selectorELNS0_4arch9wavefront6targetE0EEEvSM_.num_agpr, 0
	.set _ZN7rocprim17ROCPRIM_400000_NS6detail17trampoline_kernelINS0_14default_configENS1_38merge_sort_block_merge_config_selectorIlNS0_10empty_typeEEEZZNS1_27merge_sort_block_merge_implIS3_PlPS5_mZN2at6native12_GLOBAL__N_124unique_dim_cuda_templateIiEESt5tupleIJNSA_6TensorESF_SF_EERKSF_lbbbEUlllE_EE10hipError_tT0_T1_T2_jT3_P12ihipStream_tbPNSt15iterator_traitsISL_E10value_typeEPNSR_ISM_E10value_typeEPSN_NS1_7vsmem_tEENKUlT_SL_SM_SN_E_clIS8_S8_S9_S9_EESK_S10_SL_SM_SN_EUlS10_E0_NS1_11comp_targetILNS1_3genE3ELNS1_11target_archE908ELNS1_3gpuE7ELNS1_3repE0EEENS1_38merge_mergepath_config_static_selectorELNS0_4arch9wavefront6targetE0EEEvSM_.numbered_sgpr, 0
	.set _ZN7rocprim17ROCPRIM_400000_NS6detail17trampoline_kernelINS0_14default_configENS1_38merge_sort_block_merge_config_selectorIlNS0_10empty_typeEEEZZNS1_27merge_sort_block_merge_implIS3_PlPS5_mZN2at6native12_GLOBAL__N_124unique_dim_cuda_templateIiEESt5tupleIJNSA_6TensorESF_SF_EERKSF_lbbbEUlllE_EE10hipError_tT0_T1_T2_jT3_P12ihipStream_tbPNSt15iterator_traitsISL_E10value_typeEPNSR_ISM_E10value_typeEPSN_NS1_7vsmem_tEENKUlT_SL_SM_SN_E_clIS8_S8_S9_S9_EESK_S10_SL_SM_SN_EUlS10_E0_NS1_11comp_targetILNS1_3genE3ELNS1_11target_archE908ELNS1_3gpuE7ELNS1_3repE0EEENS1_38merge_mergepath_config_static_selectorELNS0_4arch9wavefront6targetE0EEEvSM_.num_named_barrier, 0
	.set _ZN7rocprim17ROCPRIM_400000_NS6detail17trampoline_kernelINS0_14default_configENS1_38merge_sort_block_merge_config_selectorIlNS0_10empty_typeEEEZZNS1_27merge_sort_block_merge_implIS3_PlPS5_mZN2at6native12_GLOBAL__N_124unique_dim_cuda_templateIiEESt5tupleIJNSA_6TensorESF_SF_EERKSF_lbbbEUlllE_EE10hipError_tT0_T1_T2_jT3_P12ihipStream_tbPNSt15iterator_traitsISL_E10value_typeEPNSR_ISM_E10value_typeEPSN_NS1_7vsmem_tEENKUlT_SL_SM_SN_E_clIS8_S8_S9_S9_EESK_S10_SL_SM_SN_EUlS10_E0_NS1_11comp_targetILNS1_3genE3ELNS1_11target_archE908ELNS1_3gpuE7ELNS1_3repE0EEENS1_38merge_mergepath_config_static_selectorELNS0_4arch9wavefront6targetE0EEEvSM_.private_seg_size, 0
	.set _ZN7rocprim17ROCPRIM_400000_NS6detail17trampoline_kernelINS0_14default_configENS1_38merge_sort_block_merge_config_selectorIlNS0_10empty_typeEEEZZNS1_27merge_sort_block_merge_implIS3_PlPS5_mZN2at6native12_GLOBAL__N_124unique_dim_cuda_templateIiEESt5tupleIJNSA_6TensorESF_SF_EERKSF_lbbbEUlllE_EE10hipError_tT0_T1_T2_jT3_P12ihipStream_tbPNSt15iterator_traitsISL_E10value_typeEPNSR_ISM_E10value_typeEPSN_NS1_7vsmem_tEENKUlT_SL_SM_SN_E_clIS8_S8_S9_S9_EESK_S10_SL_SM_SN_EUlS10_E0_NS1_11comp_targetILNS1_3genE3ELNS1_11target_archE908ELNS1_3gpuE7ELNS1_3repE0EEENS1_38merge_mergepath_config_static_selectorELNS0_4arch9wavefront6targetE0EEEvSM_.uses_vcc, 0
	.set _ZN7rocprim17ROCPRIM_400000_NS6detail17trampoline_kernelINS0_14default_configENS1_38merge_sort_block_merge_config_selectorIlNS0_10empty_typeEEEZZNS1_27merge_sort_block_merge_implIS3_PlPS5_mZN2at6native12_GLOBAL__N_124unique_dim_cuda_templateIiEESt5tupleIJNSA_6TensorESF_SF_EERKSF_lbbbEUlllE_EE10hipError_tT0_T1_T2_jT3_P12ihipStream_tbPNSt15iterator_traitsISL_E10value_typeEPNSR_ISM_E10value_typeEPSN_NS1_7vsmem_tEENKUlT_SL_SM_SN_E_clIS8_S8_S9_S9_EESK_S10_SL_SM_SN_EUlS10_E0_NS1_11comp_targetILNS1_3genE3ELNS1_11target_archE908ELNS1_3gpuE7ELNS1_3repE0EEENS1_38merge_mergepath_config_static_selectorELNS0_4arch9wavefront6targetE0EEEvSM_.uses_flat_scratch, 0
	.set _ZN7rocprim17ROCPRIM_400000_NS6detail17trampoline_kernelINS0_14default_configENS1_38merge_sort_block_merge_config_selectorIlNS0_10empty_typeEEEZZNS1_27merge_sort_block_merge_implIS3_PlPS5_mZN2at6native12_GLOBAL__N_124unique_dim_cuda_templateIiEESt5tupleIJNSA_6TensorESF_SF_EERKSF_lbbbEUlllE_EE10hipError_tT0_T1_T2_jT3_P12ihipStream_tbPNSt15iterator_traitsISL_E10value_typeEPNSR_ISM_E10value_typeEPSN_NS1_7vsmem_tEENKUlT_SL_SM_SN_E_clIS8_S8_S9_S9_EESK_S10_SL_SM_SN_EUlS10_E0_NS1_11comp_targetILNS1_3genE3ELNS1_11target_archE908ELNS1_3gpuE7ELNS1_3repE0EEENS1_38merge_mergepath_config_static_selectorELNS0_4arch9wavefront6targetE0EEEvSM_.has_dyn_sized_stack, 0
	.set _ZN7rocprim17ROCPRIM_400000_NS6detail17trampoline_kernelINS0_14default_configENS1_38merge_sort_block_merge_config_selectorIlNS0_10empty_typeEEEZZNS1_27merge_sort_block_merge_implIS3_PlPS5_mZN2at6native12_GLOBAL__N_124unique_dim_cuda_templateIiEESt5tupleIJNSA_6TensorESF_SF_EERKSF_lbbbEUlllE_EE10hipError_tT0_T1_T2_jT3_P12ihipStream_tbPNSt15iterator_traitsISL_E10value_typeEPNSR_ISM_E10value_typeEPSN_NS1_7vsmem_tEENKUlT_SL_SM_SN_E_clIS8_S8_S9_S9_EESK_S10_SL_SM_SN_EUlS10_E0_NS1_11comp_targetILNS1_3genE3ELNS1_11target_archE908ELNS1_3gpuE7ELNS1_3repE0EEENS1_38merge_mergepath_config_static_selectorELNS0_4arch9wavefront6targetE0EEEvSM_.has_recursion, 0
	.set _ZN7rocprim17ROCPRIM_400000_NS6detail17trampoline_kernelINS0_14default_configENS1_38merge_sort_block_merge_config_selectorIlNS0_10empty_typeEEEZZNS1_27merge_sort_block_merge_implIS3_PlPS5_mZN2at6native12_GLOBAL__N_124unique_dim_cuda_templateIiEESt5tupleIJNSA_6TensorESF_SF_EERKSF_lbbbEUlllE_EE10hipError_tT0_T1_T2_jT3_P12ihipStream_tbPNSt15iterator_traitsISL_E10value_typeEPNSR_ISM_E10value_typeEPSN_NS1_7vsmem_tEENKUlT_SL_SM_SN_E_clIS8_S8_S9_S9_EESK_S10_SL_SM_SN_EUlS10_E0_NS1_11comp_targetILNS1_3genE3ELNS1_11target_archE908ELNS1_3gpuE7ELNS1_3repE0EEENS1_38merge_mergepath_config_static_selectorELNS0_4arch9wavefront6targetE0EEEvSM_.has_indirect_call, 0
	.section	.AMDGPU.csdata,"",@progbits
; Kernel info:
; codeLenInByte = 0
; TotalNumSgprs: 0
; NumVgprs: 0
; ScratchSize: 0
; MemoryBound: 0
; FloatMode: 240
; IeeeMode: 1
; LDSByteSize: 0 bytes/workgroup (compile time only)
; SGPRBlocks: 0
; VGPRBlocks: 0
; NumSGPRsForWavesPerEU: 1
; NumVGPRsForWavesPerEU: 1
; NamedBarCnt: 0
; Occupancy: 16
; WaveLimiterHint : 0
; COMPUTE_PGM_RSRC2:SCRATCH_EN: 0
; COMPUTE_PGM_RSRC2:USER_SGPR: 2
; COMPUTE_PGM_RSRC2:TRAP_HANDLER: 0
; COMPUTE_PGM_RSRC2:TGID_X_EN: 1
; COMPUTE_PGM_RSRC2:TGID_Y_EN: 0
; COMPUTE_PGM_RSRC2:TGID_Z_EN: 0
; COMPUTE_PGM_RSRC2:TIDIG_COMP_CNT: 0
	.section	.text._ZN7rocprim17ROCPRIM_400000_NS6detail17trampoline_kernelINS0_14default_configENS1_38merge_sort_block_merge_config_selectorIlNS0_10empty_typeEEEZZNS1_27merge_sort_block_merge_implIS3_PlPS5_mZN2at6native12_GLOBAL__N_124unique_dim_cuda_templateIiEESt5tupleIJNSA_6TensorESF_SF_EERKSF_lbbbEUlllE_EE10hipError_tT0_T1_T2_jT3_P12ihipStream_tbPNSt15iterator_traitsISL_E10value_typeEPNSR_ISM_E10value_typeEPSN_NS1_7vsmem_tEENKUlT_SL_SM_SN_E_clIS8_S8_S9_S9_EESK_S10_SL_SM_SN_EUlS10_E0_NS1_11comp_targetILNS1_3genE2ELNS1_11target_archE906ELNS1_3gpuE6ELNS1_3repE0EEENS1_38merge_mergepath_config_static_selectorELNS0_4arch9wavefront6targetE0EEEvSM_,"axG",@progbits,_ZN7rocprim17ROCPRIM_400000_NS6detail17trampoline_kernelINS0_14default_configENS1_38merge_sort_block_merge_config_selectorIlNS0_10empty_typeEEEZZNS1_27merge_sort_block_merge_implIS3_PlPS5_mZN2at6native12_GLOBAL__N_124unique_dim_cuda_templateIiEESt5tupleIJNSA_6TensorESF_SF_EERKSF_lbbbEUlllE_EE10hipError_tT0_T1_T2_jT3_P12ihipStream_tbPNSt15iterator_traitsISL_E10value_typeEPNSR_ISM_E10value_typeEPSN_NS1_7vsmem_tEENKUlT_SL_SM_SN_E_clIS8_S8_S9_S9_EESK_S10_SL_SM_SN_EUlS10_E0_NS1_11comp_targetILNS1_3genE2ELNS1_11target_archE906ELNS1_3gpuE6ELNS1_3repE0EEENS1_38merge_mergepath_config_static_selectorELNS0_4arch9wavefront6targetE0EEEvSM_,comdat
	.globl	_ZN7rocprim17ROCPRIM_400000_NS6detail17trampoline_kernelINS0_14default_configENS1_38merge_sort_block_merge_config_selectorIlNS0_10empty_typeEEEZZNS1_27merge_sort_block_merge_implIS3_PlPS5_mZN2at6native12_GLOBAL__N_124unique_dim_cuda_templateIiEESt5tupleIJNSA_6TensorESF_SF_EERKSF_lbbbEUlllE_EE10hipError_tT0_T1_T2_jT3_P12ihipStream_tbPNSt15iterator_traitsISL_E10value_typeEPNSR_ISM_E10value_typeEPSN_NS1_7vsmem_tEENKUlT_SL_SM_SN_E_clIS8_S8_S9_S9_EESK_S10_SL_SM_SN_EUlS10_E0_NS1_11comp_targetILNS1_3genE2ELNS1_11target_archE906ELNS1_3gpuE6ELNS1_3repE0EEENS1_38merge_mergepath_config_static_selectorELNS0_4arch9wavefront6targetE0EEEvSM_ ; -- Begin function _ZN7rocprim17ROCPRIM_400000_NS6detail17trampoline_kernelINS0_14default_configENS1_38merge_sort_block_merge_config_selectorIlNS0_10empty_typeEEEZZNS1_27merge_sort_block_merge_implIS3_PlPS5_mZN2at6native12_GLOBAL__N_124unique_dim_cuda_templateIiEESt5tupleIJNSA_6TensorESF_SF_EERKSF_lbbbEUlllE_EE10hipError_tT0_T1_T2_jT3_P12ihipStream_tbPNSt15iterator_traitsISL_E10value_typeEPNSR_ISM_E10value_typeEPSN_NS1_7vsmem_tEENKUlT_SL_SM_SN_E_clIS8_S8_S9_S9_EESK_S10_SL_SM_SN_EUlS10_E0_NS1_11comp_targetILNS1_3genE2ELNS1_11target_archE906ELNS1_3gpuE6ELNS1_3repE0EEENS1_38merge_mergepath_config_static_selectorELNS0_4arch9wavefront6targetE0EEEvSM_
	.p2align	8
	.type	_ZN7rocprim17ROCPRIM_400000_NS6detail17trampoline_kernelINS0_14default_configENS1_38merge_sort_block_merge_config_selectorIlNS0_10empty_typeEEEZZNS1_27merge_sort_block_merge_implIS3_PlPS5_mZN2at6native12_GLOBAL__N_124unique_dim_cuda_templateIiEESt5tupleIJNSA_6TensorESF_SF_EERKSF_lbbbEUlllE_EE10hipError_tT0_T1_T2_jT3_P12ihipStream_tbPNSt15iterator_traitsISL_E10value_typeEPNSR_ISM_E10value_typeEPSN_NS1_7vsmem_tEENKUlT_SL_SM_SN_E_clIS8_S8_S9_S9_EESK_S10_SL_SM_SN_EUlS10_E0_NS1_11comp_targetILNS1_3genE2ELNS1_11target_archE906ELNS1_3gpuE6ELNS1_3repE0EEENS1_38merge_mergepath_config_static_selectorELNS0_4arch9wavefront6targetE0EEEvSM_,@function
_ZN7rocprim17ROCPRIM_400000_NS6detail17trampoline_kernelINS0_14default_configENS1_38merge_sort_block_merge_config_selectorIlNS0_10empty_typeEEEZZNS1_27merge_sort_block_merge_implIS3_PlPS5_mZN2at6native12_GLOBAL__N_124unique_dim_cuda_templateIiEESt5tupleIJNSA_6TensorESF_SF_EERKSF_lbbbEUlllE_EE10hipError_tT0_T1_T2_jT3_P12ihipStream_tbPNSt15iterator_traitsISL_E10value_typeEPNSR_ISM_E10value_typeEPSN_NS1_7vsmem_tEENKUlT_SL_SM_SN_E_clIS8_S8_S9_S9_EESK_S10_SL_SM_SN_EUlS10_E0_NS1_11comp_targetILNS1_3genE2ELNS1_11target_archE906ELNS1_3gpuE6ELNS1_3repE0EEENS1_38merge_mergepath_config_static_selectorELNS0_4arch9wavefront6targetE0EEEvSM_: ; @_ZN7rocprim17ROCPRIM_400000_NS6detail17trampoline_kernelINS0_14default_configENS1_38merge_sort_block_merge_config_selectorIlNS0_10empty_typeEEEZZNS1_27merge_sort_block_merge_implIS3_PlPS5_mZN2at6native12_GLOBAL__N_124unique_dim_cuda_templateIiEESt5tupleIJNSA_6TensorESF_SF_EERKSF_lbbbEUlllE_EE10hipError_tT0_T1_T2_jT3_P12ihipStream_tbPNSt15iterator_traitsISL_E10value_typeEPNSR_ISM_E10value_typeEPSN_NS1_7vsmem_tEENKUlT_SL_SM_SN_E_clIS8_S8_S9_S9_EESK_S10_SL_SM_SN_EUlS10_E0_NS1_11comp_targetILNS1_3genE2ELNS1_11target_archE906ELNS1_3gpuE6ELNS1_3repE0EEENS1_38merge_mergepath_config_static_selectorELNS0_4arch9wavefront6targetE0EEEvSM_
; %bb.0:
	.section	.rodata,"a",@progbits
	.p2align	6, 0x0
	.amdhsa_kernel _ZN7rocprim17ROCPRIM_400000_NS6detail17trampoline_kernelINS0_14default_configENS1_38merge_sort_block_merge_config_selectorIlNS0_10empty_typeEEEZZNS1_27merge_sort_block_merge_implIS3_PlPS5_mZN2at6native12_GLOBAL__N_124unique_dim_cuda_templateIiEESt5tupleIJNSA_6TensorESF_SF_EERKSF_lbbbEUlllE_EE10hipError_tT0_T1_T2_jT3_P12ihipStream_tbPNSt15iterator_traitsISL_E10value_typeEPNSR_ISM_E10value_typeEPSN_NS1_7vsmem_tEENKUlT_SL_SM_SN_E_clIS8_S8_S9_S9_EESK_S10_SL_SM_SN_EUlS10_E0_NS1_11comp_targetILNS1_3genE2ELNS1_11target_archE906ELNS1_3gpuE6ELNS1_3repE0EEENS1_38merge_mergepath_config_static_selectorELNS0_4arch9wavefront6targetE0EEEvSM_
		.amdhsa_group_segment_fixed_size 0
		.amdhsa_private_segment_fixed_size 0
		.amdhsa_kernarg_size 88
		.amdhsa_user_sgpr_count 2
		.amdhsa_user_sgpr_dispatch_ptr 0
		.amdhsa_user_sgpr_queue_ptr 0
		.amdhsa_user_sgpr_kernarg_segment_ptr 1
		.amdhsa_user_sgpr_dispatch_id 0
		.amdhsa_user_sgpr_kernarg_preload_length 0
		.amdhsa_user_sgpr_kernarg_preload_offset 0
		.amdhsa_user_sgpr_private_segment_size 0
		.amdhsa_wavefront_size32 1
		.amdhsa_uses_dynamic_stack 0
		.amdhsa_enable_private_segment 0
		.amdhsa_system_sgpr_workgroup_id_x 1
		.amdhsa_system_sgpr_workgroup_id_y 0
		.amdhsa_system_sgpr_workgroup_id_z 0
		.amdhsa_system_sgpr_workgroup_info 0
		.amdhsa_system_vgpr_workitem_id 0
		.amdhsa_next_free_vgpr 1
		.amdhsa_next_free_sgpr 1
		.amdhsa_named_barrier_count 0
		.amdhsa_reserve_vcc 0
		.amdhsa_float_round_mode_32 0
		.amdhsa_float_round_mode_16_64 0
		.amdhsa_float_denorm_mode_32 3
		.amdhsa_float_denorm_mode_16_64 3
		.amdhsa_fp16_overflow 0
		.amdhsa_memory_ordered 1
		.amdhsa_forward_progress 1
		.amdhsa_inst_pref_size 0
		.amdhsa_round_robin_scheduling 0
		.amdhsa_exception_fp_ieee_invalid_op 0
		.amdhsa_exception_fp_denorm_src 0
		.amdhsa_exception_fp_ieee_div_zero 0
		.amdhsa_exception_fp_ieee_overflow 0
		.amdhsa_exception_fp_ieee_underflow 0
		.amdhsa_exception_fp_ieee_inexact 0
		.amdhsa_exception_int_div_zero 0
	.end_amdhsa_kernel
	.section	.text._ZN7rocprim17ROCPRIM_400000_NS6detail17trampoline_kernelINS0_14default_configENS1_38merge_sort_block_merge_config_selectorIlNS0_10empty_typeEEEZZNS1_27merge_sort_block_merge_implIS3_PlPS5_mZN2at6native12_GLOBAL__N_124unique_dim_cuda_templateIiEESt5tupleIJNSA_6TensorESF_SF_EERKSF_lbbbEUlllE_EE10hipError_tT0_T1_T2_jT3_P12ihipStream_tbPNSt15iterator_traitsISL_E10value_typeEPNSR_ISM_E10value_typeEPSN_NS1_7vsmem_tEENKUlT_SL_SM_SN_E_clIS8_S8_S9_S9_EESK_S10_SL_SM_SN_EUlS10_E0_NS1_11comp_targetILNS1_3genE2ELNS1_11target_archE906ELNS1_3gpuE6ELNS1_3repE0EEENS1_38merge_mergepath_config_static_selectorELNS0_4arch9wavefront6targetE0EEEvSM_,"axG",@progbits,_ZN7rocprim17ROCPRIM_400000_NS6detail17trampoline_kernelINS0_14default_configENS1_38merge_sort_block_merge_config_selectorIlNS0_10empty_typeEEEZZNS1_27merge_sort_block_merge_implIS3_PlPS5_mZN2at6native12_GLOBAL__N_124unique_dim_cuda_templateIiEESt5tupleIJNSA_6TensorESF_SF_EERKSF_lbbbEUlllE_EE10hipError_tT0_T1_T2_jT3_P12ihipStream_tbPNSt15iterator_traitsISL_E10value_typeEPNSR_ISM_E10value_typeEPSN_NS1_7vsmem_tEENKUlT_SL_SM_SN_E_clIS8_S8_S9_S9_EESK_S10_SL_SM_SN_EUlS10_E0_NS1_11comp_targetILNS1_3genE2ELNS1_11target_archE906ELNS1_3gpuE6ELNS1_3repE0EEENS1_38merge_mergepath_config_static_selectorELNS0_4arch9wavefront6targetE0EEEvSM_,comdat
.Lfunc_end405:
	.size	_ZN7rocprim17ROCPRIM_400000_NS6detail17trampoline_kernelINS0_14default_configENS1_38merge_sort_block_merge_config_selectorIlNS0_10empty_typeEEEZZNS1_27merge_sort_block_merge_implIS3_PlPS5_mZN2at6native12_GLOBAL__N_124unique_dim_cuda_templateIiEESt5tupleIJNSA_6TensorESF_SF_EERKSF_lbbbEUlllE_EE10hipError_tT0_T1_T2_jT3_P12ihipStream_tbPNSt15iterator_traitsISL_E10value_typeEPNSR_ISM_E10value_typeEPSN_NS1_7vsmem_tEENKUlT_SL_SM_SN_E_clIS8_S8_S9_S9_EESK_S10_SL_SM_SN_EUlS10_E0_NS1_11comp_targetILNS1_3genE2ELNS1_11target_archE906ELNS1_3gpuE6ELNS1_3repE0EEENS1_38merge_mergepath_config_static_selectorELNS0_4arch9wavefront6targetE0EEEvSM_, .Lfunc_end405-_ZN7rocprim17ROCPRIM_400000_NS6detail17trampoline_kernelINS0_14default_configENS1_38merge_sort_block_merge_config_selectorIlNS0_10empty_typeEEEZZNS1_27merge_sort_block_merge_implIS3_PlPS5_mZN2at6native12_GLOBAL__N_124unique_dim_cuda_templateIiEESt5tupleIJNSA_6TensorESF_SF_EERKSF_lbbbEUlllE_EE10hipError_tT0_T1_T2_jT3_P12ihipStream_tbPNSt15iterator_traitsISL_E10value_typeEPNSR_ISM_E10value_typeEPSN_NS1_7vsmem_tEENKUlT_SL_SM_SN_E_clIS8_S8_S9_S9_EESK_S10_SL_SM_SN_EUlS10_E0_NS1_11comp_targetILNS1_3genE2ELNS1_11target_archE906ELNS1_3gpuE6ELNS1_3repE0EEENS1_38merge_mergepath_config_static_selectorELNS0_4arch9wavefront6targetE0EEEvSM_
                                        ; -- End function
	.set _ZN7rocprim17ROCPRIM_400000_NS6detail17trampoline_kernelINS0_14default_configENS1_38merge_sort_block_merge_config_selectorIlNS0_10empty_typeEEEZZNS1_27merge_sort_block_merge_implIS3_PlPS5_mZN2at6native12_GLOBAL__N_124unique_dim_cuda_templateIiEESt5tupleIJNSA_6TensorESF_SF_EERKSF_lbbbEUlllE_EE10hipError_tT0_T1_T2_jT3_P12ihipStream_tbPNSt15iterator_traitsISL_E10value_typeEPNSR_ISM_E10value_typeEPSN_NS1_7vsmem_tEENKUlT_SL_SM_SN_E_clIS8_S8_S9_S9_EESK_S10_SL_SM_SN_EUlS10_E0_NS1_11comp_targetILNS1_3genE2ELNS1_11target_archE906ELNS1_3gpuE6ELNS1_3repE0EEENS1_38merge_mergepath_config_static_selectorELNS0_4arch9wavefront6targetE0EEEvSM_.num_vgpr, 0
	.set _ZN7rocprim17ROCPRIM_400000_NS6detail17trampoline_kernelINS0_14default_configENS1_38merge_sort_block_merge_config_selectorIlNS0_10empty_typeEEEZZNS1_27merge_sort_block_merge_implIS3_PlPS5_mZN2at6native12_GLOBAL__N_124unique_dim_cuda_templateIiEESt5tupleIJNSA_6TensorESF_SF_EERKSF_lbbbEUlllE_EE10hipError_tT0_T1_T2_jT3_P12ihipStream_tbPNSt15iterator_traitsISL_E10value_typeEPNSR_ISM_E10value_typeEPSN_NS1_7vsmem_tEENKUlT_SL_SM_SN_E_clIS8_S8_S9_S9_EESK_S10_SL_SM_SN_EUlS10_E0_NS1_11comp_targetILNS1_3genE2ELNS1_11target_archE906ELNS1_3gpuE6ELNS1_3repE0EEENS1_38merge_mergepath_config_static_selectorELNS0_4arch9wavefront6targetE0EEEvSM_.num_agpr, 0
	.set _ZN7rocprim17ROCPRIM_400000_NS6detail17trampoline_kernelINS0_14default_configENS1_38merge_sort_block_merge_config_selectorIlNS0_10empty_typeEEEZZNS1_27merge_sort_block_merge_implIS3_PlPS5_mZN2at6native12_GLOBAL__N_124unique_dim_cuda_templateIiEESt5tupleIJNSA_6TensorESF_SF_EERKSF_lbbbEUlllE_EE10hipError_tT0_T1_T2_jT3_P12ihipStream_tbPNSt15iterator_traitsISL_E10value_typeEPNSR_ISM_E10value_typeEPSN_NS1_7vsmem_tEENKUlT_SL_SM_SN_E_clIS8_S8_S9_S9_EESK_S10_SL_SM_SN_EUlS10_E0_NS1_11comp_targetILNS1_3genE2ELNS1_11target_archE906ELNS1_3gpuE6ELNS1_3repE0EEENS1_38merge_mergepath_config_static_selectorELNS0_4arch9wavefront6targetE0EEEvSM_.numbered_sgpr, 0
	.set _ZN7rocprim17ROCPRIM_400000_NS6detail17trampoline_kernelINS0_14default_configENS1_38merge_sort_block_merge_config_selectorIlNS0_10empty_typeEEEZZNS1_27merge_sort_block_merge_implIS3_PlPS5_mZN2at6native12_GLOBAL__N_124unique_dim_cuda_templateIiEESt5tupleIJNSA_6TensorESF_SF_EERKSF_lbbbEUlllE_EE10hipError_tT0_T1_T2_jT3_P12ihipStream_tbPNSt15iterator_traitsISL_E10value_typeEPNSR_ISM_E10value_typeEPSN_NS1_7vsmem_tEENKUlT_SL_SM_SN_E_clIS8_S8_S9_S9_EESK_S10_SL_SM_SN_EUlS10_E0_NS1_11comp_targetILNS1_3genE2ELNS1_11target_archE906ELNS1_3gpuE6ELNS1_3repE0EEENS1_38merge_mergepath_config_static_selectorELNS0_4arch9wavefront6targetE0EEEvSM_.num_named_barrier, 0
	.set _ZN7rocprim17ROCPRIM_400000_NS6detail17trampoline_kernelINS0_14default_configENS1_38merge_sort_block_merge_config_selectorIlNS0_10empty_typeEEEZZNS1_27merge_sort_block_merge_implIS3_PlPS5_mZN2at6native12_GLOBAL__N_124unique_dim_cuda_templateIiEESt5tupleIJNSA_6TensorESF_SF_EERKSF_lbbbEUlllE_EE10hipError_tT0_T1_T2_jT3_P12ihipStream_tbPNSt15iterator_traitsISL_E10value_typeEPNSR_ISM_E10value_typeEPSN_NS1_7vsmem_tEENKUlT_SL_SM_SN_E_clIS8_S8_S9_S9_EESK_S10_SL_SM_SN_EUlS10_E0_NS1_11comp_targetILNS1_3genE2ELNS1_11target_archE906ELNS1_3gpuE6ELNS1_3repE0EEENS1_38merge_mergepath_config_static_selectorELNS0_4arch9wavefront6targetE0EEEvSM_.private_seg_size, 0
	.set _ZN7rocprim17ROCPRIM_400000_NS6detail17trampoline_kernelINS0_14default_configENS1_38merge_sort_block_merge_config_selectorIlNS0_10empty_typeEEEZZNS1_27merge_sort_block_merge_implIS3_PlPS5_mZN2at6native12_GLOBAL__N_124unique_dim_cuda_templateIiEESt5tupleIJNSA_6TensorESF_SF_EERKSF_lbbbEUlllE_EE10hipError_tT0_T1_T2_jT3_P12ihipStream_tbPNSt15iterator_traitsISL_E10value_typeEPNSR_ISM_E10value_typeEPSN_NS1_7vsmem_tEENKUlT_SL_SM_SN_E_clIS8_S8_S9_S9_EESK_S10_SL_SM_SN_EUlS10_E0_NS1_11comp_targetILNS1_3genE2ELNS1_11target_archE906ELNS1_3gpuE6ELNS1_3repE0EEENS1_38merge_mergepath_config_static_selectorELNS0_4arch9wavefront6targetE0EEEvSM_.uses_vcc, 0
	.set _ZN7rocprim17ROCPRIM_400000_NS6detail17trampoline_kernelINS0_14default_configENS1_38merge_sort_block_merge_config_selectorIlNS0_10empty_typeEEEZZNS1_27merge_sort_block_merge_implIS3_PlPS5_mZN2at6native12_GLOBAL__N_124unique_dim_cuda_templateIiEESt5tupleIJNSA_6TensorESF_SF_EERKSF_lbbbEUlllE_EE10hipError_tT0_T1_T2_jT3_P12ihipStream_tbPNSt15iterator_traitsISL_E10value_typeEPNSR_ISM_E10value_typeEPSN_NS1_7vsmem_tEENKUlT_SL_SM_SN_E_clIS8_S8_S9_S9_EESK_S10_SL_SM_SN_EUlS10_E0_NS1_11comp_targetILNS1_3genE2ELNS1_11target_archE906ELNS1_3gpuE6ELNS1_3repE0EEENS1_38merge_mergepath_config_static_selectorELNS0_4arch9wavefront6targetE0EEEvSM_.uses_flat_scratch, 0
	.set _ZN7rocprim17ROCPRIM_400000_NS6detail17trampoline_kernelINS0_14default_configENS1_38merge_sort_block_merge_config_selectorIlNS0_10empty_typeEEEZZNS1_27merge_sort_block_merge_implIS3_PlPS5_mZN2at6native12_GLOBAL__N_124unique_dim_cuda_templateIiEESt5tupleIJNSA_6TensorESF_SF_EERKSF_lbbbEUlllE_EE10hipError_tT0_T1_T2_jT3_P12ihipStream_tbPNSt15iterator_traitsISL_E10value_typeEPNSR_ISM_E10value_typeEPSN_NS1_7vsmem_tEENKUlT_SL_SM_SN_E_clIS8_S8_S9_S9_EESK_S10_SL_SM_SN_EUlS10_E0_NS1_11comp_targetILNS1_3genE2ELNS1_11target_archE906ELNS1_3gpuE6ELNS1_3repE0EEENS1_38merge_mergepath_config_static_selectorELNS0_4arch9wavefront6targetE0EEEvSM_.has_dyn_sized_stack, 0
	.set _ZN7rocprim17ROCPRIM_400000_NS6detail17trampoline_kernelINS0_14default_configENS1_38merge_sort_block_merge_config_selectorIlNS0_10empty_typeEEEZZNS1_27merge_sort_block_merge_implIS3_PlPS5_mZN2at6native12_GLOBAL__N_124unique_dim_cuda_templateIiEESt5tupleIJNSA_6TensorESF_SF_EERKSF_lbbbEUlllE_EE10hipError_tT0_T1_T2_jT3_P12ihipStream_tbPNSt15iterator_traitsISL_E10value_typeEPNSR_ISM_E10value_typeEPSN_NS1_7vsmem_tEENKUlT_SL_SM_SN_E_clIS8_S8_S9_S9_EESK_S10_SL_SM_SN_EUlS10_E0_NS1_11comp_targetILNS1_3genE2ELNS1_11target_archE906ELNS1_3gpuE6ELNS1_3repE0EEENS1_38merge_mergepath_config_static_selectorELNS0_4arch9wavefront6targetE0EEEvSM_.has_recursion, 0
	.set _ZN7rocprim17ROCPRIM_400000_NS6detail17trampoline_kernelINS0_14default_configENS1_38merge_sort_block_merge_config_selectorIlNS0_10empty_typeEEEZZNS1_27merge_sort_block_merge_implIS3_PlPS5_mZN2at6native12_GLOBAL__N_124unique_dim_cuda_templateIiEESt5tupleIJNSA_6TensorESF_SF_EERKSF_lbbbEUlllE_EE10hipError_tT0_T1_T2_jT3_P12ihipStream_tbPNSt15iterator_traitsISL_E10value_typeEPNSR_ISM_E10value_typeEPSN_NS1_7vsmem_tEENKUlT_SL_SM_SN_E_clIS8_S8_S9_S9_EESK_S10_SL_SM_SN_EUlS10_E0_NS1_11comp_targetILNS1_3genE2ELNS1_11target_archE906ELNS1_3gpuE6ELNS1_3repE0EEENS1_38merge_mergepath_config_static_selectorELNS0_4arch9wavefront6targetE0EEEvSM_.has_indirect_call, 0
	.section	.AMDGPU.csdata,"",@progbits
; Kernel info:
; codeLenInByte = 0
; TotalNumSgprs: 0
; NumVgprs: 0
; ScratchSize: 0
; MemoryBound: 0
; FloatMode: 240
; IeeeMode: 1
; LDSByteSize: 0 bytes/workgroup (compile time only)
; SGPRBlocks: 0
; VGPRBlocks: 0
; NumSGPRsForWavesPerEU: 1
; NumVGPRsForWavesPerEU: 1
; NamedBarCnt: 0
; Occupancy: 16
; WaveLimiterHint : 0
; COMPUTE_PGM_RSRC2:SCRATCH_EN: 0
; COMPUTE_PGM_RSRC2:USER_SGPR: 2
; COMPUTE_PGM_RSRC2:TRAP_HANDLER: 0
; COMPUTE_PGM_RSRC2:TGID_X_EN: 1
; COMPUTE_PGM_RSRC2:TGID_Y_EN: 0
; COMPUTE_PGM_RSRC2:TGID_Z_EN: 0
; COMPUTE_PGM_RSRC2:TIDIG_COMP_CNT: 0
	.section	.text._ZN7rocprim17ROCPRIM_400000_NS6detail17trampoline_kernelINS0_14default_configENS1_38merge_sort_block_merge_config_selectorIlNS0_10empty_typeEEEZZNS1_27merge_sort_block_merge_implIS3_PlPS5_mZN2at6native12_GLOBAL__N_124unique_dim_cuda_templateIiEESt5tupleIJNSA_6TensorESF_SF_EERKSF_lbbbEUlllE_EE10hipError_tT0_T1_T2_jT3_P12ihipStream_tbPNSt15iterator_traitsISL_E10value_typeEPNSR_ISM_E10value_typeEPSN_NS1_7vsmem_tEENKUlT_SL_SM_SN_E_clIS8_S8_S9_S9_EESK_S10_SL_SM_SN_EUlS10_E0_NS1_11comp_targetILNS1_3genE9ELNS1_11target_archE1100ELNS1_3gpuE3ELNS1_3repE0EEENS1_38merge_mergepath_config_static_selectorELNS0_4arch9wavefront6targetE0EEEvSM_,"axG",@progbits,_ZN7rocprim17ROCPRIM_400000_NS6detail17trampoline_kernelINS0_14default_configENS1_38merge_sort_block_merge_config_selectorIlNS0_10empty_typeEEEZZNS1_27merge_sort_block_merge_implIS3_PlPS5_mZN2at6native12_GLOBAL__N_124unique_dim_cuda_templateIiEESt5tupleIJNSA_6TensorESF_SF_EERKSF_lbbbEUlllE_EE10hipError_tT0_T1_T2_jT3_P12ihipStream_tbPNSt15iterator_traitsISL_E10value_typeEPNSR_ISM_E10value_typeEPSN_NS1_7vsmem_tEENKUlT_SL_SM_SN_E_clIS8_S8_S9_S9_EESK_S10_SL_SM_SN_EUlS10_E0_NS1_11comp_targetILNS1_3genE9ELNS1_11target_archE1100ELNS1_3gpuE3ELNS1_3repE0EEENS1_38merge_mergepath_config_static_selectorELNS0_4arch9wavefront6targetE0EEEvSM_,comdat
	.globl	_ZN7rocprim17ROCPRIM_400000_NS6detail17trampoline_kernelINS0_14default_configENS1_38merge_sort_block_merge_config_selectorIlNS0_10empty_typeEEEZZNS1_27merge_sort_block_merge_implIS3_PlPS5_mZN2at6native12_GLOBAL__N_124unique_dim_cuda_templateIiEESt5tupleIJNSA_6TensorESF_SF_EERKSF_lbbbEUlllE_EE10hipError_tT0_T1_T2_jT3_P12ihipStream_tbPNSt15iterator_traitsISL_E10value_typeEPNSR_ISM_E10value_typeEPSN_NS1_7vsmem_tEENKUlT_SL_SM_SN_E_clIS8_S8_S9_S9_EESK_S10_SL_SM_SN_EUlS10_E0_NS1_11comp_targetILNS1_3genE9ELNS1_11target_archE1100ELNS1_3gpuE3ELNS1_3repE0EEENS1_38merge_mergepath_config_static_selectorELNS0_4arch9wavefront6targetE0EEEvSM_ ; -- Begin function _ZN7rocprim17ROCPRIM_400000_NS6detail17trampoline_kernelINS0_14default_configENS1_38merge_sort_block_merge_config_selectorIlNS0_10empty_typeEEEZZNS1_27merge_sort_block_merge_implIS3_PlPS5_mZN2at6native12_GLOBAL__N_124unique_dim_cuda_templateIiEESt5tupleIJNSA_6TensorESF_SF_EERKSF_lbbbEUlllE_EE10hipError_tT0_T1_T2_jT3_P12ihipStream_tbPNSt15iterator_traitsISL_E10value_typeEPNSR_ISM_E10value_typeEPSN_NS1_7vsmem_tEENKUlT_SL_SM_SN_E_clIS8_S8_S9_S9_EESK_S10_SL_SM_SN_EUlS10_E0_NS1_11comp_targetILNS1_3genE9ELNS1_11target_archE1100ELNS1_3gpuE3ELNS1_3repE0EEENS1_38merge_mergepath_config_static_selectorELNS0_4arch9wavefront6targetE0EEEvSM_
	.p2align	8
	.type	_ZN7rocprim17ROCPRIM_400000_NS6detail17trampoline_kernelINS0_14default_configENS1_38merge_sort_block_merge_config_selectorIlNS0_10empty_typeEEEZZNS1_27merge_sort_block_merge_implIS3_PlPS5_mZN2at6native12_GLOBAL__N_124unique_dim_cuda_templateIiEESt5tupleIJNSA_6TensorESF_SF_EERKSF_lbbbEUlllE_EE10hipError_tT0_T1_T2_jT3_P12ihipStream_tbPNSt15iterator_traitsISL_E10value_typeEPNSR_ISM_E10value_typeEPSN_NS1_7vsmem_tEENKUlT_SL_SM_SN_E_clIS8_S8_S9_S9_EESK_S10_SL_SM_SN_EUlS10_E0_NS1_11comp_targetILNS1_3genE9ELNS1_11target_archE1100ELNS1_3gpuE3ELNS1_3repE0EEENS1_38merge_mergepath_config_static_selectorELNS0_4arch9wavefront6targetE0EEEvSM_,@function
_ZN7rocprim17ROCPRIM_400000_NS6detail17trampoline_kernelINS0_14default_configENS1_38merge_sort_block_merge_config_selectorIlNS0_10empty_typeEEEZZNS1_27merge_sort_block_merge_implIS3_PlPS5_mZN2at6native12_GLOBAL__N_124unique_dim_cuda_templateIiEESt5tupleIJNSA_6TensorESF_SF_EERKSF_lbbbEUlllE_EE10hipError_tT0_T1_T2_jT3_P12ihipStream_tbPNSt15iterator_traitsISL_E10value_typeEPNSR_ISM_E10value_typeEPSN_NS1_7vsmem_tEENKUlT_SL_SM_SN_E_clIS8_S8_S9_S9_EESK_S10_SL_SM_SN_EUlS10_E0_NS1_11comp_targetILNS1_3genE9ELNS1_11target_archE1100ELNS1_3gpuE3ELNS1_3repE0EEENS1_38merge_mergepath_config_static_selectorELNS0_4arch9wavefront6targetE0EEEvSM_: ; @_ZN7rocprim17ROCPRIM_400000_NS6detail17trampoline_kernelINS0_14default_configENS1_38merge_sort_block_merge_config_selectorIlNS0_10empty_typeEEEZZNS1_27merge_sort_block_merge_implIS3_PlPS5_mZN2at6native12_GLOBAL__N_124unique_dim_cuda_templateIiEESt5tupleIJNSA_6TensorESF_SF_EERKSF_lbbbEUlllE_EE10hipError_tT0_T1_T2_jT3_P12ihipStream_tbPNSt15iterator_traitsISL_E10value_typeEPNSR_ISM_E10value_typeEPSN_NS1_7vsmem_tEENKUlT_SL_SM_SN_E_clIS8_S8_S9_S9_EESK_S10_SL_SM_SN_EUlS10_E0_NS1_11comp_targetILNS1_3genE9ELNS1_11target_archE1100ELNS1_3gpuE3ELNS1_3repE0EEENS1_38merge_mergepath_config_static_selectorELNS0_4arch9wavefront6targetE0EEEvSM_
; %bb.0:
	.section	.rodata,"a",@progbits
	.p2align	6, 0x0
	.amdhsa_kernel _ZN7rocprim17ROCPRIM_400000_NS6detail17trampoline_kernelINS0_14default_configENS1_38merge_sort_block_merge_config_selectorIlNS0_10empty_typeEEEZZNS1_27merge_sort_block_merge_implIS3_PlPS5_mZN2at6native12_GLOBAL__N_124unique_dim_cuda_templateIiEESt5tupleIJNSA_6TensorESF_SF_EERKSF_lbbbEUlllE_EE10hipError_tT0_T1_T2_jT3_P12ihipStream_tbPNSt15iterator_traitsISL_E10value_typeEPNSR_ISM_E10value_typeEPSN_NS1_7vsmem_tEENKUlT_SL_SM_SN_E_clIS8_S8_S9_S9_EESK_S10_SL_SM_SN_EUlS10_E0_NS1_11comp_targetILNS1_3genE9ELNS1_11target_archE1100ELNS1_3gpuE3ELNS1_3repE0EEENS1_38merge_mergepath_config_static_selectorELNS0_4arch9wavefront6targetE0EEEvSM_
		.amdhsa_group_segment_fixed_size 0
		.amdhsa_private_segment_fixed_size 0
		.amdhsa_kernarg_size 88
		.amdhsa_user_sgpr_count 2
		.amdhsa_user_sgpr_dispatch_ptr 0
		.amdhsa_user_sgpr_queue_ptr 0
		.amdhsa_user_sgpr_kernarg_segment_ptr 1
		.amdhsa_user_sgpr_dispatch_id 0
		.amdhsa_user_sgpr_kernarg_preload_length 0
		.amdhsa_user_sgpr_kernarg_preload_offset 0
		.amdhsa_user_sgpr_private_segment_size 0
		.amdhsa_wavefront_size32 1
		.amdhsa_uses_dynamic_stack 0
		.amdhsa_enable_private_segment 0
		.amdhsa_system_sgpr_workgroup_id_x 1
		.amdhsa_system_sgpr_workgroup_id_y 0
		.amdhsa_system_sgpr_workgroup_id_z 0
		.amdhsa_system_sgpr_workgroup_info 0
		.amdhsa_system_vgpr_workitem_id 0
		.amdhsa_next_free_vgpr 1
		.amdhsa_next_free_sgpr 1
		.amdhsa_named_barrier_count 0
		.amdhsa_reserve_vcc 0
		.amdhsa_float_round_mode_32 0
		.amdhsa_float_round_mode_16_64 0
		.amdhsa_float_denorm_mode_32 3
		.amdhsa_float_denorm_mode_16_64 3
		.amdhsa_fp16_overflow 0
		.amdhsa_memory_ordered 1
		.amdhsa_forward_progress 1
		.amdhsa_inst_pref_size 0
		.amdhsa_round_robin_scheduling 0
		.amdhsa_exception_fp_ieee_invalid_op 0
		.amdhsa_exception_fp_denorm_src 0
		.amdhsa_exception_fp_ieee_div_zero 0
		.amdhsa_exception_fp_ieee_overflow 0
		.amdhsa_exception_fp_ieee_underflow 0
		.amdhsa_exception_fp_ieee_inexact 0
		.amdhsa_exception_int_div_zero 0
	.end_amdhsa_kernel
	.section	.text._ZN7rocprim17ROCPRIM_400000_NS6detail17trampoline_kernelINS0_14default_configENS1_38merge_sort_block_merge_config_selectorIlNS0_10empty_typeEEEZZNS1_27merge_sort_block_merge_implIS3_PlPS5_mZN2at6native12_GLOBAL__N_124unique_dim_cuda_templateIiEESt5tupleIJNSA_6TensorESF_SF_EERKSF_lbbbEUlllE_EE10hipError_tT0_T1_T2_jT3_P12ihipStream_tbPNSt15iterator_traitsISL_E10value_typeEPNSR_ISM_E10value_typeEPSN_NS1_7vsmem_tEENKUlT_SL_SM_SN_E_clIS8_S8_S9_S9_EESK_S10_SL_SM_SN_EUlS10_E0_NS1_11comp_targetILNS1_3genE9ELNS1_11target_archE1100ELNS1_3gpuE3ELNS1_3repE0EEENS1_38merge_mergepath_config_static_selectorELNS0_4arch9wavefront6targetE0EEEvSM_,"axG",@progbits,_ZN7rocprim17ROCPRIM_400000_NS6detail17trampoline_kernelINS0_14default_configENS1_38merge_sort_block_merge_config_selectorIlNS0_10empty_typeEEEZZNS1_27merge_sort_block_merge_implIS3_PlPS5_mZN2at6native12_GLOBAL__N_124unique_dim_cuda_templateIiEESt5tupleIJNSA_6TensorESF_SF_EERKSF_lbbbEUlllE_EE10hipError_tT0_T1_T2_jT3_P12ihipStream_tbPNSt15iterator_traitsISL_E10value_typeEPNSR_ISM_E10value_typeEPSN_NS1_7vsmem_tEENKUlT_SL_SM_SN_E_clIS8_S8_S9_S9_EESK_S10_SL_SM_SN_EUlS10_E0_NS1_11comp_targetILNS1_3genE9ELNS1_11target_archE1100ELNS1_3gpuE3ELNS1_3repE0EEENS1_38merge_mergepath_config_static_selectorELNS0_4arch9wavefront6targetE0EEEvSM_,comdat
.Lfunc_end406:
	.size	_ZN7rocprim17ROCPRIM_400000_NS6detail17trampoline_kernelINS0_14default_configENS1_38merge_sort_block_merge_config_selectorIlNS0_10empty_typeEEEZZNS1_27merge_sort_block_merge_implIS3_PlPS5_mZN2at6native12_GLOBAL__N_124unique_dim_cuda_templateIiEESt5tupleIJNSA_6TensorESF_SF_EERKSF_lbbbEUlllE_EE10hipError_tT0_T1_T2_jT3_P12ihipStream_tbPNSt15iterator_traitsISL_E10value_typeEPNSR_ISM_E10value_typeEPSN_NS1_7vsmem_tEENKUlT_SL_SM_SN_E_clIS8_S8_S9_S9_EESK_S10_SL_SM_SN_EUlS10_E0_NS1_11comp_targetILNS1_3genE9ELNS1_11target_archE1100ELNS1_3gpuE3ELNS1_3repE0EEENS1_38merge_mergepath_config_static_selectorELNS0_4arch9wavefront6targetE0EEEvSM_, .Lfunc_end406-_ZN7rocprim17ROCPRIM_400000_NS6detail17trampoline_kernelINS0_14default_configENS1_38merge_sort_block_merge_config_selectorIlNS0_10empty_typeEEEZZNS1_27merge_sort_block_merge_implIS3_PlPS5_mZN2at6native12_GLOBAL__N_124unique_dim_cuda_templateIiEESt5tupleIJNSA_6TensorESF_SF_EERKSF_lbbbEUlllE_EE10hipError_tT0_T1_T2_jT3_P12ihipStream_tbPNSt15iterator_traitsISL_E10value_typeEPNSR_ISM_E10value_typeEPSN_NS1_7vsmem_tEENKUlT_SL_SM_SN_E_clIS8_S8_S9_S9_EESK_S10_SL_SM_SN_EUlS10_E0_NS1_11comp_targetILNS1_3genE9ELNS1_11target_archE1100ELNS1_3gpuE3ELNS1_3repE0EEENS1_38merge_mergepath_config_static_selectorELNS0_4arch9wavefront6targetE0EEEvSM_
                                        ; -- End function
	.set _ZN7rocprim17ROCPRIM_400000_NS6detail17trampoline_kernelINS0_14default_configENS1_38merge_sort_block_merge_config_selectorIlNS0_10empty_typeEEEZZNS1_27merge_sort_block_merge_implIS3_PlPS5_mZN2at6native12_GLOBAL__N_124unique_dim_cuda_templateIiEESt5tupleIJNSA_6TensorESF_SF_EERKSF_lbbbEUlllE_EE10hipError_tT0_T1_T2_jT3_P12ihipStream_tbPNSt15iterator_traitsISL_E10value_typeEPNSR_ISM_E10value_typeEPSN_NS1_7vsmem_tEENKUlT_SL_SM_SN_E_clIS8_S8_S9_S9_EESK_S10_SL_SM_SN_EUlS10_E0_NS1_11comp_targetILNS1_3genE9ELNS1_11target_archE1100ELNS1_3gpuE3ELNS1_3repE0EEENS1_38merge_mergepath_config_static_selectorELNS0_4arch9wavefront6targetE0EEEvSM_.num_vgpr, 0
	.set _ZN7rocprim17ROCPRIM_400000_NS6detail17trampoline_kernelINS0_14default_configENS1_38merge_sort_block_merge_config_selectorIlNS0_10empty_typeEEEZZNS1_27merge_sort_block_merge_implIS3_PlPS5_mZN2at6native12_GLOBAL__N_124unique_dim_cuda_templateIiEESt5tupleIJNSA_6TensorESF_SF_EERKSF_lbbbEUlllE_EE10hipError_tT0_T1_T2_jT3_P12ihipStream_tbPNSt15iterator_traitsISL_E10value_typeEPNSR_ISM_E10value_typeEPSN_NS1_7vsmem_tEENKUlT_SL_SM_SN_E_clIS8_S8_S9_S9_EESK_S10_SL_SM_SN_EUlS10_E0_NS1_11comp_targetILNS1_3genE9ELNS1_11target_archE1100ELNS1_3gpuE3ELNS1_3repE0EEENS1_38merge_mergepath_config_static_selectorELNS0_4arch9wavefront6targetE0EEEvSM_.num_agpr, 0
	.set _ZN7rocprim17ROCPRIM_400000_NS6detail17trampoline_kernelINS0_14default_configENS1_38merge_sort_block_merge_config_selectorIlNS0_10empty_typeEEEZZNS1_27merge_sort_block_merge_implIS3_PlPS5_mZN2at6native12_GLOBAL__N_124unique_dim_cuda_templateIiEESt5tupleIJNSA_6TensorESF_SF_EERKSF_lbbbEUlllE_EE10hipError_tT0_T1_T2_jT3_P12ihipStream_tbPNSt15iterator_traitsISL_E10value_typeEPNSR_ISM_E10value_typeEPSN_NS1_7vsmem_tEENKUlT_SL_SM_SN_E_clIS8_S8_S9_S9_EESK_S10_SL_SM_SN_EUlS10_E0_NS1_11comp_targetILNS1_3genE9ELNS1_11target_archE1100ELNS1_3gpuE3ELNS1_3repE0EEENS1_38merge_mergepath_config_static_selectorELNS0_4arch9wavefront6targetE0EEEvSM_.numbered_sgpr, 0
	.set _ZN7rocprim17ROCPRIM_400000_NS6detail17trampoline_kernelINS0_14default_configENS1_38merge_sort_block_merge_config_selectorIlNS0_10empty_typeEEEZZNS1_27merge_sort_block_merge_implIS3_PlPS5_mZN2at6native12_GLOBAL__N_124unique_dim_cuda_templateIiEESt5tupleIJNSA_6TensorESF_SF_EERKSF_lbbbEUlllE_EE10hipError_tT0_T1_T2_jT3_P12ihipStream_tbPNSt15iterator_traitsISL_E10value_typeEPNSR_ISM_E10value_typeEPSN_NS1_7vsmem_tEENKUlT_SL_SM_SN_E_clIS8_S8_S9_S9_EESK_S10_SL_SM_SN_EUlS10_E0_NS1_11comp_targetILNS1_3genE9ELNS1_11target_archE1100ELNS1_3gpuE3ELNS1_3repE0EEENS1_38merge_mergepath_config_static_selectorELNS0_4arch9wavefront6targetE0EEEvSM_.num_named_barrier, 0
	.set _ZN7rocprim17ROCPRIM_400000_NS6detail17trampoline_kernelINS0_14default_configENS1_38merge_sort_block_merge_config_selectorIlNS0_10empty_typeEEEZZNS1_27merge_sort_block_merge_implIS3_PlPS5_mZN2at6native12_GLOBAL__N_124unique_dim_cuda_templateIiEESt5tupleIJNSA_6TensorESF_SF_EERKSF_lbbbEUlllE_EE10hipError_tT0_T1_T2_jT3_P12ihipStream_tbPNSt15iterator_traitsISL_E10value_typeEPNSR_ISM_E10value_typeEPSN_NS1_7vsmem_tEENKUlT_SL_SM_SN_E_clIS8_S8_S9_S9_EESK_S10_SL_SM_SN_EUlS10_E0_NS1_11comp_targetILNS1_3genE9ELNS1_11target_archE1100ELNS1_3gpuE3ELNS1_3repE0EEENS1_38merge_mergepath_config_static_selectorELNS0_4arch9wavefront6targetE0EEEvSM_.private_seg_size, 0
	.set _ZN7rocprim17ROCPRIM_400000_NS6detail17trampoline_kernelINS0_14default_configENS1_38merge_sort_block_merge_config_selectorIlNS0_10empty_typeEEEZZNS1_27merge_sort_block_merge_implIS3_PlPS5_mZN2at6native12_GLOBAL__N_124unique_dim_cuda_templateIiEESt5tupleIJNSA_6TensorESF_SF_EERKSF_lbbbEUlllE_EE10hipError_tT0_T1_T2_jT3_P12ihipStream_tbPNSt15iterator_traitsISL_E10value_typeEPNSR_ISM_E10value_typeEPSN_NS1_7vsmem_tEENKUlT_SL_SM_SN_E_clIS8_S8_S9_S9_EESK_S10_SL_SM_SN_EUlS10_E0_NS1_11comp_targetILNS1_3genE9ELNS1_11target_archE1100ELNS1_3gpuE3ELNS1_3repE0EEENS1_38merge_mergepath_config_static_selectorELNS0_4arch9wavefront6targetE0EEEvSM_.uses_vcc, 0
	.set _ZN7rocprim17ROCPRIM_400000_NS6detail17trampoline_kernelINS0_14default_configENS1_38merge_sort_block_merge_config_selectorIlNS0_10empty_typeEEEZZNS1_27merge_sort_block_merge_implIS3_PlPS5_mZN2at6native12_GLOBAL__N_124unique_dim_cuda_templateIiEESt5tupleIJNSA_6TensorESF_SF_EERKSF_lbbbEUlllE_EE10hipError_tT0_T1_T2_jT3_P12ihipStream_tbPNSt15iterator_traitsISL_E10value_typeEPNSR_ISM_E10value_typeEPSN_NS1_7vsmem_tEENKUlT_SL_SM_SN_E_clIS8_S8_S9_S9_EESK_S10_SL_SM_SN_EUlS10_E0_NS1_11comp_targetILNS1_3genE9ELNS1_11target_archE1100ELNS1_3gpuE3ELNS1_3repE0EEENS1_38merge_mergepath_config_static_selectorELNS0_4arch9wavefront6targetE0EEEvSM_.uses_flat_scratch, 0
	.set _ZN7rocprim17ROCPRIM_400000_NS6detail17trampoline_kernelINS0_14default_configENS1_38merge_sort_block_merge_config_selectorIlNS0_10empty_typeEEEZZNS1_27merge_sort_block_merge_implIS3_PlPS5_mZN2at6native12_GLOBAL__N_124unique_dim_cuda_templateIiEESt5tupleIJNSA_6TensorESF_SF_EERKSF_lbbbEUlllE_EE10hipError_tT0_T1_T2_jT3_P12ihipStream_tbPNSt15iterator_traitsISL_E10value_typeEPNSR_ISM_E10value_typeEPSN_NS1_7vsmem_tEENKUlT_SL_SM_SN_E_clIS8_S8_S9_S9_EESK_S10_SL_SM_SN_EUlS10_E0_NS1_11comp_targetILNS1_3genE9ELNS1_11target_archE1100ELNS1_3gpuE3ELNS1_3repE0EEENS1_38merge_mergepath_config_static_selectorELNS0_4arch9wavefront6targetE0EEEvSM_.has_dyn_sized_stack, 0
	.set _ZN7rocprim17ROCPRIM_400000_NS6detail17trampoline_kernelINS0_14default_configENS1_38merge_sort_block_merge_config_selectorIlNS0_10empty_typeEEEZZNS1_27merge_sort_block_merge_implIS3_PlPS5_mZN2at6native12_GLOBAL__N_124unique_dim_cuda_templateIiEESt5tupleIJNSA_6TensorESF_SF_EERKSF_lbbbEUlllE_EE10hipError_tT0_T1_T2_jT3_P12ihipStream_tbPNSt15iterator_traitsISL_E10value_typeEPNSR_ISM_E10value_typeEPSN_NS1_7vsmem_tEENKUlT_SL_SM_SN_E_clIS8_S8_S9_S9_EESK_S10_SL_SM_SN_EUlS10_E0_NS1_11comp_targetILNS1_3genE9ELNS1_11target_archE1100ELNS1_3gpuE3ELNS1_3repE0EEENS1_38merge_mergepath_config_static_selectorELNS0_4arch9wavefront6targetE0EEEvSM_.has_recursion, 0
	.set _ZN7rocprim17ROCPRIM_400000_NS6detail17trampoline_kernelINS0_14default_configENS1_38merge_sort_block_merge_config_selectorIlNS0_10empty_typeEEEZZNS1_27merge_sort_block_merge_implIS3_PlPS5_mZN2at6native12_GLOBAL__N_124unique_dim_cuda_templateIiEESt5tupleIJNSA_6TensorESF_SF_EERKSF_lbbbEUlllE_EE10hipError_tT0_T1_T2_jT3_P12ihipStream_tbPNSt15iterator_traitsISL_E10value_typeEPNSR_ISM_E10value_typeEPSN_NS1_7vsmem_tEENKUlT_SL_SM_SN_E_clIS8_S8_S9_S9_EESK_S10_SL_SM_SN_EUlS10_E0_NS1_11comp_targetILNS1_3genE9ELNS1_11target_archE1100ELNS1_3gpuE3ELNS1_3repE0EEENS1_38merge_mergepath_config_static_selectorELNS0_4arch9wavefront6targetE0EEEvSM_.has_indirect_call, 0
	.section	.AMDGPU.csdata,"",@progbits
; Kernel info:
; codeLenInByte = 0
; TotalNumSgprs: 0
; NumVgprs: 0
; ScratchSize: 0
; MemoryBound: 0
; FloatMode: 240
; IeeeMode: 1
; LDSByteSize: 0 bytes/workgroup (compile time only)
; SGPRBlocks: 0
; VGPRBlocks: 0
; NumSGPRsForWavesPerEU: 1
; NumVGPRsForWavesPerEU: 1
; NamedBarCnt: 0
; Occupancy: 16
; WaveLimiterHint : 0
; COMPUTE_PGM_RSRC2:SCRATCH_EN: 0
; COMPUTE_PGM_RSRC2:USER_SGPR: 2
; COMPUTE_PGM_RSRC2:TRAP_HANDLER: 0
; COMPUTE_PGM_RSRC2:TGID_X_EN: 1
; COMPUTE_PGM_RSRC2:TGID_Y_EN: 0
; COMPUTE_PGM_RSRC2:TGID_Z_EN: 0
; COMPUTE_PGM_RSRC2:TIDIG_COMP_CNT: 0
	.section	.text._ZN7rocprim17ROCPRIM_400000_NS6detail17trampoline_kernelINS0_14default_configENS1_38merge_sort_block_merge_config_selectorIlNS0_10empty_typeEEEZZNS1_27merge_sort_block_merge_implIS3_PlPS5_mZN2at6native12_GLOBAL__N_124unique_dim_cuda_templateIiEESt5tupleIJNSA_6TensorESF_SF_EERKSF_lbbbEUlllE_EE10hipError_tT0_T1_T2_jT3_P12ihipStream_tbPNSt15iterator_traitsISL_E10value_typeEPNSR_ISM_E10value_typeEPSN_NS1_7vsmem_tEENKUlT_SL_SM_SN_E_clIS8_S8_S9_S9_EESK_S10_SL_SM_SN_EUlS10_E0_NS1_11comp_targetILNS1_3genE8ELNS1_11target_archE1030ELNS1_3gpuE2ELNS1_3repE0EEENS1_38merge_mergepath_config_static_selectorELNS0_4arch9wavefront6targetE0EEEvSM_,"axG",@progbits,_ZN7rocprim17ROCPRIM_400000_NS6detail17trampoline_kernelINS0_14default_configENS1_38merge_sort_block_merge_config_selectorIlNS0_10empty_typeEEEZZNS1_27merge_sort_block_merge_implIS3_PlPS5_mZN2at6native12_GLOBAL__N_124unique_dim_cuda_templateIiEESt5tupleIJNSA_6TensorESF_SF_EERKSF_lbbbEUlllE_EE10hipError_tT0_T1_T2_jT3_P12ihipStream_tbPNSt15iterator_traitsISL_E10value_typeEPNSR_ISM_E10value_typeEPSN_NS1_7vsmem_tEENKUlT_SL_SM_SN_E_clIS8_S8_S9_S9_EESK_S10_SL_SM_SN_EUlS10_E0_NS1_11comp_targetILNS1_3genE8ELNS1_11target_archE1030ELNS1_3gpuE2ELNS1_3repE0EEENS1_38merge_mergepath_config_static_selectorELNS0_4arch9wavefront6targetE0EEEvSM_,comdat
	.globl	_ZN7rocprim17ROCPRIM_400000_NS6detail17trampoline_kernelINS0_14default_configENS1_38merge_sort_block_merge_config_selectorIlNS0_10empty_typeEEEZZNS1_27merge_sort_block_merge_implIS3_PlPS5_mZN2at6native12_GLOBAL__N_124unique_dim_cuda_templateIiEESt5tupleIJNSA_6TensorESF_SF_EERKSF_lbbbEUlllE_EE10hipError_tT0_T1_T2_jT3_P12ihipStream_tbPNSt15iterator_traitsISL_E10value_typeEPNSR_ISM_E10value_typeEPSN_NS1_7vsmem_tEENKUlT_SL_SM_SN_E_clIS8_S8_S9_S9_EESK_S10_SL_SM_SN_EUlS10_E0_NS1_11comp_targetILNS1_3genE8ELNS1_11target_archE1030ELNS1_3gpuE2ELNS1_3repE0EEENS1_38merge_mergepath_config_static_selectorELNS0_4arch9wavefront6targetE0EEEvSM_ ; -- Begin function _ZN7rocprim17ROCPRIM_400000_NS6detail17trampoline_kernelINS0_14default_configENS1_38merge_sort_block_merge_config_selectorIlNS0_10empty_typeEEEZZNS1_27merge_sort_block_merge_implIS3_PlPS5_mZN2at6native12_GLOBAL__N_124unique_dim_cuda_templateIiEESt5tupleIJNSA_6TensorESF_SF_EERKSF_lbbbEUlllE_EE10hipError_tT0_T1_T2_jT3_P12ihipStream_tbPNSt15iterator_traitsISL_E10value_typeEPNSR_ISM_E10value_typeEPSN_NS1_7vsmem_tEENKUlT_SL_SM_SN_E_clIS8_S8_S9_S9_EESK_S10_SL_SM_SN_EUlS10_E0_NS1_11comp_targetILNS1_3genE8ELNS1_11target_archE1030ELNS1_3gpuE2ELNS1_3repE0EEENS1_38merge_mergepath_config_static_selectorELNS0_4arch9wavefront6targetE0EEEvSM_
	.p2align	8
	.type	_ZN7rocprim17ROCPRIM_400000_NS6detail17trampoline_kernelINS0_14default_configENS1_38merge_sort_block_merge_config_selectorIlNS0_10empty_typeEEEZZNS1_27merge_sort_block_merge_implIS3_PlPS5_mZN2at6native12_GLOBAL__N_124unique_dim_cuda_templateIiEESt5tupleIJNSA_6TensorESF_SF_EERKSF_lbbbEUlllE_EE10hipError_tT0_T1_T2_jT3_P12ihipStream_tbPNSt15iterator_traitsISL_E10value_typeEPNSR_ISM_E10value_typeEPSN_NS1_7vsmem_tEENKUlT_SL_SM_SN_E_clIS8_S8_S9_S9_EESK_S10_SL_SM_SN_EUlS10_E0_NS1_11comp_targetILNS1_3genE8ELNS1_11target_archE1030ELNS1_3gpuE2ELNS1_3repE0EEENS1_38merge_mergepath_config_static_selectorELNS0_4arch9wavefront6targetE0EEEvSM_,@function
_ZN7rocprim17ROCPRIM_400000_NS6detail17trampoline_kernelINS0_14default_configENS1_38merge_sort_block_merge_config_selectorIlNS0_10empty_typeEEEZZNS1_27merge_sort_block_merge_implIS3_PlPS5_mZN2at6native12_GLOBAL__N_124unique_dim_cuda_templateIiEESt5tupleIJNSA_6TensorESF_SF_EERKSF_lbbbEUlllE_EE10hipError_tT0_T1_T2_jT3_P12ihipStream_tbPNSt15iterator_traitsISL_E10value_typeEPNSR_ISM_E10value_typeEPSN_NS1_7vsmem_tEENKUlT_SL_SM_SN_E_clIS8_S8_S9_S9_EESK_S10_SL_SM_SN_EUlS10_E0_NS1_11comp_targetILNS1_3genE8ELNS1_11target_archE1030ELNS1_3gpuE2ELNS1_3repE0EEENS1_38merge_mergepath_config_static_selectorELNS0_4arch9wavefront6targetE0EEEvSM_: ; @_ZN7rocprim17ROCPRIM_400000_NS6detail17trampoline_kernelINS0_14default_configENS1_38merge_sort_block_merge_config_selectorIlNS0_10empty_typeEEEZZNS1_27merge_sort_block_merge_implIS3_PlPS5_mZN2at6native12_GLOBAL__N_124unique_dim_cuda_templateIiEESt5tupleIJNSA_6TensorESF_SF_EERKSF_lbbbEUlllE_EE10hipError_tT0_T1_T2_jT3_P12ihipStream_tbPNSt15iterator_traitsISL_E10value_typeEPNSR_ISM_E10value_typeEPSN_NS1_7vsmem_tEENKUlT_SL_SM_SN_E_clIS8_S8_S9_S9_EESK_S10_SL_SM_SN_EUlS10_E0_NS1_11comp_targetILNS1_3genE8ELNS1_11target_archE1030ELNS1_3gpuE2ELNS1_3repE0EEENS1_38merge_mergepath_config_static_selectorELNS0_4arch9wavefront6targetE0EEEvSM_
; %bb.0:
	.section	.rodata,"a",@progbits
	.p2align	6, 0x0
	.amdhsa_kernel _ZN7rocprim17ROCPRIM_400000_NS6detail17trampoline_kernelINS0_14default_configENS1_38merge_sort_block_merge_config_selectorIlNS0_10empty_typeEEEZZNS1_27merge_sort_block_merge_implIS3_PlPS5_mZN2at6native12_GLOBAL__N_124unique_dim_cuda_templateIiEESt5tupleIJNSA_6TensorESF_SF_EERKSF_lbbbEUlllE_EE10hipError_tT0_T1_T2_jT3_P12ihipStream_tbPNSt15iterator_traitsISL_E10value_typeEPNSR_ISM_E10value_typeEPSN_NS1_7vsmem_tEENKUlT_SL_SM_SN_E_clIS8_S8_S9_S9_EESK_S10_SL_SM_SN_EUlS10_E0_NS1_11comp_targetILNS1_3genE8ELNS1_11target_archE1030ELNS1_3gpuE2ELNS1_3repE0EEENS1_38merge_mergepath_config_static_selectorELNS0_4arch9wavefront6targetE0EEEvSM_
		.amdhsa_group_segment_fixed_size 0
		.amdhsa_private_segment_fixed_size 0
		.amdhsa_kernarg_size 88
		.amdhsa_user_sgpr_count 2
		.amdhsa_user_sgpr_dispatch_ptr 0
		.amdhsa_user_sgpr_queue_ptr 0
		.amdhsa_user_sgpr_kernarg_segment_ptr 1
		.amdhsa_user_sgpr_dispatch_id 0
		.amdhsa_user_sgpr_kernarg_preload_length 0
		.amdhsa_user_sgpr_kernarg_preload_offset 0
		.amdhsa_user_sgpr_private_segment_size 0
		.amdhsa_wavefront_size32 1
		.amdhsa_uses_dynamic_stack 0
		.amdhsa_enable_private_segment 0
		.amdhsa_system_sgpr_workgroup_id_x 1
		.amdhsa_system_sgpr_workgroup_id_y 0
		.amdhsa_system_sgpr_workgroup_id_z 0
		.amdhsa_system_sgpr_workgroup_info 0
		.amdhsa_system_vgpr_workitem_id 0
		.amdhsa_next_free_vgpr 1
		.amdhsa_next_free_sgpr 1
		.amdhsa_named_barrier_count 0
		.amdhsa_reserve_vcc 0
		.amdhsa_float_round_mode_32 0
		.amdhsa_float_round_mode_16_64 0
		.amdhsa_float_denorm_mode_32 3
		.amdhsa_float_denorm_mode_16_64 3
		.amdhsa_fp16_overflow 0
		.amdhsa_memory_ordered 1
		.amdhsa_forward_progress 1
		.amdhsa_inst_pref_size 0
		.amdhsa_round_robin_scheduling 0
		.amdhsa_exception_fp_ieee_invalid_op 0
		.amdhsa_exception_fp_denorm_src 0
		.amdhsa_exception_fp_ieee_div_zero 0
		.amdhsa_exception_fp_ieee_overflow 0
		.amdhsa_exception_fp_ieee_underflow 0
		.amdhsa_exception_fp_ieee_inexact 0
		.amdhsa_exception_int_div_zero 0
	.end_amdhsa_kernel
	.section	.text._ZN7rocprim17ROCPRIM_400000_NS6detail17trampoline_kernelINS0_14default_configENS1_38merge_sort_block_merge_config_selectorIlNS0_10empty_typeEEEZZNS1_27merge_sort_block_merge_implIS3_PlPS5_mZN2at6native12_GLOBAL__N_124unique_dim_cuda_templateIiEESt5tupleIJNSA_6TensorESF_SF_EERKSF_lbbbEUlllE_EE10hipError_tT0_T1_T2_jT3_P12ihipStream_tbPNSt15iterator_traitsISL_E10value_typeEPNSR_ISM_E10value_typeEPSN_NS1_7vsmem_tEENKUlT_SL_SM_SN_E_clIS8_S8_S9_S9_EESK_S10_SL_SM_SN_EUlS10_E0_NS1_11comp_targetILNS1_3genE8ELNS1_11target_archE1030ELNS1_3gpuE2ELNS1_3repE0EEENS1_38merge_mergepath_config_static_selectorELNS0_4arch9wavefront6targetE0EEEvSM_,"axG",@progbits,_ZN7rocprim17ROCPRIM_400000_NS6detail17trampoline_kernelINS0_14default_configENS1_38merge_sort_block_merge_config_selectorIlNS0_10empty_typeEEEZZNS1_27merge_sort_block_merge_implIS3_PlPS5_mZN2at6native12_GLOBAL__N_124unique_dim_cuda_templateIiEESt5tupleIJNSA_6TensorESF_SF_EERKSF_lbbbEUlllE_EE10hipError_tT0_T1_T2_jT3_P12ihipStream_tbPNSt15iterator_traitsISL_E10value_typeEPNSR_ISM_E10value_typeEPSN_NS1_7vsmem_tEENKUlT_SL_SM_SN_E_clIS8_S8_S9_S9_EESK_S10_SL_SM_SN_EUlS10_E0_NS1_11comp_targetILNS1_3genE8ELNS1_11target_archE1030ELNS1_3gpuE2ELNS1_3repE0EEENS1_38merge_mergepath_config_static_selectorELNS0_4arch9wavefront6targetE0EEEvSM_,comdat
.Lfunc_end407:
	.size	_ZN7rocprim17ROCPRIM_400000_NS6detail17trampoline_kernelINS0_14default_configENS1_38merge_sort_block_merge_config_selectorIlNS0_10empty_typeEEEZZNS1_27merge_sort_block_merge_implIS3_PlPS5_mZN2at6native12_GLOBAL__N_124unique_dim_cuda_templateIiEESt5tupleIJNSA_6TensorESF_SF_EERKSF_lbbbEUlllE_EE10hipError_tT0_T1_T2_jT3_P12ihipStream_tbPNSt15iterator_traitsISL_E10value_typeEPNSR_ISM_E10value_typeEPSN_NS1_7vsmem_tEENKUlT_SL_SM_SN_E_clIS8_S8_S9_S9_EESK_S10_SL_SM_SN_EUlS10_E0_NS1_11comp_targetILNS1_3genE8ELNS1_11target_archE1030ELNS1_3gpuE2ELNS1_3repE0EEENS1_38merge_mergepath_config_static_selectorELNS0_4arch9wavefront6targetE0EEEvSM_, .Lfunc_end407-_ZN7rocprim17ROCPRIM_400000_NS6detail17trampoline_kernelINS0_14default_configENS1_38merge_sort_block_merge_config_selectorIlNS0_10empty_typeEEEZZNS1_27merge_sort_block_merge_implIS3_PlPS5_mZN2at6native12_GLOBAL__N_124unique_dim_cuda_templateIiEESt5tupleIJNSA_6TensorESF_SF_EERKSF_lbbbEUlllE_EE10hipError_tT0_T1_T2_jT3_P12ihipStream_tbPNSt15iterator_traitsISL_E10value_typeEPNSR_ISM_E10value_typeEPSN_NS1_7vsmem_tEENKUlT_SL_SM_SN_E_clIS8_S8_S9_S9_EESK_S10_SL_SM_SN_EUlS10_E0_NS1_11comp_targetILNS1_3genE8ELNS1_11target_archE1030ELNS1_3gpuE2ELNS1_3repE0EEENS1_38merge_mergepath_config_static_selectorELNS0_4arch9wavefront6targetE0EEEvSM_
                                        ; -- End function
	.set _ZN7rocprim17ROCPRIM_400000_NS6detail17trampoline_kernelINS0_14default_configENS1_38merge_sort_block_merge_config_selectorIlNS0_10empty_typeEEEZZNS1_27merge_sort_block_merge_implIS3_PlPS5_mZN2at6native12_GLOBAL__N_124unique_dim_cuda_templateIiEESt5tupleIJNSA_6TensorESF_SF_EERKSF_lbbbEUlllE_EE10hipError_tT0_T1_T2_jT3_P12ihipStream_tbPNSt15iterator_traitsISL_E10value_typeEPNSR_ISM_E10value_typeEPSN_NS1_7vsmem_tEENKUlT_SL_SM_SN_E_clIS8_S8_S9_S9_EESK_S10_SL_SM_SN_EUlS10_E0_NS1_11comp_targetILNS1_3genE8ELNS1_11target_archE1030ELNS1_3gpuE2ELNS1_3repE0EEENS1_38merge_mergepath_config_static_selectorELNS0_4arch9wavefront6targetE0EEEvSM_.num_vgpr, 0
	.set _ZN7rocprim17ROCPRIM_400000_NS6detail17trampoline_kernelINS0_14default_configENS1_38merge_sort_block_merge_config_selectorIlNS0_10empty_typeEEEZZNS1_27merge_sort_block_merge_implIS3_PlPS5_mZN2at6native12_GLOBAL__N_124unique_dim_cuda_templateIiEESt5tupleIJNSA_6TensorESF_SF_EERKSF_lbbbEUlllE_EE10hipError_tT0_T1_T2_jT3_P12ihipStream_tbPNSt15iterator_traitsISL_E10value_typeEPNSR_ISM_E10value_typeEPSN_NS1_7vsmem_tEENKUlT_SL_SM_SN_E_clIS8_S8_S9_S9_EESK_S10_SL_SM_SN_EUlS10_E0_NS1_11comp_targetILNS1_3genE8ELNS1_11target_archE1030ELNS1_3gpuE2ELNS1_3repE0EEENS1_38merge_mergepath_config_static_selectorELNS0_4arch9wavefront6targetE0EEEvSM_.num_agpr, 0
	.set _ZN7rocprim17ROCPRIM_400000_NS6detail17trampoline_kernelINS0_14default_configENS1_38merge_sort_block_merge_config_selectorIlNS0_10empty_typeEEEZZNS1_27merge_sort_block_merge_implIS3_PlPS5_mZN2at6native12_GLOBAL__N_124unique_dim_cuda_templateIiEESt5tupleIJNSA_6TensorESF_SF_EERKSF_lbbbEUlllE_EE10hipError_tT0_T1_T2_jT3_P12ihipStream_tbPNSt15iterator_traitsISL_E10value_typeEPNSR_ISM_E10value_typeEPSN_NS1_7vsmem_tEENKUlT_SL_SM_SN_E_clIS8_S8_S9_S9_EESK_S10_SL_SM_SN_EUlS10_E0_NS1_11comp_targetILNS1_3genE8ELNS1_11target_archE1030ELNS1_3gpuE2ELNS1_3repE0EEENS1_38merge_mergepath_config_static_selectorELNS0_4arch9wavefront6targetE0EEEvSM_.numbered_sgpr, 0
	.set _ZN7rocprim17ROCPRIM_400000_NS6detail17trampoline_kernelINS0_14default_configENS1_38merge_sort_block_merge_config_selectorIlNS0_10empty_typeEEEZZNS1_27merge_sort_block_merge_implIS3_PlPS5_mZN2at6native12_GLOBAL__N_124unique_dim_cuda_templateIiEESt5tupleIJNSA_6TensorESF_SF_EERKSF_lbbbEUlllE_EE10hipError_tT0_T1_T2_jT3_P12ihipStream_tbPNSt15iterator_traitsISL_E10value_typeEPNSR_ISM_E10value_typeEPSN_NS1_7vsmem_tEENKUlT_SL_SM_SN_E_clIS8_S8_S9_S9_EESK_S10_SL_SM_SN_EUlS10_E0_NS1_11comp_targetILNS1_3genE8ELNS1_11target_archE1030ELNS1_3gpuE2ELNS1_3repE0EEENS1_38merge_mergepath_config_static_selectorELNS0_4arch9wavefront6targetE0EEEvSM_.num_named_barrier, 0
	.set _ZN7rocprim17ROCPRIM_400000_NS6detail17trampoline_kernelINS0_14default_configENS1_38merge_sort_block_merge_config_selectorIlNS0_10empty_typeEEEZZNS1_27merge_sort_block_merge_implIS3_PlPS5_mZN2at6native12_GLOBAL__N_124unique_dim_cuda_templateIiEESt5tupleIJNSA_6TensorESF_SF_EERKSF_lbbbEUlllE_EE10hipError_tT0_T1_T2_jT3_P12ihipStream_tbPNSt15iterator_traitsISL_E10value_typeEPNSR_ISM_E10value_typeEPSN_NS1_7vsmem_tEENKUlT_SL_SM_SN_E_clIS8_S8_S9_S9_EESK_S10_SL_SM_SN_EUlS10_E0_NS1_11comp_targetILNS1_3genE8ELNS1_11target_archE1030ELNS1_3gpuE2ELNS1_3repE0EEENS1_38merge_mergepath_config_static_selectorELNS0_4arch9wavefront6targetE0EEEvSM_.private_seg_size, 0
	.set _ZN7rocprim17ROCPRIM_400000_NS6detail17trampoline_kernelINS0_14default_configENS1_38merge_sort_block_merge_config_selectorIlNS0_10empty_typeEEEZZNS1_27merge_sort_block_merge_implIS3_PlPS5_mZN2at6native12_GLOBAL__N_124unique_dim_cuda_templateIiEESt5tupleIJNSA_6TensorESF_SF_EERKSF_lbbbEUlllE_EE10hipError_tT0_T1_T2_jT3_P12ihipStream_tbPNSt15iterator_traitsISL_E10value_typeEPNSR_ISM_E10value_typeEPSN_NS1_7vsmem_tEENKUlT_SL_SM_SN_E_clIS8_S8_S9_S9_EESK_S10_SL_SM_SN_EUlS10_E0_NS1_11comp_targetILNS1_3genE8ELNS1_11target_archE1030ELNS1_3gpuE2ELNS1_3repE0EEENS1_38merge_mergepath_config_static_selectorELNS0_4arch9wavefront6targetE0EEEvSM_.uses_vcc, 0
	.set _ZN7rocprim17ROCPRIM_400000_NS6detail17trampoline_kernelINS0_14default_configENS1_38merge_sort_block_merge_config_selectorIlNS0_10empty_typeEEEZZNS1_27merge_sort_block_merge_implIS3_PlPS5_mZN2at6native12_GLOBAL__N_124unique_dim_cuda_templateIiEESt5tupleIJNSA_6TensorESF_SF_EERKSF_lbbbEUlllE_EE10hipError_tT0_T1_T2_jT3_P12ihipStream_tbPNSt15iterator_traitsISL_E10value_typeEPNSR_ISM_E10value_typeEPSN_NS1_7vsmem_tEENKUlT_SL_SM_SN_E_clIS8_S8_S9_S9_EESK_S10_SL_SM_SN_EUlS10_E0_NS1_11comp_targetILNS1_3genE8ELNS1_11target_archE1030ELNS1_3gpuE2ELNS1_3repE0EEENS1_38merge_mergepath_config_static_selectorELNS0_4arch9wavefront6targetE0EEEvSM_.uses_flat_scratch, 0
	.set _ZN7rocprim17ROCPRIM_400000_NS6detail17trampoline_kernelINS0_14default_configENS1_38merge_sort_block_merge_config_selectorIlNS0_10empty_typeEEEZZNS1_27merge_sort_block_merge_implIS3_PlPS5_mZN2at6native12_GLOBAL__N_124unique_dim_cuda_templateIiEESt5tupleIJNSA_6TensorESF_SF_EERKSF_lbbbEUlllE_EE10hipError_tT0_T1_T2_jT3_P12ihipStream_tbPNSt15iterator_traitsISL_E10value_typeEPNSR_ISM_E10value_typeEPSN_NS1_7vsmem_tEENKUlT_SL_SM_SN_E_clIS8_S8_S9_S9_EESK_S10_SL_SM_SN_EUlS10_E0_NS1_11comp_targetILNS1_3genE8ELNS1_11target_archE1030ELNS1_3gpuE2ELNS1_3repE0EEENS1_38merge_mergepath_config_static_selectorELNS0_4arch9wavefront6targetE0EEEvSM_.has_dyn_sized_stack, 0
	.set _ZN7rocprim17ROCPRIM_400000_NS6detail17trampoline_kernelINS0_14default_configENS1_38merge_sort_block_merge_config_selectorIlNS0_10empty_typeEEEZZNS1_27merge_sort_block_merge_implIS3_PlPS5_mZN2at6native12_GLOBAL__N_124unique_dim_cuda_templateIiEESt5tupleIJNSA_6TensorESF_SF_EERKSF_lbbbEUlllE_EE10hipError_tT0_T1_T2_jT3_P12ihipStream_tbPNSt15iterator_traitsISL_E10value_typeEPNSR_ISM_E10value_typeEPSN_NS1_7vsmem_tEENKUlT_SL_SM_SN_E_clIS8_S8_S9_S9_EESK_S10_SL_SM_SN_EUlS10_E0_NS1_11comp_targetILNS1_3genE8ELNS1_11target_archE1030ELNS1_3gpuE2ELNS1_3repE0EEENS1_38merge_mergepath_config_static_selectorELNS0_4arch9wavefront6targetE0EEEvSM_.has_recursion, 0
	.set _ZN7rocprim17ROCPRIM_400000_NS6detail17trampoline_kernelINS0_14default_configENS1_38merge_sort_block_merge_config_selectorIlNS0_10empty_typeEEEZZNS1_27merge_sort_block_merge_implIS3_PlPS5_mZN2at6native12_GLOBAL__N_124unique_dim_cuda_templateIiEESt5tupleIJNSA_6TensorESF_SF_EERKSF_lbbbEUlllE_EE10hipError_tT0_T1_T2_jT3_P12ihipStream_tbPNSt15iterator_traitsISL_E10value_typeEPNSR_ISM_E10value_typeEPSN_NS1_7vsmem_tEENKUlT_SL_SM_SN_E_clIS8_S8_S9_S9_EESK_S10_SL_SM_SN_EUlS10_E0_NS1_11comp_targetILNS1_3genE8ELNS1_11target_archE1030ELNS1_3gpuE2ELNS1_3repE0EEENS1_38merge_mergepath_config_static_selectorELNS0_4arch9wavefront6targetE0EEEvSM_.has_indirect_call, 0
	.section	.AMDGPU.csdata,"",@progbits
; Kernel info:
; codeLenInByte = 0
; TotalNumSgprs: 0
; NumVgprs: 0
; ScratchSize: 0
; MemoryBound: 0
; FloatMode: 240
; IeeeMode: 1
; LDSByteSize: 0 bytes/workgroup (compile time only)
; SGPRBlocks: 0
; VGPRBlocks: 0
; NumSGPRsForWavesPerEU: 1
; NumVGPRsForWavesPerEU: 1
; NamedBarCnt: 0
; Occupancy: 16
; WaveLimiterHint : 0
; COMPUTE_PGM_RSRC2:SCRATCH_EN: 0
; COMPUTE_PGM_RSRC2:USER_SGPR: 2
; COMPUTE_PGM_RSRC2:TRAP_HANDLER: 0
; COMPUTE_PGM_RSRC2:TGID_X_EN: 1
; COMPUTE_PGM_RSRC2:TGID_Y_EN: 0
; COMPUTE_PGM_RSRC2:TGID_Z_EN: 0
; COMPUTE_PGM_RSRC2:TIDIG_COMP_CNT: 0
	.section	.text._ZN7rocprim17ROCPRIM_400000_NS6detail17trampoline_kernelINS0_14default_configENS1_38merge_sort_block_merge_config_selectorIlNS0_10empty_typeEEEZZNS1_27merge_sort_block_merge_implIS3_PlPS5_mZN2at6native12_GLOBAL__N_124unique_dim_cuda_templateIiEESt5tupleIJNSA_6TensorESF_SF_EERKSF_lbbbEUlllE_EE10hipError_tT0_T1_T2_jT3_P12ihipStream_tbPNSt15iterator_traitsISL_E10value_typeEPNSR_ISM_E10value_typeEPSN_NS1_7vsmem_tEENKUlT_SL_SM_SN_E_clIS8_S8_S9_S9_EESK_S10_SL_SM_SN_EUlS10_E1_NS1_11comp_targetILNS1_3genE0ELNS1_11target_archE4294967295ELNS1_3gpuE0ELNS1_3repE0EEENS1_36merge_oddeven_config_static_selectorELNS0_4arch9wavefront6targetE0EEEvSM_,"axG",@progbits,_ZN7rocprim17ROCPRIM_400000_NS6detail17trampoline_kernelINS0_14default_configENS1_38merge_sort_block_merge_config_selectorIlNS0_10empty_typeEEEZZNS1_27merge_sort_block_merge_implIS3_PlPS5_mZN2at6native12_GLOBAL__N_124unique_dim_cuda_templateIiEESt5tupleIJNSA_6TensorESF_SF_EERKSF_lbbbEUlllE_EE10hipError_tT0_T1_T2_jT3_P12ihipStream_tbPNSt15iterator_traitsISL_E10value_typeEPNSR_ISM_E10value_typeEPSN_NS1_7vsmem_tEENKUlT_SL_SM_SN_E_clIS8_S8_S9_S9_EESK_S10_SL_SM_SN_EUlS10_E1_NS1_11comp_targetILNS1_3genE0ELNS1_11target_archE4294967295ELNS1_3gpuE0ELNS1_3repE0EEENS1_36merge_oddeven_config_static_selectorELNS0_4arch9wavefront6targetE0EEEvSM_,comdat
	.globl	_ZN7rocprim17ROCPRIM_400000_NS6detail17trampoline_kernelINS0_14default_configENS1_38merge_sort_block_merge_config_selectorIlNS0_10empty_typeEEEZZNS1_27merge_sort_block_merge_implIS3_PlPS5_mZN2at6native12_GLOBAL__N_124unique_dim_cuda_templateIiEESt5tupleIJNSA_6TensorESF_SF_EERKSF_lbbbEUlllE_EE10hipError_tT0_T1_T2_jT3_P12ihipStream_tbPNSt15iterator_traitsISL_E10value_typeEPNSR_ISM_E10value_typeEPSN_NS1_7vsmem_tEENKUlT_SL_SM_SN_E_clIS8_S8_S9_S9_EESK_S10_SL_SM_SN_EUlS10_E1_NS1_11comp_targetILNS1_3genE0ELNS1_11target_archE4294967295ELNS1_3gpuE0ELNS1_3repE0EEENS1_36merge_oddeven_config_static_selectorELNS0_4arch9wavefront6targetE0EEEvSM_ ; -- Begin function _ZN7rocprim17ROCPRIM_400000_NS6detail17trampoline_kernelINS0_14default_configENS1_38merge_sort_block_merge_config_selectorIlNS0_10empty_typeEEEZZNS1_27merge_sort_block_merge_implIS3_PlPS5_mZN2at6native12_GLOBAL__N_124unique_dim_cuda_templateIiEESt5tupleIJNSA_6TensorESF_SF_EERKSF_lbbbEUlllE_EE10hipError_tT0_T1_T2_jT3_P12ihipStream_tbPNSt15iterator_traitsISL_E10value_typeEPNSR_ISM_E10value_typeEPSN_NS1_7vsmem_tEENKUlT_SL_SM_SN_E_clIS8_S8_S9_S9_EESK_S10_SL_SM_SN_EUlS10_E1_NS1_11comp_targetILNS1_3genE0ELNS1_11target_archE4294967295ELNS1_3gpuE0ELNS1_3repE0EEENS1_36merge_oddeven_config_static_selectorELNS0_4arch9wavefront6targetE0EEEvSM_
	.p2align	8
	.type	_ZN7rocprim17ROCPRIM_400000_NS6detail17trampoline_kernelINS0_14default_configENS1_38merge_sort_block_merge_config_selectorIlNS0_10empty_typeEEEZZNS1_27merge_sort_block_merge_implIS3_PlPS5_mZN2at6native12_GLOBAL__N_124unique_dim_cuda_templateIiEESt5tupleIJNSA_6TensorESF_SF_EERKSF_lbbbEUlllE_EE10hipError_tT0_T1_T2_jT3_P12ihipStream_tbPNSt15iterator_traitsISL_E10value_typeEPNSR_ISM_E10value_typeEPSN_NS1_7vsmem_tEENKUlT_SL_SM_SN_E_clIS8_S8_S9_S9_EESK_S10_SL_SM_SN_EUlS10_E1_NS1_11comp_targetILNS1_3genE0ELNS1_11target_archE4294967295ELNS1_3gpuE0ELNS1_3repE0EEENS1_36merge_oddeven_config_static_selectorELNS0_4arch9wavefront6targetE0EEEvSM_,@function
_ZN7rocprim17ROCPRIM_400000_NS6detail17trampoline_kernelINS0_14default_configENS1_38merge_sort_block_merge_config_selectorIlNS0_10empty_typeEEEZZNS1_27merge_sort_block_merge_implIS3_PlPS5_mZN2at6native12_GLOBAL__N_124unique_dim_cuda_templateIiEESt5tupleIJNSA_6TensorESF_SF_EERKSF_lbbbEUlllE_EE10hipError_tT0_T1_T2_jT3_P12ihipStream_tbPNSt15iterator_traitsISL_E10value_typeEPNSR_ISM_E10value_typeEPSN_NS1_7vsmem_tEENKUlT_SL_SM_SN_E_clIS8_S8_S9_S9_EESK_S10_SL_SM_SN_EUlS10_E1_NS1_11comp_targetILNS1_3genE0ELNS1_11target_archE4294967295ELNS1_3gpuE0ELNS1_3repE0EEENS1_36merge_oddeven_config_static_selectorELNS0_4arch9wavefront6targetE0EEEvSM_: ; @_ZN7rocprim17ROCPRIM_400000_NS6detail17trampoline_kernelINS0_14default_configENS1_38merge_sort_block_merge_config_selectorIlNS0_10empty_typeEEEZZNS1_27merge_sort_block_merge_implIS3_PlPS5_mZN2at6native12_GLOBAL__N_124unique_dim_cuda_templateIiEESt5tupleIJNSA_6TensorESF_SF_EERKSF_lbbbEUlllE_EE10hipError_tT0_T1_T2_jT3_P12ihipStream_tbPNSt15iterator_traitsISL_E10value_typeEPNSR_ISM_E10value_typeEPSN_NS1_7vsmem_tEENKUlT_SL_SM_SN_E_clIS8_S8_S9_S9_EESK_S10_SL_SM_SN_EUlS10_E1_NS1_11comp_targetILNS1_3genE0ELNS1_11target_archE4294967295ELNS1_3gpuE0ELNS1_3repE0EEENS1_36merge_oddeven_config_static_selectorELNS0_4arch9wavefront6targetE0EEEvSM_
; %bb.0:
	s_load_b32 s3, s[0:1], 0x20
	s_bfe_u32 s2, ttmp6, 0x4000c
	s_and_b32 s4, ttmp6, 15
	s_add_co_i32 s2, s2, 1
	s_getreg_b32 s5, hwreg(HW_REG_IB_STS2, 6, 4)
	s_mul_i32 s2, ttmp9, s2
	s_mov_b32 s13, 0
	s_add_co_i32 s4, s4, s2
	s_cmp_eq_u32 s5, 0
	s_cselect_b32 s9, ttmp9, s4
	s_wait_kmcnt 0x0
	s_lshr_b32 s2, s3, 8
	s_delay_alu instid0(SALU_CYCLE_1) | instskip(SKIP_4) | instid1(SALU_CYCLE_1)
	s_cmp_lg_u32 s9, s2
	s_cselect_b32 s8, -1, 0
	s_cmp_eq_u32 s9, s2
	s_cselect_b32 s14, -1, 0
	s_lshl_b32 s12, s9, 8
	s_sub_co_i32 s2, s3, s12
	s_delay_alu instid0(SALU_CYCLE_1) | instskip(SKIP_1) | instid1(SALU_CYCLE_1)
	v_cmp_gt_u32_e64 s2, s2, v0
	s_or_b32 s4, s8, s2
	s_and_saveexec_b32 s5, s4
	s_cbranch_execz .LBB408_54
; %bb.1:
	s_clause 0x1
	s_load_b128 s[4:7], s[0:1], 0x0
	s_load_b32 s15, s[0:1], 0x28
	s_lshl_b64 s[10:11], s[12:13], 3
	s_wait_kmcnt 0x0
	s_add_nc_u64 s[10:11], s[4:5], s[10:11]
	global_load_b64 v[2:3], v0, s[10:11] scale_offset
	s_wait_xcnt 0x0
	s_lshr_b32 s10, s15, 8
	s_delay_alu instid0(SALU_CYCLE_1) | instskip(NEXT) | instid1(SALU_CYCLE_1)
	s_sub_co_i32 s11, 0, s10
	s_and_b32 s9, s9, s11
	s_delay_alu instid0(SALU_CYCLE_1) | instskip(NEXT) | instid1(SALU_CYCLE_1)
	s_and_b32 s10, s9, s10
	s_cmp_lg_u32 s10, 0
	s_cselect_b32 s16, -1, 0
	s_lshl_b32 s18, s9, 8
	s_sub_co_i32 s9, 0, s15
	s_cmp_eq_u32 s10, 0
	s_cselect_b32 s17, s15, s9
	s_delay_alu instid0(SALU_CYCLE_1) | instskip(NEXT) | instid1(SALU_CYCLE_1)
	s_add_co_i32 s17, s17, s18
	s_cmp_lt_u32 s17, s3
	s_cbranch_scc1 .LBB408_3
; %bb.2:
	v_add_nc_u32_e32 v1, s12, v0
	s_delay_alu instid0(VALU_DEP_1) | instskip(SKIP_1) | instid1(SALU_CYCLE_1)
	v_cmp_gt_u32_e32 vcc_lo, s3, v1
	s_or_b32 s9, vcc_lo, s8
	s_and_b32 s13, s9, exec_lo
	s_cbranch_execz .LBB408_4
	s_branch .LBB408_52
.LBB408_3:
                                        ; implicit-def: $vgpr1
.LBB408_4:
	s_load_b128 s[8:11], s[0:1], 0x30
	v_add_nc_u32_e32 v0, s12, v0
	s_min_u32 s12, s17, s3
	s_and_b32 vcc_lo, exec_lo, s14
	s_wait_xcnt 0x0
	s_add_co_i32 s0, s18, s12
	s_delay_alu instid0(SALU_CYCLE_1) | instskip(SKIP_3) | instid1(VALU_DEP_1)
	v_subrev_nc_u32_e32 v0, s0, v0
	s_add_co_i32 s0, s12, s15
	s_min_u32 s15, s18, s12
	s_min_u32 s18, s0, s3
	v_add_nc_u32_e32 v10, s15, v0
	s_wait_kmcnt 0x0
	v_cmp_gt_i64_e64 s1, s[8:9], 0
	s_cbranch_vccz .LBB408_26
; %bb.5:
                                        ; implicit-def: $vgpr1
	s_and_saveexec_b32 s19, s2
	s_cbranch_execz .LBB408_29
; %bb.6:
	v_mov_b32_e32 v11, s12
	s_cmp_ge_u32 s17, s18
	s_cbranch_scc1 .LBB408_28
; %bb.7:
	s_wait_loadcnt 0x0
	v_mul_u64_e32 v[0:1], s[8:9], v[2:3]
	v_dual_mov_b32 v12, s18 :: v_dual_mov_b32 v11, s12
	s_lshl_b64 s[2:3], s[8:9], 2
	s_mov_b32 s20, 0
	s_delay_alu instid0(VALU_DEP_2)
	v_lshl_add_u64 v[0:1], v[0:1], 2, s[10:11]
	s_branch .LBB408_10
.LBB408_8:                              ;   in Loop: Header=BB408_10 Depth=1
	s_or_b32 exec_lo, exec_lo, s22
.LBB408_9:                              ;   in Loop: Header=BB408_10 Depth=1
	s_wait_loadcnt 0x0
	v_dual_add_nc_u32 v4, 1, v13 :: v_dual_cndmask_b32 v12, v13, v12, s21
	s_delay_alu instid0(VALU_DEP_1) | instskip(NEXT) | instid1(VALU_DEP_1)
	v_cndmask_b32_e64 v11, v11, v4, s21
	v_cmp_ge_u32_e32 vcc_lo, v11, v12
	s_or_b32 s20, vcc_lo, s20
	s_delay_alu instid0(SALU_CYCLE_1)
	s_and_not1_b32 exec_lo, exec_lo, s20
	s_cbranch_execz .LBB408_27
.LBB408_10:                             ; =>This Loop Header: Depth=1
                                        ;     Child Loop BB408_14 Depth 2
                                        ;     Child Loop BB408_23 Depth 2
	v_add_nc_u32_e32 v4, v11, v12
	s_and_not1_b32 vcc_lo, exec_lo, s16
	s_mov_b32 s0, -1
                                        ; implicit-def: $sgpr21
	s_delay_alu instid0(VALU_DEP_1)
	v_lshrrev_b32_e32 v13, 1, v4
	global_load_b64 v[4:5], v13, s[4:5] scale_offset
	s_cbranch_vccnz .LBB408_19
; %bb.11:                               ;   in Loop: Header=BB408_10 Depth=1
	s_and_not1_b32 vcc_lo, exec_lo, s1
	s_cbranch_vccnz .LBB408_17
; %bb.12:                               ;   in Loop: Header=BB408_10 Depth=1
	s_wait_loadcnt 0x0
	v_mad_nc_u64_u32 v[6:7], s2, v4, s[10:11]
	v_mov_b64_e32 v[8:9], v[0:1]
	s_mov_b32 s21, 0
	s_mov_b64 s[14:15], s[8:9]
                                        ; implicit-def: $sgpr22
                                        ; implicit-def: $sgpr23
                                        ; implicit-def: $sgpr24
                                        ; implicit-def: $sgpr25
	s_delay_alu instid0(VALU_DEP_2) | instskip(NEXT) | instid1(VALU_DEP_1)
	v_mad_u32 v7, s3, v4, v7
	v_mad_u32 v7, s2, v5, v7
	s_branch .LBB408_14
.LBB408_13:                             ;   in Loop: Header=BB408_14 Depth=2
	s_or_b32 exec_lo, exec_lo, s26
	s_delay_alu instid0(SALU_CYCLE_1) | instskip(NEXT) | instid1(SALU_CYCLE_1)
	s_and_b32 s26, exec_lo, s23
	s_or_b32 s21, s26, s21
	s_and_not1_b32 s25, s25, exec_lo
	s_and_b32 s0, s0, exec_lo
	s_and_not1_b32 s22, s22, exec_lo
	s_and_b32 s26, s24, exec_lo
	s_or_b32 s25, s25, s0
	s_or_b32 s22, s22, s26
	s_and_not1_b32 exec_lo, exec_lo, s21
	s_cbranch_execz .LBB408_16
.LBB408_14:                             ;   Parent Loop BB408_10 Depth=1
                                        ; =>  This Inner Loop Header: Depth=2
	global_load_b32 v14, v[8:9], off
	global_load_b32 v15, v[6:7], off
	s_and_not1_b32 s24, s24, exec_lo
	s_or_b32 s23, s23, exec_lo
	s_wait_loadcnt 0x0
	v_cmp_le_i32_e32 vcc_lo, v14, v15
	v_cmp_lt_i32_e64 s0, v14, v15
	s_and_b32 s26, vcc_lo, s25
	s_delay_alu instid0(SALU_CYCLE_1) | instskip(NEXT) | instid1(SALU_CYCLE_1)
	s_or_b32 s0, s0, s26
	s_and_b32 s26, s0, exec_lo
	s_delay_alu instid0(SALU_CYCLE_1)
	s_or_b32 s24, s24, s26
	s_mov_b32 s26, exec_lo
	v_cmpx_eq_u32_e64 v14, v15
	s_cbranch_execz .LBB408_13
; %bb.15:                               ;   in Loop: Header=BB408_14 Depth=2
	s_add_nc_u64 s[14:15], s[14:15], -1
	v_add_nc_u64_e32 v[8:9], 4, v[8:9]
	s_cmp_eq_u64 s[14:15], 0
	v_add_nc_u64_e32 v[6:7], 4, v[6:7]
	s_cselect_b32 s25, -1, 0
	s_and_not1_b32 s23, s23, exec_lo
	s_and_b32 s25, s25, exec_lo
	s_and_not1_b32 s24, s24, exec_lo
	s_or_b32 s23, s23, s25
                                        ; implicit-def: $sgpr25
	s_branch .LBB408_13
.LBB408_16:                             ;   in Loop: Header=BB408_10 Depth=1
	s_or_b32 exec_lo, exec_lo, s21
	s_xor_b32 s21, s22, -1
	s_branch .LBB408_18
.LBB408_17:                             ;   in Loop: Header=BB408_10 Depth=1
	s_mov_b32 s21, -1
.LBB408_18:                             ;   in Loop: Header=BB408_10 Depth=1
	s_mov_b32 s0, 0
.LBB408_19:                             ;   in Loop: Header=BB408_10 Depth=1
	s_delay_alu instid0(SALU_CYCLE_1)
	s_and_not1_b32 vcc_lo, exec_lo, s0
	s_cbranch_vccnz .LBB408_9
; %bb.20:                               ;   in Loop: Header=BB408_10 Depth=1
	s_and_not1_b32 vcc_lo, exec_lo, s1
	s_cbranch_vccnz .LBB408_25
; %bb.21:                               ;   in Loop: Header=BB408_10 Depth=1
	s_wait_loadcnt 0x0
	v_mad_nc_u64_u32 v[6:7], s2, v4, s[10:11]
	s_mov_b32 s22, 0
	s_mov_b64 s[14:15], s[8:9]
                                        ; implicit-def: $sgpr21
                                        ; implicit-def: $sgpr23
                                        ; implicit-def: $sgpr24
                                        ; implicit-def: $sgpr25
	s_delay_alu instid0(VALU_DEP_1) | instskip(NEXT) | instid1(VALU_DEP_1)
	v_mad_u32 v4, s3, v4, v7
	v_mad_u32 v7, s2, v5, v4
	v_mov_b64_e32 v[4:5], v[0:1]
	s_branch .LBB408_23
.LBB408_22:                             ;   in Loop: Header=BB408_23 Depth=2
	s_or_b32 exec_lo, exec_lo, s26
	s_delay_alu instid0(SALU_CYCLE_1) | instskip(NEXT) | instid1(SALU_CYCLE_1)
	s_and_b32 s26, exec_lo, s23
	s_or_b32 s22, s26, s22
	s_and_not1_b32 s25, s25, exec_lo
	s_and_b32 s0, s0, exec_lo
	s_and_not1_b32 s21, s21, exec_lo
	s_and_b32 s26, s24, exec_lo
	s_or_b32 s25, s25, s0
	s_or_b32 s21, s21, s26
	s_and_not1_b32 exec_lo, exec_lo, s22
	s_cbranch_execz .LBB408_8
.LBB408_23:                             ;   Parent Loop BB408_10 Depth=1
                                        ; =>  This Inner Loop Header: Depth=2
	global_load_b32 v8, v[6:7], off
	global_load_b32 v9, v[4:5], off
	s_and_not1_b32 s24, s24, exec_lo
	s_or_b32 s23, s23, exec_lo
	s_wait_loadcnt 0x0
	v_cmp_le_i32_e32 vcc_lo, v8, v9
	v_cmp_lt_i32_e64 s0, v8, v9
	s_and_b32 s26, vcc_lo, s25
	s_delay_alu instid0(SALU_CYCLE_1) | instskip(NEXT) | instid1(SALU_CYCLE_1)
	s_or_b32 s0, s0, s26
	s_and_b32 s26, s0, exec_lo
	s_delay_alu instid0(SALU_CYCLE_1)
	s_or_b32 s24, s24, s26
	s_mov_b32 s26, exec_lo
	v_cmpx_eq_u32_e64 v8, v9
	s_cbranch_execz .LBB408_22
; %bb.24:                               ;   in Loop: Header=BB408_23 Depth=2
	s_add_nc_u64 s[14:15], s[14:15], -1
	v_add_nc_u64_e32 v[6:7], 4, v[6:7]
	s_cmp_eq_u64 s[14:15], 0
	v_add_nc_u64_e32 v[4:5], 4, v[4:5]
	s_cselect_b32 s25, -1, 0
	s_and_not1_b32 s23, s23, exec_lo
	s_and_b32 s25, s25, exec_lo
	s_and_not1_b32 s24, s24, exec_lo
	s_or_b32 s23, s23, s25
                                        ; implicit-def: $sgpr25
	s_branch .LBB408_22
.LBB408_25:                             ;   in Loop: Header=BB408_10 Depth=1
	s_mov_b32 s21, 0
	s_branch .LBB408_9
.LBB408_26:
                                        ; implicit-def: $vgpr1
	s_cbranch_execnz .LBB408_30
	s_branch .LBB408_52
.LBB408_27:
	s_or_b32 exec_lo, exec_lo, s20
.LBB408_28:
	s_delay_alu instid0(VALU_DEP_1)
	v_add_nc_u32_e32 v1, v11, v10
	s_or_b32 s13, s13, exec_lo
.LBB408_29:
	s_or_b32 exec_lo, exec_lo, s19
	s_branch .LBB408_52
.LBB408_30:
	v_mov_b32_e32 v11, s12
	s_cmp_ge_u32 s17, s18
	s_cbranch_scc1 .LBB408_51
; %bb.31:
	s_wait_loadcnt 0x0
	v_mul_u64_e32 v[0:1], s[8:9], v[2:3]
	v_dual_mov_b32 v12, s18 :: v_dual_mov_b32 v11, s12
	v_cndmask_b32_e64 v13, 0, 1, s1
	s_lshl_b64 s[2:3], s[8:9], 2
	s_mov_b32 s14, 0
	s_delay_alu instid0(VALU_DEP_3)
	v_lshl_add_u64 v[0:1], v[0:1], 2, s[10:11]
	s_branch .LBB408_34
.LBB408_32:                             ;   in Loop: Header=BB408_34 Depth=1
	s_or_b32 exec_lo, exec_lo, s17
.LBB408_33:                             ;   in Loop: Header=BB408_34 Depth=1
	s_wait_loadcnt 0x0
	v_dual_add_nc_u32 v4, 1, v14 :: v_dual_cndmask_b32 v12, v14, v12, s15
	s_delay_alu instid0(VALU_DEP_1) | instskip(NEXT) | instid1(VALU_DEP_1)
	v_cndmask_b32_e64 v11, v11, v4, s15
	v_cmp_ge_u32_e32 vcc_lo, v11, v12
	s_or_b32 s14, vcc_lo, s14
	s_delay_alu instid0(SALU_CYCLE_1)
	s_and_not1_b32 exec_lo, exec_lo, s14
	s_cbranch_execz .LBB408_50
.LBB408_34:                             ; =>This Loop Header: Depth=1
                                        ;     Child Loop BB408_38 Depth 2
                                        ;     Child Loop BB408_47 Depth 2
	v_add_nc_u32_e32 v4, v11, v12
	v_cmp_ne_u32_e64 s0, 1, v13
	s_and_not1_b32 vcc_lo, exec_lo, s16
	s_mov_b32 s12, -1
                                        ; implicit-def: $sgpr15
	v_lshrrev_b32_e32 v14, 1, v4
	global_load_b64 v[4:5], v14, s[4:5] scale_offset
	s_cbranch_vccnz .LBB408_43
; %bb.35:                               ;   in Loop: Header=BB408_34 Depth=1
	s_and_b32 vcc_lo, exec_lo, s0
	s_cbranch_vccnz .LBB408_41
; %bb.36:                               ;   in Loop: Header=BB408_34 Depth=1
	s_wait_loadcnt 0x0
	v_mad_nc_u64_u32 v[6:7], s2, v4, s[10:11]
	v_mov_b64_e32 v[8:9], v[0:1]
	s_mov_b32 s15, 0
	s_mov_b64 s[12:13], s[8:9]
                                        ; implicit-def: $sgpr17
                                        ; implicit-def: $sgpr18
                                        ; implicit-def: $sgpr19
                                        ; implicit-def: $sgpr20
	s_delay_alu instid0(VALU_DEP_2) | instskip(NEXT) | instid1(VALU_DEP_1)
	v_mad_u32 v7, s3, v4, v7
	v_mad_u32 v7, s2, v5, v7
	s_branch .LBB408_38
.LBB408_37:                             ;   in Loop: Header=BB408_38 Depth=2
	s_or_b32 exec_lo, exec_lo, s21
	s_delay_alu instid0(SALU_CYCLE_1) | instskip(NEXT) | instid1(SALU_CYCLE_1)
	s_and_b32 s21, exec_lo, s18
	s_or_b32 s15, s21, s15
	s_and_not1_b32 s20, s20, exec_lo
	s_and_b32 s0, s0, exec_lo
	s_and_not1_b32 s17, s17, exec_lo
	s_and_b32 s21, s19, exec_lo
	s_or_b32 s20, s20, s0
	s_or_b32 s17, s17, s21
	s_and_not1_b32 exec_lo, exec_lo, s15
	s_cbranch_execz .LBB408_40
.LBB408_38:                             ;   Parent Loop BB408_34 Depth=1
                                        ; =>  This Inner Loop Header: Depth=2
	global_load_b32 v15, v[8:9], off
	global_load_b32 v16, v[6:7], off
	s_and_not1_b32 s19, s19, exec_lo
	s_or_b32 s18, s18, exec_lo
	s_wait_loadcnt 0x0
	v_cmp_le_i32_e32 vcc_lo, v15, v16
	v_cmp_lt_i32_e64 s0, v15, v16
	s_and_b32 s21, vcc_lo, s20
	s_delay_alu instid0(SALU_CYCLE_1) | instskip(NEXT) | instid1(SALU_CYCLE_1)
	s_or_b32 s0, s0, s21
	s_and_b32 s21, s0, exec_lo
	s_delay_alu instid0(SALU_CYCLE_1)
	s_or_b32 s19, s19, s21
	s_mov_b32 s21, exec_lo
	v_cmpx_eq_u32_e64 v15, v16
	s_cbranch_execz .LBB408_37
; %bb.39:                               ;   in Loop: Header=BB408_38 Depth=2
	s_add_nc_u64 s[12:13], s[12:13], -1
	v_add_nc_u64_e32 v[8:9], 4, v[8:9]
	s_cmp_eq_u64 s[12:13], 0
	v_add_nc_u64_e32 v[6:7], 4, v[6:7]
	s_cselect_b32 s20, -1, 0
	s_and_not1_b32 s18, s18, exec_lo
	s_and_b32 s20, s20, exec_lo
	s_and_not1_b32 s19, s19, exec_lo
	s_or_b32 s18, s18, s20
                                        ; implicit-def: $sgpr20
	s_branch .LBB408_37
.LBB408_40:                             ;   in Loop: Header=BB408_34 Depth=1
	s_or_b32 exec_lo, exec_lo, s15
	s_xor_b32 s15, s17, -1
	s_branch .LBB408_42
.LBB408_41:                             ;   in Loop: Header=BB408_34 Depth=1
	s_mov_b32 s15, -1
.LBB408_42:                             ;   in Loop: Header=BB408_34 Depth=1
	s_mov_b32 s12, 0
.LBB408_43:                             ;   in Loop: Header=BB408_34 Depth=1
	s_delay_alu instid0(SALU_CYCLE_1)
	s_and_not1_b32 vcc_lo, exec_lo, s12
	s_cbranch_vccnz .LBB408_33
; %bb.44:                               ;   in Loop: Header=BB408_34 Depth=1
	s_and_not1_b32 vcc_lo, exec_lo, s1
	s_cbranch_vccnz .LBB408_49
; %bb.45:                               ;   in Loop: Header=BB408_34 Depth=1
	s_wait_loadcnt 0x0
	v_mad_nc_u64_u32 v[6:7], s2, v4, s[10:11]
	s_mov_b32 s17, 0
	s_mov_b64 s[12:13], s[8:9]
                                        ; implicit-def: $sgpr15
                                        ; implicit-def: $sgpr18
                                        ; implicit-def: $sgpr19
                                        ; implicit-def: $sgpr20
	s_delay_alu instid0(VALU_DEP_1) | instskip(NEXT) | instid1(VALU_DEP_1)
	v_mad_u32 v4, s3, v4, v7
	v_mad_u32 v7, s2, v5, v4
	v_mov_b64_e32 v[4:5], v[0:1]
	s_branch .LBB408_47
.LBB408_46:                             ;   in Loop: Header=BB408_47 Depth=2
	s_or_b32 exec_lo, exec_lo, s21
	s_delay_alu instid0(SALU_CYCLE_1) | instskip(NEXT) | instid1(SALU_CYCLE_1)
	s_and_b32 s21, exec_lo, s18
	s_or_b32 s17, s21, s17
	s_and_not1_b32 s20, s20, exec_lo
	s_and_b32 s0, s0, exec_lo
	s_and_not1_b32 s15, s15, exec_lo
	s_and_b32 s21, s19, exec_lo
	s_or_b32 s20, s20, s0
	s_or_b32 s15, s15, s21
	s_and_not1_b32 exec_lo, exec_lo, s17
	s_cbranch_execz .LBB408_32
.LBB408_47:                             ;   Parent Loop BB408_34 Depth=1
                                        ; =>  This Inner Loop Header: Depth=2
	global_load_b32 v8, v[6:7], off
	global_load_b32 v9, v[4:5], off
	s_and_not1_b32 s19, s19, exec_lo
	s_or_b32 s18, s18, exec_lo
	s_wait_loadcnt 0x0
	v_cmp_le_i32_e32 vcc_lo, v8, v9
	v_cmp_lt_i32_e64 s0, v8, v9
	s_and_b32 s21, vcc_lo, s20
	s_delay_alu instid0(SALU_CYCLE_1) | instskip(NEXT) | instid1(SALU_CYCLE_1)
	s_or_b32 s0, s0, s21
	s_and_b32 s21, s0, exec_lo
	s_delay_alu instid0(SALU_CYCLE_1)
	s_or_b32 s19, s19, s21
	s_mov_b32 s21, exec_lo
	v_cmpx_eq_u32_e64 v8, v9
	s_cbranch_execz .LBB408_46
; %bb.48:                               ;   in Loop: Header=BB408_47 Depth=2
	s_add_nc_u64 s[12:13], s[12:13], -1
	v_add_nc_u64_e32 v[6:7], 4, v[6:7]
	s_cmp_eq_u64 s[12:13], 0
	v_add_nc_u64_e32 v[4:5], 4, v[4:5]
	s_cselect_b32 s20, -1, 0
	s_and_not1_b32 s18, s18, exec_lo
	s_and_b32 s20, s20, exec_lo
	s_and_not1_b32 s19, s19, exec_lo
	s_or_b32 s18, s18, s20
                                        ; implicit-def: $sgpr20
	s_branch .LBB408_46
.LBB408_49:                             ;   in Loop: Header=BB408_34 Depth=1
	s_mov_b32 s15, 0
	s_branch .LBB408_33
.LBB408_50:
	s_or_b32 exec_lo, exec_lo, s14
.LBB408_51:
	s_delay_alu instid0(VALU_DEP_1)
	v_add_nc_u32_e32 v1, v11, v10
	s_mov_b32 s13, -1
.LBB408_52:
	s_delay_alu instid0(SALU_CYCLE_1)
	s_and_b32 exec_lo, exec_lo, s13
	s_cbranch_execz .LBB408_54
; %bb.53:
	s_wait_loadcnt 0x0
	global_store_b64 v1, v[2:3], s[6:7] scale_offset
.LBB408_54:
	s_endpgm
	.section	.rodata,"a",@progbits
	.p2align	6, 0x0
	.amdhsa_kernel _ZN7rocprim17ROCPRIM_400000_NS6detail17trampoline_kernelINS0_14default_configENS1_38merge_sort_block_merge_config_selectorIlNS0_10empty_typeEEEZZNS1_27merge_sort_block_merge_implIS3_PlPS5_mZN2at6native12_GLOBAL__N_124unique_dim_cuda_templateIiEESt5tupleIJNSA_6TensorESF_SF_EERKSF_lbbbEUlllE_EE10hipError_tT0_T1_T2_jT3_P12ihipStream_tbPNSt15iterator_traitsISL_E10value_typeEPNSR_ISM_E10value_typeEPSN_NS1_7vsmem_tEENKUlT_SL_SM_SN_E_clIS8_S8_S9_S9_EESK_S10_SL_SM_SN_EUlS10_E1_NS1_11comp_targetILNS1_3genE0ELNS1_11target_archE4294967295ELNS1_3gpuE0ELNS1_3repE0EEENS1_36merge_oddeven_config_static_selectorELNS0_4arch9wavefront6targetE0EEEvSM_
		.amdhsa_group_segment_fixed_size 0
		.amdhsa_private_segment_fixed_size 0
		.amdhsa_kernarg_size 64
		.amdhsa_user_sgpr_count 2
		.amdhsa_user_sgpr_dispatch_ptr 0
		.amdhsa_user_sgpr_queue_ptr 0
		.amdhsa_user_sgpr_kernarg_segment_ptr 1
		.amdhsa_user_sgpr_dispatch_id 0
		.amdhsa_user_sgpr_kernarg_preload_length 0
		.amdhsa_user_sgpr_kernarg_preload_offset 0
		.amdhsa_user_sgpr_private_segment_size 0
		.amdhsa_wavefront_size32 1
		.amdhsa_uses_dynamic_stack 0
		.amdhsa_enable_private_segment 0
		.amdhsa_system_sgpr_workgroup_id_x 1
		.amdhsa_system_sgpr_workgroup_id_y 0
		.amdhsa_system_sgpr_workgroup_id_z 0
		.amdhsa_system_sgpr_workgroup_info 0
		.amdhsa_system_vgpr_workitem_id 0
		.amdhsa_next_free_vgpr 17
		.amdhsa_next_free_sgpr 27
		.amdhsa_named_barrier_count 0
		.amdhsa_reserve_vcc 1
		.amdhsa_float_round_mode_32 0
		.amdhsa_float_round_mode_16_64 0
		.amdhsa_float_denorm_mode_32 3
		.amdhsa_float_denorm_mode_16_64 3
		.amdhsa_fp16_overflow 0
		.amdhsa_memory_ordered 1
		.amdhsa_forward_progress 1
		.amdhsa_inst_pref_size 14
		.amdhsa_round_robin_scheduling 0
		.amdhsa_exception_fp_ieee_invalid_op 0
		.amdhsa_exception_fp_denorm_src 0
		.amdhsa_exception_fp_ieee_div_zero 0
		.amdhsa_exception_fp_ieee_overflow 0
		.amdhsa_exception_fp_ieee_underflow 0
		.amdhsa_exception_fp_ieee_inexact 0
		.amdhsa_exception_int_div_zero 0
	.end_amdhsa_kernel
	.section	.text._ZN7rocprim17ROCPRIM_400000_NS6detail17trampoline_kernelINS0_14default_configENS1_38merge_sort_block_merge_config_selectorIlNS0_10empty_typeEEEZZNS1_27merge_sort_block_merge_implIS3_PlPS5_mZN2at6native12_GLOBAL__N_124unique_dim_cuda_templateIiEESt5tupleIJNSA_6TensorESF_SF_EERKSF_lbbbEUlllE_EE10hipError_tT0_T1_T2_jT3_P12ihipStream_tbPNSt15iterator_traitsISL_E10value_typeEPNSR_ISM_E10value_typeEPSN_NS1_7vsmem_tEENKUlT_SL_SM_SN_E_clIS8_S8_S9_S9_EESK_S10_SL_SM_SN_EUlS10_E1_NS1_11comp_targetILNS1_3genE0ELNS1_11target_archE4294967295ELNS1_3gpuE0ELNS1_3repE0EEENS1_36merge_oddeven_config_static_selectorELNS0_4arch9wavefront6targetE0EEEvSM_,"axG",@progbits,_ZN7rocprim17ROCPRIM_400000_NS6detail17trampoline_kernelINS0_14default_configENS1_38merge_sort_block_merge_config_selectorIlNS0_10empty_typeEEEZZNS1_27merge_sort_block_merge_implIS3_PlPS5_mZN2at6native12_GLOBAL__N_124unique_dim_cuda_templateIiEESt5tupleIJNSA_6TensorESF_SF_EERKSF_lbbbEUlllE_EE10hipError_tT0_T1_T2_jT3_P12ihipStream_tbPNSt15iterator_traitsISL_E10value_typeEPNSR_ISM_E10value_typeEPSN_NS1_7vsmem_tEENKUlT_SL_SM_SN_E_clIS8_S8_S9_S9_EESK_S10_SL_SM_SN_EUlS10_E1_NS1_11comp_targetILNS1_3genE0ELNS1_11target_archE4294967295ELNS1_3gpuE0ELNS1_3repE0EEENS1_36merge_oddeven_config_static_selectorELNS0_4arch9wavefront6targetE0EEEvSM_,comdat
.Lfunc_end408:
	.size	_ZN7rocprim17ROCPRIM_400000_NS6detail17trampoline_kernelINS0_14default_configENS1_38merge_sort_block_merge_config_selectorIlNS0_10empty_typeEEEZZNS1_27merge_sort_block_merge_implIS3_PlPS5_mZN2at6native12_GLOBAL__N_124unique_dim_cuda_templateIiEESt5tupleIJNSA_6TensorESF_SF_EERKSF_lbbbEUlllE_EE10hipError_tT0_T1_T2_jT3_P12ihipStream_tbPNSt15iterator_traitsISL_E10value_typeEPNSR_ISM_E10value_typeEPSN_NS1_7vsmem_tEENKUlT_SL_SM_SN_E_clIS8_S8_S9_S9_EESK_S10_SL_SM_SN_EUlS10_E1_NS1_11comp_targetILNS1_3genE0ELNS1_11target_archE4294967295ELNS1_3gpuE0ELNS1_3repE0EEENS1_36merge_oddeven_config_static_selectorELNS0_4arch9wavefront6targetE0EEEvSM_, .Lfunc_end408-_ZN7rocprim17ROCPRIM_400000_NS6detail17trampoline_kernelINS0_14default_configENS1_38merge_sort_block_merge_config_selectorIlNS0_10empty_typeEEEZZNS1_27merge_sort_block_merge_implIS3_PlPS5_mZN2at6native12_GLOBAL__N_124unique_dim_cuda_templateIiEESt5tupleIJNSA_6TensorESF_SF_EERKSF_lbbbEUlllE_EE10hipError_tT0_T1_T2_jT3_P12ihipStream_tbPNSt15iterator_traitsISL_E10value_typeEPNSR_ISM_E10value_typeEPSN_NS1_7vsmem_tEENKUlT_SL_SM_SN_E_clIS8_S8_S9_S9_EESK_S10_SL_SM_SN_EUlS10_E1_NS1_11comp_targetILNS1_3genE0ELNS1_11target_archE4294967295ELNS1_3gpuE0ELNS1_3repE0EEENS1_36merge_oddeven_config_static_selectorELNS0_4arch9wavefront6targetE0EEEvSM_
                                        ; -- End function
	.set _ZN7rocprim17ROCPRIM_400000_NS6detail17trampoline_kernelINS0_14default_configENS1_38merge_sort_block_merge_config_selectorIlNS0_10empty_typeEEEZZNS1_27merge_sort_block_merge_implIS3_PlPS5_mZN2at6native12_GLOBAL__N_124unique_dim_cuda_templateIiEESt5tupleIJNSA_6TensorESF_SF_EERKSF_lbbbEUlllE_EE10hipError_tT0_T1_T2_jT3_P12ihipStream_tbPNSt15iterator_traitsISL_E10value_typeEPNSR_ISM_E10value_typeEPSN_NS1_7vsmem_tEENKUlT_SL_SM_SN_E_clIS8_S8_S9_S9_EESK_S10_SL_SM_SN_EUlS10_E1_NS1_11comp_targetILNS1_3genE0ELNS1_11target_archE4294967295ELNS1_3gpuE0ELNS1_3repE0EEENS1_36merge_oddeven_config_static_selectorELNS0_4arch9wavefront6targetE0EEEvSM_.num_vgpr, 17
	.set _ZN7rocprim17ROCPRIM_400000_NS6detail17trampoline_kernelINS0_14default_configENS1_38merge_sort_block_merge_config_selectorIlNS0_10empty_typeEEEZZNS1_27merge_sort_block_merge_implIS3_PlPS5_mZN2at6native12_GLOBAL__N_124unique_dim_cuda_templateIiEESt5tupleIJNSA_6TensorESF_SF_EERKSF_lbbbEUlllE_EE10hipError_tT0_T1_T2_jT3_P12ihipStream_tbPNSt15iterator_traitsISL_E10value_typeEPNSR_ISM_E10value_typeEPSN_NS1_7vsmem_tEENKUlT_SL_SM_SN_E_clIS8_S8_S9_S9_EESK_S10_SL_SM_SN_EUlS10_E1_NS1_11comp_targetILNS1_3genE0ELNS1_11target_archE4294967295ELNS1_3gpuE0ELNS1_3repE0EEENS1_36merge_oddeven_config_static_selectorELNS0_4arch9wavefront6targetE0EEEvSM_.num_agpr, 0
	.set _ZN7rocprim17ROCPRIM_400000_NS6detail17trampoline_kernelINS0_14default_configENS1_38merge_sort_block_merge_config_selectorIlNS0_10empty_typeEEEZZNS1_27merge_sort_block_merge_implIS3_PlPS5_mZN2at6native12_GLOBAL__N_124unique_dim_cuda_templateIiEESt5tupleIJNSA_6TensorESF_SF_EERKSF_lbbbEUlllE_EE10hipError_tT0_T1_T2_jT3_P12ihipStream_tbPNSt15iterator_traitsISL_E10value_typeEPNSR_ISM_E10value_typeEPSN_NS1_7vsmem_tEENKUlT_SL_SM_SN_E_clIS8_S8_S9_S9_EESK_S10_SL_SM_SN_EUlS10_E1_NS1_11comp_targetILNS1_3genE0ELNS1_11target_archE4294967295ELNS1_3gpuE0ELNS1_3repE0EEENS1_36merge_oddeven_config_static_selectorELNS0_4arch9wavefront6targetE0EEEvSM_.numbered_sgpr, 27
	.set _ZN7rocprim17ROCPRIM_400000_NS6detail17trampoline_kernelINS0_14default_configENS1_38merge_sort_block_merge_config_selectorIlNS0_10empty_typeEEEZZNS1_27merge_sort_block_merge_implIS3_PlPS5_mZN2at6native12_GLOBAL__N_124unique_dim_cuda_templateIiEESt5tupleIJNSA_6TensorESF_SF_EERKSF_lbbbEUlllE_EE10hipError_tT0_T1_T2_jT3_P12ihipStream_tbPNSt15iterator_traitsISL_E10value_typeEPNSR_ISM_E10value_typeEPSN_NS1_7vsmem_tEENKUlT_SL_SM_SN_E_clIS8_S8_S9_S9_EESK_S10_SL_SM_SN_EUlS10_E1_NS1_11comp_targetILNS1_3genE0ELNS1_11target_archE4294967295ELNS1_3gpuE0ELNS1_3repE0EEENS1_36merge_oddeven_config_static_selectorELNS0_4arch9wavefront6targetE0EEEvSM_.num_named_barrier, 0
	.set _ZN7rocprim17ROCPRIM_400000_NS6detail17trampoline_kernelINS0_14default_configENS1_38merge_sort_block_merge_config_selectorIlNS0_10empty_typeEEEZZNS1_27merge_sort_block_merge_implIS3_PlPS5_mZN2at6native12_GLOBAL__N_124unique_dim_cuda_templateIiEESt5tupleIJNSA_6TensorESF_SF_EERKSF_lbbbEUlllE_EE10hipError_tT0_T1_T2_jT3_P12ihipStream_tbPNSt15iterator_traitsISL_E10value_typeEPNSR_ISM_E10value_typeEPSN_NS1_7vsmem_tEENKUlT_SL_SM_SN_E_clIS8_S8_S9_S9_EESK_S10_SL_SM_SN_EUlS10_E1_NS1_11comp_targetILNS1_3genE0ELNS1_11target_archE4294967295ELNS1_3gpuE0ELNS1_3repE0EEENS1_36merge_oddeven_config_static_selectorELNS0_4arch9wavefront6targetE0EEEvSM_.private_seg_size, 0
	.set _ZN7rocprim17ROCPRIM_400000_NS6detail17trampoline_kernelINS0_14default_configENS1_38merge_sort_block_merge_config_selectorIlNS0_10empty_typeEEEZZNS1_27merge_sort_block_merge_implIS3_PlPS5_mZN2at6native12_GLOBAL__N_124unique_dim_cuda_templateIiEESt5tupleIJNSA_6TensorESF_SF_EERKSF_lbbbEUlllE_EE10hipError_tT0_T1_T2_jT3_P12ihipStream_tbPNSt15iterator_traitsISL_E10value_typeEPNSR_ISM_E10value_typeEPSN_NS1_7vsmem_tEENKUlT_SL_SM_SN_E_clIS8_S8_S9_S9_EESK_S10_SL_SM_SN_EUlS10_E1_NS1_11comp_targetILNS1_3genE0ELNS1_11target_archE4294967295ELNS1_3gpuE0ELNS1_3repE0EEENS1_36merge_oddeven_config_static_selectorELNS0_4arch9wavefront6targetE0EEEvSM_.uses_vcc, 1
	.set _ZN7rocprim17ROCPRIM_400000_NS6detail17trampoline_kernelINS0_14default_configENS1_38merge_sort_block_merge_config_selectorIlNS0_10empty_typeEEEZZNS1_27merge_sort_block_merge_implIS3_PlPS5_mZN2at6native12_GLOBAL__N_124unique_dim_cuda_templateIiEESt5tupleIJNSA_6TensorESF_SF_EERKSF_lbbbEUlllE_EE10hipError_tT0_T1_T2_jT3_P12ihipStream_tbPNSt15iterator_traitsISL_E10value_typeEPNSR_ISM_E10value_typeEPSN_NS1_7vsmem_tEENKUlT_SL_SM_SN_E_clIS8_S8_S9_S9_EESK_S10_SL_SM_SN_EUlS10_E1_NS1_11comp_targetILNS1_3genE0ELNS1_11target_archE4294967295ELNS1_3gpuE0ELNS1_3repE0EEENS1_36merge_oddeven_config_static_selectorELNS0_4arch9wavefront6targetE0EEEvSM_.uses_flat_scratch, 0
	.set _ZN7rocprim17ROCPRIM_400000_NS6detail17trampoline_kernelINS0_14default_configENS1_38merge_sort_block_merge_config_selectorIlNS0_10empty_typeEEEZZNS1_27merge_sort_block_merge_implIS3_PlPS5_mZN2at6native12_GLOBAL__N_124unique_dim_cuda_templateIiEESt5tupleIJNSA_6TensorESF_SF_EERKSF_lbbbEUlllE_EE10hipError_tT0_T1_T2_jT3_P12ihipStream_tbPNSt15iterator_traitsISL_E10value_typeEPNSR_ISM_E10value_typeEPSN_NS1_7vsmem_tEENKUlT_SL_SM_SN_E_clIS8_S8_S9_S9_EESK_S10_SL_SM_SN_EUlS10_E1_NS1_11comp_targetILNS1_3genE0ELNS1_11target_archE4294967295ELNS1_3gpuE0ELNS1_3repE0EEENS1_36merge_oddeven_config_static_selectorELNS0_4arch9wavefront6targetE0EEEvSM_.has_dyn_sized_stack, 0
	.set _ZN7rocprim17ROCPRIM_400000_NS6detail17trampoline_kernelINS0_14default_configENS1_38merge_sort_block_merge_config_selectorIlNS0_10empty_typeEEEZZNS1_27merge_sort_block_merge_implIS3_PlPS5_mZN2at6native12_GLOBAL__N_124unique_dim_cuda_templateIiEESt5tupleIJNSA_6TensorESF_SF_EERKSF_lbbbEUlllE_EE10hipError_tT0_T1_T2_jT3_P12ihipStream_tbPNSt15iterator_traitsISL_E10value_typeEPNSR_ISM_E10value_typeEPSN_NS1_7vsmem_tEENKUlT_SL_SM_SN_E_clIS8_S8_S9_S9_EESK_S10_SL_SM_SN_EUlS10_E1_NS1_11comp_targetILNS1_3genE0ELNS1_11target_archE4294967295ELNS1_3gpuE0ELNS1_3repE0EEENS1_36merge_oddeven_config_static_selectorELNS0_4arch9wavefront6targetE0EEEvSM_.has_recursion, 0
	.set _ZN7rocprim17ROCPRIM_400000_NS6detail17trampoline_kernelINS0_14default_configENS1_38merge_sort_block_merge_config_selectorIlNS0_10empty_typeEEEZZNS1_27merge_sort_block_merge_implIS3_PlPS5_mZN2at6native12_GLOBAL__N_124unique_dim_cuda_templateIiEESt5tupleIJNSA_6TensorESF_SF_EERKSF_lbbbEUlllE_EE10hipError_tT0_T1_T2_jT3_P12ihipStream_tbPNSt15iterator_traitsISL_E10value_typeEPNSR_ISM_E10value_typeEPSN_NS1_7vsmem_tEENKUlT_SL_SM_SN_E_clIS8_S8_S9_S9_EESK_S10_SL_SM_SN_EUlS10_E1_NS1_11comp_targetILNS1_3genE0ELNS1_11target_archE4294967295ELNS1_3gpuE0ELNS1_3repE0EEENS1_36merge_oddeven_config_static_selectorELNS0_4arch9wavefront6targetE0EEEvSM_.has_indirect_call, 0
	.section	.AMDGPU.csdata,"",@progbits
; Kernel info:
; codeLenInByte = 1704
; TotalNumSgprs: 29
; NumVgprs: 17
; ScratchSize: 0
; MemoryBound: 0
; FloatMode: 240
; IeeeMode: 1
; LDSByteSize: 0 bytes/workgroup (compile time only)
; SGPRBlocks: 0
; VGPRBlocks: 1
; NumSGPRsForWavesPerEU: 29
; NumVGPRsForWavesPerEU: 17
; NamedBarCnt: 0
; Occupancy: 16
; WaveLimiterHint : 0
; COMPUTE_PGM_RSRC2:SCRATCH_EN: 0
; COMPUTE_PGM_RSRC2:USER_SGPR: 2
; COMPUTE_PGM_RSRC2:TRAP_HANDLER: 0
; COMPUTE_PGM_RSRC2:TGID_X_EN: 1
; COMPUTE_PGM_RSRC2:TGID_Y_EN: 0
; COMPUTE_PGM_RSRC2:TGID_Z_EN: 0
; COMPUTE_PGM_RSRC2:TIDIG_COMP_CNT: 0
	.section	.text._ZN7rocprim17ROCPRIM_400000_NS6detail17trampoline_kernelINS0_14default_configENS1_38merge_sort_block_merge_config_selectorIlNS0_10empty_typeEEEZZNS1_27merge_sort_block_merge_implIS3_PlPS5_mZN2at6native12_GLOBAL__N_124unique_dim_cuda_templateIiEESt5tupleIJNSA_6TensorESF_SF_EERKSF_lbbbEUlllE_EE10hipError_tT0_T1_T2_jT3_P12ihipStream_tbPNSt15iterator_traitsISL_E10value_typeEPNSR_ISM_E10value_typeEPSN_NS1_7vsmem_tEENKUlT_SL_SM_SN_E_clIS8_S8_S9_S9_EESK_S10_SL_SM_SN_EUlS10_E1_NS1_11comp_targetILNS1_3genE10ELNS1_11target_archE1201ELNS1_3gpuE5ELNS1_3repE0EEENS1_36merge_oddeven_config_static_selectorELNS0_4arch9wavefront6targetE0EEEvSM_,"axG",@progbits,_ZN7rocprim17ROCPRIM_400000_NS6detail17trampoline_kernelINS0_14default_configENS1_38merge_sort_block_merge_config_selectorIlNS0_10empty_typeEEEZZNS1_27merge_sort_block_merge_implIS3_PlPS5_mZN2at6native12_GLOBAL__N_124unique_dim_cuda_templateIiEESt5tupleIJNSA_6TensorESF_SF_EERKSF_lbbbEUlllE_EE10hipError_tT0_T1_T2_jT3_P12ihipStream_tbPNSt15iterator_traitsISL_E10value_typeEPNSR_ISM_E10value_typeEPSN_NS1_7vsmem_tEENKUlT_SL_SM_SN_E_clIS8_S8_S9_S9_EESK_S10_SL_SM_SN_EUlS10_E1_NS1_11comp_targetILNS1_3genE10ELNS1_11target_archE1201ELNS1_3gpuE5ELNS1_3repE0EEENS1_36merge_oddeven_config_static_selectorELNS0_4arch9wavefront6targetE0EEEvSM_,comdat
	.globl	_ZN7rocprim17ROCPRIM_400000_NS6detail17trampoline_kernelINS0_14default_configENS1_38merge_sort_block_merge_config_selectorIlNS0_10empty_typeEEEZZNS1_27merge_sort_block_merge_implIS3_PlPS5_mZN2at6native12_GLOBAL__N_124unique_dim_cuda_templateIiEESt5tupleIJNSA_6TensorESF_SF_EERKSF_lbbbEUlllE_EE10hipError_tT0_T1_T2_jT3_P12ihipStream_tbPNSt15iterator_traitsISL_E10value_typeEPNSR_ISM_E10value_typeEPSN_NS1_7vsmem_tEENKUlT_SL_SM_SN_E_clIS8_S8_S9_S9_EESK_S10_SL_SM_SN_EUlS10_E1_NS1_11comp_targetILNS1_3genE10ELNS1_11target_archE1201ELNS1_3gpuE5ELNS1_3repE0EEENS1_36merge_oddeven_config_static_selectorELNS0_4arch9wavefront6targetE0EEEvSM_ ; -- Begin function _ZN7rocprim17ROCPRIM_400000_NS6detail17trampoline_kernelINS0_14default_configENS1_38merge_sort_block_merge_config_selectorIlNS0_10empty_typeEEEZZNS1_27merge_sort_block_merge_implIS3_PlPS5_mZN2at6native12_GLOBAL__N_124unique_dim_cuda_templateIiEESt5tupleIJNSA_6TensorESF_SF_EERKSF_lbbbEUlllE_EE10hipError_tT0_T1_T2_jT3_P12ihipStream_tbPNSt15iterator_traitsISL_E10value_typeEPNSR_ISM_E10value_typeEPSN_NS1_7vsmem_tEENKUlT_SL_SM_SN_E_clIS8_S8_S9_S9_EESK_S10_SL_SM_SN_EUlS10_E1_NS1_11comp_targetILNS1_3genE10ELNS1_11target_archE1201ELNS1_3gpuE5ELNS1_3repE0EEENS1_36merge_oddeven_config_static_selectorELNS0_4arch9wavefront6targetE0EEEvSM_
	.p2align	8
	.type	_ZN7rocprim17ROCPRIM_400000_NS6detail17trampoline_kernelINS0_14default_configENS1_38merge_sort_block_merge_config_selectorIlNS0_10empty_typeEEEZZNS1_27merge_sort_block_merge_implIS3_PlPS5_mZN2at6native12_GLOBAL__N_124unique_dim_cuda_templateIiEESt5tupleIJNSA_6TensorESF_SF_EERKSF_lbbbEUlllE_EE10hipError_tT0_T1_T2_jT3_P12ihipStream_tbPNSt15iterator_traitsISL_E10value_typeEPNSR_ISM_E10value_typeEPSN_NS1_7vsmem_tEENKUlT_SL_SM_SN_E_clIS8_S8_S9_S9_EESK_S10_SL_SM_SN_EUlS10_E1_NS1_11comp_targetILNS1_3genE10ELNS1_11target_archE1201ELNS1_3gpuE5ELNS1_3repE0EEENS1_36merge_oddeven_config_static_selectorELNS0_4arch9wavefront6targetE0EEEvSM_,@function
_ZN7rocprim17ROCPRIM_400000_NS6detail17trampoline_kernelINS0_14default_configENS1_38merge_sort_block_merge_config_selectorIlNS0_10empty_typeEEEZZNS1_27merge_sort_block_merge_implIS3_PlPS5_mZN2at6native12_GLOBAL__N_124unique_dim_cuda_templateIiEESt5tupleIJNSA_6TensorESF_SF_EERKSF_lbbbEUlllE_EE10hipError_tT0_T1_T2_jT3_P12ihipStream_tbPNSt15iterator_traitsISL_E10value_typeEPNSR_ISM_E10value_typeEPSN_NS1_7vsmem_tEENKUlT_SL_SM_SN_E_clIS8_S8_S9_S9_EESK_S10_SL_SM_SN_EUlS10_E1_NS1_11comp_targetILNS1_3genE10ELNS1_11target_archE1201ELNS1_3gpuE5ELNS1_3repE0EEENS1_36merge_oddeven_config_static_selectorELNS0_4arch9wavefront6targetE0EEEvSM_: ; @_ZN7rocprim17ROCPRIM_400000_NS6detail17trampoline_kernelINS0_14default_configENS1_38merge_sort_block_merge_config_selectorIlNS0_10empty_typeEEEZZNS1_27merge_sort_block_merge_implIS3_PlPS5_mZN2at6native12_GLOBAL__N_124unique_dim_cuda_templateIiEESt5tupleIJNSA_6TensorESF_SF_EERKSF_lbbbEUlllE_EE10hipError_tT0_T1_T2_jT3_P12ihipStream_tbPNSt15iterator_traitsISL_E10value_typeEPNSR_ISM_E10value_typeEPSN_NS1_7vsmem_tEENKUlT_SL_SM_SN_E_clIS8_S8_S9_S9_EESK_S10_SL_SM_SN_EUlS10_E1_NS1_11comp_targetILNS1_3genE10ELNS1_11target_archE1201ELNS1_3gpuE5ELNS1_3repE0EEENS1_36merge_oddeven_config_static_selectorELNS0_4arch9wavefront6targetE0EEEvSM_
; %bb.0:
	.section	.rodata,"a",@progbits
	.p2align	6, 0x0
	.amdhsa_kernel _ZN7rocprim17ROCPRIM_400000_NS6detail17trampoline_kernelINS0_14default_configENS1_38merge_sort_block_merge_config_selectorIlNS0_10empty_typeEEEZZNS1_27merge_sort_block_merge_implIS3_PlPS5_mZN2at6native12_GLOBAL__N_124unique_dim_cuda_templateIiEESt5tupleIJNSA_6TensorESF_SF_EERKSF_lbbbEUlllE_EE10hipError_tT0_T1_T2_jT3_P12ihipStream_tbPNSt15iterator_traitsISL_E10value_typeEPNSR_ISM_E10value_typeEPSN_NS1_7vsmem_tEENKUlT_SL_SM_SN_E_clIS8_S8_S9_S9_EESK_S10_SL_SM_SN_EUlS10_E1_NS1_11comp_targetILNS1_3genE10ELNS1_11target_archE1201ELNS1_3gpuE5ELNS1_3repE0EEENS1_36merge_oddeven_config_static_selectorELNS0_4arch9wavefront6targetE0EEEvSM_
		.amdhsa_group_segment_fixed_size 0
		.amdhsa_private_segment_fixed_size 0
		.amdhsa_kernarg_size 64
		.amdhsa_user_sgpr_count 2
		.amdhsa_user_sgpr_dispatch_ptr 0
		.amdhsa_user_sgpr_queue_ptr 0
		.amdhsa_user_sgpr_kernarg_segment_ptr 1
		.amdhsa_user_sgpr_dispatch_id 0
		.amdhsa_user_sgpr_kernarg_preload_length 0
		.amdhsa_user_sgpr_kernarg_preload_offset 0
		.amdhsa_user_sgpr_private_segment_size 0
		.amdhsa_wavefront_size32 1
		.amdhsa_uses_dynamic_stack 0
		.amdhsa_enable_private_segment 0
		.amdhsa_system_sgpr_workgroup_id_x 1
		.amdhsa_system_sgpr_workgroup_id_y 0
		.amdhsa_system_sgpr_workgroup_id_z 0
		.amdhsa_system_sgpr_workgroup_info 0
		.amdhsa_system_vgpr_workitem_id 0
		.amdhsa_next_free_vgpr 1
		.amdhsa_next_free_sgpr 1
		.amdhsa_named_barrier_count 0
		.amdhsa_reserve_vcc 0
		.amdhsa_float_round_mode_32 0
		.amdhsa_float_round_mode_16_64 0
		.amdhsa_float_denorm_mode_32 3
		.amdhsa_float_denorm_mode_16_64 3
		.amdhsa_fp16_overflow 0
		.amdhsa_memory_ordered 1
		.amdhsa_forward_progress 1
		.amdhsa_inst_pref_size 0
		.amdhsa_round_robin_scheduling 0
		.amdhsa_exception_fp_ieee_invalid_op 0
		.amdhsa_exception_fp_denorm_src 0
		.amdhsa_exception_fp_ieee_div_zero 0
		.amdhsa_exception_fp_ieee_overflow 0
		.amdhsa_exception_fp_ieee_underflow 0
		.amdhsa_exception_fp_ieee_inexact 0
		.amdhsa_exception_int_div_zero 0
	.end_amdhsa_kernel
	.section	.text._ZN7rocprim17ROCPRIM_400000_NS6detail17trampoline_kernelINS0_14default_configENS1_38merge_sort_block_merge_config_selectorIlNS0_10empty_typeEEEZZNS1_27merge_sort_block_merge_implIS3_PlPS5_mZN2at6native12_GLOBAL__N_124unique_dim_cuda_templateIiEESt5tupleIJNSA_6TensorESF_SF_EERKSF_lbbbEUlllE_EE10hipError_tT0_T1_T2_jT3_P12ihipStream_tbPNSt15iterator_traitsISL_E10value_typeEPNSR_ISM_E10value_typeEPSN_NS1_7vsmem_tEENKUlT_SL_SM_SN_E_clIS8_S8_S9_S9_EESK_S10_SL_SM_SN_EUlS10_E1_NS1_11comp_targetILNS1_3genE10ELNS1_11target_archE1201ELNS1_3gpuE5ELNS1_3repE0EEENS1_36merge_oddeven_config_static_selectorELNS0_4arch9wavefront6targetE0EEEvSM_,"axG",@progbits,_ZN7rocprim17ROCPRIM_400000_NS6detail17trampoline_kernelINS0_14default_configENS1_38merge_sort_block_merge_config_selectorIlNS0_10empty_typeEEEZZNS1_27merge_sort_block_merge_implIS3_PlPS5_mZN2at6native12_GLOBAL__N_124unique_dim_cuda_templateIiEESt5tupleIJNSA_6TensorESF_SF_EERKSF_lbbbEUlllE_EE10hipError_tT0_T1_T2_jT3_P12ihipStream_tbPNSt15iterator_traitsISL_E10value_typeEPNSR_ISM_E10value_typeEPSN_NS1_7vsmem_tEENKUlT_SL_SM_SN_E_clIS8_S8_S9_S9_EESK_S10_SL_SM_SN_EUlS10_E1_NS1_11comp_targetILNS1_3genE10ELNS1_11target_archE1201ELNS1_3gpuE5ELNS1_3repE0EEENS1_36merge_oddeven_config_static_selectorELNS0_4arch9wavefront6targetE0EEEvSM_,comdat
.Lfunc_end409:
	.size	_ZN7rocprim17ROCPRIM_400000_NS6detail17trampoline_kernelINS0_14default_configENS1_38merge_sort_block_merge_config_selectorIlNS0_10empty_typeEEEZZNS1_27merge_sort_block_merge_implIS3_PlPS5_mZN2at6native12_GLOBAL__N_124unique_dim_cuda_templateIiEESt5tupleIJNSA_6TensorESF_SF_EERKSF_lbbbEUlllE_EE10hipError_tT0_T1_T2_jT3_P12ihipStream_tbPNSt15iterator_traitsISL_E10value_typeEPNSR_ISM_E10value_typeEPSN_NS1_7vsmem_tEENKUlT_SL_SM_SN_E_clIS8_S8_S9_S9_EESK_S10_SL_SM_SN_EUlS10_E1_NS1_11comp_targetILNS1_3genE10ELNS1_11target_archE1201ELNS1_3gpuE5ELNS1_3repE0EEENS1_36merge_oddeven_config_static_selectorELNS0_4arch9wavefront6targetE0EEEvSM_, .Lfunc_end409-_ZN7rocprim17ROCPRIM_400000_NS6detail17trampoline_kernelINS0_14default_configENS1_38merge_sort_block_merge_config_selectorIlNS0_10empty_typeEEEZZNS1_27merge_sort_block_merge_implIS3_PlPS5_mZN2at6native12_GLOBAL__N_124unique_dim_cuda_templateIiEESt5tupleIJNSA_6TensorESF_SF_EERKSF_lbbbEUlllE_EE10hipError_tT0_T1_T2_jT3_P12ihipStream_tbPNSt15iterator_traitsISL_E10value_typeEPNSR_ISM_E10value_typeEPSN_NS1_7vsmem_tEENKUlT_SL_SM_SN_E_clIS8_S8_S9_S9_EESK_S10_SL_SM_SN_EUlS10_E1_NS1_11comp_targetILNS1_3genE10ELNS1_11target_archE1201ELNS1_3gpuE5ELNS1_3repE0EEENS1_36merge_oddeven_config_static_selectorELNS0_4arch9wavefront6targetE0EEEvSM_
                                        ; -- End function
	.set _ZN7rocprim17ROCPRIM_400000_NS6detail17trampoline_kernelINS0_14default_configENS1_38merge_sort_block_merge_config_selectorIlNS0_10empty_typeEEEZZNS1_27merge_sort_block_merge_implIS3_PlPS5_mZN2at6native12_GLOBAL__N_124unique_dim_cuda_templateIiEESt5tupleIJNSA_6TensorESF_SF_EERKSF_lbbbEUlllE_EE10hipError_tT0_T1_T2_jT3_P12ihipStream_tbPNSt15iterator_traitsISL_E10value_typeEPNSR_ISM_E10value_typeEPSN_NS1_7vsmem_tEENKUlT_SL_SM_SN_E_clIS8_S8_S9_S9_EESK_S10_SL_SM_SN_EUlS10_E1_NS1_11comp_targetILNS1_3genE10ELNS1_11target_archE1201ELNS1_3gpuE5ELNS1_3repE0EEENS1_36merge_oddeven_config_static_selectorELNS0_4arch9wavefront6targetE0EEEvSM_.num_vgpr, 0
	.set _ZN7rocprim17ROCPRIM_400000_NS6detail17trampoline_kernelINS0_14default_configENS1_38merge_sort_block_merge_config_selectorIlNS0_10empty_typeEEEZZNS1_27merge_sort_block_merge_implIS3_PlPS5_mZN2at6native12_GLOBAL__N_124unique_dim_cuda_templateIiEESt5tupleIJNSA_6TensorESF_SF_EERKSF_lbbbEUlllE_EE10hipError_tT0_T1_T2_jT3_P12ihipStream_tbPNSt15iterator_traitsISL_E10value_typeEPNSR_ISM_E10value_typeEPSN_NS1_7vsmem_tEENKUlT_SL_SM_SN_E_clIS8_S8_S9_S9_EESK_S10_SL_SM_SN_EUlS10_E1_NS1_11comp_targetILNS1_3genE10ELNS1_11target_archE1201ELNS1_3gpuE5ELNS1_3repE0EEENS1_36merge_oddeven_config_static_selectorELNS0_4arch9wavefront6targetE0EEEvSM_.num_agpr, 0
	.set _ZN7rocprim17ROCPRIM_400000_NS6detail17trampoline_kernelINS0_14default_configENS1_38merge_sort_block_merge_config_selectorIlNS0_10empty_typeEEEZZNS1_27merge_sort_block_merge_implIS3_PlPS5_mZN2at6native12_GLOBAL__N_124unique_dim_cuda_templateIiEESt5tupleIJNSA_6TensorESF_SF_EERKSF_lbbbEUlllE_EE10hipError_tT0_T1_T2_jT3_P12ihipStream_tbPNSt15iterator_traitsISL_E10value_typeEPNSR_ISM_E10value_typeEPSN_NS1_7vsmem_tEENKUlT_SL_SM_SN_E_clIS8_S8_S9_S9_EESK_S10_SL_SM_SN_EUlS10_E1_NS1_11comp_targetILNS1_3genE10ELNS1_11target_archE1201ELNS1_3gpuE5ELNS1_3repE0EEENS1_36merge_oddeven_config_static_selectorELNS0_4arch9wavefront6targetE0EEEvSM_.numbered_sgpr, 0
	.set _ZN7rocprim17ROCPRIM_400000_NS6detail17trampoline_kernelINS0_14default_configENS1_38merge_sort_block_merge_config_selectorIlNS0_10empty_typeEEEZZNS1_27merge_sort_block_merge_implIS3_PlPS5_mZN2at6native12_GLOBAL__N_124unique_dim_cuda_templateIiEESt5tupleIJNSA_6TensorESF_SF_EERKSF_lbbbEUlllE_EE10hipError_tT0_T1_T2_jT3_P12ihipStream_tbPNSt15iterator_traitsISL_E10value_typeEPNSR_ISM_E10value_typeEPSN_NS1_7vsmem_tEENKUlT_SL_SM_SN_E_clIS8_S8_S9_S9_EESK_S10_SL_SM_SN_EUlS10_E1_NS1_11comp_targetILNS1_3genE10ELNS1_11target_archE1201ELNS1_3gpuE5ELNS1_3repE0EEENS1_36merge_oddeven_config_static_selectorELNS0_4arch9wavefront6targetE0EEEvSM_.num_named_barrier, 0
	.set _ZN7rocprim17ROCPRIM_400000_NS6detail17trampoline_kernelINS0_14default_configENS1_38merge_sort_block_merge_config_selectorIlNS0_10empty_typeEEEZZNS1_27merge_sort_block_merge_implIS3_PlPS5_mZN2at6native12_GLOBAL__N_124unique_dim_cuda_templateIiEESt5tupleIJNSA_6TensorESF_SF_EERKSF_lbbbEUlllE_EE10hipError_tT0_T1_T2_jT3_P12ihipStream_tbPNSt15iterator_traitsISL_E10value_typeEPNSR_ISM_E10value_typeEPSN_NS1_7vsmem_tEENKUlT_SL_SM_SN_E_clIS8_S8_S9_S9_EESK_S10_SL_SM_SN_EUlS10_E1_NS1_11comp_targetILNS1_3genE10ELNS1_11target_archE1201ELNS1_3gpuE5ELNS1_3repE0EEENS1_36merge_oddeven_config_static_selectorELNS0_4arch9wavefront6targetE0EEEvSM_.private_seg_size, 0
	.set _ZN7rocprim17ROCPRIM_400000_NS6detail17trampoline_kernelINS0_14default_configENS1_38merge_sort_block_merge_config_selectorIlNS0_10empty_typeEEEZZNS1_27merge_sort_block_merge_implIS3_PlPS5_mZN2at6native12_GLOBAL__N_124unique_dim_cuda_templateIiEESt5tupleIJNSA_6TensorESF_SF_EERKSF_lbbbEUlllE_EE10hipError_tT0_T1_T2_jT3_P12ihipStream_tbPNSt15iterator_traitsISL_E10value_typeEPNSR_ISM_E10value_typeEPSN_NS1_7vsmem_tEENKUlT_SL_SM_SN_E_clIS8_S8_S9_S9_EESK_S10_SL_SM_SN_EUlS10_E1_NS1_11comp_targetILNS1_3genE10ELNS1_11target_archE1201ELNS1_3gpuE5ELNS1_3repE0EEENS1_36merge_oddeven_config_static_selectorELNS0_4arch9wavefront6targetE0EEEvSM_.uses_vcc, 0
	.set _ZN7rocprim17ROCPRIM_400000_NS6detail17trampoline_kernelINS0_14default_configENS1_38merge_sort_block_merge_config_selectorIlNS0_10empty_typeEEEZZNS1_27merge_sort_block_merge_implIS3_PlPS5_mZN2at6native12_GLOBAL__N_124unique_dim_cuda_templateIiEESt5tupleIJNSA_6TensorESF_SF_EERKSF_lbbbEUlllE_EE10hipError_tT0_T1_T2_jT3_P12ihipStream_tbPNSt15iterator_traitsISL_E10value_typeEPNSR_ISM_E10value_typeEPSN_NS1_7vsmem_tEENKUlT_SL_SM_SN_E_clIS8_S8_S9_S9_EESK_S10_SL_SM_SN_EUlS10_E1_NS1_11comp_targetILNS1_3genE10ELNS1_11target_archE1201ELNS1_3gpuE5ELNS1_3repE0EEENS1_36merge_oddeven_config_static_selectorELNS0_4arch9wavefront6targetE0EEEvSM_.uses_flat_scratch, 0
	.set _ZN7rocprim17ROCPRIM_400000_NS6detail17trampoline_kernelINS0_14default_configENS1_38merge_sort_block_merge_config_selectorIlNS0_10empty_typeEEEZZNS1_27merge_sort_block_merge_implIS3_PlPS5_mZN2at6native12_GLOBAL__N_124unique_dim_cuda_templateIiEESt5tupleIJNSA_6TensorESF_SF_EERKSF_lbbbEUlllE_EE10hipError_tT0_T1_T2_jT3_P12ihipStream_tbPNSt15iterator_traitsISL_E10value_typeEPNSR_ISM_E10value_typeEPSN_NS1_7vsmem_tEENKUlT_SL_SM_SN_E_clIS8_S8_S9_S9_EESK_S10_SL_SM_SN_EUlS10_E1_NS1_11comp_targetILNS1_3genE10ELNS1_11target_archE1201ELNS1_3gpuE5ELNS1_3repE0EEENS1_36merge_oddeven_config_static_selectorELNS0_4arch9wavefront6targetE0EEEvSM_.has_dyn_sized_stack, 0
	.set _ZN7rocprim17ROCPRIM_400000_NS6detail17trampoline_kernelINS0_14default_configENS1_38merge_sort_block_merge_config_selectorIlNS0_10empty_typeEEEZZNS1_27merge_sort_block_merge_implIS3_PlPS5_mZN2at6native12_GLOBAL__N_124unique_dim_cuda_templateIiEESt5tupleIJNSA_6TensorESF_SF_EERKSF_lbbbEUlllE_EE10hipError_tT0_T1_T2_jT3_P12ihipStream_tbPNSt15iterator_traitsISL_E10value_typeEPNSR_ISM_E10value_typeEPSN_NS1_7vsmem_tEENKUlT_SL_SM_SN_E_clIS8_S8_S9_S9_EESK_S10_SL_SM_SN_EUlS10_E1_NS1_11comp_targetILNS1_3genE10ELNS1_11target_archE1201ELNS1_3gpuE5ELNS1_3repE0EEENS1_36merge_oddeven_config_static_selectorELNS0_4arch9wavefront6targetE0EEEvSM_.has_recursion, 0
	.set _ZN7rocprim17ROCPRIM_400000_NS6detail17trampoline_kernelINS0_14default_configENS1_38merge_sort_block_merge_config_selectorIlNS0_10empty_typeEEEZZNS1_27merge_sort_block_merge_implIS3_PlPS5_mZN2at6native12_GLOBAL__N_124unique_dim_cuda_templateIiEESt5tupleIJNSA_6TensorESF_SF_EERKSF_lbbbEUlllE_EE10hipError_tT0_T1_T2_jT3_P12ihipStream_tbPNSt15iterator_traitsISL_E10value_typeEPNSR_ISM_E10value_typeEPSN_NS1_7vsmem_tEENKUlT_SL_SM_SN_E_clIS8_S8_S9_S9_EESK_S10_SL_SM_SN_EUlS10_E1_NS1_11comp_targetILNS1_3genE10ELNS1_11target_archE1201ELNS1_3gpuE5ELNS1_3repE0EEENS1_36merge_oddeven_config_static_selectorELNS0_4arch9wavefront6targetE0EEEvSM_.has_indirect_call, 0
	.section	.AMDGPU.csdata,"",@progbits
; Kernel info:
; codeLenInByte = 0
; TotalNumSgprs: 0
; NumVgprs: 0
; ScratchSize: 0
; MemoryBound: 0
; FloatMode: 240
; IeeeMode: 1
; LDSByteSize: 0 bytes/workgroup (compile time only)
; SGPRBlocks: 0
; VGPRBlocks: 0
; NumSGPRsForWavesPerEU: 1
; NumVGPRsForWavesPerEU: 1
; NamedBarCnt: 0
; Occupancy: 16
; WaveLimiterHint : 0
; COMPUTE_PGM_RSRC2:SCRATCH_EN: 0
; COMPUTE_PGM_RSRC2:USER_SGPR: 2
; COMPUTE_PGM_RSRC2:TRAP_HANDLER: 0
; COMPUTE_PGM_RSRC2:TGID_X_EN: 1
; COMPUTE_PGM_RSRC2:TGID_Y_EN: 0
; COMPUTE_PGM_RSRC2:TGID_Z_EN: 0
; COMPUTE_PGM_RSRC2:TIDIG_COMP_CNT: 0
	.section	.text._ZN7rocprim17ROCPRIM_400000_NS6detail17trampoline_kernelINS0_14default_configENS1_38merge_sort_block_merge_config_selectorIlNS0_10empty_typeEEEZZNS1_27merge_sort_block_merge_implIS3_PlPS5_mZN2at6native12_GLOBAL__N_124unique_dim_cuda_templateIiEESt5tupleIJNSA_6TensorESF_SF_EERKSF_lbbbEUlllE_EE10hipError_tT0_T1_T2_jT3_P12ihipStream_tbPNSt15iterator_traitsISL_E10value_typeEPNSR_ISM_E10value_typeEPSN_NS1_7vsmem_tEENKUlT_SL_SM_SN_E_clIS8_S8_S9_S9_EESK_S10_SL_SM_SN_EUlS10_E1_NS1_11comp_targetILNS1_3genE5ELNS1_11target_archE942ELNS1_3gpuE9ELNS1_3repE0EEENS1_36merge_oddeven_config_static_selectorELNS0_4arch9wavefront6targetE0EEEvSM_,"axG",@progbits,_ZN7rocprim17ROCPRIM_400000_NS6detail17trampoline_kernelINS0_14default_configENS1_38merge_sort_block_merge_config_selectorIlNS0_10empty_typeEEEZZNS1_27merge_sort_block_merge_implIS3_PlPS5_mZN2at6native12_GLOBAL__N_124unique_dim_cuda_templateIiEESt5tupleIJNSA_6TensorESF_SF_EERKSF_lbbbEUlllE_EE10hipError_tT0_T1_T2_jT3_P12ihipStream_tbPNSt15iterator_traitsISL_E10value_typeEPNSR_ISM_E10value_typeEPSN_NS1_7vsmem_tEENKUlT_SL_SM_SN_E_clIS8_S8_S9_S9_EESK_S10_SL_SM_SN_EUlS10_E1_NS1_11comp_targetILNS1_3genE5ELNS1_11target_archE942ELNS1_3gpuE9ELNS1_3repE0EEENS1_36merge_oddeven_config_static_selectorELNS0_4arch9wavefront6targetE0EEEvSM_,comdat
	.globl	_ZN7rocprim17ROCPRIM_400000_NS6detail17trampoline_kernelINS0_14default_configENS1_38merge_sort_block_merge_config_selectorIlNS0_10empty_typeEEEZZNS1_27merge_sort_block_merge_implIS3_PlPS5_mZN2at6native12_GLOBAL__N_124unique_dim_cuda_templateIiEESt5tupleIJNSA_6TensorESF_SF_EERKSF_lbbbEUlllE_EE10hipError_tT0_T1_T2_jT3_P12ihipStream_tbPNSt15iterator_traitsISL_E10value_typeEPNSR_ISM_E10value_typeEPSN_NS1_7vsmem_tEENKUlT_SL_SM_SN_E_clIS8_S8_S9_S9_EESK_S10_SL_SM_SN_EUlS10_E1_NS1_11comp_targetILNS1_3genE5ELNS1_11target_archE942ELNS1_3gpuE9ELNS1_3repE0EEENS1_36merge_oddeven_config_static_selectorELNS0_4arch9wavefront6targetE0EEEvSM_ ; -- Begin function _ZN7rocprim17ROCPRIM_400000_NS6detail17trampoline_kernelINS0_14default_configENS1_38merge_sort_block_merge_config_selectorIlNS0_10empty_typeEEEZZNS1_27merge_sort_block_merge_implIS3_PlPS5_mZN2at6native12_GLOBAL__N_124unique_dim_cuda_templateIiEESt5tupleIJNSA_6TensorESF_SF_EERKSF_lbbbEUlllE_EE10hipError_tT0_T1_T2_jT3_P12ihipStream_tbPNSt15iterator_traitsISL_E10value_typeEPNSR_ISM_E10value_typeEPSN_NS1_7vsmem_tEENKUlT_SL_SM_SN_E_clIS8_S8_S9_S9_EESK_S10_SL_SM_SN_EUlS10_E1_NS1_11comp_targetILNS1_3genE5ELNS1_11target_archE942ELNS1_3gpuE9ELNS1_3repE0EEENS1_36merge_oddeven_config_static_selectorELNS0_4arch9wavefront6targetE0EEEvSM_
	.p2align	8
	.type	_ZN7rocprim17ROCPRIM_400000_NS6detail17trampoline_kernelINS0_14default_configENS1_38merge_sort_block_merge_config_selectorIlNS0_10empty_typeEEEZZNS1_27merge_sort_block_merge_implIS3_PlPS5_mZN2at6native12_GLOBAL__N_124unique_dim_cuda_templateIiEESt5tupleIJNSA_6TensorESF_SF_EERKSF_lbbbEUlllE_EE10hipError_tT0_T1_T2_jT3_P12ihipStream_tbPNSt15iterator_traitsISL_E10value_typeEPNSR_ISM_E10value_typeEPSN_NS1_7vsmem_tEENKUlT_SL_SM_SN_E_clIS8_S8_S9_S9_EESK_S10_SL_SM_SN_EUlS10_E1_NS1_11comp_targetILNS1_3genE5ELNS1_11target_archE942ELNS1_3gpuE9ELNS1_3repE0EEENS1_36merge_oddeven_config_static_selectorELNS0_4arch9wavefront6targetE0EEEvSM_,@function
_ZN7rocprim17ROCPRIM_400000_NS6detail17trampoline_kernelINS0_14default_configENS1_38merge_sort_block_merge_config_selectorIlNS0_10empty_typeEEEZZNS1_27merge_sort_block_merge_implIS3_PlPS5_mZN2at6native12_GLOBAL__N_124unique_dim_cuda_templateIiEESt5tupleIJNSA_6TensorESF_SF_EERKSF_lbbbEUlllE_EE10hipError_tT0_T1_T2_jT3_P12ihipStream_tbPNSt15iterator_traitsISL_E10value_typeEPNSR_ISM_E10value_typeEPSN_NS1_7vsmem_tEENKUlT_SL_SM_SN_E_clIS8_S8_S9_S9_EESK_S10_SL_SM_SN_EUlS10_E1_NS1_11comp_targetILNS1_3genE5ELNS1_11target_archE942ELNS1_3gpuE9ELNS1_3repE0EEENS1_36merge_oddeven_config_static_selectorELNS0_4arch9wavefront6targetE0EEEvSM_: ; @_ZN7rocprim17ROCPRIM_400000_NS6detail17trampoline_kernelINS0_14default_configENS1_38merge_sort_block_merge_config_selectorIlNS0_10empty_typeEEEZZNS1_27merge_sort_block_merge_implIS3_PlPS5_mZN2at6native12_GLOBAL__N_124unique_dim_cuda_templateIiEESt5tupleIJNSA_6TensorESF_SF_EERKSF_lbbbEUlllE_EE10hipError_tT0_T1_T2_jT3_P12ihipStream_tbPNSt15iterator_traitsISL_E10value_typeEPNSR_ISM_E10value_typeEPSN_NS1_7vsmem_tEENKUlT_SL_SM_SN_E_clIS8_S8_S9_S9_EESK_S10_SL_SM_SN_EUlS10_E1_NS1_11comp_targetILNS1_3genE5ELNS1_11target_archE942ELNS1_3gpuE9ELNS1_3repE0EEENS1_36merge_oddeven_config_static_selectorELNS0_4arch9wavefront6targetE0EEEvSM_
; %bb.0:
	.section	.rodata,"a",@progbits
	.p2align	6, 0x0
	.amdhsa_kernel _ZN7rocprim17ROCPRIM_400000_NS6detail17trampoline_kernelINS0_14default_configENS1_38merge_sort_block_merge_config_selectorIlNS0_10empty_typeEEEZZNS1_27merge_sort_block_merge_implIS3_PlPS5_mZN2at6native12_GLOBAL__N_124unique_dim_cuda_templateIiEESt5tupleIJNSA_6TensorESF_SF_EERKSF_lbbbEUlllE_EE10hipError_tT0_T1_T2_jT3_P12ihipStream_tbPNSt15iterator_traitsISL_E10value_typeEPNSR_ISM_E10value_typeEPSN_NS1_7vsmem_tEENKUlT_SL_SM_SN_E_clIS8_S8_S9_S9_EESK_S10_SL_SM_SN_EUlS10_E1_NS1_11comp_targetILNS1_3genE5ELNS1_11target_archE942ELNS1_3gpuE9ELNS1_3repE0EEENS1_36merge_oddeven_config_static_selectorELNS0_4arch9wavefront6targetE0EEEvSM_
		.amdhsa_group_segment_fixed_size 0
		.amdhsa_private_segment_fixed_size 0
		.amdhsa_kernarg_size 64
		.amdhsa_user_sgpr_count 2
		.amdhsa_user_sgpr_dispatch_ptr 0
		.amdhsa_user_sgpr_queue_ptr 0
		.amdhsa_user_sgpr_kernarg_segment_ptr 1
		.amdhsa_user_sgpr_dispatch_id 0
		.amdhsa_user_sgpr_kernarg_preload_length 0
		.amdhsa_user_sgpr_kernarg_preload_offset 0
		.amdhsa_user_sgpr_private_segment_size 0
		.amdhsa_wavefront_size32 1
		.amdhsa_uses_dynamic_stack 0
		.amdhsa_enable_private_segment 0
		.amdhsa_system_sgpr_workgroup_id_x 1
		.amdhsa_system_sgpr_workgroup_id_y 0
		.amdhsa_system_sgpr_workgroup_id_z 0
		.amdhsa_system_sgpr_workgroup_info 0
		.amdhsa_system_vgpr_workitem_id 0
		.amdhsa_next_free_vgpr 1
		.amdhsa_next_free_sgpr 1
		.amdhsa_named_barrier_count 0
		.amdhsa_reserve_vcc 0
		.amdhsa_float_round_mode_32 0
		.amdhsa_float_round_mode_16_64 0
		.amdhsa_float_denorm_mode_32 3
		.amdhsa_float_denorm_mode_16_64 3
		.amdhsa_fp16_overflow 0
		.amdhsa_memory_ordered 1
		.amdhsa_forward_progress 1
		.amdhsa_inst_pref_size 0
		.amdhsa_round_robin_scheduling 0
		.amdhsa_exception_fp_ieee_invalid_op 0
		.amdhsa_exception_fp_denorm_src 0
		.amdhsa_exception_fp_ieee_div_zero 0
		.amdhsa_exception_fp_ieee_overflow 0
		.amdhsa_exception_fp_ieee_underflow 0
		.amdhsa_exception_fp_ieee_inexact 0
		.amdhsa_exception_int_div_zero 0
	.end_amdhsa_kernel
	.section	.text._ZN7rocprim17ROCPRIM_400000_NS6detail17trampoline_kernelINS0_14default_configENS1_38merge_sort_block_merge_config_selectorIlNS0_10empty_typeEEEZZNS1_27merge_sort_block_merge_implIS3_PlPS5_mZN2at6native12_GLOBAL__N_124unique_dim_cuda_templateIiEESt5tupleIJNSA_6TensorESF_SF_EERKSF_lbbbEUlllE_EE10hipError_tT0_T1_T2_jT3_P12ihipStream_tbPNSt15iterator_traitsISL_E10value_typeEPNSR_ISM_E10value_typeEPSN_NS1_7vsmem_tEENKUlT_SL_SM_SN_E_clIS8_S8_S9_S9_EESK_S10_SL_SM_SN_EUlS10_E1_NS1_11comp_targetILNS1_3genE5ELNS1_11target_archE942ELNS1_3gpuE9ELNS1_3repE0EEENS1_36merge_oddeven_config_static_selectorELNS0_4arch9wavefront6targetE0EEEvSM_,"axG",@progbits,_ZN7rocprim17ROCPRIM_400000_NS6detail17trampoline_kernelINS0_14default_configENS1_38merge_sort_block_merge_config_selectorIlNS0_10empty_typeEEEZZNS1_27merge_sort_block_merge_implIS3_PlPS5_mZN2at6native12_GLOBAL__N_124unique_dim_cuda_templateIiEESt5tupleIJNSA_6TensorESF_SF_EERKSF_lbbbEUlllE_EE10hipError_tT0_T1_T2_jT3_P12ihipStream_tbPNSt15iterator_traitsISL_E10value_typeEPNSR_ISM_E10value_typeEPSN_NS1_7vsmem_tEENKUlT_SL_SM_SN_E_clIS8_S8_S9_S9_EESK_S10_SL_SM_SN_EUlS10_E1_NS1_11comp_targetILNS1_3genE5ELNS1_11target_archE942ELNS1_3gpuE9ELNS1_3repE0EEENS1_36merge_oddeven_config_static_selectorELNS0_4arch9wavefront6targetE0EEEvSM_,comdat
.Lfunc_end410:
	.size	_ZN7rocprim17ROCPRIM_400000_NS6detail17trampoline_kernelINS0_14default_configENS1_38merge_sort_block_merge_config_selectorIlNS0_10empty_typeEEEZZNS1_27merge_sort_block_merge_implIS3_PlPS5_mZN2at6native12_GLOBAL__N_124unique_dim_cuda_templateIiEESt5tupleIJNSA_6TensorESF_SF_EERKSF_lbbbEUlllE_EE10hipError_tT0_T1_T2_jT3_P12ihipStream_tbPNSt15iterator_traitsISL_E10value_typeEPNSR_ISM_E10value_typeEPSN_NS1_7vsmem_tEENKUlT_SL_SM_SN_E_clIS8_S8_S9_S9_EESK_S10_SL_SM_SN_EUlS10_E1_NS1_11comp_targetILNS1_3genE5ELNS1_11target_archE942ELNS1_3gpuE9ELNS1_3repE0EEENS1_36merge_oddeven_config_static_selectorELNS0_4arch9wavefront6targetE0EEEvSM_, .Lfunc_end410-_ZN7rocprim17ROCPRIM_400000_NS6detail17trampoline_kernelINS0_14default_configENS1_38merge_sort_block_merge_config_selectorIlNS0_10empty_typeEEEZZNS1_27merge_sort_block_merge_implIS3_PlPS5_mZN2at6native12_GLOBAL__N_124unique_dim_cuda_templateIiEESt5tupleIJNSA_6TensorESF_SF_EERKSF_lbbbEUlllE_EE10hipError_tT0_T1_T2_jT3_P12ihipStream_tbPNSt15iterator_traitsISL_E10value_typeEPNSR_ISM_E10value_typeEPSN_NS1_7vsmem_tEENKUlT_SL_SM_SN_E_clIS8_S8_S9_S9_EESK_S10_SL_SM_SN_EUlS10_E1_NS1_11comp_targetILNS1_3genE5ELNS1_11target_archE942ELNS1_3gpuE9ELNS1_3repE0EEENS1_36merge_oddeven_config_static_selectorELNS0_4arch9wavefront6targetE0EEEvSM_
                                        ; -- End function
	.set _ZN7rocprim17ROCPRIM_400000_NS6detail17trampoline_kernelINS0_14default_configENS1_38merge_sort_block_merge_config_selectorIlNS0_10empty_typeEEEZZNS1_27merge_sort_block_merge_implIS3_PlPS5_mZN2at6native12_GLOBAL__N_124unique_dim_cuda_templateIiEESt5tupleIJNSA_6TensorESF_SF_EERKSF_lbbbEUlllE_EE10hipError_tT0_T1_T2_jT3_P12ihipStream_tbPNSt15iterator_traitsISL_E10value_typeEPNSR_ISM_E10value_typeEPSN_NS1_7vsmem_tEENKUlT_SL_SM_SN_E_clIS8_S8_S9_S9_EESK_S10_SL_SM_SN_EUlS10_E1_NS1_11comp_targetILNS1_3genE5ELNS1_11target_archE942ELNS1_3gpuE9ELNS1_3repE0EEENS1_36merge_oddeven_config_static_selectorELNS0_4arch9wavefront6targetE0EEEvSM_.num_vgpr, 0
	.set _ZN7rocprim17ROCPRIM_400000_NS6detail17trampoline_kernelINS0_14default_configENS1_38merge_sort_block_merge_config_selectorIlNS0_10empty_typeEEEZZNS1_27merge_sort_block_merge_implIS3_PlPS5_mZN2at6native12_GLOBAL__N_124unique_dim_cuda_templateIiEESt5tupleIJNSA_6TensorESF_SF_EERKSF_lbbbEUlllE_EE10hipError_tT0_T1_T2_jT3_P12ihipStream_tbPNSt15iterator_traitsISL_E10value_typeEPNSR_ISM_E10value_typeEPSN_NS1_7vsmem_tEENKUlT_SL_SM_SN_E_clIS8_S8_S9_S9_EESK_S10_SL_SM_SN_EUlS10_E1_NS1_11comp_targetILNS1_3genE5ELNS1_11target_archE942ELNS1_3gpuE9ELNS1_3repE0EEENS1_36merge_oddeven_config_static_selectorELNS0_4arch9wavefront6targetE0EEEvSM_.num_agpr, 0
	.set _ZN7rocprim17ROCPRIM_400000_NS6detail17trampoline_kernelINS0_14default_configENS1_38merge_sort_block_merge_config_selectorIlNS0_10empty_typeEEEZZNS1_27merge_sort_block_merge_implIS3_PlPS5_mZN2at6native12_GLOBAL__N_124unique_dim_cuda_templateIiEESt5tupleIJNSA_6TensorESF_SF_EERKSF_lbbbEUlllE_EE10hipError_tT0_T1_T2_jT3_P12ihipStream_tbPNSt15iterator_traitsISL_E10value_typeEPNSR_ISM_E10value_typeEPSN_NS1_7vsmem_tEENKUlT_SL_SM_SN_E_clIS8_S8_S9_S9_EESK_S10_SL_SM_SN_EUlS10_E1_NS1_11comp_targetILNS1_3genE5ELNS1_11target_archE942ELNS1_3gpuE9ELNS1_3repE0EEENS1_36merge_oddeven_config_static_selectorELNS0_4arch9wavefront6targetE0EEEvSM_.numbered_sgpr, 0
	.set _ZN7rocprim17ROCPRIM_400000_NS6detail17trampoline_kernelINS0_14default_configENS1_38merge_sort_block_merge_config_selectorIlNS0_10empty_typeEEEZZNS1_27merge_sort_block_merge_implIS3_PlPS5_mZN2at6native12_GLOBAL__N_124unique_dim_cuda_templateIiEESt5tupleIJNSA_6TensorESF_SF_EERKSF_lbbbEUlllE_EE10hipError_tT0_T1_T2_jT3_P12ihipStream_tbPNSt15iterator_traitsISL_E10value_typeEPNSR_ISM_E10value_typeEPSN_NS1_7vsmem_tEENKUlT_SL_SM_SN_E_clIS8_S8_S9_S9_EESK_S10_SL_SM_SN_EUlS10_E1_NS1_11comp_targetILNS1_3genE5ELNS1_11target_archE942ELNS1_3gpuE9ELNS1_3repE0EEENS1_36merge_oddeven_config_static_selectorELNS0_4arch9wavefront6targetE0EEEvSM_.num_named_barrier, 0
	.set _ZN7rocprim17ROCPRIM_400000_NS6detail17trampoline_kernelINS0_14default_configENS1_38merge_sort_block_merge_config_selectorIlNS0_10empty_typeEEEZZNS1_27merge_sort_block_merge_implIS3_PlPS5_mZN2at6native12_GLOBAL__N_124unique_dim_cuda_templateIiEESt5tupleIJNSA_6TensorESF_SF_EERKSF_lbbbEUlllE_EE10hipError_tT0_T1_T2_jT3_P12ihipStream_tbPNSt15iterator_traitsISL_E10value_typeEPNSR_ISM_E10value_typeEPSN_NS1_7vsmem_tEENKUlT_SL_SM_SN_E_clIS8_S8_S9_S9_EESK_S10_SL_SM_SN_EUlS10_E1_NS1_11comp_targetILNS1_3genE5ELNS1_11target_archE942ELNS1_3gpuE9ELNS1_3repE0EEENS1_36merge_oddeven_config_static_selectorELNS0_4arch9wavefront6targetE0EEEvSM_.private_seg_size, 0
	.set _ZN7rocprim17ROCPRIM_400000_NS6detail17trampoline_kernelINS0_14default_configENS1_38merge_sort_block_merge_config_selectorIlNS0_10empty_typeEEEZZNS1_27merge_sort_block_merge_implIS3_PlPS5_mZN2at6native12_GLOBAL__N_124unique_dim_cuda_templateIiEESt5tupleIJNSA_6TensorESF_SF_EERKSF_lbbbEUlllE_EE10hipError_tT0_T1_T2_jT3_P12ihipStream_tbPNSt15iterator_traitsISL_E10value_typeEPNSR_ISM_E10value_typeEPSN_NS1_7vsmem_tEENKUlT_SL_SM_SN_E_clIS8_S8_S9_S9_EESK_S10_SL_SM_SN_EUlS10_E1_NS1_11comp_targetILNS1_3genE5ELNS1_11target_archE942ELNS1_3gpuE9ELNS1_3repE0EEENS1_36merge_oddeven_config_static_selectorELNS0_4arch9wavefront6targetE0EEEvSM_.uses_vcc, 0
	.set _ZN7rocprim17ROCPRIM_400000_NS6detail17trampoline_kernelINS0_14default_configENS1_38merge_sort_block_merge_config_selectorIlNS0_10empty_typeEEEZZNS1_27merge_sort_block_merge_implIS3_PlPS5_mZN2at6native12_GLOBAL__N_124unique_dim_cuda_templateIiEESt5tupleIJNSA_6TensorESF_SF_EERKSF_lbbbEUlllE_EE10hipError_tT0_T1_T2_jT3_P12ihipStream_tbPNSt15iterator_traitsISL_E10value_typeEPNSR_ISM_E10value_typeEPSN_NS1_7vsmem_tEENKUlT_SL_SM_SN_E_clIS8_S8_S9_S9_EESK_S10_SL_SM_SN_EUlS10_E1_NS1_11comp_targetILNS1_3genE5ELNS1_11target_archE942ELNS1_3gpuE9ELNS1_3repE0EEENS1_36merge_oddeven_config_static_selectorELNS0_4arch9wavefront6targetE0EEEvSM_.uses_flat_scratch, 0
	.set _ZN7rocprim17ROCPRIM_400000_NS6detail17trampoline_kernelINS0_14default_configENS1_38merge_sort_block_merge_config_selectorIlNS0_10empty_typeEEEZZNS1_27merge_sort_block_merge_implIS3_PlPS5_mZN2at6native12_GLOBAL__N_124unique_dim_cuda_templateIiEESt5tupleIJNSA_6TensorESF_SF_EERKSF_lbbbEUlllE_EE10hipError_tT0_T1_T2_jT3_P12ihipStream_tbPNSt15iterator_traitsISL_E10value_typeEPNSR_ISM_E10value_typeEPSN_NS1_7vsmem_tEENKUlT_SL_SM_SN_E_clIS8_S8_S9_S9_EESK_S10_SL_SM_SN_EUlS10_E1_NS1_11comp_targetILNS1_3genE5ELNS1_11target_archE942ELNS1_3gpuE9ELNS1_3repE0EEENS1_36merge_oddeven_config_static_selectorELNS0_4arch9wavefront6targetE0EEEvSM_.has_dyn_sized_stack, 0
	.set _ZN7rocprim17ROCPRIM_400000_NS6detail17trampoline_kernelINS0_14default_configENS1_38merge_sort_block_merge_config_selectorIlNS0_10empty_typeEEEZZNS1_27merge_sort_block_merge_implIS3_PlPS5_mZN2at6native12_GLOBAL__N_124unique_dim_cuda_templateIiEESt5tupleIJNSA_6TensorESF_SF_EERKSF_lbbbEUlllE_EE10hipError_tT0_T1_T2_jT3_P12ihipStream_tbPNSt15iterator_traitsISL_E10value_typeEPNSR_ISM_E10value_typeEPSN_NS1_7vsmem_tEENKUlT_SL_SM_SN_E_clIS8_S8_S9_S9_EESK_S10_SL_SM_SN_EUlS10_E1_NS1_11comp_targetILNS1_3genE5ELNS1_11target_archE942ELNS1_3gpuE9ELNS1_3repE0EEENS1_36merge_oddeven_config_static_selectorELNS0_4arch9wavefront6targetE0EEEvSM_.has_recursion, 0
	.set _ZN7rocprim17ROCPRIM_400000_NS6detail17trampoline_kernelINS0_14default_configENS1_38merge_sort_block_merge_config_selectorIlNS0_10empty_typeEEEZZNS1_27merge_sort_block_merge_implIS3_PlPS5_mZN2at6native12_GLOBAL__N_124unique_dim_cuda_templateIiEESt5tupleIJNSA_6TensorESF_SF_EERKSF_lbbbEUlllE_EE10hipError_tT0_T1_T2_jT3_P12ihipStream_tbPNSt15iterator_traitsISL_E10value_typeEPNSR_ISM_E10value_typeEPSN_NS1_7vsmem_tEENKUlT_SL_SM_SN_E_clIS8_S8_S9_S9_EESK_S10_SL_SM_SN_EUlS10_E1_NS1_11comp_targetILNS1_3genE5ELNS1_11target_archE942ELNS1_3gpuE9ELNS1_3repE0EEENS1_36merge_oddeven_config_static_selectorELNS0_4arch9wavefront6targetE0EEEvSM_.has_indirect_call, 0
	.section	.AMDGPU.csdata,"",@progbits
; Kernel info:
; codeLenInByte = 0
; TotalNumSgprs: 0
; NumVgprs: 0
; ScratchSize: 0
; MemoryBound: 0
; FloatMode: 240
; IeeeMode: 1
; LDSByteSize: 0 bytes/workgroup (compile time only)
; SGPRBlocks: 0
; VGPRBlocks: 0
; NumSGPRsForWavesPerEU: 1
; NumVGPRsForWavesPerEU: 1
; NamedBarCnt: 0
; Occupancy: 16
; WaveLimiterHint : 0
; COMPUTE_PGM_RSRC2:SCRATCH_EN: 0
; COMPUTE_PGM_RSRC2:USER_SGPR: 2
; COMPUTE_PGM_RSRC2:TRAP_HANDLER: 0
; COMPUTE_PGM_RSRC2:TGID_X_EN: 1
; COMPUTE_PGM_RSRC2:TGID_Y_EN: 0
; COMPUTE_PGM_RSRC2:TGID_Z_EN: 0
; COMPUTE_PGM_RSRC2:TIDIG_COMP_CNT: 0
	.section	.text._ZN7rocprim17ROCPRIM_400000_NS6detail17trampoline_kernelINS0_14default_configENS1_38merge_sort_block_merge_config_selectorIlNS0_10empty_typeEEEZZNS1_27merge_sort_block_merge_implIS3_PlPS5_mZN2at6native12_GLOBAL__N_124unique_dim_cuda_templateIiEESt5tupleIJNSA_6TensorESF_SF_EERKSF_lbbbEUlllE_EE10hipError_tT0_T1_T2_jT3_P12ihipStream_tbPNSt15iterator_traitsISL_E10value_typeEPNSR_ISM_E10value_typeEPSN_NS1_7vsmem_tEENKUlT_SL_SM_SN_E_clIS8_S8_S9_S9_EESK_S10_SL_SM_SN_EUlS10_E1_NS1_11comp_targetILNS1_3genE4ELNS1_11target_archE910ELNS1_3gpuE8ELNS1_3repE0EEENS1_36merge_oddeven_config_static_selectorELNS0_4arch9wavefront6targetE0EEEvSM_,"axG",@progbits,_ZN7rocprim17ROCPRIM_400000_NS6detail17trampoline_kernelINS0_14default_configENS1_38merge_sort_block_merge_config_selectorIlNS0_10empty_typeEEEZZNS1_27merge_sort_block_merge_implIS3_PlPS5_mZN2at6native12_GLOBAL__N_124unique_dim_cuda_templateIiEESt5tupleIJNSA_6TensorESF_SF_EERKSF_lbbbEUlllE_EE10hipError_tT0_T1_T2_jT3_P12ihipStream_tbPNSt15iterator_traitsISL_E10value_typeEPNSR_ISM_E10value_typeEPSN_NS1_7vsmem_tEENKUlT_SL_SM_SN_E_clIS8_S8_S9_S9_EESK_S10_SL_SM_SN_EUlS10_E1_NS1_11comp_targetILNS1_3genE4ELNS1_11target_archE910ELNS1_3gpuE8ELNS1_3repE0EEENS1_36merge_oddeven_config_static_selectorELNS0_4arch9wavefront6targetE0EEEvSM_,comdat
	.globl	_ZN7rocprim17ROCPRIM_400000_NS6detail17trampoline_kernelINS0_14default_configENS1_38merge_sort_block_merge_config_selectorIlNS0_10empty_typeEEEZZNS1_27merge_sort_block_merge_implIS3_PlPS5_mZN2at6native12_GLOBAL__N_124unique_dim_cuda_templateIiEESt5tupleIJNSA_6TensorESF_SF_EERKSF_lbbbEUlllE_EE10hipError_tT0_T1_T2_jT3_P12ihipStream_tbPNSt15iterator_traitsISL_E10value_typeEPNSR_ISM_E10value_typeEPSN_NS1_7vsmem_tEENKUlT_SL_SM_SN_E_clIS8_S8_S9_S9_EESK_S10_SL_SM_SN_EUlS10_E1_NS1_11comp_targetILNS1_3genE4ELNS1_11target_archE910ELNS1_3gpuE8ELNS1_3repE0EEENS1_36merge_oddeven_config_static_selectorELNS0_4arch9wavefront6targetE0EEEvSM_ ; -- Begin function _ZN7rocprim17ROCPRIM_400000_NS6detail17trampoline_kernelINS0_14default_configENS1_38merge_sort_block_merge_config_selectorIlNS0_10empty_typeEEEZZNS1_27merge_sort_block_merge_implIS3_PlPS5_mZN2at6native12_GLOBAL__N_124unique_dim_cuda_templateIiEESt5tupleIJNSA_6TensorESF_SF_EERKSF_lbbbEUlllE_EE10hipError_tT0_T1_T2_jT3_P12ihipStream_tbPNSt15iterator_traitsISL_E10value_typeEPNSR_ISM_E10value_typeEPSN_NS1_7vsmem_tEENKUlT_SL_SM_SN_E_clIS8_S8_S9_S9_EESK_S10_SL_SM_SN_EUlS10_E1_NS1_11comp_targetILNS1_3genE4ELNS1_11target_archE910ELNS1_3gpuE8ELNS1_3repE0EEENS1_36merge_oddeven_config_static_selectorELNS0_4arch9wavefront6targetE0EEEvSM_
	.p2align	8
	.type	_ZN7rocprim17ROCPRIM_400000_NS6detail17trampoline_kernelINS0_14default_configENS1_38merge_sort_block_merge_config_selectorIlNS0_10empty_typeEEEZZNS1_27merge_sort_block_merge_implIS3_PlPS5_mZN2at6native12_GLOBAL__N_124unique_dim_cuda_templateIiEESt5tupleIJNSA_6TensorESF_SF_EERKSF_lbbbEUlllE_EE10hipError_tT0_T1_T2_jT3_P12ihipStream_tbPNSt15iterator_traitsISL_E10value_typeEPNSR_ISM_E10value_typeEPSN_NS1_7vsmem_tEENKUlT_SL_SM_SN_E_clIS8_S8_S9_S9_EESK_S10_SL_SM_SN_EUlS10_E1_NS1_11comp_targetILNS1_3genE4ELNS1_11target_archE910ELNS1_3gpuE8ELNS1_3repE0EEENS1_36merge_oddeven_config_static_selectorELNS0_4arch9wavefront6targetE0EEEvSM_,@function
_ZN7rocprim17ROCPRIM_400000_NS6detail17trampoline_kernelINS0_14default_configENS1_38merge_sort_block_merge_config_selectorIlNS0_10empty_typeEEEZZNS1_27merge_sort_block_merge_implIS3_PlPS5_mZN2at6native12_GLOBAL__N_124unique_dim_cuda_templateIiEESt5tupleIJNSA_6TensorESF_SF_EERKSF_lbbbEUlllE_EE10hipError_tT0_T1_T2_jT3_P12ihipStream_tbPNSt15iterator_traitsISL_E10value_typeEPNSR_ISM_E10value_typeEPSN_NS1_7vsmem_tEENKUlT_SL_SM_SN_E_clIS8_S8_S9_S9_EESK_S10_SL_SM_SN_EUlS10_E1_NS1_11comp_targetILNS1_3genE4ELNS1_11target_archE910ELNS1_3gpuE8ELNS1_3repE0EEENS1_36merge_oddeven_config_static_selectorELNS0_4arch9wavefront6targetE0EEEvSM_: ; @_ZN7rocprim17ROCPRIM_400000_NS6detail17trampoline_kernelINS0_14default_configENS1_38merge_sort_block_merge_config_selectorIlNS0_10empty_typeEEEZZNS1_27merge_sort_block_merge_implIS3_PlPS5_mZN2at6native12_GLOBAL__N_124unique_dim_cuda_templateIiEESt5tupleIJNSA_6TensorESF_SF_EERKSF_lbbbEUlllE_EE10hipError_tT0_T1_T2_jT3_P12ihipStream_tbPNSt15iterator_traitsISL_E10value_typeEPNSR_ISM_E10value_typeEPSN_NS1_7vsmem_tEENKUlT_SL_SM_SN_E_clIS8_S8_S9_S9_EESK_S10_SL_SM_SN_EUlS10_E1_NS1_11comp_targetILNS1_3genE4ELNS1_11target_archE910ELNS1_3gpuE8ELNS1_3repE0EEENS1_36merge_oddeven_config_static_selectorELNS0_4arch9wavefront6targetE0EEEvSM_
; %bb.0:
	.section	.rodata,"a",@progbits
	.p2align	6, 0x0
	.amdhsa_kernel _ZN7rocprim17ROCPRIM_400000_NS6detail17trampoline_kernelINS0_14default_configENS1_38merge_sort_block_merge_config_selectorIlNS0_10empty_typeEEEZZNS1_27merge_sort_block_merge_implIS3_PlPS5_mZN2at6native12_GLOBAL__N_124unique_dim_cuda_templateIiEESt5tupleIJNSA_6TensorESF_SF_EERKSF_lbbbEUlllE_EE10hipError_tT0_T1_T2_jT3_P12ihipStream_tbPNSt15iterator_traitsISL_E10value_typeEPNSR_ISM_E10value_typeEPSN_NS1_7vsmem_tEENKUlT_SL_SM_SN_E_clIS8_S8_S9_S9_EESK_S10_SL_SM_SN_EUlS10_E1_NS1_11comp_targetILNS1_3genE4ELNS1_11target_archE910ELNS1_3gpuE8ELNS1_3repE0EEENS1_36merge_oddeven_config_static_selectorELNS0_4arch9wavefront6targetE0EEEvSM_
		.amdhsa_group_segment_fixed_size 0
		.amdhsa_private_segment_fixed_size 0
		.amdhsa_kernarg_size 64
		.amdhsa_user_sgpr_count 2
		.amdhsa_user_sgpr_dispatch_ptr 0
		.amdhsa_user_sgpr_queue_ptr 0
		.amdhsa_user_sgpr_kernarg_segment_ptr 1
		.amdhsa_user_sgpr_dispatch_id 0
		.amdhsa_user_sgpr_kernarg_preload_length 0
		.amdhsa_user_sgpr_kernarg_preload_offset 0
		.amdhsa_user_sgpr_private_segment_size 0
		.amdhsa_wavefront_size32 1
		.amdhsa_uses_dynamic_stack 0
		.amdhsa_enable_private_segment 0
		.amdhsa_system_sgpr_workgroup_id_x 1
		.amdhsa_system_sgpr_workgroup_id_y 0
		.amdhsa_system_sgpr_workgroup_id_z 0
		.amdhsa_system_sgpr_workgroup_info 0
		.amdhsa_system_vgpr_workitem_id 0
		.amdhsa_next_free_vgpr 1
		.amdhsa_next_free_sgpr 1
		.amdhsa_named_barrier_count 0
		.amdhsa_reserve_vcc 0
		.amdhsa_float_round_mode_32 0
		.amdhsa_float_round_mode_16_64 0
		.amdhsa_float_denorm_mode_32 3
		.amdhsa_float_denorm_mode_16_64 3
		.amdhsa_fp16_overflow 0
		.amdhsa_memory_ordered 1
		.amdhsa_forward_progress 1
		.amdhsa_inst_pref_size 0
		.amdhsa_round_robin_scheduling 0
		.amdhsa_exception_fp_ieee_invalid_op 0
		.amdhsa_exception_fp_denorm_src 0
		.amdhsa_exception_fp_ieee_div_zero 0
		.amdhsa_exception_fp_ieee_overflow 0
		.amdhsa_exception_fp_ieee_underflow 0
		.amdhsa_exception_fp_ieee_inexact 0
		.amdhsa_exception_int_div_zero 0
	.end_amdhsa_kernel
	.section	.text._ZN7rocprim17ROCPRIM_400000_NS6detail17trampoline_kernelINS0_14default_configENS1_38merge_sort_block_merge_config_selectorIlNS0_10empty_typeEEEZZNS1_27merge_sort_block_merge_implIS3_PlPS5_mZN2at6native12_GLOBAL__N_124unique_dim_cuda_templateIiEESt5tupleIJNSA_6TensorESF_SF_EERKSF_lbbbEUlllE_EE10hipError_tT0_T1_T2_jT3_P12ihipStream_tbPNSt15iterator_traitsISL_E10value_typeEPNSR_ISM_E10value_typeEPSN_NS1_7vsmem_tEENKUlT_SL_SM_SN_E_clIS8_S8_S9_S9_EESK_S10_SL_SM_SN_EUlS10_E1_NS1_11comp_targetILNS1_3genE4ELNS1_11target_archE910ELNS1_3gpuE8ELNS1_3repE0EEENS1_36merge_oddeven_config_static_selectorELNS0_4arch9wavefront6targetE0EEEvSM_,"axG",@progbits,_ZN7rocprim17ROCPRIM_400000_NS6detail17trampoline_kernelINS0_14default_configENS1_38merge_sort_block_merge_config_selectorIlNS0_10empty_typeEEEZZNS1_27merge_sort_block_merge_implIS3_PlPS5_mZN2at6native12_GLOBAL__N_124unique_dim_cuda_templateIiEESt5tupleIJNSA_6TensorESF_SF_EERKSF_lbbbEUlllE_EE10hipError_tT0_T1_T2_jT3_P12ihipStream_tbPNSt15iterator_traitsISL_E10value_typeEPNSR_ISM_E10value_typeEPSN_NS1_7vsmem_tEENKUlT_SL_SM_SN_E_clIS8_S8_S9_S9_EESK_S10_SL_SM_SN_EUlS10_E1_NS1_11comp_targetILNS1_3genE4ELNS1_11target_archE910ELNS1_3gpuE8ELNS1_3repE0EEENS1_36merge_oddeven_config_static_selectorELNS0_4arch9wavefront6targetE0EEEvSM_,comdat
.Lfunc_end411:
	.size	_ZN7rocprim17ROCPRIM_400000_NS6detail17trampoline_kernelINS0_14default_configENS1_38merge_sort_block_merge_config_selectorIlNS0_10empty_typeEEEZZNS1_27merge_sort_block_merge_implIS3_PlPS5_mZN2at6native12_GLOBAL__N_124unique_dim_cuda_templateIiEESt5tupleIJNSA_6TensorESF_SF_EERKSF_lbbbEUlllE_EE10hipError_tT0_T1_T2_jT3_P12ihipStream_tbPNSt15iterator_traitsISL_E10value_typeEPNSR_ISM_E10value_typeEPSN_NS1_7vsmem_tEENKUlT_SL_SM_SN_E_clIS8_S8_S9_S9_EESK_S10_SL_SM_SN_EUlS10_E1_NS1_11comp_targetILNS1_3genE4ELNS1_11target_archE910ELNS1_3gpuE8ELNS1_3repE0EEENS1_36merge_oddeven_config_static_selectorELNS0_4arch9wavefront6targetE0EEEvSM_, .Lfunc_end411-_ZN7rocprim17ROCPRIM_400000_NS6detail17trampoline_kernelINS0_14default_configENS1_38merge_sort_block_merge_config_selectorIlNS0_10empty_typeEEEZZNS1_27merge_sort_block_merge_implIS3_PlPS5_mZN2at6native12_GLOBAL__N_124unique_dim_cuda_templateIiEESt5tupleIJNSA_6TensorESF_SF_EERKSF_lbbbEUlllE_EE10hipError_tT0_T1_T2_jT3_P12ihipStream_tbPNSt15iterator_traitsISL_E10value_typeEPNSR_ISM_E10value_typeEPSN_NS1_7vsmem_tEENKUlT_SL_SM_SN_E_clIS8_S8_S9_S9_EESK_S10_SL_SM_SN_EUlS10_E1_NS1_11comp_targetILNS1_3genE4ELNS1_11target_archE910ELNS1_3gpuE8ELNS1_3repE0EEENS1_36merge_oddeven_config_static_selectorELNS0_4arch9wavefront6targetE0EEEvSM_
                                        ; -- End function
	.set _ZN7rocprim17ROCPRIM_400000_NS6detail17trampoline_kernelINS0_14default_configENS1_38merge_sort_block_merge_config_selectorIlNS0_10empty_typeEEEZZNS1_27merge_sort_block_merge_implIS3_PlPS5_mZN2at6native12_GLOBAL__N_124unique_dim_cuda_templateIiEESt5tupleIJNSA_6TensorESF_SF_EERKSF_lbbbEUlllE_EE10hipError_tT0_T1_T2_jT3_P12ihipStream_tbPNSt15iterator_traitsISL_E10value_typeEPNSR_ISM_E10value_typeEPSN_NS1_7vsmem_tEENKUlT_SL_SM_SN_E_clIS8_S8_S9_S9_EESK_S10_SL_SM_SN_EUlS10_E1_NS1_11comp_targetILNS1_3genE4ELNS1_11target_archE910ELNS1_3gpuE8ELNS1_3repE0EEENS1_36merge_oddeven_config_static_selectorELNS0_4arch9wavefront6targetE0EEEvSM_.num_vgpr, 0
	.set _ZN7rocprim17ROCPRIM_400000_NS6detail17trampoline_kernelINS0_14default_configENS1_38merge_sort_block_merge_config_selectorIlNS0_10empty_typeEEEZZNS1_27merge_sort_block_merge_implIS3_PlPS5_mZN2at6native12_GLOBAL__N_124unique_dim_cuda_templateIiEESt5tupleIJNSA_6TensorESF_SF_EERKSF_lbbbEUlllE_EE10hipError_tT0_T1_T2_jT3_P12ihipStream_tbPNSt15iterator_traitsISL_E10value_typeEPNSR_ISM_E10value_typeEPSN_NS1_7vsmem_tEENKUlT_SL_SM_SN_E_clIS8_S8_S9_S9_EESK_S10_SL_SM_SN_EUlS10_E1_NS1_11comp_targetILNS1_3genE4ELNS1_11target_archE910ELNS1_3gpuE8ELNS1_3repE0EEENS1_36merge_oddeven_config_static_selectorELNS0_4arch9wavefront6targetE0EEEvSM_.num_agpr, 0
	.set _ZN7rocprim17ROCPRIM_400000_NS6detail17trampoline_kernelINS0_14default_configENS1_38merge_sort_block_merge_config_selectorIlNS0_10empty_typeEEEZZNS1_27merge_sort_block_merge_implIS3_PlPS5_mZN2at6native12_GLOBAL__N_124unique_dim_cuda_templateIiEESt5tupleIJNSA_6TensorESF_SF_EERKSF_lbbbEUlllE_EE10hipError_tT0_T1_T2_jT3_P12ihipStream_tbPNSt15iterator_traitsISL_E10value_typeEPNSR_ISM_E10value_typeEPSN_NS1_7vsmem_tEENKUlT_SL_SM_SN_E_clIS8_S8_S9_S9_EESK_S10_SL_SM_SN_EUlS10_E1_NS1_11comp_targetILNS1_3genE4ELNS1_11target_archE910ELNS1_3gpuE8ELNS1_3repE0EEENS1_36merge_oddeven_config_static_selectorELNS0_4arch9wavefront6targetE0EEEvSM_.numbered_sgpr, 0
	.set _ZN7rocprim17ROCPRIM_400000_NS6detail17trampoline_kernelINS0_14default_configENS1_38merge_sort_block_merge_config_selectorIlNS0_10empty_typeEEEZZNS1_27merge_sort_block_merge_implIS3_PlPS5_mZN2at6native12_GLOBAL__N_124unique_dim_cuda_templateIiEESt5tupleIJNSA_6TensorESF_SF_EERKSF_lbbbEUlllE_EE10hipError_tT0_T1_T2_jT3_P12ihipStream_tbPNSt15iterator_traitsISL_E10value_typeEPNSR_ISM_E10value_typeEPSN_NS1_7vsmem_tEENKUlT_SL_SM_SN_E_clIS8_S8_S9_S9_EESK_S10_SL_SM_SN_EUlS10_E1_NS1_11comp_targetILNS1_3genE4ELNS1_11target_archE910ELNS1_3gpuE8ELNS1_3repE0EEENS1_36merge_oddeven_config_static_selectorELNS0_4arch9wavefront6targetE0EEEvSM_.num_named_barrier, 0
	.set _ZN7rocprim17ROCPRIM_400000_NS6detail17trampoline_kernelINS0_14default_configENS1_38merge_sort_block_merge_config_selectorIlNS0_10empty_typeEEEZZNS1_27merge_sort_block_merge_implIS3_PlPS5_mZN2at6native12_GLOBAL__N_124unique_dim_cuda_templateIiEESt5tupleIJNSA_6TensorESF_SF_EERKSF_lbbbEUlllE_EE10hipError_tT0_T1_T2_jT3_P12ihipStream_tbPNSt15iterator_traitsISL_E10value_typeEPNSR_ISM_E10value_typeEPSN_NS1_7vsmem_tEENKUlT_SL_SM_SN_E_clIS8_S8_S9_S9_EESK_S10_SL_SM_SN_EUlS10_E1_NS1_11comp_targetILNS1_3genE4ELNS1_11target_archE910ELNS1_3gpuE8ELNS1_3repE0EEENS1_36merge_oddeven_config_static_selectorELNS0_4arch9wavefront6targetE0EEEvSM_.private_seg_size, 0
	.set _ZN7rocprim17ROCPRIM_400000_NS6detail17trampoline_kernelINS0_14default_configENS1_38merge_sort_block_merge_config_selectorIlNS0_10empty_typeEEEZZNS1_27merge_sort_block_merge_implIS3_PlPS5_mZN2at6native12_GLOBAL__N_124unique_dim_cuda_templateIiEESt5tupleIJNSA_6TensorESF_SF_EERKSF_lbbbEUlllE_EE10hipError_tT0_T1_T2_jT3_P12ihipStream_tbPNSt15iterator_traitsISL_E10value_typeEPNSR_ISM_E10value_typeEPSN_NS1_7vsmem_tEENKUlT_SL_SM_SN_E_clIS8_S8_S9_S9_EESK_S10_SL_SM_SN_EUlS10_E1_NS1_11comp_targetILNS1_3genE4ELNS1_11target_archE910ELNS1_3gpuE8ELNS1_3repE0EEENS1_36merge_oddeven_config_static_selectorELNS0_4arch9wavefront6targetE0EEEvSM_.uses_vcc, 0
	.set _ZN7rocprim17ROCPRIM_400000_NS6detail17trampoline_kernelINS0_14default_configENS1_38merge_sort_block_merge_config_selectorIlNS0_10empty_typeEEEZZNS1_27merge_sort_block_merge_implIS3_PlPS5_mZN2at6native12_GLOBAL__N_124unique_dim_cuda_templateIiEESt5tupleIJNSA_6TensorESF_SF_EERKSF_lbbbEUlllE_EE10hipError_tT0_T1_T2_jT3_P12ihipStream_tbPNSt15iterator_traitsISL_E10value_typeEPNSR_ISM_E10value_typeEPSN_NS1_7vsmem_tEENKUlT_SL_SM_SN_E_clIS8_S8_S9_S9_EESK_S10_SL_SM_SN_EUlS10_E1_NS1_11comp_targetILNS1_3genE4ELNS1_11target_archE910ELNS1_3gpuE8ELNS1_3repE0EEENS1_36merge_oddeven_config_static_selectorELNS0_4arch9wavefront6targetE0EEEvSM_.uses_flat_scratch, 0
	.set _ZN7rocprim17ROCPRIM_400000_NS6detail17trampoline_kernelINS0_14default_configENS1_38merge_sort_block_merge_config_selectorIlNS0_10empty_typeEEEZZNS1_27merge_sort_block_merge_implIS3_PlPS5_mZN2at6native12_GLOBAL__N_124unique_dim_cuda_templateIiEESt5tupleIJNSA_6TensorESF_SF_EERKSF_lbbbEUlllE_EE10hipError_tT0_T1_T2_jT3_P12ihipStream_tbPNSt15iterator_traitsISL_E10value_typeEPNSR_ISM_E10value_typeEPSN_NS1_7vsmem_tEENKUlT_SL_SM_SN_E_clIS8_S8_S9_S9_EESK_S10_SL_SM_SN_EUlS10_E1_NS1_11comp_targetILNS1_3genE4ELNS1_11target_archE910ELNS1_3gpuE8ELNS1_3repE0EEENS1_36merge_oddeven_config_static_selectorELNS0_4arch9wavefront6targetE0EEEvSM_.has_dyn_sized_stack, 0
	.set _ZN7rocprim17ROCPRIM_400000_NS6detail17trampoline_kernelINS0_14default_configENS1_38merge_sort_block_merge_config_selectorIlNS0_10empty_typeEEEZZNS1_27merge_sort_block_merge_implIS3_PlPS5_mZN2at6native12_GLOBAL__N_124unique_dim_cuda_templateIiEESt5tupleIJNSA_6TensorESF_SF_EERKSF_lbbbEUlllE_EE10hipError_tT0_T1_T2_jT3_P12ihipStream_tbPNSt15iterator_traitsISL_E10value_typeEPNSR_ISM_E10value_typeEPSN_NS1_7vsmem_tEENKUlT_SL_SM_SN_E_clIS8_S8_S9_S9_EESK_S10_SL_SM_SN_EUlS10_E1_NS1_11comp_targetILNS1_3genE4ELNS1_11target_archE910ELNS1_3gpuE8ELNS1_3repE0EEENS1_36merge_oddeven_config_static_selectorELNS0_4arch9wavefront6targetE0EEEvSM_.has_recursion, 0
	.set _ZN7rocprim17ROCPRIM_400000_NS6detail17trampoline_kernelINS0_14default_configENS1_38merge_sort_block_merge_config_selectorIlNS0_10empty_typeEEEZZNS1_27merge_sort_block_merge_implIS3_PlPS5_mZN2at6native12_GLOBAL__N_124unique_dim_cuda_templateIiEESt5tupleIJNSA_6TensorESF_SF_EERKSF_lbbbEUlllE_EE10hipError_tT0_T1_T2_jT3_P12ihipStream_tbPNSt15iterator_traitsISL_E10value_typeEPNSR_ISM_E10value_typeEPSN_NS1_7vsmem_tEENKUlT_SL_SM_SN_E_clIS8_S8_S9_S9_EESK_S10_SL_SM_SN_EUlS10_E1_NS1_11comp_targetILNS1_3genE4ELNS1_11target_archE910ELNS1_3gpuE8ELNS1_3repE0EEENS1_36merge_oddeven_config_static_selectorELNS0_4arch9wavefront6targetE0EEEvSM_.has_indirect_call, 0
	.section	.AMDGPU.csdata,"",@progbits
; Kernel info:
; codeLenInByte = 0
; TotalNumSgprs: 0
; NumVgprs: 0
; ScratchSize: 0
; MemoryBound: 0
; FloatMode: 240
; IeeeMode: 1
; LDSByteSize: 0 bytes/workgroup (compile time only)
; SGPRBlocks: 0
; VGPRBlocks: 0
; NumSGPRsForWavesPerEU: 1
; NumVGPRsForWavesPerEU: 1
; NamedBarCnt: 0
; Occupancy: 16
; WaveLimiterHint : 0
; COMPUTE_PGM_RSRC2:SCRATCH_EN: 0
; COMPUTE_PGM_RSRC2:USER_SGPR: 2
; COMPUTE_PGM_RSRC2:TRAP_HANDLER: 0
; COMPUTE_PGM_RSRC2:TGID_X_EN: 1
; COMPUTE_PGM_RSRC2:TGID_Y_EN: 0
; COMPUTE_PGM_RSRC2:TGID_Z_EN: 0
; COMPUTE_PGM_RSRC2:TIDIG_COMP_CNT: 0
	.section	.text._ZN7rocprim17ROCPRIM_400000_NS6detail17trampoline_kernelINS0_14default_configENS1_38merge_sort_block_merge_config_selectorIlNS0_10empty_typeEEEZZNS1_27merge_sort_block_merge_implIS3_PlPS5_mZN2at6native12_GLOBAL__N_124unique_dim_cuda_templateIiEESt5tupleIJNSA_6TensorESF_SF_EERKSF_lbbbEUlllE_EE10hipError_tT0_T1_T2_jT3_P12ihipStream_tbPNSt15iterator_traitsISL_E10value_typeEPNSR_ISM_E10value_typeEPSN_NS1_7vsmem_tEENKUlT_SL_SM_SN_E_clIS8_S8_S9_S9_EESK_S10_SL_SM_SN_EUlS10_E1_NS1_11comp_targetILNS1_3genE3ELNS1_11target_archE908ELNS1_3gpuE7ELNS1_3repE0EEENS1_36merge_oddeven_config_static_selectorELNS0_4arch9wavefront6targetE0EEEvSM_,"axG",@progbits,_ZN7rocprim17ROCPRIM_400000_NS6detail17trampoline_kernelINS0_14default_configENS1_38merge_sort_block_merge_config_selectorIlNS0_10empty_typeEEEZZNS1_27merge_sort_block_merge_implIS3_PlPS5_mZN2at6native12_GLOBAL__N_124unique_dim_cuda_templateIiEESt5tupleIJNSA_6TensorESF_SF_EERKSF_lbbbEUlllE_EE10hipError_tT0_T1_T2_jT3_P12ihipStream_tbPNSt15iterator_traitsISL_E10value_typeEPNSR_ISM_E10value_typeEPSN_NS1_7vsmem_tEENKUlT_SL_SM_SN_E_clIS8_S8_S9_S9_EESK_S10_SL_SM_SN_EUlS10_E1_NS1_11comp_targetILNS1_3genE3ELNS1_11target_archE908ELNS1_3gpuE7ELNS1_3repE0EEENS1_36merge_oddeven_config_static_selectorELNS0_4arch9wavefront6targetE0EEEvSM_,comdat
	.globl	_ZN7rocprim17ROCPRIM_400000_NS6detail17trampoline_kernelINS0_14default_configENS1_38merge_sort_block_merge_config_selectorIlNS0_10empty_typeEEEZZNS1_27merge_sort_block_merge_implIS3_PlPS5_mZN2at6native12_GLOBAL__N_124unique_dim_cuda_templateIiEESt5tupleIJNSA_6TensorESF_SF_EERKSF_lbbbEUlllE_EE10hipError_tT0_T1_T2_jT3_P12ihipStream_tbPNSt15iterator_traitsISL_E10value_typeEPNSR_ISM_E10value_typeEPSN_NS1_7vsmem_tEENKUlT_SL_SM_SN_E_clIS8_S8_S9_S9_EESK_S10_SL_SM_SN_EUlS10_E1_NS1_11comp_targetILNS1_3genE3ELNS1_11target_archE908ELNS1_3gpuE7ELNS1_3repE0EEENS1_36merge_oddeven_config_static_selectorELNS0_4arch9wavefront6targetE0EEEvSM_ ; -- Begin function _ZN7rocprim17ROCPRIM_400000_NS6detail17trampoline_kernelINS0_14default_configENS1_38merge_sort_block_merge_config_selectorIlNS0_10empty_typeEEEZZNS1_27merge_sort_block_merge_implIS3_PlPS5_mZN2at6native12_GLOBAL__N_124unique_dim_cuda_templateIiEESt5tupleIJNSA_6TensorESF_SF_EERKSF_lbbbEUlllE_EE10hipError_tT0_T1_T2_jT3_P12ihipStream_tbPNSt15iterator_traitsISL_E10value_typeEPNSR_ISM_E10value_typeEPSN_NS1_7vsmem_tEENKUlT_SL_SM_SN_E_clIS8_S8_S9_S9_EESK_S10_SL_SM_SN_EUlS10_E1_NS1_11comp_targetILNS1_3genE3ELNS1_11target_archE908ELNS1_3gpuE7ELNS1_3repE0EEENS1_36merge_oddeven_config_static_selectorELNS0_4arch9wavefront6targetE0EEEvSM_
	.p2align	8
	.type	_ZN7rocprim17ROCPRIM_400000_NS6detail17trampoline_kernelINS0_14default_configENS1_38merge_sort_block_merge_config_selectorIlNS0_10empty_typeEEEZZNS1_27merge_sort_block_merge_implIS3_PlPS5_mZN2at6native12_GLOBAL__N_124unique_dim_cuda_templateIiEESt5tupleIJNSA_6TensorESF_SF_EERKSF_lbbbEUlllE_EE10hipError_tT0_T1_T2_jT3_P12ihipStream_tbPNSt15iterator_traitsISL_E10value_typeEPNSR_ISM_E10value_typeEPSN_NS1_7vsmem_tEENKUlT_SL_SM_SN_E_clIS8_S8_S9_S9_EESK_S10_SL_SM_SN_EUlS10_E1_NS1_11comp_targetILNS1_3genE3ELNS1_11target_archE908ELNS1_3gpuE7ELNS1_3repE0EEENS1_36merge_oddeven_config_static_selectorELNS0_4arch9wavefront6targetE0EEEvSM_,@function
_ZN7rocprim17ROCPRIM_400000_NS6detail17trampoline_kernelINS0_14default_configENS1_38merge_sort_block_merge_config_selectorIlNS0_10empty_typeEEEZZNS1_27merge_sort_block_merge_implIS3_PlPS5_mZN2at6native12_GLOBAL__N_124unique_dim_cuda_templateIiEESt5tupleIJNSA_6TensorESF_SF_EERKSF_lbbbEUlllE_EE10hipError_tT0_T1_T2_jT3_P12ihipStream_tbPNSt15iterator_traitsISL_E10value_typeEPNSR_ISM_E10value_typeEPSN_NS1_7vsmem_tEENKUlT_SL_SM_SN_E_clIS8_S8_S9_S9_EESK_S10_SL_SM_SN_EUlS10_E1_NS1_11comp_targetILNS1_3genE3ELNS1_11target_archE908ELNS1_3gpuE7ELNS1_3repE0EEENS1_36merge_oddeven_config_static_selectorELNS0_4arch9wavefront6targetE0EEEvSM_: ; @_ZN7rocprim17ROCPRIM_400000_NS6detail17trampoline_kernelINS0_14default_configENS1_38merge_sort_block_merge_config_selectorIlNS0_10empty_typeEEEZZNS1_27merge_sort_block_merge_implIS3_PlPS5_mZN2at6native12_GLOBAL__N_124unique_dim_cuda_templateIiEESt5tupleIJNSA_6TensorESF_SF_EERKSF_lbbbEUlllE_EE10hipError_tT0_T1_T2_jT3_P12ihipStream_tbPNSt15iterator_traitsISL_E10value_typeEPNSR_ISM_E10value_typeEPSN_NS1_7vsmem_tEENKUlT_SL_SM_SN_E_clIS8_S8_S9_S9_EESK_S10_SL_SM_SN_EUlS10_E1_NS1_11comp_targetILNS1_3genE3ELNS1_11target_archE908ELNS1_3gpuE7ELNS1_3repE0EEENS1_36merge_oddeven_config_static_selectorELNS0_4arch9wavefront6targetE0EEEvSM_
; %bb.0:
	.section	.rodata,"a",@progbits
	.p2align	6, 0x0
	.amdhsa_kernel _ZN7rocprim17ROCPRIM_400000_NS6detail17trampoline_kernelINS0_14default_configENS1_38merge_sort_block_merge_config_selectorIlNS0_10empty_typeEEEZZNS1_27merge_sort_block_merge_implIS3_PlPS5_mZN2at6native12_GLOBAL__N_124unique_dim_cuda_templateIiEESt5tupleIJNSA_6TensorESF_SF_EERKSF_lbbbEUlllE_EE10hipError_tT0_T1_T2_jT3_P12ihipStream_tbPNSt15iterator_traitsISL_E10value_typeEPNSR_ISM_E10value_typeEPSN_NS1_7vsmem_tEENKUlT_SL_SM_SN_E_clIS8_S8_S9_S9_EESK_S10_SL_SM_SN_EUlS10_E1_NS1_11comp_targetILNS1_3genE3ELNS1_11target_archE908ELNS1_3gpuE7ELNS1_3repE0EEENS1_36merge_oddeven_config_static_selectorELNS0_4arch9wavefront6targetE0EEEvSM_
		.amdhsa_group_segment_fixed_size 0
		.amdhsa_private_segment_fixed_size 0
		.amdhsa_kernarg_size 64
		.amdhsa_user_sgpr_count 2
		.amdhsa_user_sgpr_dispatch_ptr 0
		.amdhsa_user_sgpr_queue_ptr 0
		.amdhsa_user_sgpr_kernarg_segment_ptr 1
		.amdhsa_user_sgpr_dispatch_id 0
		.amdhsa_user_sgpr_kernarg_preload_length 0
		.amdhsa_user_sgpr_kernarg_preload_offset 0
		.amdhsa_user_sgpr_private_segment_size 0
		.amdhsa_wavefront_size32 1
		.amdhsa_uses_dynamic_stack 0
		.amdhsa_enable_private_segment 0
		.amdhsa_system_sgpr_workgroup_id_x 1
		.amdhsa_system_sgpr_workgroup_id_y 0
		.amdhsa_system_sgpr_workgroup_id_z 0
		.amdhsa_system_sgpr_workgroup_info 0
		.amdhsa_system_vgpr_workitem_id 0
		.amdhsa_next_free_vgpr 1
		.amdhsa_next_free_sgpr 1
		.amdhsa_named_barrier_count 0
		.amdhsa_reserve_vcc 0
		.amdhsa_float_round_mode_32 0
		.amdhsa_float_round_mode_16_64 0
		.amdhsa_float_denorm_mode_32 3
		.amdhsa_float_denorm_mode_16_64 3
		.amdhsa_fp16_overflow 0
		.amdhsa_memory_ordered 1
		.amdhsa_forward_progress 1
		.amdhsa_inst_pref_size 0
		.amdhsa_round_robin_scheduling 0
		.amdhsa_exception_fp_ieee_invalid_op 0
		.amdhsa_exception_fp_denorm_src 0
		.amdhsa_exception_fp_ieee_div_zero 0
		.amdhsa_exception_fp_ieee_overflow 0
		.amdhsa_exception_fp_ieee_underflow 0
		.amdhsa_exception_fp_ieee_inexact 0
		.amdhsa_exception_int_div_zero 0
	.end_amdhsa_kernel
	.section	.text._ZN7rocprim17ROCPRIM_400000_NS6detail17trampoline_kernelINS0_14default_configENS1_38merge_sort_block_merge_config_selectorIlNS0_10empty_typeEEEZZNS1_27merge_sort_block_merge_implIS3_PlPS5_mZN2at6native12_GLOBAL__N_124unique_dim_cuda_templateIiEESt5tupleIJNSA_6TensorESF_SF_EERKSF_lbbbEUlllE_EE10hipError_tT0_T1_T2_jT3_P12ihipStream_tbPNSt15iterator_traitsISL_E10value_typeEPNSR_ISM_E10value_typeEPSN_NS1_7vsmem_tEENKUlT_SL_SM_SN_E_clIS8_S8_S9_S9_EESK_S10_SL_SM_SN_EUlS10_E1_NS1_11comp_targetILNS1_3genE3ELNS1_11target_archE908ELNS1_3gpuE7ELNS1_3repE0EEENS1_36merge_oddeven_config_static_selectorELNS0_4arch9wavefront6targetE0EEEvSM_,"axG",@progbits,_ZN7rocprim17ROCPRIM_400000_NS6detail17trampoline_kernelINS0_14default_configENS1_38merge_sort_block_merge_config_selectorIlNS0_10empty_typeEEEZZNS1_27merge_sort_block_merge_implIS3_PlPS5_mZN2at6native12_GLOBAL__N_124unique_dim_cuda_templateIiEESt5tupleIJNSA_6TensorESF_SF_EERKSF_lbbbEUlllE_EE10hipError_tT0_T1_T2_jT3_P12ihipStream_tbPNSt15iterator_traitsISL_E10value_typeEPNSR_ISM_E10value_typeEPSN_NS1_7vsmem_tEENKUlT_SL_SM_SN_E_clIS8_S8_S9_S9_EESK_S10_SL_SM_SN_EUlS10_E1_NS1_11comp_targetILNS1_3genE3ELNS1_11target_archE908ELNS1_3gpuE7ELNS1_3repE0EEENS1_36merge_oddeven_config_static_selectorELNS0_4arch9wavefront6targetE0EEEvSM_,comdat
.Lfunc_end412:
	.size	_ZN7rocprim17ROCPRIM_400000_NS6detail17trampoline_kernelINS0_14default_configENS1_38merge_sort_block_merge_config_selectorIlNS0_10empty_typeEEEZZNS1_27merge_sort_block_merge_implIS3_PlPS5_mZN2at6native12_GLOBAL__N_124unique_dim_cuda_templateIiEESt5tupleIJNSA_6TensorESF_SF_EERKSF_lbbbEUlllE_EE10hipError_tT0_T1_T2_jT3_P12ihipStream_tbPNSt15iterator_traitsISL_E10value_typeEPNSR_ISM_E10value_typeEPSN_NS1_7vsmem_tEENKUlT_SL_SM_SN_E_clIS8_S8_S9_S9_EESK_S10_SL_SM_SN_EUlS10_E1_NS1_11comp_targetILNS1_3genE3ELNS1_11target_archE908ELNS1_3gpuE7ELNS1_3repE0EEENS1_36merge_oddeven_config_static_selectorELNS0_4arch9wavefront6targetE0EEEvSM_, .Lfunc_end412-_ZN7rocprim17ROCPRIM_400000_NS6detail17trampoline_kernelINS0_14default_configENS1_38merge_sort_block_merge_config_selectorIlNS0_10empty_typeEEEZZNS1_27merge_sort_block_merge_implIS3_PlPS5_mZN2at6native12_GLOBAL__N_124unique_dim_cuda_templateIiEESt5tupleIJNSA_6TensorESF_SF_EERKSF_lbbbEUlllE_EE10hipError_tT0_T1_T2_jT3_P12ihipStream_tbPNSt15iterator_traitsISL_E10value_typeEPNSR_ISM_E10value_typeEPSN_NS1_7vsmem_tEENKUlT_SL_SM_SN_E_clIS8_S8_S9_S9_EESK_S10_SL_SM_SN_EUlS10_E1_NS1_11comp_targetILNS1_3genE3ELNS1_11target_archE908ELNS1_3gpuE7ELNS1_3repE0EEENS1_36merge_oddeven_config_static_selectorELNS0_4arch9wavefront6targetE0EEEvSM_
                                        ; -- End function
	.set _ZN7rocprim17ROCPRIM_400000_NS6detail17trampoline_kernelINS0_14default_configENS1_38merge_sort_block_merge_config_selectorIlNS0_10empty_typeEEEZZNS1_27merge_sort_block_merge_implIS3_PlPS5_mZN2at6native12_GLOBAL__N_124unique_dim_cuda_templateIiEESt5tupleIJNSA_6TensorESF_SF_EERKSF_lbbbEUlllE_EE10hipError_tT0_T1_T2_jT3_P12ihipStream_tbPNSt15iterator_traitsISL_E10value_typeEPNSR_ISM_E10value_typeEPSN_NS1_7vsmem_tEENKUlT_SL_SM_SN_E_clIS8_S8_S9_S9_EESK_S10_SL_SM_SN_EUlS10_E1_NS1_11comp_targetILNS1_3genE3ELNS1_11target_archE908ELNS1_3gpuE7ELNS1_3repE0EEENS1_36merge_oddeven_config_static_selectorELNS0_4arch9wavefront6targetE0EEEvSM_.num_vgpr, 0
	.set _ZN7rocprim17ROCPRIM_400000_NS6detail17trampoline_kernelINS0_14default_configENS1_38merge_sort_block_merge_config_selectorIlNS0_10empty_typeEEEZZNS1_27merge_sort_block_merge_implIS3_PlPS5_mZN2at6native12_GLOBAL__N_124unique_dim_cuda_templateIiEESt5tupleIJNSA_6TensorESF_SF_EERKSF_lbbbEUlllE_EE10hipError_tT0_T1_T2_jT3_P12ihipStream_tbPNSt15iterator_traitsISL_E10value_typeEPNSR_ISM_E10value_typeEPSN_NS1_7vsmem_tEENKUlT_SL_SM_SN_E_clIS8_S8_S9_S9_EESK_S10_SL_SM_SN_EUlS10_E1_NS1_11comp_targetILNS1_3genE3ELNS1_11target_archE908ELNS1_3gpuE7ELNS1_3repE0EEENS1_36merge_oddeven_config_static_selectorELNS0_4arch9wavefront6targetE0EEEvSM_.num_agpr, 0
	.set _ZN7rocprim17ROCPRIM_400000_NS6detail17trampoline_kernelINS0_14default_configENS1_38merge_sort_block_merge_config_selectorIlNS0_10empty_typeEEEZZNS1_27merge_sort_block_merge_implIS3_PlPS5_mZN2at6native12_GLOBAL__N_124unique_dim_cuda_templateIiEESt5tupleIJNSA_6TensorESF_SF_EERKSF_lbbbEUlllE_EE10hipError_tT0_T1_T2_jT3_P12ihipStream_tbPNSt15iterator_traitsISL_E10value_typeEPNSR_ISM_E10value_typeEPSN_NS1_7vsmem_tEENKUlT_SL_SM_SN_E_clIS8_S8_S9_S9_EESK_S10_SL_SM_SN_EUlS10_E1_NS1_11comp_targetILNS1_3genE3ELNS1_11target_archE908ELNS1_3gpuE7ELNS1_3repE0EEENS1_36merge_oddeven_config_static_selectorELNS0_4arch9wavefront6targetE0EEEvSM_.numbered_sgpr, 0
	.set _ZN7rocprim17ROCPRIM_400000_NS6detail17trampoline_kernelINS0_14default_configENS1_38merge_sort_block_merge_config_selectorIlNS0_10empty_typeEEEZZNS1_27merge_sort_block_merge_implIS3_PlPS5_mZN2at6native12_GLOBAL__N_124unique_dim_cuda_templateIiEESt5tupleIJNSA_6TensorESF_SF_EERKSF_lbbbEUlllE_EE10hipError_tT0_T1_T2_jT3_P12ihipStream_tbPNSt15iterator_traitsISL_E10value_typeEPNSR_ISM_E10value_typeEPSN_NS1_7vsmem_tEENKUlT_SL_SM_SN_E_clIS8_S8_S9_S9_EESK_S10_SL_SM_SN_EUlS10_E1_NS1_11comp_targetILNS1_3genE3ELNS1_11target_archE908ELNS1_3gpuE7ELNS1_3repE0EEENS1_36merge_oddeven_config_static_selectorELNS0_4arch9wavefront6targetE0EEEvSM_.num_named_barrier, 0
	.set _ZN7rocprim17ROCPRIM_400000_NS6detail17trampoline_kernelINS0_14default_configENS1_38merge_sort_block_merge_config_selectorIlNS0_10empty_typeEEEZZNS1_27merge_sort_block_merge_implIS3_PlPS5_mZN2at6native12_GLOBAL__N_124unique_dim_cuda_templateIiEESt5tupleIJNSA_6TensorESF_SF_EERKSF_lbbbEUlllE_EE10hipError_tT0_T1_T2_jT3_P12ihipStream_tbPNSt15iterator_traitsISL_E10value_typeEPNSR_ISM_E10value_typeEPSN_NS1_7vsmem_tEENKUlT_SL_SM_SN_E_clIS8_S8_S9_S9_EESK_S10_SL_SM_SN_EUlS10_E1_NS1_11comp_targetILNS1_3genE3ELNS1_11target_archE908ELNS1_3gpuE7ELNS1_3repE0EEENS1_36merge_oddeven_config_static_selectorELNS0_4arch9wavefront6targetE0EEEvSM_.private_seg_size, 0
	.set _ZN7rocprim17ROCPRIM_400000_NS6detail17trampoline_kernelINS0_14default_configENS1_38merge_sort_block_merge_config_selectorIlNS0_10empty_typeEEEZZNS1_27merge_sort_block_merge_implIS3_PlPS5_mZN2at6native12_GLOBAL__N_124unique_dim_cuda_templateIiEESt5tupleIJNSA_6TensorESF_SF_EERKSF_lbbbEUlllE_EE10hipError_tT0_T1_T2_jT3_P12ihipStream_tbPNSt15iterator_traitsISL_E10value_typeEPNSR_ISM_E10value_typeEPSN_NS1_7vsmem_tEENKUlT_SL_SM_SN_E_clIS8_S8_S9_S9_EESK_S10_SL_SM_SN_EUlS10_E1_NS1_11comp_targetILNS1_3genE3ELNS1_11target_archE908ELNS1_3gpuE7ELNS1_3repE0EEENS1_36merge_oddeven_config_static_selectorELNS0_4arch9wavefront6targetE0EEEvSM_.uses_vcc, 0
	.set _ZN7rocprim17ROCPRIM_400000_NS6detail17trampoline_kernelINS0_14default_configENS1_38merge_sort_block_merge_config_selectorIlNS0_10empty_typeEEEZZNS1_27merge_sort_block_merge_implIS3_PlPS5_mZN2at6native12_GLOBAL__N_124unique_dim_cuda_templateIiEESt5tupleIJNSA_6TensorESF_SF_EERKSF_lbbbEUlllE_EE10hipError_tT0_T1_T2_jT3_P12ihipStream_tbPNSt15iterator_traitsISL_E10value_typeEPNSR_ISM_E10value_typeEPSN_NS1_7vsmem_tEENKUlT_SL_SM_SN_E_clIS8_S8_S9_S9_EESK_S10_SL_SM_SN_EUlS10_E1_NS1_11comp_targetILNS1_3genE3ELNS1_11target_archE908ELNS1_3gpuE7ELNS1_3repE0EEENS1_36merge_oddeven_config_static_selectorELNS0_4arch9wavefront6targetE0EEEvSM_.uses_flat_scratch, 0
	.set _ZN7rocprim17ROCPRIM_400000_NS6detail17trampoline_kernelINS0_14default_configENS1_38merge_sort_block_merge_config_selectorIlNS0_10empty_typeEEEZZNS1_27merge_sort_block_merge_implIS3_PlPS5_mZN2at6native12_GLOBAL__N_124unique_dim_cuda_templateIiEESt5tupleIJNSA_6TensorESF_SF_EERKSF_lbbbEUlllE_EE10hipError_tT0_T1_T2_jT3_P12ihipStream_tbPNSt15iterator_traitsISL_E10value_typeEPNSR_ISM_E10value_typeEPSN_NS1_7vsmem_tEENKUlT_SL_SM_SN_E_clIS8_S8_S9_S9_EESK_S10_SL_SM_SN_EUlS10_E1_NS1_11comp_targetILNS1_3genE3ELNS1_11target_archE908ELNS1_3gpuE7ELNS1_3repE0EEENS1_36merge_oddeven_config_static_selectorELNS0_4arch9wavefront6targetE0EEEvSM_.has_dyn_sized_stack, 0
	.set _ZN7rocprim17ROCPRIM_400000_NS6detail17trampoline_kernelINS0_14default_configENS1_38merge_sort_block_merge_config_selectorIlNS0_10empty_typeEEEZZNS1_27merge_sort_block_merge_implIS3_PlPS5_mZN2at6native12_GLOBAL__N_124unique_dim_cuda_templateIiEESt5tupleIJNSA_6TensorESF_SF_EERKSF_lbbbEUlllE_EE10hipError_tT0_T1_T2_jT3_P12ihipStream_tbPNSt15iterator_traitsISL_E10value_typeEPNSR_ISM_E10value_typeEPSN_NS1_7vsmem_tEENKUlT_SL_SM_SN_E_clIS8_S8_S9_S9_EESK_S10_SL_SM_SN_EUlS10_E1_NS1_11comp_targetILNS1_3genE3ELNS1_11target_archE908ELNS1_3gpuE7ELNS1_3repE0EEENS1_36merge_oddeven_config_static_selectorELNS0_4arch9wavefront6targetE0EEEvSM_.has_recursion, 0
	.set _ZN7rocprim17ROCPRIM_400000_NS6detail17trampoline_kernelINS0_14default_configENS1_38merge_sort_block_merge_config_selectorIlNS0_10empty_typeEEEZZNS1_27merge_sort_block_merge_implIS3_PlPS5_mZN2at6native12_GLOBAL__N_124unique_dim_cuda_templateIiEESt5tupleIJNSA_6TensorESF_SF_EERKSF_lbbbEUlllE_EE10hipError_tT0_T1_T2_jT3_P12ihipStream_tbPNSt15iterator_traitsISL_E10value_typeEPNSR_ISM_E10value_typeEPSN_NS1_7vsmem_tEENKUlT_SL_SM_SN_E_clIS8_S8_S9_S9_EESK_S10_SL_SM_SN_EUlS10_E1_NS1_11comp_targetILNS1_3genE3ELNS1_11target_archE908ELNS1_3gpuE7ELNS1_3repE0EEENS1_36merge_oddeven_config_static_selectorELNS0_4arch9wavefront6targetE0EEEvSM_.has_indirect_call, 0
	.section	.AMDGPU.csdata,"",@progbits
; Kernel info:
; codeLenInByte = 0
; TotalNumSgprs: 0
; NumVgprs: 0
; ScratchSize: 0
; MemoryBound: 0
; FloatMode: 240
; IeeeMode: 1
; LDSByteSize: 0 bytes/workgroup (compile time only)
; SGPRBlocks: 0
; VGPRBlocks: 0
; NumSGPRsForWavesPerEU: 1
; NumVGPRsForWavesPerEU: 1
; NamedBarCnt: 0
; Occupancy: 16
; WaveLimiterHint : 0
; COMPUTE_PGM_RSRC2:SCRATCH_EN: 0
; COMPUTE_PGM_RSRC2:USER_SGPR: 2
; COMPUTE_PGM_RSRC2:TRAP_HANDLER: 0
; COMPUTE_PGM_RSRC2:TGID_X_EN: 1
; COMPUTE_PGM_RSRC2:TGID_Y_EN: 0
; COMPUTE_PGM_RSRC2:TGID_Z_EN: 0
; COMPUTE_PGM_RSRC2:TIDIG_COMP_CNT: 0
	.section	.text._ZN7rocprim17ROCPRIM_400000_NS6detail17trampoline_kernelINS0_14default_configENS1_38merge_sort_block_merge_config_selectorIlNS0_10empty_typeEEEZZNS1_27merge_sort_block_merge_implIS3_PlPS5_mZN2at6native12_GLOBAL__N_124unique_dim_cuda_templateIiEESt5tupleIJNSA_6TensorESF_SF_EERKSF_lbbbEUlllE_EE10hipError_tT0_T1_T2_jT3_P12ihipStream_tbPNSt15iterator_traitsISL_E10value_typeEPNSR_ISM_E10value_typeEPSN_NS1_7vsmem_tEENKUlT_SL_SM_SN_E_clIS8_S8_S9_S9_EESK_S10_SL_SM_SN_EUlS10_E1_NS1_11comp_targetILNS1_3genE2ELNS1_11target_archE906ELNS1_3gpuE6ELNS1_3repE0EEENS1_36merge_oddeven_config_static_selectorELNS0_4arch9wavefront6targetE0EEEvSM_,"axG",@progbits,_ZN7rocprim17ROCPRIM_400000_NS6detail17trampoline_kernelINS0_14default_configENS1_38merge_sort_block_merge_config_selectorIlNS0_10empty_typeEEEZZNS1_27merge_sort_block_merge_implIS3_PlPS5_mZN2at6native12_GLOBAL__N_124unique_dim_cuda_templateIiEESt5tupleIJNSA_6TensorESF_SF_EERKSF_lbbbEUlllE_EE10hipError_tT0_T1_T2_jT3_P12ihipStream_tbPNSt15iterator_traitsISL_E10value_typeEPNSR_ISM_E10value_typeEPSN_NS1_7vsmem_tEENKUlT_SL_SM_SN_E_clIS8_S8_S9_S9_EESK_S10_SL_SM_SN_EUlS10_E1_NS1_11comp_targetILNS1_3genE2ELNS1_11target_archE906ELNS1_3gpuE6ELNS1_3repE0EEENS1_36merge_oddeven_config_static_selectorELNS0_4arch9wavefront6targetE0EEEvSM_,comdat
	.globl	_ZN7rocprim17ROCPRIM_400000_NS6detail17trampoline_kernelINS0_14default_configENS1_38merge_sort_block_merge_config_selectorIlNS0_10empty_typeEEEZZNS1_27merge_sort_block_merge_implIS3_PlPS5_mZN2at6native12_GLOBAL__N_124unique_dim_cuda_templateIiEESt5tupleIJNSA_6TensorESF_SF_EERKSF_lbbbEUlllE_EE10hipError_tT0_T1_T2_jT3_P12ihipStream_tbPNSt15iterator_traitsISL_E10value_typeEPNSR_ISM_E10value_typeEPSN_NS1_7vsmem_tEENKUlT_SL_SM_SN_E_clIS8_S8_S9_S9_EESK_S10_SL_SM_SN_EUlS10_E1_NS1_11comp_targetILNS1_3genE2ELNS1_11target_archE906ELNS1_3gpuE6ELNS1_3repE0EEENS1_36merge_oddeven_config_static_selectorELNS0_4arch9wavefront6targetE0EEEvSM_ ; -- Begin function _ZN7rocprim17ROCPRIM_400000_NS6detail17trampoline_kernelINS0_14default_configENS1_38merge_sort_block_merge_config_selectorIlNS0_10empty_typeEEEZZNS1_27merge_sort_block_merge_implIS3_PlPS5_mZN2at6native12_GLOBAL__N_124unique_dim_cuda_templateIiEESt5tupleIJNSA_6TensorESF_SF_EERKSF_lbbbEUlllE_EE10hipError_tT0_T1_T2_jT3_P12ihipStream_tbPNSt15iterator_traitsISL_E10value_typeEPNSR_ISM_E10value_typeEPSN_NS1_7vsmem_tEENKUlT_SL_SM_SN_E_clIS8_S8_S9_S9_EESK_S10_SL_SM_SN_EUlS10_E1_NS1_11comp_targetILNS1_3genE2ELNS1_11target_archE906ELNS1_3gpuE6ELNS1_3repE0EEENS1_36merge_oddeven_config_static_selectorELNS0_4arch9wavefront6targetE0EEEvSM_
	.p2align	8
	.type	_ZN7rocprim17ROCPRIM_400000_NS6detail17trampoline_kernelINS0_14default_configENS1_38merge_sort_block_merge_config_selectorIlNS0_10empty_typeEEEZZNS1_27merge_sort_block_merge_implIS3_PlPS5_mZN2at6native12_GLOBAL__N_124unique_dim_cuda_templateIiEESt5tupleIJNSA_6TensorESF_SF_EERKSF_lbbbEUlllE_EE10hipError_tT0_T1_T2_jT3_P12ihipStream_tbPNSt15iterator_traitsISL_E10value_typeEPNSR_ISM_E10value_typeEPSN_NS1_7vsmem_tEENKUlT_SL_SM_SN_E_clIS8_S8_S9_S9_EESK_S10_SL_SM_SN_EUlS10_E1_NS1_11comp_targetILNS1_3genE2ELNS1_11target_archE906ELNS1_3gpuE6ELNS1_3repE0EEENS1_36merge_oddeven_config_static_selectorELNS0_4arch9wavefront6targetE0EEEvSM_,@function
_ZN7rocprim17ROCPRIM_400000_NS6detail17trampoline_kernelINS0_14default_configENS1_38merge_sort_block_merge_config_selectorIlNS0_10empty_typeEEEZZNS1_27merge_sort_block_merge_implIS3_PlPS5_mZN2at6native12_GLOBAL__N_124unique_dim_cuda_templateIiEESt5tupleIJNSA_6TensorESF_SF_EERKSF_lbbbEUlllE_EE10hipError_tT0_T1_T2_jT3_P12ihipStream_tbPNSt15iterator_traitsISL_E10value_typeEPNSR_ISM_E10value_typeEPSN_NS1_7vsmem_tEENKUlT_SL_SM_SN_E_clIS8_S8_S9_S9_EESK_S10_SL_SM_SN_EUlS10_E1_NS1_11comp_targetILNS1_3genE2ELNS1_11target_archE906ELNS1_3gpuE6ELNS1_3repE0EEENS1_36merge_oddeven_config_static_selectorELNS0_4arch9wavefront6targetE0EEEvSM_: ; @_ZN7rocprim17ROCPRIM_400000_NS6detail17trampoline_kernelINS0_14default_configENS1_38merge_sort_block_merge_config_selectorIlNS0_10empty_typeEEEZZNS1_27merge_sort_block_merge_implIS3_PlPS5_mZN2at6native12_GLOBAL__N_124unique_dim_cuda_templateIiEESt5tupleIJNSA_6TensorESF_SF_EERKSF_lbbbEUlllE_EE10hipError_tT0_T1_T2_jT3_P12ihipStream_tbPNSt15iterator_traitsISL_E10value_typeEPNSR_ISM_E10value_typeEPSN_NS1_7vsmem_tEENKUlT_SL_SM_SN_E_clIS8_S8_S9_S9_EESK_S10_SL_SM_SN_EUlS10_E1_NS1_11comp_targetILNS1_3genE2ELNS1_11target_archE906ELNS1_3gpuE6ELNS1_3repE0EEENS1_36merge_oddeven_config_static_selectorELNS0_4arch9wavefront6targetE0EEEvSM_
; %bb.0:
	.section	.rodata,"a",@progbits
	.p2align	6, 0x0
	.amdhsa_kernel _ZN7rocprim17ROCPRIM_400000_NS6detail17trampoline_kernelINS0_14default_configENS1_38merge_sort_block_merge_config_selectorIlNS0_10empty_typeEEEZZNS1_27merge_sort_block_merge_implIS3_PlPS5_mZN2at6native12_GLOBAL__N_124unique_dim_cuda_templateIiEESt5tupleIJNSA_6TensorESF_SF_EERKSF_lbbbEUlllE_EE10hipError_tT0_T1_T2_jT3_P12ihipStream_tbPNSt15iterator_traitsISL_E10value_typeEPNSR_ISM_E10value_typeEPSN_NS1_7vsmem_tEENKUlT_SL_SM_SN_E_clIS8_S8_S9_S9_EESK_S10_SL_SM_SN_EUlS10_E1_NS1_11comp_targetILNS1_3genE2ELNS1_11target_archE906ELNS1_3gpuE6ELNS1_3repE0EEENS1_36merge_oddeven_config_static_selectorELNS0_4arch9wavefront6targetE0EEEvSM_
		.amdhsa_group_segment_fixed_size 0
		.amdhsa_private_segment_fixed_size 0
		.amdhsa_kernarg_size 64
		.amdhsa_user_sgpr_count 2
		.amdhsa_user_sgpr_dispatch_ptr 0
		.amdhsa_user_sgpr_queue_ptr 0
		.amdhsa_user_sgpr_kernarg_segment_ptr 1
		.amdhsa_user_sgpr_dispatch_id 0
		.amdhsa_user_sgpr_kernarg_preload_length 0
		.amdhsa_user_sgpr_kernarg_preload_offset 0
		.amdhsa_user_sgpr_private_segment_size 0
		.amdhsa_wavefront_size32 1
		.amdhsa_uses_dynamic_stack 0
		.amdhsa_enable_private_segment 0
		.amdhsa_system_sgpr_workgroup_id_x 1
		.amdhsa_system_sgpr_workgroup_id_y 0
		.amdhsa_system_sgpr_workgroup_id_z 0
		.amdhsa_system_sgpr_workgroup_info 0
		.amdhsa_system_vgpr_workitem_id 0
		.amdhsa_next_free_vgpr 1
		.amdhsa_next_free_sgpr 1
		.amdhsa_named_barrier_count 0
		.amdhsa_reserve_vcc 0
		.amdhsa_float_round_mode_32 0
		.amdhsa_float_round_mode_16_64 0
		.amdhsa_float_denorm_mode_32 3
		.amdhsa_float_denorm_mode_16_64 3
		.amdhsa_fp16_overflow 0
		.amdhsa_memory_ordered 1
		.amdhsa_forward_progress 1
		.amdhsa_inst_pref_size 0
		.amdhsa_round_robin_scheduling 0
		.amdhsa_exception_fp_ieee_invalid_op 0
		.amdhsa_exception_fp_denorm_src 0
		.amdhsa_exception_fp_ieee_div_zero 0
		.amdhsa_exception_fp_ieee_overflow 0
		.amdhsa_exception_fp_ieee_underflow 0
		.amdhsa_exception_fp_ieee_inexact 0
		.amdhsa_exception_int_div_zero 0
	.end_amdhsa_kernel
	.section	.text._ZN7rocprim17ROCPRIM_400000_NS6detail17trampoline_kernelINS0_14default_configENS1_38merge_sort_block_merge_config_selectorIlNS0_10empty_typeEEEZZNS1_27merge_sort_block_merge_implIS3_PlPS5_mZN2at6native12_GLOBAL__N_124unique_dim_cuda_templateIiEESt5tupleIJNSA_6TensorESF_SF_EERKSF_lbbbEUlllE_EE10hipError_tT0_T1_T2_jT3_P12ihipStream_tbPNSt15iterator_traitsISL_E10value_typeEPNSR_ISM_E10value_typeEPSN_NS1_7vsmem_tEENKUlT_SL_SM_SN_E_clIS8_S8_S9_S9_EESK_S10_SL_SM_SN_EUlS10_E1_NS1_11comp_targetILNS1_3genE2ELNS1_11target_archE906ELNS1_3gpuE6ELNS1_3repE0EEENS1_36merge_oddeven_config_static_selectorELNS0_4arch9wavefront6targetE0EEEvSM_,"axG",@progbits,_ZN7rocprim17ROCPRIM_400000_NS6detail17trampoline_kernelINS0_14default_configENS1_38merge_sort_block_merge_config_selectorIlNS0_10empty_typeEEEZZNS1_27merge_sort_block_merge_implIS3_PlPS5_mZN2at6native12_GLOBAL__N_124unique_dim_cuda_templateIiEESt5tupleIJNSA_6TensorESF_SF_EERKSF_lbbbEUlllE_EE10hipError_tT0_T1_T2_jT3_P12ihipStream_tbPNSt15iterator_traitsISL_E10value_typeEPNSR_ISM_E10value_typeEPSN_NS1_7vsmem_tEENKUlT_SL_SM_SN_E_clIS8_S8_S9_S9_EESK_S10_SL_SM_SN_EUlS10_E1_NS1_11comp_targetILNS1_3genE2ELNS1_11target_archE906ELNS1_3gpuE6ELNS1_3repE0EEENS1_36merge_oddeven_config_static_selectorELNS0_4arch9wavefront6targetE0EEEvSM_,comdat
.Lfunc_end413:
	.size	_ZN7rocprim17ROCPRIM_400000_NS6detail17trampoline_kernelINS0_14default_configENS1_38merge_sort_block_merge_config_selectorIlNS0_10empty_typeEEEZZNS1_27merge_sort_block_merge_implIS3_PlPS5_mZN2at6native12_GLOBAL__N_124unique_dim_cuda_templateIiEESt5tupleIJNSA_6TensorESF_SF_EERKSF_lbbbEUlllE_EE10hipError_tT0_T1_T2_jT3_P12ihipStream_tbPNSt15iterator_traitsISL_E10value_typeEPNSR_ISM_E10value_typeEPSN_NS1_7vsmem_tEENKUlT_SL_SM_SN_E_clIS8_S8_S9_S9_EESK_S10_SL_SM_SN_EUlS10_E1_NS1_11comp_targetILNS1_3genE2ELNS1_11target_archE906ELNS1_3gpuE6ELNS1_3repE0EEENS1_36merge_oddeven_config_static_selectorELNS0_4arch9wavefront6targetE0EEEvSM_, .Lfunc_end413-_ZN7rocprim17ROCPRIM_400000_NS6detail17trampoline_kernelINS0_14default_configENS1_38merge_sort_block_merge_config_selectorIlNS0_10empty_typeEEEZZNS1_27merge_sort_block_merge_implIS3_PlPS5_mZN2at6native12_GLOBAL__N_124unique_dim_cuda_templateIiEESt5tupleIJNSA_6TensorESF_SF_EERKSF_lbbbEUlllE_EE10hipError_tT0_T1_T2_jT3_P12ihipStream_tbPNSt15iterator_traitsISL_E10value_typeEPNSR_ISM_E10value_typeEPSN_NS1_7vsmem_tEENKUlT_SL_SM_SN_E_clIS8_S8_S9_S9_EESK_S10_SL_SM_SN_EUlS10_E1_NS1_11comp_targetILNS1_3genE2ELNS1_11target_archE906ELNS1_3gpuE6ELNS1_3repE0EEENS1_36merge_oddeven_config_static_selectorELNS0_4arch9wavefront6targetE0EEEvSM_
                                        ; -- End function
	.set _ZN7rocprim17ROCPRIM_400000_NS6detail17trampoline_kernelINS0_14default_configENS1_38merge_sort_block_merge_config_selectorIlNS0_10empty_typeEEEZZNS1_27merge_sort_block_merge_implIS3_PlPS5_mZN2at6native12_GLOBAL__N_124unique_dim_cuda_templateIiEESt5tupleIJNSA_6TensorESF_SF_EERKSF_lbbbEUlllE_EE10hipError_tT0_T1_T2_jT3_P12ihipStream_tbPNSt15iterator_traitsISL_E10value_typeEPNSR_ISM_E10value_typeEPSN_NS1_7vsmem_tEENKUlT_SL_SM_SN_E_clIS8_S8_S9_S9_EESK_S10_SL_SM_SN_EUlS10_E1_NS1_11comp_targetILNS1_3genE2ELNS1_11target_archE906ELNS1_3gpuE6ELNS1_3repE0EEENS1_36merge_oddeven_config_static_selectorELNS0_4arch9wavefront6targetE0EEEvSM_.num_vgpr, 0
	.set _ZN7rocprim17ROCPRIM_400000_NS6detail17trampoline_kernelINS0_14default_configENS1_38merge_sort_block_merge_config_selectorIlNS0_10empty_typeEEEZZNS1_27merge_sort_block_merge_implIS3_PlPS5_mZN2at6native12_GLOBAL__N_124unique_dim_cuda_templateIiEESt5tupleIJNSA_6TensorESF_SF_EERKSF_lbbbEUlllE_EE10hipError_tT0_T1_T2_jT3_P12ihipStream_tbPNSt15iterator_traitsISL_E10value_typeEPNSR_ISM_E10value_typeEPSN_NS1_7vsmem_tEENKUlT_SL_SM_SN_E_clIS8_S8_S9_S9_EESK_S10_SL_SM_SN_EUlS10_E1_NS1_11comp_targetILNS1_3genE2ELNS1_11target_archE906ELNS1_3gpuE6ELNS1_3repE0EEENS1_36merge_oddeven_config_static_selectorELNS0_4arch9wavefront6targetE0EEEvSM_.num_agpr, 0
	.set _ZN7rocprim17ROCPRIM_400000_NS6detail17trampoline_kernelINS0_14default_configENS1_38merge_sort_block_merge_config_selectorIlNS0_10empty_typeEEEZZNS1_27merge_sort_block_merge_implIS3_PlPS5_mZN2at6native12_GLOBAL__N_124unique_dim_cuda_templateIiEESt5tupleIJNSA_6TensorESF_SF_EERKSF_lbbbEUlllE_EE10hipError_tT0_T1_T2_jT3_P12ihipStream_tbPNSt15iterator_traitsISL_E10value_typeEPNSR_ISM_E10value_typeEPSN_NS1_7vsmem_tEENKUlT_SL_SM_SN_E_clIS8_S8_S9_S9_EESK_S10_SL_SM_SN_EUlS10_E1_NS1_11comp_targetILNS1_3genE2ELNS1_11target_archE906ELNS1_3gpuE6ELNS1_3repE0EEENS1_36merge_oddeven_config_static_selectorELNS0_4arch9wavefront6targetE0EEEvSM_.numbered_sgpr, 0
	.set _ZN7rocprim17ROCPRIM_400000_NS6detail17trampoline_kernelINS0_14default_configENS1_38merge_sort_block_merge_config_selectorIlNS0_10empty_typeEEEZZNS1_27merge_sort_block_merge_implIS3_PlPS5_mZN2at6native12_GLOBAL__N_124unique_dim_cuda_templateIiEESt5tupleIJNSA_6TensorESF_SF_EERKSF_lbbbEUlllE_EE10hipError_tT0_T1_T2_jT3_P12ihipStream_tbPNSt15iterator_traitsISL_E10value_typeEPNSR_ISM_E10value_typeEPSN_NS1_7vsmem_tEENKUlT_SL_SM_SN_E_clIS8_S8_S9_S9_EESK_S10_SL_SM_SN_EUlS10_E1_NS1_11comp_targetILNS1_3genE2ELNS1_11target_archE906ELNS1_3gpuE6ELNS1_3repE0EEENS1_36merge_oddeven_config_static_selectorELNS0_4arch9wavefront6targetE0EEEvSM_.num_named_barrier, 0
	.set _ZN7rocprim17ROCPRIM_400000_NS6detail17trampoline_kernelINS0_14default_configENS1_38merge_sort_block_merge_config_selectorIlNS0_10empty_typeEEEZZNS1_27merge_sort_block_merge_implIS3_PlPS5_mZN2at6native12_GLOBAL__N_124unique_dim_cuda_templateIiEESt5tupleIJNSA_6TensorESF_SF_EERKSF_lbbbEUlllE_EE10hipError_tT0_T1_T2_jT3_P12ihipStream_tbPNSt15iterator_traitsISL_E10value_typeEPNSR_ISM_E10value_typeEPSN_NS1_7vsmem_tEENKUlT_SL_SM_SN_E_clIS8_S8_S9_S9_EESK_S10_SL_SM_SN_EUlS10_E1_NS1_11comp_targetILNS1_3genE2ELNS1_11target_archE906ELNS1_3gpuE6ELNS1_3repE0EEENS1_36merge_oddeven_config_static_selectorELNS0_4arch9wavefront6targetE0EEEvSM_.private_seg_size, 0
	.set _ZN7rocprim17ROCPRIM_400000_NS6detail17trampoline_kernelINS0_14default_configENS1_38merge_sort_block_merge_config_selectorIlNS0_10empty_typeEEEZZNS1_27merge_sort_block_merge_implIS3_PlPS5_mZN2at6native12_GLOBAL__N_124unique_dim_cuda_templateIiEESt5tupleIJNSA_6TensorESF_SF_EERKSF_lbbbEUlllE_EE10hipError_tT0_T1_T2_jT3_P12ihipStream_tbPNSt15iterator_traitsISL_E10value_typeEPNSR_ISM_E10value_typeEPSN_NS1_7vsmem_tEENKUlT_SL_SM_SN_E_clIS8_S8_S9_S9_EESK_S10_SL_SM_SN_EUlS10_E1_NS1_11comp_targetILNS1_3genE2ELNS1_11target_archE906ELNS1_3gpuE6ELNS1_3repE0EEENS1_36merge_oddeven_config_static_selectorELNS0_4arch9wavefront6targetE0EEEvSM_.uses_vcc, 0
	.set _ZN7rocprim17ROCPRIM_400000_NS6detail17trampoline_kernelINS0_14default_configENS1_38merge_sort_block_merge_config_selectorIlNS0_10empty_typeEEEZZNS1_27merge_sort_block_merge_implIS3_PlPS5_mZN2at6native12_GLOBAL__N_124unique_dim_cuda_templateIiEESt5tupleIJNSA_6TensorESF_SF_EERKSF_lbbbEUlllE_EE10hipError_tT0_T1_T2_jT3_P12ihipStream_tbPNSt15iterator_traitsISL_E10value_typeEPNSR_ISM_E10value_typeEPSN_NS1_7vsmem_tEENKUlT_SL_SM_SN_E_clIS8_S8_S9_S9_EESK_S10_SL_SM_SN_EUlS10_E1_NS1_11comp_targetILNS1_3genE2ELNS1_11target_archE906ELNS1_3gpuE6ELNS1_3repE0EEENS1_36merge_oddeven_config_static_selectorELNS0_4arch9wavefront6targetE0EEEvSM_.uses_flat_scratch, 0
	.set _ZN7rocprim17ROCPRIM_400000_NS6detail17trampoline_kernelINS0_14default_configENS1_38merge_sort_block_merge_config_selectorIlNS0_10empty_typeEEEZZNS1_27merge_sort_block_merge_implIS3_PlPS5_mZN2at6native12_GLOBAL__N_124unique_dim_cuda_templateIiEESt5tupleIJNSA_6TensorESF_SF_EERKSF_lbbbEUlllE_EE10hipError_tT0_T1_T2_jT3_P12ihipStream_tbPNSt15iterator_traitsISL_E10value_typeEPNSR_ISM_E10value_typeEPSN_NS1_7vsmem_tEENKUlT_SL_SM_SN_E_clIS8_S8_S9_S9_EESK_S10_SL_SM_SN_EUlS10_E1_NS1_11comp_targetILNS1_3genE2ELNS1_11target_archE906ELNS1_3gpuE6ELNS1_3repE0EEENS1_36merge_oddeven_config_static_selectorELNS0_4arch9wavefront6targetE0EEEvSM_.has_dyn_sized_stack, 0
	.set _ZN7rocprim17ROCPRIM_400000_NS6detail17trampoline_kernelINS0_14default_configENS1_38merge_sort_block_merge_config_selectorIlNS0_10empty_typeEEEZZNS1_27merge_sort_block_merge_implIS3_PlPS5_mZN2at6native12_GLOBAL__N_124unique_dim_cuda_templateIiEESt5tupleIJNSA_6TensorESF_SF_EERKSF_lbbbEUlllE_EE10hipError_tT0_T1_T2_jT3_P12ihipStream_tbPNSt15iterator_traitsISL_E10value_typeEPNSR_ISM_E10value_typeEPSN_NS1_7vsmem_tEENKUlT_SL_SM_SN_E_clIS8_S8_S9_S9_EESK_S10_SL_SM_SN_EUlS10_E1_NS1_11comp_targetILNS1_3genE2ELNS1_11target_archE906ELNS1_3gpuE6ELNS1_3repE0EEENS1_36merge_oddeven_config_static_selectorELNS0_4arch9wavefront6targetE0EEEvSM_.has_recursion, 0
	.set _ZN7rocprim17ROCPRIM_400000_NS6detail17trampoline_kernelINS0_14default_configENS1_38merge_sort_block_merge_config_selectorIlNS0_10empty_typeEEEZZNS1_27merge_sort_block_merge_implIS3_PlPS5_mZN2at6native12_GLOBAL__N_124unique_dim_cuda_templateIiEESt5tupleIJNSA_6TensorESF_SF_EERKSF_lbbbEUlllE_EE10hipError_tT0_T1_T2_jT3_P12ihipStream_tbPNSt15iterator_traitsISL_E10value_typeEPNSR_ISM_E10value_typeEPSN_NS1_7vsmem_tEENKUlT_SL_SM_SN_E_clIS8_S8_S9_S9_EESK_S10_SL_SM_SN_EUlS10_E1_NS1_11comp_targetILNS1_3genE2ELNS1_11target_archE906ELNS1_3gpuE6ELNS1_3repE0EEENS1_36merge_oddeven_config_static_selectorELNS0_4arch9wavefront6targetE0EEEvSM_.has_indirect_call, 0
	.section	.AMDGPU.csdata,"",@progbits
; Kernel info:
; codeLenInByte = 0
; TotalNumSgprs: 0
; NumVgprs: 0
; ScratchSize: 0
; MemoryBound: 0
; FloatMode: 240
; IeeeMode: 1
; LDSByteSize: 0 bytes/workgroup (compile time only)
; SGPRBlocks: 0
; VGPRBlocks: 0
; NumSGPRsForWavesPerEU: 1
; NumVGPRsForWavesPerEU: 1
; NamedBarCnt: 0
; Occupancy: 16
; WaveLimiterHint : 0
; COMPUTE_PGM_RSRC2:SCRATCH_EN: 0
; COMPUTE_PGM_RSRC2:USER_SGPR: 2
; COMPUTE_PGM_RSRC2:TRAP_HANDLER: 0
; COMPUTE_PGM_RSRC2:TGID_X_EN: 1
; COMPUTE_PGM_RSRC2:TGID_Y_EN: 0
; COMPUTE_PGM_RSRC2:TGID_Z_EN: 0
; COMPUTE_PGM_RSRC2:TIDIG_COMP_CNT: 0
	.section	.text._ZN7rocprim17ROCPRIM_400000_NS6detail17trampoline_kernelINS0_14default_configENS1_38merge_sort_block_merge_config_selectorIlNS0_10empty_typeEEEZZNS1_27merge_sort_block_merge_implIS3_PlPS5_mZN2at6native12_GLOBAL__N_124unique_dim_cuda_templateIiEESt5tupleIJNSA_6TensorESF_SF_EERKSF_lbbbEUlllE_EE10hipError_tT0_T1_T2_jT3_P12ihipStream_tbPNSt15iterator_traitsISL_E10value_typeEPNSR_ISM_E10value_typeEPSN_NS1_7vsmem_tEENKUlT_SL_SM_SN_E_clIS8_S8_S9_S9_EESK_S10_SL_SM_SN_EUlS10_E1_NS1_11comp_targetILNS1_3genE9ELNS1_11target_archE1100ELNS1_3gpuE3ELNS1_3repE0EEENS1_36merge_oddeven_config_static_selectorELNS0_4arch9wavefront6targetE0EEEvSM_,"axG",@progbits,_ZN7rocprim17ROCPRIM_400000_NS6detail17trampoline_kernelINS0_14default_configENS1_38merge_sort_block_merge_config_selectorIlNS0_10empty_typeEEEZZNS1_27merge_sort_block_merge_implIS3_PlPS5_mZN2at6native12_GLOBAL__N_124unique_dim_cuda_templateIiEESt5tupleIJNSA_6TensorESF_SF_EERKSF_lbbbEUlllE_EE10hipError_tT0_T1_T2_jT3_P12ihipStream_tbPNSt15iterator_traitsISL_E10value_typeEPNSR_ISM_E10value_typeEPSN_NS1_7vsmem_tEENKUlT_SL_SM_SN_E_clIS8_S8_S9_S9_EESK_S10_SL_SM_SN_EUlS10_E1_NS1_11comp_targetILNS1_3genE9ELNS1_11target_archE1100ELNS1_3gpuE3ELNS1_3repE0EEENS1_36merge_oddeven_config_static_selectorELNS0_4arch9wavefront6targetE0EEEvSM_,comdat
	.globl	_ZN7rocprim17ROCPRIM_400000_NS6detail17trampoline_kernelINS0_14default_configENS1_38merge_sort_block_merge_config_selectorIlNS0_10empty_typeEEEZZNS1_27merge_sort_block_merge_implIS3_PlPS5_mZN2at6native12_GLOBAL__N_124unique_dim_cuda_templateIiEESt5tupleIJNSA_6TensorESF_SF_EERKSF_lbbbEUlllE_EE10hipError_tT0_T1_T2_jT3_P12ihipStream_tbPNSt15iterator_traitsISL_E10value_typeEPNSR_ISM_E10value_typeEPSN_NS1_7vsmem_tEENKUlT_SL_SM_SN_E_clIS8_S8_S9_S9_EESK_S10_SL_SM_SN_EUlS10_E1_NS1_11comp_targetILNS1_3genE9ELNS1_11target_archE1100ELNS1_3gpuE3ELNS1_3repE0EEENS1_36merge_oddeven_config_static_selectorELNS0_4arch9wavefront6targetE0EEEvSM_ ; -- Begin function _ZN7rocprim17ROCPRIM_400000_NS6detail17trampoline_kernelINS0_14default_configENS1_38merge_sort_block_merge_config_selectorIlNS0_10empty_typeEEEZZNS1_27merge_sort_block_merge_implIS3_PlPS5_mZN2at6native12_GLOBAL__N_124unique_dim_cuda_templateIiEESt5tupleIJNSA_6TensorESF_SF_EERKSF_lbbbEUlllE_EE10hipError_tT0_T1_T2_jT3_P12ihipStream_tbPNSt15iterator_traitsISL_E10value_typeEPNSR_ISM_E10value_typeEPSN_NS1_7vsmem_tEENKUlT_SL_SM_SN_E_clIS8_S8_S9_S9_EESK_S10_SL_SM_SN_EUlS10_E1_NS1_11comp_targetILNS1_3genE9ELNS1_11target_archE1100ELNS1_3gpuE3ELNS1_3repE0EEENS1_36merge_oddeven_config_static_selectorELNS0_4arch9wavefront6targetE0EEEvSM_
	.p2align	8
	.type	_ZN7rocprim17ROCPRIM_400000_NS6detail17trampoline_kernelINS0_14default_configENS1_38merge_sort_block_merge_config_selectorIlNS0_10empty_typeEEEZZNS1_27merge_sort_block_merge_implIS3_PlPS5_mZN2at6native12_GLOBAL__N_124unique_dim_cuda_templateIiEESt5tupleIJNSA_6TensorESF_SF_EERKSF_lbbbEUlllE_EE10hipError_tT0_T1_T2_jT3_P12ihipStream_tbPNSt15iterator_traitsISL_E10value_typeEPNSR_ISM_E10value_typeEPSN_NS1_7vsmem_tEENKUlT_SL_SM_SN_E_clIS8_S8_S9_S9_EESK_S10_SL_SM_SN_EUlS10_E1_NS1_11comp_targetILNS1_3genE9ELNS1_11target_archE1100ELNS1_3gpuE3ELNS1_3repE0EEENS1_36merge_oddeven_config_static_selectorELNS0_4arch9wavefront6targetE0EEEvSM_,@function
_ZN7rocprim17ROCPRIM_400000_NS6detail17trampoline_kernelINS0_14default_configENS1_38merge_sort_block_merge_config_selectorIlNS0_10empty_typeEEEZZNS1_27merge_sort_block_merge_implIS3_PlPS5_mZN2at6native12_GLOBAL__N_124unique_dim_cuda_templateIiEESt5tupleIJNSA_6TensorESF_SF_EERKSF_lbbbEUlllE_EE10hipError_tT0_T1_T2_jT3_P12ihipStream_tbPNSt15iterator_traitsISL_E10value_typeEPNSR_ISM_E10value_typeEPSN_NS1_7vsmem_tEENKUlT_SL_SM_SN_E_clIS8_S8_S9_S9_EESK_S10_SL_SM_SN_EUlS10_E1_NS1_11comp_targetILNS1_3genE9ELNS1_11target_archE1100ELNS1_3gpuE3ELNS1_3repE0EEENS1_36merge_oddeven_config_static_selectorELNS0_4arch9wavefront6targetE0EEEvSM_: ; @_ZN7rocprim17ROCPRIM_400000_NS6detail17trampoline_kernelINS0_14default_configENS1_38merge_sort_block_merge_config_selectorIlNS0_10empty_typeEEEZZNS1_27merge_sort_block_merge_implIS3_PlPS5_mZN2at6native12_GLOBAL__N_124unique_dim_cuda_templateIiEESt5tupleIJNSA_6TensorESF_SF_EERKSF_lbbbEUlllE_EE10hipError_tT0_T1_T2_jT3_P12ihipStream_tbPNSt15iterator_traitsISL_E10value_typeEPNSR_ISM_E10value_typeEPSN_NS1_7vsmem_tEENKUlT_SL_SM_SN_E_clIS8_S8_S9_S9_EESK_S10_SL_SM_SN_EUlS10_E1_NS1_11comp_targetILNS1_3genE9ELNS1_11target_archE1100ELNS1_3gpuE3ELNS1_3repE0EEENS1_36merge_oddeven_config_static_selectorELNS0_4arch9wavefront6targetE0EEEvSM_
; %bb.0:
	.section	.rodata,"a",@progbits
	.p2align	6, 0x0
	.amdhsa_kernel _ZN7rocprim17ROCPRIM_400000_NS6detail17trampoline_kernelINS0_14default_configENS1_38merge_sort_block_merge_config_selectorIlNS0_10empty_typeEEEZZNS1_27merge_sort_block_merge_implIS3_PlPS5_mZN2at6native12_GLOBAL__N_124unique_dim_cuda_templateIiEESt5tupleIJNSA_6TensorESF_SF_EERKSF_lbbbEUlllE_EE10hipError_tT0_T1_T2_jT3_P12ihipStream_tbPNSt15iterator_traitsISL_E10value_typeEPNSR_ISM_E10value_typeEPSN_NS1_7vsmem_tEENKUlT_SL_SM_SN_E_clIS8_S8_S9_S9_EESK_S10_SL_SM_SN_EUlS10_E1_NS1_11comp_targetILNS1_3genE9ELNS1_11target_archE1100ELNS1_3gpuE3ELNS1_3repE0EEENS1_36merge_oddeven_config_static_selectorELNS0_4arch9wavefront6targetE0EEEvSM_
		.amdhsa_group_segment_fixed_size 0
		.amdhsa_private_segment_fixed_size 0
		.amdhsa_kernarg_size 64
		.amdhsa_user_sgpr_count 2
		.amdhsa_user_sgpr_dispatch_ptr 0
		.amdhsa_user_sgpr_queue_ptr 0
		.amdhsa_user_sgpr_kernarg_segment_ptr 1
		.amdhsa_user_sgpr_dispatch_id 0
		.amdhsa_user_sgpr_kernarg_preload_length 0
		.amdhsa_user_sgpr_kernarg_preload_offset 0
		.amdhsa_user_sgpr_private_segment_size 0
		.amdhsa_wavefront_size32 1
		.amdhsa_uses_dynamic_stack 0
		.amdhsa_enable_private_segment 0
		.amdhsa_system_sgpr_workgroup_id_x 1
		.amdhsa_system_sgpr_workgroup_id_y 0
		.amdhsa_system_sgpr_workgroup_id_z 0
		.amdhsa_system_sgpr_workgroup_info 0
		.amdhsa_system_vgpr_workitem_id 0
		.amdhsa_next_free_vgpr 1
		.amdhsa_next_free_sgpr 1
		.amdhsa_named_barrier_count 0
		.amdhsa_reserve_vcc 0
		.amdhsa_float_round_mode_32 0
		.amdhsa_float_round_mode_16_64 0
		.amdhsa_float_denorm_mode_32 3
		.amdhsa_float_denorm_mode_16_64 3
		.amdhsa_fp16_overflow 0
		.amdhsa_memory_ordered 1
		.amdhsa_forward_progress 1
		.amdhsa_inst_pref_size 0
		.amdhsa_round_robin_scheduling 0
		.amdhsa_exception_fp_ieee_invalid_op 0
		.amdhsa_exception_fp_denorm_src 0
		.amdhsa_exception_fp_ieee_div_zero 0
		.amdhsa_exception_fp_ieee_overflow 0
		.amdhsa_exception_fp_ieee_underflow 0
		.amdhsa_exception_fp_ieee_inexact 0
		.amdhsa_exception_int_div_zero 0
	.end_amdhsa_kernel
	.section	.text._ZN7rocprim17ROCPRIM_400000_NS6detail17trampoline_kernelINS0_14default_configENS1_38merge_sort_block_merge_config_selectorIlNS0_10empty_typeEEEZZNS1_27merge_sort_block_merge_implIS3_PlPS5_mZN2at6native12_GLOBAL__N_124unique_dim_cuda_templateIiEESt5tupleIJNSA_6TensorESF_SF_EERKSF_lbbbEUlllE_EE10hipError_tT0_T1_T2_jT3_P12ihipStream_tbPNSt15iterator_traitsISL_E10value_typeEPNSR_ISM_E10value_typeEPSN_NS1_7vsmem_tEENKUlT_SL_SM_SN_E_clIS8_S8_S9_S9_EESK_S10_SL_SM_SN_EUlS10_E1_NS1_11comp_targetILNS1_3genE9ELNS1_11target_archE1100ELNS1_3gpuE3ELNS1_3repE0EEENS1_36merge_oddeven_config_static_selectorELNS0_4arch9wavefront6targetE0EEEvSM_,"axG",@progbits,_ZN7rocprim17ROCPRIM_400000_NS6detail17trampoline_kernelINS0_14default_configENS1_38merge_sort_block_merge_config_selectorIlNS0_10empty_typeEEEZZNS1_27merge_sort_block_merge_implIS3_PlPS5_mZN2at6native12_GLOBAL__N_124unique_dim_cuda_templateIiEESt5tupleIJNSA_6TensorESF_SF_EERKSF_lbbbEUlllE_EE10hipError_tT0_T1_T2_jT3_P12ihipStream_tbPNSt15iterator_traitsISL_E10value_typeEPNSR_ISM_E10value_typeEPSN_NS1_7vsmem_tEENKUlT_SL_SM_SN_E_clIS8_S8_S9_S9_EESK_S10_SL_SM_SN_EUlS10_E1_NS1_11comp_targetILNS1_3genE9ELNS1_11target_archE1100ELNS1_3gpuE3ELNS1_3repE0EEENS1_36merge_oddeven_config_static_selectorELNS0_4arch9wavefront6targetE0EEEvSM_,comdat
.Lfunc_end414:
	.size	_ZN7rocprim17ROCPRIM_400000_NS6detail17trampoline_kernelINS0_14default_configENS1_38merge_sort_block_merge_config_selectorIlNS0_10empty_typeEEEZZNS1_27merge_sort_block_merge_implIS3_PlPS5_mZN2at6native12_GLOBAL__N_124unique_dim_cuda_templateIiEESt5tupleIJNSA_6TensorESF_SF_EERKSF_lbbbEUlllE_EE10hipError_tT0_T1_T2_jT3_P12ihipStream_tbPNSt15iterator_traitsISL_E10value_typeEPNSR_ISM_E10value_typeEPSN_NS1_7vsmem_tEENKUlT_SL_SM_SN_E_clIS8_S8_S9_S9_EESK_S10_SL_SM_SN_EUlS10_E1_NS1_11comp_targetILNS1_3genE9ELNS1_11target_archE1100ELNS1_3gpuE3ELNS1_3repE0EEENS1_36merge_oddeven_config_static_selectorELNS0_4arch9wavefront6targetE0EEEvSM_, .Lfunc_end414-_ZN7rocprim17ROCPRIM_400000_NS6detail17trampoline_kernelINS0_14default_configENS1_38merge_sort_block_merge_config_selectorIlNS0_10empty_typeEEEZZNS1_27merge_sort_block_merge_implIS3_PlPS5_mZN2at6native12_GLOBAL__N_124unique_dim_cuda_templateIiEESt5tupleIJNSA_6TensorESF_SF_EERKSF_lbbbEUlllE_EE10hipError_tT0_T1_T2_jT3_P12ihipStream_tbPNSt15iterator_traitsISL_E10value_typeEPNSR_ISM_E10value_typeEPSN_NS1_7vsmem_tEENKUlT_SL_SM_SN_E_clIS8_S8_S9_S9_EESK_S10_SL_SM_SN_EUlS10_E1_NS1_11comp_targetILNS1_3genE9ELNS1_11target_archE1100ELNS1_3gpuE3ELNS1_3repE0EEENS1_36merge_oddeven_config_static_selectorELNS0_4arch9wavefront6targetE0EEEvSM_
                                        ; -- End function
	.set _ZN7rocprim17ROCPRIM_400000_NS6detail17trampoline_kernelINS0_14default_configENS1_38merge_sort_block_merge_config_selectorIlNS0_10empty_typeEEEZZNS1_27merge_sort_block_merge_implIS3_PlPS5_mZN2at6native12_GLOBAL__N_124unique_dim_cuda_templateIiEESt5tupleIJNSA_6TensorESF_SF_EERKSF_lbbbEUlllE_EE10hipError_tT0_T1_T2_jT3_P12ihipStream_tbPNSt15iterator_traitsISL_E10value_typeEPNSR_ISM_E10value_typeEPSN_NS1_7vsmem_tEENKUlT_SL_SM_SN_E_clIS8_S8_S9_S9_EESK_S10_SL_SM_SN_EUlS10_E1_NS1_11comp_targetILNS1_3genE9ELNS1_11target_archE1100ELNS1_3gpuE3ELNS1_3repE0EEENS1_36merge_oddeven_config_static_selectorELNS0_4arch9wavefront6targetE0EEEvSM_.num_vgpr, 0
	.set _ZN7rocprim17ROCPRIM_400000_NS6detail17trampoline_kernelINS0_14default_configENS1_38merge_sort_block_merge_config_selectorIlNS0_10empty_typeEEEZZNS1_27merge_sort_block_merge_implIS3_PlPS5_mZN2at6native12_GLOBAL__N_124unique_dim_cuda_templateIiEESt5tupleIJNSA_6TensorESF_SF_EERKSF_lbbbEUlllE_EE10hipError_tT0_T1_T2_jT3_P12ihipStream_tbPNSt15iterator_traitsISL_E10value_typeEPNSR_ISM_E10value_typeEPSN_NS1_7vsmem_tEENKUlT_SL_SM_SN_E_clIS8_S8_S9_S9_EESK_S10_SL_SM_SN_EUlS10_E1_NS1_11comp_targetILNS1_3genE9ELNS1_11target_archE1100ELNS1_3gpuE3ELNS1_3repE0EEENS1_36merge_oddeven_config_static_selectorELNS0_4arch9wavefront6targetE0EEEvSM_.num_agpr, 0
	.set _ZN7rocprim17ROCPRIM_400000_NS6detail17trampoline_kernelINS0_14default_configENS1_38merge_sort_block_merge_config_selectorIlNS0_10empty_typeEEEZZNS1_27merge_sort_block_merge_implIS3_PlPS5_mZN2at6native12_GLOBAL__N_124unique_dim_cuda_templateIiEESt5tupleIJNSA_6TensorESF_SF_EERKSF_lbbbEUlllE_EE10hipError_tT0_T1_T2_jT3_P12ihipStream_tbPNSt15iterator_traitsISL_E10value_typeEPNSR_ISM_E10value_typeEPSN_NS1_7vsmem_tEENKUlT_SL_SM_SN_E_clIS8_S8_S9_S9_EESK_S10_SL_SM_SN_EUlS10_E1_NS1_11comp_targetILNS1_3genE9ELNS1_11target_archE1100ELNS1_3gpuE3ELNS1_3repE0EEENS1_36merge_oddeven_config_static_selectorELNS0_4arch9wavefront6targetE0EEEvSM_.numbered_sgpr, 0
	.set _ZN7rocprim17ROCPRIM_400000_NS6detail17trampoline_kernelINS0_14default_configENS1_38merge_sort_block_merge_config_selectorIlNS0_10empty_typeEEEZZNS1_27merge_sort_block_merge_implIS3_PlPS5_mZN2at6native12_GLOBAL__N_124unique_dim_cuda_templateIiEESt5tupleIJNSA_6TensorESF_SF_EERKSF_lbbbEUlllE_EE10hipError_tT0_T1_T2_jT3_P12ihipStream_tbPNSt15iterator_traitsISL_E10value_typeEPNSR_ISM_E10value_typeEPSN_NS1_7vsmem_tEENKUlT_SL_SM_SN_E_clIS8_S8_S9_S9_EESK_S10_SL_SM_SN_EUlS10_E1_NS1_11comp_targetILNS1_3genE9ELNS1_11target_archE1100ELNS1_3gpuE3ELNS1_3repE0EEENS1_36merge_oddeven_config_static_selectorELNS0_4arch9wavefront6targetE0EEEvSM_.num_named_barrier, 0
	.set _ZN7rocprim17ROCPRIM_400000_NS6detail17trampoline_kernelINS0_14default_configENS1_38merge_sort_block_merge_config_selectorIlNS0_10empty_typeEEEZZNS1_27merge_sort_block_merge_implIS3_PlPS5_mZN2at6native12_GLOBAL__N_124unique_dim_cuda_templateIiEESt5tupleIJNSA_6TensorESF_SF_EERKSF_lbbbEUlllE_EE10hipError_tT0_T1_T2_jT3_P12ihipStream_tbPNSt15iterator_traitsISL_E10value_typeEPNSR_ISM_E10value_typeEPSN_NS1_7vsmem_tEENKUlT_SL_SM_SN_E_clIS8_S8_S9_S9_EESK_S10_SL_SM_SN_EUlS10_E1_NS1_11comp_targetILNS1_3genE9ELNS1_11target_archE1100ELNS1_3gpuE3ELNS1_3repE0EEENS1_36merge_oddeven_config_static_selectorELNS0_4arch9wavefront6targetE0EEEvSM_.private_seg_size, 0
	.set _ZN7rocprim17ROCPRIM_400000_NS6detail17trampoline_kernelINS0_14default_configENS1_38merge_sort_block_merge_config_selectorIlNS0_10empty_typeEEEZZNS1_27merge_sort_block_merge_implIS3_PlPS5_mZN2at6native12_GLOBAL__N_124unique_dim_cuda_templateIiEESt5tupleIJNSA_6TensorESF_SF_EERKSF_lbbbEUlllE_EE10hipError_tT0_T1_T2_jT3_P12ihipStream_tbPNSt15iterator_traitsISL_E10value_typeEPNSR_ISM_E10value_typeEPSN_NS1_7vsmem_tEENKUlT_SL_SM_SN_E_clIS8_S8_S9_S9_EESK_S10_SL_SM_SN_EUlS10_E1_NS1_11comp_targetILNS1_3genE9ELNS1_11target_archE1100ELNS1_3gpuE3ELNS1_3repE0EEENS1_36merge_oddeven_config_static_selectorELNS0_4arch9wavefront6targetE0EEEvSM_.uses_vcc, 0
	.set _ZN7rocprim17ROCPRIM_400000_NS6detail17trampoline_kernelINS0_14default_configENS1_38merge_sort_block_merge_config_selectorIlNS0_10empty_typeEEEZZNS1_27merge_sort_block_merge_implIS3_PlPS5_mZN2at6native12_GLOBAL__N_124unique_dim_cuda_templateIiEESt5tupleIJNSA_6TensorESF_SF_EERKSF_lbbbEUlllE_EE10hipError_tT0_T1_T2_jT3_P12ihipStream_tbPNSt15iterator_traitsISL_E10value_typeEPNSR_ISM_E10value_typeEPSN_NS1_7vsmem_tEENKUlT_SL_SM_SN_E_clIS8_S8_S9_S9_EESK_S10_SL_SM_SN_EUlS10_E1_NS1_11comp_targetILNS1_3genE9ELNS1_11target_archE1100ELNS1_3gpuE3ELNS1_3repE0EEENS1_36merge_oddeven_config_static_selectorELNS0_4arch9wavefront6targetE0EEEvSM_.uses_flat_scratch, 0
	.set _ZN7rocprim17ROCPRIM_400000_NS6detail17trampoline_kernelINS0_14default_configENS1_38merge_sort_block_merge_config_selectorIlNS0_10empty_typeEEEZZNS1_27merge_sort_block_merge_implIS3_PlPS5_mZN2at6native12_GLOBAL__N_124unique_dim_cuda_templateIiEESt5tupleIJNSA_6TensorESF_SF_EERKSF_lbbbEUlllE_EE10hipError_tT0_T1_T2_jT3_P12ihipStream_tbPNSt15iterator_traitsISL_E10value_typeEPNSR_ISM_E10value_typeEPSN_NS1_7vsmem_tEENKUlT_SL_SM_SN_E_clIS8_S8_S9_S9_EESK_S10_SL_SM_SN_EUlS10_E1_NS1_11comp_targetILNS1_3genE9ELNS1_11target_archE1100ELNS1_3gpuE3ELNS1_3repE0EEENS1_36merge_oddeven_config_static_selectorELNS0_4arch9wavefront6targetE0EEEvSM_.has_dyn_sized_stack, 0
	.set _ZN7rocprim17ROCPRIM_400000_NS6detail17trampoline_kernelINS0_14default_configENS1_38merge_sort_block_merge_config_selectorIlNS0_10empty_typeEEEZZNS1_27merge_sort_block_merge_implIS3_PlPS5_mZN2at6native12_GLOBAL__N_124unique_dim_cuda_templateIiEESt5tupleIJNSA_6TensorESF_SF_EERKSF_lbbbEUlllE_EE10hipError_tT0_T1_T2_jT3_P12ihipStream_tbPNSt15iterator_traitsISL_E10value_typeEPNSR_ISM_E10value_typeEPSN_NS1_7vsmem_tEENKUlT_SL_SM_SN_E_clIS8_S8_S9_S9_EESK_S10_SL_SM_SN_EUlS10_E1_NS1_11comp_targetILNS1_3genE9ELNS1_11target_archE1100ELNS1_3gpuE3ELNS1_3repE0EEENS1_36merge_oddeven_config_static_selectorELNS0_4arch9wavefront6targetE0EEEvSM_.has_recursion, 0
	.set _ZN7rocprim17ROCPRIM_400000_NS6detail17trampoline_kernelINS0_14default_configENS1_38merge_sort_block_merge_config_selectorIlNS0_10empty_typeEEEZZNS1_27merge_sort_block_merge_implIS3_PlPS5_mZN2at6native12_GLOBAL__N_124unique_dim_cuda_templateIiEESt5tupleIJNSA_6TensorESF_SF_EERKSF_lbbbEUlllE_EE10hipError_tT0_T1_T2_jT3_P12ihipStream_tbPNSt15iterator_traitsISL_E10value_typeEPNSR_ISM_E10value_typeEPSN_NS1_7vsmem_tEENKUlT_SL_SM_SN_E_clIS8_S8_S9_S9_EESK_S10_SL_SM_SN_EUlS10_E1_NS1_11comp_targetILNS1_3genE9ELNS1_11target_archE1100ELNS1_3gpuE3ELNS1_3repE0EEENS1_36merge_oddeven_config_static_selectorELNS0_4arch9wavefront6targetE0EEEvSM_.has_indirect_call, 0
	.section	.AMDGPU.csdata,"",@progbits
; Kernel info:
; codeLenInByte = 0
; TotalNumSgprs: 0
; NumVgprs: 0
; ScratchSize: 0
; MemoryBound: 0
; FloatMode: 240
; IeeeMode: 1
; LDSByteSize: 0 bytes/workgroup (compile time only)
; SGPRBlocks: 0
; VGPRBlocks: 0
; NumSGPRsForWavesPerEU: 1
; NumVGPRsForWavesPerEU: 1
; NamedBarCnt: 0
; Occupancy: 16
; WaveLimiterHint : 0
; COMPUTE_PGM_RSRC2:SCRATCH_EN: 0
; COMPUTE_PGM_RSRC2:USER_SGPR: 2
; COMPUTE_PGM_RSRC2:TRAP_HANDLER: 0
; COMPUTE_PGM_RSRC2:TGID_X_EN: 1
; COMPUTE_PGM_RSRC2:TGID_Y_EN: 0
; COMPUTE_PGM_RSRC2:TGID_Z_EN: 0
; COMPUTE_PGM_RSRC2:TIDIG_COMP_CNT: 0
	.section	.text._ZN7rocprim17ROCPRIM_400000_NS6detail17trampoline_kernelINS0_14default_configENS1_38merge_sort_block_merge_config_selectorIlNS0_10empty_typeEEEZZNS1_27merge_sort_block_merge_implIS3_PlPS5_mZN2at6native12_GLOBAL__N_124unique_dim_cuda_templateIiEESt5tupleIJNSA_6TensorESF_SF_EERKSF_lbbbEUlllE_EE10hipError_tT0_T1_T2_jT3_P12ihipStream_tbPNSt15iterator_traitsISL_E10value_typeEPNSR_ISM_E10value_typeEPSN_NS1_7vsmem_tEENKUlT_SL_SM_SN_E_clIS8_S8_S9_S9_EESK_S10_SL_SM_SN_EUlS10_E1_NS1_11comp_targetILNS1_3genE8ELNS1_11target_archE1030ELNS1_3gpuE2ELNS1_3repE0EEENS1_36merge_oddeven_config_static_selectorELNS0_4arch9wavefront6targetE0EEEvSM_,"axG",@progbits,_ZN7rocprim17ROCPRIM_400000_NS6detail17trampoline_kernelINS0_14default_configENS1_38merge_sort_block_merge_config_selectorIlNS0_10empty_typeEEEZZNS1_27merge_sort_block_merge_implIS3_PlPS5_mZN2at6native12_GLOBAL__N_124unique_dim_cuda_templateIiEESt5tupleIJNSA_6TensorESF_SF_EERKSF_lbbbEUlllE_EE10hipError_tT0_T1_T2_jT3_P12ihipStream_tbPNSt15iterator_traitsISL_E10value_typeEPNSR_ISM_E10value_typeEPSN_NS1_7vsmem_tEENKUlT_SL_SM_SN_E_clIS8_S8_S9_S9_EESK_S10_SL_SM_SN_EUlS10_E1_NS1_11comp_targetILNS1_3genE8ELNS1_11target_archE1030ELNS1_3gpuE2ELNS1_3repE0EEENS1_36merge_oddeven_config_static_selectorELNS0_4arch9wavefront6targetE0EEEvSM_,comdat
	.globl	_ZN7rocprim17ROCPRIM_400000_NS6detail17trampoline_kernelINS0_14default_configENS1_38merge_sort_block_merge_config_selectorIlNS0_10empty_typeEEEZZNS1_27merge_sort_block_merge_implIS3_PlPS5_mZN2at6native12_GLOBAL__N_124unique_dim_cuda_templateIiEESt5tupleIJNSA_6TensorESF_SF_EERKSF_lbbbEUlllE_EE10hipError_tT0_T1_T2_jT3_P12ihipStream_tbPNSt15iterator_traitsISL_E10value_typeEPNSR_ISM_E10value_typeEPSN_NS1_7vsmem_tEENKUlT_SL_SM_SN_E_clIS8_S8_S9_S9_EESK_S10_SL_SM_SN_EUlS10_E1_NS1_11comp_targetILNS1_3genE8ELNS1_11target_archE1030ELNS1_3gpuE2ELNS1_3repE0EEENS1_36merge_oddeven_config_static_selectorELNS0_4arch9wavefront6targetE0EEEvSM_ ; -- Begin function _ZN7rocprim17ROCPRIM_400000_NS6detail17trampoline_kernelINS0_14default_configENS1_38merge_sort_block_merge_config_selectorIlNS0_10empty_typeEEEZZNS1_27merge_sort_block_merge_implIS3_PlPS5_mZN2at6native12_GLOBAL__N_124unique_dim_cuda_templateIiEESt5tupleIJNSA_6TensorESF_SF_EERKSF_lbbbEUlllE_EE10hipError_tT0_T1_T2_jT3_P12ihipStream_tbPNSt15iterator_traitsISL_E10value_typeEPNSR_ISM_E10value_typeEPSN_NS1_7vsmem_tEENKUlT_SL_SM_SN_E_clIS8_S8_S9_S9_EESK_S10_SL_SM_SN_EUlS10_E1_NS1_11comp_targetILNS1_3genE8ELNS1_11target_archE1030ELNS1_3gpuE2ELNS1_3repE0EEENS1_36merge_oddeven_config_static_selectorELNS0_4arch9wavefront6targetE0EEEvSM_
	.p2align	8
	.type	_ZN7rocprim17ROCPRIM_400000_NS6detail17trampoline_kernelINS0_14default_configENS1_38merge_sort_block_merge_config_selectorIlNS0_10empty_typeEEEZZNS1_27merge_sort_block_merge_implIS3_PlPS5_mZN2at6native12_GLOBAL__N_124unique_dim_cuda_templateIiEESt5tupleIJNSA_6TensorESF_SF_EERKSF_lbbbEUlllE_EE10hipError_tT0_T1_T2_jT3_P12ihipStream_tbPNSt15iterator_traitsISL_E10value_typeEPNSR_ISM_E10value_typeEPSN_NS1_7vsmem_tEENKUlT_SL_SM_SN_E_clIS8_S8_S9_S9_EESK_S10_SL_SM_SN_EUlS10_E1_NS1_11comp_targetILNS1_3genE8ELNS1_11target_archE1030ELNS1_3gpuE2ELNS1_3repE0EEENS1_36merge_oddeven_config_static_selectorELNS0_4arch9wavefront6targetE0EEEvSM_,@function
_ZN7rocprim17ROCPRIM_400000_NS6detail17trampoline_kernelINS0_14default_configENS1_38merge_sort_block_merge_config_selectorIlNS0_10empty_typeEEEZZNS1_27merge_sort_block_merge_implIS3_PlPS5_mZN2at6native12_GLOBAL__N_124unique_dim_cuda_templateIiEESt5tupleIJNSA_6TensorESF_SF_EERKSF_lbbbEUlllE_EE10hipError_tT0_T1_T2_jT3_P12ihipStream_tbPNSt15iterator_traitsISL_E10value_typeEPNSR_ISM_E10value_typeEPSN_NS1_7vsmem_tEENKUlT_SL_SM_SN_E_clIS8_S8_S9_S9_EESK_S10_SL_SM_SN_EUlS10_E1_NS1_11comp_targetILNS1_3genE8ELNS1_11target_archE1030ELNS1_3gpuE2ELNS1_3repE0EEENS1_36merge_oddeven_config_static_selectorELNS0_4arch9wavefront6targetE0EEEvSM_: ; @_ZN7rocprim17ROCPRIM_400000_NS6detail17trampoline_kernelINS0_14default_configENS1_38merge_sort_block_merge_config_selectorIlNS0_10empty_typeEEEZZNS1_27merge_sort_block_merge_implIS3_PlPS5_mZN2at6native12_GLOBAL__N_124unique_dim_cuda_templateIiEESt5tupleIJNSA_6TensorESF_SF_EERKSF_lbbbEUlllE_EE10hipError_tT0_T1_T2_jT3_P12ihipStream_tbPNSt15iterator_traitsISL_E10value_typeEPNSR_ISM_E10value_typeEPSN_NS1_7vsmem_tEENKUlT_SL_SM_SN_E_clIS8_S8_S9_S9_EESK_S10_SL_SM_SN_EUlS10_E1_NS1_11comp_targetILNS1_3genE8ELNS1_11target_archE1030ELNS1_3gpuE2ELNS1_3repE0EEENS1_36merge_oddeven_config_static_selectorELNS0_4arch9wavefront6targetE0EEEvSM_
; %bb.0:
	.section	.rodata,"a",@progbits
	.p2align	6, 0x0
	.amdhsa_kernel _ZN7rocprim17ROCPRIM_400000_NS6detail17trampoline_kernelINS0_14default_configENS1_38merge_sort_block_merge_config_selectorIlNS0_10empty_typeEEEZZNS1_27merge_sort_block_merge_implIS3_PlPS5_mZN2at6native12_GLOBAL__N_124unique_dim_cuda_templateIiEESt5tupleIJNSA_6TensorESF_SF_EERKSF_lbbbEUlllE_EE10hipError_tT0_T1_T2_jT3_P12ihipStream_tbPNSt15iterator_traitsISL_E10value_typeEPNSR_ISM_E10value_typeEPSN_NS1_7vsmem_tEENKUlT_SL_SM_SN_E_clIS8_S8_S9_S9_EESK_S10_SL_SM_SN_EUlS10_E1_NS1_11comp_targetILNS1_3genE8ELNS1_11target_archE1030ELNS1_3gpuE2ELNS1_3repE0EEENS1_36merge_oddeven_config_static_selectorELNS0_4arch9wavefront6targetE0EEEvSM_
		.amdhsa_group_segment_fixed_size 0
		.amdhsa_private_segment_fixed_size 0
		.amdhsa_kernarg_size 64
		.amdhsa_user_sgpr_count 2
		.amdhsa_user_sgpr_dispatch_ptr 0
		.amdhsa_user_sgpr_queue_ptr 0
		.amdhsa_user_sgpr_kernarg_segment_ptr 1
		.amdhsa_user_sgpr_dispatch_id 0
		.amdhsa_user_sgpr_kernarg_preload_length 0
		.amdhsa_user_sgpr_kernarg_preload_offset 0
		.amdhsa_user_sgpr_private_segment_size 0
		.amdhsa_wavefront_size32 1
		.amdhsa_uses_dynamic_stack 0
		.amdhsa_enable_private_segment 0
		.amdhsa_system_sgpr_workgroup_id_x 1
		.amdhsa_system_sgpr_workgroup_id_y 0
		.amdhsa_system_sgpr_workgroup_id_z 0
		.amdhsa_system_sgpr_workgroup_info 0
		.amdhsa_system_vgpr_workitem_id 0
		.amdhsa_next_free_vgpr 1
		.amdhsa_next_free_sgpr 1
		.amdhsa_named_barrier_count 0
		.amdhsa_reserve_vcc 0
		.amdhsa_float_round_mode_32 0
		.amdhsa_float_round_mode_16_64 0
		.amdhsa_float_denorm_mode_32 3
		.amdhsa_float_denorm_mode_16_64 3
		.amdhsa_fp16_overflow 0
		.amdhsa_memory_ordered 1
		.amdhsa_forward_progress 1
		.amdhsa_inst_pref_size 0
		.amdhsa_round_robin_scheduling 0
		.amdhsa_exception_fp_ieee_invalid_op 0
		.amdhsa_exception_fp_denorm_src 0
		.amdhsa_exception_fp_ieee_div_zero 0
		.amdhsa_exception_fp_ieee_overflow 0
		.amdhsa_exception_fp_ieee_underflow 0
		.amdhsa_exception_fp_ieee_inexact 0
		.amdhsa_exception_int_div_zero 0
	.end_amdhsa_kernel
	.section	.text._ZN7rocprim17ROCPRIM_400000_NS6detail17trampoline_kernelINS0_14default_configENS1_38merge_sort_block_merge_config_selectorIlNS0_10empty_typeEEEZZNS1_27merge_sort_block_merge_implIS3_PlPS5_mZN2at6native12_GLOBAL__N_124unique_dim_cuda_templateIiEESt5tupleIJNSA_6TensorESF_SF_EERKSF_lbbbEUlllE_EE10hipError_tT0_T1_T2_jT3_P12ihipStream_tbPNSt15iterator_traitsISL_E10value_typeEPNSR_ISM_E10value_typeEPSN_NS1_7vsmem_tEENKUlT_SL_SM_SN_E_clIS8_S8_S9_S9_EESK_S10_SL_SM_SN_EUlS10_E1_NS1_11comp_targetILNS1_3genE8ELNS1_11target_archE1030ELNS1_3gpuE2ELNS1_3repE0EEENS1_36merge_oddeven_config_static_selectorELNS0_4arch9wavefront6targetE0EEEvSM_,"axG",@progbits,_ZN7rocprim17ROCPRIM_400000_NS6detail17trampoline_kernelINS0_14default_configENS1_38merge_sort_block_merge_config_selectorIlNS0_10empty_typeEEEZZNS1_27merge_sort_block_merge_implIS3_PlPS5_mZN2at6native12_GLOBAL__N_124unique_dim_cuda_templateIiEESt5tupleIJNSA_6TensorESF_SF_EERKSF_lbbbEUlllE_EE10hipError_tT0_T1_T2_jT3_P12ihipStream_tbPNSt15iterator_traitsISL_E10value_typeEPNSR_ISM_E10value_typeEPSN_NS1_7vsmem_tEENKUlT_SL_SM_SN_E_clIS8_S8_S9_S9_EESK_S10_SL_SM_SN_EUlS10_E1_NS1_11comp_targetILNS1_3genE8ELNS1_11target_archE1030ELNS1_3gpuE2ELNS1_3repE0EEENS1_36merge_oddeven_config_static_selectorELNS0_4arch9wavefront6targetE0EEEvSM_,comdat
.Lfunc_end415:
	.size	_ZN7rocprim17ROCPRIM_400000_NS6detail17trampoline_kernelINS0_14default_configENS1_38merge_sort_block_merge_config_selectorIlNS0_10empty_typeEEEZZNS1_27merge_sort_block_merge_implIS3_PlPS5_mZN2at6native12_GLOBAL__N_124unique_dim_cuda_templateIiEESt5tupleIJNSA_6TensorESF_SF_EERKSF_lbbbEUlllE_EE10hipError_tT0_T1_T2_jT3_P12ihipStream_tbPNSt15iterator_traitsISL_E10value_typeEPNSR_ISM_E10value_typeEPSN_NS1_7vsmem_tEENKUlT_SL_SM_SN_E_clIS8_S8_S9_S9_EESK_S10_SL_SM_SN_EUlS10_E1_NS1_11comp_targetILNS1_3genE8ELNS1_11target_archE1030ELNS1_3gpuE2ELNS1_3repE0EEENS1_36merge_oddeven_config_static_selectorELNS0_4arch9wavefront6targetE0EEEvSM_, .Lfunc_end415-_ZN7rocprim17ROCPRIM_400000_NS6detail17trampoline_kernelINS0_14default_configENS1_38merge_sort_block_merge_config_selectorIlNS0_10empty_typeEEEZZNS1_27merge_sort_block_merge_implIS3_PlPS5_mZN2at6native12_GLOBAL__N_124unique_dim_cuda_templateIiEESt5tupleIJNSA_6TensorESF_SF_EERKSF_lbbbEUlllE_EE10hipError_tT0_T1_T2_jT3_P12ihipStream_tbPNSt15iterator_traitsISL_E10value_typeEPNSR_ISM_E10value_typeEPSN_NS1_7vsmem_tEENKUlT_SL_SM_SN_E_clIS8_S8_S9_S9_EESK_S10_SL_SM_SN_EUlS10_E1_NS1_11comp_targetILNS1_3genE8ELNS1_11target_archE1030ELNS1_3gpuE2ELNS1_3repE0EEENS1_36merge_oddeven_config_static_selectorELNS0_4arch9wavefront6targetE0EEEvSM_
                                        ; -- End function
	.set _ZN7rocprim17ROCPRIM_400000_NS6detail17trampoline_kernelINS0_14default_configENS1_38merge_sort_block_merge_config_selectorIlNS0_10empty_typeEEEZZNS1_27merge_sort_block_merge_implIS3_PlPS5_mZN2at6native12_GLOBAL__N_124unique_dim_cuda_templateIiEESt5tupleIJNSA_6TensorESF_SF_EERKSF_lbbbEUlllE_EE10hipError_tT0_T1_T2_jT3_P12ihipStream_tbPNSt15iterator_traitsISL_E10value_typeEPNSR_ISM_E10value_typeEPSN_NS1_7vsmem_tEENKUlT_SL_SM_SN_E_clIS8_S8_S9_S9_EESK_S10_SL_SM_SN_EUlS10_E1_NS1_11comp_targetILNS1_3genE8ELNS1_11target_archE1030ELNS1_3gpuE2ELNS1_3repE0EEENS1_36merge_oddeven_config_static_selectorELNS0_4arch9wavefront6targetE0EEEvSM_.num_vgpr, 0
	.set _ZN7rocprim17ROCPRIM_400000_NS6detail17trampoline_kernelINS0_14default_configENS1_38merge_sort_block_merge_config_selectorIlNS0_10empty_typeEEEZZNS1_27merge_sort_block_merge_implIS3_PlPS5_mZN2at6native12_GLOBAL__N_124unique_dim_cuda_templateIiEESt5tupleIJNSA_6TensorESF_SF_EERKSF_lbbbEUlllE_EE10hipError_tT0_T1_T2_jT3_P12ihipStream_tbPNSt15iterator_traitsISL_E10value_typeEPNSR_ISM_E10value_typeEPSN_NS1_7vsmem_tEENKUlT_SL_SM_SN_E_clIS8_S8_S9_S9_EESK_S10_SL_SM_SN_EUlS10_E1_NS1_11comp_targetILNS1_3genE8ELNS1_11target_archE1030ELNS1_3gpuE2ELNS1_3repE0EEENS1_36merge_oddeven_config_static_selectorELNS0_4arch9wavefront6targetE0EEEvSM_.num_agpr, 0
	.set _ZN7rocprim17ROCPRIM_400000_NS6detail17trampoline_kernelINS0_14default_configENS1_38merge_sort_block_merge_config_selectorIlNS0_10empty_typeEEEZZNS1_27merge_sort_block_merge_implIS3_PlPS5_mZN2at6native12_GLOBAL__N_124unique_dim_cuda_templateIiEESt5tupleIJNSA_6TensorESF_SF_EERKSF_lbbbEUlllE_EE10hipError_tT0_T1_T2_jT3_P12ihipStream_tbPNSt15iterator_traitsISL_E10value_typeEPNSR_ISM_E10value_typeEPSN_NS1_7vsmem_tEENKUlT_SL_SM_SN_E_clIS8_S8_S9_S9_EESK_S10_SL_SM_SN_EUlS10_E1_NS1_11comp_targetILNS1_3genE8ELNS1_11target_archE1030ELNS1_3gpuE2ELNS1_3repE0EEENS1_36merge_oddeven_config_static_selectorELNS0_4arch9wavefront6targetE0EEEvSM_.numbered_sgpr, 0
	.set _ZN7rocprim17ROCPRIM_400000_NS6detail17trampoline_kernelINS0_14default_configENS1_38merge_sort_block_merge_config_selectorIlNS0_10empty_typeEEEZZNS1_27merge_sort_block_merge_implIS3_PlPS5_mZN2at6native12_GLOBAL__N_124unique_dim_cuda_templateIiEESt5tupleIJNSA_6TensorESF_SF_EERKSF_lbbbEUlllE_EE10hipError_tT0_T1_T2_jT3_P12ihipStream_tbPNSt15iterator_traitsISL_E10value_typeEPNSR_ISM_E10value_typeEPSN_NS1_7vsmem_tEENKUlT_SL_SM_SN_E_clIS8_S8_S9_S9_EESK_S10_SL_SM_SN_EUlS10_E1_NS1_11comp_targetILNS1_3genE8ELNS1_11target_archE1030ELNS1_3gpuE2ELNS1_3repE0EEENS1_36merge_oddeven_config_static_selectorELNS0_4arch9wavefront6targetE0EEEvSM_.num_named_barrier, 0
	.set _ZN7rocprim17ROCPRIM_400000_NS6detail17trampoline_kernelINS0_14default_configENS1_38merge_sort_block_merge_config_selectorIlNS0_10empty_typeEEEZZNS1_27merge_sort_block_merge_implIS3_PlPS5_mZN2at6native12_GLOBAL__N_124unique_dim_cuda_templateIiEESt5tupleIJNSA_6TensorESF_SF_EERKSF_lbbbEUlllE_EE10hipError_tT0_T1_T2_jT3_P12ihipStream_tbPNSt15iterator_traitsISL_E10value_typeEPNSR_ISM_E10value_typeEPSN_NS1_7vsmem_tEENKUlT_SL_SM_SN_E_clIS8_S8_S9_S9_EESK_S10_SL_SM_SN_EUlS10_E1_NS1_11comp_targetILNS1_3genE8ELNS1_11target_archE1030ELNS1_3gpuE2ELNS1_3repE0EEENS1_36merge_oddeven_config_static_selectorELNS0_4arch9wavefront6targetE0EEEvSM_.private_seg_size, 0
	.set _ZN7rocprim17ROCPRIM_400000_NS6detail17trampoline_kernelINS0_14default_configENS1_38merge_sort_block_merge_config_selectorIlNS0_10empty_typeEEEZZNS1_27merge_sort_block_merge_implIS3_PlPS5_mZN2at6native12_GLOBAL__N_124unique_dim_cuda_templateIiEESt5tupleIJNSA_6TensorESF_SF_EERKSF_lbbbEUlllE_EE10hipError_tT0_T1_T2_jT3_P12ihipStream_tbPNSt15iterator_traitsISL_E10value_typeEPNSR_ISM_E10value_typeEPSN_NS1_7vsmem_tEENKUlT_SL_SM_SN_E_clIS8_S8_S9_S9_EESK_S10_SL_SM_SN_EUlS10_E1_NS1_11comp_targetILNS1_3genE8ELNS1_11target_archE1030ELNS1_3gpuE2ELNS1_3repE0EEENS1_36merge_oddeven_config_static_selectorELNS0_4arch9wavefront6targetE0EEEvSM_.uses_vcc, 0
	.set _ZN7rocprim17ROCPRIM_400000_NS6detail17trampoline_kernelINS0_14default_configENS1_38merge_sort_block_merge_config_selectorIlNS0_10empty_typeEEEZZNS1_27merge_sort_block_merge_implIS3_PlPS5_mZN2at6native12_GLOBAL__N_124unique_dim_cuda_templateIiEESt5tupleIJNSA_6TensorESF_SF_EERKSF_lbbbEUlllE_EE10hipError_tT0_T1_T2_jT3_P12ihipStream_tbPNSt15iterator_traitsISL_E10value_typeEPNSR_ISM_E10value_typeEPSN_NS1_7vsmem_tEENKUlT_SL_SM_SN_E_clIS8_S8_S9_S9_EESK_S10_SL_SM_SN_EUlS10_E1_NS1_11comp_targetILNS1_3genE8ELNS1_11target_archE1030ELNS1_3gpuE2ELNS1_3repE0EEENS1_36merge_oddeven_config_static_selectorELNS0_4arch9wavefront6targetE0EEEvSM_.uses_flat_scratch, 0
	.set _ZN7rocprim17ROCPRIM_400000_NS6detail17trampoline_kernelINS0_14default_configENS1_38merge_sort_block_merge_config_selectorIlNS0_10empty_typeEEEZZNS1_27merge_sort_block_merge_implIS3_PlPS5_mZN2at6native12_GLOBAL__N_124unique_dim_cuda_templateIiEESt5tupleIJNSA_6TensorESF_SF_EERKSF_lbbbEUlllE_EE10hipError_tT0_T1_T2_jT3_P12ihipStream_tbPNSt15iterator_traitsISL_E10value_typeEPNSR_ISM_E10value_typeEPSN_NS1_7vsmem_tEENKUlT_SL_SM_SN_E_clIS8_S8_S9_S9_EESK_S10_SL_SM_SN_EUlS10_E1_NS1_11comp_targetILNS1_3genE8ELNS1_11target_archE1030ELNS1_3gpuE2ELNS1_3repE0EEENS1_36merge_oddeven_config_static_selectorELNS0_4arch9wavefront6targetE0EEEvSM_.has_dyn_sized_stack, 0
	.set _ZN7rocprim17ROCPRIM_400000_NS6detail17trampoline_kernelINS0_14default_configENS1_38merge_sort_block_merge_config_selectorIlNS0_10empty_typeEEEZZNS1_27merge_sort_block_merge_implIS3_PlPS5_mZN2at6native12_GLOBAL__N_124unique_dim_cuda_templateIiEESt5tupleIJNSA_6TensorESF_SF_EERKSF_lbbbEUlllE_EE10hipError_tT0_T1_T2_jT3_P12ihipStream_tbPNSt15iterator_traitsISL_E10value_typeEPNSR_ISM_E10value_typeEPSN_NS1_7vsmem_tEENKUlT_SL_SM_SN_E_clIS8_S8_S9_S9_EESK_S10_SL_SM_SN_EUlS10_E1_NS1_11comp_targetILNS1_3genE8ELNS1_11target_archE1030ELNS1_3gpuE2ELNS1_3repE0EEENS1_36merge_oddeven_config_static_selectorELNS0_4arch9wavefront6targetE0EEEvSM_.has_recursion, 0
	.set _ZN7rocprim17ROCPRIM_400000_NS6detail17trampoline_kernelINS0_14default_configENS1_38merge_sort_block_merge_config_selectorIlNS0_10empty_typeEEEZZNS1_27merge_sort_block_merge_implIS3_PlPS5_mZN2at6native12_GLOBAL__N_124unique_dim_cuda_templateIiEESt5tupleIJNSA_6TensorESF_SF_EERKSF_lbbbEUlllE_EE10hipError_tT0_T1_T2_jT3_P12ihipStream_tbPNSt15iterator_traitsISL_E10value_typeEPNSR_ISM_E10value_typeEPSN_NS1_7vsmem_tEENKUlT_SL_SM_SN_E_clIS8_S8_S9_S9_EESK_S10_SL_SM_SN_EUlS10_E1_NS1_11comp_targetILNS1_3genE8ELNS1_11target_archE1030ELNS1_3gpuE2ELNS1_3repE0EEENS1_36merge_oddeven_config_static_selectorELNS0_4arch9wavefront6targetE0EEEvSM_.has_indirect_call, 0
	.section	.AMDGPU.csdata,"",@progbits
; Kernel info:
; codeLenInByte = 0
; TotalNumSgprs: 0
; NumVgprs: 0
; ScratchSize: 0
; MemoryBound: 0
; FloatMode: 240
; IeeeMode: 1
; LDSByteSize: 0 bytes/workgroup (compile time only)
; SGPRBlocks: 0
; VGPRBlocks: 0
; NumSGPRsForWavesPerEU: 1
; NumVGPRsForWavesPerEU: 1
; NamedBarCnt: 0
; Occupancy: 16
; WaveLimiterHint : 0
; COMPUTE_PGM_RSRC2:SCRATCH_EN: 0
; COMPUTE_PGM_RSRC2:USER_SGPR: 2
; COMPUTE_PGM_RSRC2:TRAP_HANDLER: 0
; COMPUTE_PGM_RSRC2:TGID_X_EN: 1
; COMPUTE_PGM_RSRC2:TGID_Y_EN: 0
; COMPUTE_PGM_RSRC2:TGID_Z_EN: 0
; COMPUTE_PGM_RSRC2:TIDIG_COMP_CNT: 0
	.section	.text._ZN7rocprim17ROCPRIM_400000_NS6detail17trampoline_kernelINS0_14default_configENS1_35adjacent_difference_config_selectorILb0ElEEZNS1_24adjacent_difference_implIS3_Lb0ELb0EPlS7_ZN2at6native12_GLOBAL__N_124unique_dim_cuda_templateIiEESt5tupleIJNS8_6TensorESD_SD_EERKSD_lbbbEUlllE1_EE10hipError_tPvRmT2_T3_mT4_P12ihipStream_tbEUlT_E_NS1_11comp_targetILNS1_3genE0ELNS1_11target_archE4294967295ELNS1_3gpuE0ELNS1_3repE0EEENS1_30default_config_static_selectorELNS0_4arch9wavefront6targetE0EEEvT1_,"axG",@progbits,_ZN7rocprim17ROCPRIM_400000_NS6detail17trampoline_kernelINS0_14default_configENS1_35adjacent_difference_config_selectorILb0ElEEZNS1_24adjacent_difference_implIS3_Lb0ELb0EPlS7_ZN2at6native12_GLOBAL__N_124unique_dim_cuda_templateIiEESt5tupleIJNS8_6TensorESD_SD_EERKSD_lbbbEUlllE1_EE10hipError_tPvRmT2_T3_mT4_P12ihipStream_tbEUlT_E_NS1_11comp_targetILNS1_3genE0ELNS1_11target_archE4294967295ELNS1_3gpuE0ELNS1_3repE0EEENS1_30default_config_static_selectorELNS0_4arch9wavefront6targetE0EEEvT1_,comdat
	.globl	_ZN7rocprim17ROCPRIM_400000_NS6detail17trampoline_kernelINS0_14default_configENS1_35adjacent_difference_config_selectorILb0ElEEZNS1_24adjacent_difference_implIS3_Lb0ELb0EPlS7_ZN2at6native12_GLOBAL__N_124unique_dim_cuda_templateIiEESt5tupleIJNS8_6TensorESD_SD_EERKSD_lbbbEUlllE1_EE10hipError_tPvRmT2_T3_mT4_P12ihipStream_tbEUlT_E_NS1_11comp_targetILNS1_3genE0ELNS1_11target_archE4294967295ELNS1_3gpuE0ELNS1_3repE0EEENS1_30default_config_static_selectorELNS0_4arch9wavefront6targetE0EEEvT1_ ; -- Begin function _ZN7rocprim17ROCPRIM_400000_NS6detail17trampoline_kernelINS0_14default_configENS1_35adjacent_difference_config_selectorILb0ElEEZNS1_24adjacent_difference_implIS3_Lb0ELb0EPlS7_ZN2at6native12_GLOBAL__N_124unique_dim_cuda_templateIiEESt5tupleIJNS8_6TensorESD_SD_EERKSD_lbbbEUlllE1_EE10hipError_tPvRmT2_T3_mT4_P12ihipStream_tbEUlT_E_NS1_11comp_targetILNS1_3genE0ELNS1_11target_archE4294967295ELNS1_3gpuE0ELNS1_3repE0EEENS1_30default_config_static_selectorELNS0_4arch9wavefront6targetE0EEEvT1_
	.p2align	8
	.type	_ZN7rocprim17ROCPRIM_400000_NS6detail17trampoline_kernelINS0_14default_configENS1_35adjacent_difference_config_selectorILb0ElEEZNS1_24adjacent_difference_implIS3_Lb0ELb0EPlS7_ZN2at6native12_GLOBAL__N_124unique_dim_cuda_templateIiEESt5tupleIJNS8_6TensorESD_SD_EERKSD_lbbbEUlllE1_EE10hipError_tPvRmT2_T3_mT4_P12ihipStream_tbEUlT_E_NS1_11comp_targetILNS1_3genE0ELNS1_11target_archE4294967295ELNS1_3gpuE0ELNS1_3repE0EEENS1_30default_config_static_selectorELNS0_4arch9wavefront6targetE0EEEvT1_,@function
_ZN7rocprim17ROCPRIM_400000_NS6detail17trampoline_kernelINS0_14default_configENS1_35adjacent_difference_config_selectorILb0ElEEZNS1_24adjacent_difference_implIS3_Lb0ELb0EPlS7_ZN2at6native12_GLOBAL__N_124unique_dim_cuda_templateIiEESt5tupleIJNS8_6TensorESD_SD_EERKSD_lbbbEUlllE1_EE10hipError_tPvRmT2_T3_mT4_P12ihipStream_tbEUlT_E_NS1_11comp_targetILNS1_3genE0ELNS1_11target_archE4294967295ELNS1_3gpuE0ELNS1_3repE0EEENS1_30default_config_static_selectorELNS0_4arch9wavefront6targetE0EEEvT1_: ; @_ZN7rocprim17ROCPRIM_400000_NS6detail17trampoline_kernelINS0_14default_configENS1_35adjacent_difference_config_selectorILb0ElEEZNS1_24adjacent_difference_implIS3_Lb0ELb0EPlS7_ZN2at6native12_GLOBAL__N_124unique_dim_cuda_templateIiEESt5tupleIJNS8_6TensorESD_SD_EERKSD_lbbbEUlllE1_EE10hipError_tPvRmT2_T3_mT4_P12ihipStream_tbEUlT_E_NS1_11comp_targetILNS1_3genE0ELNS1_11target_archE4294967295ELNS1_3gpuE0ELNS1_3repE0EEENS1_30default_config_static_selectorELNS0_4arch9wavefront6targetE0EEEvT1_
; %bb.0:
	s_load_b256 s[4:11], s[0:1], 0x0
	s_bfe_u32 s2, ttmp6, 0x4000c
	s_and_b32 s3, ttmp6, 15
	s_add_co_i32 s2, s2, 1
	s_getreg_b32 s12, hwreg(HW_REG_IB_STS2, 6, 4)
	s_mul_i32 s2, ttmp9, s2
	s_load_b64 s[16:17], s[0:1], 0x38
	s_add_co_i32 s3, s3, s2
	s_mov_b32 s23, 0
	s_delay_alu instid0(SALU_CYCLE_1)
	s_mov_b32 s19, s23
	s_wait_kmcnt 0x0
	s_lshl_b64 s[6:7], s[6:7], 3
	s_cmp_eq_u32 s12, 0
	s_add_nc_u64 s[4:5], s[4:5], s[6:7]
	s_cselect_b32 s18, ttmp9, s3
	s_and_b64 s[12:13], s[10:11], 0x7f
	s_lshr_b64 s[20:21], s[10:11], 7
	s_lshl_b32 s2, s18, 7
	s_cmp_lg_u64 s[12:13], 0
	s_load_b128 s[12:15], s[0:1], 0x20
	s_cselect_b32 s3, -1, 0
	s_add_nc_u64 s[18:19], s[16:17], s[18:19]
	v_cndmask_b32_e64 v1, 0, 1, s3
	s_delay_alu instid0(VALU_DEP_1) | instskip(SKIP_2) | instid1(SALU_CYCLE_1)
	v_readfirstlane_b32 s22, v1
	s_wait_xcnt 0x0
	s_add_nc_u64 s[0:1], s[20:21], s[22:23]
	s_add_nc_u64 s[16:17], s[0:1], -1
	s_delay_alu instid0(SALU_CYCLE_1)
	v_cmp_ge_u64_e64 s11, s[18:19], s[16:17]
	s_and_b32 vcc_lo, exec_lo, s11
	s_cbranch_vccz .LBB416_4
; %bb.1:
	s_lshl_b32 s3, s16, 7
	s_mov_b32 s20, exec_lo
	s_sub_co_i32 s3, s10, s3
                                        ; implicit-def: $vgpr2_vgpr3
	s_delay_alu instid0(SALU_CYCLE_1)
	v_cmpx_gt_u32_e64 s3, v0
	s_cbranch_execz .LBB416_3
; %bb.2:
	s_mov_b32 s3, 0
	s_delay_alu instid0(SALU_CYCLE_1) | instskip(NEXT) | instid1(SALU_CYCLE_1)
	s_lshl_b64 s[22:23], s[2:3], 3
	s_add_nc_u64 s[22:23], s[4:5], s[22:23]
	global_load_b64 v[2:3], v0, s[22:23] scale_offset
.LBB416_3:
	s_wait_xcnt 0x0
	s_or_b32 exec_lo, exec_lo, s20
	v_lshlrev_b32_e32 v1, 3, v0
	s_wait_loadcnt 0x0
	ds_store_b64 v1, v[2:3]
	s_wait_dscnt 0x0
	s_barrier_signal -1
	s_barrier_wait -1
	s_branch .LBB416_6
.LBB416_4:
                                        ; implicit-def: $vgpr1
	s_cbranch_execz .LBB416_6
; %bb.5:
	s_mov_b32 s3, 0
	v_lshlrev_b32_e32 v1, 3, v0
	s_lshl_b64 s[20:21], s[2:3], 3
	s_delay_alu instid0(SALU_CYCLE_1)
	s_add_nc_u64 s[20:21], s[4:5], s[20:21]
	global_load_b64 v[2:3], v0, s[20:21] scale_offset
	s_wait_loadcnt 0x0
	ds_store_b64 v1, v[2:3]
	s_wait_dscnt 0x0
	s_barrier_signal -1
	s_barrier_wait -1
.LBB416_6:
	ds_load_b64 v[2:3], v1
	s_cmp_eq_u64 s[18:19], 0
	s_wait_dscnt 0x0
	s_barrier_signal -1
	s_barrier_wait -1
	s_cbranch_scc1 .LBB416_15
; %bb.7:
	s_mov_b32 s3, 0
	s_delay_alu instid0(SALU_CYCLE_1) | instskip(SKIP_2) | instid1(SALU_CYCLE_1)
	s_lshl_b64 s[20:21], s[2:3], 3
	s_cmp_eq_u64 s[18:19], s[16:17]
	s_add_nc_u64 s[4:5], s[4:5], s[20:21]
	s_add_nc_u64 s[4:5], s[4:5], -8
	s_load_b64 s[4:5], s[4:5], 0x0
	s_cbranch_scc1 .LBB416_16
; %bb.8:
	s_wait_kmcnt 0x0
	v_mov_b64_e32 v[4:5], s[4:5]
	v_lshlrev_b32_e32 v1, 3, v0
	s_mov_b32 s3, exec_lo
	ds_store_b64 v1, v[2:3]
	s_wait_dscnt 0x0
	s_barrier_signal -1
	s_barrier_wait -1
	v_cmpx_ne_u32_e32 0, v0
; %bb.9:
	v_add_nc_u32_e32 v1, -8, v1
	ds_load_b64 v[4:5], v1
; %bb.10:
	s_or_b32 exec_lo, exec_lo, s3
	v_cmp_lt_i64_e64 s3, s[12:13], 1
	s_and_b32 vcc_lo, exec_lo, s3
	s_cbranch_vccnz .LBB416_18
; %bb.11:
	v_mul_u64_e32 v[6:7], s[12:13], v[2:3]
	s_wait_dscnt 0x0
	v_mul_u64_e32 v[4:5], s[12:13], v[4:5]
	s_mov_b32 s3, 0
	s_mov_b64 s[20:21], s[12:13]
                                        ; implicit-def: $sgpr17
	s_delay_alu instid0(VALU_DEP_2) | instskip(NEXT) | instid1(VALU_DEP_2)
	v_lshl_add_u64 v[6:7], v[6:7], 2, s[14:15]
	v_lshl_add_u64 v[8:9], v[4:5], 2, s[14:15]
	s_branch .LBB416_13
.LBB416_12:                             ;   in Loop: Header=BB416_13 Depth=1
	s_or_b32 exec_lo, exec_lo, s19
	s_delay_alu instid0(SALU_CYCLE_1) | instskip(NEXT) | instid1(SALU_CYCLE_1)
	s_and_b32 s19, exec_lo, s17
	s_or_b32 s3, s19, s3
	s_delay_alu instid0(SALU_CYCLE_1)
	s_and_not1_b32 exec_lo, exec_lo, s3
	s_cbranch_execz .LBB416_17
.LBB416_13:                             ; =>This Inner Loop Header: Depth=1
	global_load_b32 v1, v[6:7], off
	global_load_b32 v10, v[8:9], off
	v_mov_b64_e32 v[4:5], 1
	s_or_b32 s17, s17, exec_lo
	s_mov_b32 s19, exec_lo
	s_wait_loadcnt 0x0
	v_cmpx_eq_u32_e64 v1, v10
	s_cbranch_execz .LBB416_12
; %bb.14:                               ;   in Loop: Header=BB416_13 Depth=1
	s_add_nc_u64 s[20:21], s[20:21], -1
	v_add_nc_u64_e32 v[6:7], 4, v[6:7]
	s_cmp_eq_u64 s[20:21], 0
	v_add_nc_u64_e32 v[8:9], 4, v[8:9]
	v_mov_b64_e32 v[4:5], 0
	s_cselect_b32 s22, -1, 0
	s_and_not1_b32 s17, s17, exec_lo
	s_and_b32 s22, s22, exec_lo
	s_delay_alu instid0(SALU_CYCLE_1)
	s_or_b32 s17, s17, s22
	s_branch .LBB416_12
.LBB416_15:
                                        ; implicit-def: $vgpr4_vgpr5
	s_branch .LBB416_31
.LBB416_16:
                                        ; implicit-def: $vgpr4_vgpr5
	s_cbranch_execnz .LBB416_19
	s_branch .LBB416_30
.LBB416_17:
	s_or_b32 exec_lo, exec_lo, s3
	s_branch .LBB416_30
.LBB416_18:
	s_wait_dscnt 0x0
	v_mov_b64_e32 v[4:5], 0
	s_branch .LBB416_30
.LBB416_19:
	s_wait_kmcnt 0x0
	v_mov_b64_e32 v[6:7], s[4:5]
	v_lshlrev_b32_e32 v1, 3, v0
	s_mov_b32 s3, exec_lo
	ds_store_b64 v1, v[2:3]
	s_wait_dscnt 0x0
	s_barrier_signal -1
	s_barrier_wait -1
	v_cmpx_ne_u32_e32 0, v0
; %bb.20:
	v_add_nc_u32_e32 v1, -8, v1
	ds_load_b64 v[6:7], v1
; %bb.21:
	s_or_b32 exec_lo, exec_lo, s3
	s_lshl_b32 s3, s18, 7
	v_mov_b64_e32 v[4:5], v[2:3]
	s_sub_co_i32 s3, s10, s3
	s_delay_alu instid0(SALU_CYCLE_1)
	v_cmp_gt_u32_e32 vcc_lo, s3, v0
	s_and_saveexec_b32 s3, vcc_lo
	s_cbranch_execz .LBB416_29
; %bb.22:
	v_cmp_lt_i64_e64 s4, s[12:13], 1
	s_and_b32 vcc_lo, exec_lo, s4
	s_cbranch_vccnz .LBB416_28
; %bb.23:
	v_mul_u64_e32 v[4:5], s[12:13], v[2:3]
	s_wait_dscnt 0x0
	v_mul_u64_e32 v[8:9], s[12:13], v[6:7]
	s_mov_b32 s17, 0
	s_mov_b64 s[4:5], s[12:13]
                                        ; implicit-def: $sgpr18
	s_delay_alu instid0(VALU_DEP_2) | instskip(NEXT) | instid1(VALU_DEP_2)
	v_lshl_add_u64 v[6:7], v[4:5], 2, s[14:15]
	v_lshl_add_u64 v[8:9], v[8:9], 2, s[14:15]
	s_branch .LBB416_25
.LBB416_24:                             ;   in Loop: Header=BB416_25 Depth=1
	s_or_b32 exec_lo, exec_lo, s19
	s_delay_alu instid0(SALU_CYCLE_1) | instskip(NEXT) | instid1(SALU_CYCLE_1)
	s_and_b32 s19, exec_lo, s18
	s_or_b32 s17, s19, s17
	s_delay_alu instid0(SALU_CYCLE_1)
	s_and_not1_b32 exec_lo, exec_lo, s17
	s_cbranch_execz .LBB416_27
.LBB416_25:                             ; =>This Inner Loop Header: Depth=1
	global_load_b32 v1, v[6:7], off
	global_load_b32 v10, v[8:9], off
	v_mov_b64_e32 v[4:5], 1
	s_or_b32 s18, s18, exec_lo
	s_mov_b32 s19, exec_lo
	s_wait_loadcnt 0x0
	v_cmpx_eq_u32_e64 v1, v10
	s_cbranch_execz .LBB416_24
; %bb.26:                               ;   in Loop: Header=BB416_25 Depth=1
	s_add_nc_u64 s[4:5], s[4:5], -1
	v_add_nc_u64_e32 v[6:7], 4, v[6:7]
	s_cmp_eq_u64 s[4:5], 0
	v_add_nc_u64_e32 v[8:9], 4, v[8:9]
	v_mov_b64_e32 v[4:5], 0
	s_cselect_b32 s20, -1, 0
	s_and_not1_b32 s18, s18, exec_lo
	s_and_b32 s20, s20, exec_lo
	s_delay_alu instid0(SALU_CYCLE_1)
	s_or_b32 s18, s18, s20
	s_branch .LBB416_24
.LBB416_27:
	s_or_b32 exec_lo, exec_lo, s17
	s_branch .LBB416_29
.LBB416_28:
	v_mov_b64_e32 v[4:5], 0
.LBB416_29:
	s_or_b32 exec_lo, exec_lo, s3
.LBB416_30:
	s_cbranch_execnz .LBB416_51
.LBB416_31:
	s_cmp_eq_u64 s[0:1], 1
	v_cmp_ne_u32_e32 vcc_lo, 0, v0
	s_cbranch_scc1 .LBB416_38
; %bb.32:
	v_mov_b64_e32 v[4:5], v[2:3]
	v_lshlrev_b32_e32 v1, 3, v0
	s_mov_b32 s3, 0
	ds_store_b64 v1, v[2:3]
	s_wait_dscnt 0x0
	s_barrier_signal -1
	s_barrier_wait -1
	s_wait_kmcnt 0x0
	s_and_saveexec_b32 s4, vcc_lo
	s_cbranch_execz .LBB416_40
; %bb.33:
	v_cmp_lt_i64_e64 s0, s[12:13], 1
	s_and_b32 vcc_lo, exec_lo, s0
	s_cbranch_vccnz .LBB416_48
; %bb.34:
	v_add_nc_u32_e32 v1, -8, v1
	v_mul_u64_e32 v[6:7], s[12:13], v[2:3]
	s_mov_b32 s5, 0
	s_mov_b64 s[0:1], s[12:13]
                                        ; implicit-def: $sgpr17
	ds_load_b64 v[4:5], v1
	s_wait_dscnt 0x0
	v_mul_u64_e32 v[4:5], s[12:13], v[4:5]
	v_lshl_add_u64 v[6:7], v[6:7], 2, s[14:15]
	s_delay_alu instid0(VALU_DEP_2)
	v_lshl_add_u64 v[8:9], v[4:5], 2, s[14:15]
	s_branch .LBB416_36
.LBB416_35:                             ;   in Loop: Header=BB416_36 Depth=1
	s_or_b32 exec_lo, exec_lo, s18
	s_delay_alu instid0(SALU_CYCLE_1) | instskip(NEXT) | instid1(SALU_CYCLE_1)
	s_and_b32 s18, exec_lo, s17
	s_or_b32 s5, s18, s5
	s_delay_alu instid0(SALU_CYCLE_1)
	s_and_not1_b32 exec_lo, exec_lo, s5
	s_cbranch_execz .LBB416_39
.LBB416_36:                             ; =>This Inner Loop Header: Depth=1
	global_load_b32 v1, v[6:7], off
	global_load_b32 v10, v[8:9], off
	v_mov_b64_e32 v[4:5], 1
	s_or_b32 s17, s17, exec_lo
	s_mov_b32 s18, exec_lo
	s_wait_loadcnt 0x0
	v_cmpx_eq_u32_e64 v1, v10
	s_cbranch_execz .LBB416_35
; %bb.37:                               ;   in Loop: Header=BB416_36 Depth=1
	s_add_nc_u64 s[0:1], s[0:1], -1
	v_add_nc_u64_e32 v[6:7], 4, v[6:7]
	s_cmp_eq_u64 s[0:1], 0
	v_add_nc_u64_e32 v[8:9], 4, v[8:9]
	v_mov_b64_e32 v[4:5], 0
	s_cselect_b32 s19, -1, 0
	s_and_not1_b32 s17, s17, exec_lo
	s_and_b32 s19, s19, exec_lo
	s_delay_alu instid0(SALU_CYCLE_1)
	s_or_b32 s17, s17, s19
	s_branch .LBB416_35
.LBB416_38:
                                        ; implicit-def: $vgpr4_vgpr5
	s_branch .LBB416_41
.LBB416_39:
	s_or_b32 exec_lo, exec_lo, s5
.LBB416_40:
	s_delay_alu instid0(SALU_CYCLE_1) | instskip(NEXT) | instid1(SALU_CYCLE_1)
	s_or_b32 exec_lo, exec_lo, s4
	s_and_not1_b32 vcc_lo, exec_lo, s3
	s_cbranch_vccnz .LBB416_51
.LBB416_41:
	v_cmp_ne_u32_e32 vcc_lo, 0, v0
	v_cmp_gt_u32_e64 s0, s10, v0
	v_lshlrev_b32_e32 v1, 3, v0
	s_and_b32 s1, vcc_lo, s0
	ds_store_b64 v1, v[2:3]
	s_wait_dscnt 0x0
	s_barrier_signal -1
	s_barrier_wait -1
	s_and_saveexec_b32 s0, s1
	s_cbranch_execz .LBB416_50
; %bb.42:
	s_wait_kmcnt 0x0
	v_cmp_lt_i64_e64 s1, s[12:13], 1
	s_and_b32 vcc_lo, exec_lo, s1
	s_cbranch_vccnz .LBB416_49
; %bb.43:
	v_add_nc_u32_e32 v1, -8, v1
	v_mul_u64_e32 v[2:3], s[12:13], v[2:3]
	s_mov_b32 s1, 0
                                        ; implicit-def: $sgpr3
	ds_load_b64 v[4:5], v1
	s_wait_dscnt 0x0
	v_mul_u64_e32 v[6:7], s[12:13], v[4:5]
	v_lshl_add_u64 v[4:5], v[2:3], 2, s[14:15]
	s_delay_alu instid0(VALU_DEP_2)
	v_lshl_add_u64 v[6:7], v[6:7], 2, s[14:15]
	s_branch .LBB416_45
.LBB416_44:                             ;   in Loop: Header=BB416_45 Depth=1
	s_or_b32 exec_lo, exec_lo, s4
	s_delay_alu instid0(SALU_CYCLE_1) | instskip(NEXT) | instid1(SALU_CYCLE_1)
	s_and_b32 s4, exec_lo, s3
	s_or_b32 s1, s4, s1
	s_delay_alu instid0(SALU_CYCLE_1)
	s_and_not1_b32 exec_lo, exec_lo, s1
	s_cbranch_execz .LBB416_47
.LBB416_45:                             ; =>This Inner Loop Header: Depth=1
	global_load_b32 v1, v[4:5], off
	global_load_b32 v8, v[6:7], off
	v_mov_b64_e32 v[2:3], 1
	s_or_b32 s3, s3, exec_lo
	s_mov_b32 s4, exec_lo
	s_wait_loadcnt 0x0
	v_cmpx_eq_u32_e64 v1, v8
	s_cbranch_execz .LBB416_44
; %bb.46:                               ;   in Loop: Header=BB416_45 Depth=1
	s_add_nc_u64 s[12:13], s[12:13], -1
	v_add_nc_u64_e32 v[4:5], 4, v[4:5]
	s_cmp_eq_u64 s[12:13], 0
	v_add_nc_u64_e32 v[6:7], 4, v[6:7]
	v_mov_b64_e32 v[2:3], 0
	s_cselect_b32 s5, -1, 0
	s_and_not1_b32 s3, s3, exec_lo
	s_and_b32 s5, s5, exec_lo
	s_delay_alu instid0(SALU_CYCLE_1)
	s_or_b32 s3, s3, s5
	s_branch .LBB416_44
.LBB416_47:
	s_or_b32 exec_lo, exec_lo, s1
	s_branch .LBB416_50
.LBB416_48:
	v_mov_b64_e32 v[4:5], 0
	s_or_b32 exec_lo, exec_lo, s4
	s_delay_alu instid0(SALU_CYCLE_1)
	s_and_not1_b32 vcc_lo, exec_lo, s3
	s_cbranch_vccz .LBB416_41
	s_branch .LBB416_51
.LBB416_49:
	v_mov_b64_e32 v[2:3], 0
.LBB416_50:
	s_or_b32 exec_lo, exec_lo, s0
	s_delay_alu instid0(VALU_DEP_1)
	v_mov_b64_e32 v[4:5], v[2:3]
.LBB416_51:
	s_add_nc_u64 s[0:1], s[8:9], s[6:7]
	s_and_b32 vcc_lo, exec_lo, s11
	s_mov_b32 s3, -1
	s_wait_dscnt 0x0
	s_barrier_signal -1
	s_barrier_wait -1
	s_cbranch_vccnz .LBB416_54
; %bb.52:
	s_and_not1_b32 vcc_lo, exec_lo, s3
	s_cbranch_vccz .LBB416_57
.LBB416_53:
	s_endpgm
.LBB416_54:
	v_lshlrev_b32_e32 v1, 3, v0
	s_lshl_b32 s3, s16, 7
	s_wait_kmcnt 0x0
	s_mov_b32 s4, exec_lo
	s_sub_co_i32 s3, s10, s3
	ds_store_b64 v1, v[4:5]
	s_wait_dscnt 0x0
	s_barrier_signal -1
	s_barrier_wait -1
	v_cmpx_gt_u32_e64 s3, v0
	s_cbranch_execz .LBB416_56
; %bb.55:
	ds_load_b64 v[2:3], v1
	s_mov_b32 s3, 0
	s_delay_alu instid0(SALU_CYCLE_1) | instskip(NEXT) | instid1(SALU_CYCLE_1)
	s_lshl_b64 s[6:7], s[2:3], 3
	s_add_nc_u64 s[6:7], s[0:1], s[6:7]
	s_wait_dscnt 0x0
	global_store_b64 v0, v[2:3], s[6:7] scale_offset
.LBB416_56:
	s_wait_xcnt 0x0
	s_or_b32 exec_lo, exec_lo, s4
	s_cbranch_execnz .LBB416_53
.LBB416_57:
	v_lshlrev_b32_e32 v1, 3, v0
	s_mov_b32 s3, 0
	s_delay_alu instid0(SALU_CYCLE_1) | instskip(NEXT) | instid1(SALU_CYCLE_1)
	s_lshl_b64 s[2:3], s[2:3], 3
	s_add_nc_u64 s[0:1], s[0:1], s[2:3]
	ds_store_b64 v1, v[4:5]
	s_wait_storecnt_dscnt 0x0
	s_barrier_signal -1
	s_barrier_wait -1
	ds_load_b64 v[2:3], v1
	s_wait_dscnt 0x0
	global_store_b64 v0, v[2:3], s[0:1] scale_offset
	s_endpgm
	.section	.rodata,"a",@progbits
	.p2align	6, 0x0
	.amdhsa_kernel _ZN7rocprim17ROCPRIM_400000_NS6detail17trampoline_kernelINS0_14default_configENS1_35adjacent_difference_config_selectorILb0ElEEZNS1_24adjacent_difference_implIS3_Lb0ELb0EPlS7_ZN2at6native12_GLOBAL__N_124unique_dim_cuda_templateIiEESt5tupleIJNS8_6TensorESD_SD_EERKSD_lbbbEUlllE1_EE10hipError_tPvRmT2_T3_mT4_P12ihipStream_tbEUlT_E_NS1_11comp_targetILNS1_3genE0ELNS1_11target_archE4294967295ELNS1_3gpuE0ELNS1_3repE0EEENS1_30default_config_static_selectorELNS0_4arch9wavefront6targetE0EEEvT1_
		.amdhsa_group_segment_fixed_size 2048
		.amdhsa_private_segment_fixed_size 0
		.amdhsa_kernarg_size 64
		.amdhsa_user_sgpr_count 2
		.amdhsa_user_sgpr_dispatch_ptr 0
		.amdhsa_user_sgpr_queue_ptr 0
		.amdhsa_user_sgpr_kernarg_segment_ptr 1
		.amdhsa_user_sgpr_dispatch_id 0
		.amdhsa_user_sgpr_kernarg_preload_length 0
		.amdhsa_user_sgpr_kernarg_preload_offset 0
		.amdhsa_user_sgpr_private_segment_size 0
		.amdhsa_wavefront_size32 1
		.amdhsa_uses_dynamic_stack 0
		.amdhsa_enable_private_segment 0
		.amdhsa_system_sgpr_workgroup_id_x 1
		.amdhsa_system_sgpr_workgroup_id_y 0
		.amdhsa_system_sgpr_workgroup_id_z 0
		.amdhsa_system_sgpr_workgroup_info 0
		.amdhsa_system_vgpr_workitem_id 0
		.amdhsa_next_free_vgpr 11
		.amdhsa_next_free_sgpr 24
		.amdhsa_named_barrier_count 0
		.amdhsa_reserve_vcc 1
		.amdhsa_float_round_mode_32 0
		.amdhsa_float_round_mode_16_64 0
		.amdhsa_float_denorm_mode_32 3
		.amdhsa_float_denorm_mode_16_64 3
		.amdhsa_fp16_overflow 0
		.amdhsa_memory_ordered 1
		.amdhsa_forward_progress 1
		.amdhsa_inst_pref_size 14
		.amdhsa_round_robin_scheduling 0
		.amdhsa_exception_fp_ieee_invalid_op 0
		.amdhsa_exception_fp_denorm_src 0
		.amdhsa_exception_fp_ieee_div_zero 0
		.amdhsa_exception_fp_ieee_overflow 0
		.amdhsa_exception_fp_ieee_underflow 0
		.amdhsa_exception_fp_ieee_inexact 0
		.amdhsa_exception_int_div_zero 0
	.end_amdhsa_kernel
	.section	.text._ZN7rocprim17ROCPRIM_400000_NS6detail17trampoline_kernelINS0_14default_configENS1_35adjacent_difference_config_selectorILb0ElEEZNS1_24adjacent_difference_implIS3_Lb0ELb0EPlS7_ZN2at6native12_GLOBAL__N_124unique_dim_cuda_templateIiEESt5tupleIJNS8_6TensorESD_SD_EERKSD_lbbbEUlllE1_EE10hipError_tPvRmT2_T3_mT4_P12ihipStream_tbEUlT_E_NS1_11comp_targetILNS1_3genE0ELNS1_11target_archE4294967295ELNS1_3gpuE0ELNS1_3repE0EEENS1_30default_config_static_selectorELNS0_4arch9wavefront6targetE0EEEvT1_,"axG",@progbits,_ZN7rocprim17ROCPRIM_400000_NS6detail17trampoline_kernelINS0_14default_configENS1_35adjacent_difference_config_selectorILb0ElEEZNS1_24adjacent_difference_implIS3_Lb0ELb0EPlS7_ZN2at6native12_GLOBAL__N_124unique_dim_cuda_templateIiEESt5tupleIJNS8_6TensorESD_SD_EERKSD_lbbbEUlllE1_EE10hipError_tPvRmT2_T3_mT4_P12ihipStream_tbEUlT_E_NS1_11comp_targetILNS1_3genE0ELNS1_11target_archE4294967295ELNS1_3gpuE0ELNS1_3repE0EEENS1_30default_config_static_selectorELNS0_4arch9wavefront6targetE0EEEvT1_,comdat
.Lfunc_end416:
	.size	_ZN7rocprim17ROCPRIM_400000_NS6detail17trampoline_kernelINS0_14default_configENS1_35adjacent_difference_config_selectorILb0ElEEZNS1_24adjacent_difference_implIS3_Lb0ELb0EPlS7_ZN2at6native12_GLOBAL__N_124unique_dim_cuda_templateIiEESt5tupleIJNS8_6TensorESD_SD_EERKSD_lbbbEUlllE1_EE10hipError_tPvRmT2_T3_mT4_P12ihipStream_tbEUlT_E_NS1_11comp_targetILNS1_3genE0ELNS1_11target_archE4294967295ELNS1_3gpuE0ELNS1_3repE0EEENS1_30default_config_static_selectorELNS0_4arch9wavefront6targetE0EEEvT1_, .Lfunc_end416-_ZN7rocprim17ROCPRIM_400000_NS6detail17trampoline_kernelINS0_14default_configENS1_35adjacent_difference_config_selectorILb0ElEEZNS1_24adjacent_difference_implIS3_Lb0ELb0EPlS7_ZN2at6native12_GLOBAL__N_124unique_dim_cuda_templateIiEESt5tupleIJNS8_6TensorESD_SD_EERKSD_lbbbEUlllE1_EE10hipError_tPvRmT2_T3_mT4_P12ihipStream_tbEUlT_E_NS1_11comp_targetILNS1_3genE0ELNS1_11target_archE4294967295ELNS1_3gpuE0ELNS1_3repE0EEENS1_30default_config_static_selectorELNS0_4arch9wavefront6targetE0EEEvT1_
                                        ; -- End function
	.set _ZN7rocprim17ROCPRIM_400000_NS6detail17trampoline_kernelINS0_14default_configENS1_35adjacent_difference_config_selectorILb0ElEEZNS1_24adjacent_difference_implIS3_Lb0ELb0EPlS7_ZN2at6native12_GLOBAL__N_124unique_dim_cuda_templateIiEESt5tupleIJNS8_6TensorESD_SD_EERKSD_lbbbEUlllE1_EE10hipError_tPvRmT2_T3_mT4_P12ihipStream_tbEUlT_E_NS1_11comp_targetILNS1_3genE0ELNS1_11target_archE4294967295ELNS1_3gpuE0ELNS1_3repE0EEENS1_30default_config_static_selectorELNS0_4arch9wavefront6targetE0EEEvT1_.num_vgpr, 11
	.set _ZN7rocprim17ROCPRIM_400000_NS6detail17trampoline_kernelINS0_14default_configENS1_35adjacent_difference_config_selectorILb0ElEEZNS1_24adjacent_difference_implIS3_Lb0ELb0EPlS7_ZN2at6native12_GLOBAL__N_124unique_dim_cuda_templateIiEESt5tupleIJNS8_6TensorESD_SD_EERKSD_lbbbEUlllE1_EE10hipError_tPvRmT2_T3_mT4_P12ihipStream_tbEUlT_E_NS1_11comp_targetILNS1_3genE0ELNS1_11target_archE4294967295ELNS1_3gpuE0ELNS1_3repE0EEENS1_30default_config_static_selectorELNS0_4arch9wavefront6targetE0EEEvT1_.num_agpr, 0
	.set _ZN7rocprim17ROCPRIM_400000_NS6detail17trampoline_kernelINS0_14default_configENS1_35adjacent_difference_config_selectorILb0ElEEZNS1_24adjacent_difference_implIS3_Lb0ELb0EPlS7_ZN2at6native12_GLOBAL__N_124unique_dim_cuda_templateIiEESt5tupleIJNS8_6TensorESD_SD_EERKSD_lbbbEUlllE1_EE10hipError_tPvRmT2_T3_mT4_P12ihipStream_tbEUlT_E_NS1_11comp_targetILNS1_3genE0ELNS1_11target_archE4294967295ELNS1_3gpuE0ELNS1_3repE0EEENS1_30default_config_static_selectorELNS0_4arch9wavefront6targetE0EEEvT1_.numbered_sgpr, 24
	.set _ZN7rocprim17ROCPRIM_400000_NS6detail17trampoline_kernelINS0_14default_configENS1_35adjacent_difference_config_selectorILb0ElEEZNS1_24adjacent_difference_implIS3_Lb0ELb0EPlS7_ZN2at6native12_GLOBAL__N_124unique_dim_cuda_templateIiEESt5tupleIJNS8_6TensorESD_SD_EERKSD_lbbbEUlllE1_EE10hipError_tPvRmT2_T3_mT4_P12ihipStream_tbEUlT_E_NS1_11comp_targetILNS1_3genE0ELNS1_11target_archE4294967295ELNS1_3gpuE0ELNS1_3repE0EEENS1_30default_config_static_selectorELNS0_4arch9wavefront6targetE0EEEvT1_.num_named_barrier, 0
	.set _ZN7rocprim17ROCPRIM_400000_NS6detail17trampoline_kernelINS0_14default_configENS1_35adjacent_difference_config_selectorILb0ElEEZNS1_24adjacent_difference_implIS3_Lb0ELb0EPlS7_ZN2at6native12_GLOBAL__N_124unique_dim_cuda_templateIiEESt5tupleIJNS8_6TensorESD_SD_EERKSD_lbbbEUlllE1_EE10hipError_tPvRmT2_T3_mT4_P12ihipStream_tbEUlT_E_NS1_11comp_targetILNS1_3genE0ELNS1_11target_archE4294967295ELNS1_3gpuE0ELNS1_3repE0EEENS1_30default_config_static_selectorELNS0_4arch9wavefront6targetE0EEEvT1_.private_seg_size, 0
	.set _ZN7rocprim17ROCPRIM_400000_NS6detail17trampoline_kernelINS0_14default_configENS1_35adjacent_difference_config_selectorILb0ElEEZNS1_24adjacent_difference_implIS3_Lb0ELb0EPlS7_ZN2at6native12_GLOBAL__N_124unique_dim_cuda_templateIiEESt5tupleIJNS8_6TensorESD_SD_EERKSD_lbbbEUlllE1_EE10hipError_tPvRmT2_T3_mT4_P12ihipStream_tbEUlT_E_NS1_11comp_targetILNS1_3genE0ELNS1_11target_archE4294967295ELNS1_3gpuE0ELNS1_3repE0EEENS1_30default_config_static_selectorELNS0_4arch9wavefront6targetE0EEEvT1_.uses_vcc, 1
	.set _ZN7rocprim17ROCPRIM_400000_NS6detail17trampoline_kernelINS0_14default_configENS1_35adjacent_difference_config_selectorILb0ElEEZNS1_24adjacent_difference_implIS3_Lb0ELb0EPlS7_ZN2at6native12_GLOBAL__N_124unique_dim_cuda_templateIiEESt5tupleIJNS8_6TensorESD_SD_EERKSD_lbbbEUlllE1_EE10hipError_tPvRmT2_T3_mT4_P12ihipStream_tbEUlT_E_NS1_11comp_targetILNS1_3genE0ELNS1_11target_archE4294967295ELNS1_3gpuE0ELNS1_3repE0EEENS1_30default_config_static_selectorELNS0_4arch9wavefront6targetE0EEEvT1_.uses_flat_scratch, 0
	.set _ZN7rocprim17ROCPRIM_400000_NS6detail17trampoline_kernelINS0_14default_configENS1_35adjacent_difference_config_selectorILb0ElEEZNS1_24adjacent_difference_implIS3_Lb0ELb0EPlS7_ZN2at6native12_GLOBAL__N_124unique_dim_cuda_templateIiEESt5tupleIJNS8_6TensorESD_SD_EERKSD_lbbbEUlllE1_EE10hipError_tPvRmT2_T3_mT4_P12ihipStream_tbEUlT_E_NS1_11comp_targetILNS1_3genE0ELNS1_11target_archE4294967295ELNS1_3gpuE0ELNS1_3repE0EEENS1_30default_config_static_selectorELNS0_4arch9wavefront6targetE0EEEvT1_.has_dyn_sized_stack, 0
	.set _ZN7rocprim17ROCPRIM_400000_NS6detail17trampoline_kernelINS0_14default_configENS1_35adjacent_difference_config_selectorILb0ElEEZNS1_24adjacent_difference_implIS3_Lb0ELb0EPlS7_ZN2at6native12_GLOBAL__N_124unique_dim_cuda_templateIiEESt5tupleIJNS8_6TensorESD_SD_EERKSD_lbbbEUlllE1_EE10hipError_tPvRmT2_T3_mT4_P12ihipStream_tbEUlT_E_NS1_11comp_targetILNS1_3genE0ELNS1_11target_archE4294967295ELNS1_3gpuE0ELNS1_3repE0EEENS1_30default_config_static_selectorELNS0_4arch9wavefront6targetE0EEEvT1_.has_recursion, 0
	.set _ZN7rocprim17ROCPRIM_400000_NS6detail17trampoline_kernelINS0_14default_configENS1_35adjacent_difference_config_selectorILb0ElEEZNS1_24adjacent_difference_implIS3_Lb0ELb0EPlS7_ZN2at6native12_GLOBAL__N_124unique_dim_cuda_templateIiEESt5tupleIJNS8_6TensorESD_SD_EERKSD_lbbbEUlllE1_EE10hipError_tPvRmT2_T3_mT4_P12ihipStream_tbEUlT_E_NS1_11comp_targetILNS1_3genE0ELNS1_11target_archE4294967295ELNS1_3gpuE0ELNS1_3repE0EEENS1_30default_config_static_selectorELNS0_4arch9wavefront6targetE0EEEvT1_.has_indirect_call, 0
	.section	.AMDGPU.csdata,"",@progbits
; Kernel info:
; codeLenInByte = 1720
; TotalNumSgprs: 26
; NumVgprs: 11
; ScratchSize: 0
; MemoryBound: 0
; FloatMode: 240
; IeeeMode: 1
; LDSByteSize: 2048 bytes/workgroup (compile time only)
; SGPRBlocks: 0
; VGPRBlocks: 0
; NumSGPRsForWavesPerEU: 26
; NumVGPRsForWavesPerEU: 11
; NamedBarCnt: 0
; Occupancy: 16
; WaveLimiterHint : 0
; COMPUTE_PGM_RSRC2:SCRATCH_EN: 0
; COMPUTE_PGM_RSRC2:USER_SGPR: 2
; COMPUTE_PGM_RSRC2:TRAP_HANDLER: 0
; COMPUTE_PGM_RSRC2:TGID_X_EN: 1
; COMPUTE_PGM_RSRC2:TGID_Y_EN: 0
; COMPUTE_PGM_RSRC2:TGID_Z_EN: 0
; COMPUTE_PGM_RSRC2:TIDIG_COMP_CNT: 0
	.section	.text._ZN7rocprim17ROCPRIM_400000_NS6detail17trampoline_kernelINS0_14default_configENS1_35adjacent_difference_config_selectorILb0ElEEZNS1_24adjacent_difference_implIS3_Lb0ELb0EPlS7_ZN2at6native12_GLOBAL__N_124unique_dim_cuda_templateIiEESt5tupleIJNS8_6TensorESD_SD_EERKSD_lbbbEUlllE1_EE10hipError_tPvRmT2_T3_mT4_P12ihipStream_tbEUlT_E_NS1_11comp_targetILNS1_3genE10ELNS1_11target_archE1201ELNS1_3gpuE5ELNS1_3repE0EEENS1_30default_config_static_selectorELNS0_4arch9wavefront6targetE0EEEvT1_,"axG",@progbits,_ZN7rocprim17ROCPRIM_400000_NS6detail17trampoline_kernelINS0_14default_configENS1_35adjacent_difference_config_selectorILb0ElEEZNS1_24adjacent_difference_implIS3_Lb0ELb0EPlS7_ZN2at6native12_GLOBAL__N_124unique_dim_cuda_templateIiEESt5tupleIJNS8_6TensorESD_SD_EERKSD_lbbbEUlllE1_EE10hipError_tPvRmT2_T3_mT4_P12ihipStream_tbEUlT_E_NS1_11comp_targetILNS1_3genE10ELNS1_11target_archE1201ELNS1_3gpuE5ELNS1_3repE0EEENS1_30default_config_static_selectorELNS0_4arch9wavefront6targetE0EEEvT1_,comdat
	.globl	_ZN7rocprim17ROCPRIM_400000_NS6detail17trampoline_kernelINS0_14default_configENS1_35adjacent_difference_config_selectorILb0ElEEZNS1_24adjacent_difference_implIS3_Lb0ELb0EPlS7_ZN2at6native12_GLOBAL__N_124unique_dim_cuda_templateIiEESt5tupleIJNS8_6TensorESD_SD_EERKSD_lbbbEUlllE1_EE10hipError_tPvRmT2_T3_mT4_P12ihipStream_tbEUlT_E_NS1_11comp_targetILNS1_3genE10ELNS1_11target_archE1201ELNS1_3gpuE5ELNS1_3repE0EEENS1_30default_config_static_selectorELNS0_4arch9wavefront6targetE0EEEvT1_ ; -- Begin function _ZN7rocprim17ROCPRIM_400000_NS6detail17trampoline_kernelINS0_14default_configENS1_35adjacent_difference_config_selectorILb0ElEEZNS1_24adjacent_difference_implIS3_Lb0ELb0EPlS7_ZN2at6native12_GLOBAL__N_124unique_dim_cuda_templateIiEESt5tupleIJNS8_6TensorESD_SD_EERKSD_lbbbEUlllE1_EE10hipError_tPvRmT2_T3_mT4_P12ihipStream_tbEUlT_E_NS1_11comp_targetILNS1_3genE10ELNS1_11target_archE1201ELNS1_3gpuE5ELNS1_3repE0EEENS1_30default_config_static_selectorELNS0_4arch9wavefront6targetE0EEEvT1_
	.p2align	8
	.type	_ZN7rocprim17ROCPRIM_400000_NS6detail17trampoline_kernelINS0_14default_configENS1_35adjacent_difference_config_selectorILb0ElEEZNS1_24adjacent_difference_implIS3_Lb0ELb0EPlS7_ZN2at6native12_GLOBAL__N_124unique_dim_cuda_templateIiEESt5tupleIJNS8_6TensorESD_SD_EERKSD_lbbbEUlllE1_EE10hipError_tPvRmT2_T3_mT4_P12ihipStream_tbEUlT_E_NS1_11comp_targetILNS1_3genE10ELNS1_11target_archE1201ELNS1_3gpuE5ELNS1_3repE0EEENS1_30default_config_static_selectorELNS0_4arch9wavefront6targetE0EEEvT1_,@function
_ZN7rocprim17ROCPRIM_400000_NS6detail17trampoline_kernelINS0_14default_configENS1_35adjacent_difference_config_selectorILb0ElEEZNS1_24adjacent_difference_implIS3_Lb0ELb0EPlS7_ZN2at6native12_GLOBAL__N_124unique_dim_cuda_templateIiEESt5tupleIJNS8_6TensorESD_SD_EERKSD_lbbbEUlllE1_EE10hipError_tPvRmT2_T3_mT4_P12ihipStream_tbEUlT_E_NS1_11comp_targetILNS1_3genE10ELNS1_11target_archE1201ELNS1_3gpuE5ELNS1_3repE0EEENS1_30default_config_static_selectorELNS0_4arch9wavefront6targetE0EEEvT1_: ; @_ZN7rocprim17ROCPRIM_400000_NS6detail17trampoline_kernelINS0_14default_configENS1_35adjacent_difference_config_selectorILb0ElEEZNS1_24adjacent_difference_implIS3_Lb0ELb0EPlS7_ZN2at6native12_GLOBAL__N_124unique_dim_cuda_templateIiEESt5tupleIJNS8_6TensorESD_SD_EERKSD_lbbbEUlllE1_EE10hipError_tPvRmT2_T3_mT4_P12ihipStream_tbEUlT_E_NS1_11comp_targetILNS1_3genE10ELNS1_11target_archE1201ELNS1_3gpuE5ELNS1_3repE0EEENS1_30default_config_static_selectorELNS0_4arch9wavefront6targetE0EEEvT1_
; %bb.0:
	.section	.rodata,"a",@progbits
	.p2align	6, 0x0
	.amdhsa_kernel _ZN7rocprim17ROCPRIM_400000_NS6detail17trampoline_kernelINS0_14default_configENS1_35adjacent_difference_config_selectorILb0ElEEZNS1_24adjacent_difference_implIS3_Lb0ELb0EPlS7_ZN2at6native12_GLOBAL__N_124unique_dim_cuda_templateIiEESt5tupleIJNS8_6TensorESD_SD_EERKSD_lbbbEUlllE1_EE10hipError_tPvRmT2_T3_mT4_P12ihipStream_tbEUlT_E_NS1_11comp_targetILNS1_3genE10ELNS1_11target_archE1201ELNS1_3gpuE5ELNS1_3repE0EEENS1_30default_config_static_selectorELNS0_4arch9wavefront6targetE0EEEvT1_
		.amdhsa_group_segment_fixed_size 0
		.amdhsa_private_segment_fixed_size 0
		.amdhsa_kernarg_size 64
		.amdhsa_user_sgpr_count 2
		.amdhsa_user_sgpr_dispatch_ptr 0
		.amdhsa_user_sgpr_queue_ptr 0
		.amdhsa_user_sgpr_kernarg_segment_ptr 1
		.amdhsa_user_sgpr_dispatch_id 0
		.amdhsa_user_sgpr_kernarg_preload_length 0
		.amdhsa_user_sgpr_kernarg_preload_offset 0
		.amdhsa_user_sgpr_private_segment_size 0
		.amdhsa_wavefront_size32 1
		.amdhsa_uses_dynamic_stack 0
		.amdhsa_enable_private_segment 0
		.amdhsa_system_sgpr_workgroup_id_x 1
		.amdhsa_system_sgpr_workgroup_id_y 0
		.amdhsa_system_sgpr_workgroup_id_z 0
		.amdhsa_system_sgpr_workgroup_info 0
		.amdhsa_system_vgpr_workitem_id 0
		.amdhsa_next_free_vgpr 1
		.amdhsa_next_free_sgpr 1
		.amdhsa_named_barrier_count 0
		.amdhsa_reserve_vcc 0
		.amdhsa_float_round_mode_32 0
		.amdhsa_float_round_mode_16_64 0
		.amdhsa_float_denorm_mode_32 3
		.amdhsa_float_denorm_mode_16_64 3
		.amdhsa_fp16_overflow 0
		.amdhsa_memory_ordered 1
		.amdhsa_forward_progress 1
		.amdhsa_inst_pref_size 0
		.amdhsa_round_robin_scheduling 0
		.amdhsa_exception_fp_ieee_invalid_op 0
		.amdhsa_exception_fp_denorm_src 0
		.amdhsa_exception_fp_ieee_div_zero 0
		.amdhsa_exception_fp_ieee_overflow 0
		.amdhsa_exception_fp_ieee_underflow 0
		.amdhsa_exception_fp_ieee_inexact 0
		.amdhsa_exception_int_div_zero 0
	.end_amdhsa_kernel
	.section	.text._ZN7rocprim17ROCPRIM_400000_NS6detail17trampoline_kernelINS0_14default_configENS1_35adjacent_difference_config_selectorILb0ElEEZNS1_24adjacent_difference_implIS3_Lb0ELb0EPlS7_ZN2at6native12_GLOBAL__N_124unique_dim_cuda_templateIiEESt5tupleIJNS8_6TensorESD_SD_EERKSD_lbbbEUlllE1_EE10hipError_tPvRmT2_T3_mT4_P12ihipStream_tbEUlT_E_NS1_11comp_targetILNS1_3genE10ELNS1_11target_archE1201ELNS1_3gpuE5ELNS1_3repE0EEENS1_30default_config_static_selectorELNS0_4arch9wavefront6targetE0EEEvT1_,"axG",@progbits,_ZN7rocprim17ROCPRIM_400000_NS6detail17trampoline_kernelINS0_14default_configENS1_35adjacent_difference_config_selectorILb0ElEEZNS1_24adjacent_difference_implIS3_Lb0ELb0EPlS7_ZN2at6native12_GLOBAL__N_124unique_dim_cuda_templateIiEESt5tupleIJNS8_6TensorESD_SD_EERKSD_lbbbEUlllE1_EE10hipError_tPvRmT2_T3_mT4_P12ihipStream_tbEUlT_E_NS1_11comp_targetILNS1_3genE10ELNS1_11target_archE1201ELNS1_3gpuE5ELNS1_3repE0EEENS1_30default_config_static_selectorELNS0_4arch9wavefront6targetE0EEEvT1_,comdat
.Lfunc_end417:
	.size	_ZN7rocprim17ROCPRIM_400000_NS6detail17trampoline_kernelINS0_14default_configENS1_35adjacent_difference_config_selectorILb0ElEEZNS1_24adjacent_difference_implIS3_Lb0ELb0EPlS7_ZN2at6native12_GLOBAL__N_124unique_dim_cuda_templateIiEESt5tupleIJNS8_6TensorESD_SD_EERKSD_lbbbEUlllE1_EE10hipError_tPvRmT2_T3_mT4_P12ihipStream_tbEUlT_E_NS1_11comp_targetILNS1_3genE10ELNS1_11target_archE1201ELNS1_3gpuE5ELNS1_3repE0EEENS1_30default_config_static_selectorELNS0_4arch9wavefront6targetE0EEEvT1_, .Lfunc_end417-_ZN7rocprim17ROCPRIM_400000_NS6detail17trampoline_kernelINS0_14default_configENS1_35adjacent_difference_config_selectorILb0ElEEZNS1_24adjacent_difference_implIS3_Lb0ELb0EPlS7_ZN2at6native12_GLOBAL__N_124unique_dim_cuda_templateIiEESt5tupleIJNS8_6TensorESD_SD_EERKSD_lbbbEUlllE1_EE10hipError_tPvRmT2_T3_mT4_P12ihipStream_tbEUlT_E_NS1_11comp_targetILNS1_3genE10ELNS1_11target_archE1201ELNS1_3gpuE5ELNS1_3repE0EEENS1_30default_config_static_selectorELNS0_4arch9wavefront6targetE0EEEvT1_
                                        ; -- End function
	.set _ZN7rocprim17ROCPRIM_400000_NS6detail17trampoline_kernelINS0_14default_configENS1_35adjacent_difference_config_selectorILb0ElEEZNS1_24adjacent_difference_implIS3_Lb0ELb0EPlS7_ZN2at6native12_GLOBAL__N_124unique_dim_cuda_templateIiEESt5tupleIJNS8_6TensorESD_SD_EERKSD_lbbbEUlllE1_EE10hipError_tPvRmT2_T3_mT4_P12ihipStream_tbEUlT_E_NS1_11comp_targetILNS1_3genE10ELNS1_11target_archE1201ELNS1_3gpuE5ELNS1_3repE0EEENS1_30default_config_static_selectorELNS0_4arch9wavefront6targetE0EEEvT1_.num_vgpr, 0
	.set _ZN7rocprim17ROCPRIM_400000_NS6detail17trampoline_kernelINS0_14default_configENS1_35adjacent_difference_config_selectorILb0ElEEZNS1_24adjacent_difference_implIS3_Lb0ELb0EPlS7_ZN2at6native12_GLOBAL__N_124unique_dim_cuda_templateIiEESt5tupleIJNS8_6TensorESD_SD_EERKSD_lbbbEUlllE1_EE10hipError_tPvRmT2_T3_mT4_P12ihipStream_tbEUlT_E_NS1_11comp_targetILNS1_3genE10ELNS1_11target_archE1201ELNS1_3gpuE5ELNS1_3repE0EEENS1_30default_config_static_selectorELNS0_4arch9wavefront6targetE0EEEvT1_.num_agpr, 0
	.set _ZN7rocprim17ROCPRIM_400000_NS6detail17trampoline_kernelINS0_14default_configENS1_35adjacent_difference_config_selectorILb0ElEEZNS1_24adjacent_difference_implIS3_Lb0ELb0EPlS7_ZN2at6native12_GLOBAL__N_124unique_dim_cuda_templateIiEESt5tupleIJNS8_6TensorESD_SD_EERKSD_lbbbEUlllE1_EE10hipError_tPvRmT2_T3_mT4_P12ihipStream_tbEUlT_E_NS1_11comp_targetILNS1_3genE10ELNS1_11target_archE1201ELNS1_3gpuE5ELNS1_3repE0EEENS1_30default_config_static_selectorELNS0_4arch9wavefront6targetE0EEEvT1_.numbered_sgpr, 0
	.set _ZN7rocprim17ROCPRIM_400000_NS6detail17trampoline_kernelINS0_14default_configENS1_35adjacent_difference_config_selectorILb0ElEEZNS1_24adjacent_difference_implIS3_Lb0ELb0EPlS7_ZN2at6native12_GLOBAL__N_124unique_dim_cuda_templateIiEESt5tupleIJNS8_6TensorESD_SD_EERKSD_lbbbEUlllE1_EE10hipError_tPvRmT2_T3_mT4_P12ihipStream_tbEUlT_E_NS1_11comp_targetILNS1_3genE10ELNS1_11target_archE1201ELNS1_3gpuE5ELNS1_3repE0EEENS1_30default_config_static_selectorELNS0_4arch9wavefront6targetE0EEEvT1_.num_named_barrier, 0
	.set _ZN7rocprim17ROCPRIM_400000_NS6detail17trampoline_kernelINS0_14default_configENS1_35adjacent_difference_config_selectorILb0ElEEZNS1_24adjacent_difference_implIS3_Lb0ELb0EPlS7_ZN2at6native12_GLOBAL__N_124unique_dim_cuda_templateIiEESt5tupleIJNS8_6TensorESD_SD_EERKSD_lbbbEUlllE1_EE10hipError_tPvRmT2_T3_mT4_P12ihipStream_tbEUlT_E_NS1_11comp_targetILNS1_3genE10ELNS1_11target_archE1201ELNS1_3gpuE5ELNS1_3repE0EEENS1_30default_config_static_selectorELNS0_4arch9wavefront6targetE0EEEvT1_.private_seg_size, 0
	.set _ZN7rocprim17ROCPRIM_400000_NS6detail17trampoline_kernelINS0_14default_configENS1_35adjacent_difference_config_selectorILb0ElEEZNS1_24adjacent_difference_implIS3_Lb0ELb0EPlS7_ZN2at6native12_GLOBAL__N_124unique_dim_cuda_templateIiEESt5tupleIJNS8_6TensorESD_SD_EERKSD_lbbbEUlllE1_EE10hipError_tPvRmT2_T3_mT4_P12ihipStream_tbEUlT_E_NS1_11comp_targetILNS1_3genE10ELNS1_11target_archE1201ELNS1_3gpuE5ELNS1_3repE0EEENS1_30default_config_static_selectorELNS0_4arch9wavefront6targetE0EEEvT1_.uses_vcc, 0
	.set _ZN7rocprim17ROCPRIM_400000_NS6detail17trampoline_kernelINS0_14default_configENS1_35adjacent_difference_config_selectorILb0ElEEZNS1_24adjacent_difference_implIS3_Lb0ELb0EPlS7_ZN2at6native12_GLOBAL__N_124unique_dim_cuda_templateIiEESt5tupleIJNS8_6TensorESD_SD_EERKSD_lbbbEUlllE1_EE10hipError_tPvRmT2_T3_mT4_P12ihipStream_tbEUlT_E_NS1_11comp_targetILNS1_3genE10ELNS1_11target_archE1201ELNS1_3gpuE5ELNS1_3repE0EEENS1_30default_config_static_selectorELNS0_4arch9wavefront6targetE0EEEvT1_.uses_flat_scratch, 0
	.set _ZN7rocprim17ROCPRIM_400000_NS6detail17trampoline_kernelINS0_14default_configENS1_35adjacent_difference_config_selectorILb0ElEEZNS1_24adjacent_difference_implIS3_Lb0ELb0EPlS7_ZN2at6native12_GLOBAL__N_124unique_dim_cuda_templateIiEESt5tupleIJNS8_6TensorESD_SD_EERKSD_lbbbEUlllE1_EE10hipError_tPvRmT2_T3_mT4_P12ihipStream_tbEUlT_E_NS1_11comp_targetILNS1_3genE10ELNS1_11target_archE1201ELNS1_3gpuE5ELNS1_3repE0EEENS1_30default_config_static_selectorELNS0_4arch9wavefront6targetE0EEEvT1_.has_dyn_sized_stack, 0
	.set _ZN7rocprim17ROCPRIM_400000_NS6detail17trampoline_kernelINS0_14default_configENS1_35adjacent_difference_config_selectorILb0ElEEZNS1_24adjacent_difference_implIS3_Lb0ELb0EPlS7_ZN2at6native12_GLOBAL__N_124unique_dim_cuda_templateIiEESt5tupleIJNS8_6TensorESD_SD_EERKSD_lbbbEUlllE1_EE10hipError_tPvRmT2_T3_mT4_P12ihipStream_tbEUlT_E_NS1_11comp_targetILNS1_3genE10ELNS1_11target_archE1201ELNS1_3gpuE5ELNS1_3repE0EEENS1_30default_config_static_selectorELNS0_4arch9wavefront6targetE0EEEvT1_.has_recursion, 0
	.set _ZN7rocprim17ROCPRIM_400000_NS6detail17trampoline_kernelINS0_14default_configENS1_35adjacent_difference_config_selectorILb0ElEEZNS1_24adjacent_difference_implIS3_Lb0ELb0EPlS7_ZN2at6native12_GLOBAL__N_124unique_dim_cuda_templateIiEESt5tupleIJNS8_6TensorESD_SD_EERKSD_lbbbEUlllE1_EE10hipError_tPvRmT2_T3_mT4_P12ihipStream_tbEUlT_E_NS1_11comp_targetILNS1_3genE10ELNS1_11target_archE1201ELNS1_3gpuE5ELNS1_3repE0EEENS1_30default_config_static_selectorELNS0_4arch9wavefront6targetE0EEEvT1_.has_indirect_call, 0
	.section	.AMDGPU.csdata,"",@progbits
; Kernel info:
; codeLenInByte = 0
; TotalNumSgprs: 0
; NumVgprs: 0
; ScratchSize: 0
; MemoryBound: 0
; FloatMode: 240
; IeeeMode: 1
; LDSByteSize: 0 bytes/workgroup (compile time only)
; SGPRBlocks: 0
; VGPRBlocks: 0
; NumSGPRsForWavesPerEU: 1
; NumVGPRsForWavesPerEU: 1
; NamedBarCnt: 0
; Occupancy: 16
; WaveLimiterHint : 0
; COMPUTE_PGM_RSRC2:SCRATCH_EN: 0
; COMPUTE_PGM_RSRC2:USER_SGPR: 2
; COMPUTE_PGM_RSRC2:TRAP_HANDLER: 0
; COMPUTE_PGM_RSRC2:TGID_X_EN: 1
; COMPUTE_PGM_RSRC2:TGID_Y_EN: 0
; COMPUTE_PGM_RSRC2:TGID_Z_EN: 0
; COMPUTE_PGM_RSRC2:TIDIG_COMP_CNT: 0
	.section	.text._ZN7rocprim17ROCPRIM_400000_NS6detail17trampoline_kernelINS0_14default_configENS1_35adjacent_difference_config_selectorILb0ElEEZNS1_24adjacent_difference_implIS3_Lb0ELb0EPlS7_ZN2at6native12_GLOBAL__N_124unique_dim_cuda_templateIiEESt5tupleIJNS8_6TensorESD_SD_EERKSD_lbbbEUlllE1_EE10hipError_tPvRmT2_T3_mT4_P12ihipStream_tbEUlT_E_NS1_11comp_targetILNS1_3genE5ELNS1_11target_archE942ELNS1_3gpuE9ELNS1_3repE0EEENS1_30default_config_static_selectorELNS0_4arch9wavefront6targetE0EEEvT1_,"axG",@progbits,_ZN7rocprim17ROCPRIM_400000_NS6detail17trampoline_kernelINS0_14default_configENS1_35adjacent_difference_config_selectorILb0ElEEZNS1_24adjacent_difference_implIS3_Lb0ELb0EPlS7_ZN2at6native12_GLOBAL__N_124unique_dim_cuda_templateIiEESt5tupleIJNS8_6TensorESD_SD_EERKSD_lbbbEUlllE1_EE10hipError_tPvRmT2_T3_mT4_P12ihipStream_tbEUlT_E_NS1_11comp_targetILNS1_3genE5ELNS1_11target_archE942ELNS1_3gpuE9ELNS1_3repE0EEENS1_30default_config_static_selectorELNS0_4arch9wavefront6targetE0EEEvT1_,comdat
	.globl	_ZN7rocprim17ROCPRIM_400000_NS6detail17trampoline_kernelINS0_14default_configENS1_35adjacent_difference_config_selectorILb0ElEEZNS1_24adjacent_difference_implIS3_Lb0ELb0EPlS7_ZN2at6native12_GLOBAL__N_124unique_dim_cuda_templateIiEESt5tupleIJNS8_6TensorESD_SD_EERKSD_lbbbEUlllE1_EE10hipError_tPvRmT2_T3_mT4_P12ihipStream_tbEUlT_E_NS1_11comp_targetILNS1_3genE5ELNS1_11target_archE942ELNS1_3gpuE9ELNS1_3repE0EEENS1_30default_config_static_selectorELNS0_4arch9wavefront6targetE0EEEvT1_ ; -- Begin function _ZN7rocprim17ROCPRIM_400000_NS6detail17trampoline_kernelINS0_14default_configENS1_35adjacent_difference_config_selectorILb0ElEEZNS1_24adjacent_difference_implIS3_Lb0ELb0EPlS7_ZN2at6native12_GLOBAL__N_124unique_dim_cuda_templateIiEESt5tupleIJNS8_6TensorESD_SD_EERKSD_lbbbEUlllE1_EE10hipError_tPvRmT2_T3_mT4_P12ihipStream_tbEUlT_E_NS1_11comp_targetILNS1_3genE5ELNS1_11target_archE942ELNS1_3gpuE9ELNS1_3repE0EEENS1_30default_config_static_selectorELNS0_4arch9wavefront6targetE0EEEvT1_
	.p2align	8
	.type	_ZN7rocprim17ROCPRIM_400000_NS6detail17trampoline_kernelINS0_14default_configENS1_35adjacent_difference_config_selectorILb0ElEEZNS1_24adjacent_difference_implIS3_Lb0ELb0EPlS7_ZN2at6native12_GLOBAL__N_124unique_dim_cuda_templateIiEESt5tupleIJNS8_6TensorESD_SD_EERKSD_lbbbEUlllE1_EE10hipError_tPvRmT2_T3_mT4_P12ihipStream_tbEUlT_E_NS1_11comp_targetILNS1_3genE5ELNS1_11target_archE942ELNS1_3gpuE9ELNS1_3repE0EEENS1_30default_config_static_selectorELNS0_4arch9wavefront6targetE0EEEvT1_,@function
_ZN7rocprim17ROCPRIM_400000_NS6detail17trampoline_kernelINS0_14default_configENS1_35adjacent_difference_config_selectorILb0ElEEZNS1_24adjacent_difference_implIS3_Lb0ELb0EPlS7_ZN2at6native12_GLOBAL__N_124unique_dim_cuda_templateIiEESt5tupleIJNS8_6TensorESD_SD_EERKSD_lbbbEUlllE1_EE10hipError_tPvRmT2_T3_mT4_P12ihipStream_tbEUlT_E_NS1_11comp_targetILNS1_3genE5ELNS1_11target_archE942ELNS1_3gpuE9ELNS1_3repE0EEENS1_30default_config_static_selectorELNS0_4arch9wavefront6targetE0EEEvT1_: ; @_ZN7rocprim17ROCPRIM_400000_NS6detail17trampoline_kernelINS0_14default_configENS1_35adjacent_difference_config_selectorILb0ElEEZNS1_24adjacent_difference_implIS3_Lb0ELb0EPlS7_ZN2at6native12_GLOBAL__N_124unique_dim_cuda_templateIiEESt5tupleIJNS8_6TensorESD_SD_EERKSD_lbbbEUlllE1_EE10hipError_tPvRmT2_T3_mT4_P12ihipStream_tbEUlT_E_NS1_11comp_targetILNS1_3genE5ELNS1_11target_archE942ELNS1_3gpuE9ELNS1_3repE0EEENS1_30default_config_static_selectorELNS0_4arch9wavefront6targetE0EEEvT1_
; %bb.0:
	.section	.rodata,"a",@progbits
	.p2align	6, 0x0
	.amdhsa_kernel _ZN7rocprim17ROCPRIM_400000_NS6detail17trampoline_kernelINS0_14default_configENS1_35adjacent_difference_config_selectorILb0ElEEZNS1_24adjacent_difference_implIS3_Lb0ELb0EPlS7_ZN2at6native12_GLOBAL__N_124unique_dim_cuda_templateIiEESt5tupleIJNS8_6TensorESD_SD_EERKSD_lbbbEUlllE1_EE10hipError_tPvRmT2_T3_mT4_P12ihipStream_tbEUlT_E_NS1_11comp_targetILNS1_3genE5ELNS1_11target_archE942ELNS1_3gpuE9ELNS1_3repE0EEENS1_30default_config_static_selectorELNS0_4arch9wavefront6targetE0EEEvT1_
		.amdhsa_group_segment_fixed_size 0
		.amdhsa_private_segment_fixed_size 0
		.amdhsa_kernarg_size 64
		.amdhsa_user_sgpr_count 2
		.amdhsa_user_sgpr_dispatch_ptr 0
		.amdhsa_user_sgpr_queue_ptr 0
		.amdhsa_user_sgpr_kernarg_segment_ptr 1
		.amdhsa_user_sgpr_dispatch_id 0
		.amdhsa_user_sgpr_kernarg_preload_length 0
		.amdhsa_user_sgpr_kernarg_preload_offset 0
		.amdhsa_user_sgpr_private_segment_size 0
		.amdhsa_wavefront_size32 1
		.amdhsa_uses_dynamic_stack 0
		.amdhsa_enable_private_segment 0
		.amdhsa_system_sgpr_workgroup_id_x 1
		.amdhsa_system_sgpr_workgroup_id_y 0
		.amdhsa_system_sgpr_workgroup_id_z 0
		.amdhsa_system_sgpr_workgroup_info 0
		.amdhsa_system_vgpr_workitem_id 0
		.amdhsa_next_free_vgpr 1
		.amdhsa_next_free_sgpr 1
		.amdhsa_named_barrier_count 0
		.amdhsa_reserve_vcc 0
		.amdhsa_float_round_mode_32 0
		.amdhsa_float_round_mode_16_64 0
		.amdhsa_float_denorm_mode_32 3
		.amdhsa_float_denorm_mode_16_64 3
		.amdhsa_fp16_overflow 0
		.amdhsa_memory_ordered 1
		.amdhsa_forward_progress 1
		.amdhsa_inst_pref_size 0
		.amdhsa_round_robin_scheduling 0
		.amdhsa_exception_fp_ieee_invalid_op 0
		.amdhsa_exception_fp_denorm_src 0
		.amdhsa_exception_fp_ieee_div_zero 0
		.amdhsa_exception_fp_ieee_overflow 0
		.amdhsa_exception_fp_ieee_underflow 0
		.amdhsa_exception_fp_ieee_inexact 0
		.amdhsa_exception_int_div_zero 0
	.end_amdhsa_kernel
	.section	.text._ZN7rocprim17ROCPRIM_400000_NS6detail17trampoline_kernelINS0_14default_configENS1_35adjacent_difference_config_selectorILb0ElEEZNS1_24adjacent_difference_implIS3_Lb0ELb0EPlS7_ZN2at6native12_GLOBAL__N_124unique_dim_cuda_templateIiEESt5tupleIJNS8_6TensorESD_SD_EERKSD_lbbbEUlllE1_EE10hipError_tPvRmT2_T3_mT4_P12ihipStream_tbEUlT_E_NS1_11comp_targetILNS1_3genE5ELNS1_11target_archE942ELNS1_3gpuE9ELNS1_3repE0EEENS1_30default_config_static_selectorELNS0_4arch9wavefront6targetE0EEEvT1_,"axG",@progbits,_ZN7rocprim17ROCPRIM_400000_NS6detail17trampoline_kernelINS0_14default_configENS1_35adjacent_difference_config_selectorILb0ElEEZNS1_24adjacent_difference_implIS3_Lb0ELb0EPlS7_ZN2at6native12_GLOBAL__N_124unique_dim_cuda_templateIiEESt5tupleIJNS8_6TensorESD_SD_EERKSD_lbbbEUlllE1_EE10hipError_tPvRmT2_T3_mT4_P12ihipStream_tbEUlT_E_NS1_11comp_targetILNS1_3genE5ELNS1_11target_archE942ELNS1_3gpuE9ELNS1_3repE0EEENS1_30default_config_static_selectorELNS0_4arch9wavefront6targetE0EEEvT1_,comdat
.Lfunc_end418:
	.size	_ZN7rocprim17ROCPRIM_400000_NS6detail17trampoline_kernelINS0_14default_configENS1_35adjacent_difference_config_selectorILb0ElEEZNS1_24adjacent_difference_implIS3_Lb0ELb0EPlS7_ZN2at6native12_GLOBAL__N_124unique_dim_cuda_templateIiEESt5tupleIJNS8_6TensorESD_SD_EERKSD_lbbbEUlllE1_EE10hipError_tPvRmT2_T3_mT4_P12ihipStream_tbEUlT_E_NS1_11comp_targetILNS1_3genE5ELNS1_11target_archE942ELNS1_3gpuE9ELNS1_3repE0EEENS1_30default_config_static_selectorELNS0_4arch9wavefront6targetE0EEEvT1_, .Lfunc_end418-_ZN7rocprim17ROCPRIM_400000_NS6detail17trampoline_kernelINS0_14default_configENS1_35adjacent_difference_config_selectorILb0ElEEZNS1_24adjacent_difference_implIS3_Lb0ELb0EPlS7_ZN2at6native12_GLOBAL__N_124unique_dim_cuda_templateIiEESt5tupleIJNS8_6TensorESD_SD_EERKSD_lbbbEUlllE1_EE10hipError_tPvRmT2_T3_mT4_P12ihipStream_tbEUlT_E_NS1_11comp_targetILNS1_3genE5ELNS1_11target_archE942ELNS1_3gpuE9ELNS1_3repE0EEENS1_30default_config_static_selectorELNS0_4arch9wavefront6targetE0EEEvT1_
                                        ; -- End function
	.set _ZN7rocprim17ROCPRIM_400000_NS6detail17trampoline_kernelINS0_14default_configENS1_35adjacent_difference_config_selectorILb0ElEEZNS1_24adjacent_difference_implIS3_Lb0ELb0EPlS7_ZN2at6native12_GLOBAL__N_124unique_dim_cuda_templateIiEESt5tupleIJNS8_6TensorESD_SD_EERKSD_lbbbEUlllE1_EE10hipError_tPvRmT2_T3_mT4_P12ihipStream_tbEUlT_E_NS1_11comp_targetILNS1_3genE5ELNS1_11target_archE942ELNS1_3gpuE9ELNS1_3repE0EEENS1_30default_config_static_selectorELNS0_4arch9wavefront6targetE0EEEvT1_.num_vgpr, 0
	.set _ZN7rocprim17ROCPRIM_400000_NS6detail17trampoline_kernelINS0_14default_configENS1_35adjacent_difference_config_selectorILb0ElEEZNS1_24adjacent_difference_implIS3_Lb0ELb0EPlS7_ZN2at6native12_GLOBAL__N_124unique_dim_cuda_templateIiEESt5tupleIJNS8_6TensorESD_SD_EERKSD_lbbbEUlllE1_EE10hipError_tPvRmT2_T3_mT4_P12ihipStream_tbEUlT_E_NS1_11comp_targetILNS1_3genE5ELNS1_11target_archE942ELNS1_3gpuE9ELNS1_3repE0EEENS1_30default_config_static_selectorELNS0_4arch9wavefront6targetE0EEEvT1_.num_agpr, 0
	.set _ZN7rocprim17ROCPRIM_400000_NS6detail17trampoline_kernelINS0_14default_configENS1_35adjacent_difference_config_selectorILb0ElEEZNS1_24adjacent_difference_implIS3_Lb0ELb0EPlS7_ZN2at6native12_GLOBAL__N_124unique_dim_cuda_templateIiEESt5tupleIJNS8_6TensorESD_SD_EERKSD_lbbbEUlllE1_EE10hipError_tPvRmT2_T3_mT4_P12ihipStream_tbEUlT_E_NS1_11comp_targetILNS1_3genE5ELNS1_11target_archE942ELNS1_3gpuE9ELNS1_3repE0EEENS1_30default_config_static_selectorELNS0_4arch9wavefront6targetE0EEEvT1_.numbered_sgpr, 0
	.set _ZN7rocprim17ROCPRIM_400000_NS6detail17trampoline_kernelINS0_14default_configENS1_35adjacent_difference_config_selectorILb0ElEEZNS1_24adjacent_difference_implIS3_Lb0ELb0EPlS7_ZN2at6native12_GLOBAL__N_124unique_dim_cuda_templateIiEESt5tupleIJNS8_6TensorESD_SD_EERKSD_lbbbEUlllE1_EE10hipError_tPvRmT2_T3_mT4_P12ihipStream_tbEUlT_E_NS1_11comp_targetILNS1_3genE5ELNS1_11target_archE942ELNS1_3gpuE9ELNS1_3repE0EEENS1_30default_config_static_selectorELNS0_4arch9wavefront6targetE0EEEvT1_.num_named_barrier, 0
	.set _ZN7rocprim17ROCPRIM_400000_NS6detail17trampoline_kernelINS0_14default_configENS1_35adjacent_difference_config_selectorILb0ElEEZNS1_24adjacent_difference_implIS3_Lb0ELb0EPlS7_ZN2at6native12_GLOBAL__N_124unique_dim_cuda_templateIiEESt5tupleIJNS8_6TensorESD_SD_EERKSD_lbbbEUlllE1_EE10hipError_tPvRmT2_T3_mT4_P12ihipStream_tbEUlT_E_NS1_11comp_targetILNS1_3genE5ELNS1_11target_archE942ELNS1_3gpuE9ELNS1_3repE0EEENS1_30default_config_static_selectorELNS0_4arch9wavefront6targetE0EEEvT1_.private_seg_size, 0
	.set _ZN7rocprim17ROCPRIM_400000_NS6detail17trampoline_kernelINS0_14default_configENS1_35adjacent_difference_config_selectorILb0ElEEZNS1_24adjacent_difference_implIS3_Lb0ELb0EPlS7_ZN2at6native12_GLOBAL__N_124unique_dim_cuda_templateIiEESt5tupleIJNS8_6TensorESD_SD_EERKSD_lbbbEUlllE1_EE10hipError_tPvRmT2_T3_mT4_P12ihipStream_tbEUlT_E_NS1_11comp_targetILNS1_3genE5ELNS1_11target_archE942ELNS1_3gpuE9ELNS1_3repE0EEENS1_30default_config_static_selectorELNS0_4arch9wavefront6targetE0EEEvT1_.uses_vcc, 0
	.set _ZN7rocprim17ROCPRIM_400000_NS6detail17trampoline_kernelINS0_14default_configENS1_35adjacent_difference_config_selectorILb0ElEEZNS1_24adjacent_difference_implIS3_Lb0ELb0EPlS7_ZN2at6native12_GLOBAL__N_124unique_dim_cuda_templateIiEESt5tupleIJNS8_6TensorESD_SD_EERKSD_lbbbEUlllE1_EE10hipError_tPvRmT2_T3_mT4_P12ihipStream_tbEUlT_E_NS1_11comp_targetILNS1_3genE5ELNS1_11target_archE942ELNS1_3gpuE9ELNS1_3repE0EEENS1_30default_config_static_selectorELNS0_4arch9wavefront6targetE0EEEvT1_.uses_flat_scratch, 0
	.set _ZN7rocprim17ROCPRIM_400000_NS6detail17trampoline_kernelINS0_14default_configENS1_35adjacent_difference_config_selectorILb0ElEEZNS1_24adjacent_difference_implIS3_Lb0ELb0EPlS7_ZN2at6native12_GLOBAL__N_124unique_dim_cuda_templateIiEESt5tupleIJNS8_6TensorESD_SD_EERKSD_lbbbEUlllE1_EE10hipError_tPvRmT2_T3_mT4_P12ihipStream_tbEUlT_E_NS1_11comp_targetILNS1_3genE5ELNS1_11target_archE942ELNS1_3gpuE9ELNS1_3repE0EEENS1_30default_config_static_selectorELNS0_4arch9wavefront6targetE0EEEvT1_.has_dyn_sized_stack, 0
	.set _ZN7rocprim17ROCPRIM_400000_NS6detail17trampoline_kernelINS0_14default_configENS1_35adjacent_difference_config_selectorILb0ElEEZNS1_24adjacent_difference_implIS3_Lb0ELb0EPlS7_ZN2at6native12_GLOBAL__N_124unique_dim_cuda_templateIiEESt5tupleIJNS8_6TensorESD_SD_EERKSD_lbbbEUlllE1_EE10hipError_tPvRmT2_T3_mT4_P12ihipStream_tbEUlT_E_NS1_11comp_targetILNS1_3genE5ELNS1_11target_archE942ELNS1_3gpuE9ELNS1_3repE0EEENS1_30default_config_static_selectorELNS0_4arch9wavefront6targetE0EEEvT1_.has_recursion, 0
	.set _ZN7rocprim17ROCPRIM_400000_NS6detail17trampoline_kernelINS0_14default_configENS1_35adjacent_difference_config_selectorILb0ElEEZNS1_24adjacent_difference_implIS3_Lb0ELb0EPlS7_ZN2at6native12_GLOBAL__N_124unique_dim_cuda_templateIiEESt5tupleIJNS8_6TensorESD_SD_EERKSD_lbbbEUlllE1_EE10hipError_tPvRmT2_T3_mT4_P12ihipStream_tbEUlT_E_NS1_11comp_targetILNS1_3genE5ELNS1_11target_archE942ELNS1_3gpuE9ELNS1_3repE0EEENS1_30default_config_static_selectorELNS0_4arch9wavefront6targetE0EEEvT1_.has_indirect_call, 0
	.section	.AMDGPU.csdata,"",@progbits
; Kernel info:
; codeLenInByte = 0
; TotalNumSgprs: 0
; NumVgprs: 0
; ScratchSize: 0
; MemoryBound: 0
; FloatMode: 240
; IeeeMode: 1
; LDSByteSize: 0 bytes/workgroup (compile time only)
; SGPRBlocks: 0
; VGPRBlocks: 0
; NumSGPRsForWavesPerEU: 1
; NumVGPRsForWavesPerEU: 1
; NamedBarCnt: 0
; Occupancy: 16
; WaveLimiterHint : 0
; COMPUTE_PGM_RSRC2:SCRATCH_EN: 0
; COMPUTE_PGM_RSRC2:USER_SGPR: 2
; COMPUTE_PGM_RSRC2:TRAP_HANDLER: 0
; COMPUTE_PGM_RSRC2:TGID_X_EN: 1
; COMPUTE_PGM_RSRC2:TGID_Y_EN: 0
; COMPUTE_PGM_RSRC2:TGID_Z_EN: 0
; COMPUTE_PGM_RSRC2:TIDIG_COMP_CNT: 0
	.section	.text._ZN7rocprim17ROCPRIM_400000_NS6detail17trampoline_kernelINS0_14default_configENS1_35adjacent_difference_config_selectorILb0ElEEZNS1_24adjacent_difference_implIS3_Lb0ELb0EPlS7_ZN2at6native12_GLOBAL__N_124unique_dim_cuda_templateIiEESt5tupleIJNS8_6TensorESD_SD_EERKSD_lbbbEUlllE1_EE10hipError_tPvRmT2_T3_mT4_P12ihipStream_tbEUlT_E_NS1_11comp_targetILNS1_3genE4ELNS1_11target_archE910ELNS1_3gpuE8ELNS1_3repE0EEENS1_30default_config_static_selectorELNS0_4arch9wavefront6targetE0EEEvT1_,"axG",@progbits,_ZN7rocprim17ROCPRIM_400000_NS6detail17trampoline_kernelINS0_14default_configENS1_35adjacent_difference_config_selectorILb0ElEEZNS1_24adjacent_difference_implIS3_Lb0ELb0EPlS7_ZN2at6native12_GLOBAL__N_124unique_dim_cuda_templateIiEESt5tupleIJNS8_6TensorESD_SD_EERKSD_lbbbEUlllE1_EE10hipError_tPvRmT2_T3_mT4_P12ihipStream_tbEUlT_E_NS1_11comp_targetILNS1_3genE4ELNS1_11target_archE910ELNS1_3gpuE8ELNS1_3repE0EEENS1_30default_config_static_selectorELNS0_4arch9wavefront6targetE0EEEvT1_,comdat
	.globl	_ZN7rocprim17ROCPRIM_400000_NS6detail17trampoline_kernelINS0_14default_configENS1_35adjacent_difference_config_selectorILb0ElEEZNS1_24adjacent_difference_implIS3_Lb0ELb0EPlS7_ZN2at6native12_GLOBAL__N_124unique_dim_cuda_templateIiEESt5tupleIJNS8_6TensorESD_SD_EERKSD_lbbbEUlllE1_EE10hipError_tPvRmT2_T3_mT4_P12ihipStream_tbEUlT_E_NS1_11comp_targetILNS1_3genE4ELNS1_11target_archE910ELNS1_3gpuE8ELNS1_3repE0EEENS1_30default_config_static_selectorELNS0_4arch9wavefront6targetE0EEEvT1_ ; -- Begin function _ZN7rocprim17ROCPRIM_400000_NS6detail17trampoline_kernelINS0_14default_configENS1_35adjacent_difference_config_selectorILb0ElEEZNS1_24adjacent_difference_implIS3_Lb0ELb0EPlS7_ZN2at6native12_GLOBAL__N_124unique_dim_cuda_templateIiEESt5tupleIJNS8_6TensorESD_SD_EERKSD_lbbbEUlllE1_EE10hipError_tPvRmT2_T3_mT4_P12ihipStream_tbEUlT_E_NS1_11comp_targetILNS1_3genE4ELNS1_11target_archE910ELNS1_3gpuE8ELNS1_3repE0EEENS1_30default_config_static_selectorELNS0_4arch9wavefront6targetE0EEEvT1_
	.p2align	8
	.type	_ZN7rocprim17ROCPRIM_400000_NS6detail17trampoline_kernelINS0_14default_configENS1_35adjacent_difference_config_selectorILb0ElEEZNS1_24adjacent_difference_implIS3_Lb0ELb0EPlS7_ZN2at6native12_GLOBAL__N_124unique_dim_cuda_templateIiEESt5tupleIJNS8_6TensorESD_SD_EERKSD_lbbbEUlllE1_EE10hipError_tPvRmT2_T3_mT4_P12ihipStream_tbEUlT_E_NS1_11comp_targetILNS1_3genE4ELNS1_11target_archE910ELNS1_3gpuE8ELNS1_3repE0EEENS1_30default_config_static_selectorELNS0_4arch9wavefront6targetE0EEEvT1_,@function
_ZN7rocprim17ROCPRIM_400000_NS6detail17trampoline_kernelINS0_14default_configENS1_35adjacent_difference_config_selectorILb0ElEEZNS1_24adjacent_difference_implIS3_Lb0ELb0EPlS7_ZN2at6native12_GLOBAL__N_124unique_dim_cuda_templateIiEESt5tupleIJNS8_6TensorESD_SD_EERKSD_lbbbEUlllE1_EE10hipError_tPvRmT2_T3_mT4_P12ihipStream_tbEUlT_E_NS1_11comp_targetILNS1_3genE4ELNS1_11target_archE910ELNS1_3gpuE8ELNS1_3repE0EEENS1_30default_config_static_selectorELNS0_4arch9wavefront6targetE0EEEvT1_: ; @_ZN7rocprim17ROCPRIM_400000_NS6detail17trampoline_kernelINS0_14default_configENS1_35adjacent_difference_config_selectorILb0ElEEZNS1_24adjacent_difference_implIS3_Lb0ELb0EPlS7_ZN2at6native12_GLOBAL__N_124unique_dim_cuda_templateIiEESt5tupleIJNS8_6TensorESD_SD_EERKSD_lbbbEUlllE1_EE10hipError_tPvRmT2_T3_mT4_P12ihipStream_tbEUlT_E_NS1_11comp_targetILNS1_3genE4ELNS1_11target_archE910ELNS1_3gpuE8ELNS1_3repE0EEENS1_30default_config_static_selectorELNS0_4arch9wavefront6targetE0EEEvT1_
; %bb.0:
	.section	.rodata,"a",@progbits
	.p2align	6, 0x0
	.amdhsa_kernel _ZN7rocprim17ROCPRIM_400000_NS6detail17trampoline_kernelINS0_14default_configENS1_35adjacent_difference_config_selectorILb0ElEEZNS1_24adjacent_difference_implIS3_Lb0ELb0EPlS7_ZN2at6native12_GLOBAL__N_124unique_dim_cuda_templateIiEESt5tupleIJNS8_6TensorESD_SD_EERKSD_lbbbEUlllE1_EE10hipError_tPvRmT2_T3_mT4_P12ihipStream_tbEUlT_E_NS1_11comp_targetILNS1_3genE4ELNS1_11target_archE910ELNS1_3gpuE8ELNS1_3repE0EEENS1_30default_config_static_selectorELNS0_4arch9wavefront6targetE0EEEvT1_
		.amdhsa_group_segment_fixed_size 0
		.amdhsa_private_segment_fixed_size 0
		.amdhsa_kernarg_size 64
		.amdhsa_user_sgpr_count 2
		.amdhsa_user_sgpr_dispatch_ptr 0
		.amdhsa_user_sgpr_queue_ptr 0
		.amdhsa_user_sgpr_kernarg_segment_ptr 1
		.amdhsa_user_sgpr_dispatch_id 0
		.amdhsa_user_sgpr_kernarg_preload_length 0
		.amdhsa_user_sgpr_kernarg_preload_offset 0
		.amdhsa_user_sgpr_private_segment_size 0
		.amdhsa_wavefront_size32 1
		.amdhsa_uses_dynamic_stack 0
		.amdhsa_enable_private_segment 0
		.amdhsa_system_sgpr_workgroup_id_x 1
		.amdhsa_system_sgpr_workgroup_id_y 0
		.amdhsa_system_sgpr_workgroup_id_z 0
		.amdhsa_system_sgpr_workgroup_info 0
		.amdhsa_system_vgpr_workitem_id 0
		.amdhsa_next_free_vgpr 1
		.amdhsa_next_free_sgpr 1
		.amdhsa_named_barrier_count 0
		.amdhsa_reserve_vcc 0
		.amdhsa_float_round_mode_32 0
		.amdhsa_float_round_mode_16_64 0
		.amdhsa_float_denorm_mode_32 3
		.amdhsa_float_denorm_mode_16_64 3
		.amdhsa_fp16_overflow 0
		.amdhsa_memory_ordered 1
		.amdhsa_forward_progress 1
		.amdhsa_inst_pref_size 0
		.amdhsa_round_robin_scheduling 0
		.amdhsa_exception_fp_ieee_invalid_op 0
		.amdhsa_exception_fp_denorm_src 0
		.amdhsa_exception_fp_ieee_div_zero 0
		.amdhsa_exception_fp_ieee_overflow 0
		.amdhsa_exception_fp_ieee_underflow 0
		.amdhsa_exception_fp_ieee_inexact 0
		.amdhsa_exception_int_div_zero 0
	.end_amdhsa_kernel
	.section	.text._ZN7rocprim17ROCPRIM_400000_NS6detail17trampoline_kernelINS0_14default_configENS1_35adjacent_difference_config_selectorILb0ElEEZNS1_24adjacent_difference_implIS3_Lb0ELb0EPlS7_ZN2at6native12_GLOBAL__N_124unique_dim_cuda_templateIiEESt5tupleIJNS8_6TensorESD_SD_EERKSD_lbbbEUlllE1_EE10hipError_tPvRmT2_T3_mT4_P12ihipStream_tbEUlT_E_NS1_11comp_targetILNS1_3genE4ELNS1_11target_archE910ELNS1_3gpuE8ELNS1_3repE0EEENS1_30default_config_static_selectorELNS0_4arch9wavefront6targetE0EEEvT1_,"axG",@progbits,_ZN7rocprim17ROCPRIM_400000_NS6detail17trampoline_kernelINS0_14default_configENS1_35adjacent_difference_config_selectorILb0ElEEZNS1_24adjacent_difference_implIS3_Lb0ELb0EPlS7_ZN2at6native12_GLOBAL__N_124unique_dim_cuda_templateIiEESt5tupleIJNS8_6TensorESD_SD_EERKSD_lbbbEUlllE1_EE10hipError_tPvRmT2_T3_mT4_P12ihipStream_tbEUlT_E_NS1_11comp_targetILNS1_3genE4ELNS1_11target_archE910ELNS1_3gpuE8ELNS1_3repE0EEENS1_30default_config_static_selectorELNS0_4arch9wavefront6targetE0EEEvT1_,comdat
.Lfunc_end419:
	.size	_ZN7rocprim17ROCPRIM_400000_NS6detail17trampoline_kernelINS0_14default_configENS1_35adjacent_difference_config_selectorILb0ElEEZNS1_24adjacent_difference_implIS3_Lb0ELb0EPlS7_ZN2at6native12_GLOBAL__N_124unique_dim_cuda_templateIiEESt5tupleIJNS8_6TensorESD_SD_EERKSD_lbbbEUlllE1_EE10hipError_tPvRmT2_T3_mT4_P12ihipStream_tbEUlT_E_NS1_11comp_targetILNS1_3genE4ELNS1_11target_archE910ELNS1_3gpuE8ELNS1_3repE0EEENS1_30default_config_static_selectorELNS0_4arch9wavefront6targetE0EEEvT1_, .Lfunc_end419-_ZN7rocprim17ROCPRIM_400000_NS6detail17trampoline_kernelINS0_14default_configENS1_35adjacent_difference_config_selectorILb0ElEEZNS1_24adjacent_difference_implIS3_Lb0ELb0EPlS7_ZN2at6native12_GLOBAL__N_124unique_dim_cuda_templateIiEESt5tupleIJNS8_6TensorESD_SD_EERKSD_lbbbEUlllE1_EE10hipError_tPvRmT2_T3_mT4_P12ihipStream_tbEUlT_E_NS1_11comp_targetILNS1_3genE4ELNS1_11target_archE910ELNS1_3gpuE8ELNS1_3repE0EEENS1_30default_config_static_selectorELNS0_4arch9wavefront6targetE0EEEvT1_
                                        ; -- End function
	.set _ZN7rocprim17ROCPRIM_400000_NS6detail17trampoline_kernelINS0_14default_configENS1_35adjacent_difference_config_selectorILb0ElEEZNS1_24adjacent_difference_implIS3_Lb0ELb0EPlS7_ZN2at6native12_GLOBAL__N_124unique_dim_cuda_templateIiEESt5tupleIJNS8_6TensorESD_SD_EERKSD_lbbbEUlllE1_EE10hipError_tPvRmT2_T3_mT4_P12ihipStream_tbEUlT_E_NS1_11comp_targetILNS1_3genE4ELNS1_11target_archE910ELNS1_3gpuE8ELNS1_3repE0EEENS1_30default_config_static_selectorELNS0_4arch9wavefront6targetE0EEEvT1_.num_vgpr, 0
	.set _ZN7rocprim17ROCPRIM_400000_NS6detail17trampoline_kernelINS0_14default_configENS1_35adjacent_difference_config_selectorILb0ElEEZNS1_24adjacent_difference_implIS3_Lb0ELb0EPlS7_ZN2at6native12_GLOBAL__N_124unique_dim_cuda_templateIiEESt5tupleIJNS8_6TensorESD_SD_EERKSD_lbbbEUlllE1_EE10hipError_tPvRmT2_T3_mT4_P12ihipStream_tbEUlT_E_NS1_11comp_targetILNS1_3genE4ELNS1_11target_archE910ELNS1_3gpuE8ELNS1_3repE0EEENS1_30default_config_static_selectorELNS0_4arch9wavefront6targetE0EEEvT1_.num_agpr, 0
	.set _ZN7rocprim17ROCPRIM_400000_NS6detail17trampoline_kernelINS0_14default_configENS1_35adjacent_difference_config_selectorILb0ElEEZNS1_24adjacent_difference_implIS3_Lb0ELb0EPlS7_ZN2at6native12_GLOBAL__N_124unique_dim_cuda_templateIiEESt5tupleIJNS8_6TensorESD_SD_EERKSD_lbbbEUlllE1_EE10hipError_tPvRmT2_T3_mT4_P12ihipStream_tbEUlT_E_NS1_11comp_targetILNS1_3genE4ELNS1_11target_archE910ELNS1_3gpuE8ELNS1_3repE0EEENS1_30default_config_static_selectorELNS0_4arch9wavefront6targetE0EEEvT1_.numbered_sgpr, 0
	.set _ZN7rocprim17ROCPRIM_400000_NS6detail17trampoline_kernelINS0_14default_configENS1_35adjacent_difference_config_selectorILb0ElEEZNS1_24adjacent_difference_implIS3_Lb0ELb0EPlS7_ZN2at6native12_GLOBAL__N_124unique_dim_cuda_templateIiEESt5tupleIJNS8_6TensorESD_SD_EERKSD_lbbbEUlllE1_EE10hipError_tPvRmT2_T3_mT4_P12ihipStream_tbEUlT_E_NS1_11comp_targetILNS1_3genE4ELNS1_11target_archE910ELNS1_3gpuE8ELNS1_3repE0EEENS1_30default_config_static_selectorELNS0_4arch9wavefront6targetE0EEEvT1_.num_named_barrier, 0
	.set _ZN7rocprim17ROCPRIM_400000_NS6detail17trampoline_kernelINS0_14default_configENS1_35adjacent_difference_config_selectorILb0ElEEZNS1_24adjacent_difference_implIS3_Lb0ELb0EPlS7_ZN2at6native12_GLOBAL__N_124unique_dim_cuda_templateIiEESt5tupleIJNS8_6TensorESD_SD_EERKSD_lbbbEUlllE1_EE10hipError_tPvRmT2_T3_mT4_P12ihipStream_tbEUlT_E_NS1_11comp_targetILNS1_3genE4ELNS1_11target_archE910ELNS1_3gpuE8ELNS1_3repE0EEENS1_30default_config_static_selectorELNS0_4arch9wavefront6targetE0EEEvT1_.private_seg_size, 0
	.set _ZN7rocprim17ROCPRIM_400000_NS6detail17trampoline_kernelINS0_14default_configENS1_35adjacent_difference_config_selectorILb0ElEEZNS1_24adjacent_difference_implIS3_Lb0ELb0EPlS7_ZN2at6native12_GLOBAL__N_124unique_dim_cuda_templateIiEESt5tupleIJNS8_6TensorESD_SD_EERKSD_lbbbEUlllE1_EE10hipError_tPvRmT2_T3_mT4_P12ihipStream_tbEUlT_E_NS1_11comp_targetILNS1_3genE4ELNS1_11target_archE910ELNS1_3gpuE8ELNS1_3repE0EEENS1_30default_config_static_selectorELNS0_4arch9wavefront6targetE0EEEvT1_.uses_vcc, 0
	.set _ZN7rocprim17ROCPRIM_400000_NS6detail17trampoline_kernelINS0_14default_configENS1_35adjacent_difference_config_selectorILb0ElEEZNS1_24adjacent_difference_implIS3_Lb0ELb0EPlS7_ZN2at6native12_GLOBAL__N_124unique_dim_cuda_templateIiEESt5tupleIJNS8_6TensorESD_SD_EERKSD_lbbbEUlllE1_EE10hipError_tPvRmT2_T3_mT4_P12ihipStream_tbEUlT_E_NS1_11comp_targetILNS1_3genE4ELNS1_11target_archE910ELNS1_3gpuE8ELNS1_3repE0EEENS1_30default_config_static_selectorELNS0_4arch9wavefront6targetE0EEEvT1_.uses_flat_scratch, 0
	.set _ZN7rocprim17ROCPRIM_400000_NS6detail17trampoline_kernelINS0_14default_configENS1_35adjacent_difference_config_selectorILb0ElEEZNS1_24adjacent_difference_implIS3_Lb0ELb0EPlS7_ZN2at6native12_GLOBAL__N_124unique_dim_cuda_templateIiEESt5tupleIJNS8_6TensorESD_SD_EERKSD_lbbbEUlllE1_EE10hipError_tPvRmT2_T3_mT4_P12ihipStream_tbEUlT_E_NS1_11comp_targetILNS1_3genE4ELNS1_11target_archE910ELNS1_3gpuE8ELNS1_3repE0EEENS1_30default_config_static_selectorELNS0_4arch9wavefront6targetE0EEEvT1_.has_dyn_sized_stack, 0
	.set _ZN7rocprim17ROCPRIM_400000_NS6detail17trampoline_kernelINS0_14default_configENS1_35adjacent_difference_config_selectorILb0ElEEZNS1_24adjacent_difference_implIS3_Lb0ELb0EPlS7_ZN2at6native12_GLOBAL__N_124unique_dim_cuda_templateIiEESt5tupleIJNS8_6TensorESD_SD_EERKSD_lbbbEUlllE1_EE10hipError_tPvRmT2_T3_mT4_P12ihipStream_tbEUlT_E_NS1_11comp_targetILNS1_3genE4ELNS1_11target_archE910ELNS1_3gpuE8ELNS1_3repE0EEENS1_30default_config_static_selectorELNS0_4arch9wavefront6targetE0EEEvT1_.has_recursion, 0
	.set _ZN7rocprim17ROCPRIM_400000_NS6detail17trampoline_kernelINS0_14default_configENS1_35adjacent_difference_config_selectorILb0ElEEZNS1_24adjacent_difference_implIS3_Lb0ELb0EPlS7_ZN2at6native12_GLOBAL__N_124unique_dim_cuda_templateIiEESt5tupleIJNS8_6TensorESD_SD_EERKSD_lbbbEUlllE1_EE10hipError_tPvRmT2_T3_mT4_P12ihipStream_tbEUlT_E_NS1_11comp_targetILNS1_3genE4ELNS1_11target_archE910ELNS1_3gpuE8ELNS1_3repE0EEENS1_30default_config_static_selectorELNS0_4arch9wavefront6targetE0EEEvT1_.has_indirect_call, 0
	.section	.AMDGPU.csdata,"",@progbits
; Kernel info:
; codeLenInByte = 0
; TotalNumSgprs: 0
; NumVgprs: 0
; ScratchSize: 0
; MemoryBound: 0
; FloatMode: 240
; IeeeMode: 1
; LDSByteSize: 0 bytes/workgroup (compile time only)
; SGPRBlocks: 0
; VGPRBlocks: 0
; NumSGPRsForWavesPerEU: 1
; NumVGPRsForWavesPerEU: 1
; NamedBarCnt: 0
; Occupancy: 16
; WaveLimiterHint : 0
; COMPUTE_PGM_RSRC2:SCRATCH_EN: 0
; COMPUTE_PGM_RSRC2:USER_SGPR: 2
; COMPUTE_PGM_RSRC2:TRAP_HANDLER: 0
; COMPUTE_PGM_RSRC2:TGID_X_EN: 1
; COMPUTE_PGM_RSRC2:TGID_Y_EN: 0
; COMPUTE_PGM_RSRC2:TGID_Z_EN: 0
; COMPUTE_PGM_RSRC2:TIDIG_COMP_CNT: 0
	.section	.text._ZN7rocprim17ROCPRIM_400000_NS6detail17trampoline_kernelINS0_14default_configENS1_35adjacent_difference_config_selectorILb0ElEEZNS1_24adjacent_difference_implIS3_Lb0ELb0EPlS7_ZN2at6native12_GLOBAL__N_124unique_dim_cuda_templateIiEESt5tupleIJNS8_6TensorESD_SD_EERKSD_lbbbEUlllE1_EE10hipError_tPvRmT2_T3_mT4_P12ihipStream_tbEUlT_E_NS1_11comp_targetILNS1_3genE3ELNS1_11target_archE908ELNS1_3gpuE7ELNS1_3repE0EEENS1_30default_config_static_selectorELNS0_4arch9wavefront6targetE0EEEvT1_,"axG",@progbits,_ZN7rocprim17ROCPRIM_400000_NS6detail17trampoline_kernelINS0_14default_configENS1_35adjacent_difference_config_selectorILb0ElEEZNS1_24adjacent_difference_implIS3_Lb0ELb0EPlS7_ZN2at6native12_GLOBAL__N_124unique_dim_cuda_templateIiEESt5tupleIJNS8_6TensorESD_SD_EERKSD_lbbbEUlllE1_EE10hipError_tPvRmT2_T3_mT4_P12ihipStream_tbEUlT_E_NS1_11comp_targetILNS1_3genE3ELNS1_11target_archE908ELNS1_3gpuE7ELNS1_3repE0EEENS1_30default_config_static_selectorELNS0_4arch9wavefront6targetE0EEEvT1_,comdat
	.globl	_ZN7rocprim17ROCPRIM_400000_NS6detail17trampoline_kernelINS0_14default_configENS1_35adjacent_difference_config_selectorILb0ElEEZNS1_24adjacent_difference_implIS3_Lb0ELb0EPlS7_ZN2at6native12_GLOBAL__N_124unique_dim_cuda_templateIiEESt5tupleIJNS8_6TensorESD_SD_EERKSD_lbbbEUlllE1_EE10hipError_tPvRmT2_T3_mT4_P12ihipStream_tbEUlT_E_NS1_11comp_targetILNS1_3genE3ELNS1_11target_archE908ELNS1_3gpuE7ELNS1_3repE0EEENS1_30default_config_static_selectorELNS0_4arch9wavefront6targetE0EEEvT1_ ; -- Begin function _ZN7rocprim17ROCPRIM_400000_NS6detail17trampoline_kernelINS0_14default_configENS1_35adjacent_difference_config_selectorILb0ElEEZNS1_24adjacent_difference_implIS3_Lb0ELb0EPlS7_ZN2at6native12_GLOBAL__N_124unique_dim_cuda_templateIiEESt5tupleIJNS8_6TensorESD_SD_EERKSD_lbbbEUlllE1_EE10hipError_tPvRmT2_T3_mT4_P12ihipStream_tbEUlT_E_NS1_11comp_targetILNS1_3genE3ELNS1_11target_archE908ELNS1_3gpuE7ELNS1_3repE0EEENS1_30default_config_static_selectorELNS0_4arch9wavefront6targetE0EEEvT1_
	.p2align	8
	.type	_ZN7rocprim17ROCPRIM_400000_NS6detail17trampoline_kernelINS0_14default_configENS1_35adjacent_difference_config_selectorILb0ElEEZNS1_24adjacent_difference_implIS3_Lb0ELb0EPlS7_ZN2at6native12_GLOBAL__N_124unique_dim_cuda_templateIiEESt5tupleIJNS8_6TensorESD_SD_EERKSD_lbbbEUlllE1_EE10hipError_tPvRmT2_T3_mT4_P12ihipStream_tbEUlT_E_NS1_11comp_targetILNS1_3genE3ELNS1_11target_archE908ELNS1_3gpuE7ELNS1_3repE0EEENS1_30default_config_static_selectorELNS0_4arch9wavefront6targetE0EEEvT1_,@function
_ZN7rocprim17ROCPRIM_400000_NS6detail17trampoline_kernelINS0_14default_configENS1_35adjacent_difference_config_selectorILb0ElEEZNS1_24adjacent_difference_implIS3_Lb0ELb0EPlS7_ZN2at6native12_GLOBAL__N_124unique_dim_cuda_templateIiEESt5tupleIJNS8_6TensorESD_SD_EERKSD_lbbbEUlllE1_EE10hipError_tPvRmT2_T3_mT4_P12ihipStream_tbEUlT_E_NS1_11comp_targetILNS1_3genE3ELNS1_11target_archE908ELNS1_3gpuE7ELNS1_3repE0EEENS1_30default_config_static_selectorELNS0_4arch9wavefront6targetE0EEEvT1_: ; @_ZN7rocprim17ROCPRIM_400000_NS6detail17trampoline_kernelINS0_14default_configENS1_35adjacent_difference_config_selectorILb0ElEEZNS1_24adjacent_difference_implIS3_Lb0ELb0EPlS7_ZN2at6native12_GLOBAL__N_124unique_dim_cuda_templateIiEESt5tupleIJNS8_6TensorESD_SD_EERKSD_lbbbEUlllE1_EE10hipError_tPvRmT2_T3_mT4_P12ihipStream_tbEUlT_E_NS1_11comp_targetILNS1_3genE3ELNS1_11target_archE908ELNS1_3gpuE7ELNS1_3repE0EEENS1_30default_config_static_selectorELNS0_4arch9wavefront6targetE0EEEvT1_
; %bb.0:
	.section	.rodata,"a",@progbits
	.p2align	6, 0x0
	.amdhsa_kernel _ZN7rocprim17ROCPRIM_400000_NS6detail17trampoline_kernelINS0_14default_configENS1_35adjacent_difference_config_selectorILb0ElEEZNS1_24adjacent_difference_implIS3_Lb0ELb0EPlS7_ZN2at6native12_GLOBAL__N_124unique_dim_cuda_templateIiEESt5tupleIJNS8_6TensorESD_SD_EERKSD_lbbbEUlllE1_EE10hipError_tPvRmT2_T3_mT4_P12ihipStream_tbEUlT_E_NS1_11comp_targetILNS1_3genE3ELNS1_11target_archE908ELNS1_3gpuE7ELNS1_3repE0EEENS1_30default_config_static_selectorELNS0_4arch9wavefront6targetE0EEEvT1_
		.amdhsa_group_segment_fixed_size 0
		.amdhsa_private_segment_fixed_size 0
		.amdhsa_kernarg_size 64
		.amdhsa_user_sgpr_count 2
		.amdhsa_user_sgpr_dispatch_ptr 0
		.amdhsa_user_sgpr_queue_ptr 0
		.amdhsa_user_sgpr_kernarg_segment_ptr 1
		.amdhsa_user_sgpr_dispatch_id 0
		.amdhsa_user_sgpr_kernarg_preload_length 0
		.amdhsa_user_sgpr_kernarg_preload_offset 0
		.amdhsa_user_sgpr_private_segment_size 0
		.amdhsa_wavefront_size32 1
		.amdhsa_uses_dynamic_stack 0
		.amdhsa_enable_private_segment 0
		.amdhsa_system_sgpr_workgroup_id_x 1
		.amdhsa_system_sgpr_workgroup_id_y 0
		.amdhsa_system_sgpr_workgroup_id_z 0
		.amdhsa_system_sgpr_workgroup_info 0
		.amdhsa_system_vgpr_workitem_id 0
		.amdhsa_next_free_vgpr 1
		.amdhsa_next_free_sgpr 1
		.amdhsa_named_barrier_count 0
		.amdhsa_reserve_vcc 0
		.amdhsa_float_round_mode_32 0
		.amdhsa_float_round_mode_16_64 0
		.amdhsa_float_denorm_mode_32 3
		.amdhsa_float_denorm_mode_16_64 3
		.amdhsa_fp16_overflow 0
		.amdhsa_memory_ordered 1
		.amdhsa_forward_progress 1
		.amdhsa_inst_pref_size 0
		.amdhsa_round_robin_scheduling 0
		.amdhsa_exception_fp_ieee_invalid_op 0
		.amdhsa_exception_fp_denorm_src 0
		.amdhsa_exception_fp_ieee_div_zero 0
		.amdhsa_exception_fp_ieee_overflow 0
		.amdhsa_exception_fp_ieee_underflow 0
		.amdhsa_exception_fp_ieee_inexact 0
		.amdhsa_exception_int_div_zero 0
	.end_amdhsa_kernel
	.section	.text._ZN7rocprim17ROCPRIM_400000_NS6detail17trampoline_kernelINS0_14default_configENS1_35adjacent_difference_config_selectorILb0ElEEZNS1_24adjacent_difference_implIS3_Lb0ELb0EPlS7_ZN2at6native12_GLOBAL__N_124unique_dim_cuda_templateIiEESt5tupleIJNS8_6TensorESD_SD_EERKSD_lbbbEUlllE1_EE10hipError_tPvRmT2_T3_mT4_P12ihipStream_tbEUlT_E_NS1_11comp_targetILNS1_3genE3ELNS1_11target_archE908ELNS1_3gpuE7ELNS1_3repE0EEENS1_30default_config_static_selectorELNS0_4arch9wavefront6targetE0EEEvT1_,"axG",@progbits,_ZN7rocprim17ROCPRIM_400000_NS6detail17trampoline_kernelINS0_14default_configENS1_35adjacent_difference_config_selectorILb0ElEEZNS1_24adjacent_difference_implIS3_Lb0ELb0EPlS7_ZN2at6native12_GLOBAL__N_124unique_dim_cuda_templateIiEESt5tupleIJNS8_6TensorESD_SD_EERKSD_lbbbEUlllE1_EE10hipError_tPvRmT2_T3_mT4_P12ihipStream_tbEUlT_E_NS1_11comp_targetILNS1_3genE3ELNS1_11target_archE908ELNS1_3gpuE7ELNS1_3repE0EEENS1_30default_config_static_selectorELNS0_4arch9wavefront6targetE0EEEvT1_,comdat
.Lfunc_end420:
	.size	_ZN7rocprim17ROCPRIM_400000_NS6detail17trampoline_kernelINS0_14default_configENS1_35adjacent_difference_config_selectorILb0ElEEZNS1_24adjacent_difference_implIS3_Lb0ELb0EPlS7_ZN2at6native12_GLOBAL__N_124unique_dim_cuda_templateIiEESt5tupleIJNS8_6TensorESD_SD_EERKSD_lbbbEUlllE1_EE10hipError_tPvRmT2_T3_mT4_P12ihipStream_tbEUlT_E_NS1_11comp_targetILNS1_3genE3ELNS1_11target_archE908ELNS1_3gpuE7ELNS1_3repE0EEENS1_30default_config_static_selectorELNS0_4arch9wavefront6targetE0EEEvT1_, .Lfunc_end420-_ZN7rocprim17ROCPRIM_400000_NS6detail17trampoline_kernelINS0_14default_configENS1_35adjacent_difference_config_selectorILb0ElEEZNS1_24adjacent_difference_implIS3_Lb0ELb0EPlS7_ZN2at6native12_GLOBAL__N_124unique_dim_cuda_templateIiEESt5tupleIJNS8_6TensorESD_SD_EERKSD_lbbbEUlllE1_EE10hipError_tPvRmT2_T3_mT4_P12ihipStream_tbEUlT_E_NS1_11comp_targetILNS1_3genE3ELNS1_11target_archE908ELNS1_3gpuE7ELNS1_3repE0EEENS1_30default_config_static_selectorELNS0_4arch9wavefront6targetE0EEEvT1_
                                        ; -- End function
	.set _ZN7rocprim17ROCPRIM_400000_NS6detail17trampoline_kernelINS0_14default_configENS1_35adjacent_difference_config_selectorILb0ElEEZNS1_24adjacent_difference_implIS3_Lb0ELb0EPlS7_ZN2at6native12_GLOBAL__N_124unique_dim_cuda_templateIiEESt5tupleIJNS8_6TensorESD_SD_EERKSD_lbbbEUlllE1_EE10hipError_tPvRmT2_T3_mT4_P12ihipStream_tbEUlT_E_NS1_11comp_targetILNS1_3genE3ELNS1_11target_archE908ELNS1_3gpuE7ELNS1_3repE0EEENS1_30default_config_static_selectorELNS0_4arch9wavefront6targetE0EEEvT1_.num_vgpr, 0
	.set _ZN7rocprim17ROCPRIM_400000_NS6detail17trampoline_kernelINS0_14default_configENS1_35adjacent_difference_config_selectorILb0ElEEZNS1_24adjacent_difference_implIS3_Lb0ELb0EPlS7_ZN2at6native12_GLOBAL__N_124unique_dim_cuda_templateIiEESt5tupleIJNS8_6TensorESD_SD_EERKSD_lbbbEUlllE1_EE10hipError_tPvRmT2_T3_mT4_P12ihipStream_tbEUlT_E_NS1_11comp_targetILNS1_3genE3ELNS1_11target_archE908ELNS1_3gpuE7ELNS1_3repE0EEENS1_30default_config_static_selectorELNS0_4arch9wavefront6targetE0EEEvT1_.num_agpr, 0
	.set _ZN7rocprim17ROCPRIM_400000_NS6detail17trampoline_kernelINS0_14default_configENS1_35adjacent_difference_config_selectorILb0ElEEZNS1_24adjacent_difference_implIS3_Lb0ELb0EPlS7_ZN2at6native12_GLOBAL__N_124unique_dim_cuda_templateIiEESt5tupleIJNS8_6TensorESD_SD_EERKSD_lbbbEUlllE1_EE10hipError_tPvRmT2_T3_mT4_P12ihipStream_tbEUlT_E_NS1_11comp_targetILNS1_3genE3ELNS1_11target_archE908ELNS1_3gpuE7ELNS1_3repE0EEENS1_30default_config_static_selectorELNS0_4arch9wavefront6targetE0EEEvT1_.numbered_sgpr, 0
	.set _ZN7rocprim17ROCPRIM_400000_NS6detail17trampoline_kernelINS0_14default_configENS1_35adjacent_difference_config_selectorILb0ElEEZNS1_24adjacent_difference_implIS3_Lb0ELb0EPlS7_ZN2at6native12_GLOBAL__N_124unique_dim_cuda_templateIiEESt5tupleIJNS8_6TensorESD_SD_EERKSD_lbbbEUlllE1_EE10hipError_tPvRmT2_T3_mT4_P12ihipStream_tbEUlT_E_NS1_11comp_targetILNS1_3genE3ELNS1_11target_archE908ELNS1_3gpuE7ELNS1_3repE0EEENS1_30default_config_static_selectorELNS0_4arch9wavefront6targetE0EEEvT1_.num_named_barrier, 0
	.set _ZN7rocprim17ROCPRIM_400000_NS6detail17trampoline_kernelINS0_14default_configENS1_35adjacent_difference_config_selectorILb0ElEEZNS1_24adjacent_difference_implIS3_Lb0ELb0EPlS7_ZN2at6native12_GLOBAL__N_124unique_dim_cuda_templateIiEESt5tupleIJNS8_6TensorESD_SD_EERKSD_lbbbEUlllE1_EE10hipError_tPvRmT2_T3_mT4_P12ihipStream_tbEUlT_E_NS1_11comp_targetILNS1_3genE3ELNS1_11target_archE908ELNS1_3gpuE7ELNS1_3repE0EEENS1_30default_config_static_selectorELNS0_4arch9wavefront6targetE0EEEvT1_.private_seg_size, 0
	.set _ZN7rocprim17ROCPRIM_400000_NS6detail17trampoline_kernelINS0_14default_configENS1_35adjacent_difference_config_selectorILb0ElEEZNS1_24adjacent_difference_implIS3_Lb0ELb0EPlS7_ZN2at6native12_GLOBAL__N_124unique_dim_cuda_templateIiEESt5tupleIJNS8_6TensorESD_SD_EERKSD_lbbbEUlllE1_EE10hipError_tPvRmT2_T3_mT4_P12ihipStream_tbEUlT_E_NS1_11comp_targetILNS1_3genE3ELNS1_11target_archE908ELNS1_3gpuE7ELNS1_3repE0EEENS1_30default_config_static_selectorELNS0_4arch9wavefront6targetE0EEEvT1_.uses_vcc, 0
	.set _ZN7rocprim17ROCPRIM_400000_NS6detail17trampoline_kernelINS0_14default_configENS1_35adjacent_difference_config_selectorILb0ElEEZNS1_24adjacent_difference_implIS3_Lb0ELb0EPlS7_ZN2at6native12_GLOBAL__N_124unique_dim_cuda_templateIiEESt5tupleIJNS8_6TensorESD_SD_EERKSD_lbbbEUlllE1_EE10hipError_tPvRmT2_T3_mT4_P12ihipStream_tbEUlT_E_NS1_11comp_targetILNS1_3genE3ELNS1_11target_archE908ELNS1_3gpuE7ELNS1_3repE0EEENS1_30default_config_static_selectorELNS0_4arch9wavefront6targetE0EEEvT1_.uses_flat_scratch, 0
	.set _ZN7rocprim17ROCPRIM_400000_NS6detail17trampoline_kernelINS0_14default_configENS1_35adjacent_difference_config_selectorILb0ElEEZNS1_24adjacent_difference_implIS3_Lb0ELb0EPlS7_ZN2at6native12_GLOBAL__N_124unique_dim_cuda_templateIiEESt5tupleIJNS8_6TensorESD_SD_EERKSD_lbbbEUlllE1_EE10hipError_tPvRmT2_T3_mT4_P12ihipStream_tbEUlT_E_NS1_11comp_targetILNS1_3genE3ELNS1_11target_archE908ELNS1_3gpuE7ELNS1_3repE0EEENS1_30default_config_static_selectorELNS0_4arch9wavefront6targetE0EEEvT1_.has_dyn_sized_stack, 0
	.set _ZN7rocprim17ROCPRIM_400000_NS6detail17trampoline_kernelINS0_14default_configENS1_35adjacent_difference_config_selectorILb0ElEEZNS1_24adjacent_difference_implIS3_Lb0ELb0EPlS7_ZN2at6native12_GLOBAL__N_124unique_dim_cuda_templateIiEESt5tupleIJNS8_6TensorESD_SD_EERKSD_lbbbEUlllE1_EE10hipError_tPvRmT2_T3_mT4_P12ihipStream_tbEUlT_E_NS1_11comp_targetILNS1_3genE3ELNS1_11target_archE908ELNS1_3gpuE7ELNS1_3repE0EEENS1_30default_config_static_selectorELNS0_4arch9wavefront6targetE0EEEvT1_.has_recursion, 0
	.set _ZN7rocprim17ROCPRIM_400000_NS6detail17trampoline_kernelINS0_14default_configENS1_35adjacent_difference_config_selectorILb0ElEEZNS1_24adjacent_difference_implIS3_Lb0ELb0EPlS7_ZN2at6native12_GLOBAL__N_124unique_dim_cuda_templateIiEESt5tupleIJNS8_6TensorESD_SD_EERKSD_lbbbEUlllE1_EE10hipError_tPvRmT2_T3_mT4_P12ihipStream_tbEUlT_E_NS1_11comp_targetILNS1_3genE3ELNS1_11target_archE908ELNS1_3gpuE7ELNS1_3repE0EEENS1_30default_config_static_selectorELNS0_4arch9wavefront6targetE0EEEvT1_.has_indirect_call, 0
	.section	.AMDGPU.csdata,"",@progbits
; Kernel info:
; codeLenInByte = 0
; TotalNumSgprs: 0
; NumVgprs: 0
; ScratchSize: 0
; MemoryBound: 0
; FloatMode: 240
; IeeeMode: 1
; LDSByteSize: 0 bytes/workgroup (compile time only)
; SGPRBlocks: 0
; VGPRBlocks: 0
; NumSGPRsForWavesPerEU: 1
; NumVGPRsForWavesPerEU: 1
; NamedBarCnt: 0
; Occupancy: 16
; WaveLimiterHint : 0
; COMPUTE_PGM_RSRC2:SCRATCH_EN: 0
; COMPUTE_PGM_RSRC2:USER_SGPR: 2
; COMPUTE_PGM_RSRC2:TRAP_HANDLER: 0
; COMPUTE_PGM_RSRC2:TGID_X_EN: 1
; COMPUTE_PGM_RSRC2:TGID_Y_EN: 0
; COMPUTE_PGM_RSRC2:TGID_Z_EN: 0
; COMPUTE_PGM_RSRC2:TIDIG_COMP_CNT: 0
	.section	.text._ZN7rocprim17ROCPRIM_400000_NS6detail17trampoline_kernelINS0_14default_configENS1_35adjacent_difference_config_selectorILb0ElEEZNS1_24adjacent_difference_implIS3_Lb0ELb0EPlS7_ZN2at6native12_GLOBAL__N_124unique_dim_cuda_templateIiEESt5tupleIJNS8_6TensorESD_SD_EERKSD_lbbbEUlllE1_EE10hipError_tPvRmT2_T3_mT4_P12ihipStream_tbEUlT_E_NS1_11comp_targetILNS1_3genE2ELNS1_11target_archE906ELNS1_3gpuE6ELNS1_3repE0EEENS1_30default_config_static_selectorELNS0_4arch9wavefront6targetE0EEEvT1_,"axG",@progbits,_ZN7rocprim17ROCPRIM_400000_NS6detail17trampoline_kernelINS0_14default_configENS1_35adjacent_difference_config_selectorILb0ElEEZNS1_24adjacent_difference_implIS3_Lb0ELb0EPlS7_ZN2at6native12_GLOBAL__N_124unique_dim_cuda_templateIiEESt5tupleIJNS8_6TensorESD_SD_EERKSD_lbbbEUlllE1_EE10hipError_tPvRmT2_T3_mT4_P12ihipStream_tbEUlT_E_NS1_11comp_targetILNS1_3genE2ELNS1_11target_archE906ELNS1_3gpuE6ELNS1_3repE0EEENS1_30default_config_static_selectorELNS0_4arch9wavefront6targetE0EEEvT1_,comdat
	.globl	_ZN7rocprim17ROCPRIM_400000_NS6detail17trampoline_kernelINS0_14default_configENS1_35adjacent_difference_config_selectorILb0ElEEZNS1_24adjacent_difference_implIS3_Lb0ELb0EPlS7_ZN2at6native12_GLOBAL__N_124unique_dim_cuda_templateIiEESt5tupleIJNS8_6TensorESD_SD_EERKSD_lbbbEUlllE1_EE10hipError_tPvRmT2_T3_mT4_P12ihipStream_tbEUlT_E_NS1_11comp_targetILNS1_3genE2ELNS1_11target_archE906ELNS1_3gpuE6ELNS1_3repE0EEENS1_30default_config_static_selectorELNS0_4arch9wavefront6targetE0EEEvT1_ ; -- Begin function _ZN7rocprim17ROCPRIM_400000_NS6detail17trampoline_kernelINS0_14default_configENS1_35adjacent_difference_config_selectorILb0ElEEZNS1_24adjacent_difference_implIS3_Lb0ELb0EPlS7_ZN2at6native12_GLOBAL__N_124unique_dim_cuda_templateIiEESt5tupleIJNS8_6TensorESD_SD_EERKSD_lbbbEUlllE1_EE10hipError_tPvRmT2_T3_mT4_P12ihipStream_tbEUlT_E_NS1_11comp_targetILNS1_3genE2ELNS1_11target_archE906ELNS1_3gpuE6ELNS1_3repE0EEENS1_30default_config_static_selectorELNS0_4arch9wavefront6targetE0EEEvT1_
	.p2align	8
	.type	_ZN7rocprim17ROCPRIM_400000_NS6detail17trampoline_kernelINS0_14default_configENS1_35adjacent_difference_config_selectorILb0ElEEZNS1_24adjacent_difference_implIS3_Lb0ELb0EPlS7_ZN2at6native12_GLOBAL__N_124unique_dim_cuda_templateIiEESt5tupleIJNS8_6TensorESD_SD_EERKSD_lbbbEUlllE1_EE10hipError_tPvRmT2_T3_mT4_P12ihipStream_tbEUlT_E_NS1_11comp_targetILNS1_3genE2ELNS1_11target_archE906ELNS1_3gpuE6ELNS1_3repE0EEENS1_30default_config_static_selectorELNS0_4arch9wavefront6targetE0EEEvT1_,@function
_ZN7rocprim17ROCPRIM_400000_NS6detail17trampoline_kernelINS0_14default_configENS1_35adjacent_difference_config_selectorILb0ElEEZNS1_24adjacent_difference_implIS3_Lb0ELb0EPlS7_ZN2at6native12_GLOBAL__N_124unique_dim_cuda_templateIiEESt5tupleIJNS8_6TensorESD_SD_EERKSD_lbbbEUlllE1_EE10hipError_tPvRmT2_T3_mT4_P12ihipStream_tbEUlT_E_NS1_11comp_targetILNS1_3genE2ELNS1_11target_archE906ELNS1_3gpuE6ELNS1_3repE0EEENS1_30default_config_static_selectorELNS0_4arch9wavefront6targetE0EEEvT1_: ; @_ZN7rocprim17ROCPRIM_400000_NS6detail17trampoline_kernelINS0_14default_configENS1_35adjacent_difference_config_selectorILb0ElEEZNS1_24adjacent_difference_implIS3_Lb0ELb0EPlS7_ZN2at6native12_GLOBAL__N_124unique_dim_cuda_templateIiEESt5tupleIJNS8_6TensorESD_SD_EERKSD_lbbbEUlllE1_EE10hipError_tPvRmT2_T3_mT4_P12ihipStream_tbEUlT_E_NS1_11comp_targetILNS1_3genE2ELNS1_11target_archE906ELNS1_3gpuE6ELNS1_3repE0EEENS1_30default_config_static_selectorELNS0_4arch9wavefront6targetE0EEEvT1_
; %bb.0:
	.section	.rodata,"a",@progbits
	.p2align	6, 0x0
	.amdhsa_kernel _ZN7rocprim17ROCPRIM_400000_NS6detail17trampoline_kernelINS0_14default_configENS1_35adjacent_difference_config_selectorILb0ElEEZNS1_24adjacent_difference_implIS3_Lb0ELb0EPlS7_ZN2at6native12_GLOBAL__N_124unique_dim_cuda_templateIiEESt5tupleIJNS8_6TensorESD_SD_EERKSD_lbbbEUlllE1_EE10hipError_tPvRmT2_T3_mT4_P12ihipStream_tbEUlT_E_NS1_11comp_targetILNS1_3genE2ELNS1_11target_archE906ELNS1_3gpuE6ELNS1_3repE0EEENS1_30default_config_static_selectorELNS0_4arch9wavefront6targetE0EEEvT1_
		.amdhsa_group_segment_fixed_size 0
		.amdhsa_private_segment_fixed_size 0
		.amdhsa_kernarg_size 64
		.amdhsa_user_sgpr_count 2
		.amdhsa_user_sgpr_dispatch_ptr 0
		.amdhsa_user_sgpr_queue_ptr 0
		.amdhsa_user_sgpr_kernarg_segment_ptr 1
		.amdhsa_user_sgpr_dispatch_id 0
		.amdhsa_user_sgpr_kernarg_preload_length 0
		.amdhsa_user_sgpr_kernarg_preload_offset 0
		.amdhsa_user_sgpr_private_segment_size 0
		.amdhsa_wavefront_size32 1
		.amdhsa_uses_dynamic_stack 0
		.amdhsa_enable_private_segment 0
		.amdhsa_system_sgpr_workgroup_id_x 1
		.amdhsa_system_sgpr_workgroup_id_y 0
		.amdhsa_system_sgpr_workgroup_id_z 0
		.amdhsa_system_sgpr_workgroup_info 0
		.amdhsa_system_vgpr_workitem_id 0
		.amdhsa_next_free_vgpr 1
		.amdhsa_next_free_sgpr 1
		.amdhsa_named_barrier_count 0
		.amdhsa_reserve_vcc 0
		.amdhsa_float_round_mode_32 0
		.amdhsa_float_round_mode_16_64 0
		.amdhsa_float_denorm_mode_32 3
		.amdhsa_float_denorm_mode_16_64 3
		.amdhsa_fp16_overflow 0
		.amdhsa_memory_ordered 1
		.amdhsa_forward_progress 1
		.amdhsa_inst_pref_size 0
		.amdhsa_round_robin_scheduling 0
		.amdhsa_exception_fp_ieee_invalid_op 0
		.amdhsa_exception_fp_denorm_src 0
		.amdhsa_exception_fp_ieee_div_zero 0
		.amdhsa_exception_fp_ieee_overflow 0
		.amdhsa_exception_fp_ieee_underflow 0
		.amdhsa_exception_fp_ieee_inexact 0
		.amdhsa_exception_int_div_zero 0
	.end_amdhsa_kernel
	.section	.text._ZN7rocprim17ROCPRIM_400000_NS6detail17trampoline_kernelINS0_14default_configENS1_35adjacent_difference_config_selectorILb0ElEEZNS1_24adjacent_difference_implIS3_Lb0ELb0EPlS7_ZN2at6native12_GLOBAL__N_124unique_dim_cuda_templateIiEESt5tupleIJNS8_6TensorESD_SD_EERKSD_lbbbEUlllE1_EE10hipError_tPvRmT2_T3_mT4_P12ihipStream_tbEUlT_E_NS1_11comp_targetILNS1_3genE2ELNS1_11target_archE906ELNS1_3gpuE6ELNS1_3repE0EEENS1_30default_config_static_selectorELNS0_4arch9wavefront6targetE0EEEvT1_,"axG",@progbits,_ZN7rocprim17ROCPRIM_400000_NS6detail17trampoline_kernelINS0_14default_configENS1_35adjacent_difference_config_selectorILb0ElEEZNS1_24adjacent_difference_implIS3_Lb0ELb0EPlS7_ZN2at6native12_GLOBAL__N_124unique_dim_cuda_templateIiEESt5tupleIJNS8_6TensorESD_SD_EERKSD_lbbbEUlllE1_EE10hipError_tPvRmT2_T3_mT4_P12ihipStream_tbEUlT_E_NS1_11comp_targetILNS1_3genE2ELNS1_11target_archE906ELNS1_3gpuE6ELNS1_3repE0EEENS1_30default_config_static_selectorELNS0_4arch9wavefront6targetE0EEEvT1_,comdat
.Lfunc_end421:
	.size	_ZN7rocprim17ROCPRIM_400000_NS6detail17trampoline_kernelINS0_14default_configENS1_35adjacent_difference_config_selectorILb0ElEEZNS1_24adjacent_difference_implIS3_Lb0ELb0EPlS7_ZN2at6native12_GLOBAL__N_124unique_dim_cuda_templateIiEESt5tupleIJNS8_6TensorESD_SD_EERKSD_lbbbEUlllE1_EE10hipError_tPvRmT2_T3_mT4_P12ihipStream_tbEUlT_E_NS1_11comp_targetILNS1_3genE2ELNS1_11target_archE906ELNS1_3gpuE6ELNS1_3repE0EEENS1_30default_config_static_selectorELNS0_4arch9wavefront6targetE0EEEvT1_, .Lfunc_end421-_ZN7rocprim17ROCPRIM_400000_NS6detail17trampoline_kernelINS0_14default_configENS1_35adjacent_difference_config_selectorILb0ElEEZNS1_24adjacent_difference_implIS3_Lb0ELb0EPlS7_ZN2at6native12_GLOBAL__N_124unique_dim_cuda_templateIiEESt5tupleIJNS8_6TensorESD_SD_EERKSD_lbbbEUlllE1_EE10hipError_tPvRmT2_T3_mT4_P12ihipStream_tbEUlT_E_NS1_11comp_targetILNS1_3genE2ELNS1_11target_archE906ELNS1_3gpuE6ELNS1_3repE0EEENS1_30default_config_static_selectorELNS0_4arch9wavefront6targetE0EEEvT1_
                                        ; -- End function
	.set _ZN7rocprim17ROCPRIM_400000_NS6detail17trampoline_kernelINS0_14default_configENS1_35adjacent_difference_config_selectorILb0ElEEZNS1_24adjacent_difference_implIS3_Lb0ELb0EPlS7_ZN2at6native12_GLOBAL__N_124unique_dim_cuda_templateIiEESt5tupleIJNS8_6TensorESD_SD_EERKSD_lbbbEUlllE1_EE10hipError_tPvRmT2_T3_mT4_P12ihipStream_tbEUlT_E_NS1_11comp_targetILNS1_3genE2ELNS1_11target_archE906ELNS1_3gpuE6ELNS1_3repE0EEENS1_30default_config_static_selectorELNS0_4arch9wavefront6targetE0EEEvT1_.num_vgpr, 0
	.set _ZN7rocprim17ROCPRIM_400000_NS6detail17trampoline_kernelINS0_14default_configENS1_35adjacent_difference_config_selectorILb0ElEEZNS1_24adjacent_difference_implIS3_Lb0ELb0EPlS7_ZN2at6native12_GLOBAL__N_124unique_dim_cuda_templateIiEESt5tupleIJNS8_6TensorESD_SD_EERKSD_lbbbEUlllE1_EE10hipError_tPvRmT2_T3_mT4_P12ihipStream_tbEUlT_E_NS1_11comp_targetILNS1_3genE2ELNS1_11target_archE906ELNS1_3gpuE6ELNS1_3repE0EEENS1_30default_config_static_selectorELNS0_4arch9wavefront6targetE0EEEvT1_.num_agpr, 0
	.set _ZN7rocprim17ROCPRIM_400000_NS6detail17trampoline_kernelINS0_14default_configENS1_35adjacent_difference_config_selectorILb0ElEEZNS1_24adjacent_difference_implIS3_Lb0ELb0EPlS7_ZN2at6native12_GLOBAL__N_124unique_dim_cuda_templateIiEESt5tupleIJNS8_6TensorESD_SD_EERKSD_lbbbEUlllE1_EE10hipError_tPvRmT2_T3_mT4_P12ihipStream_tbEUlT_E_NS1_11comp_targetILNS1_3genE2ELNS1_11target_archE906ELNS1_3gpuE6ELNS1_3repE0EEENS1_30default_config_static_selectorELNS0_4arch9wavefront6targetE0EEEvT1_.numbered_sgpr, 0
	.set _ZN7rocprim17ROCPRIM_400000_NS6detail17trampoline_kernelINS0_14default_configENS1_35adjacent_difference_config_selectorILb0ElEEZNS1_24adjacent_difference_implIS3_Lb0ELb0EPlS7_ZN2at6native12_GLOBAL__N_124unique_dim_cuda_templateIiEESt5tupleIJNS8_6TensorESD_SD_EERKSD_lbbbEUlllE1_EE10hipError_tPvRmT2_T3_mT4_P12ihipStream_tbEUlT_E_NS1_11comp_targetILNS1_3genE2ELNS1_11target_archE906ELNS1_3gpuE6ELNS1_3repE0EEENS1_30default_config_static_selectorELNS0_4arch9wavefront6targetE0EEEvT1_.num_named_barrier, 0
	.set _ZN7rocprim17ROCPRIM_400000_NS6detail17trampoline_kernelINS0_14default_configENS1_35adjacent_difference_config_selectorILb0ElEEZNS1_24adjacent_difference_implIS3_Lb0ELb0EPlS7_ZN2at6native12_GLOBAL__N_124unique_dim_cuda_templateIiEESt5tupleIJNS8_6TensorESD_SD_EERKSD_lbbbEUlllE1_EE10hipError_tPvRmT2_T3_mT4_P12ihipStream_tbEUlT_E_NS1_11comp_targetILNS1_3genE2ELNS1_11target_archE906ELNS1_3gpuE6ELNS1_3repE0EEENS1_30default_config_static_selectorELNS0_4arch9wavefront6targetE0EEEvT1_.private_seg_size, 0
	.set _ZN7rocprim17ROCPRIM_400000_NS6detail17trampoline_kernelINS0_14default_configENS1_35adjacent_difference_config_selectorILb0ElEEZNS1_24adjacent_difference_implIS3_Lb0ELb0EPlS7_ZN2at6native12_GLOBAL__N_124unique_dim_cuda_templateIiEESt5tupleIJNS8_6TensorESD_SD_EERKSD_lbbbEUlllE1_EE10hipError_tPvRmT2_T3_mT4_P12ihipStream_tbEUlT_E_NS1_11comp_targetILNS1_3genE2ELNS1_11target_archE906ELNS1_3gpuE6ELNS1_3repE0EEENS1_30default_config_static_selectorELNS0_4arch9wavefront6targetE0EEEvT1_.uses_vcc, 0
	.set _ZN7rocprim17ROCPRIM_400000_NS6detail17trampoline_kernelINS0_14default_configENS1_35adjacent_difference_config_selectorILb0ElEEZNS1_24adjacent_difference_implIS3_Lb0ELb0EPlS7_ZN2at6native12_GLOBAL__N_124unique_dim_cuda_templateIiEESt5tupleIJNS8_6TensorESD_SD_EERKSD_lbbbEUlllE1_EE10hipError_tPvRmT2_T3_mT4_P12ihipStream_tbEUlT_E_NS1_11comp_targetILNS1_3genE2ELNS1_11target_archE906ELNS1_3gpuE6ELNS1_3repE0EEENS1_30default_config_static_selectorELNS0_4arch9wavefront6targetE0EEEvT1_.uses_flat_scratch, 0
	.set _ZN7rocprim17ROCPRIM_400000_NS6detail17trampoline_kernelINS0_14default_configENS1_35adjacent_difference_config_selectorILb0ElEEZNS1_24adjacent_difference_implIS3_Lb0ELb0EPlS7_ZN2at6native12_GLOBAL__N_124unique_dim_cuda_templateIiEESt5tupleIJNS8_6TensorESD_SD_EERKSD_lbbbEUlllE1_EE10hipError_tPvRmT2_T3_mT4_P12ihipStream_tbEUlT_E_NS1_11comp_targetILNS1_3genE2ELNS1_11target_archE906ELNS1_3gpuE6ELNS1_3repE0EEENS1_30default_config_static_selectorELNS0_4arch9wavefront6targetE0EEEvT1_.has_dyn_sized_stack, 0
	.set _ZN7rocprim17ROCPRIM_400000_NS6detail17trampoline_kernelINS0_14default_configENS1_35adjacent_difference_config_selectorILb0ElEEZNS1_24adjacent_difference_implIS3_Lb0ELb0EPlS7_ZN2at6native12_GLOBAL__N_124unique_dim_cuda_templateIiEESt5tupleIJNS8_6TensorESD_SD_EERKSD_lbbbEUlllE1_EE10hipError_tPvRmT2_T3_mT4_P12ihipStream_tbEUlT_E_NS1_11comp_targetILNS1_3genE2ELNS1_11target_archE906ELNS1_3gpuE6ELNS1_3repE0EEENS1_30default_config_static_selectorELNS0_4arch9wavefront6targetE0EEEvT1_.has_recursion, 0
	.set _ZN7rocprim17ROCPRIM_400000_NS6detail17trampoline_kernelINS0_14default_configENS1_35adjacent_difference_config_selectorILb0ElEEZNS1_24adjacent_difference_implIS3_Lb0ELb0EPlS7_ZN2at6native12_GLOBAL__N_124unique_dim_cuda_templateIiEESt5tupleIJNS8_6TensorESD_SD_EERKSD_lbbbEUlllE1_EE10hipError_tPvRmT2_T3_mT4_P12ihipStream_tbEUlT_E_NS1_11comp_targetILNS1_3genE2ELNS1_11target_archE906ELNS1_3gpuE6ELNS1_3repE0EEENS1_30default_config_static_selectorELNS0_4arch9wavefront6targetE0EEEvT1_.has_indirect_call, 0
	.section	.AMDGPU.csdata,"",@progbits
; Kernel info:
; codeLenInByte = 0
; TotalNumSgprs: 0
; NumVgprs: 0
; ScratchSize: 0
; MemoryBound: 0
; FloatMode: 240
; IeeeMode: 1
; LDSByteSize: 0 bytes/workgroup (compile time only)
; SGPRBlocks: 0
; VGPRBlocks: 0
; NumSGPRsForWavesPerEU: 1
; NumVGPRsForWavesPerEU: 1
; NamedBarCnt: 0
; Occupancy: 16
; WaveLimiterHint : 0
; COMPUTE_PGM_RSRC2:SCRATCH_EN: 0
; COMPUTE_PGM_RSRC2:USER_SGPR: 2
; COMPUTE_PGM_RSRC2:TRAP_HANDLER: 0
; COMPUTE_PGM_RSRC2:TGID_X_EN: 1
; COMPUTE_PGM_RSRC2:TGID_Y_EN: 0
; COMPUTE_PGM_RSRC2:TGID_Z_EN: 0
; COMPUTE_PGM_RSRC2:TIDIG_COMP_CNT: 0
	.section	.text._ZN7rocprim17ROCPRIM_400000_NS6detail17trampoline_kernelINS0_14default_configENS1_35adjacent_difference_config_selectorILb0ElEEZNS1_24adjacent_difference_implIS3_Lb0ELb0EPlS7_ZN2at6native12_GLOBAL__N_124unique_dim_cuda_templateIiEESt5tupleIJNS8_6TensorESD_SD_EERKSD_lbbbEUlllE1_EE10hipError_tPvRmT2_T3_mT4_P12ihipStream_tbEUlT_E_NS1_11comp_targetILNS1_3genE9ELNS1_11target_archE1100ELNS1_3gpuE3ELNS1_3repE0EEENS1_30default_config_static_selectorELNS0_4arch9wavefront6targetE0EEEvT1_,"axG",@progbits,_ZN7rocprim17ROCPRIM_400000_NS6detail17trampoline_kernelINS0_14default_configENS1_35adjacent_difference_config_selectorILb0ElEEZNS1_24adjacent_difference_implIS3_Lb0ELb0EPlS7_ZN2at6native12_GLOBAL__N_124unique_dim_cuda_templateIiEESt5tupleIJNS8_6TensorESD_SD_EERKSD_lbbbEUlllE1_EE10hipError_tPvRmT2_T3_mT4_P12ihipStream_tbEUlT_E_NS1_11comp_targetILNS1_3genE9ELNS1_11target_archE1100ELNS1_3gpuE3ELNS1_3repE0EEENS1_30default_config_static_selectorELNS0_4arch9wavefront6targetE0EEEvT1_,comdat
	.globl	_ZN7rocprim17ROCPRIM_400000_NS6detail17trampoline_kernelINS0_14default_configENS1_35adjacent_difference_config_selectorILb0ElEEZNS1_24adjacent_difference_implIS3_Lb0ELb0EPlS7_ZN2at6native12_GLOBAL__N_124unique_dim_cuda_templateIiEESt5tupleIJNS8_6TensorESD_SD_EERKSD_lbbbEUlllE1_EE10hipError_tPvRmT2_T3_mT4_P12ihipStream_tbEUlT_E_NS1_11comp_targetILNS1_3genE9ELNS1_11target_archE1100ELNS1_3gpuE3ELNS1_3repE0EEENS1_30default_config_static_selectorELNS0_4arch9wavefront6targetE0EEEvT1_ ; -- Begin function _ZN7rocprim17ROCPRIM_400000_NS6detail17trampoline_kernelINS0_14default_configENS1_35adjacent_difference_config_selectorILb0ElEEZNS1_24adjacent_difference_implIS3_Lb0ELb0EPlS7_ZN2at6native12_GLOBAL__N_124unique_dim_cuda_templateIiEESt5tupleIJNS8_6TensorESD_SD_EERKSD_lbbbEUlllE1_EE10hipError_tPvRmT2_T3_mT4_P12ihipStream_tbEUlT_E_NS1_11comp_targetILNS1_3genE9ELNS1_11target_archE1100ELNS1_3gpuE3ELNS1_3repE0EEENS1_30default_config_static_selectorELNS0_4arch9wavefront6targetE0EEEvT1_
	.p2align	8
	.type	_ZN7rocprim17ROCPRIM_400000_NS6detail17trampoline_kernelINS0_14default_configENS1_35adjacent_difference_config_selectorILb0ElEEZNS1_24adjacent_difference_implIS3_Lb0ELb0EPlS7_ZN2at6native12_GLOBAL__N_124unique_dim_cuda_templateIiEESt5tupleIJNS8_6TensorESD_SD_EERKSD_lbbbEUlllE1_EE10hipError_tPvRmT2_T3_mT4_P12ihipStream_tbEUlT_E_NS1_11comp_targetILNS1_3genE9ELNS1_11target_archE1100ELNS1_3gpuE3ELNS1_3repE0EEENS1_30default_config_static_selectorELNS0_4arch9wavefront6targetE0EEEvT1_,@function
_ZN7rocprim17ROCPRIM_400000_NS6detail17trampoline_kernelINS0_14default_configENS1_35adjacent_difference_config_selectorILb0ElEEZNS1_24adjacent_difference_implIS3_Lb0ELb0EPlS7_ZN2at6native12_GLOBAL__N_124unique_dim_cuda_templateIiEESt5tupleIJNS8_6TensorESD_SD_EERKSD_lbbbEUlllE1_EE10hipError_tPvRmT2_T3_mT4_P12ihipStream_tbEUlT_E_NS1_11comp_targetILNS1_3genE9ELNS1_11target_archE1100ELNS1_3gpuE3ELNS1_3repE0EEENS1_30default_config_static_selectorELNS0_4arch9wavefront6targetE0EEEvT1_: ; @_ZN7rocprim17ROCPRIM_400000_NS6detail17trampoline_kernelINS0_14default_configENS1_35adjacent_difference_config_selectorILb0ElEEZNS1_24adjacent_difference_implIS3_Lb0ELb0EPlS7_ZN2at6native12_GLOBAL__N_124unique_dim_cuda_templateIiEESt5tupleIJNS8_6TensorESD_SD_EERKSD_lbbbEUlllE1_EE10hipError_tPvRmT2_T3_mT4_P12ihipStream_tbEUlT_E_NS1_11comp_targetILNS1_3genE9ELNS1_11target_archE1100ELNS1_3gpuE3ELNS1_3repE0EEENS1_30default_config_static_selectorELNS0_4arch9wavefront6targetE0EEEvT1_
; %bb.0:
	.section	.rodata,"a",@progbits
	.p2align	6, 0x0
	.amdhsa_kernel _ZN7rocprim17ROCPRIM_400000_NS6detail17trampoline_kernelINS0_14default_configENS1_35adjacent_difference_config_selectorILb0ElEEZNS1_24adjacent_difference_implIS3_Lb0ELb0EPlS7_ZN2at6native12_GLOBAL__N_124unique_dim_cuda_templateIiEESt5tupleIJNS8_6TensorESD_SD_EERKSD_lbbbEUlllE1_EE10hipError_tPvRmT2_T3_mT4_P12ihipStream_tbEUlT_E_NS1_11comp_targetILNS1_3genE9ELNS1_11target_archE1100ELNS1_3gpuE3ELNS1_3repE0EEENS1_30default_config_static_selectorELNS0_4arch9wavefront6targetE0EEEvT1_
		.amdhsa_group_segment_fixed_size 0
		.amdhsa_private_segment_fixed_size 0
		.amdhsa_kernarg_size 64
		.amdhsa_user_sgpr_count 2
		.amdhsa_user_sgpr_dispatch_ptr 0
		.amdhsa_user_sgpr_queue_ptr 0
		.amdhsa_user_sgpr_kernarg_segment_ptr 1
		.amdhsa_user_sgpr_dispatch_id 0
		.amdhsa_user_sgpr_kernarg_preload_length 0
		.amdhsa_user_sgpr_kernarg_preload_offset 0
		.amdhsa_user_sgpr_private_segment_size 0
		.amdhsa_wavefront_size32 1
		.amdhsa_uses_dynamic_stack 0
		.amdhsa_enable_private_segment 0
		.amdhsa_system_sgpr_workgroup_id_x 1
		.amdhsa_system_sgpr_workgroup_id_y 0
		.amdhsa_system_sgpr_workgroup_id_z 0
		.amdhsa_system_sgpr_workgroup_info 0
		.amdhsa_system_vgpr_workitem_id 0
		.amdhsa_next_free_vgpr 1
		.amdhsa_next_free_sgpr 1
		.amdhsa_named_barrier_count 0
		.amdhsa_reserve_vcc 0
		.amdhsa_float_round_mode_32 0
		.amdhsa_float_round_mode_16_64 0
		.amdhsa_float_denorm_mode_32 3
		.amdhsa_float_denorm_mode_16_64 3
		.amdhsa_fp16_overflow 0
		.amdhsa_memory_ordered 1
		.amdhsa_forward_progress 1
		.amdhsa_inst_pref_size 0
		.amdhsa_round_robin_scheduling 0
		.amdhsa_exception_fp_ieee_invalid_op 0
		.amdhsa_exception_fp_denorm_src 0
		.amdhsa_exception_fp_ieee_div_zero 0
		.amdhsa_exception_fp_ieee_overflow 0
		.amdhsa_exception_fp_ieee_underflow 0
		.amdhsa_exception_fp_ieee_inexact 0
		.amdhsa_exception_int_div_zero 0
	.end_amdhsa_kernel
	.section	.text._ZN7rocprim17ROCPRIM_400000_NS6detail17trampoline_kernelINS0_14default_configENS1_35adjacent_difference_config_selectorILb0ElEEZNS1_24adjacent_difference_implIS3_Lb0ELb0EPlS7_ZN2at6native12_GLOBAL__N_124unique_dim_cuda_templateIiEESt5tupleIJNS8_6TensorESD_SD_EERKSD_lbbbEUlllE1_EE10hipError_tPvRmT2_T3_mT4_P12ihipStream_tbEUlT_E_NS1_11comp_targetILNS1_3genE9ELNS1_11target_archE1100ELNS1_3gpuE3ELNS1_3repE0EEENS1_30default_config_static_selectorELNS0_4arch9wavefront6targetE0EEEvT1_,"axG",@progbits,_ZN7rocprim17ROCPRIM_400000_NS6detail17trampoline_kernelINS0_14default_configENS1_35adjacent_difference_config_selectorILb0ElEEZNS1_24adjacent_difference_implIS3_Lb0ELb0EPlS7_ZN2at6native12_GLOBAL__N_124unique_dim_cuda_templateIiEESt5tupleIJNS8_6TensorESD_SD_EERKSD_lbbbEUlllE1_EE10hipError_tPvRmT2_T3_mT4_P12ihipStream_tbEUlT_E_NS1_11comp_targetILNS1_3genE9ELNS1_11target_archE1100ELNS1_3gpuE3ELNS1_3repE0EEENS1_30default_config_static_selectorELNS0_4arch9wavefront6targetE0EEEvT1_,comdat
.Lfunc_end422:
	.size	_ZN7rocprim17ROCPRIM_400000_NS6detail17trampoline_kernelINS0_14default_configENS1_35adjacent_difference_config_selectorILb0ElEEZNS1_24adjacent_difference_implIS3_Lb0ELb0EPlS7_ZN2at6native12_GLOBAL__N_124unique_dim_cuda_templateIiEESt5tupleIJNS8_6TensorESD_SD_EERKSD_lbbbEUlllE1_EE10hipError_tPvRmT2_T3_mT4_P12ihipStream_tbEUlT_E_NS1_11comp_targetILNS1_3genE9ELNS1_11target_archE1100ELNS1_3gpuE3ELNS1_3repE0EEENS1_30default_config_static_selectorELNS0_4arch9wavefront6targetE0EEEvT1_, .Lfunc_end422-_ZN7rocprim17ROCPRIM_400000_NS6detail17trampoline_kernelINS0_14default_configENS1_35adjacent_difference_config_selectorILb0ElEEZNS1_24adjacent_difference_implIS3_Lb0ELb0EPlS7_ZN2at6native12_GLOBAL__N_124unique_dim_cuda_templateIiEESt5tupleIJNS8_6TensorESD_SD_EERKSD_lbbbEUlllE1_EE10hipError_tPvRmT2_T3_mT4_P12ihipStream_tbEUlT_E_NS1_11comp_targetILNS1_3genE9ELNS1_11target_archE1100ELNS1_3gpuE3ELNS1_3repE0EEENS1_30default_config_static_selectorELNS0_4arch9wavefront6targetE0EEEvT1_
                                        ; -- End function
	.set _ZN7rocprim17ROCPRIM_400000_NS6detail17trampoline_kernelINS0_14default_configENS1_35adjacent_difference_config_selectorILb0ElEEZNS1_24adjacent_difference_implIS3_Lb0ELb0EPlS7_ZN2at6native12_GLOBAL__N_124unique_dim_cuda_templateIiEESt5tupleIJNS8_6TensorESD_SD_EERKSD_lbbbEUlllE1_EE10hipError_tPvRmT2_T3_mT4_P12ihipStream_tbEUlT_E_NS1_11comp_targetILNS1_3genE9ELNS1_11target_archE1100ELNS1_3gpuE3ELNS1_3repE0EEENS1_30default_config_static_selectorELNS0_4arch9wavefront6targetE0EEEvT1_.num_vgpr, 0
	.set _ZN7rocprim17ROCPRIM_400000_NS6detail17trampoline_kernelINS0_14default_configENS1_35adjacent_difference_config_selectorILb0ElEEZNS1_24adjacent_difference_implIS3_Lb0ELb0EPlS7_ZN2at6native12_GLOBAL__N_124unique_dim_cuda_templateIiEESt5tupleIJNS8_6TensorESD_SD_EERKSD_lbbbEUlllE1_EE10hipError_tPvRmT2_T3_mT4_P12ihipStream_tbEUlT_E_NS1_11comp_targetILNS1_3genE9ELNS1_11target_archE1100ELNS1_3gpuE3ELNS1_3repE0EEENS1_30default_config_static_selectorELNS0_4arch9wavefront6targetE0EEEvT1_.num_agpr, 0
	.set _ZN7rocprim17ROCPRIM_400000_NS6detail17trampoline_kernelINS0_14default_configENS1_35adjacent_difference_config_selectorILb0ElEEZNS1_24adjacent_difference_implIS3_Lb0ELb0EPlS7_ZN2at6native12_GLOBAL__N_124unique_dim_cuda_templateIiEESt5tupleIJNS8_6TensorESD_SD_EERKSD_lbbbEUlllE1_EE10hipError_tPvRmT2_T3_mT4_P12ihipStream_tbEUlT_E_NS1_11comp_targetILNS1_3genE9ELNS1_11target_archE1100ELNS1_3gpuE3ELNS1_3repE0EEENS1_30default_config_static_selectorELNS0_4arch9wavefront6targetE0EEEvT1_.numbered_sgpr, 0
	.set _ZN7rocprim17ROCPRIM_400000_NS6detail17trampoline_kernelINS0_14default_configENS1_35adjacent_difference_config_selectorILb0ElEEZNS1_24adjacent_difference_implIS3_Lb0ELb0EPlS7_ZN2at6native12_GLOBAL__N_124unique_dim_cuda_templateIiEESt5tupleIJNS8_6TensorESD_SD_EERKSD_lbbbEUlllE1_EE10hipError_tPvRmT2_T3_mT4_P12ihipStream_tbEUlT_E_NS1_11comp_targetILNS1_3genE9ELNS1_11target_archE1100ELNS1_3gpuE3ELNS1_3repE0EEENS1_30default_config_static_selectorELNS0_4arch9wavefront6targetE0EEEvT1_.num_named_barrier, 0
	.set _ZN7rocprim17ROCPRIM_400000_NS6detail17trampoline_kernelINS0_14default_configENS1_35adjacent_difference_config_selectorILb0ElEEZNS1_24adjacent_difference_implIS3_Lb0ELb0EPlS7_ZN2at6native12_GLOBAL__N_124unique_dim_cuda_templateIiEESt5tupleIJNS8_6TensorESD_SD_EERKSD_lbbbEUlllE1_EE10hipError_tPvRmT2_T3_mT4_P12ihipStream_tbEUlT_E_NS1_11comp_targetILNS1_3genE9ELNS1_11target_archE1100ELNS1_3gpuE3ELNS1_3repE0EEENS1_30default_config_static_selectorELNS0_4arch9wavefront6targetE0EEEvT1_.private_seg_size, 0
	.set _ZN7rocprim17ROCPRIM_400000_NS6detail17trampoline_kernelINS0_14default_configENS1_35adjacent_difference_config_selectorILb0ElEEZNS1_24adjacent_difference_implIS3_Lb0ELb0EPlS7_ZN2at6native12_GLOBAL__N_124unique_dim_cuda_templateIiEESt5tupleIJNS8_6TensorESD_SD_EERKSD_lbbbEUlllE1_EE10hipError_tPvRmT2_T3_mT4_P12ihipStream_tbEUlT_E_NS1_11comp_targetILNS1_3genE9ELNS1_11target_archE1100ELNS1_3gpuE3ELNS1_3repE0EEENS1_30default_config_static_selectorELNS0_4arch9wavefront6targetE0EEEvT1_.uses_vcc, 0
	.set _ZN7rocprim17ROCPRIM_400000_NS6detail17trampoline_kernelINS0_14default_configENS1_35adjacent_difference_config_selectorILb0ElEEZNS1_24adjacent_difference_implIS3_Lb0ELb0EPlS7_ZN2at6native12_GLOBAL__N_124unique_dim_cuda_templateIiEESt5tupleIJNS8_6TensorESD_SD_EERKSD_lbbbEUlllE1_EE10hipError_tPvRmT2_T3_mT4_P12ihipStream_tbEUlT_E_NS1_11comp_targetILNS1_3genE9ELNS1_11target_archE1100ELNS1_3gpuE3ELNS1_3repE0EEENS1_30default_config_static_selectorELNS0_4arch9wavefront6targetE0EEEvT1_.uses_flat_scratch, 0
	.set _ZN7rocprim17ROCPRIM_400000_NS6detail17trampoline_kernelINS0_14default_configENS1_35adjacent_difference_config_selectorILb0ElEEZNS1_24adjacent_difference_implIS3_Lb0ELb0EPlS7_ZN2at6native12_GLOBAL__N_124unique_dim_cuda_templateIiEESt5tupleIJNS8_6TensorESD_SD_EERKSD_lbbbEUlllE1_EE10hipError_tPvRmT2_T3_mT4_P12ihipStream_tbEUlT_E_NS1_11comp_targetILNS1_3genE9ELNS1_11target_archE1100ELNS1_3gpuE3ELNS1_3repE0EEENS1_30default_config_static_selectorELNS0_4arch9wavefront6targetE0EEEvT1_.has_dyn_sized_stack, 0
	.set _ZN7rocprim17ROCPRIM_400000_NS6detail17trampoline_kernelINS0_14default_configENS1_35adjacent_difference_config_selectorILb0ElEEZNS1_24adjacent_difference_implIS3_Lb0ELb0EPlS7_ZN2at6native12_GLOBAL__N_124unique_dim_cuda_templateIiEESt5tupleIJNS8_6TensorESD_SD_EERKSD_lbbbEUlllE1_EE10hipError_tPvRmT2_T3_mT4_P12ihipStream_tbEUlT_E_NS1_11comp_targetILNS1_3genE9ELNS1_11target_archE1100ELNS1_3gpuE3ELNS1_3repE0EEENS1_30default_config_static_selectorELNS0_4arch9wavefront6targetE0EEEvT1_.has_recursion, 0
	.set _ZN7rocprim17ROCPRIM_400000_NS6detail17trampoline_kernelINS0_14default_configENS1_35adjacent_difference_config_selectorILb0ElEEZNS1_24adjacent_difference_implIS3_Lb0ELb0EPlS7_ZN2at6native12_GLOBAL__N_124unique_dim_cuda_templateIiEESt5tupleIJNS8_6TensorESD_SD_EERKSD_lbbbEUlllE1_EE10hipError_tPvRmT2_T3_mT4_P12ihipStream_tbEUlT_E_NS1_11comp_targetILNS1_3genE9ELNS1_11target_archE1100ELNS1_3gpuE3ELNS1_3repE0EEENS1_30default_config_static_selectorELNS0_4arch9wavefront6targetE0EEEvT1_.has_indirect_call, 0
	.section	.AMDGPU.csdata,"",@progbits
; Kernel info:
; codeLenInByte = 0
; TotalNumSgprs: 0
; NumVgprs: 0
; ScratchSize: 0
; MemoryBound: 0
; FloatMode: 240
; IeeeMode: 1
; LDSByteSize: 0 bytes/workgroup (compile time only)
; SGPRBlocks: 0
; VGPRBlocks: 0
; NumSGPRsForWavesPerEU: 1
; NumVGPRsForWavesPerEU: 1
; NamedBarCnt: 0
; Occupancy: 16
; WaveLimiterHint : 0
; COMPUTE_PGM_RSRC2:SCRATCH_EN: 0
; COMPUTE_PGM_RSRC2:USER_SGPR: 2
; COMPUTE_PGM_RSRC2:TRAP_HANDLER: 0
; COMPUTE_PGM_RSRC2:TGID_X_EN: 1
; COMPUTE_PGM_RSRC2:TGID_Y_EN: 0
; COMPUTE_PGM_RSRC2:TGID_Z_EN: 0
; COMPUTE_PGM_RSRC2:TIDIG_COMP_CNT: 0
	.section	.text._ZN7rocprim17ROCPRIM_400000_NS6detail17trampoline_kernelINS0_14default_configENS1_35adjacent_difference_config_selectorILb0ElEEZNS1_24adjacent_difference_implIS3_Lb0ELb0EPlS7_ZN2at6native12_GLOBAL__N_124unique_dim_cuda_templateIiEESt5tupleIJNS8_6TensorESD_SD_EERKSD_lbbbEUlllE1_EE10hipError_tPvRmT2_T3_mT4_P12ihipStream_tbEUlT_E_NS1_11comp_targetILNS1_3genE8ELNS1_11target_archE1030ELNS1_3gpuE2ELNS1_3repE0EEENS1_30default_config_static_selectorELNS0_4arch9wavefront6targetE0EEEvT1_,"axG",@progbits,_ZN7rocprim17ROCPRIM_400000_NS6detail17trampoline_kernelINS0_14default_configENS1_35adjacent_difference_config_selectorILb0ElEEZNS1_24adjacent_difference_implIS3_Lb0ELb0EPlS7_ZN2at6native12_GLOBAL__N_124unique_dim_cuda_templateIiEESt5tupleIJNS8_6TensorESD_SD_EERKSD_lbbbEUlllE1_EE10hipError_tPvRmT2_T3_mT4_P12ihipStream_tbEUlT_E_NS1_11comp_targetILNS1_3genE8ELNS1_11target_archE1030ELNS1_3gpuE2ELNS1_3repE0EEENS1_30default_config_static_selectorELNS0_4arch9wavefront6targetE0EEEvT1_,comdat
	.globl	_ZN7rocprim17ROCPRIM_400000_NS6detail17trampoline_kernelINS0_14default_configENS1_35adjacent_difference_config_selectorILb0ElEEZNS1_24adjacent_difference_implIS3_Lb0ELb0EPlS7_ZN2at6native12_GLOBAL__N_124unique_dim_cuda_templateIiEESt5tupleIJNS8_6TensorESD_SD_EERKSD_lbbbEUlllE1_EE10hipError_tPvRmT2_T3_mT4_P12ihipStream_tbEUlT_E_NS1_11comp_targetILNS1_3genE8ELNS1_11target_archE1030ELNS1_3gpuE2ELNS1_3repE0EEENS1_30default_config_static_selectorELNS0_4arch9wavefront6targetE0EEEvT1_ ; -- Begin function _ZN7rocprim17ROCPRIM_400000_NS6detail17trampoline_kernelINS0_14default_configENS1_35adjacent_difference_config_selectorILb0ElEEZNS1_24adjacent_difference_implIS3_Lb0ELb0EPlS7_ZN2at6native12_GLOBAL__N_124unique_dim_cuda_templateIiEESt5tupleIJNS8_6TensorESD_SD_EERKSD_lbbbEUlllE1_EE10hipError_tPvRmT2_T3_mT4_P12ihipStream_tbEUlT_E_NS1_11comp_targetILNS1_3genE8ELNS1_11target_archE1030ELNS1_3gpuE2ELNS1_3repE0EEENS1_30default_config_static_selectorELNS0_4arch9wavefront6targetE0EEEvT1_
	.p2align	8
	.type	_ZN7rocprim17ROCPRIM_400000_NS6detail17trampoline_kernelINS0_14default_configENS1_35adjacent_difference_config_selectorILb0ElEEZNS1_24adjacent_difference_implIS3_Lb0ELb0EPlS7_ZN2at6native12_GLOBAL__N_124unique_dim_cuda_templateIiEESt5tupleIJNS8_6TensorESD_SD_EERKSD_lbbbEUlllE1_EE10hipError_tPvRmT2_T3_mT4_P12ihipStream_tbEUlT_E_NS1_11comp_targetILNS1_3genE8ELNS1_11target_archE1030ELNS1_3gpuE2ELNS1_3repE0EEENS1_30default_config_static_selectorELNS0_4arch9wavefront6targetE0EEEvT1_,@function
_ZN7rocprim17ROCPRIM_400000_NS6detail17trampoline_kernelINS0_14default_configENS1_35adjacent_difference_config_selectorILb0ElEEZNS1_24adjacent_difference_implIS3_Lb0ELb0EPlS7_ZN2at6native12_GLOBAL__N_124unique_dim_cuda_templateIiEESt5tupleIJNS8_6TensorESD_SD_EERKSD_lbbbEUlllE1_EE10hipError_tPvRmT2_T3_mT4_P12ihipStream_tbEUlT_E_NS1_11comp_targetILNS1_3genE8ELNS1_11target_archE1030ELNS1_3gpuE2ELNS1_3repE0EEENS1_30default_config_static_selectorELNS0_4arch9wavefront6targetE0EEEvT1_: ; @_ZN7rocprim17ROCPRIM_400000_NS6detail17trampoline_kernelINS0_14default_configENS1_35adjacent_difference_config_selectorILb0ElEEZNS1_24adjacent_difference_implIS3_Lb0ELb0EPlS7_ZN2at6native12_GLOBAL__N_124unique_dim_cuda_templateIiEESt5tupleIJNS8_6TensorESD_SD_EERKSD_lbbbEUlllE1_EE10hipError_tPvRmT2_T3_mT4_P12ihipStream_tbEUlT_E_NS1_11comp_targetILNS1_3genE8ELNS1_11target_archE1030ELNS1_3gpuE2ELNS1_3repE0EEENS1_30default_config_static_selectorELNS0_4arch9wavefront6targetE0EEEvT1_
; %bb.0:
	.section	.rodata,"a",@progbits
	.p2align	6, 0x0
	.amdhsa_kernel _ZN7rocprim17ROCPRIM_400000_NS6detail17trampoline_kernelINS0_14default_configENS1_35adjacent_difference_config_selectorILb0ElEEZNS1_24adjacent_difference_implIS3_Lb0ELb0EPlS7_ZN2at6native12_GLOBAL__N_124unique_dim_cuda_templateIiEESt5tupleIJNS8_6TensorESD_SD_EERKSD_lbbbEUlllE1_EE10hipError_tPvRmT2_T3_mT4_P12ihipStream_tbEUlT_E_NS1_11comp_targetILNS1_3genE8ELNS1_11target_archE1030ELNS1_3gpuE2ELNS1_3repE0EEENS1_30default_config_static_selectorELNS0_4arch9wavefront6targetE0EEEvT1_
		.amdhsa_group_segment_fixed_size 0
		.amdhsa_private_segment_fixed_size 0
		.amdhsa_kernarg_size 64
		.amdhsa_user_sgpr_count 2
		.amdhsa_user_sgpr_dispatch_ptr 0
		.amdhsa_user_sgpr_queue_ptr 0
		.amdhsa_user_sgpr_kernarg_segment_ptr 1
		.amdhsa_user_sgpr_dispatch_id 0
		.amdhsa_user_sgpr_kernarg_preload_length 0
		.amdhsa_user_sgpr_kernarg_preload_offset 0
		.amdhsa_user_sgpr_private_segment_size 0
		.amdhsa_wavefront_size32 1
		.amdhsa_uses_dynamic_stack 0
		.amdhsa_enable_private_segment 0
		.amdhsa_system_sgpr_workgroup_id_x 1
		.amdhsa_system_sgpr_workgroup_id_y 0
		.amdhsa_system_sgpr_workgroup_id_z 0
		.amdhsa_system_sgpr_workgroup_info 0
		.amdhsa_system_vgpr_workitem_id 0
		.amdhsa_next_free_vgpr 1
		.amdhsa_next_free_sgpr 1
		.amdhsa_named_barrier_count 0
		.amdhsa_reserve_vcc 0
		.amdhsa_float_round_mode_32 0
		.amdhsa_float_round_mode_16_64 0
		.amdhsa_float_denorm_mode_32 3
		.amdhsa_float_denorm_mode_16_64 3
		.amdhsa_fp16_overflow 0
		.amdhsa_memory_ordered 1
		.amdhsa_forward_progress 1
		.amdhsa_inst_pref_size 0
		.amdhsa_round_robin_scheduling 0
		.amdhsa_exception_fp_ieee_invalid_op 0
		.amdhsa_exception_fp_denorm_src 0
		.amdhsa_exception_fp_ieee_div_zero 0
		.amdhsa_exception_fp_ieee_overflow 0
		.amdhsa_exception_fp_ieee_underflow 0
		.amdhsa_exception_fp_ieee_inexact 0
		.amdhsa_exception_int_div_zero 0
	.end_amdhsa_kernel
	.section	.text._ZN7rocprim17ROCPRIM_400000_NS6detail17trampoline_kernelINS0_14default_configENS1_35adjacent_difference_config_selectorILb0ElEEZNS1_24adjacent_difference_implIS3_Lb0ELb0EPlS7_ZN2at6native12_GLOBAL__N_124unique_dim_cuda_templateIiEESt5tupleIJNS8_6TensorESD_SD_EERKSD_lbbbEUlllE1_EE10hipError_tPvRmT2_T3_mT4_P12ihipStream_tbEUlT_E_NS1_11comp_targetILNS1_3genE8ELNS1_11target_archE1030ELNS1_3gpuE2ELNS1_3repE0EEENS1_30default_config_static_selectorELNS0_4arch9wavefront6targetE0EEEvT1_,"axG",@progbits,_ZN7rocprim17ROCPRIM_400000_NS6detail17trampoline_kernelINS0_14default_configENS1_35adjacent_difference_config_selectorILb0ElEEZNS1_24adjacent_difference_implIS3_Lb0ELb0EPlS7_ZN2at6native12_GLOBAL__N_124unique_dim_cuda_templateIiEESt5tupleIJNS8_6TensorESD_SD_EERKSD_lbbbEUlllE1_EE10hipError_tPvRmT2_T3_mT4_P12ihipStream_tbEUlT_E_NS1_11comp_targetILNS1_3genE8ELNS1_11target_archE1030ELNS1_3gpuE2ELNS1_3repE0EEENS1_30default_config_static_selectorELNS0_4arch9wavefront6targetE0EEEvT1_,comdat
.Lfunc_end423:
	.size	_ZN7rocprim17ROCPRIM_400000_NS6detail17trampoline_kernelINS0_14default_configENS1_35adjacent_difference_config_selectorILb0ElEEZNS1_24adjacent_difference_implIS3_Lb0ELb0EPlS7_ZN2at6native12_GLOBAL__N_124unique_dim_cuda_templateIiEESt5tupleIJNS8_6TensorESD_SD_EERKSD_lbbbEUlllE1_EE10hipError_tPvRmT2_T3_mT4_P12ihipStream_tbEUlT_E_NS1_11comp_targetILNS1_3genE8ELNS1_11target_archE1030ELNS1_3gpuE2ELNS1_3repE0EEENS1_30default_config_static_selectorELNS0_4arch9wavefront6targetE0EEEvT1_, .Lfunc_end423-_ZN7rocprim17ROCPRIM_400000_NS6detail17trampoline_kernelINS0_14default_configENS1_35adjacent_difference_config_selectorILb0ElEEZNS1_24adjacent_difference_implIS3_Lb0ELb0EPlS7_ZN2at6native12_GLOBAL__N_124unique_dim_cuda_templateIiEESt5tupleIJNS8_6TensorESD_SD_EERKSD_lbbbEUlllE1_EE10hipError_tPvRmT2_T3_mT4_P12ihipStream_tbEUlT_E_NS1_11comp_targetILNS1_3genE8ELNS1_11target_archE1030ELNS1_3gpuE2ELNS1_3repE0EEENS1_30default_config_static_selectorELNS0_4arch9wavefront6targetE0EEEvT1_
                                        ; -- End function
	.set _ZN7rocprim17ROCPRIM_400000_NS6detail17trampoline_kernelINS0_14default_configENS1_35adjacent_difference_config_selectorILb0ElEEZNS1_24adjacent_difference_implIS3_Lb0ELb0EPlS7_ZN2at6native12_GLOBAL__N_124unique_dim_cuda_templateIiEESt5tupleIJNS8_6TensorESD_SD_EERKSD_lbbbEUlllE1_EE10hipError_tPvRmT2_T3_mT4_P12ihipStream_tbEUlT_E_NS1_11comp_targetILNS1_3genE8ELNS1_11target_archE1030ELNS1_3gpuE2ELNS1_3repE0EEENS1_30default_config_static_selectorELNS0_4arch9wavefront6targetE0EEEvT1_.num_vgpr, 0
	.set _ZN7rocprim17ROCPRIM_400000_NS6detail17trampoline_kernelINS0_14default_configENS1_35adjacent_difference_config_selectorILb0ElEEZNS1_24adjacent_difference_implIS3_Lb0ELb0EPlS7_ZN2at6native12_GLOBAL__N_124unique_dim_cuda_templateIiEESt5tupleIJNS8_6TensorESD_SD_EERKSD_lbbbEUlllE1_EE10hipError_tPvRmT2_T3_mT4_P12ihipStream_tbEUlT_E_NS1_11comp_targetILNS1_3genE8ELNS1_11target_archE1030ELNS1_3gpuE2ELNS1_3repE0EEENS1_30default_config_static_selectorELNS0_4arch9wavefront6targetE0EEEvT1_.num_agpr, 0
	.set _ZN7rocprim17ROCPRIM_400000_NS6detail17trampoline_kernelINS0_14default_configENS1_35adjacent_difference_config_selectorILb0ElEEZNS1_24adjacent_difference_implIS3_Lb0ELb0EPlS7_ZN2at6native12_GLOBAL__N_124unique_dim_cuda_templateIiEESt5tupleIJNS8_6TensorESD_SD_EERKSD_lbbbEUlllE1_EE10hipError_tPvRmT2_T3_mT4_P12ihipStream_tbEUlT_E_NS1_11comp_targetILNS1_3genE8ELNS1_11target_archE1030ELNS1_3gpuE2ELNS1_3repE0EEENS1_30default_config_static_selectorELNS0_4arch9wavefront6targetE0EEEvT1_.numbered_sgpr, 0
	.set _ZN7rocprim17ROCPRIM_400000_NS6detail17trampoline_kernelINS0_14default_configENS1_35adjacent_difference_config_selectorILb0ElEEZNS1_24adjacent_difference_implIS3_Lb0ELb0EPlS7_ZN2at6native12_GLOBAL__N_124unique_dim_cuda_templateIiEESt5tupleIJNS8_6TensorESD_SD_EERKSD_lbbbEUlllE1_EE10hipError_tPvRmT2_T3_mT4_P12ihipStream_tbEUlT_E_NS1_11comp_targetILNS1_3genE8ELNS1_11target_archE1030ELNS1_3gpuE2ELNS1_3repE0EEENS1_30default_config_static_selectorELNS0_4arch9wavefront6targetE0EEEvT1_.num_named_barrier, 0
	.set _ZN7rocprim17ROCPRIM_400000_NS6detail17trampoline_kernelINS0_14default_configENS1_35adjacent_difference_config_selectorILb0ElEEZNS1_24adjacent_difference_implIS3_Lb0ELb0EPlS7_ZN2at6native12_GLOBAL__N_124unique_dim_cuda_templateIiEESt5tupleIJNS8_6TensorESD_SD_EERKSD_lbbbEUlllE1_EE10hipError_tPvRmT2_T3_mT4_P12ihipStream_tbEUlT_E_NS1_11comp_targetILNS1_3genE8ELNS1_11target_archE1030ELNS1_3gpuE2ELNS1_3repE0EEENS1_30default_config_static_selectorELNS0_4arch9wavefront6targetE0EEEvT1_.private_seg_size, 0
	.set _ZN7rocprim17ROCPRIM_400000_NS6detail17trampoline_kernelINS0_14default_configENS1_35adjacent_difference_config_selectorILb0ElEEZNS1_24adjacent_difference_implIS3_Lb0ELb0EPlS7_ZN2at6native12_GLOBAL__N_124unique_dim_cuda_templateIiEESt5tupleIJNS8_6TensorESD_SD_EERKSD_lbbbEUlllE1_EE10hipError_tPvRmT2_T3_mT4_P12ihipStream_tbEUlT_E_NS1_11comp_targetILNS1_3genE8ELNS1_11target_archE1030ELNS1_3gpuE2ELNS1_3repE0EEENS1_30default_config_static_selectorELNS0_4arch9wavefront6targetE0EEEvT1_.uses_vcc, 0
	.set _ZN7rocprim17ROCPRIM_400000_NS6detail17trampoline_kernelINS0_14default_configENS1_35adjacent_difference_config_selectorILb0ElEEZNS1_24adjacent_difference_implIS3_Lb0ELb0EPlS7_ZN2at6native12_GLOBAL__N_124unique_dim_cuda_templateIiEESt5tupleIJNS8_6TensorESD_SD_EERKSD_lbbbEUlllE1_EE10hipError_tPvRmT2_T3_mT4_P12ihipStream_tbEUlT_E_NS1_11comp_targetILNS1_3genE8ELNS1_11target_archE1030ELNS1_3gpuE2ELNS1_3repE0EEENS1_30default_config_static_selectorELNS0_4arch9wavefront6targetE0EEEvT1_.uses_flat_scratch, 0
	.set _ZN7rocprim17ROCPRIM_400000_NS6detail17trampoline_kernelINS0_14default_configENS1_35adjacent_difference_config_selectorILb0ElEEZNS1_24adjacent_difference_implIS3_Lb0ELb0EPlS7_ZN2at6native12_GLOBAL__N_124unique_dim_cuda_templateIiEESt5tupleIJNS8_6TensorESD_SD_EERKSD_lbbbEUlllE1_EE10hipError_tPvRmT2_T3_mT4_P12ihipStream_tbEUlT_E_NS1_11comp_targetILNS1_3genE8ELNS1_11target_archE1030ELNS1_3gpuE2ELNS1_3repE0EEENS1_30default_config_static_selectorELNS0_4arch9wavefront6targetE0EEEvT1_.has_dyn_sized_stack, 0
	.set _ZN7rocprim17ROCPRIM_400000_NS6detail17trampoline_kernelINS0_14default_configENS1_35adjacent_difference_config_selectorILb0ElEEZNS1_24adjacent_difference_implIS3_Lb0ELb0EPlS7_ZN2at6native12_GLOBAL__N_124unique_dim_cuda_templateIiEESt5tupleIJNS8_6TensorESD_SD_EERKSD_lbbbEUlllE1_EE10hipError_tPvRmT2_T3_mT4_P12ihipStream_tbEUlT_E_NS1_11comp_targetILNS1_3genE8ELNS1_11target_archE1030ELNS1_3gpuE2ELNS1_3repE0EEENS1_30default_config_static_selectorELNS0_4arch9wavefront6targetE0EEEvT1_.has_recursion, 0
	.set _ZN7rocprim17ROCPRIM_400000_NS6detail17trampoline_kernelINS0_14default_configENS1_35adjacent_difference_config_selectorILb0ElEEZNS1_24adjacent_difference_implIS3_Lb0ELb0EPlS7_ZN2at6native12_GLOBAL__N_124unique_dim_cuda_templateIiEESt5tupleIJNS8_6TensorESD_SD_EERKSD_lbbbEUlllE1_EE10hipError_tPvRmT2_T3_mT4_P12ihipStream_tbEUlT_E_NS1_11comp_targetILNS1_3genE8ELNS1_11target_archE1030ELNS1_3gpuE2ELNS1_3repE0EEENS1_30default_config_static_selectorELNS0_4arch9wavefront6targetE0EEEvT1_.has_indirect_call, 0
	.section	.AMDGPU.csdata,"",@progbits
; Kernel info:
; codeLenInByte = 0
; TotalNumSgprs: 0
; NumVgprs: 0
; ScratchSize: 0
; MemoryBound: 0
; FloatMode: 240
; IeeeMode: 1
; LDSByteSize: 0 bytes/workgroup (compile time only)
; SGPRBlocks: 0
; VGPRBlocks: 0
; NumSGPRsForWavesPerEU: 1
; NumVGPRsForWavesPerEU: 1
; NamedBarCnt: 0
; Occupancy: 16
; WaveLimiterHint : 0
; COMPUTE_PGM_RSRC2:SCRATCH_EN: 0
; COMPUTE_PGM_RSRC2:USER_SGPR: 2
; COMPUTE_PGM_RSRC2:TRAP_HANDLER: 0
; COMPUTE_PGM_RSRC2:TGID_X_EN: 1
; COMPUTE_PGM_RSRC2:TGID_Y_EN: 0
; COMPUTE_PGM_RSRC2:TGID_Z_EN: 0
; COMPUTE_PGM_RSRC2:TIDIG_COMP_CNT: 0
	.section	.text._ZN7rocprim17ROCPRIM_400000_NS6detail17trampoline_kernelINS0_14default_configENS1_25transform_config_selectorIlLb0EEEZNS1_14transform_implILb0ES3_S5_NS0_18transform_iteratorINS0_17counting_iteratorImlEEZNS1_24adjacent_difference_implIS3_Lb1ELb0EPlSB_ZN2at6native12_GLOBAL__N_124unique_dim_cuda_templateIiEESt5tupleIJNSC_6TensorESH_SH_EERKSH_lbbbEUlllE1_EE10hipError_tPvRmT2_T3_mT4_P12ihipStream_tbEUlmE_lEESB_NS0_8identityIvEEEESM_SP_SQ_mSR_ST_bEUlT_E_NS1_11comp_targetILNS1_3genE0ELNS1_11target_archE4294967295ELNS1_3gpuE0ELNS1_3repE0EEENS1_30default_config_static_selectorELNS0_4arch9wavefront6targetE0EEEvT1_,"axG",@progbits,_ZN7rocprim17ROCPRIM_400000_NS6detail17trampoline_kernelINS0_14default_configENS1_25transform_config_selectorIlLb0EEEZNS1_14transform_implILb0ES3_S5_NS0_18transform_iteratorINS0_17counting_iteratorImlEEZNS1_24adjacent_difference_implIS3_Lb1ELb0EPlSB_ZN2at6native12_GLOBAL__N_124unique_dim_cuda_templateIiEESt5tupleIJNSC_6TensorESH_SH_EERKSH_lbbbEUlllE1_EE10hipError_tPvRmT2_T3_mT4_P12ihipStream_tbEUlmE_lEESB_NS0_8identityIvEEEESM_SP_SQ_mSR_ST_bEUlT_E_NS1_11comp_targetILNS1_3genE0ELNS1_11target_archE4294967295ELNS1_3gpuE0ELNS1_3repE0EEENS1_30default_config_static_selectorELNS0_4arch9wavefront6targetE0EEEvT1_,comdat
	.globl	_ZN7rocprim17ROCPRIM_400000_NS6detail17trampoline_kernelINS0_14default_configENS1_25transform_config_selectorIlLb0EEEZNS1_14transform_implILb0ES3_S5_NS0_18transform_iteratorINS0_17counting_iteratorImlEEZNS1_24adjacent_difference_implIS3_Lb1ELb0EPlSB_ZN2at6native12_GLOBAL__N_124unique_dim_cuda_templateIiEESt5tupleIJNSC_6TensorESH_SH_EERKSH_lbbbEUlllE1_EE10hipError_tPvRmT2_T3_mT4_P12ihipStream_tbEUlmE_lEESB_NS0_8identityIvEEEESM_SP_SQ_mSR_ST_bEUlT_E_NS1_11comp_targetILNS1_3genE0ELNS1_11target_archE4294967295ELNS1_3gpuE0ELNS1_3repE0EEENS1_30default_config_static_selectorELNS0_4arch9wavefront6targetE0EEEvT1_ ; -- Begin function _ZN7rocprim17ROCPRIM_400000_NS6detail17trampoline_kernelINS0_14default_configENS1_25transform_config_selectorIlLb0EEEZNS1_14transform_implILb0ES3_S5_NS0_18transform_iteratorINS0_17counting_iteratorImlEEZNS1_24adjacent_difference_implIS3_Lb1ELb0EPlSB_ZN2at6native12_GLOBAL__N_124unique_dim_cuda_templateIiEESt5tupleIJNSC_6TensorESH_SH_EERKSH_lbbbEUlllE1_EE10hipError_tPvRmT2_T3_mT4_P12ihipStream_tbEUlmE_lEESB_NS0_8identityIvEEEESM_SP_SQ_mSR_ST_bEUlT_E_NS1_11comp_targetILNS1_3genE0ELNS1_11target_archE4294967295ELNS1_3gpuE0ELNS1_3repE0EEENS1_30default_config_static_selectorELNS0_4arch9wavefront6targetE0EEEvT1_
	.p2align	8
	.type	_ZN7rocprim17ROCPRIM_400000_NS6detail17trampoline_kernelINS0_14default_configENS1_25transform_config_selectorIlLb0EEEZNS1_14transform_implILb0ES3_S5_NS0_18transform_iteratorINS0_17counting_iteratorImlEEZNS1_24adjacent_difference_implIS3_Lb1ELb0EPlSB_ZN2at6native12_GLOBAL__N_124unique_dim_cuda_templateIiEESt5tupleIJNSC_6TensorESH_SH_EERKSH_lbbbEUlllE1_EE10hipError_tPvRmT2_T3_mT4_P12ihipStream_tbEUlmE_lEESB_NS0_8identityIvEEEESM_SP_SQ_mSR_ST_bEUlT_E_NS1_11comp_targetILNS1_3genE0ELNS1_11target_archE4294967295ELNS1_3gpuE0ELNS1_3repE0EEENS1_30default_config_static_selectorELNS0_4arch9wavefront6targetE0EEEvT1_,@function
_ZN7rocprim17ROCPRIM_400000_NS6detail17trampoline_kernelINS0_14default_configENS1_25transform_config_selectorIlLb0EEEZNS1_14transform_implILb0ES3_S5_NS0_18transform_iteratorINS0_17counting_iteratorImlEEZNS1_24adjacent_difference_implIS3_Lb1ELb0EPlSB_ZN2at6native12_GLOBAL__N_124unique_dim_cuda_templateIiEESt5tupleIJNSC_6TensorESH_SH_EERKSH_lbbbEUlllE1_EE10hipError_tPvRmT2_T3_mT4_P12ihipStream_tbEUlmE_lEESB_NS0_8identityIvEEEESM_SP_SQ_mSR_ST_bEUlT_E_NS1_11comp_targetILNS1_3genE0ELNS1_11target_archE4294967295ELNS1_3gpuE0ELNS1_3repE0EEENS1_30default_config_static_selectorELNS0_4arch9wavefront6targetE0EEEvT1_: ; @_ZN7rocprim17ROCPRIM_400000_NS6detail17trampoline_kernelINS0_14default_configENS1_25transform_config_selectorIlLb0EEEZNS1_14transform_implILb0ES3_S5_NS0_18transform_iteratorINS0_17counting_iteratorImlEEZNS1_24adjacent_difference_implIS3_Lb1ELb0EPlSB_ZN2at6native12_GLOBAL__N_124unique_dim_cuda_templateIiEESt5tupleIJNSC_6TensorESH_SH_EERKSH_lbbbEUlllE1_EE10hipError_tPvRmT2_T3_mT4_P12ihipStream_tbEUlmE_lEESB_NS0_8identityIvEEEESM_SP_SQ_mSR_ST_bEUlT_E_NS1_11comp_targetILNS1_3genE0ELNS1_11target_archE4294967295ELNS1_3gpuE0ELNS1_3repE0EEENS1_30default_config_static_selectorELNS0_4arch9wavefront6targetE0EEEvT1_
; %bb.0:
	s_clause 0x1
	s_load_b32 s2, s[0:1], 0x38
	s_load_b32 s3, s[0:1], 0x20
	s_bfe_u32 s4, ttmp6, 0x4000c
	s_and_b32 s5, ttmp6, 15
	s_add_co_i32 s4, s4, 1
	s_getreg_b32 s6, hwreg(HW_REG_IB_STS2, 6, 4)
	s_mul_i32 s4, ttmp9, s4
	s_delay_alu instid0(SALU_CYCLE_1)
	s_add_co_i32 s5, s5, s4
	s_cmp_eq_u32 s6, 0
	s_cselect_b32 s4, ttmp9, s5
	s_wait_kmcnt 0x0
	s_add_co_i32 s5, s2, -1
	s_lshl_b32 s2, s4, 7
	s_cmp_lg_u32 s4, s5
	s_cselect_b32 s4, -1, 0
	s_sub_co_i32 s3, s3, s2
	s_delay_alu instid0(SALU_CYCLE_1) | instskip(SKIP_2) | instid1(SALU_CYCLE_1)
	v_cmp_gt_u32_e32 vcc_lo, s3, v0
	s_mov_b32 s3, 0
	s_or_b32 s4, s4, vcc_lo
	s_and_saveexec_b32 s5, s4
	s_cbranch_execz .LBB424_2
; %bb.1:
	s_clause 0x3
	s_load_b64 s[8:9], s[0:1], 0x18
	s_load_b128 s[4:7], s[0:1], 0x0
	s_load_b32 s10, s[0:1], 0x10
	s_load_b64 s[12:13], s[0:1], 0x28
	v_mov_b32_e32 v1, 0
	s_mov_b32 s11, s3
	s_wait_kmcnt 0x0
	s_add_nc_u64 s[0:1], s[4:5], s[8:9]
	s_delay_alu instid0(SALU_CYCLE_1) | instskip(SKIP_3) | instid1(SALU_CYCLE_1)
	s_add_nc_u64 s[0:1], s[0:1], s[2:3]
	s_lshl_b64 s[2:3], s[2:3], 3
	v_add_nc_u64_e32 v[2:3], s[0:1], v[0:1]
	s_lshl_b64 s[0:1], s[8:9], 3
	s_add_nc_u64 s[0:1], s[12:13], s[0:1]
	s_delay_alu instid0(SALU_CYCLE_1) | instskip(NEXT) | instid1(VALU_DEP_1)
	s_add_nc_u64 s[0:1], s[0:1], s[2:3]
	v_mul_u64_e32 v[2:3], s[10:11], v[2:3]
	s_delay_alu instid0(VALU_DEP_1)
	v_lshl_add_u64 v[2:3], v[2:3], 3, s[6:7]
	global_load_b64 v[2:3], v[2:3], off
	s_wait_loadcnt 0x0
	global_store_b64 v0, v[2:3], s[0:1] scale_offset
.LBB424_2:
	s_endpgm
	.section	.rodata,"a",@progbits
	.p2align	6, 0x0
	.amdhsa_kernel _ZN7rocprim17ROCPRIM_400000_NS6detail17trampoline_kernelINS0_14default_configENS1_25transform_config_selectorIlLb0EEEZNS1_14transform_implILb0ES3_S5_NS0_18transform_iteratorINS0_17counting_iteratorImlEEZNS1_24adjacent_difference_implIS3_Lb1ELb0EPlSB_ZN2at6native12_GLOBAL__N_124unique_dim_cuda_templateIiEESt5tupleIJNSC_6TensorESH_SH_EERKSH_lbbbEUlllE1_EE10hipError_tPvRmT2_T3_mT4_P12ihipStream_tbEUlmE_lEESB_NS0_8identityIvEEEESM_SP_SQ_mSR_ST_bEUlT_E_NS1_11comp_targetILNS1_3genE0ELNS1_11target_archE4294967295ELNS1_3gpuE0ELNS1_3repE0EEENS1_30default_config_static_selectorELNS0_4arch9wavefront6targetE0EEEvT1_
		.amdhsa_group_segment_fixed_size 0
		.amdhsa_private_segment_fixed_size 0
		.amdhsa_kernarg_size 312
		.amdhsa_user_sgpr_count 2
		.amdhsa_user_sgpr_dispatch_ptr 0
		.amdhsa_user_sgpr_queue_ptr 0
		.amdhsa_user_sgpr_kernarg_segment_ptr 1
		.amdhsa_user_sgpr_dispatch_id 0
		.amdhsa_user_sgpr_kernarg_preload_length 0
		.amdhsa_user_sgpr_kernarg_preload_offset 0
		.amdhsa_user_sgpr_private_segment_size 0
		.amdhsa_wavefront_size32 1
		.amdhsa_uses_dynamic_stack 0
		.amdhsa_enable_private_segment 0
		.amdhsa_system_sgpr_workgroup_id_x 1
		.amdhsa_system_sgpr_workgroup_id_y 0
		.amdhsa_system_sgpr_workgroup_id_z 0
		.amdhsa_system_sgpr_workgroup_info 0
		.amdhsa_system_vgpr_workitem_id 0
		.amdhsa_next_free_vgpr 4
		.amdhsa_next_free_sgpr 14
		.amdhsa_named_barrier_count 0
		.amdhsa_reserve_vcc 1
		.amdhsa_float_round_mode_32 0
		.amdhsa_float_round_mode_16_64 0
		.amdhsa_float_denorm_mode_32 3
		.amdhsa_float_denorm_mode_16_64 3
		.amdhsa_fp16_overflow 0
		.amdhsa_memory_ordered 1
		.amdhsa_forward_progress 1
		.amdhsa_inst_pref_size 2
		.amdhsa_round_robin_scheduling 0
		.amdhsa_exception_fp_ieee_invalid_op 0
		.amdhsa_exception_fp_denorm_src 0
		.amdhsa_exception_fp_ieee_div_zero 0
		.amdhsa_exception_fp_ieee_overflow 0
		.amdhsa_exception_fp_ieee_underflow 0
		.amdhsa_exception_fp_ieee_inexact 0
		.amdhsa_exception_int_div_zero 0
	.end_amdhsa_kernel
	.section	.text._ZN7rocprim17ROCPRIM_400000_NS6detail17trampoline_kernelINS0_14default_configENS1_25transform_config_selectorIlLb0EEEZNS1_14transform_implILb0ES3_S5_NS0_18transform_iteratorINS0_17counting_iteratorImlEEZNS1_24adjacent_difference_implIS3_Lb1ELb0EPlSB_ZN2at6native12_GLOBAL__N_124unique_dim_cuda_templateIiEESt5tupleIJNSC_6TensorESH_SH_EERKSH_lbbbEUlllE1_EE10hipError_tPvRmT2_T3_mT4_P12ihipStream_tbEUlmE_lEESB_NS0_8identityIvEEEESM_SP_SQ_mSR_ST_bEUlT_E_NS1_11comp_targetILNS1_3genE0ELNS1_11target_archE4294967295ELNS1_3gpuE0ELNS1_3repE0EEENS1_30default_config_static_selectorELNS0_4arch9wavefront6targetE0EEEvT1_,"axG",@progbits,_ZN7rocprim17ROCPRIM_400000_NS6detail17trampoline_kernelINS0_14default_configENS1_25transform_config_selectorIlLb0EEEZNS1_14transform_implILb0ES3_S5_NS0_18transform_iteratorINS0_17counting_iteratorImlEEZNS1_24adjacent_difference_implIS3_Lb1ELb0EPlSB_ZN2at6native12_GLOBAL__N_124unique_dim_cuda_templateIiEESt5tupleIJNSC_6TensorESH_SH_EERKSH_lbbbEUlllE1_EE10hipError_tPvRmT2_T3_mT4_P12ihipStream_tbEUlmE_lEESB_NS0_8identityIvEEEESM_SP_SQ_mSR_ST_bEUlT_E_NS1_11comp_targetILNS1_3genE0ELNS1_11target_archE4294967295ELNS1_3gpuE0ELNS1_3repE0EEENS1_30default_config_static_selectorELNS0_4arch9wavefront6targetE0EEEvT1_,comdat
.Lfunc_end424:
	.size	_ZN7rocprim17ROCPRIM_400000_NS6detail17trampoline_kernelINS0_14default_configENS1_25transform_config_selectorIlLb0EEEZNS1_14transform_implILb0ES3_S5_NS0_18transform_iteratorINS0_17counting_iteratorImlEEZNS1_24adjacent_difference_implIS3_Lb1ELb0EPlSB_ZN2at6native12_GLOBAL__N_124unique_dim_cuda_templateIiEESt5tupleIJNSC_6TensorESH_SH_EERKSH_lbbbEUlllE1_EE10hipError_tPvRmT2_T3_mT4_P12ihipStream_tbEUlmE_lEESB_NS0_8identityIvEEEESM_SP_SQ_mSR_ST_bEUlT_E_NS1_11comp_targetILNS1_3genE0ELNS1_11target_archE4294967295ELNS1_3gpuE0ELNS1_3repE0EEENS1_30default_config_static_selectorELNS0_4arch9wavefront6targetE0EEEvT1_, .Lfunc_end424-_ZN7rocprim17ROCPRIM_400000_NS6detail17trampoline_kernelINS0_14default_configENS1_25transform_config_selectorIlLb0EEEZNS1_14transform_implILb0ES3_S5_NS0_18transform_iteratorINS0_17counting_iteratorImlEEZNS1_24adjacent_difference_implIS3_Lb1ELb0EPlSB_ZN2at6native12_GLOBAL__N_124unique_dim_cuda_templateIiEESt5tupleIJNSC_6TensorESH_SH_EERKSH_lbbbEUlllE1_EE10hipError_tPvRmT2_T3_mT4_P12ihipStream_tbEUlmE_lEESB_NS0_8identityIvEEEESM_SP_SQ_mSR_ST_bEUlT_E_NS1_11comp_targetILNS1_3genE0ELNS1_11target_archE4294967295ELNS1_3gpuE0ELNS1_3repE0EEENS1_30default_config_static_selectorELNS0_4arch9wavefront6targetE0EEEvT1_
                                        ; -- End function
	.set _ZN7rocprim17ROCPRIM_400000_NS6detail17trampoline_kernelINS0_14default_configENS1_25transform_config_selectorIlLb0EEEZNS1_14transform_implILb0ES3_S5_NS0_18transform_iteratorINS0_17counting_iteratorImlEEZNS1_24adjacent_difference_implIS3_Lb1ELb0EPlSB_ZN2at6native12_GLOBAL__N_124unique_dim_cuda_templateIiEESt5tupleIJNSC_6TensorESH_SH_EERKSH_lbbbEUlllE1_EE10hipError_tPvRmT2_T3_mT4_P12ihipStream_tbEUlmE_lEESB_NS0_8identityIvEEEESM_SP_SQ_mSR_ST_bEUlT_E_NS1_11comp_targetILNS1_3genE0ELNS1_11target_archE4294967295ELNS1_3gpuE0ELNS1_3repE0EEENS1_30default_config_static_selectorELNS0_4arch9wavefront6targetE0EEEvT1_.num_vgpr, 4
	.set _ZN7rocprim17ROCPRIM_400000_NS6detail17trampoline_kernelINS0_14default_configENS1_25transform_config_selectorIlLb0EEEZNS1_14transform_implILb0ES3_S5_NS0_18transform_iteratorINS0_17counting_iteratorImlEEZNS1_24adjacent_difference_implIS3_Lb1ELb0EPlSB_ZN2at6native12_GLOBAL__N_124unique_dim_cuda_templateIiEESt5tupleIJNSC_6TensorESH_SH_EERKSH_lbbbEUlllE1_EE10hipError_tPvRmT2_T3_mT4_P12ihipStream_tbEUlmE_lEESB_NS0_8identityIvEEEESM_SP_SQ_mSR_ST_bEUlT_E_NS1_11comp_targetILNS1_3genE0ELNS1_11target_archE4294967295ELNS1_3gpuE0ELNS1_3repE0EEENS1_30default_config_static_selectorELNS0_4arch9wavefront6targetE0EEEvT1_.num_agpr, 0
	.set _ZN7rocprim17ROCPRIM_400000_NS6detail17trampoline_kernelINS0_14default_configENS1_25transform_config_selectorIlLb0EEEZNS1_14transform_implILb0ES3_S5_NS0_18transform_iteratorINS0_17counting_iteratorImlEEZNS1_24adjacent_difference_implIS3_Lb1ELb0EPlSB_ZN2at6native12_GLOBAL__N_124unique_dim_cuda_templateIiEESt5tupleIJNSC_6TensorESH_SH_EERKSH_lbbbEUlllE1_EE10hipError_tPvRmT2_T3_mT4_P12ihipStream_tbEUlmE_lEESB_NS0_8identityIvEEEESM_SP_SQ_mSR_ST_bEUlT_E_NS1_11comp_targetILNS1_3genE0ELNS1_11target_archE4294967295ELNS1_3gpuE0ELNS1_3repE0EEENS1_30default_config_static_selectorELNS0_4arch9wavefront6targetE0EEEvT1_.numbered_sgpr, 14
	.set _ZN7rocprim17ROCPRIM_400000_NS6detail17trampoline_kernelINS0_14default_configENS1_25transform_config_selectorIlLb0EEEZNS1_14transform_implILb0ES3_S5_NS0_18transform_iteratorINS0_17counting_iteratorImlEEZNS1_24adjacent_difference_implIS3_Lb1ELb0EPlSB_ZN2at6native12_GLOBAL__N_124unique_dim_cuda_templateIiEESt5tupleIJNSC_6TensorESH_SH_EERKSH_lbbbEUlllE1_EE10hipError_tPvRmT2_T3_mT4_P12ihipStream_tbEUlmE_lEESB_NS0_8identityIvEEEESM_SP_SQ_mSR_ST_bEUlT_E_NS1_11comp_targetILNS1_3genE0ELNS1_11target_archE4294967295ELNS1_3gpuE0ELNS1_3repE0EEENS1_30default_config_static_selectorELNS0_4arch9wavefront6targetE0EEEvT1_.num_named_barrier, 0
	.set _ZN7rocprim17ROCPRIM_400000_NS6detail17trampoline_kernelINS0_14default_configENS1_25transform_config_selectorIlLb0EEEZNS1_14transform_implILb0ES3_S5_NS0_18transform_iteratorINS0_17counting_iteratorImlEEZNS1_24adjacent_difference_implIS3_Lb1ELb0EPlSB_ZN2at6native12_GLOBAL__N_124unique_dim_cuda_templateIiEESt5tupleIJNSC_6TensorESH_SH_EERKSH_lbbbEUlllE1_EE10hipError_tPvRmT2_T3_mT4_P12ihipStream_tbEUlmE_lEESB_NS0_8identityIvEEEESM_SP_SQ_mSR_ST_bEUlT_E_NS1_11comp_targetILNS1_3genE0ELNS1_11target_archE4294967295ELNS1_3gpuE0ELNS1_3repE0EEENS1_30default_config_static_selectorELNS0_4arch9wavefront6targetE0EEEvT1_.private_seg_size, 0
	.set _ZN7rocprim17ROCPRIM_400000_NS6detail17trampoline_kernelINS0_14default_configENS1_25transform_config_selectorIlLb0EEEZNS1_14transform_implILb0ES3_S5_NS0_18transform_iteratorINS0_17counting_iteratorImlEEZNS1_24adjacent_difference_implIS3_Lb1ELb0EPlSB_ZN2at6native12_GLOBAL__N_124unique_dim_cuda_templateIiEESt5tupleIJNSC_6TensorESH_SH_EERKSH_lbbbEUlllE1_EE10hipError_tPvRmT2_T3_mT4_P12ihipStream_tbEUlmE_lEESB_NS0_8identityIvEEEESM_SP_SQ_mSR_ST_bEUlT_E_NS1_11comp_targetILNS1_3genE0ELNS1_11target_archE4294967295ELNS1_3gpuE0ELNS1_3repE0EEENS1_30default_config_static_selectorELNS0_4arch9wavefront6targetE0EEEvT1_.uses_vcc, 1
	.set _ZN7rocprim17ROCPRIM_400000_NS6detail17trampoline_kernelINS0_14default_configENS1_25transform_config_selectorIlLb0EEEZNS1_14transform_implILb0ES3_S5_NS0_18transform_iteratorINS0_17counting_iteratorImlEEZNS1_24adjacent_difference_implIS3_Lb1ELb0EPlSB_ZN2at6native12_GLOBAL__N_124unique_dim_cuda_templateIiEESt5tupleIJNSC_6TensorESH_SH_EERKSH_lbbbEUlllE1_EE10hipError_tPvRmT2_T3_mT4_P12ihipStream_tbEUlmE_lEESB_NS0_8identityIvEEEESM_SP_SQ_mSR_ST_bEUlT_E_NS1_11comp_targetILNS1_3genE0ELNS1_11target_archE4294967295ELNS1_3gpuE0ELNS1_3repE0EEENS1_30default_config_static_selectorELNS0_4arch9wavefront6targetE0EEEvT1_.uses_flat_scratch, 0
	.set _ZN7rocprim17ROCPRIM_400000_NS6detail17trampoline_kernelINS0_14default_configENS1_25transform_config_selectorIlLb0EEEZNS1_14transform_implILb0ES3_S5_NS0_18transform_iteratorINS0_17counting_iteratorImlEEZNS1_24adjacent_difference_implIS3_Lb1ELb0EPlSB_ZN2at6native12_GLOBAL__N_124unique_dim_cuda_templateIiEESt5tupleIJNSC_6TensorESH_SH_EERKSH_lbbbEUlllE1_EE10hipError_tPvRmT2_T3_mT4_P12ihipStream_tbEUlmE_lEESB_NS0_8identityIvEEEESM_SP_SQ_mSR_ST_bEUlT_E_NS1_11comp_targetILNS1_3genE0ELNS1_11target_archE4294967295ELNS1_3gpuE0ELNS1_3repE0EEENS1_30default_config_static_selectorELNS0_4arch9wavefront6targetE0EEEvT1_.has_dyn_sized_stack, 0
	.set _ZN7rocprim17ROCPRIM_400000_NS6detail17trampoline_kernelINS0_14default_configENS1_25transform_config_selectorIlLb0EEEZNS1_14transform_implILb0ES3_S5_NS0_18transform_iteratorINS0_17counting_iteratorImlEEZNS1_24adjacent_difference_implIS3_Lb1ELb0EPlSB_ZN2at6native12_GLOBAL__N_124unique_dim_cuda_templateIiEESt5tupleIJNSC_6TensorESH_SH_EERKSH_lbbbEUlllE1_EE10hipError_tPvRmT2_T3_mT4_P12ihipStream_tbEUlmE_lEESB_NS0_8identityIvEEEESM_SP_SQ_mSR_ST_bEUlT_E_NS1_11comp_targetILNS1_3genE0ELNS1_11target_archE4294967295ELNS1_3gpuE0ELNS1_3repE0EEENS1_30default_config_static_selectorELNS0_4arch9wavefront6targetE0EEEvT1_.has_recursion, 0
	.set _ZN7rocprim17ROCPRIM_400000_NS6detail17trampoline_kernelINS0_14default_configENS1_25transform_config_selectorIlLb0EEEZNS1_14transform_implILb0ES3_S5_NS0_18transform_iteratorINS0_17counting_iteratorImlEEZNS1_24adjacent_difference_implIS3_Lb1ELb0EPlSB_ZN2at6native12_GLOBAL__N_124unique_dim_cuda_templateIiEESt5tupleIJNSC_6TensorESH_SH_EERKSH_lbbbEUlllE1_EE10hipError_tPvRmT2_T3_mT4_P12ihipStream_tbEUlmE_lEESB_NS0_8identityIvEEEESM_SP_SQ_mSR_ST_bEUlT_E_NS1_11comp_targetILNS1_3genE0ELNS1_11target_archE4294967295ELNS1_3gpuE0ELNS1_3repE0EEENS1_30default_config_static_selectorELNS0_4arch9wavefront6targetE0EEEvT1_.has_indirect_call, 0
	.section	.AMDGPU.csdata,"",@progbits
; Kernel info:
; codeLenInByte = 240
; TotalNumSgprs: 16
; NumVgprs: 4
; ScratchSize: 0
; MemoryBound: 0
; FloatMode: 240
; IeeeMode: 1
; LDSByteSize: 0 bytes/workgroup (compile time only)
; SGPRBlocks: 0
; VGPRBlocks: 0
; NumSGPRsForWavesPerEU: 16
; NumVGPRsForWavesPerEU: 4
; NamedBarCnt: 0
; Occupancy: 16
; WaveLimiterHint : 0
; COMPUTE_PGM_RSRC2:SCRATCH_EN: 0
; COMPUTE_PGM_RSRC2:USER_SGPR: 2
; COMPUTE_PGM_RSRC2:TRAP_HANDLER: 0
; COMPUTE_PGM_RSRC2:TGID_X_EN: 1
; COMPUTE_PGM_RSRC2:TGID_Y_EN: 0
; COMPUTE_PGM_RSRC2:TGID_Z_EN: 0
; COMPUTE_PGM_RSRC2:TIDIG_COMP_CNT: 0
	.section	.text._ZN7rocprim17ROCPRIM_400000_NS6detail17trampoline_kernelINS0_14default_configENS1_25transform_config_selectorIlLb0EEEZNS1_14transform_implILb0ES3_S5_NS0_18transform_iteratorINS0_17counting_iteratorImlEEZNS1_24adjacent_difference_implIS3_Lb1ELb0EPlSB_ZN2at6native12_GLOBAL__N_124unique_dim_cuda_templateIiEESt5tupleIJNSC_6TensorESH_SH_EERKSH_lbbbEUlllE1_EE10hipError_tPvRmT2_T3_mT4_P12ihipStream_tbEUlmE_lEESB_NS0_8identityIvEEEESM_SP_SQ_mSR_ST_bEUlT_E_NS1_11comp_targetILNS1_3genE5ELNS1_11target_archE942ELNS1_3gpuE9ELNS1_3repE0EEENS1_30default_config_static_selectorELNS0_4arch9wavefront6targetE0EEEvT1_,"axG",@progbits,_ZN7rocprim17ROCPRIM_400000_NS6detail17trampoline_kernelINS0_14default_configENS1_25transform_config_selectorIlLb0EEEZNS1_14transform_implILb0ES3_S5_NS0_18transform_iteratorINS0_17counting_iteratorImlEEZNS1_24adjacent_difference_implIS3_Lb1ELb0EPlSB_ZN2at6native12_GLOBAL__N_124unique_dim_cuda_templateIiEESt5tupleIJNSC_6TensorESH_SH_EERKSH_lbbbEUlllE1_EE10hipError_tPvRmT2_T3_mT4_P12ihipStream_tbEUlmE_lEESB_NS0_8identityIvEEEESM_SP_SQ_mSR_ST_bEUlT_E_NS1_11comp_targetILNS1_3genE5ELNS1_11target_archE942ELNS1_3gpuE9ELNS1_3repE0EEENS1_30default_config_static_selectorELNS0_4arch9wavefront6targetE0EEEvT1_,comdat
	.globl	_ZN7rocprim17ROCPRIM_400000_NS6detail17trampoline_kernelINS0_14default_configENS1_25transform_config_selectorIlLb0EEEZNS1_14transform_implILb0ES3_S5_NS0_18transform_iteratorINS0_17counting_iteratorImlEEZNS1_24adjacent_difference_implIS3_Lb1ELb0EPlSB_ZN2at6native12_GLOBAL__N_124unique_dim_cuda_templateIiEESt5tupleIJNSC_6TensorESH_SH_EERKSH_lbbbEUlllE1_EE10hipError_tPvRmT2_T3_mT4_P12ihipStream_tbEUlmE_lEESB_NS0_8identityIvEEEESM_SP_SQ_mSR_ST_bEUlT_E_NS1_11comp_targetILNS1_3genE5ELNS1_11target_archE942ELNS1_3gpuE9ELNS1_3repE0EEENS1_30default_config_static_selectorELNS0_4arch9wavefront6targetE0EEEvT1_ ; -- Begin function _ZN7rocprim17ROCPRIM_400000_NS6detail17trampoline_kernelINS0_14default_configENS1_25transform_config_selectorIlLb0EEEZNS1_14transform_implILb0ES3_S5_NS0_18transform_iteratorINS0_17counting_iteratorImlEEZNS1_24adjacent_difference_implIS3_Lb1ELb0EPlSB_ZN2at6native12_GLOBAL__N_124unique_dim_cuda_templateIiEESt5tupleIJNSC_6TensorESH_SH_EERKSH_lbbbEUlllE1_EE10hipError_tPvRmT2_T3_mT4_P12ihipStream_tbEUlmE_lEESB_NS0_8identityIvEEEESM_SP_SQ_mSR_ST_bEUlT_E_NS1_11comp_targetILNS1_3genE5ELNS1_11target_archE942ELNS1_3gpuE9ELNS1_3repE0EEENS1_30default_config_static_selectorELNS0_4arch9wavefront6targetE0EEEvT1_
	.p2align	8
	.type	_ZN7rocprim17ROCPRIM_400000_NS6detail17trampoline_kernelINS0_14default_configENS1_25transform_config_selectorIlLb0EEEZNS1_14transform_implILb0ES3_S5_NS0_18transform_iteratorINS0_17counting_iteratorImlEEZNS1_24adjacent_difference_implIS3_Lb1ELb0EPlSB_ZN2at6native12_GLOBAL__N_124unique_dim_cuda_templateIiEESt5tupleIJNSC_6TensorESH_SH_EERKSH_lbbbEUlllE1_EE10hipError_tPvRmT2_T3_mT4_P12ihipStream_tbEUlmE_lEESB_NS0_8identityIvEEEESM_SP_SQ_mSR_ST_bEUlT_E_NS1_11comp_targetILNS1_3genE5ELNS1_11target_archE942ELNS1_3gpuE9ELNS1_3repE0EEENS1_30default_config_static_selectorELNS0_4arch9wavefront6targetE0EEEvT1_,@function
_ZN7rocprim17ROCPRIM_400000_NS6detail17trampoline_kernelINS0_14default_configENS1_25transform_config_selectorIlLb0EEEZNS1_14transform_implILb0ES3_S5_NS0_18transform_iteratorINS0_17counting_iteratorImlEEZNS1_24adjacent_difference_implIS3_Lb1ELb0EPlSB_ZN2at6native12_GLOBAL__N_124unique_dim_cuda_templateIiEESt5tupleIJNSC_6TensorESH_SH_EERKSH_lbbbEUlllE1_EE10hipError_tPvRmT2_T3_mT4_P12ihipStream_tbEUlmE_lEESB_NS0_8identityIvEEEESM_SP_SQ_mSR_ST_bEUlT_E_NS1_11comp_targetILNS1_3genE5ELNS1_11target_archE942ELNS1_3gpuE9ELNS1_3repE0EEENS1_30default_config_static_selectorELNS0_4arch9wavefront6targetE0EEEvT1_: ; @_ZN7rocprim17ROCPRIM_400000_NS6detail17trampoline_kernelINS0_14default_configENS1_25transform_config_selectorIlLb0EEEZNS1_14transform_implILb0ES3_S5_NS0_18transform_iteratorINS0_17counting_iteratorImlEEZNS1_24adjacent_difference_implIS3_Lb1ELb0EPlSB_ZN2at6native12_GLOBAL__N_124unique_dim_cuda_templateIiEESt5tupleIJNSC_6TensorESH_SH_EERKSH_lbbbEUlllE1_EE10hipError_tPvRmT2_T3_mT4_P12ihipStream_tbEUlmE_lEESB_NS0_8identityIvEEEESM_SP_SQ_mSR_ST_bEUlT_E_NS1_11comp_targetILNS1_3genE5ELNS1_11target_archE942ELNS1_3gpuE9ELNS1_3repE0EEENS1_30default_config_static_selectorELNS0_4arch9wavefront6targetE0EEEvT1_
; %bb.0:
	.section	.rodata,"a",@progbits
	.p2align	6, 0x0
	.amdhsa_kernel _ZN7rocprim17ROCPRIM_400000_NS6detail17trampoline_kernelINS0_14default_configENS1_25transform_config_selectorIlLb0EEEZNS1_14transform_implILb0ES3_S5_NS0_18transform_iteratorINS0_17counting_iteratorImlEEZNS1_24adjacent_difference_implIS3_Lb1ELb0EPlSB_ZN2at6native12_GLOBAL__N_124unique_dim_cuda_templateIiEESt5tupleIJNSC_6TensorESH_SH_EERKSH_lbbbEUlllE1_EE10hipError_tPvRmT2_T3_mT4_P12ihipStream_tbEUlmE_lEESB_NS0_8identityIvEEEESM_SP_SQ_mSR_ST_bEUlT_E_NS1_11comp_targetILNS1_3genE5ELNS1_11target_archE942ELNS1_3gpuE9ELNS1_3repE0EEENS1_30default_config_static_selectorELNS0_4arch9wavefront6targetE0EEEvT1_
		.amdhsa_group_segment_fixed_size 0
		.amdhsa_private_segment_fixed_size 0
		.amdhsa_kernarg_size 56
		.amdhsa_user_sgpr_count 2
		.amdhsa_user_sgpr_dispatch_ptr 0
		.amdhsa_user_sgpr_queue_ptr 0
		.amdhsa_user_sgpr_kernarg_segment_ptr 1
		.amdhsa_user_sgpr_dispatch_id 0
		.amdhsa_user_sgpr_kernarg_preload_length 0
		.amdhsa_user_sgpr_kernarg_preload_offset 0
		.amdhsa_user_sgpr_private_segment_size 0
		.amdhsa_wavefront_size32 1
		.amdhsa_uses_dynamic_stack 0
		.amdhsa_enable_private_segment 0
		.amdhsa_system_sgpr_workgroup_id_x 1
		.amdhsa_system_sgpr_workgroup_id_y 0
		.amdhsa_system_sgpr_workgroup_id_z 0
		.amdhsa_system_sgpr_workgroup_info 0
		.amdhsa_system_vgpr_workitem_id 0
		.amdhsa_next_free_vgpr 1
		.amdhsa_next_free_sgpr 1
		.amdhsa_named_barrier_count 0
		.amdhsa_reserve_vcc 0
		.amdhsa_float_round_mode_32 0
		.amdhsa_float_round_mode_16_64 0
		.amdhsa_float_denorm_mode_32 3
		.amdhsa_float_denorm_mode_16_64 3
		.amdhsa_fp16_overflow 0
		.amdhsa_memory_ordered 1
		.amdhsa_forward_progress 1
		.amdhsa_inst_pref_size 0
		.amdhsa_round_robin_scheduling 0
		.amdhsa_exception_fp_ieee_invalid_op 0
		.amdhsa_exception_fp_denorm_src 0
		.amdhsa_exception_fp_ieee_div_zero 0
		.amdhsa_exception_fp_ieee_overflow 0
		.amdhsa_exception_fp_ieee_underflow 0
		.amdhsa_exception_fp_ieee_inexact 0
		.amdhsa_exception_int_div_zero 0
	.end_amdhsa_kernel
	.section	.text._ZN7rocprim17ROCPRIM_400000_NS6detail17trampoline_kernelINS0_14default_configENS1_25transform_config_selectorIlLb0EEEZNS1_14transform_implILb0ES3_S5_NS0_18transform_iteratorINS0_17counting_iteratorImlEEZNS1_24adjacent_difference_implIS3_Lb1ELb0EPlSB_ZN2at6native12_GLOBAL__N_124unique_dim_cuda_templateIiEESt5tupleIJNSC_6TensorESH_SH_EERKSH_lbbbEUlllE1_EE10hipError_tPvRmT2_T3_mT4_P12ihipStream_tbEUlmE_lEESB_NS0_8identityIvEEEESM_SP_SQ_mSR_ST_bEUlT_E_NS1_11comp_targetILNS1_3genE5ELNS1_11target_archE942ELNS1_3gpuE9ELNS1_3repE0EEENS1_30default_config_static_selectorELNS0_4arch9wavefront6targetE0EEEvT1_,"axG",@progbits,_ZN7rocprim17ROCPRIM_400000_NS6detail17trampoline_kernelINS0_14default_configENS1_25transform_config_selectorIlLb0EEEZNS1_14transform_implILb0ES3_S5_NS0_18transform_iteratorINS0_17counting_iteratorImlEEZNS1_24adjacent_difference_implIS3_Lb1ELb0EPlSB_ZN2at6native12_GLOBAL__N_124unique_dim_cuda_templateIiEESt5tupleIJNSC_6TensorESH_SH_EERKSH_lbbbEUlllE1_EE10hipError_tPvRmT2_T3_mT4_P12ihipStream_tbEUlmE_lEESB_NS0_8identityIvEEEESM_SP_SQ_mSR_ST_bEUlT_E_NS1_11comp_targetILNS1_3genE5ELNS1_11target_archE942ELNS1_3gpuE9ELNS1_3repE0EEENS1_30default_config_static_selectorELNS0_4arch9wavefront6targetE0EEEvT1_,comdat
.Lfunc_end425:
	.size	_ZN7rocprim17ROCPRIM_400000_NS6detail17trampoline_kernelINS0_14default_configENS1_25transform_config_selectorIlLb0EEEZNS1_14transform_implILb0ES3_S5_NS0_18transform_iteratorINS0_17counting_iteratorImlEEZNS1_24adjacent_difference_implIS3_Lb1ELb0EPlSB_ZN2at6native12_GLOBAL__N_124unique_dim_cuda_templateIiEESt5tupleIJNSC_6TensorESH_SH_EERKSH_lbbbEUlllE1_EE10hipError_tPvRmT2_T3_mT4_P12ihipStream_tbEUlmE_lEESB_NS0_8identityIvEEEESM_SP_SQ_mSR_ST_bEUlT_E_NS1_11comp_targetILNS1_3genE5ELNS1_11target_archE942ELNS1_3gpuE9ELNS1_3repE0EEENS1_30default_config_static_selectorELNS0_4arch9wavefront6targetE0EEEvT1_, .Lfunc_end425-_ZN7rocprim17ROCPRIM_400000_NS6detail17trampoline_kernelINS0_14default_configENS1_25transform_config_selectorIlLb0EEEZNS1_14transform_implILb0ES3_S5_NS0_18transform_iteratorINS0_17counting_iteratorImlEEZNS1_24adjacent_difference_implIS3_Lb1ELb0EPlSB_ZN2at6native12_GLOBAL__N_124unique_dim_cuda_templateIiEESt5tupleIJNSC_6TensorESH_SH_EERKSH_lbbbEUlllE1_EE10hipError_tPvRmT2_T3_mT4_P12ihipStream_tbEUlmE_lEESB_NS0_8identityIvEEEESM_SP_SQ_mSR_ST_bEUlT_E_NS1_11comp_targetILNS1_3genE5ELNS1_11target_archE942ELNS1_3gpuE9ELNS1_3repE0EEENS1_30default_config_static_selectorELNS0_4arch9wavefront6targetE0EEEvT1_
                                        ; -- End function
	.set _ZN7rocprim17ROCPRIM_400000_NS6detail17trampoline_kernelINS0_14default_configENS1_25transform_config_selectorIlLb0EEEZNS1_14transform_implILb0ES3_S5_NS0_18transform_iteratorINS0_17counting_iteratorImlEEZNS1_24adjacent_difference_implIS3_Lb1ELb0EPlSB_ZN2at6native12_GLOBAL__N_124unique_dim_cuda_templateIiEESt5tupleIJNSC_6TensorESH_SH_EERKSH_lbbbEUlllE1_EE10hipError_tPvRmT2_T3_mT4_P12ihipStream_tbEUlmE_lEESB_NS0_8identityIvEEEESM_SP_SQ_mSR_ST_bEUlT_E_NS1_11comp_targetILNS1_3genE5ELNS1_11target_archE942ELNS1_3gpuE9ELNS1_3repE0EEENS1_30default_config_static_selectorELNS0_4arch9wavefront6targetE0EEEvT1_.num_vgpr, 0
	.set _ZN7rocprim17ROCPRIM_400000_NS6detail17trampoline_kernelINS0_14default_configENS1_25transform_config_selectorIlLb0EEEZNS1_14transform_implILb0ES3_S5_NS0_18transform_iteratorINS0_17counting_iteratorImlEEZNS1_24adjacent_difference_implIS3_Lb1ELb0EPlSB_ZN2at6native12_GLOBAL__N_124unique_dim_cuda_templateIiEESt5tupleIJNSC_6TensorESH_SH_EERKSH_lbbbEUlllE1_EE10hipError_tPvRmT2_T3_mT4_P12ihipStream_tbEUlmE_lEESB_NS0_8identityIvEEEESM_SP_SQ_mSR_ST_bEUlT_E_NS1_11comp_targetILNS1_3genE5ELNS1_11target_archE942ELNS1_3gpuE9ELNS1_3repE0EEENS1_30default_config_static_selectorELNS0_4arch9wavefront6targetE0EEEvT1_.num_agpr, 0
	.set _ZN7rocprim17ROCPRIM_400000_NS6detail17trampoline_kernelINS0_14default_configENS1_25transform_config_selectorIlLb0EEEZNS1_14transform_implILb0ES3_S5_NS0_18transform_iteratorINS0_17counting_iteratorImlEEZNS1_24adjacent_difference_implIS3_Lb1ELb0EPlSB_ZN2at6native12_GLOBAL__N_124unique_dim_cuda_templateIiEESt5tupleIJNSC_6TensorESH_SH_EERKSH_lbbbEUlllE1_EE10hipError_tPvRmT2_T3_mT4_P12ihipStream_tbEUlmE_lEESB_NS0_8identityIvEEEESM_SP_SQ_mSR_ST_bEUlT_E_NS1_11comp_targetILNS1_3genE5ELNS1_11target_archE942ELNS1_3gpuE9ELNS1_3repE0EEENS1_30default_config_static_selectorELNS0_4arch9wavefront6targetE0EEEvT1_.numbered_sgpr, 0
	.set _ZN7rocprim17ROCPRIM_400000_NS6detail17trampoline_kernelINS0_14default_configENS1_25transform_config_selectorIlLb0EEEZNS1_14transform_implILb0ES3_S5_NS0_18transform_iteratorINS0_17counting_iteratorImlEEZNS1_24adjacent_difference_implIS3_Lb1ELb0EPlSB_ZN2at6native12_GLOBAL__N_124unique_dim_cuda_templateIiEESt5tupleIJNSC_6TensorESH_SH_EERKSH_lbbbEUlllE1_EE10hipError_tPvRmT2_T3_mT4_P12ihipStream_tbEUlmE_lEESB_NS0_8identityIvEEEESM_SP_SQ_mSR_ST_bEUlT_E_NS1_11comp_targetILNS1_3genE5ELNS1_11target_archE942ELNS1_3gpuE9ELNS1_3repE0EEENS1_30default_config_static_selectorELNS0_4arch9wavefront6targetE0EEEvT1_.num_named_barrier, 0
	.set _ZN7rocprim17ROCPRIM_400000_NS6detail17trampoline_kernelINS0_14default_configENS1_25transform_config_selectorIlLb0EEEZNS1_14transform_implILb0ES3_S5_NS0_18transform_iteratorINS0_17counting_iteratorImlEEZNS1_24adjacent_difference_implIS3_Lb1ELb0EPlSB_ZN2at6native12_GLOBAL__N_124unique_dim_cuda_templateIiEESt5tupleIJNSC_6TensorESH_SH_EERKSH_lbbbEUlllE1_EE10hipError_tPvRmT2_T3_mT4_P12ihipStream_tbEUlmE_lEESB_NS0_8identityIvEEEESM_SP_SQ_mSR_ST_bEUlT_E_NS1_11comp_targetILNS1_3genE5ELNS1_11target_archE942ELNS1_3gpuE9ELNS1_3repE0EEENS1_30default_config_static_selectorELNS0_4arch9wavefront6targetE0EEEvT1_.private_seg_size, 0
	.set _ZN7rocprim17ROCPRIM_400000_NS6detail17trampoline_kernelINS0_14default_configENS1_25transform_config_selectorIlLb0EEEZNS1_14transform_implILb0ES3_S5_NS0_18transform_iteratorINS0_17counting_iteratorImlEEZNS1_24adjacent_difference_implIS3_Lb1ELb0EPlSB_ZN2at6native12_GLOBAL__N_124unique_dim_cuda_templateIiEESt5tupleIJNSC_6TensorESH_SH_EERKSH_lbbbEUlllE1_EE10hipError_tPvRmT2_T3_mT4_P12ihipStream_tbEUlmE_lEESB_NS0_8identityIvEEEESM_SP_SQ_mSR_ST_bEUlT_E_NS1_11comp_targetILNS1_3genE5ELNS1_11target_archE942ELNS1_3gpuE9ELNS1_3repE0EEENS1_30default_config_static_selectorELNS0_4arch9wavefront6targetE0EEEvT1_.uses_vcc, 0
	.set _ZN7rocprim17ROCPRIM_400000_NS6detail17trampoline_kernelINS0_14default_configENS1_25transform_config_selectorIlLb0EEEZNS1_14transform_implILb0ES3_S5_NS0_18transform_iteratorINS0_17counting_iteratorImlEEZNS1_24adjacent_difference_implIS3_Lb1ELb0EPlSB_ZN2at6native12_GLOBAL__N_124unique_dim_cuda_templateIiEESt5tupleIJNSC_6TensorESH_SH_EERKSH_lbbbEUlllE1_EE10hipError_tPvRmT2_T3_mT4_P12ihipStream_tbEUlmE_lEESB_NS0_8identityIvEEEESM_SP_SQ_mSR_ST_bEUlT_E_NS1_11comp_targetILNS1_3genE5ELNS1_11target_archE942ELNS1_3gpuE9ELNS1_3repE0EEENS1_30default_config_static_selectorELNS0_4arch9wavefront6targetE0EEEvT1_.uses_flat_scratch, 0
	.set _ZN7rocprim17ROCPRIM_400000_NS6detail17trampoline_kernelINS0_14default_configENS1_25transform_config_selectorIlLb0EEEZNS1_14transform_implILb0ES3_S5_NS0_18transform_iteratorINS0_17counting_iteratorImlEEZNS1_24adjacent_difference_implIS3_Lb1ELb0EPlSB_ZN2at6native12_GLOBAL__N_124unique_dim_cuda_templateIiEESt5tupleIJNSC_6TensorESH_SH_EERKSH_lbbbEUlllE1_EE10hipError_tPvRmT2_T3_mT4_P12ihipStream_tbEUlmE_lEESB_NS0_8identityIvEEEESM_SP_SQ_mSR_ST_bEUlT_E_NS1_11comp_targetILNS1_3genE5ELNS1_11target_archE942ELNS1_3gpuE9ELNS1_3repE0EEENS1_30default_config_static_selectorELNS0_4arch9wavefront6targetE0EEEvT1_.has_dyn_sized_stack, 0
	.set _ZN7rocprim17ROCPRIM_400000_NS6detail17trampoline_kernelINS0_14default_configENS1_25transform_config_selectorIlLb0EEEZNS1_14transform_implILb0ES3_S5_NS0_18transform_iteratorINS0_17counting_iteratorImlEEZNS1_24adjacent_difference_implIS3_Lb1ELb0EPlSB_ZN2at6native12_GLOBAL__N_124unique_dim_cuda_templateIiEESt5tupleIJNSC_6TensorESH_SH_EERKSH_lbbbEUlllE1_EE10hipError_tPvRmT2_T3_mT4_P12ihipStream_tbEUlmE_lEESB_NS0_8identityIvEEEESM_SP_SQ_mSR_ST_bEUlT_E_NS1_11comp_targetILNS1_3genE5ELNS1_11target_archE942ELNS1_3gpuE9ELNS1_3repE0EEENS1_30default_config_static_selectorELNS0_4arch9wavefront6targetE0EEEvT1_.has_recursion, 0
	.set _ZN7rocprim17ROCPRIM_400000_NS6detail17trampoline_kernelINS0_14default_configENS1_25transform_config_selectorIlLb0EEEZNS1_14transform_implILb0ES3_S5_NS0_18transform_iteratorINS0_17counting_iteratorImlEEZNS1_24adjacent_difference_implIS3_Lb1ELb0EPlSB_ZN2at6native12_GLOBAL__N_124unique_dim_cuda_templateIiEESt5tupleIJNSC_6TensorESH_SH_EERKSH_lbbbEUlllE1_EE10hipError_tPvRmT2_T3_mT4_P12ihipStream_tbEUlmE_lEESB_NS0_8identityIvEEEESM_SP_SQ_mSR_ST_bEUlT_E_NS1_11comp_targetILNS1_3genE5ELNS1_11target_archE942ELNS1_3gpuE9ELNS1_3repE0EEENS1_30default_config_static_selectorELNS0_4arch9wavefront6targetE0EEEvT1_.has_indirect_call, 0
	.section	.AMDGPU.csdata,"",@progbits
; Kernel info:
; codeLenInByte = 0
; TotalNumSgprs: 0
; NumVgprs: 0
; ScratchSize: 0
; MemoryBound: 0
; FloatMode: 240
; IeeeMode: 1
; LDSByteSize: 0 bytes/workgroup (compile time only)
; SGPRBlocks: 0
; VGPRBlocks: 0
; NumSGPRsForWavesPerEU: 1
; NumVGPRsForWavesPerEU: 1
; NamedBarCnt: 0
; Occupancy: 16
; WaveLimiterHint : 0
; COMPUTE_PGM_RSRC2:SCRATCH_EN: 0
; COMPUTE_PGM_RSRC2:USER_SGPR: 2
; COMPUTE_PGM_RSRC2:TRAP_HANDLER: 0
; COMPUTE_PGM_RSRC2:TGID_X_EN: 1
; COMPUTE_PGM_RSRC2:TGID_Y_EN: 0
; COMPUTE_PGM_RSRC2:TGID_Z_EN: 0
; COMPUTE_PGM_RSRC2:TIDIG_COMP_CNT: 0
	.section	.text._ZN7rocprim17ROCPRIM_400000_NS6detail17trampoline_kernelINS0_14default_configENS1_25transform_config_selectorIlLb0EEEZNS1_14transform_implILb0ES3_S5_NS0_18transform_iteratorINS0_17counting_iteratorImlEEZNS1_24adjacent_difference_implIS3_Lb1ELb0EPlSB_ZN2at6native12_GLOBAL__N_124unique_dim_cuda_templateIiEESt5tupleIJNSC_6TensorESH_SH_EERKSH_lbbbEUlllE1_EE10hipError_tPvRmT2_T3_mT4_P12ihipStream_tbEUlmE_lEESB_NS0_8identityIvEEEESM_SP_SQ_mSR_ST_bEUlT_E_NS1_11comp_targetILNS1_3genE4ELNS1_11target_archE910ELNS1_3gpuE8ELNS1_3repE0EEENS1_30default_config_static_selectorELNS0_4arch9wavefront6targetE0EEEvT1_,"axG",@progbits,_ZN7rocprim17ROCPRIM_400000_NS6detail17trampoline_kernelINS0_14default_configENS1_25transform_config_selectorIlLb0EEEZNS1_14transform_implILb0ES3_S5_NS0_18transform_iteratorINS0_17counting_iteratorImlEEZNS1_24adjacent_difference_implIS3_Lb1ELb0EPlSB_ZN2at6native12_GLOBAL__N_124unique_dim_cuda_templateIiEESt5tupleIJNSC_6TensorESH_SH_EERKSH_lbbbEUlllE1_EE10hipError_tPvRmT2_T3_mT4_P12ihipStream_tbEUlmE_lEESB_NS0_8identityIvEEEESM_SP_SQ_mSR_ST_bEUlT_E_NS1_11comp_targetILNS1_3genE4ELNS1_11target_archE910ELNS1_3gpuE8ELNS1_3repE0EEENS1_30default_config_static_selectorELNS0_4arch9wavefront6targetE0EEEvT1_,comdat
	.globl	_ZN7rocprim17ROCPRIM_400000_NS6detail17trampoline_kernelINS0_14default_configENS1_25transform_config_selectorIlLb0EEEZNS1_14transform_implILb0ES3_S5_NS0_18transform_iteratorINS0_17counting_iteratorImlEEZNS1_24adjacent_difference_implIS3_Lb1ELb0EPlSB_ZN2at6native12_GLOBAL__N_124unique_dim_cuda_templateIiEESt5tupleIJNSC_6TensorESH_SH_EERKSH_lbbbEUlllE1_EE10hipError_tPvRmT2_T3_mT4_P12ihipStream_tbEUlmE_lEESB_NS0_8identityIvEEEESM_SP_SQ_mSR_ST_bEUlT_E_NS1_11comp_targetILNS1_3genE4ELNS1_11target_archE910ELNS1_3gpuE8ELNS1_3repE0EEENS1_30default_config_static_selectorELNS0_4arch9wavefront6targetE0EEEvT1_ ; -- Begin function _ZN7rocprim17ROCPRIM_400000_NS6detail17trampoline_kernelINS0_14default_configENS1_25transform_config_selectorIlLb0EEEZNS1_14transform_implILb0ES3_S5_NS0_18transform_iteratorINS0_17counting_iteratorImlEEZNS1_24adjacent_difference_implIS3_Lb1ELb0EPlSB_ZN2at6native12_GLOBAL__N_124unique_dim_cuda_templateIiEESt5tupleIJNSC_6TensorESH_SH_EERKSH_lbbbEUlllE1_EE10hipError_tPvRmT2_T3_mT4_P12ihipStream_tbEUlmE_lEESB_NS0_8identityIvEEEESM_SP_SQ_mSR_ST_bEUlT_E_NS1_11comp_targetILNS1_3genE4ELNS1_11target_archE910ELNS1_3gpuE8ELNS1_3repE0EEENS1_30default_config_static_selectorELNS0_4arch9wavefront6targetE0EEEvT1_
	.p2align	8
	.type	_ZN7rocprim17ROCPRIM_400000_NS6detail17trampoline_kernelINS0_14default_configENS1_25transform_config_selectorIlLb0EEEZNS1_14transform_implILb0ES3_S5_NS0_18transform_iteratorINS0_17counting_iteratorImlEEZNS1_24adjacent_difference_implIS3_Lb1ELb0EPlSB_ZN2at6native12_GLOBAL__N_124unique_dim_cuda_templateIiEESt5tupleIJNSC_6TensorESH_SH_EERKSH_lbbbEUlllE1_EE10hipError_tPvRmT2_T3_mT4_P12ihipStream_tbEUlmE_lEESB_NS0_8identityIvEEEESM_SP_SQ_mSR_ST_bEUlT_E_NS1_11comp_targetILNS1_3genE4ELNS1_11target_archE910ELNS1_3gpuE8ELNS1_3repE0EEENS1_30default_config_static_selectorELNS0_4arch9wavefront6targetE0EEEvT1_,@function
_ZN7rocprim17ROCPRIM_400000_NS6detail17trampoline_kernelINS0_14default_configENS1_25transform_config_selectorIlLb0EEEZNS1_14transform_implILb0ES3_S5_NS0_18transform_iteratorINS0_17counting_iteratorImlEEZNS1_24adjacent_difference_implIS3_Lb1ELb0EPlSB_ZN2at6native12_GLOBAL__N_124unique_dim_cuda_templateIiEESt5tupleIJNSC_6TensorESH_SH_EERKSH_lbbbEUlllE1_EE10hipError_tPvRmT2_T3_mT4_P12ihipStream_tbEUlmE_lEESB_NS0_8identityIvEEEESM_SP_SQ_mSR_ST_bEUlT_E_NS1_11comp_targetILNS1_3genE4ELNS1_11target_archE910ELNS1_3gpuE8ELNS1_3repE0EEENS1_30default_config_static_selectorELNS0_4arch9wavefront6targetE0EEEvT1_: ; @_ZN7rocprim17ROCPRIM_400000_NS6detail17trampoline_kernelINS0_14default_configENS1_25transform_config_selectorIlLb0EEEZNS1_14transform_implILb0ES3_S5_NS0_18transform_iteratorINS0_17counting_iteratorImlEEZNS1_24adjacent_difference_implIS3_Lb1ELb0EPlSB_ZN2at6native12_GLOBAL__N_124unique_dim_cuda_templateIiEESt5tupleIJNSC_6TensorESH_SH_EERKSH_lbbbEUlllE1_EE10hipError_tPvRmT2_T3_mT4_P12ihipStream_tbEUlmE_lEESB_NS0_8identityIvEEEESM_SP_SQ_mSR_ST_bEUlT_E_NS1_11comp_targetILNS1_3genE4ELNS1_11target_archE910ELNS1_3gpuE8ELNS1_3repE0EEENS1_30default_config_static_selectorELNS0_4arch9wavefront6targetE0EEEvT1_
; %bb.0:
	.section	.rodata,"a",@progbits
	.p2align	6, 0x0
	.amdhsa_kernel _ZN7rocprim17ROCPRIM_400000_NS6detail17trampoline_kernelINS0_14default_configENS1_25transform_config_selectorIlLb0EEEZNS1_14transform_implILb0ES3_S5_NS0_18transform_iteratorINS0_17counting_iteratorImlEEZNS1_24adjacent_difference_implIS3_Lb1ELb0EPlSB_ZN2at6native12_GLOBAL__N_124unique_dim_cuda_templateIiEESt5tupleIJNSC_6TensorESH_SH_EERKSH_lbbbEUlllE1_EE10hipError_tPvRmT2_T3_mT4_P12ihipStream_tbEUlmE_lEESB_NS0_8identityIvEEEESM_SP_SQ_mSR_ST_bEUlT_E_NS1_11comp_targetILNS1_3genE4ELNS1_11target_archE910ELNS1_3gpuE8ELNS1_3repE0EEENS1_30default_config_static_selectorELNS0_4arch9wavefront6targetE0EEEvT1_
		.amdhsa_group_segment_fixed_size 0
		.amdhsa_private_segment_fixed_size 0
		.amdhsa_kernarg_size 56
		.amdhsa_user_sgpr_count 2
		.amdhsa_user_sgpr_dispatch_ptr 0
		.amdhsa_user_sgpr_queue_ptr 0
		.amdhsa_user_sgpr_kernarg_segment_ptr 1
		.amdhsa_user_sgpr_dispatch_id 0
		.amdhsa_user_sgpr_kernarg_preload_length 0
		.amdhsa_user_sgpr_kernarg_preload_offset 0
		.amdhsa_user_sgpr_private_segment_size 0
		.amdhsa_wavefront_size32 1
		.amdhsa_uses_dynamic_stack 0
		.amdhsa_enable_private_segment 0
		.amdhsa_system_sgpr_workgroup_id_x 1
		.amdhsa_system_sgpr_workgroup_id_y 0
		.amdhsa_system_sgpr_workgroup_id_z 0
		.amdhsa_system_sgpr_workgroup_info 0
		.amdhsa_system_vgpr_workitem_id 0
		.amdhsa_next_free_vgpr 1
		.amdhsa_next_free_sgpr 1
		.amdhsa_named_barrier_count 0
		.amdhsa_reserve_vcc 0
		.amdhsa_float_round_mode_32 0
		.amdhsa_float_round_mode_16_64 0
		.amdhsa_float_denorm_mode_32 3
		.amdhsa_float_denorm_mode_16_64 3
		.amdhsa_fp16_overflow 0
		.amdhsa_memory_ordered 1
		.amdhsa_forward_progress 1
		.amdhsa_inst_pref_size 0
		.amdhsa_round_robin_scheduling 0
		.amdhsa_exception_fp_ieee_invalid_op 0
		.amdhsa_exception_fp_denorm_src 0
		.amdhsa_exception_fp_ieee_div_zero 0
		.amdhsa_exception_fp_ieee_overflow 0
		.amdhsa_exception_fp_ieee_underflow 0
		.amdhsa_exception_fp_ieee_inexact 0
		.amdhsa_exception_int_div_zero 0
	.end_amdhsa_kernel
	.section	.text._ZN7rocprim17ROCPRIM_400000_NS6detail17trampoline_kernelINS0_14default_configENS1_25transform_config_selectorIlLb0EEEZNS1_14transform_implILb0ES3_S5_NS0_18transform_iteratorINS0_17counting_iteratorImlEEZNS1_24adjacent_difference_implIS3_Lb1ELb0EPlSB_ZN2at6native12_GLOBAL__N_124unique_dim_cuda_templateIiEESt5tupleIJNSC_6TensorESH_SH_EERKSH_lbbbEUlllE1_EE10hipError_tPvRmT2_T3_mT4_P12ihipStream_tbEUlmE_lEESB_NS0_8identityIvEEEESM_SP_SQ_mSR_ST_bEUlT_E_NS1_11comp_targetILNS1_3genE4ELNS1_11target_archE910ELNS1_3gpuE8ELNS1_3repE0EEENS1_30default_config_static_selectorELNS0_4arch9wavefront6targetE0EEEvT1_,"axG",@progbits,_ZN7rocprim17ROCPRIM_400000_NS6detail17trampoline_kernelINS0_14default_configENS1_25transform_config_selectorIlLb0EEEZNS1_14transform_implILb0ES3_S5_NS0_18transform_iteratorINS0_17counting_iteratorImlEEZNS1_24adjacent_difference_implIS3_Lb1ELb0EPlSB_ZN2at6native12_GLOBAL__N_124unique_dim_cuda_templateIiEESt5tupleIJNSC_6TensorESH_SH_EERKSH_lbbbEUlllE1_EE10hipError_tPvRmT2_T3_mT4_P12ihipStream_tbEUlmE_lEESB_NS0_8identityIvEEEESM_SP_SQ_mSR_ST_bEUlT_E_NS1_11comp_targetILNS1_3genE4ELNS1_11target_archE910ELNS1_3gpuE8ELNS1_3repE0EEENS1_30default_config_static_selectorELNS0_4arch9wavefront6targetE0EEEvT1_,comdat
.Lfunc_end426:
	.size	_ZN7rocprim17ROCPRIM_400000_NS6detail17trampoline_kernelINS0_14default_configENS1_25transform_config_selectorIlLb0EEEZNS1_14transform_implILb0ES3_S5_NS0_18transform_iteratorINS0_17counting_iteratorImlEEZNS1_24adjacent_difference_implIS3_Lb1ELb0EPlSB_ZN2at6native12_GLOBAL__N_124unique_dim_cuda_templateIiEESt5tupleIJNSC_6TensorESH_SH_EERKSH_lbbbEUlllE1_EE10hipError_tPvRmT2_T3_mT4_P12ihipStream_tbEUlmE_lEESB_NS0_8identityIvEEEESM_SP_SQ_mSR_ST_bEUlT_E_NS1_11comp_targetILNS1_3genE4ELNS1_11target_archE910ELNS1_3gpuE8ELNS1_3repE0EEENS1_30default_config_static_selectorELNS0_4arch9wavefront6targetE0EEEvT1_, .Lfunc_end426-_ZN7rocprim17ROCPRIM_400000_NS6detail17trampoline_kernelINS0_14default_configENS1_25transform_config_selectorIlLb0EEEZNS1_14transform_implILb0ES3_S5_NS0_18transform_iteratorINS0_17counting_iteratorImlEEZNS1_24adjacent_difference_implIS3_Lb1ELb0EPlSB_ZN2at6native12_GLOBAL__N_124unique_dim_cuda_templateIiEESt5tupleIJNSC_6TensorESH_SH_EERKSH_lbbbEUlllE1_EE10hipError_tPvRmT2_T3_mT4_P12ihipStream_tbEUlmE_lEESB_NS0_8identityIvEEEESM_SP_SQ_mSR_ST_bEUlT_E_NS1_11comp_targetILNS1_3genE4ELNS1_11target_archE910ELNS1_3gpuE8ELNS1_3repE0EEENS1_30default_config_static_selectorELNS0_4arch9wavefront6targetE0EEEvT1_
                                        ; -- End function
	.set _ZN7rocprim17ROCPRIM_400000_NS6detail17trampoline_kernelINS0_14default_configENS1_25transform_config_selectorIlLb0EEEZNS1_14transform_implILb0ES3_S5_NS0_18transform_iteratorINS0_17counting_iteratorImlEEZNS1_24adjacent_difference_implIS3_Lb1ELb0EPlSB_ZN2at6native12_GLOBAL__N_124unique_dim_cuda_templateIiEESt5tupleIJNSC_6TensorESH_SH_EERKSH_lbbbEUlllE1_EE10hipError_tPvRmT2_T3_mT4_P12ihipStream_tbEUlmE_lEESB_NS0_8identityIvEEEESM_SP_SQ_mSR_ST_bEUlT_E_NS1_11comp_targetILNS1_3genE4ELNS1_11target_archE910ELNS1_3gpuE8ELNS1_3repE0EEENS1_30default_config_static_selectorELNS0_4arch9wavefront6targetE0EEEvT1_.num_vgpr, 0
	.set _ZN7rocprim17ROCPRIM_400000_NS6detail17trampoline_kernelINS0_14default_configENS1_25transform_config_selectorIlLb0EEEZNS1_14transform_implILb0ES3_S5_NS0_18transform_iteratorINS0_17counting_iteratorImlEEZNS1_24adjacent_difference_implIS3_Lb1ELb0EPlSB_ZN2at6native12_GLOBAL__N_124unique_dim_cuda_templateIiEESt5tupleIJNSC_6TensorESH_SH_EERKSH_lbbbEUlllE1_EE10hipError_tPvRmT2_T3_mT4_P12ihipStream_tbEUlmE_lEESB_NS0_8identityIvEEEESM_SP_SQ_mSR_ST_bEUlT_E_NS1_11comp_targetILNS1_3genE4ELNS1_11target_archE910ELNS1_3gpuE8ELNS1_3repE0EEENS1_30default_config_static_selectorELNS0_4arch9wavefront6targetE0EEEvT1_.num_agpr, 0
	.set _ZN7rocprim17ROCPRIM_400000_NS6detail17trampoline_kernelINS0_14default_configENS1_25transform_config_selectorIlLb0EEEZNS1_14transform_implILb0ES3_S5_NS0_18transform_iteratorINS0_17counting_iteratorImlEEZNS1_24adjacent_difference_implIS3_Lb1ELb0EPlSB_ZN2at6native12_GLOBAL__N_124unique_dim_cuda_templateIiEESt5tupleIJNSC_6TensorESH_SH_EERKSH_lbbbEUlllE1_EE10hipError_tPvRmT2_T3_mT4_P12ihipStream_tbEUlmE_lEESB_NS0_8identityIvEEEESM_SP_SQ_mSR_ST_bEUlT_E_NS1_11comp_targetILNS1_3genE4ELNS1_11target_archE910ELNS1_3gpuE8ELNS1_3repE0EEENS1_30default_config_static_selectorELNS0_4arch9wavefront6targetE0EEEvT1_.numbered_sgpr, 0
	.set _ZN7rocprim17ROCPRIM_400000_NS6detail17trampoline_kernelINS0_14default_configENS1_25transform_config_selectorIlLb0EEEZNS1_14transform_implILb0ES3_S5_NS0_18transform_iteratorINS0_17counting_iteratorImlEEZNS1_24adjacent_difference_implIS3_Lb1ELb0EPlSB_ZN2at6native12_GLOBAL__N_124unique_dim_cuda_templateIiEESt5tupleIJNSC_6TensorESH_SH_EERKSH_lbbbEUlllE1_EE10hipError_tPvRmT2_T3_mT4_P12ihipStream_tbEUlmE_lEESB_NS0_8identityIvEEEESM_SP_SQ_mSR_ST_bEUlT_E_NS1_11comp_targetILNS1_3genE4ELNS1_11target_archE910ELNS1_3gpuE8ELNS1_3repE0EEENS1_30default_config_static_selectorELNS0_4arch9wavefront6targetE0EEEvT1_.num_named_barrier, 0
	.set _ZN7rocprim17ROCPRIM_400000_NS6detail17trampoline_kernelINS0_14default_configENS1_25transform_config_selectorIlLb0EEEZNS1_14transform_implILb0ES3_S5_NS0_18transform_iteratorINS0_17counting_iteratorImlEEZNS1_24adjacent_difference_implIS3_Lb1ELb0EPlSB_ZN2at6native12_GLOBAL__N_124unique_dim_cuda_templateIiEESt5tupleIJNSC_6TensorESH_SH_EERKSH_lbbbEUlllE1_EE10hipError_tPvRmT2_T3_mT4_P12ihipStream_tbEUlmE_lEESB_NS0_8identityIvEEEESM_SP_SQ_mSR_ST_bEUlT_E_NS1_11comp_targetILNS1_3genE4ELNS1_11target_archE910ELNS1_3gpuE8ELNS1_3repE0EEENS1_30default_config_static_selectorELNS0_4arch9wavefront6targetE0EEEvT1_.private_seg_size, 0
	.set _ZN7rocprim17ROCPRIM_400000_NS6detail17trampoline_kernelINS0_14default_configENS1_25transform_config_selectorIlLb0EEEZNS1_14transform_implILb0ES3_S5_NS0_18transform_iteratorINS0_17counting_iteratorImlEEZNS1_24adjacent_difference_implIS3_Lb1ELb0EPlSB_ZN2at6native12_GLOBAL__N_124unique_dim_cuda_templateIiEESt5tupleIJNSC_6TensorESH_SH_EERKSH_lbbbEUlllE1_EE10hipError_tPvRmT2_T3_mT4_P12ihipStream_tbEUlmE_lEESB_NS0_8identityIvEEEESM_SP_SQ_mSR_ST_bEUlT_E_NS1_11comp_targetILNS1_3genE4ELNS1_11target_archE910ELNS1_3gpuE8ELNS1_3repE0EEENS1_30default_config_static_selectorELNS0_4arch9wavefront6targetE0EEEvT1_.uses_vcc, 0
	.set _ZN7rocprim17ROCPRIM_400000_NS6detail17trampoline_kernelINS0_14default_configENS1_25transform_config_selectorIlLb0EEEZNS1_14transform_implILb0ES3_S5_NS0_18transform_iteratorINS0_17counting_iteratorImlEEZNS1_24adjacent_difference_implIS3_Lb1ELb0EPlSB_ZN2at6native12_GLOBAL__N_124unique_dim_cuda_templateIiEESt5tupleIJNSC_6TensorESH_SH_EERKSH_lbbbEUlllE1_EE10hipError_tPvRmT2_T3_mT4_P12ihipStream_tbEUlmE_lEESB_NS0_8identityIvEEEESM_SP_SQ_mSR_ST_bEUlT_E_NS1_11comp_targetILNS1_3genE4ELNS1_11target_archE910ELNS1_3gpuE8ELNS1_3repE0EEENS1_30default_config_static_selectorELNS0_4arch9wavefront6targetE0EEEvT1_.uses_flat_scratch, 0
	.set _ZN7rocprim17ROCPRIM_400000_NS6detail17trampoline_kernelINS0_14default_configENS1_25transform_config_selectorIlLb0EEEZNS1_14transform_implILb0ES3_S5_NS0_18transform_iteratorINS0_17counting_iteratorImlEEZNS1_24adjacent_difference_implIS3_Lb1ELb0EPlSB_ZN2at6native12_GLOBAL__N_124unique_dim_cuda_templateIiEESt5tupleIJNSC_6TensorESH_SH_EERKSH_lbbbEUlllE1_EE10hipError_tPvRmT2_T3_mT4_P12ihipStream_tbEUlmE_lEESB_NS0_8identityIvEEEESM_SP_SQ_mSR_ST_bEUlT_E_NS1_11comp_targetILNS1_3genE4ELNS1_11target_archE910ELNS1_3gpuE8ELNS1_3repE0EEENS1_30default_config_static_selectorELNS0_4arch9wavefront6targetE0EEEvT1_.has_dyn_sized_stack, 0
	.set _ZN7rocprim17ROCPRIM_400000_NS6detail17trampoline_kernelINS0_14default_configENS1_25transform_config_selectorIlLb0EEEZNS1_14transform_implILb0ES3_S5_NS0_18transform_iteratorINS0_17counting_iteratorImlEEZNS1_24adjacent_difference_implIS3_Lb1ELb0EPlSB_ZN2at6native12_GLOBAL__N_124unique_dim_cuda_templateIiEESt5tupleIJNSC_6TensorESH_SH_EERKSH_lbbbEUlllE1_EE10hipError_tPvRmT2_T3_mT4_P12ihipStream_tbEUlmE_lEESB_NS0_8identityIvEEEESM_SP_SQ_mSR_ST_bEUlT_E_NS1_11comp_targetILNS1_3genE4ELNS1_11target_archE910ELNS1_3gpuE8ELNS1_3repE0EEENS1_30default_config_static_selectorELNS0_4arch9wavefront6targetE0EEEvT1_.has_recursion, 0
	.set _ZN7rocprim17ROCPRIM_400000_NS6detail17trampoline_kernelINS0_14default_configENS1_25transform_config_selectorIlLb0EEEZNS1_14transform_implILb0ES3_S5_NS0_18transform_iteratorINS0_17counting_iteratorImlEEZNS1_24adjacent_difference_implIS3_Lb1ELb0EPlSB_ZN2at6native12_GLOBAL__N_124unique_dim_cuda_templateIiEESt5tupleIJNSC_6TensorESH_SH_EERKSH_lbbbEUlllE1_EE10hipError_tPvRmT2_T3_mT4_P12ihipStream_tbEUlmE_lEESB_NS0_8identityIvEEEESM_SP_SQ_mSR_ST_bEUlT_E_NS1_11comp_targetILNS1_3genE4ELNS1_11target_archE910ELNS1_3gpuE8ELNS1_3repE0EEENS1_30default_config_static_selectorELNS0_4arch9wavefront6targetE0EEEvT1_.has_indirect_call, 0
	.section	.AMDGPU.csdata,"",@progbits
; Kernel info:
; codeLenInByte = 0
; TotalNumSgprs: 0
; NumVgprs: 0
; ScratchSize: 0
; MemoryBound: 0
; FloatMode: 240
; IeeeMode: 1
; LDSByteSize: 0 bytes/workgroup (compile time only)
; SGPRBlocks: 0
; VGPRBlocks: 0
; NumSGPRsForWavesPerEU: 1
; NumVGPRsForWavesPerEU: 1
; NamedBarCnt: 0
; Occupancy: 16
; WaveLimiterHint : 0
; COMPUTE_PGM_RSRC2:SCRATCH_EN: 0
; COMPUTE_PGM_RSRC2:USER_SGPR: 2
; COMPUTE_PGM_RSRC2:TRAP_HANDLER: 0
; COMPUTE_PGM_RSRC2:TGID_X_EN: 1
; COMPUTE_PGM_RSRC2:TGID_Y_EN: 0
; COMPUTE_PGM_RSRC2:TGID_Z_EN: 0
; COMPUTE_PGM_RSRC2:TIDIG_COMP_CNT: 0
	.section	.text._ZN7rocprim17ROCPRIM_400000_NS6detail17trampoline_kernelINS0_14default_configENS1_25transform_config_selectorIlLb0EEEZNS1_14transform_implILb0ES3_S5_NS0_18transform_iteratorINS0_17counting_iteratorImlEEZNS1_24adjacent_difference_implIS3_Lb1ELb0EPlSB_ZN2at6native12_GLOBAL__N_124unique_dim_cuda_templateIiEESt5tupleIJNSC_6TensorESH_SH_EERKSH_lbbbEUlllE1_EE10hipError_tPvRmT2_T3_mT4_P12ihipStream_tbEUlmE_lEESB_NS0_8identityIvEEEESM_SP_SQ_mSR_ST_bEUlT_E_NS1_11comp_targetILNS1_3genE3ELNS1_11target_archE908ELNS1_3gpuE7ELNS1_3repE0EEENS1_30default_config_static_selectorELNS0_4arch9wavefront6targetE0EEEvT1_,"axG",@progbits,_ZN7rocprim17ROCPRIM_400000_NS6detail17trampoline_kernelINS0_14default_configENS1_25transform_config_selectorIlLb0EEEZNS1_14transform_implILb0ES3_S5_NS0_18transform_iteratorINS0_17counting_iteratorImlEEZNS1_24adjacent_difference_implIS3_Lb1ELb0EPlSB_ZN2at6native12_GLOBAL__N_124unique_dim_cuda_templateIiEESt5tupleIJNSC_6TensorESH_SH_EERKSH_lbbbEUlllE1_EE10hipError_tPvRmT2_T3_mT4_P12ihipStream_tbEUlmE_lEESB_NS0_8identityIvEEEESM_SP_SQ_mSR_ST_bEUlT_E_NS1_11comp_targetILNS1_3genE3ELNS1_11target_archE908ELNS1_3gpuE7ELNS1_3repE0EEENS1_30default_config_static_selectorELNS0_4arch9wavefront6targetE0EEEvT1_,comdat
	.globl	_ZN7rocprim17ROCPRIM_400000_NS6detail17trampoline_kernelINS0_14default_configENS1_25transform_config_selectorIlLb0EEEZNS1_14transform_implILb0ES3_S5_NS0_18transform_iteratorINS0_17counting_iteratorImlEEZNS1_24adjacent_difference_implIS3_Lb1ELb0EPlSB_ZN2at6native12_GLOBAL__N_124unique_dim_cuda_templateIiEESt5tupleIJNSC_6TensorESH_SH_EERKSH_lbbbEUlllE1_EE10hipError_tPvRmT2_T3_mT4_P12ihipStream_tbEUlmE_lEESB_NS0_8identityIvEEEESM_SP_SQ_mSR_ST_bEUlT_E_NS1_11comp_targetILNS1_3genE3ELNS1_11target_archE908ELNS1_3gpuE7ELNS1_3repE0EEENS1_30default_config_static_selectorELNS0_4arch9wavefront6targetE0EEEvT1_ ; -- Begin function _ZN7rocprim17ROCPRIM_400000_NS6detail17trampoline_kernelINS0_14default_configENS1_25transform_config_selectorIlLb0EEEZNS1_14transform_implILb0ES3_S5_NS0_18transform_iteratorINS0_17counting_iteratorImlEEZNS1_24adjacent_difference_implIS3_Lb1ELb0EPlSB_ZN2at6native12_GLOBAL__N_124unique_dim_cuda_templateIiEESt5tupleIJNSC_6TensorESH_SH_EERKSH_lbbbEUlllE1_EE10hipError_tPvRmT2_T3_mT4_P12ihipStream_tbEUlmE_lEESB_NS0_8identityIvEEEESM_SP_SQ_mSR_ST_bEUlT_E_NS1_11comp_targetILNS1_3genE3ELNS1_11target_archE908ELNS1_3gpuE7ELNS1_3repE0EEENS1_30default_config_static_selectorELNS0_4arch9wavefront6targetE0EEEvT1_
	.p2align	8
	.type	_ZN7rocprim17ROCPRIM_400000_NS6detail17trampoline_kernelINS0_14default_configENS1_25transform_config_selectorIlLb0EEEZNS1_14transform_implILb0ES3_S5_NS0_18transform_iteratorINS0_17counting_iteratorImlEEZNS1_24adjacent_difference_implIS3_Lb1ELb0EPlSB_ZN2at6native12_GLOBAL__N_124unique_dim_cuda_templateIiEESt5tupleIJNSC_6TensorESH_SH_EERKSH_lbbbEUlllE1_EE10hipError_tPvRmT2_T3_mT4_P12ihipStream_tbEUlmE_lEESB_NS0_8identityIvEEEESM_SP_SQ_mSR_ST_bEUlT_E_NS1_11comp_targetILNS1_3genE3ELNS1_11target_archE908ELNS1_3gpuE7ELNS1_3repE0EEENS1_30default_config_static_selectorELNS0_4arch9wavefront6targetE0EEEvT1_,@function
_ZN7rocprim17ROCPRIM_400000_NS6detail17trampoline_kernelINS0_14default_configENS1_25transform_config_selectorIlLb0EEEZNS1_14transform_implILb0ES3_S5_NS0_18transform_iteratorINS0_17counting_iteratorImlEEZNS1_24adjacent_difference_implIS3_Lb1ELb0EPlSB_ZN2at6native12_GLOBAL__N_124unique_dim_cuda_templateIiEESt5tupleIJNSC_6TensorESH_SH_EERKSH_lbbbEUlllE1_EE10hipError_tPvRmT2_T3_mT4_P12ihipStream_tbEUlmE_lEESB_NS0_8identityIvEEEESM_SP_SQ_mSR_ST_bEUlT_E_NS1_11comp_targetILNS1_3genE3ELNS1_11target_archE908ELNS1_3gpuE7ELNS1_3repE0EEENS1_30default_config_static_selectorELNS0_4arch9wavefront6targetE0EEEvT1_: ; @_ZN7rocprim17ROCPRIM_400000_NS6detail17trampoline_kernelINS0_14default_configENS1_25transform_config_selectorIlLb0EEEZNS1_14transform_implILb0ES3_S5_NS0_18transform_iteratorINS0_17counting_iteratorImlEEZNS1_24adjacent_difference_implIS3_Lb1ELb0EPlSB_ZN2at6native12_GLOBAL__N_124unique_dim_cuda_templateIiEESt5tupleIJNSC_6TensorESH_SH_EERKSH_lbbbEUlllE1_EE10hipError_tPvRmT2_T3_mT4_P12ihipStream_tbEUlmE_lEESB_NS0_8identityIvEEEESM_SP_SQ_mSR_ST_bEUlT_E_NS1_11comp_targetILNS1_3genE3ELNS1_11target_archE908ELNS1_3gpuE7ELNS1_3repE0EEENS1_30default_config_static_selectorELNS0_4arch9wavefront6targetE0EEEvT1_
; %bb.0:
	.section	.rodata,"a",@progbits
	.p2align	6, 0x0
	.amdhsa_kernel _ZN7rocprim17ROCPRIM_400000_NS6detail17trampoline_kernelINS0_14default_configENS1_25transform_config_selectorIlLb0EEEZNS1_14transform_implILb0ES3_S5_NS0_18transform_iteratorINS0_17counting_iteratorImlEEZNS1_24adjacent_difference_implIS3_Lb1ELb0EPlSB_ZN2at6native12_GLOBAL__N_124unique_dim_cuda_templateIiEESt5tupleIJNSC_6TensorESH_SH_EERKSH_lbbbEUlllE1_EE10hipError_tPvRmT2_T3_mT4_P12ihipStream_tbEUlmE_lEESB_NS0_8identityIvEEEESM_SP_SQ_mSR_ST_bEUlT_E_NS1_11comp_targetILNS1_3genE3ELNS1_11target_archE908ELNS1_3gpuE7ELNS1_3repE0EEENS1_30default_config_static_selectorELNS0_4arch9wavefront6targetE0EEEvT1_
		.amdhsa_group_segment_fixed_size 0
		.amdhsa_private_segment_fixed_size 0
		.amdhsa_kernarg_size 56
		.amdhsa_user_sgpr_count 2
		.amdhsa_user_sgpr_dispatch_ptr 0
		.amdhsa_user_sgpr_queue_ptr 0
		.amdhsa_user_sgpr_kernarg_segment_ptr 1
		.amdhsa_user_sgpr_dispatch_id 0
		.amdhsa_user_sgpr_kernarg_preload_length 0
		.amdhsa_user_sgpr_kernarg_preload_offset 0
		.amdhsa_user_sgpr_private_segment_size 0
		.amdhsa_wavefront_size32 1
		.amdhsa_uses_dynamic_stack 0
		.amdhsa_enable_private_segment 0
		.amdhsa_system_sgpr_workgroup_id_x 1
		.amdhsa_system_sgpr_workgroup_id_y 0
		.amdhsa_system_sgpr_workgroup_id_z 0
		.amdhsa_system_sgpr_workgroup_info 0
		.amdhsa_system_vgpr_workitem_id 0
		.amdhsa_next_free_vgpr 1
		.amdhsa_next_free_sgpr 1
		.amdhsa_named_barrier_count 0
		.amdhsa_reserve_vcc 0
		.amdhsa_float_round_mode_32 0
		.amdhsa_float_round_mode_16_64 0
		.amdhsa_float_denorm_mode_32 3
		.amdhsa_float_denorm_mode_16_64 3
		.amdhsa_fp16_overflow 0
		.amdhsa_memory_ordered 1
		.amdhsa_forward_progress 1
		.amdhsa_inst_pref_size 0
		.amdhsa_round_robin_scheduling 0
		.amdhsa_exception_fp_ieee_invalid_op 0
		.amdhsa_exception_fp_denorm_src 0
		.amdhsa_exception_fp_ieee_div_zero 0
		.amdhsa_exception_fp_ieee_overflow 0
		.amdhsa_exception_fp_ieee_underflow 0
		.amdhsa_exception_fp_ieee_inexact 0
		.amdhsa_exception_int_div_zero 0
	.end_amdhsa_kernel
	.section	.text._ZN7rocprim17ROCPRIM_400000_NS6detail17trampoline_kernelINS0_14default_configENS1_25transform_config_selectorIlLb0EEEZNS1_14transform_implILb0ES3_S5_NS0_18transform_iteratorINS0_17counting_iteratorImlEEZNS1_24adjacent_difference_implIS3_Lb1ELb0EPlSB_ZN2at6native12_GLOBAL__N_124unique_dim_cuda_templateIiEESt5tupleIJNSC_6TensorESH_SH_EERKSH_lbbbEUlllE1_EE10hipError_tPvRmT2_T3_mT4_P12ihipStream_tbEUlmE_lEESB_NS0_8identityIvEEEESM_SP_SQ_mSR_ST_bEUlT_E_NS1_11comp_targetILNS1_3genE3ELNS1_11target_archE908ELNS1_3gpuE7ELNS1_3repE0EEENS1_30default_config_static_selectorELNS0_4arch9wavefront6targetE0EEEvT1_,"axG",@progbits,_ZN7rocprim17ROCPRIM_400000_NS6detail17trampoline_kernelINS0_14default_configENS1_25transform_config_selectorIlLb0EEEZNS1_14transform_implILb0ES3_S5_NS0_18transform_iteratorINS0_17counting_iteratorImlEEZNS1_24adjacent_difference_implIS3_Lb1ELb0EPlSB_ZN2at6native12_GLOBAL__N_124unique_dim_cuda_templateIiEESt5tupleIJNSC_6TensorESH_SH_EERKSH_lbbbEUlllE1_EE10hipError_tPvRmT2_T3_mT4_P12ihipStream_tbEUlmE_lEESB_NS0_8identityIvEEEESM_SP_SQ_mSR_ST_bEUlT_E_NS1_11comp_targetILNS1_3genE3ELNS1_11target_archE908ELNS1_3gpuE7ELNS1_3repE0EEENS1_30default_config_static_selectorELNS0_4arch9wavefront6targetE0EEEvT1_,comdat
.Lfunc_end427:
	.size	_ZN7rocprim17ROCPRIM_400000_NS6detail17trampoline_kernelINS0_14default_configENS1_25transform_config_selectorIlLb0EEEZNS1_14transform_implILb0ES3_S5_NS0_18transform_iteratorINS0_17counting_iteratorImlEEZNS1_24adjacent_difference_implIS3_Lb1ELb0EPlSB_ZN2at6native12_GLOBAL__N_124unique_dim_cuda_templateIiEESt5tupleIJNSC_6TensorESH_SH_EERKSH_lbbbEUlllE1_EE10hipError_tPvRmT2_T3_mT4_P12ihipStream_tbEUlmE_lEESB_NS0_8identityIvEEEESM_SP_SQ_mSR_ST_bEUlT_E_NS1_11comp_targetILNS1_3genE3ELNS1_11target_archE908ELNS1_3gpuE7ELNS1_3repE0EEENS1_30default_config_static_selectorELNS0_4arch9wavefront6targetE0EEEvT1_, .Lfunc_end427-_ZN7rocprim17ROCPRIM_400000_NS6detail17trampoline_kernelINS0_14default_configENS1_25transform_config_selectorIlLb0EEEZNS1_14transform_implILb0ES3_S5_NS0_18transform_iteratorINS0_17counting_iteratorImlEEZNS1_24adjacent_difference_implIS3_Lb1ELb0EPlSB_ZN2at6native12_GLOBAL__N_124unique_dim_cuda_templateIiEESt5tupleIJNSC_6TensorESH_SH_EERKSH_lbbbEUlllE1_EE10hipError_tPvRmT2_T3_mT4_P12ihipStream_tbEUlmE_lEESB_NS0_8identityIvEEEESM_SP_SQ_mSR_ST_bEUlT_E_NS1_11comp_targetILNS1_3genE3ELNS1_11target_archE908ELNS1_3gpuE7ELNS1_3repE0EEENS1_30default_config_static_selectorELNS0_4arch9wavefront6targetE0EEEvT1_
                                        ; -- End function
	.set _ZN7rocprim17ROCPRIM_400000_NS6detail17trampoline_kernelINS0_14default_configENS1_25transform_config_selectorIlLb0EEEZNS1_14transform_implILb0ES3_S5_NS0_18transform_iteratorINS0_17counting_iteratorImlEEZNS1_24adjacent_difference_implIS3_Lb1ELb0EPlSB_ZN2at6native12_GLOBAL__N_124unique_dim_cuda_templateIiEESt5tupleIJNSC_6TensorESH_SH_EERKSH_lbbbEUlllE1_EE10hipError_tPvRmT2_T3_mT4_P12ihipStream_tbEUlmE_lEESB_NS0_8identityIvEEEESM_SP_SQ_mSR_ST_bEUlT_E_NS1_11comp_targetILNS1_3genE3ELNS1_11target_archE908ELNS1_3gpuE7ELNS1_3repE0EEENS1_30default_config_static_selectorELNS0_4arch9wavefront6targetE0EEEvT1_.num_vgpr, 0
	.set _ZN7rocprim17ROCPRIM_400000_NS6detail17trampoline_kernelINS0_14default_configENS1_25transform_config_selectorIlLb0EEEZNS1_14transform_implILb0ES3_S5_NS0_18transform_iteratorINS0_17counting_iteratorImlEEZNS1_24adjacent_difference_implIS3_Lb1ELb0EPlSB_ZN2at6native12_GLOBAL__N_124unique_dim_cuda_templateIiEESt5tupleIJNSC_6TensorESH_SH_EERKSH_lbbbEUlllE1_EE10hipError_tPvRmT2_T3_mT4_P12ihipStream_tbEUlmE_lEESB_NS0_8identityIvEEEESM_SP_SQ_mSR_ST_bEUlT_E_NS1_11comp_targetILNS1_3genE3ELNS1_11target_archE908ELNS1_3gpuE7ELNS1_3repE0EEENS1_30default_config_static_selectorELNS0_4arch9wavefront6targetE0EEEvT1_.num_agpr, 0
	.set _ZN7rocprim17ROCPRIM_400000_NS6detail17trampoline_kernelINS0_14default_configENS1_25transform_config_selectorIlLb0EEEZNS1_14transform_implILb0ES3_S5_NS0_18transform_iteratorINS0_17counting_iteratorImlEEZNS1_24adjacent_difference_implIS3_Lb1ELb0EPlSB_ZN2at6native12_GLOBAL__N_124unique_dim_cuda_templateIiEESt5tupleIJNSC_6TensorESH_SH_EERKSH_lbbbEUlllE1_EE10hipError_tPvRmT2_T3_mT4_P12ihipStream_tbEUlmE_lEESB_NS0_8identityIvEEEESM_SP_SQ_mSR_ST_bEUlT_E_NS1_11comp_targetILNS1_3genE3ELNS1_11target_archE908ELNS1_3gpuE7ELNS1_3repE0EEENS1_30default_config_static_selectorELNS0_4arch9wavefront6targetE0EEEvT1_.numbered_sgpr, 0
	.set _ZN7rocprim17ROCPRIM_400000_NS6detail17trampoline_kernelINS0_14default_configENS1_25transform_config_selectorIlLb0EEEZNS1_14transform_implILb0ES3_S5_NS0_18transform_iteratorINS0_17counting_iteratorImlEEZNS1_24adjacent_difference_implIS3_Lb1ELb0EPlSB_ZN2at6native12_GLOBAL__N_124unique_dim_cuda_templateIiEESt5tupleIJNSC_6TensorESH_SH_EERKSH_lbbbEUlllE1_EE10hipError_tPvRmT2_T3_mT4_P12ihipStream_tbEUlmE_lEESB_NS0_8identityIvEEEESM_SP_SQ_mSR_ST_bEUlT_E_NS1_11comp_targetILNS1_3genE3ELNS1_11target_archE908ELNS1_3gpuE7ELNS1_3repE0EEENS1_30default_config_static_selectorELNS0_4arch9wavefront6targetE0EEEvT1_.num_named_barrier, 0
	.set _ZN7rocprim17ROCPRIM_400000_NS6detail17trampoline_kernelINS0_14default_configENS1_25transform_config_selectorIlLb0EEEZNS1_14transform_implILb0ES3_S5_NS0_18transform_iteratorINS0_17counting_iteratorImlEEZNS1_24adjacent_difference_implIS3_Lb1ELb0EPlSB_ZN2at6native12_GLOBAL__N_124unique_dim_cuda_templateIiEESt5tupleIJNSC_6TensorESH_SH_EERKSH_lbbbEUlllE1_EE10hipError_tPvRmT2_T3_mT4_P12ihipStream_tbEUlmE_lEESB_NS0_8identityIvEEEESM_SP_SQ_mSR_ST_bEUlT_E_NS1_11comp_targetILNS1_3genE3ELNS1_11target_archE908ELNS1_3gpuE7ELNS1_3repE0EEENS1_30default_config_static_selectorELNS0_4arch9wavefront6targetE0EEEvT1_.private_seg_size, 0
	.set _ZN7rocprim17ROCPRIM_400000_NS6detail17trampoline_kernelINS0_14default_configENS1_25transform_config_selectorIlLb0EEEZNS1_14transform_implILb0ES3_S5_NS0_18transform_iteratorINS0_17counting_iteratorImlEEZNS1_24adjacent_difference_implIS3_Lb1ELb0EPlSB_ZN2at6native12_GLOBAL__N_124unique_dim_cuda_templateIiEESt5tupleIJNSC_6TensorESH_SH_EERKSH_lbbbEUlllE1_EE10hipError_tPvRmT2_T3_mT4_P12ihipStream_tbEUlmE_lEESB_NS0_8identityIvEEEESM_SP_SQ_mSR_ST_bEUlT_E_NS1_11comp_targetILNS1_3genE3ELNS1_11target_archE908ELNS1_3gpuE7ELNS1_3repE0EEENS1_30default_config_static_selectorELNS0_4arch9wavefront6targetE0EEEvT1_.uses_vcc, 0
	.set _ZN7rocprim17ROCPRIM_400000_NS6detail17trampoline_kernelINS0_14default_configENS1_25transform_config_selectorIlLb0EEEZNS1_14transform_implILb0ES3_S5_NS0_18transform_iteratorINS0_17counting_iteratorImlEEZNS1_24adjacent_difference_implIS3_Lb1ELb0EPlSB_ZN2at6native12_GLOBAL__N_124unique_dim_cuda_templateIiEESt5tupleIJNSC_6TensorESH_SH_EERKSH_lbbbEUlllE1_EE10hipError_tPvRmT2_T3_mT4_P12ihipStream_tbEUlmE_lEESB_NS0_8identityIvEEEESM_SP_SQ_mSR_ST_bEUlT_E_NS1_11comp_targetILNS1_3genE3ELNS1_11target_archE908ELNS1_3gpuE7ELNS1_3repE0EEENS1_30default_config_static_selectorELNS0_4arch9wavefront6targetE0EEEvT1_.uses_flat_scratch, 0
	.set _ZN7rocprim17ROCPRIM_400000_NS6detail17trampoline_kernelINS0_14default_configENS1_25transform_config_selectorIlLb0EEEZNS1_14transform_implILb0ES3_S5_NS0_18transform_iteratorINS0_17counting_iteratorImlEEZNS1_24adjacent_difference_implIS3_Lb1ELb0EPlSB_ZN2at6native12_GLOBAL__N_124unique_dim_cuda_templateIiEESt5tupleIJNSC_6TensorESH_SH_EERKSH_lbbbEUlllE1_EE10hipError_tPvRmT2_T3_mT4_P12ihipStream_tbEUlmE_lEESB_NS0_8identityIvEEEESM_SP_SQ_mSR_ST_bEUlT_E_NS1_11comp_targetILNS1_3genE3ELNS1_11target_archE908ELNS1_3gpuE7ELNS1_3repE0EEENS1_30default_config_static_selectorELNS0_4arch9wavefront6targetE0EEEvT1_.has_dyn_sized_stack, 0
	.set _ZN7rocprim17ROCPRIM_400000_NS6detail17trampoline_kernelINS0_14default_configENS1_25transform_config_selectorIlLb0EEEZNS1_14transform_implILb0ES3_S5_NS0_18transform_iteratorINS0_17counting_iteratorImlEEZNS1_24adjacent_difference_implIS3_Lb1ELb0EPlSB_ZN2at6native12_GLOBAL__N_124unique_dim_cuda_templateIiEESt5tupleIJNSC_6TensorESH_SH_EERKSH_lbbbEUlllE1_EE10hipError_tPvRmT2_T3_mT4_P12ihipStream_tbEUlmE_lEESB_NS0_8identityIvEEEESM_SP_SQ_mSR_ST_bEUlT_E_NS1_11comp_targetILNS1_3genE3ELNS1_11target_archE908ELNS1_3gpuE7ELNS1_3repE0EEENS1_30default_config_static_selectorELNS0_4arch9wavefront6targetE0EEEvT1_.has_recursion, 0
	.set _ZN7rocprim17ROCPRIM_400000_NS6detail17trampoline_kernelINS0_14default_configENS1_25transform_config_selectorIlLb0EEEZNS1_14transform_implILb0ES3_S5_NS0_18transform_iteratorINS0_17counting_iteratorImlEEZNS1_24adjacent_difference_implIS3_Lb1ELb0EPlSB_ZN2at6native12_GLOBAL__N_124unique_dim_cuda_templateIiEESt5tupleIJNSC_6TensorESH_SH_EERKSH_lbbbEUlllE1_EE10hipError_tPvRmT2_T3_mT4_P12ihipStream_tbEUlmE_lEESB_NS0_8identityIvEEEESM_SP_SQ_mSR_ST_bEUlT_E_NS1_11comp_targetILNS1_3genE3ELNS1_11target_archE908ELNS1_3gpuE7ELNS1_3repE0EEENS1_30default_config_static_selectorELNS0_4arch9wavefront6targetE0EEEvT1_.has_indirect_call, 0
	.section	.AMDGPU.csdata,"",@progbits
; Kernel info:
; codeLenInByte = 0
; TotalNumSgprs: 0
; NumVgprs: 0
; ScratchSize: 0
; MemoryBound: 0
; FloatMode: 240
; IeeeMode: 1
; LDSByteSize: 0 bytes/workgroup (compile time only)
; SGPRBlocks: 0
; VGPRBlocks: 0
; NumSGPRsForWavesPerEU: 1
; NumVGPRsForWavesPerEU: 1
; NamedBarCnt: 0
; Occupancy: 16
; WaveLimiterHint : 0
; COMPUTE_PGM_RSRC2:SCRATCH_EN: 0
; COMPUTE_PGM_RSRC2:USER_SGPR: 2
; COMPUTE_PGM_RSRC2:TRAP_HANDLER: 0
; COMPUTE_PGM_RSRC2:TGID_X_EN: 1
; COMPUTE_PGM_RSRC2:TGID_Y_EN: 0
; COMPUTE_PGM_RSRC2:TGID_Z_EN: 0
; COMPUTE_PGM_RSRC2:TIDIG_COMP_CNT: 0
	.section	.text._ZN7rocprim17ROCPRIM_400000_NS6detail17trampoline_kernelINS0_14default_configENS1_25transform_config_selectorIlLb0EEEZNS1_14transform_implILb0ES3_S5_NS0_18transform_iteratorINS0_17counting_iteratorImlEEZNS1_24adjacent_difference_implIS3_Lb1ELb0EPlSB_ZN2at6native12_GLOBAL__N_124unique_dim_cuda_templateIiEESt5tupleIJNSC_6TensorESH_SH_EERKSH_lbbbEUlllE1_EE10hipError_tPvRmT2_T3_mT4_P12ihipStream_tbEUlmE_lEESB_NS0_8identityIvEEEESM_SP_SQ_mSR_ST_bEUlT_E_NS1_11comp_targetILNS1_3genE2ELNS1_11target_archE906ELNS1_3gpuE6ELNS1_3repE0EEENS1_30default_config_static_selectorELNS0_4arch9wavefront6targetE0EEEvT1_,"axG",@progbits,_ZN7rocprim17ROCPRIM_400000_NS6detail17trampoline_kernelINS0_14default_configENS1_25transform_config_selectorIlLb0EEEZNS1_14transform_implILb0ES3_S5_NS0_18transform_iteratorINS0_17counting_iteratorImlEEZNS1_24adjacent_difference_implIS3_Lb1ELb0EPlSB_ZN2at6native12_GLOBAL__N_124unique_dim_cuda_templateIiEESt5tupleIJNSC_6TensorESH_SH_EERKSH_lbbbEUlllE1_EE10hipError_tPvRmT2_T3_mT4_P12ihipStream_tbEUlmE_lEESB_NS0_8identityIvEEEESM_SP_SQ_mSR_ST_bEUlT_E_NS1_11comp_targetILNS1_3genE2ELNS1_11target_archE906ELNS1_3gpuE6ELNS1_3repE0EEENS1_30default_config_static_selectorELNS0_4arch9wavefront6targetE0EEEvT1_,comdat
	.globl	_ZN7rocprim17ROCPRIM_400000_NS6detail17trampoline_kernelINS0_14default_configENS1_25transform_config_selectorIlLb0EEEZNS1_14transform_implILb0ES3_S5_NS0_18transform_iteratorINS0_17counting_iteratorImlEEZNS1_24adjacent_difference_implIS3_Lb1ELb0EPlSB_ZN2at6native12_GLOBAL__N_124unique_dim_cuda_templateIiEESt5tupleIJNSC_6TensorESH_SH_EERKSH_lbbbEUlllE1_EE10hipError_tPvRmT2_T3_mT4_P12ihipStream_tbEUlmE_lEESB_NS0_8identityIvEEEESM_SP_SQ_mSR_ST_bEUlT_E_NS1_11comp_targetILNS1_3genE2ELNS1_11target_archE906ELNS1_3gpuE6ELNS1_3repE0EEENS1_30default_config_static_selectorELNS0_4arch9wavefront6targetE0EEEvT1_ ; -- Begin function _ZN7rocprim17ROCPRIM_400000_NS6detail17trampoline_kernelINS0_14default_configENS1_25transform_config_selectorIlLb0EEEZNS1_14transform_implILb0ES3_S5_NS0_18transform_iteratorINS0_17counting_iteratorImlEEZNS1_24adjacent_difference_implIS3_Lb1ELb0EPlSB_ZN2at6native12_GLOBAL__N_124unique_dim_cuda_templateIiEESt5tupleIJNSC_6TensorESH_SH_EERKSH_lbbbEUlllE1_EE10hipError_tPvRmT2_T3_mT4_P12ihipStream_tbEUlmE_lEESB_NS0_8identityIvEEEESM_SP_SQ_mSR_ST_bEUlT_E_NS1_11comp_targetILNS1_3genE2ELNS1_11target_archE906ELNS1_3gpuE6ELNS1_3repE0EEENS1_30default_config_static_selectorELNS0_4arch9wavefront6targetE0EEEvT1_
	.p2align	8
	.type	_ZN7rocprim17ROCPRIM_400000_NS6detail17trampoline_kernelINS0_14default_configENS1_25transform_config_selectorIlLb0EEEZNS1_14transform_implILb0ES3_S5_NS0_18transform_iteratorINS0_17counting_iteratorImlEEZNS1_24adjacent_difference_implIS3_Lb1ELb0EPlSB_ZN2at6native12_GLOBAL__N_124unique_dim_cuda_templateIiEESt5tupleIJNSC_6TensorESH_SH_EERKSH_lbbbEUlllE1_EE10hipError_tPvRmT2_T3_mT4_P12ihipStream_tbEUlmE_lEESB_NS0_8identityIvEEEESM_SP_SQ_mSR_ST_bEUlT_E_NS1_11comp_targetILNS1_3genE2ELNS1_11target_archE906ELNS1_3gpuE6ELNS1_3repE0EEENS1_30default_config_static_selectorELNS0_4arch9wavefront6targetE0EEEvT1_,@function
_ZN7rocprim17ROCPRIM_400000_NS6detail17trampoline_kernelINS0_14default_configENS1_25transform_config_selectorIlLb0EEEZNS1_14transform_implILb0ES3_S5_NS0_18transform_iteratorINS0_17counting_iteratorImlEEZNS1_24adjacent_difference_implIS3_Lb1ELb0EPlSB_ZN2at6native12_GLOBAL__N_124unique_dim_cuda_templateIiEESt5tupleIJNSC_6TensorESH_SH_EERKSH_lbbbEUlllE1_EE10hipError_tPvRmT2_T3_mT4_P12ihipStream_tbEUlmE_lEESB_NS0_8identityIvEEEESM_SP_SQ_mSR_ST_bEUlT_E_NS1_11comp_targetILNS1_3genE2ELNS1_11target_archE906ELNS1_3gpuE6ELNS1_3repE0EEENS1_30default_config_static_selectorELNS0_4arch9wavefront6targetE0EEEvT1_: ; @_ZN7rocprim17ROCPRIM_400000_NS6detail17trampoline_kernelINS0_14default_configENS1_25transform_config_selectorIlLb0EEEZNS1_14transform_implILb0ES3_S5_NS0_18transform_iteratorINS0_17counting_iteratorImlEEZNS1_24adjacent_difference_implIS3_Lb1ELb0EPlSB_ZN2at6native12_GLOBAL__N_124unique_dim_cuda_templateIiEESt5tupleIJNSC_6TensorESH_SH_EERKSH_lbbbEUlllE1_EE10hipError_tPvRmT2_T3_mT4_P12ihipStream_tbEUlmE_lEESB_NS0_8identityIvEEEESM_SP_SQ_mSR_ST_bEUlT_E_NS1_11comp_targetILNS1_3genE2ELNS1_11target_archE906ELNS1_3gpuE6ELNS1_3repE0EEENS1_30default_config_static_selectorELNS0_4arch9wavefront6targetE0EEEvT1_
; %bb.0:
	.section	.rodata,"a",@progbits
	.p2align	6, 0x0
	.amdhsa_kernel _ZN7rocprim17ROCPRIM_400000_NS6detail17trampoline_kernelINS0_14default_configENS1_25transform_config_selectorIlLb0EEEZNS1_14transform_implILb0ES3_S5_NS0_18transform_iteratorINS0_17counting_iteratorImlEEZNS1_24adjacent_difference_implIS3_Lb1ELb0EPlSB_ZN2at6native12_GLOBAL__N_124unique_dim_cuda_templateIiEESt5tupleIJNSC_6TensorESH_SH_EERKSH_lbbbEUlllE1_EE10hipError_tPvRmT2_T3_mT4_P12ihipStream_tbEUlmE_lEESB_NS0_8identityIvEEEESM_SP_SQ_mSR_ST_bEUlT_E_NS1_11comp_targetILNS1_3genE2ELNS1_11target_archE906ELNS1_3gpuE6ELNS1_3repE0EEENS1_30default_config_static_selectorELNS0_4arch9wavefront6targetE0EEEvT1_
		.amdhsa_group_segment_fixed_size 0
		.amdhsa_private_segment_fixed_size 0
		.amdhsa_kernarg_size 56
		.amdhsa_user_sgpr_count 2
		.amdhsa_user_sgpr_dispatch_ptr 0
		.amdhsa_user_sgpr_queue_ptr 0
		.amdhsa_user_sgpr_kernarg_segment_ptr 1
		.amdhsa_user_sgpr_dispatch_id 0
		.amdhsa_user_sgpr_kernarg_preload_length 0
		.amdhsa_user_sgpr_kernarg_preload_offset 0
		.amdhsa_user_sgpr_private_segment_size 0
		.amdhsa_wavefront_size32 1
		.amdhsa_uses_dynamic_stack 0
		.amdhsa_enable_private_segment 0
		.amdhsa_system_sgpr_workgroup_id_x 1
		.amdhsa_system_sgpr_workgroup_id_y 0
		.amdhsa_system_sgpr_workgroup_id_z 0
		.amdhsa_system_sgpr_workgroup_info 0
		.amdhsa_system_vgpr_workitem_id 0
		.amdhsa_next_free_vgpr 1
		.amdhsa_next_free_sgpr 1
		.amdhsa_named_barrier_count 0
		.amdhsa_reserve_vcc 0
		.amdhsa_float_round_mode_32 0
		.amdhsa_float_round_mode_16_64 0
		.amdhsa_float_denorm_mode_32 3
		.amdhsa_float_denorm_mode_16_64 3
		.amdhsa_fp16_overflow 0
		.amdhsa_memory_ordered 1
		.amdhsa_forward_progress 1
		.amdhsa_inst_pref_size 0
		.amdhsa_round_robin_scheduling 0
		.amdhsa_exception_fp_ieee_invalid_op 0
		.amdhsa_exception_fp_denorm_src 0
		.amdhsa_exception_fp_ieee_div_zero 0
		.amdhsa_exception_fp_ieee_overflow 0
		.amdhsa_exception_fp_ieee_underflow 0
		.amdhsa_exception_fp_ieee_inexact 0
		.amdhsa_exception_int_div_zero 0
	.end_amdhsa_kernel
	.section	.text._ZN7rocprim17ROCPRIM_400000_NS6detail17trampoline_kernelINS0_14default_configENS1_25transform_config_selectorIlLb0EEEZNS1_14transform_implILb0ES3_S5_NS0_18transform_iteratorINS0_17counting_iteratorImlEEZNS1_24adjacent_difference_implIS3_Lb1ELb0EPlSB_ZN2at6native12_GLOBAL__N_124unique_dim_cuda_templateIiEESt5tupleIJNSC_6TensorESH_SH_EERKSH_lbbbEUlllE1_EE10hipError_tPvRmT2_T3_mT4_P12ihipStream_tbEUlmE_lEESB_NS0_8identityIvEEEESM_SP_SQ_mSR_ST_bEUlT_E_NS1_11comp_targetILNS1_3genE2ELNS1_11target_archE906ELNS1_3gpuE6ELNS1_3repE0EEENS1_30default_config_static_selectorELNS0_4arch9wavefront6targetE0EEEvT1_,"axG",@progbits,_ZN7rocprim17ROCPRIM_400000_NS6detail17trampoline_kernelINS0_14default_configENS1_25transform_config_selectorIlLb0EEEZNS1_14transform_implILb0ES3_S5_NS0_18transform_iteratorINS0_17counting_iteratorImlEEZNS1_24adjacent_difference_implIS3_Lb1ELb0EPlSB_ZN2at6native12_GLOBAL__N_124unique_dim_cuda_templateIiEESt5tupleIJNSC_6TensorESH_SH_EERKSH_lbbbEUlllE1_EE10hipError_tPvRmT2_T3_mT4_P12ihipStream_tbEUlmE_lEESB_NS0_8identityIvEEEESM_SP_SQ_mSR_ST_bEUlT_E_NS1_11comp_targetILNS1_3genE2ELNS1_11target_archE906ELNS1_3gpuE6ELNS1_3repE0EEENS1_30default_config_static_selectorELNS0_4arch9wavefront6targetE0EEEvT1_,comdat
.Lfunc_end428:
	.size	_ZN7rocprim17ROCPRIM_400000_NS6detail17trampoline_kernelINS0_14default_configENS1_25transform_config_selectorIlLb0EEEZNS1_14transform_implILb0ES3_S5_NS0_18transform_iteratorINS0_17counting_iteratorImlEEZNS1_24adjacent_difference_implIS3_Lb1ELb0EPlSB_ZN2at6native12_GLOBAL__N_124unique_dim_cuda_templateIiEESt5tupleIJNSC_6TensorESH_SH_EERKSH_lbbbEUlllE1_EE10hipError_tPvRmT2_T3_mT4_P12ihipStream_tbEUlmE_lEESB_NS0_8identityIvEEEESM_SP_SQ_mSR_ST_bEUlT_E_NS1_11comp_targetILNS1_3genE2ELNS1_11target_archE906ELNS1_3gpuE6ELNS1_3repE0EEENS1_30default_config_static_selectorELNS0_4arch9wavefront6targetE0EEEvT1_, .Lfunc_end428-_ZN7rocprim17ROCPRIM_400000_NS6detail17trampoline_kernelINS0_14default_configENS1_25transform_config_selectorIlLb0EEEZNS1_14transform_implILb0ES3_S5_NS0_18transform_iteratorINS0_17counting_iteratorImlEEZNS1_24adjacent_difference_implIS3_Lb1ELb0EPlSB_ZN2at6native12_GLOBAL__N_124unique_dim_cuda_templateIiEESt5tupleIJNSC_6TensorESH_SH_EERKSH_lbbbEUlllE1_EE10hipError_tPvRmT2_T3_mT4_P12ihipStream_tbEUlmE_lEESB_NS0_8identityIvEEEESM_SP_SQ_mSR_ST_bEUlT_E_NS1_11comp_targetILNS1_3genE2ELNS1_11target_archE906ELNS1_3gpuE6ELNS1_3repE0EEENS1_30default_config_static_selectorELNS0_4arch9wavefront6targetE0EEEvT1_
                                        ; -- End function
	.set _ZN7rocprim17ROCPRIM_400000_NS6detail17trampoline_kernelINS0_14default_configENS1_25transform_config_selectorIlLb0EEEZNS1_14transform_implILb0ES3_S5_NS0_18transform_iteratorINS0_17counting_iteratorImlEEZNS1_24adjacent_difference_implIS3_Lb1ELb0EPlSB_ZN2at6native12_GLOBAL__N_124unique_dim_cuda_templateIiEESt5tupleIJNSC_6TensorESH_SH_EERKSH_lbbbEUlllE1_EE10hipError_tPvRmT2_T3_mT4_P12ihipStream_tbEUlmE_lEESB_NS0_8identityIvEEEESM_SP_SQ_mSR_ST_bEUlT_E_NS1_11comp_targetILNS1_3genE2ELNS1_11target_archE906ELNS1_3gpuE6ELNS1_3repE0EEENS1_30default_config_static_selectorELNS0_4arch9wavefront6targetE0EEEvT1_.num_vgpr, 0
	.set _ZN7rocprim17ROCPRIM_400000_NS6detail17trampoline_kernelINS0_14default_configENS1_25transform_config_selectorIlLb0EEEZNS1_14transform_implILb0ES3_S5_NS0_18transform_iteratorINS0_17counting_iteratorImlEEZNS1_24adjacent_difference_implIS3_Lb1ELb0EPlSB_ZN2at6native12_GLOBAL__N_124unique_dim_cuda_templateIiEESt5tupleIJNSC_6TensorESH_SH_EERKSH_lbbbEUlllE1_EE10hipError_tPvRmT2_T3_mT4_P12ihipStream_tbEUlmE_lEESB_NS0_8identityIvEEEESM_SP_SQ_mSR_ST_bEUlT_E_NS1_11comp_targetILNS1_3genE2ELNS1_11target_archE906ELNS1_3gpuE6ELNS1_3repE0EEENS1_30default_config_static_selectorELNS0_4arch9wavefront6targetE0EEEvT1_.num_agpr, 0
	.set _ZN7rocprim17ROCPRIM_400000_NS6detail17trampoline_kernelINS0_14default_configENS1_25transform_config_selectorIlLb0EEEZNS1_14transform_implILb0ES3_S5_NS0_18transform_iteratorINS0_17counting_iteratorImlEEZNS1_24adjacent_difference_implIS3_Lb1ELb0EPlSB_ZN2at6native12_GLOBAL__N_124unique_dim_cuda_templateIiEESt5tupleIJNSC_6TensorESH_SH_EERKSH_lbbbEUlllE1_EE10hipError_tPvRmT2_T3_mT4_P12ihipStream_tbEUlmE_lEESB_NS0_8identityIvEEEESM_SP_SQ_mSR_ST_bEUlT_E_NS1_11comp_targetILNS1_3genE2ELNS1_11target_archE906ELNS1_3gpuE6ELNS1_3repE0EEENS1_30default_config_static_selectorELNS0_4arch9wavefront6targetE0EEEvT1_.numbered_sgpr, 0
	.set _ZN7rocprim17ROCPRIM_400000_NS6detail17trampoline_kernelINS0_14default_configENS1_25transform_config_selectorIlLb0EEEZNS1_14transform_implILb0ES3_S5_NS0_18transform_iteratorINS0_17counting_iteratorImlEEZNS1_24adjacent_difference_implIS3_Lb1ELb0EPlSB_ZN2at6native12_GLOBAL__N_124unique_dim_cuda_templateIiEESt5tupleIJNSC_6TensorESH_SH_EERKSH_lbbbEUlllE1_EE10hipError_tPvRmT2_T3_mT4_P12ihipStream_tbEUlmE_lEESB_NS0_8identityIvEEEESM_SP_SQ_mSR_ST_bEUlT_E_NS1_11comp_targetILNS1_3genE2ELNS1_11target_archE906ELNS1_3gpuE6ELNS1_3repE0EEENS1_30default_config_static_selectorELNS0_4arch9wavefront6targetE0EEEvT1_.num_named_barrier, 0
	.set _ZN7rocprim17ROCPRIM_400000_NS6detail17trampoline_kernelINS0_14default_configENS1_25transform_config_selectorIlLb0EEEZNS1_14transform_implILb0ES3_S5_NS0_18transform_iteratorINS0_17counting_iteratorImlEEZNS1_24adjacent_difference_implIS3_Lb1ELb0EPlSB_ZN2at6native12_GLOBAL__N_124unique_dim_cuda_templateIiEESt5tupleIJNSC_6TensorESH_SH_EERKSH_lbbbEUlllE1_EE10hipError_tPvRmT2_T3_mT4_P12ihipStream_tbEUlmE_lEESB_NS0_8identityIvEEEESM_SP_SQ_mSR_ST_bEUlT_E_NS1_11comp_targetILNS1_3genE2ELNS1_11target_archE906ELNS1_3gpuE6ELNS1_3repE0EEENS1_30default_config_static_selectorELNS0_4arch9wavefront6targetE0EEEvT1_.private_seg_size, 0
	.set _ZN7rocprim17ROCPRIM_400000_NS6detail17trampoline_kernelINS0_14default_configENS1_25transform_config_selectorIlLb0EEEZNS1_14transform_implILb0ES3_S5_NS0_18transform_iteratorINS0_17counting_iteratorImlEEZNS1_24adjacent_difference_implIS3_Lb1ELb0EPlSB_ZN2at6native12_GLOBAL__N_124unique_dim_cuda_templateIiEESt5tupleIJNSC_6TensorESH_SH_EERKSH_lbbbEUlllE1_EE10hipError_tPvRmT2_T3_mT4_P12ihipStream_tbEUlmE_lEESB_NS0_8identityIvEEEESM_SP_SQ_mSR_ST_bEUlT_E_NS1_11comp_targetILNS1_3genE2ELNS1_11target_archE906ELNS1_3gpuE6ELNS1_3repE0EEENS1_30default_config_static_selectorELNS0_4arch9wavefront6targetE0EEEvT1_.uses_vcc, 0
	.set _ZN7rocprim17ROCPRIM_400000_NS6detail17trampoline_kernelINS0_14default_configENS1_25transform_config_selectorIlLb0EEEZNS1_14transform_implILb0ES3_S5_NS0_18transform_iteratorINS0_17counting_iteratorImlEEZNS1_24adjacent_difference_implIS3_Lb1ELb0EPlSB_ZN2at6native12_GLOBAL__N_124unique_dim_cuda_templateIiEESt5tupleIJNSC_6TensorESH_SH_EERKSH_lbbbEUlllE1_EE10hipError_tPvRmT2_T3_mT4_P12ihipStream_tbEUlmE_lEESB_NS0_8identityIvEEEESM_SP_SQ_mSR_ST_bEUlT_E_NS1_11comp_targetILNS1_3genE2ELNS1_11target_archE906ELNS1_3gpuE6ELNS1_3repE0EEENS1_30default_config_static_selectorELNS0_4arch9wavefront6targetE0EEEvT1_.uses_flat_scratch, 0
	.set _ZN7rocprim17ROCPRIM_400000_NS6detail17trampoline_kernelINS0_14default_configENS1_25transform_config_selectorIlLb0EEEZNS1_14transform_implILb0ES3_S5_NS0_18transform_iteratorINS0_17counting_iteratorImlEEZNS1_24adjacent_difference_implIS3_Lb1ELb0EPlSB_ZN2at6native12_GLOBAL__N_124unique_dim_cuda_templateIiEESt5tupleIJNSC_6TensorESH_SH_EERKSH_lbbbEUlllE1_EE10hipError_tPvRmT2_T3_mT4_P12ihipStream_tbEUlmE_lEESB_NS0_8identityIvEEEESM_SP_SQ_mSR_ST_bEUlT_E_NS1_11comp_targetILNS1_3genE2ELNS1_11target_archE906ELNS1_3gpuE6ELNS1_3repE0EEENS1_30default_config_static_selectorELNS0_4arch9wavefront6targetE0EEEvT1_.has_dyn_sized_stack, 0
	.set _ZN7rocprim17ROCPRIM_400000_NS6detail17trampoline_kernelINS0_14default_configENS1_25transform_config_selectorIlLb0EEEZNS1_14transform_implILb0ES3_S5_NS0_18transform_iteratorINS0_17counting_iteratorImlEEZNS1_24adjacent_difference_implIS3_Lb1ELb0EPlSB_ZN2at6native12_GLOBAL__N_124unique_dim_cuda_templateIiEESt5tupleIJNSC_6TensorESH_SH_EERKSH_lbbbEUlllE1_EE10hipError_tPvRmT2_T3_mT4_P12ihipStream_tbEUlmE_lEESB_NS0_8identityIvEEEESM_SP_SQ_mSR_ST_bEUlT_E_NS1_11comp_targetILNS1_3genE2ELNS1_11target_archE906ELNS1_3gpuE6ELNS1_3repE0EEENS1_30default_config_static_selectorELNS0_4arch9wavefront6targetE0EEEvT1_.has_recursion, 0
	.set _ZN7rocprim17ROCPRIM_400000_NS6detail17trampoline_kernelINS0_14default_configENS1_25transform_config_selectorIlLb0EEEZNS1_14transform_implILb0ES3_S5_NS0_18transform_iteratorINS0_17counting_iteratorImlEEZNS1_24adjacent_difference_implIS3_Lb1ELb0EPlSB_ZN2at6native12_GLOBAL__N_124unique_dim_cuda_templateIiEESt5tupleIJNSC_6TensorESH_SH_EERKSH_lbbbEUlllE1_EE10hipError_tPvRmT2_T3_mT4_P12ihipStream_tbEUlmE_lEESB_NS0_8identityIvEEEESM_SP_SQ_mSR_ST_bEUlT_E_NS1_11comp_targetILNS1_3genE2ELNS1_11target_archE906ELNS1_3gpuE6ELNS1_3repE0EEENS1_30default_config_static_selectorELNS0_4arch9wavefront6targetE0EEEvT1_.has_indirect_call, 0
	.section	.AMDGPU.csdata,"",@progbits
; Kernel info:
; codeLenInByte = 0
; TotalNumSgprs: 0
; NumVgprs: 0
; ScratchSize: 0
; MemoryBound: 0
; FloatMode: 240
; IeeeMode: 1
; LDSByteSize: 0 bytes/workgroup (compile time only)
; SGPRBlocks: 0
; VGPRBlocks: 0
; NumSGPRsForWavesPerEU: 1
; NumVGPRsForWavesPerEU: 1
; NamedBarCnt: 0
; Occupancy: 16
; WaveLimiterHint : 0
; COMPUTE_PGM_RSRC2:SCRATCH_EN: 0
; COMPUTE_PGM_RSRC2:USER_SGPR: 2
; COMPUTE_PGM_RSRC2:TRAP_HANDLER: 0
; COMPUTE_PGM_RSRC2:TGID_X_EN: 1
; COMPUTE_PGM_RSRC2:TGID_Y_EN: 0
; COMPUTE_PGM_RSRC2:TGID_Z_EN: 0
; COMPUTE_PGM_RSRC2:TIDIG_COMP_CNT: 0
	.section	.text._ZN7rocprim17ROCPRIM_400000_NS6detail17trampoline_kernelINS0_14default_configENS1_25transform_config_selectorIlLb0EEEZNS1_14transform_implILb0ES3_S5_NS0_18transform_iteratorINS0_17counting_iteratorImlEEZNS1_24adjacent_difference_implIS3_Lb1ELb0EPlSB_ZN2at6native12_GLOBAL__N_124unique_dim_cuda_templateIiEESt5tupleIJNSC_6TensorESH_SH_EERKSH_lbbbEUlllE1_EE10hipError_tPvRmT2_T3_mT4_P12ihipStream_tbEUlmE_lEESB_NS0_8identityIvEEEESM_SP_SQ_mSR_ST_bEUlT_E_NS1_11comp_targetILNS1_3genE10ELNS1_11target_archE1201ELNS1_3gpuE5ELNS1_3repE0EEENS1_30default_config_static_selectorELNS0_4arch9wavefront6targetE0EEEvT1_,"axG",@progbits,_ZN7rocprim17ROCPRIM_400000_NS6detail17trampoline_kernelINS0_14default_configENS1_25transform_config_selectorIlLb0EEEZNS1_14transform_implILb0ES3_S5_NS0_18transform_iteratorINS0_17counting_iteratorImlEEZNS1_24adjacent_difference_implIS3_Lb1ELb0EPlSB_ZN2at6native12_GLOBAL__N_124unique_dim_cuda_templateIiEESt5tupleIJNSC_6TensorESH_SH_EERKSH_lbbbEUlllE1_EE10hipError_tPvRmT2_T3_mT4_P12ihipStream_tbEUlmE_lEESB_NS0_8identityIvEEEESM_SP_SQ_mSR_ST_bEUlT_E_NS1_11comp_targetILNS1_3genE10ELNS1_11target_archE1201ELNS1_3gpuE5ELNS1_3repE0EEENS1_30default_config_static_selectorELNS0_4arch9wavefront6targetE0EEEvT1_,comdat
	.globl	_ZN7rocprim17ROCPRIM_400000_NS6detail17trampoline_kernelINS0_14default_configENS1_25transform_config_selectorIlLb0EEEZNS1_14transform_implILb0ES3_S5_NS0_18transform_iteratorINS0_17counting_iteratorImlEEZNS1_24adjacent_difference_implIS3_Lb1ELb0EPlSB_ZN2at6native12_GLOBAL__N_124unique_dim_cuda_templateIiEESt5tupleIJNSC_6TensorESH_SH_EERKSH_lbbbEUlllE1_EE10hipError_tPvRmT2_T3_mT4_P12ihipStream_tbEUlmE_lEESB_NS0_8identityIvEEEESM_SP_SQ_mSR_ST_bEUlT_E_NS1_11comp_targetILNS1_3genE10ELNS1_11target_archE1201ELNS1_3gpuE5ELNS1_3repE0EEENS1_30default_config_static_selectorELNS0_4arch9wavefront6targetE0EEEvT1_ ; -- Begin function _ZN7rocprim17ROCPRIM_400000_NS6detail17trampoline_kernelINS0_14default_configENS1_25transform_config_selectorIlLb0EEEZNS1_14transform_implILb0ES3_S5_NS0_18transform_iteratorINS0_17counting_iteratorImlEEZNS1_24adjacent_difference_implIS3_Lb1ELb0EPlSB_ZN2at6native12_GLOBAL__N_124unique_dim_cuda_templateIiEESt5tupleIJNSC_6TensorESH_SH_EERKSH_lbbbEUlllE1_EE10hipError_tPvRmT2_T3_mT4_P12ihipStream_tbEUlmE_lEESB_NS0_8identityIvEEEESM_SP_SQ_mSR_ST_bEUlT_E_NS1_11comp_targetILNS1_3genE10ELNS1_11target_archE1201ELNS1_3gpuE5ELNS1_3repE0EEENS1_30default_config_static_selectorELNS0_4arch9wavefront6targetE0EEEvT1_
	.p2align	8
	.type	_ZN7rocprim17ROCPRIM_400000_NS6detail17trampoline_kernelINS0_14default_configENS1_25transform_config_selectorIlLb0EEEZNS1_14transform_implILb0ES3_S5_NS0_18transform_iteratorINS0_17counting_iteratorImlEEZNS1_24adjacent_difference_implIS3_Lb1ELb0EPlSB_ZN2at6native12_GLOBAL__N_124unique_dim_cuda_templateIiEESt5tupleIJNSC_6TensorESH_SH_EERKSH_lbbbEUlllE1_EE10hipError_tPvRmT2_T3_mT4_P12ihipStream_tbEUlmE_lEESB_NS0_8identityIvEEEESM_SP_SQ_mSR_ST_bEUlT_E_NS1_11comp_targetILNS1_3genE10ELNS1_11target_archE1201ELNS1_3gpuE5ELNS1_3repE0EEENS1_30default_config_static_selectorELNS0_4arch9wavefront6targetE0EEEvT1_,@function
_ZN7rocprim17ROCPRIM_400000_NS6detail17trampoline_kernelINS0_14default_configENS1_25transform_config_selectorIlLb0EEEZNS1_14transform_implILb0ES3_S5_NS0_18transform_iteratorINS0_17counting_iteratorImlEEZNS1_24adjacent_difference_implIS3_Lb1ELb0EPlSB_ZN2at6native12_GLOBAL__N_124unique_dim_cuda_templateIiEESt5tupleIJNSC_6TensorESH_SH_EERKSH_lbbbEUlllE1_EE10hipError_tPvRmT2_T3_mT4_P12ihipStream_tbEUlmE_lEESB_NS0_8identityIvEEEESM_SP_SQ_mSR_ST_bEUlT_E_NS1_11comp_targetILNS1_3genE10ELNS1_11target_archE1201ELNS1_3gpuE5ELNS1_3repE0EEENS1_30default_config_static_selectorELNS0_4arch9wavefront6targetE0EEEvT1_: ; @_ZN7rocprim17ROCPRIM_400000_NS6detail17trampoline_kernelINS0_14default_configENS1_25transform_config_selectorIlLb0EEEZNS1_14transform_implILb0ES3_S5_NS0_18transform_iteratorINS0_17counting_iteratorImlEEZNS1_24adjacent_difference_implIS3_Lb1ELb0EPlSB_ZN2at6native12_GLOBAL__N_124unique_dim_cuda_templateIiEESt5tupleIJNSC_6TensorESH_SH_EERKSH_lbbbEUlllE1_EE10hipError_tPvRmT2_T3_mT4_P12ihipStream_tbEUlmE_lEESB_NS0_8identityIvEEEESM_SP_SQ_mSR_ST_bEUlT_E_NS1_11comp_targetILNS1_3genE10ELNS1_11target_archE1201ELNS1_3gpuE5ELNS1_3repE0EEENS1_30default_config_static_selectorELNS0_4arch9wavefront6targetE0EEEvT1_
; %bb.0:
	.section	.rodata,"a",@progbits
	.p2align	6, 0x0
	.amdhsa_kernel _ZN7rocprim17ROCPRIM_400000_NS6detail17trampoline_kernelINS0_14default_configENS1_25transform_config_selectorIlLb0EEEZNS1_14transform_implILb0ES3_S5_NS0_18transform_iteratorINS0_17counting_iteratorImlEEZNS1_24adjacent_difference_implIS3_Lb1ELb0EPlSB_ZN2at6native12_GLOBAL__N_124unique_dim_cuda_templateIiEESt5tupleIJNSC_6TensorESH_SH_EERKSH_lbbbEUlllE1_EE10hipError_tPvRmT2_T3_mT4_P12ihipStream_tbEUlmE_lEESB_NS0_8identityIvEEEESM_SP_SQ_mSR_ST_bEUlT_E_NS1_11comp_targetILNS1_3genE10ELNS1_11target_archE1201ELNS1_3gpuE5ELNS1_3repE0EEENS1_30default_config_static_selectorELNS0_4arch9wavefront6targetE0EEEvT1_
		.amdhsa_group_segment_fixed_size 0
		.amdhsa_private_segment_fixed_size 0
		.amdhsa_kernarg_size 56
		.amdhsa_user_sgpr_count 2
		.amdhsa_user_sgpr_dispatch_ptr 0
		.amdhsa_user_sgpr_queue_ptr 0
		.amdhsa_user_sgpr_kernarg_segment_ptr 1
		.amdhsa_user_sgpr_dispatch_id 0
		.amdhsa_user_sgpr_kernarg_preload_length 0
		.amdhsa_user_sgpr_kernarg_preload_offset 0
		.amdhsa_user_sgpr_private_segment_size 0
		.amdhsa_wavefront_size32 1
		.amdhsa_uses_dynamic_stack 0
		.amdhsa_enable_private_segment 0
		.amdhsa_system_sgpr_workgroup_id_x 1
		.amdhsa_system_sgpr_workgroup_id_y 0
		.amdhsa_system_sgpr_workgroup_id_z 0
		.amdhsa_system_sgpr_workgroup_info 0
		.amdhsa_system_vgpr_workitem_id 0
		.amdhsa_next_free_vgpr 1
		.amdhsa_next_free_sgpr 1
		.amdhsa_named_barrier_count 0
		.amdhsa_reserve_vcc 0
		.amdhsa_float_round_mode_32 0
		.amdhsa_float_round_mode_16_64 0
		.amdhsa_float_denorm_mode_32 3
		.amdhsa_float_denorm_mode_16_64 3
		.amdhsa_fp16_overflow 0
		.amdhsa_memory_ordered 1
		.amdhsa_forward_progress 1
		.amdhsa_inst_pref_size 0
		.amdhsa_round_robin_scheduling 0
		.amdhsa_exception_fp_ieee_invalid_op 0
		.amdhsa_exception_fp_denorm_src 0
		.amdhsa_exception_fp_ieee_div_zero 0
		.amdhsa_exception_fp_ieee_overflow 0
		.amdhsa_exception_fp_ieee_underflow 0
		.amdhsa_exception_fp_ieee_inexact 0
		.amdhsa_exception_int_div_zero 0
	.end_amdhsa_kernel
	.section	.text._ZN7rocprim17ROCPRIM_400000_NS6detail17trampoline_kernelINS0_14default_configENS1_25transform_config_selectorIlLb0EEEZNS1_14transform_implILb0ES3_S5_NS0_18transform_iteratorINS0_17counting_iteratorImlEEZNS1_24adjacent_difference_implIS3_Lb1ELb0EPlSB_ZN2at6native12_GLOBAL__N_124unique_dim_cuda_templateIiEESt5tupleIJNSC_6TensorESH_SH_EERKSH_lbbbEUlllE1_EE10hipError_tPvRmT2_T3_mT4_P12ihipStream_tbEUlmE_lEESB_NS0_8identityIvEEEESM_SP_SQ_mSR_ST_bEUlT_E_NS1_11comp_targetILNS1_3genE10ELNS1_11target_archE1201ELNS1_3gpuE5ELNS1_3repE0EEENS1_30default_config_static_selectorELNS0_4arch9wavefront6targetE0EEEvT1_,"axG",@progbits,_ZN7rocprim17ROCPRIM_400000_NS6detail17trampoline_kernelINS0_14default_configENS1_25transform_config_selectorIlLb0EEEZNS1_14transform_implILb0ES3_S5_NS0_18transform_iteratorINS0_17counting_iteratorImlEEZNS1_24adjacent_difference_implIS3_Lb1ELb0EPlSB_ZN2at6native12_GLOBAL__N_124unique_dim_cuda_templateIiEESt5tupleIJNSC_6TensorESH_SH_EERKSH_lbbbEUlllE1_EE10hipError_tPvRmT2_T3_mT4_P12ihipStream_tbEUlmE_lEESB_NS0_8identityIvEEEESM_SP_SQ_mSR_ST_bEUlT_E_NS1_11comp_targetILNS1_3genE10ELNS1_11target_archE1201ELNS1_3gpuE5ELNS1_3repE0EEENS1_30default_config_static_selectorELNS0_4arch9wavefront6targetE0EEEvT1_,comdat
.Lfunc_end429:
	.size	_ZN7rocprim17ROCPRIM_400000_NS6detail17trampoline_kernelINS0_14default_configENS1_25transform_config_selectorIlLb0EEEZNS1_14transform_implILb0ES3_S5_NS0_18transform_iteratorINS0_17counting_iteratorImlEEZNS1_24adjacent_difference_implIS3_Lb1ELb0EPlSB_ZN2at6native12_GLOBAL__N_124unique_dim_cuda_templateIiEESt5tupleIJNSC_6TensorESH_SH_EERKSH_lbbbEUlllE1_EE10hipError_tPvRmT2_T3_mT4_P12ihipStream_tbEUlmE_lEESB_NS0_8identityIvEEEESM_SP_SQ_mSR_ST_bEUlT_E_NS1_11comp_targetILNS1_3genE10ELNS1_11target_archE1201ELNS1_3gpuE5ELNS1_3repE0EEENS1_30default_config_static_selectorELNS0_4arch9wavefront6targetE0EEEvT1_, .Lfunc_end429-_ZN7rocprim17ROCPRIM_400000_NS6detail17trampoline_kernelINS0_14default_configENS1_25transform_config_selectorIlLb0EEEZNS1_14transform_implILb0ES3_S5_NS0_18transform_iteratorINS0_17counting_iteratorImlEEZNS1_24adjacent_difference_implIS3_Lb1ELb0EPlSB_ZN2at6native12_GLOBAL__N_124unique_dim_cuda_templateIiEESt5tupleIJNSC_6TensorESH_SH_EERKSH_lbbbEUlllE1_EE10hipError_tPvRmT2_T3_mT4_P12ihipStream_tbEUlmE_lEESB_NS0_8identityIvEEEESM_SP_SQ_mSR_ST_bEUlT_E_NS1_11comp_targetILNS1_3genE10ELNS1_11target_archE1201ELNS1_3gpuE5ELNS1_3repE0EEENS1_30default_config_static_selectorELNS0_4arch9wavefront6targetE0EEEvT1_
                                        ; -- End function
	.set _ZN7rocprim17ROCPRIM_400000_NS6detail17trampoline_kernelINS0_14default_configENS1_25transform_config_selectorIlLb0EEEZNS1_14transform_implILb0ES3_S5_NS0_18transform_iteratorINS0_17counting_iteratorImlEEZNS1_24adjacent_difference_implIS3_Lb1ELb0EPlSB_ZN2at6native12_GLOBAL__N_124unique_dim_cuda_templateIiEESt5tupleIJNSC_6TensorESH_SH_EERKSH_lbbbEUlllE1_EE10hipError_tPvRmT2_T3_mT4_P12ihipStream_tbEUlmE_lEESB_NS0_8identityIvEEEESM_SP_SQ_mSR_ST_bEUlT_E_NS1_11comp_targetILNS1_3genE10ELNS1_11target_archE1201ELNS1_3gpuE5ELNS1_3repE0EEENS1_30default_config_static_selectorELNS0_4arch9wavefront6targetE0EEEvT1_.num_vgpr, 0
	.set _ZN7rocprim17ROCPRIM_400000_NS6detail17trampoline_kernelINS0_14default_configENS1_25transform_config_selectorIlLb0EEEZNS1_14transform_implILb0ES3_S5_NS0_18transform_iteratorINS0_17counting_iteratorImlEEZNS1_24adjacent_difference_implIS3_Lb1ELb0EPlSB_ZN2at6native12_GLOBAL__N_124unique_dim_cuda_templateIiEESt5tupleIJNSC_6TensorESH_SH_EERKSH_lbbbEUlllE1_EE10hipError_tPvRmT2_T3_mT4_P12ihipStream_tbEUlmE_lEESB_NS0_8identityIvEEEESM_SP_SQ_mSR_ST_bEUlT_E_NS1_11comp_targetILNS1_3genE10ELNS1_11target_archE1201ELNS1_3gpuE5ELNS1_3repE0EEENS1_30default_config_static_selectorELNS0_4arch9wavefront6targetE0EEEvT1_.num_agpr, 0
	.set _ZN7rocprim17ROCPRIM_400000_NS6detail17trampoline_kernelINS0_14default_configENS1_25transform_config_selectorIlLb0EEEZNS1_14transform_implILb0ES3_S5_NS0_18transform_iteratorINS0_17counting_iteratorImlEEZNS1_24adjacent_difference_implIS3_Lb1ELb0EPlSB_ZN2at6native12_GLOBAL__N_124unique_dim_cuda_templateIiEESt5tupleIJNSC_6TensorESH_SH_EERKSH_lbbbEUlllE1_EE10hipError_tPvRmT2_T3_mT4_P12ihipStream_tbEUlmE_lEESB_NS0_8identityIvEEEESM_SP_SQ_mSR_ST_bEUlT_E_NS1_11comp_targetILNS1_3genE10ELNS1_11target_archE1201ELNS1_3gpuE5ELNS1_3repE0EEENS1_30default_config_static_selectorELNS0_4arch9wavefront6targetE0EEEvT1_.numbered_sgpr, 0
	.set _ZN7rocprim17ROCPRIM_400000_NS6detail17trampoline_kernelINS0_14default_configENS1_25transform_config_selectorIlLb0EEEZNS1_14transform_implILb0ES3_S5_NS0_18transform_iteratorINS0_17counting_iteratorImlEEZNS1_24adjacent_difference_implIS3_Lb1ELb0EPlSB_ZN2at6native12_GLOBAL__N_124unique_dim_cuda_templateIiEESt5tupleIJNSC_6TensorESH_SH_EERKSH_lbbbEUlllE1_EE10hipError_tPvRmT2_T3_mT4_P12ihipStream_tbEUlmE_lEESB_NS0_8identityIvEEEESM_SP_SQ_mSR_ST_bEUlT_E_NS1_11comp_targetILNS1_3genE10ELNS1_11target_archE1201ELNS1_3gpuE5ELNS1_3repE0EEENS1_30default_config_static_selectorELNS0_4arch9wavefront6targetE0EEEvT1_.num_named_barrier, 0
	.set _ZN7rocprim17ROCPRIM_400000_NS6detail17trampoline_kernelINS0_14default_configENS1_25transform_config_selectorIlLb0EEEZNS1_14transform_implILb0ES3_S5_NS0_18transform_iteratorINS0_17counting_iteratorImlEEZNS1_24adjacent_difference_implIS3_Lb1ELb0EPlSB_ZN2at6native12_GLOBAL__N_124unique_dim_cuda_templateIiEESt5tupleIJNSC_6TensorESH_SH_EERKSH_lbbbEUlllE1_EE10hipError_tPvRmT2_T3_mT4_P12ihipStream_tbEUlmE_lEESB_NS0_8identityIvEEEESM_SP_SQ_mSR_ST_bEUlT_E_NS1_11comp_targetILNS1_3genE10ELNS1_11target_archE1201ELNS1_3gpuE5ELNS1_3repE0EEENS1_30default_config_static_selectorELNS0_4arch9wavefront6targetE0EEEvT1_.private_seg_size, 0
	.set _ZN7rocprim17ROCPRIM_400000_NS6detail17trampoline_kernelINS0_14default_configENS1_25transform_config_selectorIlLb0EEEZNS1_14transform_implILb0ES3_S5_NS0_18transform_iteratorINS0_17counting_iteratorImlEEZNS1_24adjacent_difference_implIS3_Lb1ELb0EPlSB_ZN2at6native12_GLOBAL__N_124unique_dim_cuda_templateIiEESt5tupleIJNSC_6TensorESH_SH_EERKSH_lbbbEUlllE1_EE10hipError_tPvRmT2_T3_mT4_P12ihipStream_tbEUlmE_lEESB_NS0_8identityIvEEEESM_SP_SQ_mSR_ST_bEUlT_E_NS1_11comp_targetILNS1_3genE10ELNS1_11target_archE1201ELNS1_3gpuE5ELNS1_3repE0EEENS1_30default_config_static_selectorELNS0_4arch9wavefront6targetE0EEEvT1_.uses_vcc, 0
	.set _ZN7rocprim17ROCPRIM_400000_NS6detail17trampoline_kernelINS0_14default_configENS1_25transform_config_selectorIlLb0EEEZNS1_14transform_implILb0ES3_S5_NS0_18transform_iteratorINS0_17counting_iteratorImlEEZNS1_24adjacent_difference_implIS3_Lb1ELb0EPlSB_ZN2at6native12_GLOBAL__N_124unique_dim_cuda_templateIiEESt5tupleIJNSC_6TensorESH_SH_EERKSH_lbbbEUlllE1_EE10hipError_tPvRmT2_T3_mT4_P12ihipStream_tbEUlmE_lEESB_NS0_8identityIvEEEESM_SP_SQ_mSR_ST_bEUlT_E_NS1_11comp_targetILNS1_3genE10ELNS1_11target_archE1201ELNS1_3gpuE5ELNS1_3repE0EEENS1_30default_config_static_selectorELNS0_4arch9wavefront6targetE0EEEvT1_.uses_flat_scratch, 0
	.set _ZN7rocprim17ROCPRIM_400000_NS6detail17trampoline_kernelINS0_14default_configENS1_25transform_config_selectorIlLb0EEEZNS1_14transform_implILb0ES3_S5_NS0_18transform_iteratorINS0_17counting_iteratorImlEEZNS1_24adjacent_difference_implIS3_Lb1ELb0EPlSB_ZN2at6native12_GLOBAL__N_124unique_dim_cuda_templateIiEESt5tupleIJNSC_6TensorESH_SH_EERKSH_lbbbEUlllE1_EE10hipError_tPvRmT2_T3_mT4_P12ihipStream_tbEUlmE_lEESB_NS0_8identityIvEEEESM_SP_SQ_mSR_ST_bEUlT_E_NS1_11comp_targetILNS1_3genE10ELNS1_11target_archE1201ELNS1_3gpuE5ELNS1_3repE0EEENS1_30default_config_static_selectorELNS0_4arch9wavefront6targetE0EEEvT1_.has_dyn_sized_stack, 0
	.set _ZN7rocprim17ROCPRIM_400000_NS6detail17trampoline_kernelINS0_14default_configENS1_25transform_config_selectorIlLb0EEEZNS1_14transform_implILb0ES3_S5_NS0_18transform_iteratorINS0_17counting_iteratorImlEEZNS1_24adjacent_difference_implIS3_Lb1ELb0EPlSB_ZN2at6native12_GLOBAL__N_124unique_dim_cuda_templateIiEESt5tupleIJNSC_6TensorESH_SH_EERKSH_lbbbEUlllE1_EE10hipError_tPvRmT2_T3_mT4_P12ihipStream_tbEUlmE_lEESB_NS0_8identityIvEEEESM_SP_SQ_mSR_ST_bEUlT_E_NS1_11comp_targetILNS1_3genE10ELNS1_11target_archE1201ELNS1_3gpuE5ELNS1_3repE0EEENS1_30default_config_static_selectorELNS0_4arch9wavefront6targetE0EEEvT1_.has_recursion, 0
	.set _ZN7rocprim17ROCPRIM_400000_NS6detail17trampoline_kernelINS0_14default_configENS1_25transform_config_selectorIlLb0EEEZNS1_14transform_implILb0ES3_S5_NS0_18transform_iteratorINS0_17counting_iteratorImlEEZNS1_24adjacent_difference_implIS3_Lb1ELb0EPlSB_ZN2at6native12_GLOBAL__N_124unique_dim_cuda_templateIiEESt5tupleIJNSC_6TensorESH_SH_EERKSH_lbbbEUlllE1_EE10hipError_tPvRmT2_T3_mT4_P12ihipStream_tbEUlmE_lEESB_NS0_8identityIvEEEESM_SP_SQ_mSR_ST_bEUlT_E_NS1_11comp_targetILNS1_3genE10ELNS1_11target_archE1201ELNS1_3gpuE5ELNS1_3repE0EEENS1_30default_config_static_selectorELNS0_4arch9wavefront6targetE0EEEvT1_.has_indirect_call, 0
	.section	.AMDGPU.csdata,"",@progbits
; Kernel info:
; codeLenInByte = 0
; TotalNumSgprs: 0
; NumVgprs: 0
; ScratchSize: 0
; MemoryBound: 0
; FloatMode: 240
; IeeeMode: 1
; LDSByteSize: 0 bytes/workgroup (compile time only)
; SGPRBlocks: 0
; VGPRBlocks: 0
; NumSGPRsForWavesPerEU: 1
; NumVGPRsForWavesPerEU: 1
; NamedBarCnt: 0
; Occupancy: 16
; WaveLimiterHint : 0
; COMPUTE_PGM_RSRC2:SCRATCH_EN: 0
; COMPUTE_PGM_RSRC2:USER_SGPR: 2
; COMPUTE_PGM_RSRC2:TRAP_HANDLER: 0
; COMPUTE_PGM_RSRC2:TGID_X_EN: 1
; COMPUTE_PGM_RSRC2:TGID_Y_EN: 0
; COMPUTE_PGM_RSRC2:TGID_Z_EN: 0
; COMPUTE_PGM_RSRC2:TIDIG_COMP_CNT: 0
	.section	.text._ZN7rocprim17ROCPRIM_400000_NS6detail17trampoline_kernelINS0_14default_configENS1_25transform_config_selectorIlLb0EEEZNS1_14transform_implILb0ES3_S5_NS0_18transform_iteratorINS0_17counting_iteratorImlEEZNS1_24adjacent_difference_implIS3_Lb1ELb0EPlSB_ZN2at6native12_GLOBAL__N_124unique_dim_cuda_templateIiEESt5tupleIJNSC_6TensorESH_SH_EERKSH_lbbbEUlllE1_EE10hipError_tPvRmT2_T3_mT4_P12ihipStream_tbEUlmE_lEESB_NS0_8identityIvEEEESM_SP_SQ_mSR_ST_bEUlT_E_NS1_11comp_targetILNS1_3genE10ELNS1_11target_archE1200ELNS1_3gpuE4ELNS1_3repE0EEENS1_30default_config_static_selectorELNS0_4arch9wavefront6targetE0EEEvT1_,"axG",@progbits,_ZN7rocprim17ROCPRIM_400000_NS6detail17trampoline_kernelINS0_14default_configENS1_25transform_config_selectorIlLb0EEEZNS1_14transform_implILb0ES3_S5_NS0_18transform_iteratorINS0_17counting_iteratorImlEEZNS1_24adjacent_difference_implIS3_Lb1ELb0EPlSB_ZN2at6native12_GLOBAL__N_124unique_dim_cuda_templateIiEESt5tupleIJNSC_6TensorESH_SH_EERKSH_lbbbEUlllE1_EE10hipError_tPvRmT2_T3_mT4_P12ihipStream_tbEUlmE_lEESB_NS0_8identityIvEEEESM_SP_SQ_mSR_ST_bEUlT_E_NS1_11comp_targetILNS1_3genE10ELNS1_11target_archE1200ELNS1_3gpuE4ELNS1_3repE0EEENS1_30default_config_static_selectorELNS0_4arch9wavefront6targetE0EEEvT1_,comdat
	.globl	_ZN7rocprim17ROCPRIM_400000_NS6detail17trampoline_kernelINS0_14default_configENS1_25transform_config_selectorIlLb0EEEZNS1_14transform_implILb0ES3_S5_NS0_18transform_iteratorINS0_17counting_iteratorImlEEZNS1_24adjacent_difference_implIS3_Lb1ELb0EPlSB_ZN2at6native12_GLOBAL__N_124unique_dim_cuda_templateIiEESt5tupleIJNSC_6TensorESH_SH_EERKSH_lbbbEUlllE1_EE10hipError_tPvRmT2_T3_mT4_P12ihipStream_tbEUlmE_lEESB_NS0_8identityIvEEEESM_SP_SQ_mSR_ST_bEUlT_E_NS1_11comp_targetILNS1_3genE10ELNS1_11target_archE1200ELNS1_3gpuE4ELNS1_3repE0EEENS1_30default_config_static_selectorELNS0_4arch9wavefront6targetE0EEEvT1_ ; -- Begin function _ZN7rocprim17ROCPRIM_400000_NS6detail17trampoline_kernelINS0_14default_configENS1_25transform_config_selectorIlLb0EEEZNS1_14transform_implILb0ES3_S5_NS0_18transform_iteratorINS0_17counting_iteratorImlEEZNS1_24adjacent_difference_implIS3_Lb1ELb0EPlSB_ZN2at6native12_GLOBAL__N_124unique_dim_cuda_templateIiEESt5tupleIJNSC_6TensorESH_SH_EERKSH_lbbbEUlllE1_EE10hipError_tPvRmT2_T3_mT4_P12ihipStream_tbEUlmE_lEESB_NS0_8identityIvEEEESM_SP_SQ_mSR_ST_bEUlT_E_NS1_11comp_targetILNS1_3genE10ELNS1_11target_archE1200ELNS1_3gpuE4ELNS1_3repE0EEENS1_30default_config_static_selectorELNS0_4arch9wavefront6targetE0EEEvT1_
	.p2align	8
	.type	_ZN7rocprim17ROCPRIM_400000_NS6detail17trampoline_kernelINS0_14default_configENS1_25transform_config_selectorIlLb0EEEZNS1_14transform_implILb0ES3_S5_NS0_18transform_iteratorINS0_17counting_iteratorImlEEZNS1_24adjacent_difference_implIS3_Lb1ELb0EPlSB_ZN2at6native12_GLOBAL__N_124unique_dim_cuda_templateIiEESt5tupleIJNSC_6TensorESH_SH_EERKSH_lbbbEUlllE1_EE10hipError_tPvRmT2_T3_mT4_P12ihipStream_tbEUlmE_lEESB_NS0_8identityIvEEEESM_SP_SQ_mSR_ST_bEUlT_E_NS1_11comp_targetILNS1_3genE10ELNS1_11target_archE1200ELNS1_3gpuE4ELNS1_3repE0EEENS1_30default_config_static_selectorELNS0_4arch9wavefront6targetE0EEEvT1_,@function
_ZN7rocprim17ROCPRIM_400000_NS6detail17trampoline_kernelINS0_14default_configENS1_25transform_config_selectorIlLb0EEEZNS1_14transform_implILb0ES3_S5_NS0_18transform_iteratorINS0_17counting_iteratorImlEEZNS1_24adjacent_difference_implIS3_Lb1ELb0EPlSB_ZN2at6native12_GLOBAL__N_124unique_dim_cuda_templateIiEESt5tupleIJNSC_6TensorESH_SH_EERKSH_lbbbEUlllE1_EE10hipError_tPvRmT2_T3_mT4_P12ihipStream_tbEUlmE_lEESB_NS0_8identityIvEEEESM_SP_SQ_mSR_ST_bEUlT_E_NS1_11comp_targetILNS1_3genE10ELNS1_11target_archE1200ELNS1_3gpuE4ELNS1_3repE0EEENS1_30default_config_static_selectorELNS0_4arch9wavefront6targetE0EEEvT1_: ; @_ZN7rocprim17ROCPRIM_400000_NS6detail17trampoline_kernelINS0_14default_configENS1_25transform_config_selectorIlLb0EEEZNS1_14transform_implILb0ES3_S5_NS0_18transform_iteratorINS0_17counting_iteratorImlEEZNS1_24adjacent_difference_implIS3_Lb1ELb0EPlSB_ZN2at6native12_GLOBAL__N_124unique_dim_cuda_templateIiEESt5tupleIJNSC_6TensorESH_SH_EERKSH_lbbbEUlllE1_EE10hipError_tPvRmT2_T3_mT4_P12ihipStream_tbEUlmE_lEESB_NS0_8identityIvEEEESM_SP_SQ_mSR_ST_bEUlT_E_NS1_11comp_targetILNS1_3genE10ELNS1_11target_archE1200ELNS1_3gpuE4ELNS1_3repE0EEENS1_30default_config_static_selectorELNS0_4arch9wavefront6targetE0EEEvT1_
; %bb.0:
	.section	.rodata,"a",@progbits
	.p2align	6, 0x0
	.amdhsa_kernel _ZN7rocprim17ROCPRIM_400000_NS6detail17trampoline_kernelINS0_14default_configENS1_25transform_config_selectorIlLb0EEEZNS1_14transform_implILb0ES3_S5_NS0_18transform_iteratorINS0_17counting_iteratorImlEEZNS1_24adjacent_difference_implIS3_Lb1ELb0EPlSB_ZN2at6native12_GLOBAL__N_124unique_dim_cuda_templateIiEESt5tupleIJNSC_6TensorESH_SH_EERKSH_lbbbEUlllE1_EE10hipError_tPvRmT2_T3_mT4_P12ihipStream_tbEUlmE_lEESB_NS0_8identityIvEEEESM_SP_SQ_mSR_ST_bEUlT_E_NS1_11comp_targetILNS1_3genE10ELNS1_11target_archE1200ELNS1_3gpuE4ELNS1_3repE0EEENS1_30default_config_static_selectorELNS0_4arch9wavefront6targetE0EEEvT1_
		.amdhsa_group_segment_fixed_size 0
		.amdhsa_private_segment_fixed_size 0
		.amdhsa_kernarg_size 56
		.amdhsa_user_sgpr_count 2
		.amdhsa_user_sgpr_dispatch_ptr 0
		.amdhsa_user_sgpr_queue_ptr 0
		.amdhsa_user_sgpr_kernarg_segment_ptr 1
		.amdhsa_user_sgpr_dispatch_id 0
		.amdhsa_user_sgpr_kernarg_preload_length 0
		.amdhsa_user_sgpr_kernarg_preload_offset 0
		.amdhsa_user_sgpr_private_segment_size 0
		.amdhsa_wavefront_size32 1
		.amdhsa_uses_dynamic_stack 0
		.amdhsa_enable_private_segment 0
		.amdhsa_system_sgpr_workgroup_id_x 1
		.amdhsa_system_sgpr_workgroup_id_y 0
		.amdhsa_system_sgpr_workgroup_id_z 0
		.amdhsa_system_sgpr_workgroup_info 0
		.amdhsa_system_vgpr_workitem_id 0
		.amdhsa_next_free_vgpr 1
		.amdhsa_next_free_sgpr 1
		.amdhsa_named_barrier_count 0
		.amdhsa_reserve_vcc 0
		.amdhsa_float_round_mode_32 0
		.amdhsa_float_round_mode_16_64 0
		.amdhsa_float_denorm_mode_32 3
		.amdhsa_float_denorm_mode_16_64 3
		.amdhsa_fp16_overflow 0
		.amdhsa_memory_ordered 1
		.amdhsa_forward_progress 1
		.amdhsa_inst_pref_size 0
		.amdhsa_round_robin_scheduling 0
		.amdhsa_exception_fp_ieee_invalid_op 0
		.amdhsa_exception_fp_denorm_src 0
		.amdhsa_exception_fp_ieee_div_zero 0
		.amdhsa_exception_fp_ieee_overflow 0
		.amdhsa_exception_fp_ieee_underflow 0
		.amdhsa_exception_fp_ieee_inexact 0
		.amdhsa_exception_int_div_zero 0
	.end_amdhsa_kernel
	.section	.text._ZN7rocprim17ROCPRIM_400000_NS6detail17trampoline_kernelINS0_14default_configENS1_25transform_config_selectorIlLb0EEEZNS1_14transform_implILb0ES3_S5_NS0_18transform_iteratorINS0_17counting_iteratorImlEEZNS1_24adjacent_difference_implIS3_Lb1ELb0EPlSB_ZN2at6native12_GLOBAL__N_124unique_dim_cuda_templateIiEESt5tupleIJNSC_6TensorESH_SH_EERKSH_lbbbEUlllE1_EE10hipError_tPvRmT2_T3_mT4_P12ihipStream_tbEUlmE_lEESB_NS0_8identityIvEEEESM_SP_SQ_mSR_ST_bEUlT_E_NS1_11comp_targetILNS1_3genE10ELNS1_11target_archE1200ELNS1_3gpuE4ELNS1_3repE0EEENS1_30default_config_static_selectorELNS0_4arch9wavefront6targetE0EEEvT1_,"axG",@progbits,_ZN7rocprim17ROCPRIM_400000_NS6detail17trampoline_kernelINS0_14default_configENS1_25transform_config_selectorIlLb0EEEZNS1_14transform_implILb0ES3_S5_NS0_18transform_iteratorINS0_17counting_iteratorImlEEZNS1_24adjacent_difference_implIS3_Lb1ELb0EPlSB_ZN2at6native12_GLOBAL__N_124unique_dim_cuda_templateIiEESt5tupleIJNSC_6TensorESH_SH_EERKSH_lbbbEUlllE1_EE10hipError_tPvRmT2_T3_mT4_P12ihipStream_tbEUlmE_lEESB_NS0_8identityIvEEEESM_SP_SQ_mSR_ST_bEUlT_E_NS1_11comp_targetILNS1_3genE10ELNS1_11target_archE1200ELNS1_3gpuE4ELNS1_3repE0EEENS1_30default_config_static_selectorELNS0_4arch9wavefront6targetE0EEEvT1_,comdat
.Lfunc_end430:
	.size	_ZN7rocprim17ROCPRIM_400000_NS6detail17trampoline_kernelINS0_14default_configENS1_25transform_config_selectorIlLb0EEEZNS1_14transform_implILb0ES3_S5_NS0_18transform_iteratorINS0_17counting_iteratorImlEEZNS1_24adjacent_difference_implIS3_Lb1ELb0EPlSB_ZN2at6native12_GLOBAL__N_124unique_dim_cuda_templateIiEESt5tupleIJNSC_6TensorESH_SH_EERKSH_lbbbEUlllE1_EE10hipError_tPvRmT2_T3_mT4_P12ihipStream_tbEUlmE_lEESB_NS0_8identityIvEEEESM_SP_SQ_mSR_ST_bEUlT_E_NS1_11comp_targetILNS1_3genE10ELNS1_11target_archE1200ELNS1_3gpuE4ELNS1_3repE0EEENS1_30default_config_static_selectorELNS0_4arch9wavefront6targetE0EEEvT1_, .Lfunc_end430-_ZN7rocprim17ROCPRIM_400000_NS6detail17trampoline_kernelINS0_14default_configENS1_25transform_config_selectorIlLb0EEEZNS1_14transform_implILb0ES3_S5_NS0_18transform_iteratorINS0_17counting_iteratorImlEEZNS1_24adjacent_difference_implIS3_Lb1ELb0EPlSB_ZN2at6native12_GLOBAL__N_124unique_dim_cuda_templateIiEESt5tupleIJNSC_6TensorESH_SH_EERKSH_lbbbEUlllE1_EE10hipError_tPvRmT2_T3_mT4_P12ihipStream_tbEUlmE_lEESB_NS0_8identityIvEEEESM_SP_SQ_mSR_ST_bEUlT_E_NS1_11comp_targetILNS1_3genE10ELNS1_11target_archE1200ELNS1_3gpuE4ELNS1_3repE0EEENS1_30default_config_static_selectorELNS0_4arch9wavefront6targetE0EEEvT1_
                                        ; -- End function
	.set _ZN7rocprim17ROCPRIM_400000_NS6detail17trampoline_kernelINS0_14default_configENS1_25transform_config_selectorIlLb0EEEZNS1_14transform_implILb0ES3_S5_NS0_18transform_iteratorINS0_17counting_iteratorImlEEZNS1_24adjacent_difference_implIS3_Lb1ELb0EPlSB_ZN2at6native12_GLOBAL__N_124unique_dim_cuda_templateIiEESt5tupleIJNSC_6TensorESH_SH_EERKSH_lbbbEUlllE1_EE10hipError_tPvRmT2_T3_mT4_P12ihipStream_tbEUlmE_lEESB_NS0_8identityIvEEEESM_SP_SQ_mSR_ST_bEUlT_E_NS1_11comp_targetILNS1_3genE10ELNS1_11target_archE1200ELNS1_3gpuE4ELNS1_3repE0EEENS1_30default_config_static_selectorELNS0_4arch9wavefront6targetE0EEEvT1_.num_vgpr, 0
	.set _ZN7rocprim17ROCPRIM_400000_NS6detail17trampoline_kernelINS0_14default_configENS1_25transform_config_selectorIlLb0EEEZNS1_14transform_implILb0ES3_S5_NS0_18transform_iteratorINS0_17counting_iteratorImlEEZNS1_24adjacent_difference_implIS3_Lb1ELb0EPlSB_ZN2at6native12_GLOBAL__N_124unique_dim_cuda_templateIiEESt5tupleIJNSC_6TensorESH_SH_EERKSH_lbbbEUlllE1_EE10hipError_tPvRmT2_T3_mT4_P12ihipStream_tbEUlmE_lEESB_NS0_8identityIvEEEESM_SP_SQ_mSR_ST_bEUlT_E_NS1_11comp_targetILNS1_3genE10ELNS1_11target_archE1200ELNS1_3gpuE4ELNS1_3repE0EEENS1_30default_config_static_selectorELNS0_4arch9wavefront6targetE0EEEvT1_.num_agpr, 0
	.set _ZN7rocprim17ROCPRIM_400000_NS6detail17trampoline_kernelINS0_14default_configENS1_25transform_config_selectorIlLb0EEEZNS1_14transform_implILb0ES3_S5_NS0_18transform_iteratorINS0_17counting_iteratorImlEEZNS1_24adjacent_difference_implIS3_Lb1ELb0EPlSB_ZN2at6native12_GLOBAL__N_124unique_dim_cuda_templateIiEESt5tupleIJNSC_6TensorESH_SH_EERKSH_lbbbEUlllE1_EE10hipError_tPvRmT2_T3_mT4_P12ihipStream_tbEUlmE_lEESB_NS0_8identityIvEEEESM_SP_SQ_mSR_ST_bEUlT_E_NS1_11comp_targetILNS1_3genE10ELNS1_11target_archE1200ELNS1_3gpuE4ELNS1_3repE0EEENS1_30default_config_static_selectorELNS0_4arch9wavefront6targetE0EEEvT1_.numbered_sgpr, 0
	.set _ZN7rocprim17ROCPRIM_400000_NS6detail17trampoline_kernelINS0_14default_configENS1_25transform_config_selectorIlLb0EEEZNS1_14transform_implILb0ES3_S5_NS0_18transform_iteratorINS0_17counting_iteratorImlEEZNS1_24adjacent_difference_implIS3_Lb1ELb0EPlSB_ZN2at6native12_GLOBAL__N_124unique_dim_cuda_templateIiEESt5tupleIJNSC_6TensorESH_SH_EERKSH_lbbbEUlllE1_EE10hipError_tPvRmT2_T3_mT4_P12ihipStream_tbEUlmE_lEESB_NS0_8identityIvEEEESM_SP_SQ_mSR_ST_bEUlT_E_NS1_11comp_targetILNS1_3genE10ELNS1_11target_archE1200ELNS1_3gpuE4ELNS1_3repE0EEENS1_30default_config_static_selectorELNS0_4arch9wavefront6targetE0EEEvT1_.num_named_barrier, 0
	.set _ZN7rocprim17ROCPRIM_400000_NS6detail17trampoline_kernelINS0_14default_configENS1_25transform_config_selectorIlLb0EEEZNS1_14transform_implILb0ES3_S5_NS0_18transform_iteratorINS0_17counting_iteratorImlEEZNS1_24adjacent_difference_implIS3_Lb1ELb0EPlSB_ZN2at6native12_GLOBAL__N_124unique_dim_cuda_templateIiEESt5tupleIJNSC_6TensorESH_SH_EERKSH_lbbbEUlllE1_EE10hipError_tPvRmT2_T3_mT4_P12ihipStream_tbEUlmE_lEESB_NS0_8identityIvEEEESM_SP_SQ_mSR_ST_bEUlT_E_NS1_11comp_targetILNS1_3genE10ELNS1_11target_archE1200ELNS1_3gpuE4ELNS1_3repE0EEENS1_30default_config_static_selectorELNS0_4arch9wavefront6targetE0EEEvT1_.private_seg_size, 0
	.set _ZN7rocprim17ROCPRIM_400000_NS6detail17trampoline_kernelINS0_14default_configENS1_25transform_config_selectorIlLb0EEEZNS1_14transform_implILb0ES3_S5_NS0_18transform_iteratorINS0_17counting_iteratorImlEEZNS1_24adjacent_difference_implIS3_Lb1ELb0EPlSB_ZN2at6native12_GLOBAL__N_124unique_dim_cuda_templateIiEESt5tupleIJNSC_6TensorESH_SH_EERKSH_lbbbEUlllE1_EE10hipError_tPvRmT2_T3_mT4_P12ihipStream_tbEUlmE_lEESB_NS0_8identityIvEEEESM_SP_SQ_mSR_ST_bEUlT_E_NS1_11comp_targetILNS1_3genE10ELNS1_11target_archE1200ELNS1_3gpuE4ELNS1_3repE0EEENS1_30default_config_static_selectorELNS0_4arch9wavefront6targetE0EEEvT1_.uses_vcc, 0
	.set _ZN7rocprim17ROCPRIM_400000_NS6detail17trampoline_kernelINS0_14default_configENS1_25transform_config_selectorIlLb0EEEZNS1_14transform_implILb0ES3_S5_NS0_18transform_iteratorINS0_17counting_iteratorImlEEZNS1_24adjacent_difference_implIS3_Lb1ELb0EPlSB_ZN2at6native12_GLOBAL__N_124unique_dim_cuda_templateIiEESt5tupleIJNSC_6TensorESH_SH_EERKSH_lbbbEUlllE1_EE10hipError_tPvRmT2_T3_mT4_P12ihipStream_tbEUlmE_lEESB_NS0_8identityIvEEEESM_SP_SQ_mSR_ST_bEUlT_E_NS1_11comp_targetILNS1_3genE10ELNS1_11target_archE1200ELNS1_3gpuE4ELNS1_3repE0EEENS1_30default_config_static_selectorELNS0_4arch9wavefront6targetE0EEEvT1_.uses_flat_scratch, 0
	.set _ZN7rocprim17ROCPRIM_400000_NS6detail17trampoline_kernelINS0_14default_configENS1_25transform_config_selectorIlLb0EEEZNS1_14transform_implILb0ES3_S5_NS0_18transform_iteratorINS0_17counting_iteratorImlEEZNS1_24adjacent_difference_implIS3_Lb1ELb0EPlSB_ZN2at6native12_GLOBAL__N_124unique_dim_cuda_templateIiEESt5tupleIJNSC_6TensorESH_SH_EERKSH_lbbbEUlllE1_EE10hipError_tPvRmT2_T3_mT4_P12ihipStream_tbEUlmE_lEESB_NS0_8identityIvEEEESM_SP_SQ_mSR_ST_bEUlT_E_NS1_11comp_targetILNS1_3genE10ELNS1_11target_archE1200ELNS1_3gpuE4ELNS1_3repE0EEENS1_30default_config_static_selectorELNS0_4arch9wavefront6targetE0EEEvT1_.has_dyn_sized_stack, 0
	.set _ZN7rocprim17ROCPRIM_400000_NS6detail17trampoline_kernelINS0_14default_configENS1_25transform_config_selectorIlLb0EEEZNS1_14transform_implILb0ES3_S5_NS0_18transform_iteratorINS0_17counting_iteratorImlEEZNS1_24adjacent_difference_implIS3_Lb1ELb0EPlSB_ZN2at6native12_GLOBAL__N_124unique_dim_cuda_templateIiEESt5tupleIJNSC_6TensorESH_SH_EERKSH_lbbbEUlllE1_EE10hipError_tPvRmT2_T3_mT4_P12ihipStream_tbEUlmE_lEESB_NS0_8identityIvEEEESM_SP_SQ_mSR_ST_bEUlT_E_NS1_11comp_targetILNS1_3genE10ELNS1_11target_archE1200ELNS1_3gpuE4ELNS1_3repE0EEENS1_30default_config_static_selectorELNS0_4arch9wavefront6targetE0EEEvT1_.has_recursion, 0
	.set _ZN7rocprim17ROCPRIM_400000_NS6detail17trampoline_kernelINS0_14default_configENS1_25transform_config_selectorIlLb0EEEZNS1_14transform_implILb0ES3_S5_NS0_18transform_iteratorINS0_17counting_iteratorImlEEZNS1_24adjacent_difference_implIS3_Lb1ELb0EPlSB_ZN2at6native12_GLOBAL__N_124unique_dim_cuda_templateIiEESt5tupleIJNSC_6TensorESH_SH_EERKSH_lbbbEUlllE1_EE10hipError_tPvRmT2_T3_mT4_P12ihipStream_tbEUlmE_lEESB_NS0_8identityIvEEEESM_SP_SQ_mSR_ST_bEUlT_E_NS1_11comp_targetILNS1_3genE10ELNS1_11target_archE1200ELNS1_3gpuE4ELNS1_3repE0EEENS1_30default_config_static_selectorELNS0_4arch9wavefront6targetE0EEEvT1_.has_indirect_call, 0
	.section	.AMDGPU.csdata,"",@progbits
; Kernel info:
; codeLenInByte = 0
; TotalNumSgprs: 0
; NumVgprs: 0
; ScratchSize: 0
; MemoryBound: 0
; FloatMode: 240
; IeeeMode: 1
; LDSByteSize: 0 bytes/workgroup (compile time only)
; SGPRBlocks: 0
; VGPRBlocks: 0
; NumSGPRsForWavesPerEU: 1
; NumVGPRsForWavesPerEU: 1
; NamedBarCnt: 0
; Occupancy: 16
; WaveLimiterHint : 0
; COMPUTE_PGM_RSRC2:SCRATCH_EN: 0
; COMPUTE_PGM_RSRC2:USER_SGPR: 2
; COMPUTE_PGM_RSRC2:TRAP_HANDLER: 0
; COMPUTE_PGM_RSRC2:TGID_X_EN: 1
; COMPUTE_PGM_RSRC2:TGID_Y_EN: 0
; COMPUTE_PGM_RSRC2:TGID_Z_EN: 0
; COMPUTE_PGM_RSRC2:TIDIG_COMP_CNT: 0
	.section	.text._ZN7rocprim17ROCPRIM_400000_NS6detail17trampoline_kernelINS0_14default_configENS1_25transform_config_selectorIlLb0EEEZNS1_14transform_implILb0ES3_S5_NS0_18transform_iteratorINS0_17counting_iteratorImlEEZNS1_24adjacent_difference_implIS3_Lb1ELb0EPlSB_ZN2at6native12_GLOBAL__N_124unique_dim_cuda_templateIiEESt5tupleIJNSC_6TensorESH_SH_EERKSH_lbbbEUlllE1_EE10hipError_tPvRmT2_T3_mT4_P12ihipStream_tbEUlmE_lEESB_NS0_8identityIvEEEESM_SP_SQ_mSR_ST_bEUlT_E_NS1_11comp_targetILNS1_3genE9ELNS1_11target_archE1100ELNS1_3gpuE3ELNS1_3repE0EEENS1_30default_config_static_selectorELNS0_4arch9wavefront6targetE0EEEvT1_,"axG",@progbits,_ZN7rocprim17ROCPRIM_400000_NS6detail17trampoline_kernelINS0_14default_configENS1_25transform_config_selectorIlLb0EEEZNS1_14transform_implILb0ES3_S5_NS0_18transform_iteratorINS0_17counting_iteratorImlEEZNS1_24adjacent_difference_implIS3_Lb1ELb0EPlSB_ZN2at6native12_GLOBAL__N_124unique_dim_cuda_templateIiEESt5tupleIJNSC_6TensorESH_SH_EERKSH_lbbbEUlllE1_EE10hipError_tPvRmT2_T3_mT4_P12ihipStream_tbEUlmE_lEESB_NS0_8identityIvEEEESM_SP_SQ_mSR_ST_bEUlT_E_NS1_11comp_targetILNS1_3genE9ELNS1_11target_archE1100ELNS1_3gpuE3ELNS1_3repE0EEENS1_30default_config_static_selectorELNS0_4arch9wavefront6targetE0EEEvT1_,comdat
	.globl	_ZN7rocprim17ROCPRIM_400000_NS6detail17trampoline_kernelINS0_14default_configENS1_25transform_config_selectorIlLb0EEEZNS1_14transform_implILb0ES3_S5_NS0_18transform_iteratorINS0_17counting_iteratorImlEEZNS1_24adjacent_difference_implIS3_Lb1ELb0EPlSB_ZN2at6native12_GLOBAL__N_124unique_dim_cuda_templateIiEESt5tupleIJNSC_6TensorESH_SH_EERKSH_lbbbEUlllE1_EE10hipError_tPvRmT2_T3_mT4_P12ihipStream_tbEUlmE_lEESB_NS0_8identityIvEEEESM_SP_SQ_mSR_ST_bEUlT_E_NS1_11comp_targetILNS1_3genE9ELNS1_11target_archE1100ELNS1_3gpuE3ELNS1_3repE0EEENS1_30default_config_static_selectorELNS0_4arch9wavefront6targetE0EEEvT1_ ; -- Begin function _ZN7rocprim17ROCPRIM_400000_NS6detail17trampoline_kernelINS0_14default_configENS1_25transform_config_selectorIlLb0EEEZNS1_14transform_implILb0ES3_S5_NS0_18transform_iteratorINS0_17counting_iteratorImlEEZNS1_24adjacent_difference_implIS3_Lb1ELb0EPlSB_ZN2at6native12_GLOBAL__N_124unique_dim_cuda_templateIiEESt5tupleIJNSC_6TensorESH_SH_EERKSH_lbbbEUlllE1_EE10hipError_tPvRmT2_T3_mT4_P12ihipStream_tbEUlmE_lEESB_NS0_8identityIvEEEESM_SP_SQ_mSR_ST_bEUlT_E_NS1_11comp_targetILNS1_3genE9ELNS1_11target_archE1100ELNS1_3gpuE3ELNS1_3repE0EEENS1_30default_config_static_selectorELNS0_4arch9wavefront6targetE0EEEvT1_
	.p2align	8
	.type	_ZN7rocprim17ROCPRIM_400000_NS6detail17trampoline_kernelINS0_14default_configENS1_25transform_config_selectorIlLb0EEEZNS1_14transform_implILb0ES3_S5_NS0_18transform_iteratorINS0_17counting_iteratorImlEEZNS1_24adjacent_difference_implIS3_Lb1ELb0EPlSB_ZN2at6native12_GLOBAL__N_124unique_dim_cuda_templateIiEESt5tupleIJNSC_6TensorESH_SH_EERKSH_lbbbEUlllE1_EE10hipError_tPvRmT2_T3_mT4_P12ihipStream_tbEUlmE_lEESB_NS0_8identityIvEEEESM_SP_SQ_mSR_ST_bEUlT_E_NS1_11comp_targetILNS1_3genE9ELNS1_11target_archE1100ELNS1_3gpuE3ELNS1_3repE0EEENS1_30default_config_static_selectorELNS0_4arch9wavefront6targetE0EEEvT1_,@function
_ZN7rocprim17ROCPRIM_400000_NS6detail17trampoline_kernelINS0_14default_configENS1_25transform_config_selectorIlLb0EEEZNS1_14transform_implILb0ES3_S5_NS0_18transform_iteratorINS0_17counting_iteratorImlEEZNS1_24adjacent_difference_implIS3_Lb1ELb0EPlSB_ZN2at6native12_GLOBAL__N_124unique_dim_cuda_templateIiEESt5tupleIJNSC_6TensorESH_SH_EERKSH_lbbbEUlllE1_EE10hipError_tPvRmT2_T3_mT4_P12ihipStream_tbEUlmE_lEESB_NS0_8identityIvEEEESM_SP_SQ_mSR_ST_bEUlT_E_NS1_11comp_targetILNS1_3genE9ELNS1_11target_archE1100ELNS1_3gpuE3ELNS1_3repE0EEENS1_30default_config_static_selectorELNS0_4arch9wavefront6targetE0EEEvT1_: ; @_ZN7rocprim17ROCPRIM_400000_NS6detail17trampoline_kernelINS0_14default_configENS1_25transform_config_selectorIlLb0EEEZNS1_14transform_implILb0ES3_S5_NS0_18transform_iteratorINS0_17counting_iteratorImlEEZNS1_24adjacent_difference_implIS3_Lb1ELb0EPlSB_ZN2at6native12_GLOBAL__N_124unique_dim_cuda_templateIiEESt5tupleIJNSC_6TensorESH_SH_EERKSH_lbbbEUlllE1_EE10hipError_tPvRmT2_T3_mT4_P12ihipStream_tbEUlmE_lEESB_NS0_8identityIvEEEESM_SP_SQ_mSR_ST_bEUlT_E_NS1_11comp_targetILNS1_3genE9ELNS1_11target_archE1100ELNS1_3gpuE3ELNS1_3repE0EEENS1_30default_config_static_selectorELNS0_4arch9wavefront6targetE0EEEvT1_
; %bb.0:
	.section	.rodata,"a",@progbits
	.p2align	6, 0x0
	.amdhsa_kernel _ZN7rocprim17ROCPRIM_400000_NS6detail17trampoline_kernelINS0_14default_configENS1_25transform_config_selectorIlLb0EEEZNS1_14transform_implILb0ES3_S5_NS0_18transform_iteratorINS0_17counting_iteratorImlEEZNS1_24adjacent_difference_implIS3_Lb1ELb0EPlSB_ZN2at6native12_GLOBAL__N_124unique_dim_cuda_templateIiEESt5tupleIJNSC_6TensorESH_SH_EERKSH_lbbbEUlllE1_EE10hipError_tPvRmT2_T3_mT4_P12ihipStream_tbEUlmE_lEESB_NS0_8identityIvEEEESM_SP_SQ_mSR_ST_bEUlT_E_NS1_11comp_targetILNS1_3genE9ELNS1_11target_archE1100ELNS1_3gpuE3ELNS1_3repE0EEENS1_30default_config_static_selectorELNS0_4arch9wavefront6targetE0EEEvT1_
		.amdhsa_group_segment_fixed_size 0
		.amdhsa_private_segment_fixed_size 0
		.amdhsa_kernarg_size 56
		.amdhsa_user_sgpr_count 2
		.amdhsa_user_sgpr_dispatch_ptr 0
		.amdhsa_user_sgpr_queue_ptr 0
		.amdhsa_user_sgpr_kernarg_segment_ptr 1
		.amdhsa_user_sgpr_dispatch_id 0
		.amdhsa_user_sgpr_kernarg_preload_length 0
		.amdhsa_user_sgpr_kernarg_preload_offset 0
		.amdhsa_user_sgpr_private_segment_size 0
		.amdhsa_wavefront_size32 1
		.amdhsa_uses_dynamic_stack 0
		.amdhsa_enable_private_segment 0
		.amdhsa_system_sgpr_workgroup_id_x 1
		.amdhsa_system_sgpr_workgroup_id_y 0
		.amdhsa_system_sgpr_workgroup_id_z 0
		.amdhsa_system_sgpr_workgroup_info 0
		.amdhsa_system_vgpr_workitem_id 0
		.amdhsa_next_free_vgpr 1
		.amdhsa_next_free_sgpr 1
		.amdhsa_named_barrier_count 0
		.amdhsa_reserve_vcc 0
		.amdhsa_float_round_mode_32 0
		.amdhsa_float_round_mode_16_64 0
		.amdhsa_float_denorm_mode_32 3
		.amdhsa_float_denorm_mode_16_64 3
		.amdhsa_fp16_overflow 0
		.amdhsa_memory_ordered 1
		.amdhsa_forward_progress 1
		.amdhsa_inst_pref_size 0
		.amdhsa_round_robin_scheduling 0
		.amdhsa_exception_fp_ieee_invalid_op 0
		.amdhsa_exception_fp_denorm_src 0
		.amdhsa_exception_fp_ieee_div_zero 0
		.amdhsa_exception_fp_ieee_overflow 0
		.amdhsa_exception_fp_ieee_underflow 0
		.amdhsa_exception_fp_ieee_inexact 0
		.amdhsa_exception_int_div_zero 0
	.end_amdhsa_kernel
	.section	.text._ZN7rocprim17ROCPRIM_400000_NS6detail17trampoline_kernelINS0_14default_configENS1_25transform_config_selectorIlLb0EEEZNS1_14transform_implILb0ES3_S5_NS0_18transform_iteratorINS0_17counting_iteratorImlEEZNS1_24adjacent_difference_implIS3_Lb1ELb0EPlSB_ZN2at6native12_GLOBAL__N_124unique_dim_cuda_templateIiEESt5tupleIJNSC_6TensorESH_SH_EERKSH_lbbbEUlllE1_EE10hipError_tPvRmT2_T3_mT4_P12ihipStream_tbEUlmE_lEESB_NS0_8identityIvEEEESM_SP_SQ_mSR_ST_bEUlT_E_NS1_11comp_targetILNS1_3genE9ELNS1_11target_archE1100ELNS1_3gpuE3ELNS1_3repE0EEENS1_30default_config_static_selectorELNS0_4arch9wavefront6targetE0EEEvT1_,"axG",@progbits,_ZN7rocprim17ROCPRIM_400000_NS6detail17trampoline_kernelINS0_14default_configENS1_25transform_config_selectorIlLb0EEEZNS1_14transform_implILb0ES3_S5_NS0_18transform_iteratorINS0_17counting_iteratorImlEEZNS1_24adjacent_difference_implIS3_Lb1ELb0EPlSB_ZN2at6native12_GLOBAL__N_124unique_dim_cuda_templateIiEESt5tupleIJNSC_6TensorESH_SH_EERKSH_lbbbEUlllE1_EE10hipError_tPvRmT2_T3_mT4_P12ihipStream_tbEUlmE_lEESB_NS0_8identityIvEEEESM_SP_SQ_mSR_ST_bEUlT_E_NS1_11comp_targetILNS1_3genE9ELNS1_11target_archE1100ELNS1_3gpuE3ELNS1_3repE0EEENS1_30default_config_static_selectorELNS0_4arch9wavefront6targetE0EEEvT1_,comdat
.Lfunc_end431:
	.size	_ZN7rocprim17ROCPRIM_400000_NS6detail17trampoline_kernelINS0_14default_configENS1_25transform_config_selectorIlLb0EEEZNS1_14transform_implILb0ES3_S5_NS0_18transform_iteratorINS0_17counting_iteratorImlEEZNS1_24adjacent_difference_implIS3_Lb1ELb0EPlSB_ZN2at6native12_GLOBAL__N_124unique_dim_cuda_templateIiEESt5tupleIJNSC_6TensorESH_SH_EERKSH_lbbbEUlllE1_EE10hipError_tPvRmT2_T3_mT4_P12ihipStream_tbEUlmE_lEESB_NS0_8identityIvEEEESM_SP_SQ_mSR_ST_bEUlT_E_NS1_11comp_targetILNS1_3genE9ELNS1_11target_archE1100ELNS1_3gpuE3ELNS1_3repE0EEENS1_30default_config_static_selectorELNS0_4arch9wavefront6targetE0EEEvT1_, .Lfunc_end431-_ZN7rocprim17ROCPRIM_400000_NS6detail17trampoline_kernelINS0_14default_configENS1_25transform_config_selectorIlLb0EEEZNS1_14transform_implILb0ES3_S5_NS0_18transform_iteratorINS0_17counting_iteratorImlEEZNS1_24adjacent_difference_implIS3_Lb1ELb0EPlSB_ZN2at6native12_GLOBAL__N_124unique_dim_cuda_templateIiEESt5tupleIJNSC_6TensorESH_SH_EERKSH_lbbbEUlllE1_EE10hipError_tPvRmT2_T3_mT4_P12ihipStream_tbEUlmE_lEESB_NS0_8identityIvEEEESM_SP_SQ_mSR_ST_bEUlT_E_NS1_11comp_targetILNS1_3genE9ELNS1_11target_archE1100ELNS1_3gpuE3ELNS1_3repE0EEENS1_30default_config_static_selectorELNS0_4arch9wavefront6targetE0EEEvT1_
                                        ; -- End function
	.set _ZN7rocprim17ROCPRIM_400000_NS6detail17trampoline_kernelINS0_14default_configENS1_25transform_config_selectorIlLb0EEEZNS1_14transform_implILb0ES3_S5_NS0_18transform_iteratorINS0_17counting_iteratorImlEEZNS1_24adjacent_difference_implIS3_Lb1ELb0EPlSB_ZN2at6native12_GLOBAL__N_124unique_dim_cuda_templateIiEESt5tupleIJNSC_6TensorESH_SH_EERKSH_lbbbEUlllE1_EE10hipError_tPvRmT2_T3_mT4_P12ihipStream_tbEUlmE_lEESB_NS0_8identityIvEEEESM_SP_SQ_mSR_ST_bEUlT_E_NS1_11comp_targetILNS1_3genE9ELNS1_11target_archE1100ELNS1_3gpuE3ELNS1_3repE0EEENS1_30default_config_static_selectorELNS0_4arch9wavefront6targetE0EEEvT1_.num_vgpr, 0
	.set _ZN7rocprim17ROCPRIM_400000_NS6detail17trampoline_kernelINS0_14default_configENS1_25transform_config_selectorIlLb0EEEZNS1_14transform_implILb0ES3_S5_NS0_18transform_iteratorINS0_17counting_iteratorImlEEZNS1_24adjacent_difference_implIS3_Lb1ELb0EPlSB_ZN2at6native12_GLOBAL__N_124unique_dim_cuda_templateIiEESt5tupleIJNSC_6TensorESH_SH_EERKSH_lbbbEUlllE1_EE10hipError_tPvRmT2_T3_mT4_P12ihipStream_tbEUlmE_lEESB_NS0_8identityIvEEEESM_SP_SQ_mSR_ST_bEUlT_E_NS1_11comp_targetILNS1_3genE9ELNS1_11target_archE1100ELNS1_3gpuE3ELNS1_3repE0EEENS1_30default_config_static_selectorELNS0_4arch9wavefront6targetE0EEEvT1_.num_agpr, 0
	.set _ZN7rocprim17ROCPRIM_400000_NS6detail17trampoline_kernelINS0_14default_configENS1_25transform_config_selectorIlLb0EEEZNS1_14transform_implILb0ES3_S5_NS0_18transform_iteratorINS0_17counting_iteratorImlEEZNS1_24adjacent_difference_implIS3_Lb1ELb0EPlSB_ZN2at6native12_GLOBAL__N_124unique_dim_cuda_templateIiEESt5tupleIJNSC_6TensorESH_SH_EERKSH_lbbbEUlllE1_EE10hipError_tPvRmT2_T3_mT4_P12ihipStream_tbEUlmE_lEESB_NS0_8identityIvEEEESM_SP_SQ_mSR_ST_bEUlT_E_NS1_11comp_targetILNS1_3genE9ELNS1_11target_archE1100ELNS1_3gpuE3ELNS1_3repE0EEENS1_30default_config_static_selectorELNS0_4arch9wavefront6targetE0EEEvT1_.numbered_sgpr, 0
	.set _ZN7rocprim17ROCPRIM_400000_NS6detail17trampoline_kernelINS0_14default_configENS1_25transform_config_selectorIlLb0EEEZNS1_14transform_implILb0ES3_S5_NS0_18transform_iteratorINS0_17counting_iteratorImlEEZNS1_24adjacent_difference_implIS3_Lb1ELb0EPlSB_ZN2at6native12_GLOBAL__N_124unique_dim_cuda_templateIiEESt5tupleIJNSC_6TensorESH_SH_EERKSH_lbbbEUlllE1_EE10hipError_tPvRmT2_T3_mT4_P12ihipStream_tbEUlmE_lEESB_NS0_8identityIvEEEESM_SP_SQ_mSR_ST_bEUlT_E_NS1_11comp_targetILNS1_3genE9ELNS1_11target_archE1100ELNS1_3gpuE3ELNS1_3repE0EEENS1_30default_config_static_selectorELNS0_4arch9wavefront6targetE0EEEvT1_.num_named_barrier, 0
	.set _ZN7rocprim17ROCPRIM_400000_NS6detail17trampoline_kernelINS0_14default_configENS1_25transform_config_selectorIlLb0EEEZNS1_14transform_implILb0ES3_S5_NS0_18transform_iteratorINS0_17counting_iteratorImlEEZNS1_24adjacent_difference_implIS3_Lb1ELb0EPlSB_ZN2at6native12_GLOBAL__N_124unique_dim_cuda_templateIiEESt5tupleIJNSC_6TensorESH_SH_EERKSH_lbbbEUlllE1_EE10hipError_tPvRmT2_T3_mT4_P12ihipStream_tbEUlmE_lEESB_NS0_8identityIvEEEESM_SP_SQ_mSR_ST_bEUlT_E_NS1_11comp_targetILNS1_3genE9ELNS1_11target_archE1100ELNS1_3gpuE3ELNS1_3repE0EEENS1_30default_config_static_selectorELNS0_4arch9wavefront6targetE0EEEvT1_.private_seg_size, 0
	.set _ZN7rocprim17ROCPRIM_400000_NS6detail17trampoline_kernelINS0_14default_configENS1_25transform_config_selectorIlLb0EEEZNS1_14transform_implILb0ES3_S5_NS0_18transform_iteratorINS0_17counting_iteratorImlEEZNS1_24adjacent_difference_implIS3_Lb1ELb0EPlSB_ZN2at6native12_GLOBAL__N_124unique_dim_cuda_templateIiEESt5tupleIJNSC_6TensorESH_SH_EERKSH_lbbbEUlllE1_EE10hipError_tPvRmT2_T3_mT4_P12ihipStream_tbEUlmE_lEESB_NS0_8identityIvEEEESM_SP_SQ_mSR_ST_bEUlT_E_NS1_11comp_targetILNS1_3genE9ELNS1_11target_archE1100ELNS1_3gpuE3ELNS1_3repE0EEENS1_30default_config_static_selectorELNS0_4arch9wavefront6targetE0EEEvT1_.uses_vcc, 0
	.set _ZN7rocprim17ROCPRIM_400000_NS6detail17trampoline_kernelINS0_14default_configENS1_25transform_config_selectorIlLb0EEEZNS1_14transform_implILb0ES3_S5_NS0_18transform_iteratorINS0_17counting_iteratorImlEEZNS1_24adjacent_difference_implIS3_Lb1ELb0EPlSB_ZN2at6native12_GLOBAL__N_124unique_dim_cuda_templateIiEESt5tupleIJNSC_6TensorESH_SH_EERKSH_lbbbEUlllE1_EE10hipError_tPvRmT2_T3_mT4_P12ihipStream_tbEUlmE_lEESB_NS0_8identityIvEEEESM_SP_SQ_mSR_ST_bEUlT_E_NS1_11comp_targetILNS1_3genE9ELNS1_11target_archE1100ELNS1_3gpuE3ELNS1_3repE0EEENS1_30default_config_static_selectorELNS0_4arch9wavefront6targetE0EEEvT1_.uses_flat_scratch, 0
	.set _ZN7rocprim17ROCPRIM_400000_NS6detail17trampoline_kernelINS0_14default_configENS1_25transform_config_selectorIlLb0EEEZNS1_14transform_implILb0ES3_S5_NS0_18transform_iteratorINS0_17counting_iteratorImlEEZNS1_24adjacent_difference_implIS3_Lb1ELb0EPlSB_ZN2at6native12_GLOBAL__N_124unique_dim_cuda_templateIiEESt5tupleIJNSC_6TensorESH_SH_EERKSH_lbbbEUlllE1_EE10hipError_tPvRmT2_T3_mT4_P12ihipStream_tbEUlmE_lEESB_NS0_8identityIvEEEESM_SP_SQ_mSR_ST_bEUlT_E_NS1_11comp_targetILNS1_3genE9ELNS1_11target_archE1100ELNS1_3gpuE3ELNS1_3repE0EEENS1_30default_config_static_selectorELNS0_4arch9wavefront6targetE0EEEvT1_.has_dyn_sized_stack, 0
	.set _ZN7rocprim17ROCPRIM_400000_NS6detail17trampoline_kernelINS0_14default_configENS1_25transform_config_selectorIlLb0EEEZNS1_14transform_implILb0ES3_S5_NS0_18transform_iteratorINS0_17counting_iteratorImlEEZNS1_24adjacent_difference_implIS3_Lb1ELb0EPlSB_ZN2at6native12_GLOBAL__N_124unique_dim_cuda_templateIiEESt5tupleIJNSC_6TensorESH_SH_EERKSH_lbbbEUlllE1_EE10hipError_tPvRmT2_T3_mT4_P12ihipStream_tbEUlmE_lEESB_NS0_8identityIvEEEESM_SP_SQ_mSR_ST_bEUlT_E_NS1_11comp_targetILNS1_3genE9ELNS1_11target_archE1100ELNS1_3gpuE3ELNS1_3repE0EEENS1_30default_config_static_selectorELNS0_4arch9wavefront6targetE0EEEvT1_.has_recursion, 0
	.set _ZN7rocprim17ROCPRIM_400000_NS6detail17trampoline_kernelINS0_14default_configENS1_25transform_config_selectorIlLb0EEEZNS1_14transform_implILb0ES3_S5_NS0_18transform_iteratorINS0_17counting_iteratorImlEEZNS1_24adjacent_difference_implIS3_Lb1ELb0EPlSB_ZN2at6native12_GLOBAL__N_124unique_dim_cuda_templateIiEESt5tupleIJNSC_6TensorESH_SH_EERKSH_lbbbEUlllE1_EE10hipError_tPvRmT2_T3_mT4_P12ihipStream_tbEUlmE_lEESB_NS0_8identityIvEEEESM_SP_SQ_mSR_ST_bEUlT_E_NS1_11comp_targetILNS1_3genE9ELNS1_11target_archE1100ELNS1_3gpuE3ELNS1_3repE0EEENS1_30default_config_static_selectorELNS0_4arch9wavefront6targetE0EEEvT1_.has_indirect_call, 0
	.section	.AMDGPU.csdata,"",@progbits
; Kernel info:
; codeLenInByte = 0
; TotalNumSgprs: 0
; NumVgprs: 0
; ScratchSize: 0
; MemoryBound: 0
; FloatMode: 240
; IeeeMode: 1
; LDSByteSize: 0 bytes/workgroup (compile time only)
; SGPRBlocks: 0
; VGPRBlocks: 0
; NumSGPRsForWavesPerEU: 1
; NumVGPRsForWavesPerEU: 1
; NamedBarCnt: 0
; Occupancy: 16
; WaveLimiterHint : 0
; COMPUTE_PGM_RSRC2:SCRATCH_EN: 0
; COMPUTE_PGM_RSRC2:USER_SGPR: 2
; COMPUTE_PGM_RSRC2:TRAP_HANDLER: 0
; COMPUTE_PGM_RSRC2:TGID_X_EN: 1
; COMPUTE_PGM_RSRC2:TGID_Y_EN: 0
; COMPUTE_PGM_RSRC2:TGID_Z_EN: 0
; COMPUTE_PGM_RSRC2:TIDIG_COMP_CNT: 0
	.section	.text._ZN7rocprim17ROCPRIM_400000_NS6detail17trampoline_kernelINS0_14default_configENS1_25transform_config_selectorIlLb0EEEZNS1_14transform_implILb0ES3_S5_NS0_18transform_iteratorINS0_17counting_iteratorImlEEZNS1_24adjacent_difference_implIS3_Lb1ELb0EPlSB_ZN2at6native12_GLOBAL__N_124unique_dim_cuda_templateIiEESt5tupleIJNSC_6TensorESH_SH_EERKSH_lbbbEUlllE1_EE10hipError_tPvRmT2_T3_mT4_P12ihipStream_tbEUlmE_lEESB_NS0_8identityIvEEEESM_SP_SQ_mSR_ST_bEUlT_E_NS1_11comp_targetILNS1_3genE8ELNS1_11target_archE1030ELNS1_3gpuE2ELNS1_3repE0EEENS1_30default_config_static_selectorELNS0_4arch9wavefront6targetE0EEEvT1_,"axG",@progbits,_ZN7rocprim17ROCPRIM_400000_NS6detail17trampoline_kernelINS0_14default_configENS1_25transform_config_selectorIlLb0EEEZNS1_14transform_implILb0ES3_S5_NS0_18transform_iteratorINS0_17counting_iteratorImlEEZNS1_24adjacent_difference_implIS3_Lb1ELb0EPlSB_ZN2at6native12_GLOBAL__N_124unique_dim_cuda_templateIiEESt5tupleIJNSC_6TensorESH_SH_EERKSH_lbbbEUlllE1_EE10hipError_tPvRmT2_T3_mT4_P12ihipStream_tbEUlmE_lEESB_NS0_8identityIvEEEESM_SP_SQ_mSR_ST_bEUlT_E_NS1_11comp_targetILNS1_3genE8ELNS1_11target_archE1030ELNS1_3gpuE2ELNS1_3repE0EEENS1_30default_config_static_selectorELNS0_4arch9wavefront6targetE0EEEvT1_,comdat
	.globl	_ZN7rocprim17ROCPRIM_400000_NS6detail17trampoline_kernelINS0_14default_configENS1_25transform_config_selectorIlLb0EEEZNS1_14transform_implILb0ES3_S5_NS0_18transform_iteratorINS0_17counting_iteratorImlEEZNS1_24adjacent_difference_implIS3_Lb1ELb0EPlSB_ZN2at6native12_GLOBAL__N_124unique_dim_cuda_templateIiEESt5tupleIJNSC_6TensorESH_SH_EERKSH_lbbbEUlllE1_EE10hipError_tPvRmT2_T3_mT4_P12ihipStream_tbEUlmE_lEESB_NS0_8identityIvEEEESM_SP_SQ_mSR_ST_bEUlT_E_NS1_11comp_targetILNS1_3genE8ELNS1_11target_archE1030ELNS1_3gpuE2ELNS1_3repE0EEENS1_30default_config_static_selectorELNS0_4arch9wavefront6targetE0EEEvT1_ ; -- Begin function _ZN7rocprim17ROCPRIM_400000_NS6detail17trampoline_kernelINS0_14default_configENS1_25transform_config_selectorIlLb0EEEZNS1_14transform_implILb0ES3_S5_NS0_18transform_iteratorINS0_17counting_iteratorImlEEZNS1_24adjacent_difference_implIS3_Lb1ELb0EPlSB_ZN2at6native12_GLOBAL__N_124unique_dim_cuda_templateIiEESt5tupleIJNSC_6TensorESH_SH_EERKSH_lbbbEUlllE1_EE10hipError_tPvRmT2_T3_mT4_P12ihipStream_tbEUlmE_lEESB_NS0_8identityIvEEEESM_SP_SQ_mSR_ST_bEUlT_E_NS1_11comp_targetILNS1_3genE8ELNS1_11target_archE1030ELNS1_3gpuE2ELNS1_3repE0EEENS1_30default_config_static_selectorELNS0_4arch9wavefront6targetE0EEEvT1_
	.p2align	8
	.type	_ZN7rocprim17ROCPRIM_400000_NS6detail17trampoline_kernelINS0_14default_configENS1_25transform_config_selectorIlLb0EEEZNS1_14transform_implILb0ES3_S5_NS0_18transform_iteratorINS0_17counting_iteratorImlEEZNS1_24adjacent_difference_implIS3_Lb1ELb0EPlSB_ZN2at6native12_GLOBAL__N_124unique_dim_cuda_templateIiEESt5tupleIJNSC_6TensorESH_SH_EERKSH_lbbbEUlllE1_EE10hipError_tPvRmT2_T3_mT4_P12ihipStream_tbEUlmE_lEESB_NS0_8identityIvEEEESM_SP_SQ_mSR_ST_bEUlT_E_NS1_11comp_targetILNS1_3genE8ELNS1_11target_archE1030ELNS1_3gpuE2ELNS1_3repE0EEENS1_30default_config_static_selectorELNS0_4arch9wavefront6targetE0EEEvT1_,@function
_ZN7rocprim17ROCPRIM_400000_NS6detail17trampoline_kernelINS0_14default_configENS1_25transform_config_selectorIlLb0EEEZNS1_14transform_implILb0ES3_S5_NS0_18transform_iteratorINS0_17counting_iteratorImlEEZNS1_24adjacent_difference_implIS3_Lb1ELb0EPlSB_ZN2at6native12_GLOBAL__N_124unique_dim_cuda_templateIiEESt5tupleIJNSC_6TensorESH_SH_EERKSH_lbbbEUlllE1_EE10hipError_tPvRmT2_T3_mT4_P12ihipStream_tbEUlmE_lEESB_NS0_8identityIvEEEESM_SP_SQ_mSR_ST_bEUlT_E_NS1_11comp_targetILNS1_3genE8ELNS1_11target_archE1030ELNS1_3gpuE2ELNS1_3repE0EEENS1_30default_config_static_selectorELNS0_4arch9wavefront6targetE0EEEvT1_: ; @_ZN7rocprim17ROCPRIM_400000_NS6detail17trampoline_kernelINS0_14default_configENS1_25transform_config_selectorIlLb0EEEZNS1_14transform_implILb0ES3_S5_NS0_18transform_iteratorINS0_17counting_iteratorImlEEZNS1_24adjacent_difference_implIS3_Lb1ELb0EPlSB_ZN2at6native12_GLOBAL__N_124unique_dim_cuda_templateIiEESt5tupleIJNSC_6TensorESH_SH_EERKSH_lbbbEUlllE1_EE10hipError_tPvRmT2_T3_mT4_P12ihipStream_tbEUlmE_lEESB_NS0_8identityIvEEEESM_SP_SQ_mSR_ST_bEUlT_E_NS1_11comp_targetILNS1_3genE8ELNS1_11target_archE1030ELNS1_3gpuE2ELNS1_3repE0EEENS1_30default_config_static_selectorELNS0_4arch9wavefront6targetE0EEEvT1_
; %bb.0:
	.section	.rodata,"a",@progbits
	.p2align	6, 0x0
	.amdhsa_kernel _ZN7rocprim17ROCPRIM_400000_NS6detail17trampoline_kernelINS0_14default_configENS1_25transform_config_selectorIlLb0EEEZNS1_14transform_implILb0ES3_S5_NS0_18transform_iteratorINS0_17counting_iteratorImlEEZNS1_24adjacent_difference_implIS3_Lb1ELb0EPlSB_ZN2at6native12_GLOBAL__N_124unique_dim_cuda_templateIiEESt5tupleIJNSC_6TensorESH_SH_EERKSH_lbbbEUlllE1_EE10hipError_tPvRmT2_T3_mT4_P12ihipStream_tbEUlmE_lEESB_NS0_8identityIvEEEESM_SP_SQ_mSR_ST_bEUlT_E_NS1_11comp_targetILNS1_3genE8ELNS1_11target_archE1030ELNS1_3gpuE2ELNS1_3repE0EEENS1_30default_config_static_selectorELNS0_4arch9wavefront6targetE0EEEvT1_
		.amdhsa_group_segment_fixed_size 0
		.amdhsa_private_segment_fixed_size 0
		.amdhsa_kernarg_size 56
		.amdhsa_user_sgpr_count 2
		.amdhsa_user_sgpr_dispatch_ptr 0
		.amdhsa_user_sgpr_queue_ptr 0
		.amdhsa_user_sgpr_kernarg_segment_ptr 1
		.amdhsa_user_sgpr_dispatch_id 0
		.amdhsa_user_sgpr_kernarg_preload_length 0
		.amdhsa_user_sgpr_kernarg_preload_offset 0
		.amdhsa_user_sgpr_private_segment_size 0
		.amdhsa_wavefront_size32 1
		.amdhsa_uses_dynamic_stack 0
		.amdhsa_enable_private_segment 0
		.amdhsa_system_sgpr_workgroup_id_x 1
		.amdhsa_system_sgpr_workgroup_id_y 0
		.amdhsa_system_sgpr_workgroup_id_z 0
		.amdhsa_system_sgpr_workgroup_info 0
		.amdhsa_system_vgpr_workitem_id 0
		.amdhsa_next_free_vgpr 1
		.amdhsa_next_free_sgpr 1
		.amdhsa_named_barrier_count 0
		.amdhsa_reserve_vcc 0
		.amdhsa_float_round_mode_32 0
		.amdhsa_float_round_mode_16_64 0
		.amdhsa_float_denorm_mode_32 3
		.amdhsa_float_denorm_mode_16_64 3
		.amdhsa_fp16_overflow 0
		.amdhsa_memory_ordered 1
		.amdhsa_forward_progress 1
		.amdhsa_inst_pref_size 0
		.amdhsa_round_robin_scheduling 0
		.amdhsa_exception_fp_ieee_invalid_op 0
		.amdhsa_exception_fp_denorm_src 0
		.amdhsa_exception_fp_ieee_div_zero 0
		.amdhsa_exception_fp_ieee_overflow 0
		.amdhsa_exception_fp_ieee_underflow 0
		.amdhsa_exception_fp_ieee_inexact 0
		.amdhsa_exception_int_div_zero 0
	.end_amdhsa_kernel
	.section	.text._ZN7rocprim17ROCPRIM_400000_NS6detail17trampoline_kernelINS0_14default_configENS1_25transform_config_selectorIlLb0EEEZNS1_14transform_implILb0ES3_S5_NS0_18transform_iteratorINS0_17counting_iteratorImlEEZNS1_24adjacent_difference_implIS3_Lb1ELb0EPlSB_ZN2at6native12_GLOBAL__N_124unique_dim_cuda_templateIiEESt5tupleIJNSC_6TensorESH_SH_EERKSH_lbbbEUlllE1_EE10hipError_tPvRmT2_T3_mT4_P12ihipStream_tbEUlmE_lEESB_NS0_8identityIvEEEESM_SP_SQ_mSR_ST_bEUlT_E_NS1_11comp_targetILNS1_3genE8ELNS1_11target_archE1030ELNS1_3gpuE2ELNS1_3repE0EEENS1_30default_config_static_selectorELNS0_4arch9wavefront6targetE0EEEvT1_,"axG",@progbits,_ZN7rocprim17ROCPRIM_400000_NS6detail17trampoline_kernelINS0_14default_configENS1_25transform_config_selectorIlLb0EEEZNS1_14transform_implILb0ES3_S5_NS0_18transform_iteratorINS0_17counting_iteratorImlEEZNS1_24adjacent_difference_implIS3_Lb1ELb0EPlSB_ZN2at6native12_GLOBAL__N_124unique_dim_cuda_templateIiEESt5tupleIJNSC_6TensorESH_SH_EERKSH_lbbbEUlllE1_EE10hipError_tPvRmT2_T3_mT4_P12ihipStream_tbEUlmE_lEESB_NS0_8identityIvEEEESM_SP_SQ_mSR_ST_bEUlT_E_NS1_11comp_targetILNS1_3genE8ELNS1_11target_archE1030ELNS1_3gpuE2ELNS1_3repE0EEENS1_30default_config_static_selectorELNS0_4arch9wavefront6targetE0EEEvT1_,comdat
.Lfunc_end432:
	.size	_ZN7rocprim17ROCPRIM_400000_NS6detail17trampoline_kernelINS0_14default_configENS1_25transform_config_selectorIlLb0EEEZNS1_14transform_implILb0ES3_S5_NS0_18transform_iteratorINS0_17counting_iteratorImlEEZNS1_24adjacent_difference_implIS3_Lb1ELb0EPlSB_ZN2at6native12_GLOBAL__N_124unique_dim_cuda_templateIiEESt5tupleIJNSC_6TensorESH_SH_EERKSH_lbbbEUlllE1_EE10hipError_tPvRmT2_T3_mT4_P12ihipStream_tbEUlmE_lEESB_NS0_8identityIvEEEESM_SP_SQ_mSR_ST_bEUlT_E_NS1_11comp_targetILNS1_3genE8ELNS1_11target_archE1030ELNS1_3gpuE2ELNS1_3repE0EEENS1_30default_config_static_selectorELNS0_4arch9wavefront6targetE0EEEvT1_, .Lfunc_end432-_ZN7rocprim17ROCPRIM_400000_NS6detail17trampoline_kernelINS0_14default_configENS1_25transform_config_selectorIlLb0EEEZNS1_14transform_implILb0ES3_S5_NS0_18transform_iteratorINS0_17counting_iteratorImlEEZNS1_24adjacent_difference_implIS3_Lb1ELb0EPlSB_ZN2at6native12_GLOBAL__N_124unique_dim_cuda_templateIiEESt5tupleIJNSC_6TensorESH_SH_EERKSH_lbbbEUlllE1_EE10hipError_tPvRmT2_T3_mT4_P12ihipStream_tbEUlmE_lEESB_NS0_8identityIvEEEESM_SP_SQ_mSR_ST_bEUlT_E_NS1_11comp_targetILNS1_3genE8ELNS1_11target_archE1030ELNS1_3gpuE2ELNS1_3repE0EEENS1_30default_config_static_selectorELNS0_4arch9wavefront6targetE0EEEvT1_
                                        ; -- End function
	.set _ZN7rocprim17ROCPRIM_400000_NS6detail17trampoline_kernelINS0_14default_configENS1_25transform_config_selectorIlLb0EEEZNS1_14transform_implILb0ES3_S5_NS0_18transform_iteratorINS0_17counting_iteratorImlEEZNS1_24adjacent_difference_implIS3_Lb1ELb0EPlSB_ZN2at6native12_GLOBAL__N_124unique_dim_cuda_templateIiEESt5tupleIJNSC_6TensorESH_SH_EERKSH_lbbbEUlllE1_EE10hipError_tPvRmT2_T3_mT4_P12ihipStream_tbEUlmE_lEESB_NS0_8identityIvEEEESM_SP_SQ_mSR_ST_bEUlT_E_NS1_11comp_targetILNS1_3genE8ELNS1_11target_archE1030ELNS1_3gpuE2ELNS1_3repE0EEENS1_30default_config_static_selectorELNS0_4arch9wavefront6targetE0EEEvT1_.num_vgpr, 0
	.set _ZN7rocprim17ROCPRIM_400000_NS6detail17trampoline_kernelINS0_14default_configENS1_25transform_config_selectorIlLb0EEEZNS1_14transform_implILb0ES3_S5_NS0_18transform_iteratorINS0_17counting_iteratorImlEEZNS1_24adjacent_difference_implIS3_Lb1ELb0EPlSB_ZN2at6native12_GLOBAL__N_124unique_dim_cuda_templateIiEESt5tupleIJNSC_6TensorESH_SH_EERKSH_lbbbEUlllE1_EE10hipError_tPvRmT2_T3_mT4_P12ihipStream_tbEUlmE_lEESB_NS0_8identityIvEEEESM_SP_SQ_mSR_ST_bEUlT_E_NS1_11comp_targetILNS1_3genE8ELNS1_11target_archE1030ELNS1_3gpuE2ELNS1_3repE0EEENS1_30default_config_static_selectorELNS0_4arch9wavefront6targetE0EEEvT1_.num_agpr, 0
	.set _ZN7rocprim17ROCPRIM_400000_NS6detail17trampoline_kernelINS0_14default_configENS1_25transform_config_selectorIlLb0EEEZNS1_14transform_implILb0ES3_S5_NS0_18transform_iteratorINS0_17counting_iteratorImlEEZNS1_24adjacent_difference_implIS3_Lb1ELb0EPlSB_ZN2at6native12_GLOBAL__N_124unique_dim_cuda_templateIiEESt5tupleIJNSC_6TensorESH_SH_EERKSH_lbbbEUlllE1_EE10hipError_tPvRmT2_T3_mT4_P12ihipStream_tbEUlmE_lEESB_NS0_8identityIvEEEESM_SP_SQ_mSR_ST_bEUlT_E_NS1_11comp_targetILNS1_3genE8ELNS1_11target_archE1030ELNS1_3gpuE2ELNS1_3repE0EEENS1_30default_config_static_selectorELNS0_4arch9wavefront6targetE0EEEvT1_.numbered_sgpr, 0
	.set _ZN7rocprim17ROCPRIM_400000_NS6detail17trampoline_kernelINS0_14default_configENS1_25transform_config_selectorIlLb0EEEZNS1_14transform_implILb0ES3_S5_NS0_18transform_iteratorINS0_17counting_iteratorImlEEZNS1_24adjacent_difference_implIS3_Lb1ELb0EPlSB_ZN2at6native12_GLOBAL__N_124unique_dim_cuda_templateIiEESt5tupleIJNSC_6TensorESH_SH_EERKSH_lbbbEUlllE1_EE10hipError_tPvRmT2_T3_mT4_P12ihipStream_tbEUlmE_lEESB_NS0_8identityIvEEEESM_SP_SQ_mSR_ST_bEUlT_E_NS1_11comp_targetILNS1_3genE8ELNS1_11target_archE1030ELNS1_3gpuE2ELNS1_3repE0EEENS1_30default_config_static_selectorELNS0_4arch9wavefront6targetE0EEEvT1_.num_named_barrier, 0
	.set _ZN7rocprim17ROCPRIM_400000_NS6detail17trampoline_kernelINS0_14default_configENS1_25transform_config_selectorIlLb0EEEZNS1_14transform_implILb0ES3_S5_NS0_18transform_iteratorINS0_17counting_iteratorImlEEZNS1_24adjacent_difference_implIS3_Lb1ELb0EPlSB_ZN2at6native12_GLOBAL__N_124unique_dim_cuda_templateIiEESt5tupleIJNSC_6TensorESH_SH_EERKSH_lbbbEUlllE1_EE10hipError_tPvRmT2_T3_mT4_P12ihipStream_tbEUlmE_lEESB_NS0_8identityIvEEEESM_SP_SQ_mSR_ST_bEUlT_E_NS1_11comp_targetILNS1_3genE8ELNS1_11target_archE1030ELNS1_3gpuE2ELNS1_3repE0EEENS1_30default_config_static_selectorELNS0_4arch9wavefront6targetE0EEEvT1_.private_seg_size, 0
	.set _ZN7rocprim17ROCPRIM_400000_NS6detail17trampoline_kernelINS0_14default_configENS1_25transform_config_selectorIlLb0EEEZNS1_14transform_implILb0ES3_S5_NS0_18transform_iteratorINS0_17counting_iteratorImlEEZNS1_24adjacent_difference_implIS3_Lb1ELb0EPlSB_ZN2at6native12_GLOBAL__N_124unique_dim_cuda_templateIiEESt5tupleIJNSC_6TensorESH_SH_EERKSH_lbbbEUlllE1_EE10hipError_tPvRmT2_T3_mT4_P12ihipStream_tbEUlmE_lEESB_NS0_8identityIvEEEESM_SP_SQ_mSR_ST_bEUlT_E_NS1_11comp_targetILNS1_3genE8ELNS1_11target_archE1030ELNS1_3gpuE2ELNS1_3repE0EEENS1_30default_config_static_selectorELNS0_4arch9wavefront6targetE0EEEvT1_.uses_vcc, 0
	.set _ZN7rocprim17ROCPRIM_400000_NS6detail17trampoline_kernelINS0_14default_configENS1_25transform_config_selectorIlLb0EEEZNS1_14transform_implILb0ES3_S5_NS0_18transform_iteratorINS0_17counting_iteratorImlEEZNS1_24adjacent_difference_implIS3_Lb1ELb0EPlSB_ZN2at6native12_GLOBAL__N_124unique_dim_cuda_templateIiEESt5tupleIJNSC_6TensorESH_SH_EERKSH_lbbbEUlllE1_EE10hipError_tPvRmT2_T3_mT4_P12ihipStream_tbEUlmE_lEESB_NS0_8identityIvEEEESM_SP_SQ_mSR_ST_bEUlT_E_NS1_11comp_targetILNS1_3genE8ELNS1_11target_archE1030ELNS1_3gpuE2ELNS1_3repE0EEENS1_30default_config_static_selectorELNS0_4arch9wavefront6targetE0EEEvT1_.uses_flat_scratch, 0
	.set _ZN7rocprim17ROCPRIM_400000_NS6detail17trampoline_kernelINS0_14default_configENS1_25transform_config_selectorIlLb0EEEZNS1_14transform_implILb0ES3_S5_NS0_18transform_iteratorINS0_17counting_iteratorImlEEZNS1_24adjacent_difference_implIS3_Lb1ELb0EPlSB_ZN2at6native12_GLOBAL__N_124unique_dim_cuda_templateIiEESt5tupleIJNSC_6TensorESH_SH_EERKSH_lbbbEUlllE1_EE10hipError_tPvRmT2_T3_mT4_P12ihipStream_tbEUlmE_lEESB_NS0_8identityIvEEEESM_SP_SQ_mSR_ST_bEUlT_E_NS1_11comp_targetILNS1_3genE8ELNS1_11target_archE1030ELNS1_3gpuE2ELNS1_3repE0EEENS1_30default_config_static_selectorELNS0_4arch9wavefront6targetE0EEEvT1_.has_dyn_sized_stack, 0
	.set _ZN7rocprim17ROCPRIM_400000_NS6detail17trampoline_kernelINS0_14default_configENS1_25transform_config_selectorIlLb0EEEZNS1_14transform_implILb0ES3_S5_NS0_18transform_iteratorINS0_17counting_iteratorImlEEZNS1_24adjacent_difference_implIS3_Lb1ELb0EPlSB_ZN2at6native12_GLOBAL__N_124unique_dim_cuda_templateIiEESt5tupleIJNSC_6TensorESH_SH_EERKSH_lbbbEUlllE1_EE10hipError_tPvRmT2_T3_mT4_P12ihipStream_tbEUlmE_lEESB_NS0_8identityIvEEEESM_SP_SQ_mSR_ST_bEUlT_E_NS1_11comp_targetILNS1_3genE8ELNS1_11target_archE1030ELNS1_3gpuE2ELNS1_3repE0EEENS1_30default_config_static_selectorELNS0_4arch9wavefront6targetE0EEEvT1_.has_recursion, 0
	.set _ZN7rocprim17ROCPRIM_400000_NS6detail17trampoline_kernelINS0_14default_configENS1_25transform_config_selectorIlLb0EEEZNS1_14transform_implILb0ES3_S5_NS0_18transform_iteratorINS0_17counting_iteratorImlEEZNS1_24adjacent_difference_implIS3_Lb1ELb0EPlSB_ZN2at6native12_GLOBAL__N_124unique_dim_cuda_templateIiEESt5tupleIJNSC_6TensorESH_SH_EERKSH_lbbbEUlllE1_EE10hipError_tPvRmT2_T3_mT4_P12ihipStream_tbEUlmE_lEESB_NS0_8identityIvEEEESM_SP_SQ_mSR_ST_bEUlT_E_NS1_11comp_targetILNS1_3genE8ELNS1_11target_archE1030ELNS1_3gpuE2ELNS1_3repE0EEENS1_30default_config_static_selectorELNS0_4arch9wavefront6targetE0EEEvT1_.has_indirect_call, 0
	.section	.AMDGPU.csdata,"",@progbits
; Kernel info:
; codeLenInByte = 0
; TotalNumSgprs: 0
; NumVgprs: 0
; ScratchSize: 0
; MemoryBound: 0
; FloatMode: 240
; IeeeMode: 1
; LDSByteSize: 0 bytes/workgroup (compile time only)
; SGPRBlocks: 0
; VGPRBlocks: 0
; NumSGPRsForWavesPerEU: 1
; NumVGPRsForWavesPerEU: 1
; NamedBarCnt: 0
; Occupancy: 16
; WaveLimiterHint : 0
; COMPUTE_PGM_RSRC2:SCRATCH_EN: 0
; COMPUTE_PGM_RSRC2:USER_SGPR: 2
; COMPUTE_PGM_RSRC2:TRAP_HANDLER: 0
; COMPUTE_PGM_RSRC2:TGID_X_EN: 1
; COMPUTE_PGM_RSRC2:TGID_Y_EN: 0
; COMPUTE_PGM_RSRC2:TGID_Z_EN: 0
; COMPUTE_PGM_RSRC2:TIDIG_COMP_CNT: 0
	.section	.text._ZN7rocprim17ROCPRIM_400000_NS6detail17trampoline_kernelINS0_14default_configENS1_35adjacent_difference_config_selectorILb1ElEEZNS1_24adjacent_difference_implIS3_Lb1ELb0EPlS7_ZN2at6native12_GLOBAL__N_124unique_dim_cuda_templateIiEESt5tupleIJNS8_6TensorESD_SD_EERKSD_lbbbEUlllE1_EE10hipError_tPvRmT2_T3_mT4_P12ihipStream_tbEUlT_E_NS1_11comp_targetILNS1_3genE0ELNS1_11target_archE4294967295ELNS1_3gpuE0ELNS1_3repE0EEENS1_30default_config_static_selectorELNS0_4arch9wavefront6targetE0EEEvT1_,"axG",@progbits,_ZN7rocprim17ROCPRIM_400000_NS6detail17trampoline_kernelINS0_14default_configENS1_35adjacent_difference_config_selectorILb1ElEEZNS1_24adjacent_difference_implIS3_Lb1ELb0EPlS7_ZN2at6native12_GLOBAL__N_124unique_dim_cuda_templateIiEESt5tupleIJNS8_6TensorESD_SD_EERKSD_lbbbEUlllE1_EE10hipError_tPvRmT2_T3_mT4_P12ihipStream_tbEUlT_E_NS1_11comp_targetILNS1_3genE0ELNS1_11target_archE4294967295ELNS1_3gpuE0ELNS1_3repE0EEENS1_30default_config_static_selectorELNS0_4arch9wavefront6targetE0EEEvT1_,comdat
	.globl	_ZN7rocprim17ROCPRIM_400000_NS6detail17trampoline_kernelINS0_14default_configENS1_35adjacent_difference_config_selectorILb1ElEEZNS1_24adjacent_difference_implIS3_Lb1ELb0EPlS7_ZN2at6native12_GLOBAL__N_124unique_dim_cuda_templateIiEESt5tupleIJNS8_6TensorESD_SD_EERKSD_lbbbEUlllE1_EE10hipError_tPvRmT2_T3_mT4_P12ihipStream_tbEUlT_E_NS1_11comp_targetILNS1_3genE0ELNS1_11target_archE4294967295ELNS1_3gpuE0ELNS1_3repE0EEENS1_30default_config_static_selectorELNS0_4arch9wavefront6targetE0EEEvT1_ ; -- Begin function _ZN7rocprim17ROCPRIM_400000_NS6detail17trampoline_kernelINS0_14default_configENS1_35adjacent_difference_config_selectorILb1ElEEZNS1_24adjacent_difference_implIS3_Lb1ELb0EPlS7_ZN2at6native12_GLOBAL__N_124unique_dim_cuda_templateIiEESt5tupleIJNS8_6TensorESD_SD_EERKSD_lbbbEUlllE1_EE10hipError_tPvRmT2_T3_mT4_P12ihipStream_tbEUlT_E_NS1_11comp_targetILNS1_3genE0ELNS1_11target_archE4294967295ELNS1_3gpuE0ELNS1_3repE0EEENS1_30default_config_static_selectorELNS0_4arch9wavefront6targetE0EEEvT1_
	.p2align	8
	.type	_ZN7rocprim17ROCPRIM_400000_NS6detail17trampoline_kernelINS0_14default_configENS1_35adjacent_difference_config_selectorILb1ElEEZNS1_24adjacent_difference_implIS3_Lb1ELb0EPlS7_ZN2at6native12_GLOBAL__N_124unique_dim_cuda_templateIiEESt5tupleIJNS8_6TensorESD_SD_EERKSD_lbbbEUlllE1_EE10hipError_tPvRmT2_T3_mT4_P12ihipStream_tbEUlT_E_NS1_11comp_targetILNS1_3genE0ELNS1_11target_archE4294967295ELNS1_3gpuE0ELNS1_3repE0EEENS1_30default_config_static_selectorELNS0_4arch9wavefront6targetE0EEEvT1_,@function
_ZN7rocprim17ROCPRIM_400000_NS6detail17trampoline_kernelINS0_14default_configENS1_35adjacent_difference_config_selectorILb1ElEEZNS1_24adjacent_difference_implIS3_Lb1ELb0EPlS7_ZN2at6native12_GLOBAL__N_124unique_dim_cuda_templateIiEESt5tupleIJNS8_6TensorESD_SD_EERKSD_lbbbEUlllE1_EE10hipError_tPvRmT2_T3_mT4_P12ihipStream_tbEUlT_E_NS1_11comp_targetILNS1_3genE0ELNS1_11target_archE4294967295ELNS1_3gpuE0ELNS1_3repE0EEENS1_30default_config_static_selectorELNS0_4arch9wavefront6targetE0EEEvT1_: ; @_ZN7rocprim17ROCPRIM_400000_NS6detail17trampoline_kernelINS0_14default_configENS1_35adjacent_difference_config_selectorILb1ElEEZNS1_24adjacent_difference_implIS3_Lb1ELb0EPlS7_ZN2at6native12_GLOBAL__N_124unique_dim_cuda_templateIiEESt5tupleIJNS8_6TensorESD_SD_EERKSD_lbbbEUlllE1_EE10hipError_tPvRmT2_T3_mT4_P12ihipStream_tbEUlT_E_NS1_11comp_targetILNS1_3genE0ELNS1_11target_archE4294967295ELNS1_3gpuE0ELNS1_3repE0EEENS1_30default_config_static_selectorELNS0_4arch9wavefront6targetE0EEEvT1_
; %bb.0:
	s_load_b512 s[4:19], s[0:1], 0x0
	s_wait_xcnt 0x0
	s_bfe_u32 s0, ttmp6, 0x4000c
	s_and_b32 s1, ttmp6, 15
	s_add_co_i32 s0, s0, 1
	s_getreg_b32 s2, hwreg(HW_REG_IB_STS2, 6, 4)
	s_mul_i32 s0, ttmp9, s0
	s_mov_b32 s25, 0
	s_add_co_i32 s1, s1, s0
	s_wait_kmcnt 0x0
	s_lshl_b64 s[20:21], s[6:7], 3
	s_cmp_eq_u32 s2, 0
	s_add_nc_u64 s[4:5], s[4:5], s[20:21]
	s_cselect_b32 s3, ttmp9, s1
	s_and_b64 s[6:7], s[10:11], 0x3ff
	s_lshr_b64 s[0:1], s[10:11], 10
	s_lshl_b32 s2, s3, 10
	s_cmp_lg_u64 s[6:7], 0
	s_cselect_b32 s6, -1, 0
	s_delay_alu instid0(SALU_CYCLE_1) | instskip(NEXT) | instid1(VALU_DEP_1)
	v_cndmask_b32_e64 v1, 0, 1, s6
	v_readfirstlane_b32 s24, v1
	s_add_nc_u64 s[0:1], s[0:1], s[24:25]
	s_mov_b32 s24, s3
	s_add_nc_u64 s[6:7], s[0:1], -1
	s_add_nc_u64 s[22:23], s[18:19], s[24:25]
	s_mov_b32 s3, -1
	v_cmp_ge_u64_e64 s11, s[22:23], s[6:7]
	s_and_b32 vcc_lo, exec_lo, s11
	s_cbranch_vccz .LBB433_6
; %bb.1:
	v_mov_b32_e32 v2, 0
	s_lshl_b32 s3, s6, 10
	s_delay_alu instid0(SALU_CYCLE_1) | instskip(SKIP_1) | instid1(VALU_DEP_1)
	s_sub_co_i32 s28, s10, s3
	s_mov_b32 s3, s25
	v_dual_mov_b32 v3, v2 :: v_dual_mov_b32 v4, v2
	v_mov_b32_e32 v5, v2
	s_lshl_b64 s[26:27], s[2:3], 3
	s_mov_b32 s3, exec_lo
	s_add_nc_u64 s[26:27], s[4:5], s[26:27]
	v_cmpx_gt_u32_e64 s28, v0
	s_cbranch_execz .LBB433_3
; %bb.2:
	global_load_b64 v[4:5], v0, s[26:27] scale_offset
	v_dual_mov_b32 v6, v2 :: v_dual_mov_b32 v7, v2
	s_wait_loadcnt 0x0
	v_mov_b64_e32 v[2:3], v[4:5]
	s_delay_alu instid0(VALU_DEP_2)
	v_mov_b64_e32 v[4:5], v[6:7]
.LBB433_3:
	s_or_b32 exec_lo, exec_lo, s3
	v_or_b32_e32 v1, 0x200, v0
	s_mov_b32 s3, exec_lo
	s_delay_alu instid0(VALU_DEP_1)
	v_cmpx_gt_u32_e64 s28, v1
	s_cbranch_execz .LBB433_5
; %bb.4:
	global_load_b64 v[4:5], v0, s[26:27] offset:4096 scale_offset
.LBB433_5:
	s_wait_xcnt 0x0
	s_or_b32 exec_lo, exec_lo, s3
	v_dual_lshrrev_b32 v6, 2, v0 :: v_dual_lshrrev_b32 v1, 2, v1
	v_lshlrev_b32_e32 v7, 3, v0
	s_mov_b32 s3, 0
	s_delay_alu instid0(VALU_DEP_2) | instskip(NEXT) | instid1(VALU_DEP_3)
	v_and_b32_e32 v6, 0x78, v6
	v_and_b32_e32 v1, 0xf8, v1
	s_delay_alu instid0(VALU_DEP_1)
	v_dual_add_nc_u32 v6, v6, v7 :: v_dual_add_nc_u32 v1, v1, v7
	ds_store_b64 v6, v[2:3]
	s_wait_loadcnt 0x0
	ds_store_b64 v1, v[4:5] offset:4096
	s_wait_dscnt 0x0
	s_barrier_signal -1
	s_barrier_wait -1
.LBB433_6:
	s_and_b32 vcc_lo, exec_lo, s3
	s_cbranch_vccz .LBB433_8
; %bb.7:
	s_mov_b32 s3, 0
	v_or_b32_e32 v1, 0x200, v0
	s_lshl_b64 s[26:27], s[2:3], 3
	v_lshrrev_b32_e32 v6, 2, v0
	s_add_nc_u64 s[4:5], s[4:5], s[26:27]
	v_lshlrev_b32_e32 v7, 3, v0
	s_clause 0x1
	global_load_b64 v[2:3], v0, s[4:5] scale_offset
	global_load_b64 v[4:5], v0, s[4:5] offset:4096 scale_offset
	v_lshrrev_b32_e32 v1, 2, v1
	v_and_b32_e32 v6, 0x78, v6
	s_delay_alu instid0(VALU_DEP_2) | instskip(NEXT) | instid1(VALU_DEP_1)
	v_and_b32_e32 v1, 0xf8, v1
	v_dual_add_nc_u32 v6, v6, v7 :: v_dual_add_nc_u32 v1, v1, v7
	s_wait_loadcnt 0x1
	ds_store_b64 v6, v[2:3]
	s_wait_loadcnt 0x0
	ds_store_b64 v1, v[4:5] offset:4096
	s_wait_dscnt 0x0
	s_barrier_signal -1
	s_barrier_wait -1
.LBB433_8:
	v_lshrrev_b32_e32 v1, 1, v0
	s_cmp_eq_u64 s[22:23], 0
	s_delay_alu instid0(VALU_DEP_1) | instskip(NEXT) | instid1(VALU_DEP_1)
	v_and_b32_e32 v1, 0xf8, v1
	v_lshl_add_u32 v1, v0, 4, v1
	ds_load_2addr_b64 v[2:5], v1 offset1:1
	s_wait_dscnt 0x0
	s_barrier_signal -1
	s_barrier_wait -1
	s_cbranch_scc1 .LBB433_15
; %bb.9:
	s_lshl_b64 s[4:5], s[18:19], 3
	s_delay_alu instid0(SALU_CYCLE_1) | instskip(SKIP_3) | instid1(SALU_CYCLE_1)
	s_add_nc_u64 s[4:5], s[16:17], s[4:5]
	s_lshl_b64 s[16:17], s[24:25], 3
	s_cmp_eq_u64 s[22:23], s[6:7]
	s_add_nc_u64 s[4:5], s[4:5], s[16:17]
	s_add_nc_u64 s[4:5], s[4:5], -8
	s_load_b64 s[4:5], s[4:5], 0x0
	s_cbranch_scc1 .LBB433_16
; %bb.10:
	v_cmp_lt_i64_e64 s7, s[12:13], 1
	v_mov_b64_e32 v[8:9], 0
	v_cmp_gt_i64_e64 s3, s[12:13], 0
	v_lshlrev_b32_e32 v12, 3, v0
	s_and_b32 vcc_lo, exec_lo, s7
	ds_store_b64 v12, v[4:5]
	s_cbranch_vccnz .LBB433_18
; %bb.11:
	v_mul_u64_e32 v[6:7], s[12:13], v[4:5]
	v_mul_u64_e32 v[8:9], s[12:13], v[2:3]
	s_mov_b32 s7, 0
	s_mov_b64 s[16:17], s[12:13]
                                        ; implicit-def: $sgpr18
	s_delay_alu instid0(VALU_DEP_2) | instskip(NEXT) | instid1(VALU_DEP_2)
	v_lshl_add_u64 v[6:7], v[6:7], 2, s[14:15]
	v_lshl_add_u64 v[10:11], v[8:9], 2, s[14:15]
	s_branch .LBB433_13
.LBB433_12:                             ;   in Loop: Header=BB433_13 Depth=1
	s_or_b32 exec_lo, exec_lo, s19
	s_delay_alu instid0(SALU_CYCLE_1) | instskip(NEXT) | instid1(SALU_CYCLE_1)
	s_and_b32 s19, exec_lo, s18
	s_or_b32 s7, s19, s7
	s_delay_alu instid0(SALU_CYCLE_1)
	s_and_not1_b32 exec_lo, exec_lo, s7
	s_cbranch_execz .LBB433_17
.LBB433_13:                             ; =>This Inner Loop Header: Depth=1
	global_load_b32 v13, v[6:7], off
	global_load_b32 v14, v[10:11], off
	v_mov_b64_e32 v[8:9], 1
	s_or_b32 s18, s18, exec_lo
	s_mov_b32 s19, exec_lo
	s_wait_loadcnt 0x0
	v_cmpx_eq_u32_e64 v13, v14
	s_cbranch_execz .LBB433_12
; %bb.14:                               ;   in Loop: Header=BB433_13 Depth=1
	s_add_nc_u64 s[16:17], s[16:17], -1
	v_add_nc_u64_e32 v[6:7], 4, v[6:7]
	s_cmp_eq_u64 s[16:17], 0
	v_add_nc_u64_e32 v[10:11], 4, v[10:11]
	v_mov_b64_e32 v[8:9], 0
	s_cselect_b32 s23, -1, 0
	s_and_not1_b32 s18, s18, exec_lo
	s_and_b32 s23, s23, exec_lo
	s_delay_alu instid0(SALU_CYCLE_1)
	s_or_b32 s18, s18, s23
	s_branch .LBB433_12
.LBB433_15:
                                        ; implicit-def: $vgpr8_vgpr9
                                        ; implicit-def: $vgpr6_vgpr7
	s_branch .LBB433_47
.LBB433_16:
                                        ; implicit-def: $vgpr8_vgpr9
                                        ; implicit-def: $vgpr6_vgpr7
	s_cbranch_execnz .LBB433_27
	s_branch .LBB433_46
.LBB433_17:
	s_or_b32 exec_lo, exec_lo, s7
.LBB433_18:
	s_wait_kmcnt 0x0
	v_mov_b64_e32 v[6:7], s[4:5]
	s_mov_b32 s7, exec_lo
	s_wait_dscnt 0x0
	s_barrier_signal -1
	s_barrier_wait -1
	v_cmpx_ne_u32_e32 0, v0
; %bb.19:
	v_add_nc_u32_e32 v6, -8, v12
	ds_load_b64 v[6:7], v6
; %bb.20:
	s_or_b32 exec_lo, exec_lo, s7
	s_delay_alu instid0(SALU_CYCLE_1)
	s_and_not1_b32 vcc_lo, exec_lo, s3
	s_cbranch_vccnz .LBB433_26
; %bb.21:
	v_mul_u64_e32 v[10:11], s[12:13], v[2:3]
	s_wait_dscnt 0x0
	v_mul_u64_e32 v[6:7], s[12:13], v[6:7]
	s_mov_b32 s3, 0
	s_mov_b64 s[16:17], s[12:13]
                                        ; implicit-def: $sgpr7
	s_delay_alu instid0(VALU_DEP_2) | instskip(NEXT) | instid1(VALU_DEP_2)
	v_lshl_add_u64 v[10:11], v[10:11], 2, s[14:15]
	v_lshl_add_u64 v[12:13], v[6:7], 2, s[14:15]
	s_branch .LBB433_23
.LBB433_22:                             ;   in Loop: Header=BB433_23 Depth=1
	s_or_b32 exec_lo, exec_lo, s18
	s_delay_alu instid0(SALU_CYCLE_1) | instskip(NEXT) | instid1(SALU_CYCLE_1)
	s_and_b32 s18, exec_lo, s7
	s_or_b32 s3, s18, s3
	s_delay_alu instid0(SALU_CYCLE_1)
	s_and_not1_b32 exec_lo, exec_lo, s3
	s_cbranch_execz .LBB433_25
.LBB433_23:                             ; =>This Inner Loop Header: Depth=1
	global_load_b32 v14, v[10:11], off
	global_load_b32 v15, v[12:13], off
	v_mov_b64_e32 v[6:7], 1
	s_or_b32 s7, s7, exec_lo
	s_mov_b32 s18, exec_lo
	s_wait_loadcnt 0x0
	v_cmpx_eq_u32_e64 v14, v15
	s_cbranch_execz .LBB433_22
; %bb.24:                               ;   in Loop: Header=BB433_23 Depth=1
	s_add_nc_u64 s[16:17], s[16:17], -1
	v_add_nc_u64_e32 v[10:11], 4, v[10:11]
	s_cmp_eq_u64 s[16:17], 0
	v_add_nc_u64_e32 v[12:13], 4, v[12:13]
	v_mov_b64_e32 v[6:7], 0
	s_cselect_b32 s19, -1, 0
	s_and_not1_b32 s7, s7, exec_lo
	s_and_b32 s19, s19, exec_lo
	s_delay_alu instid0(SALU_CYCLE_1)
	s_or_b32 s7, s7, s19
	s_branch .LBB433_22
.LBB433_25:
	s_or_b32 exec_lo, exec_lo, s3
	s_branch .LBB433_46
.LBB433_26:
	s_wait_dscnt 0x0
	v_mov_b64_e32 v[6:7], 0
	s_branch .LBB433_46
.LBB433_27:
	v_dual_lshlrev_b32 v12, 1, v0 :: v_dual_lshlrev_b32 v13, 3, v0
	v_mov_b64_e32 v[8:9], v[4:5]
	s_lshl_b32 s3, s22, 10
	s_mov_b32 s7, exec_lo
	s_delay_alu instid0(VALU_DEP_2)
	v_or_b32_e32 v10, 1, v12
	s_sub_co_i32 s3, s10, s3
	v_mov_b64_e32 v[6:7], v[2:3]
	ds_store_b64 v13, v[4:5]
	v_cmpx_gt_u32_e64 s3, v10
	s_cbranch_execz .LBB433_35
; %bb.28:
	v_cmp_lt_i64_e64 s16, s[12:13], 1
	s_and_b32 vcc_lo, exec_lo, s16
	s_cbranch_vccnz .LBB433_34
; %bb.29:
	v_mul_u64_e32 v[6:7], s[12:13], v[4:5]
	v_mul_u64_e32 v[8:9], s[12:13], v[2:3]
	s_mov_b32 s18, 0
	s_mov_b64 s[16:17], s[12:13]
                                        ; implicit-def: $sgpr19
	s_delay_alu instid0(VALU_DEP_2) | instskip(NEXT) | instid1(VALU_DEP_2)
	v_lshl_add_u64 v[6:7], v[6:7], 2, s[14:15]
	v_lshl_add_u64 v[10:11], v[8:9], 2, s[14:15]
	s_branch .LBB433_31
.LBB433_30:                             ;   in Loop: Header=BB433_31 Depth=1
	s_or_b32 exec_lo, exec_lo, s22
	s_delay_alu instid0(SALU_CYCLE_1) | instskip(NEXT) | instid1(SALU_CYCLE_1)
	s_and_b32 s22, exec_lo, s19
	s_or_b32 s18, s22, s18
	s_delay_alu instid0(SALU_CYCLE_1)
	s_and_not1_b32 exec_lo, exec_lo, s18
	s_cbranch_execz .LBB433_33
.LBB433_31:                             ; =>This Inner Loop Header: Depth=1
	global_load_b32 v14, v[6:7], off
	global_load_b32 v15, v[10:11], off
	v_mov_b64_e32 v[8:9], 1
	s_or_b32 s19, s19, exec_lo
	s_mov_b32 s22, exec_lo
	s_wait_loadcnt 0x0
	v_cmpx_eq_u32_e64 v14, v15
	s_cbranch_execz .LBB433_30
; %bb.32:                               ;   in Loop: Header=BB433_31 Depth=1
	s_add_nc_u64 s[16:17], s[16:17], -1
	v_add_nc_u64_e32 v[6:7], 4, v[6:7]
	s_cmp_eq_u64 s[16:17], 0
	v_add_nc_u64_e32 v[10:11], 4, v[10:11]
	s_cselect_b32 s23, -1, 0
	s_and_not1_b32 s19, s19, exec_lo
	s_and_b32 s23, s23, exec_lo
	v_mov_b64_e32 v[8:9], 0
	s_or_b32 s19, s19, s23
	s_branch .LBB433_30
.LBB433_33:
	s_or_b32 exec_lo, exec_lo, s18
	s_branch .LBB433_35
.LBB433_34:
	v_mov_b64_e32 v[8:9], 0
.LBB433_35:
	s_or_b32 exec_lo, exec_lo, s7
	s_wait_kmcnt 0x0
	v_mov_b64_e32 v[10:11], s[4:5]
	s_mov_b32 s4, exec_lo
	s_wait_dscnt 0x0
	s_barrier_signal -1
	s_barrier_wait -1
	v_cmpx_ne_u32_e32 0, v0
; %bb.36:
	v_add_nc_u32_e32 v6, -8, v13
	ds_load_b64 v[10:11], v6
; %bb.37:
	s_or_b32 exec_lo, exec_lo, s4
	v_mov_b64_e32 v[6:7], v[2:3]
	v_cmp_gt_u32_e32 vcc_lo, s3, v12
	s_and_saveexec_b32 s3, vcc_lo
	s_cbranch_execz .LBB433_45
; %bb.38:
	v_cmp_lt_i64_e64 s4, s[12:13], 1
	s_and_b32 vcc_lo, exec_lo, s4
	s_cbranch_vccnz .LBB433_44
; %bb.39:
	v_mul_u64_e32 v[6:7], s[12:13], v[2:3]
	s_wait_dscnt 0x0
	v_mul_u64_e32 v[12:13], s[12:13], v[10:11]
	s_mov_b32 s7, 0
	s_mov_b64 s[4:5], s[12:13]
                                        ; implicit-def: $sgpr16
	s_delay_alu instid0(VALU_DEP_2) | instskip(NEXT) | instid1(VALU_DEP_2)
	v_lshl_add_u64 v[10:11], v[6:7], 2, s[14:15]
	v_lshl_add_u64 v[12:13], v[12:13], 2, s[14:15]
	s_branch .LBB433_41
.LBB433_40:                             ;   in Loop: Header=BB433_41 Depth=1
	s_or_b32 exec_lo, exec_lo, s17
	s_delay_alu instid0(SALU_CYCLE_1) | instskip(NEXT) | instid1(SALU_CYCLE_1)
	s_and_b32 s17, exec_lo, s16
	s_or_b32 s7, s17, s7
	s_delay_alu instid0(SALU_CYCLE_1)
	s_and_not1_b32 exec_lo, exec_lo, s7
	s_cbranch_execz .LBB433_43
.LBB433_41:                             ; =>This Inner Loop Header: Depth=1
	global_load_b32 v14, v[10:11], off
	global_load_b32 v15, v[12:13], off
	v_mov_b64_e32 v[6:7], 1
	s_or_b32 s16, s16, exec_lo
	s_mov_b32 s17, exec_lo
	s_wait_loadcnt 0x0
	v_cmpx_eq_u32_e64 v14, v15
	s_cbranch_execz .LBB433_40
; %bb.42:                               ;   in Loop: Header=BB433_41 Depth=1
	s_add_nc_u64 s[4:5], s[4:5], -1
	v_add_nc_u64_e32 v[10:11], 4, v[10:11]
	s_cmp_eq_u64 s[4:5], 0
	v_add_nc_u64_e32 v[12:13], 4, v[12:13]
	v_mov_b64_e32 v[6:7], 0
	s_cselect_b32 s18, -1, 0
	s_and_not1_b32 s16, s16, exec_lo
	s_and_b32 s18, s18, exec_lo
	s_delay_alu instid0(SALU_CYCLE_1)
	s_or_b32 s16, s16, s18
	s_branch .LBB433_40
.LBB433_43:
	s_or_b32 exec_lo, exec_lo, s7
	s_branch .LBB433_45
.LBB433_44:
	v_mov_b64_e32 v[6:7], 0
.LBB433_45:
	s_or_b32 exec_lo, exec_lo, s3
.LBB433_46:
	s_cbranch_execnz .LBB433_81
.LBB433_47:
	s_cmp_eq_u64 s[0:1], 1
	s_cbranch_scc1 .LBB433_53
; %bb.48:
	v_cmp_lt_i64_e64 s0, s[12:13], 1
	v_mov_b64_e32 v[8:9], 0
	s_wait_kmcnt 0x0
	v_cmp_gt_i64_e64 s4, s[12:13], 0
	v_lshlrev_b32_e32 v12, 3, v0
	s_and_b32 vcc_lo, exec_lo, s0
	ds_store_b64 v12, v[4:5]
	s_cbranch_vccnz .LBB433_55
; %bb.49:
	v_mul_u64_e32 v[6:7], s[12:13], v[4:5]
	v_mul_u64_e32 v[8:9], s[12:13], v[2:3]
	s_mov_b32 s3, 0
	s_mov_b64 s[0:1], s[12:13]
                                        ; implicit-def: $sgpr5
	s_delay_alu instid0(VALU_DEP_2) | instskip(SKIP_1) | instid1(VALU_DEP_2)
	v_lshl_add_u64 v[6:7], v[6:7], 2, s[14:15]
	s_wait_dscnt 0x1
	v_lshl_add_u64 v[10:11], v[8:9], 2, s[14:15]
	s_branch .LBB433_51
.LBB433_50:                             ;   in Loop: Header=BB433_51 Depth=1
	s_or_b32 exec_lo, exec_lo, s7
	s_delay_alu instid0(SALU_CYCLE_1) | instskip(NEXT) | instid1(SALU_CYCLE_1)
	s_and_b32 s7, exec_lo, s5
	s_or_b32 s3, s7, s3
	s_delay_alu instid0(SALU_CYCLE_1)
	s_and_not1_b32 exec_lo, exec_lo, s3
	s_cbranch_execz .LBB433_54
.LBB433_51:                             ; =>This Inner Loop Header: Depth=1
	global_load_b32 v13, v[6:7], off
	global_load_b32 v14, v[10:11], off
	v_mov_b64_e32 v[8:9], 1
	s_or_b32 s5, s5, exec_lo
	s_mov_b32 s7, exec_lo
	s_wait_loadcnt 0x0
	v_cmpx_eq_u32_e64 v13, v14
	s_cbranch_execz .LBB433_50
; %bb.52:                               ;   in Loop: Header=BB433_51 Depth=1
	s_add_nc_u64 s[0:1], s[0:1], -1
	v_add_nc_u64_e32 v[6:7], 4, v[6:7]
	s_cmp_eq_u64 s[0:1], 0
	v_add_nc_u64_e32 v[10:11], 4, v[10:11]
	v_mov_b64_e32 v[8:9], 0
	s_cselect_b32 s16, -1, 0
	s_and_not1_b32 s5, s5, exec_lo
	s_and_b32 s16, s16, exec_lo
	s_delay_alu instid0(SALU_CYCLE_1)
	s_or_b32 s5, s5, s16
	s_branch .LBB433_50
.LBB433_53:
                                        ; implicit-def: $vgpr8_vgpr9
                                        ; implicit-def: $vgpr6_vgpr7
	s_cbranch_execnz .LBB433_63
	s_branch .LBB433_81
.LBB433_54:
	s_or_b32 exec_lo, exec_lo, s3
.LBB433_55:
	v_mov_b64_e32 v[6:7], v[2:3]
	s_mov_b32 s3, 0
	s_mov_b32 s5, exec_lo
	s_wait_dscnt 0x0
	s_barrier_signal -1
	s_barrier_wait -1
	v_cmpx_ne_u32_e32 0, v0
	s_cbranch_execz .LBB433_62
; %bb.56:
	s_and_not1_b32 vcc_lo, exec_lo, s4
	s_cbranch_vccnz .LBB433_70
; %bb.57:
	v_add_nc_u32_e32 v6, -8, v12
	v_mul_u64_e32 v[10:11], s[12:13], v[2:3]
	s_mov_b32 s4, 0
	s_mov_b64 s[0:1], s[12:13]
                                        ; implicit-def: $sgpr7
	ds_load_b64 v[6:7], v6
	s_wait_dscnt 0x0
	v_mul_u64_e32 v[6:7], s[12:13], v[6:7]
	v_lshl_add_u64 v[10:11], v[10:11], 2, s[14:15]
	s_delay_alu instid0(VALU_DEP_2)
	v_lshl_add_u64 v[12:13], v[6:7], 2, s[14:15]
	s_branch .LBB433_59
.LBB433_58:                             ;   in Loop: Header=BB433_59 Depth=1
	s_or_b32 exec_lo, exec_lo, s16
	s_delay_alu instid0(SALU_CYCLE_1) | instskip(NEXT) | instid1(SALU_CYCLE_1)
	s_and_b32 s16, exec_lo, s7
	s_or_b32 s4, s16, s4
	s_delay_alu instid0(SALU_CYCLE_1)
	s_and_not1_b32 exec_lo, exec_lo, s4
	s_cbranch_execz .LBB433_61
.LBB433_59:                             ; =>This Inner Loop Header: Depth=1
	global_load_b32 v14, v[10:11], off
	global_load_b32 v15, v[12:13], off
	v_mov_b64_e32 v[6:7], 1
	s_or_b32 s7, s7, exec_lo
	s_mov_b32 s16, exec_lo
	s_wait_loadcnt 0x0
	v_cmpx_eq_u32_e64 v14, v15
	s_cbranch_execz .LBB433_58
; %bb.60:                               ;   in Loop: Header=BB433_59 Depth=1
	s_add_nc_u64 s[0:1], s[0:1], -1
	v_add_nc_u64_e32 v[10:11], 4, v[10:11]
	s_cmp_eq_u64 s[0:1], 0
	v_add_nc_u64_e32 v[12:13], 4, v[12:13]
	v_mov_b64_e32 v[6:7], 0
	s_cselect_b32 s17, -1, 0
	s_and_not1_b32 s7, s7, exec_lo
	s_and_b32 s17, s17, exec_lo
	s_delay_alu instid0(SALU_CYCLE_1)
	s_or_b32 s7, s7, s17
	s_branch .LBB433_58
.LBB433_61:
	s_or_b32 exec_lo, exec_lo, s4
.LBB433_62:
	s_delay_alu instid0(SALU_CYCLE_1) | instskip(NEXT) | instid1(SALU_CYCLE_1)
	s_or_b32 exec_lo, exec_lo, s5
	s_and_b32 vcc_lo, exec_lo, s3
	s_cbranch_vccz .LBB433_81
.LBB433_63:
	s_wait_dscnt 0x0
	v_dual_lshlrev_b32 v11, 1, v0 :: v_dual_lshlrev_b32 v10, 3, v0
	v_mov_b64_e32 v[8:9], v[4:5]
	s_mov_b32 s3, exec_lo
	v_mov_b64_e32 v[6:7], v[2:3]
	s_delay_alu instid0(VALU_DEP_3)
	v_or_b32_e32 v12, 1, v11
	ds_store_b64 v10, v[4:5]
	v_cmpx_gt_u32_e64 s10, v12
	s_cbranch_execz .LBB433_72
; %bb.64:
	v_cmp_lt_i64_e64 s0, s[12:13], 1
	s_and_b32 vcc_lo, exec_lo, s0
	s_cbranch_vccnz .LBB433_71
; %bb.65:
	v_mul_u64_e32 v[4:5], s[12:13], v[4:5]
	v_mul_u64_e32 v[6:7], s[12:13], v[2:3]
	s_wait_kmcnt 0x0
	s_mov_b32 s4, 0
	s_mov_b64 s[0:1], s[12:13]
                                        ; implicit-def: $sgpr5
	s_delay_alu instid0(VALU_DEP_2) | instskip(NEXT) | instid1(VALU_DEP_2)
	v_lshl_add_u64 v[4:5], v[4:5], 2, s[14:15]
	v_lshl_add_u64 v[6:7], v[6:7], 2, s[14:15]
	s_branch .LBB433_67
.LBB433_66:                             ;   in Loop: Header=BB433_67 Depth=1
	s_or_b32 exec_lo, exec_lo, s7
	s_delay_alu instid0(SALU_CYCLE_1) | instskip(NEXT) | instid1(SALU_CYCLE_1)
	s_and_b32 s7, exec_lo, s5
	s_or_b32 s4, s7, s4
	s_delay_alu instid0(SALU_CYCLE_1)
	s_and_not1_b32 exec_lo, exec_lo, s4
	s_cbranch_execz .LBB433_69
.LBB433_67:                             ; =>This Inner Loop Header: Depth=1
	global_load_b32 v12, v[4:5], off
	global_load_b32 v13, v[6:7], off
	v_mov_b64_e32 v[8:9], 1
	s_or_b32 s5, s5, exec_lo
	s_mov_b32 s7, exec_lo
	s_wait_loadcnt 0x0
	v_cmpx_eq_u32_e64 v12, v13
	s_cbranch_execz .LBB433_66
; %bb.68:                               ;   in Loop: Header=BB433_67 Depth=1
	s_add_nc_u64 s[0:1], s[0:1], -1
	v_add_nc_u64_e32 v[4:5], 4, v[4:5]
	s_cmp_eq_u64 s[0:1], 0
	v_add_nc_u64_e32 v[6:7], 4, v[6:7]
	s_cselect_b32 s16, -1, 0
	s_and_not1_b32 s5, s5, exec_lo
	s_and_b32 s16, s16, exec_lo
	v_mov_b64_e32 v[8:9], 0
	s_or_b32 s5, s5, s16
	s_branch .LBB433_66
.LBB433_69:
	s_or_b32 exec_lo, exec_lo, s4
	s_branch .LBB433_72
.LBB433_70:
	v_mov_b64_e32 v[6:7], 0
	s_or_b32 exec_lo, exec_lo, s5
	s_delay_alu instid0(SALU_CYCLE_1)
	s_and_b32 vcc_lo, exec_lo, s3
	s_cbranch_vccnz .LBB433_63
	s_branch .LBB433_81
.LBB433_71:
	v_mov_b64_e32 v[8:9], 0
.LBB433_72:
	s_or_b32 exec_lo, exec_lo, s3
	v_cmp_ne_u32_e32 vcc_lo, 0, v0
	v_cmp_gt_u32_e64 s0, s10, v11
	s_wait_dscnt 0x0
	s_barrier_signal -1
	s_barrier_wait -1
	s_and_b32 s1, vcc_lo, s0
	s_delay_alu instid0(SALU_CYCLE_1)
	s_and_saveexec_b32 s0, s1
	s_cbranch_execz .LBB433_80
; %bb.73:
	v_cmp_lt_i64_e64 s1, s[12:13], 1
	s_and_b32 vcc_lo, exec_lo, s1
	s_cbranch_vccnz .LBB433_79
; %bb.74:
	v_add_nc_u32_e32 v4, -8, v10
	v_mul_u64_e32 v[2:3], s[12:13], v[2:3]
	s_mov_b32 s1, 0
                                        ; implicit-def: $sgpr3
	ds_load_b64 v[4:5], v4
	s_wait_dscnt 0x0
	v_mul_u64_e32 v[6:7], s[12:13], v[4:5]
	v_lshl_add_u64 v[4:5], v[2:3], 2, s[14:15]
	s_delay_alu instid0(VALU_DEP_2)
	v_lshl_add_u64 v[6:7], v[6:7], 2, s[14:15]
	s_branch .LBB433_76
.LBB433_75:                             ;   in Loop: Header=BB433_76 Depth=1
	s_or_b32 exec_lo, exec_lo, s4
	s_delay_alu instid0(SALU_CYCLE_1) | instskip(NEXT) | instid1(SALU_CYCLE_1)
	s_and_b32 s4, exec_lo, s3
	s_or_b32 s1, s4, s1
	s_delay_alu instid0(SALU_CYCLE_1)
	s_and_not1_b32 exec_lo, exec_lo, s1
	s_cbranch_execz .LBB433_78
.LBB433_76:                             ; =>This Inner Loop Header: Depth=1
	global_load_b32 v10, v[4:5], off
	global_load_b32 v11, v[6:7], off
	v_mov_b64_e32 v[2:3], 1
	s_or_b32 s3, s3, exec_lo
	s_wait_kmcnt 0x0
	s_mov_b32 s4, exec_lo
	s_wait_loadcnt 0x0
	v_cmpx_eq_u32_e64 v10, v11
	s_cbranch_execz .LBB433_75
; %bb.77:                               ;   in Loop: Header=BB433_76 Depth=1
	s_add_nc_u64 s[12:13], s[12:13], -1
	v_add_nc_u64_e32 v[4:5], 4, v[4:5]
	s_cmp_eq_u64 s[12:13], 0
	v_add_nc_u64_e32 v[6:7], 4, v[6:7]
	v_mov_b64_e32 v[2:3], 0
	s_cselect_b32 s5, -1, 0
	s_and_not1_b32 s3, s3, exec_lo
	s_and_b32 s5, s5, exec_lo
	s_delay_alu instid0(SALU_CYCLE_1)
	s_or_b32 s3, s3, s5
	s_branch .LBB433_75
.LBB433_78:
	s_or_b32 exec_lo, exec_lo, s1
	s_branch .LBB433_80
.LBB433_79:
	v_mov_b64_e32 v[2:3], 0
.LBB433_80:
	s_or_b32 exec_lo, exec_lo, s0
	s_delay_alu instid0(VALU_DEP_1)
	v_mov_b64_e32 v[6:7], v[2:3]
.LBB433_81:
	s_add_nc_u64 s[0:1], s[8:9], s[20:21]
	s_and_b32 vcc_lo, exec_lo, s11
	s_wait_dscnt 0x0
	s_barrier_signal -1
	s_barrier_wait -1
	s_cbranch_vccz .LBB433_85
; %bb.82:
	v_or_b32_e32 v10, 0x200, v0
	ds_store_2addr_b64 v1, v[6:7], v[8:9] offset1:1
	s_wait_dscnt 0x0
	s_barrier_signal -1
	s_barrier_wait -1
	v_dual_lshrrev_b32 v2, 2, v10 :: v_dual_lshlrev_b32 v4, 3, v0
	s_mov_b32 s3, 0
	s_lshl_b32 s8, s6, 10
	s_delay_alu instid0(VALU_DEP_1)
	v_and_b32_e32 v2, 0xf8, v2
	s_wait_kmcnt 0x0
	s_lshl_b64 s[4:5], s[2:3], 3
	v_mov_b32_e32 v5, 0
	s_add_nc_u64 s[6:7], s[0:1], s[4:5]
	s_sub_co_i32 s4, s10, s8
	v_add_nc_u32_e32 v2, v2, v4
	s_mov_b32 s5, exec_lo
	v_add_nc_u64_e32 v[4:5], s[6:7], v[4:5]
	ds_load_b64 v[2:3], v2 offset:4096
	v_cmpx_gt_u32_e64 s4, v0
	s_cbranch_execz .LBB433_84
; %bb.83:
	v_lshrrev_b32_e32 v11, 2, v0
	s_delay_alu instid0(VALU_DEP_1) | instskip(NEXT) | instid1(VALU_DEP_1)
	v_and_b32_e32 v11, 0x78, v11
	v_lshl_add_u32 v11, v0, 3, v11
	ds_load_b64 v[12:13], v11
	s_wait_dscnt 0x0
	global_store_b64 v[4:5], v[12:13], off
.LBB433_84:
	s_wait_xcnt 0x0
	s_or_b32 exec_lo, exec_lo, s5
	v_cmp_gt_u32_e64 s4, s4, v10
	s_and_b32 vcc_lo, exec_lo, s3
	s_cbranch_vccnz .LBB433_86
	s_branch .LBB433_87
.LBB433_85:
	s_wait_kmcnt 0x0
	s_mov_b32 s4, 0
                                        ; implicit-def: $vgpr2_vgpr3
                                        ; implicit-def: $vgpr4_vgpr5
	s_cbranch_execz .LBB433_87
.LBB433_86:
	s_wait_dscnt 0x0
	v_or_b32_e32 v2, 0x200, v0
	v_dual_lshrrev_b32 v3, 2, v0 :: v_dual_lshlrev_b32 v4, 3, v0
	v_mov_b32_e32 v5, 0
	ds_store_2addr_b64 v1, v[6:7], v[8:9] offset1:1
	v_lshrrev_b32_e32 v2, 2, v2
	v_and_b32_e32 v3, 0x78, v3
	s_wait_storecnt_dscnt 0x0
	s_barrier_signal -1
	s_barrier_wait -1
	v_and_b32_e32 v2, 0xf8, v2
	v_add_nc_u32_e32 v1, v3, v4
	s_mov_b32 s3, 0
	s_or_b32 s4, s4, exec_lo
	s_delay_alu instid0(VALU_DEP_2) | instskip(SKIP_4) | instid1(SALU_CYCLE_1)
	v_add_nc_u32_e32 v2, v2, v4
	s_lshl_b64 s[2:3], s[2:3], 3
	ds_load_b64 v[6:7], v1
	ds_load_b64 v[2:3], v2 offset:4096
	s_add_nc_u64 s[0:1], s[0:1], s[2:3]
	v_add_nc_u64_e32 v[4:5], s[0:1], v[4:5]
	s_wait_dscnt 0x1
	global_store_b64 v0, v[6:7], s[0:1] scale_offset
.LBB433_87:
	s_wait_xcnt 0x0
	s_and_saveexec_b32 s0, s4
	s_cbranch_execnz .LBB433_89
; %bb.88:
	s_endpgm
.LBB433_89:
	s_wait_dscnt 0x0
	global_store_b64 v[4:5], v[2:3], off offset:4096
	s_endpgm
	.section	.rodata,"a",@progbits
	.p2align	6, 0x0
	.amdhsa_kernel _ZN7rocprim17ROCPRIM_400000_NS6detail17trampoline_kernelINS0_14default_configENS1_35adjacent_difference_config_selectorILb1ElEEZNS1_24adjacent_difference_implIS3_Lb1ELb0EPlS7_ZN2at6native12_GLOBAL__N_124unique_dim_cuda_templateIiEESt5tupleIJNS8_6TensorESD_SD_EERKSD_lbbbEUlllE1_EE10hipError_tPvRmT2_T3_mT4_P12ihipStream_tbEUlT_E_NS1_11comp_targetILNS1_3genE0ELNS1_11target_archE4294967295ELNS1_3gpuE0ELNS1_3repE0EEENS1_30default_config_static_selectorELNS0_4arch9wavefront6targetE0EEEvT1_
		.amdhsa_group_segment_fixed_size 8448
		.amdhsa_private_segment_fixed_size 0
		.amdhsa_kernarg_size 64
		.amdhsa_user_sgpr_count 2
		.amdhsa_user_sgpr_dispatch_ptr 0
		.amdhsa_user_sgpr_queue_ptr 0
		.amdhsa_user_sgpr_kernarg_segment_ptr 1
		.amdhsa_user_sgpr_dispatch_id 0
		.amdhsa_user_sgpr_kernarg_preload_length 0
		.amdhsa_user_sgpr_kernarg_preload_offset 0
		.amdhsa_user_sgpr_private_segment_size 0
		.amdhsa_wavefront_size32 1
		.amdhsa_uses_dynamic_stack 0
		.amdhsa_enable_private_segment 0
		.amdhsa_system_sgpr_workgroup_id_x 1
		.amdhsa_system_sgpr_workgroup_id_y 0
		.amdhsa_system_sgpr_workgroup_id_z 0
		.amdhsa_system_sgpr_workgroup_info 0
		.amdhsa_system_vgpr_workitem_id 0
		.amdhsa_next_free_vgpr 16
		.amdhsa_next_free_sgpr 29
		.amdhsa_named_barrier_count 0
		.amdhsa_reserve_vcc 1
		.amdhsa_float_round_mode_32 0
		.amdhsa_float_round_mode_16_64 0
		.amdhsa_float_denorm_mode_32 3
		.amdhsa_float_denorm_mode_16_64 3
		.amdhsa_fp16_overflow 0
		.amdhsa_memory_ordered 1
		.amdhsa_forward_progress 1
		.amdhsa_inst_pref_size 24
		.amdhsa_round_robin_scheduling 0
		.amdhsa_exception_fp_ieee_invalid_op 0
		.amdhsa_exception_fp_denorm_src 0
		.amdhsa_exception_fp_ieee_div_zero 0
		.amdhsa_exception_fp_ieee_overflow 0
		.amdhsa_exception_fp_ieee_underflow 0
		.amdhsa_exception_fp_ieee_inexact 0
		.amdhsa_exception_int_div_zero 0
	.end_amdhsa_kernel
	.section	.text._ZN7rocprim17ROCPRIM_400000_NS6detail17trampoline_kernelINS0_14default_configENS1_35adjacent_difference_config_selectorILb1ElEEZNS1_24adjacent_difference_implIS3_Lb1ELb0EPlS7_ZN2at6native12_GLOBAL__N_124unique_dim_cuda_templateIiEESt5tupleIJNS8_6TensorESD_SD_EERKSD_lbbbEUlllE1_EE10hipError_tPvRmT2_T3_mT4_P12ihipStream_tbEUlT_E_NS1_11comp_targetILNS1_3genE0ELNS1_11target_archE4294967295ELNS1_3gpuE0ELNS1_3repE0EEENS1_30default_config_static_selectorELNS0_4arch9wavefront6targetE0EEEvT1_,"axG",@progbits,_ZN7rocprim17ROCPRIM_400000_NS6detail17trampoline_kernelINS0_14default_configENS1_35adjacent_difference_config_selectorILb1ElEEZNS1_24adjacent_difference_implIS3_Lb1ELb0EPlS7_ZN2at6native12_GLOBAL__N_124unique_dim_cuda_templateIiEESt5tupleIJNS8_6TensorESD_SD_EERKSD_lbbbEUlllE1_EE10hipError_tPvRmT2_T3_mT4_P12ihipStream_tbEUlT_E_NS1_11comp_targetILNS1_3genE0ELNS1_11target_archE4294967295ELNS1_3gpuE0ELNS1_3repE0EEENS1_30default_config_static_selectorELNS0_4arch9wavefront6targetE0EEEvT1_,comdat
.Lfunc_end433:
	.size	_ZN7rocprim17ROCPRIM_400000_NS6detail17trampoline_kernelINS0_14default_configENS1_35adjacent_difference_config_selectorILb1ElEEZNS1_24adjacent_difference_implIS3_Lb1ELb0EPlS7_ZN2at6native12_GLOBAL__N_124unique_dim_cuda_templateIiEESt5tupleIJNS8_6TensorESD_SD_EERKSD_lbbbEUlllE1_EE10hipError_tPvRmT2_T3_mT4_P12ihipStream_tbEUlT_E_NS1_11comp_targetILNS1_3genE0ELNS1_11target_archE4294967295ELNS1_3gpuE0ELNS1_3repE0EEENS1_30default_config_static_selectorELNS0_4arch9wavefront6targetE0EEEvT1_, .Lfunc_end433-_ZN7rocprim17ROCPRIM_400000_NS6detail17trampoline_kernelINS0_14default_configENS1_35adjacent_difference_config_selectorILb1ElEEZNS1_24adjacent_difference_implIS3_Lb1ELb0EPlS7_ZN2at6native12_GLOBAL__N_124unique_dim_cuda_templateIiEESt5tupleIJNS8_6TensorESD_SD_EERKSD_lbbbEUlllE1_EE10hipError_tPvRmT2_T3_mT4_P12ihipStream_tbEUlT_E_NS1_11comp_targetILNS1_3genE0ELNS1_11target_archE4294967295ELNS1_3gpuE0ELNS1_3repE0EEENS1_30default_config_static_selectorELNS0_4arch9wavefront6targetE0EEEvT1_
                                        ; -- End function
	.set _ZN7rocprim17ROCPRIM_400000_NS6detail17trampoline_kernelINS0_14default_configENS1_35adjacent_difference_config_selectorILb1ElEEZNS1_24adjacent_difference_implIS3_Lb1ELb0EPlS7_ZN2at6native12_GLOBAL__N_124unique_dim_cuda_templateIiEESt5tupleIJNS8_6TensorESD_SD_EERKSD_lbbbEUlllE1_EE10hipError_tPvRmT2_T3_mT4_P12ihipStream_tbEUlT_E_NS1_11comp_targetILNS1_3genE0ELNS1_11target_archE4294967295ELNS1_3gpuE0ELNS1_3repE0EEENS1_30default_config_static_selectorELNS0_4arch9wavefront6targetE0EEEvT1_.num_vgpr, 16
	.set _ZN7rocprim17ROCPRIM_400000_NS6detail17trampoline_kernelINS0_14default_configENS1_35adjacent_difference_config_selectorILb1ElEEZNS1_24adjacent_difference_implIS3_Lb1ELb0EPlS7_ZN2at6native12_GLOBAL__N_124unique_dim_cuda_templateIiEESt5tupleIJNS8_6TensorESD_SD_EERKSD_lbbbEUlllE1_EE10hipError_tPvRmT2_T3_mT4_P12ihipStream_tbEUlT_E_NS1_11comp_targetILNS1_3genE0ELNS1_11target_archE4294967295ELNS1_3gpuE0ELNS1_3repE0EEENS1_30default_config_static_selectorELNS0_4arch9wavefront6targetE0EEEvT1_.num_agpr, 0
	.set _ZN7rocprim17ROCPRIM_400000_NS6detail17trampoline_kernelINS0_14default_configENS1_35adjacent_difference_config_selectorILb1ElEEZNS1_24adjacent_difference_implIS3_Lb1ELb0EPlS7_ZN2at6native12_GLOBAL__N_124unique_dim_cuda_templateIiEESt5tupleIJNS8_6TensorESD_SD_EERKSD_lbbbEUlllE1_EE10hipError_tPvRmT2_T3_mT4_P12ihipStream_tbEUlT_E_NS1_11comp_targetILNS1_3genE0ELNS1_11target_archE4294967295ELNS1_3gpuE0ELNS1_3repE0EEENS1_30default_config_static_selectorELNS0_4arch9wavefront6targetE0EEEvT1_.numbered_sgpr, 29
	.set _ZN7rocprim17ROCPRIM_400000_NS6detail17trampoline_kernelINS0_14default_configENS1_35adjacent_difference_config_selectorILb1ElEEZNS1_24adjacent_difference_implIS3_Lb1ELb0EPlS7_ZN2at6native12_GLOBAL__N_124unique_dim_cuda_templateIiEESt5tupleIJNS8_6TensorESD_SD_EERKSD_lbbbEUlllE1_EE10hipError_tPvRmT2_T3_mT4_P12ihipStream_tbEUlT_E_NS1_11comp_targetILNS1_3genE0ELNS1_11target_archE4294967295ELNS1_3gpuE0ELNS1_3repE0EEENS1_30default_config_static_selectorELNS0_4arch9wavefront6targetE0EEEvT1_.num_named_barrier, 0
	.set _ZN7rocprim17ROCPRIM_400000_NS6detail17trampoline_kernelINS0_14default_configENS1_35adjacent_difference_config_selectorILb1ElEEZNS1_24adjacent_difference_implIS3_Lb1ELb0EPlS7_ZN2at6native12_GLOBAL__N_124unique_dim_cuda_templateIiEESt5tupleIJNS8_6TensorESD_SD_EERKSD_lbbbEUlllE1_EE10hipError_tPvRmT2_T3_mT4_P12ihipStream_tbEUlT_E_NS1_11comp_targetILNS1_3genE0ELNS1_11target_archE4294967295ELNS1_3gpuE0ELNS1_3repE0EEENS1_30default_config_static_selectorELNS0_4arch9wavefront6targetE0EEEvT1_.private_seg_size, 0
	.set _ZN7rocprim17ROCPRIM_400000_NS6detail17trampoline_kernelINS0_14default_configENS1_35adjacent_difference_config_selectorILb1ElEEZNS1_24adjacent_difference_implIS3_Lb1ELb0EPlS7_ZN2at6native12_GLOBAL__N_124unique_dim_cuda_templateIiEESt5tupleIJNS8_6TensorESD_SD_EERKSD_lbbbEUlllE1_EE10hipError_tPvRmT2_T3_mT4_P12ihipStream_tbEUlT_E_NS1_11comp_targetILNS1_3genE0ELNS1_11target_archE4294967295ELNS1_3gpuE0ELNS1_3repE0EEENS1_30default_config_static_selectorELNS0_4arch9wavefront6targetE0EEEvT1_.uses_vcc, 1
	.set _ZN7rocprim17ROCPRIM_400000_NS6detail17trampoline_kernelINS0_14default_configENS1_35adjacent_difference_config_selectorILb1ElEEZNS1_24adjacent_difference_implIS3_Lb1ELb0EPlS7_ZN2at6native12_GLOBAL__N_124unique_dim_cuda_templateIiEESt5tupleIJNS8_6TensorESD_SD_EERKSD_lbbbEUlllE1_EE10hipError_tPvRmT2_T3_mT4_P12ihipStream_tbEUlT_E_NS1_11comp_targetILNS1_3genE0ELNS1_11target_archE4294967295ELNS1_3gpuE0ELNS1_3repE0EEENS1_30default_config_static_selectorELNS0_4arch9wavefront6targetE0EEEvT1_.uses_flat_scratch, 0
	.set _ZN7rocprim17ROCPRIM_400000_NS6detail17trampoline_kernelINS0_14default_configENS1_35adjacent_difference_config_selectorILb1ElEEZNS1_24adjacent_difference_implIS3_Lb1ELb0EPlS7_ZN2at6native12_GLOBAL__N_124unique_dim_cuda_templateIiEESt5tupleIJNS8_6TensorESD_SD_EERKSD_lbbbEUlllE1_EE10hipError_tPvRmT2_T3_mT4_P12ihipStream_tbEUlT_E_NS1_11comp_targetILNS1_3genE0ELNS1_11target_archE4294967295ELNS1_3gpuE0ELNS1_3repE0EEENS1_30default_config_static_selectorELNS0_4arch9wavefront6targetE0EEEvT1_.has_dyn_sized_stack, 0
	.set _ZN7rocprim17ROCPRIM_400000_NS6detail17trampoline_kernelINS0_14default_configENS1_35adjacent_difference_config_selectorILb1ElEEZNS1_24adjacent_difference_implIS3_Lb1ELb0EPlS7_ZN2at6native12_GLOBAL__N_124unique_dim_cuda_templateIiEESt5tupleIJNS8_6TensorESD_SD_EERKSD_lbbbEUlllE1_EE10hipError_tPvRmT2_T3_mT4_P12ihipStream_tbEUlT_E_NS1_11comp_targetILNS1_3genE0ELNS1_11target_archE4294967295ELNS1_3gpuE0ELNS1_3repE0EEENS1_30default_config_static_selectorELNS0_4arch9wavefront6targetE0EEEvT1_.has_recursion, 0
	.set _ZN7rocprim17ROCPRIM_400000_NS6detail17trampoline_kernelINS0_14default_configENS1_35adjacent_difference_config_selectorILb1ElEEZNS1_24adjacent_difference_implIS3_Lb1ELb0EPlS7_ZN2at6native12_GLOBAL__N_124unique_dim_cuda_templateIiEESt5tupleIJNS8_6TensorESD_SD_EERKSD_lbbbEUlllE1_EE10hipError_tPvRmT2_T3_mT4_P12ihipStream_tbEUlT_E_NS1_11comp_targetILNS1_3genE0ELNS1_11target_archE4294967295ELNS1_3gpuE0ELNS1_3repE0EEENS1_30default_config_static_selectorELNS0_4arch9wavefront6targetE0EEEvT1_.has_indirect_call, 0
	.section	.AMDGPU.csdata,"",@progbits
; Kernel info:
; codeLenInByte = 2980
; TotalNumSgprs: 31
; NumVgprs: 16
; ScratchSize: 0
; MemoryBound: 0
; FloatMode: 240
; IeeeMode: 1
; LDSByteSize: 8448 bytes/workgroup (compile time only)
; SGPRBlocks: 0
; VGPRBlocks: 0
; NumSGPRsForWavesPerEU: 31
; NumVGPRsForWavesPerEU: 16
; NamedBarCnt: 0
; Occupancy: 16
; WaveLimiterHint : 1
; COMPUTE_PGM_RSRC2:SCRATCH_EN: 0
; COMPUTE_PGM_RSRC2:USER_SGPR: 2
; COMPUTE_PGM_RSRC2:TRAP_HANDLER: 0
; COMPUTE_PGM_RSRC2:TGID_X_EN: 1
; COMPUTE_PGM_RSRC2:TGID_Y_EN: 0
; COMPUTE_PGM_RSRC2:TGID_Z_EN: 0
; COMPUTE_PGM_RSRC2:TIDIG_COMP_CNT: 0
	.section	.text._ZN7rocprim17ROCPRIM_400000_NS6detail17trampoline_kernelINS0_14default_configENS1_35adjacent_difference_config_selectorILb1ElEEZNS1_24adjacent_difference_implIS3_Lb1ELb0EPlS7_ZN2at6native12_GLOBAL__N_124unique_dim_cuda_templateIiEESt5tupleIJNS8_6TensorESD_SD_EERKSD_lbbbEUlllE1_EE10hipError_tPvRmT2_T3_mT4_P12ihipStream_tbEUlT_E_NS1_11comp_targetILNS1_3genE10ELNS1_11target_archE1201ELNS1_3gpuE5ELNS1_3repE0EEENS1_30default_config_static_selectorELNS0_4arch9wavefront6targetE0EEEvT1_,"axG",@progbits,_ZN7rocprim17ROCPRIM_400000_NS6detail17trampoline_kernelINS0_14default_configENS1_35adjacent_difference_config_selectorILb1ElEEZNS1_24adjacent_difference_implIS3_Lb1ELb0EPlS7_ZN2at6native12_GLOBAL__N_124unique_dim_cuda_templateIiEESt5tupleIJNS8_6TensorESD_SD_EERKSD_lbbbEUlllE1_EE10hipError_tPvRmT2_T3_mT4_P12ihipStream_tbEUlT_E_NS1_11comp_targetILNS1_3genE10ELNS1_11target_archE1201ELNS1_3gpuE5ELNS1_3repE0EEENS1_30default_config_static_selectorELNS0_4arch9wavefront6targetE0EEEvT1_,comdat
	.globl	_ZN7rocprim17ROCPRIM_400000_NS6detail17trampoline_kernelINS0_14default_configENS1_35adjacent_difference_config_selectorILb1ElEEZNS1_24adjacent_difference_implIS3_Lb1ELb0EPlS7_ZN2at6native12_GLOBAL__N_124unique_dim_cuda_templateIiEESt5tupleIJNS8_6TensorESD_SD_EERKSD_lbbbEUlllE1_EE10hipError_tPvRmT2_T3_mT4_P12ihipStream_tbEUlT_E_NS1_11comp_targetILNS1_3genE10ELNS1_11target_archE1201ELNS1_3gpuE5ELNS1_3repE0EEENS1_30default_config_static_selectorELNS0_4arch9wavefront6targetE0EEEvT1_ ; -- Begin function _ZN7rocprim17ROCPRIM_400000_NS6detail17trampoline_kernelINS0_14default_configENS1_35adjacent_difference_config_selectorILb1ElEEZNS1_24adjacent_difference_implIS3_Lb1ELb0EPlS7_ZN2at6native12_GLOBAL__N_124unique_dim_cuda_templateIiEESt5tupleIJNS8_6TensorESD_SD_EERKSD_lbbbEUlllE1_EE10hipError_tPvRmT2_T3_mT4_P12ihipStream_tbEUlT_E_NS1_11comp_targetILNS1_3genE10ELNS1_11target_archE1201ELNS1_3gpuE5ELNS1_3repE0EEENS1_30default_config_static_selectorELNS0_4arch9wavefront6targetE0EEEvT1_
	.p2align	8
	.type	_ZN7rocprim17ROCPRIM_400000_NS6detail17trampoline_kernelINS0_14default_configENS1_35adjacent_difference_config_selectorILb1ElEEZNS1_24adjacent_difference_implIS3_Lb1ELb0EPlS7_ZN2at6native12_GLOBAL__N_124unique_dim_cuda_templateIiEESt5tupleIJNS8_6TensorESD_SD_EERKSD_lbbbEUlllE1_EE10hipError_tPvRmT2_T3_mT4_P12ihipStream_tbEUlT_E_NS1_11comp_targetILNS1_3genE10ELNS1_11target_archE1201ELNS1_3gpuE5ELNS1_3repE0EEENS1_30default_config_static_selectorELNS0_4arch9wavefront6targetE0EEEvT1_,@function
_ZN7rocprim17ROCPRIM_400000_NS6detail17trampoline_kernelINS0_14default_configENS1_35adjacent_difference_config_selectorILb1ElEEZNS1_24adjacent_difference_implIS3_Lb1ELb0EPlS7_ZN2at6native12_GLOBAL__N_124unique_dim_cuda_templateIiEESt5tupleIJNS8_6TensorESD_SD_EERKSD_lbbbEUlllE1_EE10hipError_tPvRmT2_T3_mT4_P12ihipStream_tbEUlT_E_NS1_11comp_targetILNS1_3genE10ELNS1_11target_archE1201ELNS1_3gpuE5ELNS1_3repE0EEENS1_30default_config_static_selectorELNS0_4arch9wavefront6targetE0EEEvT1_: ; @_ZN7rocprim17ROCPRIM_400000_NS6detail17trampoline_kernelINS0_14default_configENS1_35adjacent_difference_config_selectorILb1ElEEZNS1_24adjacent_difference_implIS3_Lb1ELb0EPlS7_ZN2at6native12_GLOBAL__N_124unique_dim_cuda_templateIiEESt5tupleIJNS8_6TensorESD_SD_EERKSD_lbbbEUlllE1_EE10hipError_tPvRmT2_T3_mT4_P12ihipStream_tbEUlT_E_NS1_11comp_targetILNS1_3genE10ELNS1_11target_archE1201ELNS1_3gpuE5ELNS1_3repE0EEENS1_30default_config_static_selectorELNS0_4arch9wavefront6targetE0EEEvT1_
; %bb.0:
	.section	.rodata,"a",@progbits
	.p2align	6, 0x0
	.amdhsa_kernel _ZN7rocprim17ROCPRIM_400000_NS6detail17trampoline_kernelINS0_14default_configENS1_35adjacent_difference_config_selectorILb1ElEEZNS1_24adjacent_difference_implIS3_Lb1ELb0EPlS7_ZN2at6native12_GLOBAL__N_124unique_dim_cuda_templateIiEESt5tupleIJNS8_6TensorESD_SD_EERKSD_lbbbEUlllE1_EE10hipError_tPvRmT2_T3_mT4_P12ihipStream_tbEUlT_E_NS1_11comp_targetILNS1_3genE10ELNS1_11target_archE1201ELNS1_3gpuE5ELNS1_3repE0EEENS1_30default_config_static_selectorELNS0_4arch9wavefront6targetE0EEEvT1_
		.amdhsa_group_segment_fixed_size 0
		.amdhsa_private_segment_fixed_size 0
		.amdhsa_kernarg_size 64
		.amdhsa_user_sgpr_count 2
		.amdhsa_user_sgpr_dispatch_ptr 0
		.amdhsa_user_sgpr_queue_ptr 0
		.amdhsa_user_sgpr_kernarg_segment_ptr 1
		.amdhsa_user_sgpr_dispatch_id 0
		.amdhsa_user_sgpr_kernarg_preload_length 0
		.amdhsa_user_sgpr_kernarg_preload_offset 0
		.amdhsa_user_sgpr_private_segment_size 0
		.amdhsa_wavefront_size32 1
		.amdhsa_uses_dynamic_stack 0
		.amdhsa_enable_private_segment 0
		.amdhsa_system_sgpr_workgroup_id_x 1
		.amdhsa_system_sgpr_workgroup_id_y 0
		.amdhsa_system_sgpr_workgroup_id_z 0
		.amdhsa_system_sgpr_workgroup_info 0
		.amdhsa_system_vgpr_workitem_id 0
		.amdhsa_next_free_vgpr 1
		.amdhsa_next_free_sgpr 1
		.amdhsa_named_barrier_count 0
		.amdhsa_reserve_vcc 0
		.amdhsa_float_round_mode_32 0
		.amdhsa_float_round_mode_16_64 0
		.amdhsa_float_denorm_mode_32 3
		.amdhsa_float_denorm_mode_16_64 3
		.amdhsa_fp16_overflow 0
		.amdhsa_memory_ordered 1
		.amdhsa_forward_progress 1
		.amdhsa_inst_pref_size 0
		.amdhsa_round_robin_scheduling 0
		.amdhsa_exception_fp_ieee_invalid_op 0
		.amdhsa_exception_fp_denorm_src 0
		.amdhsa_exception_fp_ieee_div_zero 0
		.amdhsa_exception_fp_ieee_overflow 0
		.amdhsa_exception_fp_ieee_underflow 0
		.amdhsa_exception_fp_ieee_inexact 0
		.amdhsa_exception_int_div_zero 0
	.end_amdhsa_kernel
	.section	.text._ZN7rocprim17ROCPRIM_400000_NS6detail17trampoline_kernelINS0_14default_configENS1_35adjacent_difference_config_selectorILb1ElEEZNS1_24adjacent_difference_implIS3_Lb1ELb0EPlS7_ZN2at6native12_GLOBAL__N_124unique_dim_cuda_templateIiEESt5tupleIJNS8_6TensorESD_SD_EERKSD_lbbbEUlllE1_EE10hipError_tPvRmT2_T3_mT4_P12ihipStream_tbEUlT_E_NS1_11comp_targetILNS1_3genE10ELNS1_11target_archE1201ELNS1_3gpuE5ELNS1_3repE0EEENS1_30default_config_static_selectorELNS0_4arch9wavefront6targetE0EEEvT1_,"axG",@progbits,_ZN7rocprim17ROCPRIM_400000_NS6detail17trampoline_kernelINS0_14default_configENS1_35adjacent_difference_config_selectorILb1ElEEZNS1_24adjacent_difference_implIS3_Lb1ELb0EPlS7_ZN2at6native12_GLOBAL__N_124unique_dim_cuda_templateIiEESt5tupleIJNS8_6TensorESD_SD_EERKSD_lbbbEUlllE1_EE10hipError_tPvRmT2_T3_mT4_P12ihipStream_tbEUlT_E_NS1_11comp_targetILNS1_3genE10ELNS1_11target_archE1201ELNS1_3gpuE5ELNS1_3repE0EEENS1_30default_config_static_selectorELNS0_4arch9wavefront6targetE0EEEvT1_,comdat
.Lfunc_end434:
	.size	_ZN7rocprim17ROCPRIM_400000_NS6detail17trampoline_kernelINS0_14default_configENS1_35adjacent_difference_config_selectorILb1ElEEZNS1_24adjacent_difference_implIS3_Lb1ELb0EPlS7_ZN2at6native12_GLOBAL__N_124unique_dim_cuda_templateIiEESt5tupleIJNS8_6TensorESD_SD_EERKSD_lbbbEUlllE1_EE10hipError_tPvRmT2_T3_mT4_P12ihipStream_tbEUlT_E_NS1_11comp_targetILNS1_3genE10ELNS1_11target_archE1201ELNS1_3gpuE5ELNS1_3repE0EEENS1_30default_config_static_selectorELNS0_4arch9wavefront6targetE0EEEvT1_, .Lfunc_end434-_ZN7rocprim17ROCPRIM_400000_NS6detail17trampoline_kernelINS0_14default_configENS1_35adjacent_difference_config_selectorILb1ElEEZNS1_24adjacent_difference_implIS3_Lb1ELb0EPlS7_ZN2at6native12_GLOBAL__N_124unique_dim_cuda_templateIiEESt5tupleIJNS8_6TensorESD_SD_EERKSD_lbbbEUlllE1_EE10hipError_tPvRmT2_T3_mT4_P12ihipStream_tbEUlT_E_NS1_11comp_targetILNS1_3genE10ELNS1_11target_archE1201ELNS1_3gpuE5ELNS1_3repE0EEENS1_30default_config_static_selectorELNS0_4arch9wavefront6targetE0EEEvT1_
                                        ; -- End function
	.set _ZN7rocprim17ROCPRIM_400000_NS6detail17trampoline_kernelINS0_14default_configENS1_35adjacent_difference_config_selectorILb1ElEEZNS1_24adjacent_difference_implIS3_Lb1ELb0EPlS7_ZN2at6native12_GLOBAL__N_124unique_dim_cuda_templateIiEESt5tupleIJNS8_6TensorESD_SD_EERKSD_lbbbEUlllE1_EE10hipError_tPvRmT2_T3_mT4_P12ihipStream_tbEUlT_E_NS1_11comp_targetILNS1_3genE10ELNS1_11target_archE1201ELNS1_3gpuE5ELNS1_3repE0EEENS1_30default_config_static_selectorELNS0_4arch9wavefront6targetE0EEEvT1_.num_vgpr, 0
	.set _ZN7rocprim17ROCPRIM_400000_NS6detail17trampoline_kernelINS0_14default_configENS1_35adjacent_difference_config_selectorILb1ElEEZNS1_24adjacent_difference_implIS3_Lb1ELb0EPlS7_ZN2at6native12_GLOBAL__N_124unique_dim_cuda_templateIiEESt5tupleIJNS8_6TensorESD_SD_EERKSD_lbbbEUlllE1_EE10hipError_tPvRmT2_T3_mT4_P12ihipStream_tbEUlT_E_NS1_11comp_targetILNS1_3genE10ELNS1_11target_archE1201ELNS1_3gpuE5ELNS1_3repE0EEENS1_30default_config_static_selectorELNS0_4arch9wavefront6targetE0EEEvT1_.num_agpr, 0
	.set _ZN7rocprim17ROCPRIM_400000_NS6detail17trampoline_kernelINS0_14default_configENS1_35adjacent_difference_config_selectorILb1ElEEZNS1_24adjacent_difference_implIS3_Lb1ELb0EPlS7_ZN2at6native12_GLOBAL__N_124unique_dim_cuda_templateIiEESt5tupleIJNS8_6TensorESD_SD_EERKSD_lbbbEUlllE1_EE10hipError_tPvRmT2_T3_mT4_P12ihipStream_tbEUlT_E_NS1_11comp_targetILNS1_3genE10ELNS1_11target_archE1201ELNS1_3gpuE5ELNS1_3repE0EEENS1_30default_config_static_selectorELNS0_4arch9wavefront6targetE0EEEvT1_.numbered_sgpr, 0
	.set _ZN7rocprim17ROCPRIM_400000_NS6detail17trampoline_kernelINS0_14default_configENS1_35adjacent_difference_config_selectorILb1ElEEZNS1_24adjacent_difference_implIS3_Lb1ELb0EPlS7_ZN2at6native12_GLOBAL__N_124unique_dim_cuda_templateIiEESt5tupleIJNS8_6TensorESD_SD_EERKSD_lbbbEUlllE1_EE10hipError_tPvRmT2_T3_mT4_P12ihipStream_tbEUlT_E_NS1_11comp_targetILNS1_3genE10ELNS1_11target_archE1201ELNS1_3gpuE5ELNS1_3repE0EEENS1_30default_config_static_selectorELNS0_4arch9wavefront6targetE0EEEvT1_.num_named_barrier, 0
	.set _ZN7rocprim17ROCPRIM_400000_NS6detail17trampoline_kernelINS0_14default_configENS1_35adjacent_difference_config_selectorILb1ElEEZNS1_24adjacent_difference_implIS3_Lb1ELb0EPlS7_ZN2at6native12_GLOBAL__N_124unique_dim_cuda_templateIiEESt5tupleIJNS8_6TensorESD_SD_EERKSD_lbbbEUlllE1_EE10hipError_tPvRmT2_T3_mT4_P12ihipStream_tbEUlT_E_NS1_11comp_targetILNS1_3genE10ELNS1_11target_archE1201ELNS1_3gpuE5ELNS1_3repE0EEENS1_30default_config_static_selectorELNS0_4arch9wavefront6targetE0EEEvT1_.private_seg_size, 0
	.set _ZN7rocprim17ROCPRIM_400000_NS6detail17trampoline_kernelINS0_14default_configENS1_35adjacent_difference_config_selectorILb1ElEEZNS1_24adjacent_difference_implIS3_Lb1ELb0EPlS7_ZN2at6native12_GLOBAL__N_124unique_dim_cuda_templateIiEESt5tupleIJNS8_6TensorESD_SD_EERKSD_lbbbEUlllE1_EE10hipError_tPvRmT2_T3_mT4_P12ihipStream_tbEUlT_E_NS1_11comp_targetILNS1_3genE10ELNS1_11target_archE1201ELNS1_3gpuE5ELNS1_3repE0EEENS1_30default_config_static_selectorELNS0_4arch9wavefront6targetE0EEEvT1_.uses_vcc, 0
	.set _ZN7rocprim17ROCPRIM_400000_NS6detail17trampoline_kernelINS0_14default_configENS1_35adjacent_difference_config_selectorILb1ElEEZNS1_24adjacent_difference_implIS3_Lb1ELb0EPlS7_ZN2at6native12_GLOBAL__N_124unique_dim_cuda_templateIiEESt5tupleIJNS8_6TensorESD_SD_EERKSD_lbbbEUlllE1_EE10hipError_tPvRmT2_T3_mT4_P12ihipStream_tbEUlT_E_NS1_11comp_targetILNS1_3genE10ELNS1_11target_archE1201ELNS1_3gpuE5ELNS1_3repE0EEENS1_30default_config_static_selectorELNS0_4arch9wavefront6targetE0EEEvT1_.uses_flat_scratch, 0
	.set _ZN7rocprim17ROCPRIM_400000_NS6detail17trampoline_kernelINS0_14default_configENS1_35adjacent_difference_config_selectorILb1ElEEZNS1_24adjacent_difference_implIS3_Lb1ELb0EPlS7_ZN2at6native12_GLOBAL__N_124unique_dim_cuda_templateIiEESt5tupleIJNS8_6TensorESD_SD_EERKSD_lbbbEUlllE1_EE10hipError_tPvRmT2_T3_mT4_P12ihipStream_tbEUlT_E_NS1_11comp_targetILNS1_3genE10ELNS1_11target_archE1201ELNS1_3gpuE5ELNS1_3repE0EEENS1_30default_config_static_selectorELNS0_4arch9wavefront6targetE0EEEvT1_.has_dyn_sized_stack, 0
	.set _ZN7rocprim17ROCPRIM_400000_NS6detail17trampoline_kernelINS0_14default_configENS1_35adjacent_difference_config_selectorILb1ElEEZNS1_24adjacent_difference_implIS3_Lb1ELb0EPlS7_ZN2at6native12_GLOBAL__N_124unique_dim_cuda_templateIiEESt5tupleIJNS8_6TensorESD_SD_EERKSD_lbbbEUlllE1_EE10hipError_tPvRmT2_T3_mT4_P12ihipStream_tbEUlT_E_NS1_11comp_targetILNS1_3genE10ELNS1_11target_archE1201ELNS1_3gpuE5ELNS1_3repE0EEENS1_30default_config_static_selectorELNS0_4arch9wavefront6targetE0EEEvT1_.has_recursion, 0
	.set _ZN7rocprim17ROCPRIM_400000_NS6detail17trampoline_kernelINS0_14default_configENS1_35adjacent_difference_config_selectorILb1ElEEZNS1_24adjacent_difference_implIS3_Lb1ELb0EPlS7_ZN2at6native12_GLOBAL__N_124unique_dim_cuda_templateIiEESt5tupleIJNS8_6TensorESD_SD_EERKSD_lbbbEUlllE1_EE10hipError_tPvRmT2_T3_mT4_P12ihipStream_tbEUlT_E_NS1_11comp_targetILNS1_3genE10ELNS1_11target_archE1201ELNS1_3gpuE5ELNS1_3repE0EEENS1_30default_config_static_selectorELNS0_4arch9wavefront6targetE0EEEvT1_.has_indirect_call, 0
	.section	.AMDGPU.csdata,"",@progbits
; Kernel info:
; codeLenInByte = 0
; TotalNumSgprs: 0
; NumVgprs: 0
; ScratchSize: 0
; MemoryBound: 0
; FloatMode: 240
; IeeeMode: 1
; LDSByteSize: 0 bytes/workgroup (compile time only)
; SGPRBlocks: 0
; VGPRBlocks: 0
; NumSGPRsForWavesPerEU: 1
; NumVGPRsForWavesPerEU: 1
; NamedBarCnt: 0
; Occupancy: 16
; WaveLimiterHint : 0
; COMPUTE_PGM_RSRC2:SCRATCH_EN: 0
; COMPUTE_PGM_RSRC2:USER_SGPR: 2
; COMPUTE_PGM_RSRC2:TRAP_HANDLER: 0
; COMPUTE_PGM_RSRC2:TGID_X_EN: 1
; COMPUTE_PGM_RSRC2:TGID_Y_EN: 0
; COMPUTE_PGM_RSRC2:TGID_Z_EN: 0
; COMPUTE_PGM_RSRC2:TIDIG_COMP_CNT: 0
	.section	.text._ZN7rocprim17ROCPRIM_400000_NS6detail17trampoline_kernelINS0_14default_configENS1_35adjacent_difference_config_selectorILb1ElEEZNS1_24adjacent_difference_implIS3_Lb1ELb0EPlS7_ZN2at6native12_GLOBAL__N_124unique_dim_cuda_templateIiEESt5tupleIJNS8_6TensorESD_SD_EERKSD_lbbbEUlllE1_EE10hipError_tPvRmT2_T3_mT4_P12ihipStream_tbEUlT_E_NS1_11comp_targetILNS1_3genE5ELNS1_11target_archE942ELNS1_3gpuE9ELNS1_3repE0EEENS1_30default_config_static_selectorELNS0_4arch9wavefront6targetE0EEEvT1_,"axG",@progbits,_ZN7rocprim17ROCPRIM_400000_NS6detail17trampoline_kernelINS0_14default_configENS1_35adjacent_difference_config_selectorILb1ElEEZNS1_24adjacent_difference_implIS3_Lb1ELb0EPlS7_ZN2at6native12_GLOBAL__N_124unique_dim_cuda_templateIiEESt5tupleIJNS8_6TensorESD_SD_EERKSD_lbbbEUlllE1_EE10hipError_tPvRmT2_T3_mT4_P12ihipStream_tbEUlT_E_NS1_11comp_targetILNS1_3genE5ELNS1_11target_archE942ELNS1_3gpuE9ELNS1_3repE0EEENS1_30default_config_static_selectorELNS0_4arch9wavefront6targetE0EEEvT1_,comdat
	.globl	_ZN7rocprim17ROCPRIM_400000_NS6detail17trampoline_kernelINS0_14default_configENS1_35adjacent_difference_config_selectorILb1ElEEZNS1_24adjacent_difference_implIS3_Lb1ELb0EPlS7_ZN2at6native12_GLOBAL__N_124unique_dim_cuda_templateIiEESt5tupleIJNS8_6TensorESD_SD_EERKSD_lbbbEUlllE1_EE10hipError_tPvRmT2_T3_mT4_P12ihipStream_tbEUlT_E_NS1_11comp_targetILNS1_3genE5ELNS1_11target_archE942ELNS1_3gpuE9ELNS1_3repE0EEENS1_30default_config_static_selectorELNS0_4arch9wavefront6targetE0EEEvT1_ ; -- Begin function _ZN7rocprim17ROCPRIM_400000_NS6detail17trampoline_kernelINS0_14default_configENS1_35adjacent_difference_config_selectorILb1ElEEZNS1_24adjacent_difference_implIS3_Lb1ELb0EPlS7_ZN2at6native12_GLOBAL__N_124unique_dim_cuda_templateIiEESt5tupleIJNS8_6TensorESD_SD_EERKSD_lbbbEUlllE1_EE10hipError_tPvRmT2_T3_mT4_P12ihipStream_tbEUlT_E_NS1_11comp_targetILNS1_3genE5ELNS1_11target_archE942ELNS1_3gpuE9ELNS1_3repE0EEENS1_30default_config_static_selectorELNS0_4arch9wavefront6targetE0EEEvT1_
	.p2align	8
	.type	_ZN7rocprim17ROCPRIM_400000_NS6detail17trampoline_kernelINS0_14default_configENS1_35adjacent_difference_config_selectorILb1ElEEZNS1_24adjacent_difference_implIS3_Lb1ELb0EPlS7_ZN2at6native12_GLOBAL__N_124unique_dim_cuda_templateIiEESt5tupleIJNS8_6TensorESD_SD_EERKSD_lbbbEUlllE1_EE10hipError_tPvRmT2_T3_mT4_P12ihipStream_tbEUlT_E_NS1_11comp_targetILNS1_3genE5ELNS1_11target_archE942ELNS1_3gpuE9ELNS1_3repE0EEENS1_30default_config_static_selectorELNS0_4arch9wavefront6targetE0EEEvT1_,@function
_ZN7rocprim17ROCPRIM_400000_NS6detail17trampoline_kernelINS0_14default_configENS1_35adjacent_difference_config_selectorILb1ElEEZNS1_24adjacent_difference_implIS3_Lb1ELb0EPlS7_ZN2at6native12_GLOBAL__N_124unique_dim_cuda_templateIiEESt5tupleIJNS8_6TensorESD_SD_EERKSD_lbbbEUlllE1_EE10hipError_tPvRmT2_T3_mT4_P12ihipStream_tbEUlT_E_NS1_11comp_targetILNS1_3genE5ELNS1_11target_archE942ELNS1_3gpuE9ELNS1_3repE0EEENS1_30default_config_static_selectorELNS0_4arch9wavefront6targetE0EEEvT1_: ; @_ZN7rocprim17ROCPRIM_400000_NS6detail17trampoline_kernelINS0_14default_configENS1_35adjacent_difference_config_selectorILb1ElEEZNS1_24adjacent_difference_implIS3_Lb1ELb0EPlS7_ZN2at6native12_GLOBAL__N_124unique_dim_cuda_templateIiEESt5tupleIJNS8_6TensorESD_SD_EERKSD_lbbbEUlllE1_EE10hipError_tPvRmT2_T3_mT4_P12ihipStream_tbEUlT_E_NS1_11comp_targetILNS1_3genE5ELNS1_11target_archE942ELNS1_3gpuE9ELNS1_3repE0EEENS1_30default_config_static_selectorELNS0_4arch9wavefront6targetE0EEEvT1_
; %bb.0:
	.section	.rodata,"a",@progbits
	.p2align	6, 0x0
	.amdhsa_kernel _ZN7rocprim17ROCPRIM_400000_NS6detail17trampoline_kernelINS0_14default_configENS1_35adjacent_difference_config_selectorILb1ElEEZNS1_24adjacent_difference_implIS3_Lb1ELb0EPlS7_ZN2at6native12_GLOBAL__N_124unique_dim_cuda_templateIiEESt5tupleIJNS8_6TensorESD_SD_EERKSD_lbbbEUlllE1_EE10hipError_tPvRmT2_T3_mT4_P12ihipStream_tbEUlT_E_NS1_11comp_targetILNS1_3genE5ELNS1_11target_archE942ELNS1_3gpuE9ELNS1_3repE0EEENS1_30default_config_static_selectorELNS0_4arch9wavefront6targetE0EEEvT1_
		.amdhsa_group_segment_fixed_size 0
		.amdhsa_private_segment_fixed_size 0
		.amdhsa_kernarg_size 64
		.amdhsa_user_sgpr_count 2
		.amdhsa_user_sgpr_dispatch_ptr 0
		.amdhsa_user_sgpr_queue_ptr 0
		.amdhsa_user_sgpr_kernarg_segment_ptr 1
		.amdhsa_user_sgpr_dispatch_id 0
		.amdhsa_user_sgpr_kernarg_preload_length 0
		.amdhsa_user_sgpr_kernarg_preload_offset 0
		.amdhsa_user_sgpr_private_segment_size 0
		.amdhsa_wavefront_size32 1
		.amdhsa_uses_dynamic_stack 0
		.amdhsa_enable_private_segment 0
		.amdhsa_system_sgpr_workgroup_id_x 1
		.amdhsa_system_sgpr_workgroup_id_y 0
		.amdhsa_system_sgpr_workgroup_id_z 0
		.amdhsa_system_sgpr_workgroup_info 0
		.amdhsa_system_vgpr_workitem_id 0
		.amdhsa_next_free_vgpr 1
		.amdhsa_next_free_sgpr 1
		.amdhsa_named_barrier_count 0
		.amdhsa_reserve_vcc 0
		.amdhsa_float_round_mode_32 0
		.amdhsa_float_round_mode_16_64 0
		.amdhsa_float_denorm_mode_32 3
		.amdhsa_float_denorm_mode_16_64 3
		.amdhsa_fp16_overflow 0
		.amdhsa_memory_ordered 1
		.amdhsa_forward_progress 1
		.amdhsa_inst_pref_size 0
		.amdhsa_round_robin_scheduling 0
		.amdhsa_exception_fp_ieee_invalid_op 0
		.amdhsa_exception_fp_denorm_src 0
		.amdhsa_exception_fp_ieee_div_zero 0
		.amdhsa_exception_fp_ieee_overflow 0
		.amdhsa_exception_fp_ieee_underflow 0
		.amdhsa_exception_fp_ieee_inexact 0
		.amdhsa_exception_int_div_zero 0
	.end_amdhsa_kernel
	.section	.text._ZN7rocprim17ROCPRIM_400000_NS6detail17trampoline_kernelINS0_14default_configENS1_35adjacent_difference_config_selectorILb1ElEEZNS1_24adjacent_difference_implIS3_Lb1ELb0EPlS7_ZN2at6native12_GLOBAL__N_124unique_dim_cuda_templateIiEESt5tupleIJNS8_6TensorESD_SD_EERKSD_lbbbEUlllE1_EE10hipError_tPvRmT2_T3_mT4_P12ihipStream_tbEUlT_E_NS1_11comp_targetILNS1_3genE5ELNS1_11target_archE942ELNS1_3gpuE9ELNS1_3repE0EEENS1_30default_config_static_selectorELNS0_4arch9wavefront6targetE0EEEvT1_,"axG",@progbits,_ZN7rocprim17ROCPRIM_400000_NS6detail17trampoline_kernelINS0_14default_configENS1_35adjacent_difference_config_selectorILb1ElEEZNS1_24adjacent_difference_implIS3_Lb1ELb0EPlS7_ZN2at6native12_GLOBAL__N_124unique_dim_cuda_templateIiEESt5tupleIJNS8_6TensorESD_SD_EERKSD_lbbbEUlllE1_EE10hipError_tPvRmT2_T3_mT4_P12ihipStream_tbEUlT_E_NS1_11comp_targetILNS1_3genE5ELNS1_11target_archE942ELNS1_3gpuE9ELNS1_3repE0EEENS1_30default_config_static_selectorELNS0_4arch9wavefront6targetE0EEEvT1_,comdat
.Lfunc_end435:
	.size	_ZN7rocprim17ROCPRIM_400000_NS6detail17trampoline_kernelINS0_14default_configENS1_35adjacent_difference_config_selectorILb1ElEEZNS1_24adjacent_difference_implIS3_Lb1ELb0EPlS7_ZN2at6native12_GLOBAL__N_124unique_dim_cuda_templateIiEESt5tupleIJNS8_6TensorESD_SD_EERKSD_lbbbEUlllE1_EE10hipError_tPvRmT2_T3_mT4_P12ihipStream_tbEUlT_E_NS1_11comp_targetILNS1_3genE5ELNS1_11target_archE942ELNS1_3gpuE9ELNS1_3repE0EEENS1_30default_config_static_selectorELNS0_4arch9wavefront6targetE0EEEvT1_, .Lfunc_end435-_ZN7rocprim17ROCPRIM_400000_NS6detail17trampoline_kernelINS0_14default_configENS1_35adjacent_difference_config_selectorILb1ElEEZNS1_24adjacent_difference_implIS3_Lb1ELb0EPlS7_ZN2at6native12_GLOBAL__N_124unique_dim_cuda_templateIiEESt5tupleIJNS8_6TensorESD_SD_EERKSD_lbbbEUlllE1_EE10hipError_tPvRmT2_T3_mT4_P12ihipStream_tbEUlT_E_NS1_11comp_targetILNS1_3genE5ELNS1_11target_archE942ELNS1_3gpuE9ELNS1_3repE0EEENS1_30default_config_static_selectorELNS0_4arch9wavefront6targetE0EEEvT1_
                                        ; -- End function
	.set _ZN7rocprim17ROCPRIM_400000_NS6detail17trampoline_kernelINS0_14default_configENS1_35adjacent_difference_config_selectorILb1ElEEZNS1_24adjacent_difference_implIS3_Lb1ELb0EPlS7_ZN2at6native12_GLOBAL__N_124unique_dim_cuda_templateIiEESt5tupleIJNS8_6TensorESD_SD_EERKSD_lbbbEUlllE1_EE10hipError_tPvRmT2_T3_mT4_P12ihipStream_tbEUlT_E_NS1_11comp_targetILNS1_3genE5ELNS1_11target_archE942ELNS1_3gpuE9ELNS1_3repE0EEENS1_30default_config_static_selectorELNS0_4arch9wavefront6targetE0EEEvT1_.num_vgpr, 0
	.set _ZN7rocprim17ROCPRIM_400000_NS6detail17trampoline_kernelINS0_14default_configENS1_35adjacent_difference_config_selectorILb1ElEEZNS1_24adjacent_difference_implIS3_Lb1ELb0EPlS7_ZN2at6native12_GLOBAL__N_124unique_dim_cuda_templateIiEESt5tupleIJNS8_6TensorESD_SD_EERKSD_lbbbEUlllE1_EE10hipError_tPvRmT2_T3_mT4_P12ihipStream_tbEUlT_E_NS1_11comp_targetILNS1_3genE5ELNS1_11target_archE942ELNS1_3gpuE9ELNS1_3repE0EEENS1_30default_config_static_selectorELNS0_4arch9wavefront6targetE0EEEvT1_.num_agpr, 0
	.set _ZN7rocprim17ROCPRIM_400000_NS6detail17trampoline_kernelINS0_14default_configENS1_35adjacent_difference_config_selectorILb1ElEEZNS1_24adjacent_difference_implIS3_Lb1ELb0EPlS7_ZN2at6native12_GLOBAL__N_124unique_dim_cuda_templateIiEESt5tupleIJNS8_6TensorESD_SD_EERKSD_lbbbEUlllE1_EE10hipError_tPvRmT2_T3_mT4_P12ihipStream_tbEUlT_E_NS1_11comp_targetILNS1_3genE5ELNS1_11target_archE942ELNS1_3gpuE9ELNS1_3repE0EEENS1_30default_config_static_selectorELNS0_4arch9wavefront6targetE0EEEvT1_.numbered_sgpr, 0
	.set _ZN7rocprim17ROCPRIM_400000_NS6detail17trampoline_kernelINS0_14default_configENS1_35adjacent_difference_config_selectorILb1ElEEZNS1_24adjacent_difference_implIS3_Lb1ELb0EPlS7_ZN2at6native12_GLOBAL__N_124unique_dim_cuda_templateIiEESt5tupleIJNS8_6TensorESD_SD_EERKSD_lbbbEUlllE1_EE10hipError_tPvRmT2_T3_mT4_P12ihipStream_tbEUlT_E_NS1_11comp_targetILNS1_3genE5ELNS1_11target_archE942ELNS1_3gpuE9ELNS1_3repE0EEENS1_30default_config_static_selectorELNS0_4arch9wavefront6targetE0EEEvT1_.num_named_barrier, 0
	.set _ZN7rocprim17ROCPRIM_400000_NS6detail17trampoline_kernelINS0_14default_configENS1_35adjacent_difference_config_selectorILb1ElEEZNS1_24adjacent_difference_implIS3_Lb1ELb0EPlS7_ZN2at6native12_GLOBAL__N_124unique_dim_cuda_templateIiEESt5tupleIJNS8_6TensorESD_SD_EERKSD_lbbbEUlllE1_EE10hipError_tPvRmT2_T3_mT4_P12ihipStream_tbEUlT_E_NS1_11comp_targetILNS1_3genE5ELNS1_11target_archE942ELNS1_3gpuE9ELNS1_3repE0EEENS1_30default_config_static_selectorELNS0_4arch9wavefront6targetE0EEEvT1_.private_seg_size, 0
	.set _ZN7rocprim17ROCPRIM_400000_NS6detail17trampoline_kernelINS0_14default_configENS1_35adjacent_difference_config_selectorILb1ElEEZNS1_24adjacent_difference_implIS3_Lb1ELb0EPlS7_ZN2at6native12_GLOBAL__N_124unique_dim_cuda_templateIiEESt5tupleIJNS8_6TensorESD_SD_EERKSD_lbbbEUlllE1_EE10hipError_tPvRmT2_T3_mT4_P12ihipStream_tbEUlT_E_NS1_11comp_targetILNS1_3genE5ELNS1_11target_archE942ELNS1_3gpuE9ELNS1_3repE0EEENS1_30default_config_static_selectorELNS0_4arch9wavefront6targetE0EEEvT1_.uses_vcc, 0
	.set _ZN7rocprim17ROCPRIM_400000_NS6detail17trampoline_kernelINS0_14default_configENS1_35adjacent_difference_config_selectorILb1ElEEZNS1_24adjacent_difference_implIS3_Lb1ELb0EPlS7_ZN2at6native12_GLOBAL__N_124unique_dim_cuda_templateIiEESt5tupleIJNS8_6TensorESD_SD_EERKSD_lbbbEUlllE1_EE10hipError_tPvRmT2_T3_mT4_P12ihipStream_tbEUlT_E_NS1_11comp_targetILNS1_3genE5ELNS1_11target_archE942ELNS1_3gpuE9ELNS1_3repE0EEENS1_30default_config_static_selectorELNS0_4arch9wavefront6targetE0EEEvT1_.uses_flat_scratch, 0
	.set _ZN7rocprim17ROCPRIM_400000_NS6detail17trampoline_kernelINS0_14default_configENS1_35adjacent_difference_config_selectorILb1ElEEZNS1_24adjacent_difference_implIS3_Lb1ELb0EPlS7_ZN2at6native12_GLOBAL__N_124unique_dim_cuda_templateIiEESt5tupleIJNS8_6TensorESD_SD_EERKSD_lbbbEUlllE1_EE10hipError_tPvRmT2_T3_mT4_P12ihipStream_tbEUlT_E_NS1_11comp_targetILNS1_3genE5ELNS1_11target_archE942ELNS1_3gpuE9ELNS1_3repE0EEENS1_30default_config_static_selectorELNS0_4arch9wavefront6targetE0EEEvT1_.has_dyn_sized_stack, 0
	.set _ZN7rocprim17ROCPRIM_400000_NS6detail17trampoline_kernelINS0_14default_configENS1_35adjacent_difference_config_selectorILb1ElEEZNS1_24adjacent_difference_implIS3_Lb1ELb0EPlS7_ZN2at6native12_GLOBAL__N_124unique_dim_cuda_templateIiEESt5tupleIJNS8_6TensorESD_SD_EERKSD_lbbbEUlllE1_EE10hipError_tPvRmT2_T3_mT4_P12ihipStream_tbEUlT_E_NS1_11comp_targetILNS1_3genE5ELNS1_11target_archE942ELNS1_3gpuE9ELNS1_3repE0EEENS1_30default_config_static_selectorELNS0_4arch9wavefront6targetE0EEEvT1_.has_recursion, 0
	.set _ZN7rocprim17ROCPRIM_400000_NS6detail17trampoline_kernelINS0_14default_configENS1_35adjacent_difference_config_selectorILb1ElEEZNS1_24adjacent_difference_implIS3_Lb1ELb0EPlS7_ZN2at6native12_GLOBAL__N_124unique_dim_cuda_templateIiEESt5tupleIJNS8_6TensorESD_SD_EERKSD_lbbbEUlllE1_EE10hipError_tPvRmT2_T3_mT4_P12ihipStream_tbEUlT_E_NS1_11comp_targetILNS1_3genE5ELNS1_11target_archE942ELNS1_3gpuE9ELNS1_3repE0EEENS1_30default_config_static_selectorELNS0_4arch9wavefront6targetE0EEEvT1_.has_indirect_call, 0
	.section	.AMDGPU.csdata,"",@progbits
; Kernel info:
; codeLenInByte = 0
; TotalNumSgprs: 0
; NumVgprs: 0
; ScratchSize: 0
; MemoryBound: 0
; FloatMode: 240
; IeeeMode: 1
; LDSByteSize: 0 bytes/workgroup (compile time only)
; SGPRBlocks: 0
; VGPRBlocks: 0
; NumSGPRsForWavesPerEU: 1
; NumVGPRsForWavesPerEU: 1
; NamedBarCnt: 0
; Occupancy: 16
; WaveLimiterHint : 0
; COMPUTE_PGM_RSRC2:SCRATCH_EN: 0
; COMPUTE_PGM_RSRC2:USER_SGPR: 2
; COMPUTE_PGM_RSRC2:TRAP_HANDLER: 0
; COMPUTE_PGM_RSRC2:TGID_X_EN: 1
; COMPUTE_PGM_RSRC2:TGID_Y_EN: 0
; COMPUTE_PGM_RSRC2:TGID_Z_EN: 0
; COMPUTE_PGM_RSRC2:TIDIG_COMP_CNT: 0
	.section	.text._ZN7rocprim17ROCPRIM_400000_NS6detail17trampoline_kernelINS0_14default_configENS1_35adjacent_difference_config_selectorILb1ElEEZNS1_24adjacent_difference_implIS3_Lb1ELb0EPlS7_ZN2at6native12_GLOBAL__N_124unique_dim_cuda_templateIiEESt5tupleIJNS8_6TensorESD_SD_EERKSD_lbbbEUlllE1_EE10hipError_tPvRmT2_T3_mT4_P12ihipStream_tbEUlT_E_NS1_11comp_targetILNS1_3genE4ELNS1_11target_archE910ELNS1_3gpuE8ELNS1_3repE0EEENS1_30default_config_static_selectorELNS0_4arch9wavefront6targetE0EEEvT1_,"axG",@progbits,_ZN7rocprim17ROCPRIM_400000_NS6detail17trampoline_kernelINS0_14default_configENS1_35adjacent_difference_config_selectorILb1ElEEZNS1_24adjacent_difference_implIS3_Lb1ELb0EPlS7_ZN2at6native12_GLOBAL__N_124unique_dim_cuda_templateIiEESt5tupleIJNS8_6TensorESD_SD_EERKSD_lbbbEUlllE1_EE10hipError_tPvRmT2_T3_mT4_P12ihipStream_tbEUlT_E_NS1_11comp_targetILNS1_3genE4ELNS1_11target_archE910ELNS1_3gpuE8ELNS1_3repE0EEENS1_30default_config_static_selectorELNS0_4arch9wavefront6targetE0EEEvT1_,comdat
	.globl	_ZN7rocprim17ROCPRIM_400000_NS6detail17trampoline_kernelINS0_14default_configENS1_35adjacent_difference_config_selectorILb1ElEEZNS1_24adjacent_difference_implIS3_Lb1ELb0EPlS7_ZN2at6native12_GLOBAL__N_124unique_dim_cuda_templateIiEESt5tupleIJNS8_6TensorESD_SD_EERKSD_lbbbEUlllE1_EE10hipError_tPvRmT2_T3_mT4_P12ihipStream_tbEUlT_E_NS1_11comp_targetILNS1_3genE4ELNS1_11target_archE910ELNS1_3gpuE8ELNS1_3repE0EEENS1_30default_config_static_selectorELNS0_4arch9wavefront6targetE0EEEvT1_ ; -- Begin function _ZN7rocprim17ROCPRIM_400000_NS6detail17trampoline_kernelINS0_14default_configENS1_35adjacent_difference_config_selectorILb1ElEEZNS1_24adjacent_difference_implIS3_Lb1ELb0EPlS7_ZN2at6native12_GLOBAL__N_124unique_dim_cuda_templateIiEESt5tupleIJNS8_6TensorESD_SD_EERKSD_lbbbEUlllE1_EE10hipError_tPvRmT2_T3_mT4_P12ihipStream_tbEUlT_E_NS1_11comp_targetILNS1_3genE4ELNS1_11target_archE910ELNS1_3gpuE8ELNS1_3repE0EEENS1_30default_config_static_selectorELNS0_4arch9wavefront6targetE0EEEvT1_
	.p2align	8
	.type	_ZN7rocprim17ROCPRIM_400000_NS6detail17trampoline_kernelINS0_14default_configENS1_35adjacent_difference_config_selectorILb1ElEEZNS1_24adjacent_difference_implIS3_Lb1ELb0EPlS7_ZN2at6native12_GLOBAL__N_124unique_dim_cuda_templateIiEESt5tupleIJNS8_6TensorESD_SD_EERKSD_lbbbEUlllE1_EE10hipError_tPvRmT2_T3_mT4_P12ihipStream_tbEUlT_E_NS1_11comp_targetILNS1_3genE4ELNS1_11target_archE910ELNS1_3gpuE8ELNS1_3repE0EEENS1_30default_config_static_selectorELNS0_4arch9wavefront6targetE0EEEvT1_,@function
_ZN7rocprim17ROCPRIM_400000_NS6detail17trampoline_kernelINS0_14default_configENS1_35adjacent_difference_config_selectorILb1ElEEZNS1_24adjacent_difference_implIS3_Lb1ELb0EPlS7_ZN2at6native12_GLOBAL__N_124unique_dim_cuda_templateIiEESt5tupleIJNS8_6TensorESD_SD_EERKSD_lbbbEUlllE1_EE10hipError_tPvRmT2_T3_mT4_P12ihipStream_tbEUlT_E_NS1_11comp_targetILNS1_3genE4ELNS1_11target_archE910ELNS1_3gpuE8ELNS1_3repE0EEENS1_30default_config_static_selectorELNS0_4arch9wavefront6targetE0EEEvT1_: ; @_ZN7rocprim17ROCPRIM_400000_NS6detail17trampoline_kernelINS0_14default_configENS1_35adjacent_difference_config_selectorILb1ElEEZNS1_24adjacent_difference_implIS3_Lb1ELb0EPlS7_ZN2at6native12_GLOBAL__N_124unique_dim_cuda_templateIiEESt5tupleIJNS8_6TensorESD_SD_EERKSD_lbbbEUlllE1_EE10hipError_tPvRmT2_T3_mT4_P12ihipStream_tbEUlT_E_NS1_11comp_targetILNS1_3genE4ELNS1_11target_archE910ELNS1_3gpuE8ELNS1_3repE0EEENS1_30default_config_static_selectorELNS0_4arch9wavefront6targetE0EEEvT1_
; %bb.0:
	.section	.rodata,"a",@progbits
	.p2align	6, 0x0
	.amdhsa_kernel _ZN7rocprim17ROCPRIM_400000_NS6detail17trampoline_kernelINS0_14default_configENS1_35adjacent_difference_config_selectorILb1ElEEZNS1_24adjacent_difference_implIS3_Lb1ELb0EPlS7_ZN2at6native12_GLOBAL__N_124unique_dim_cuda_templateIiEESt5tupleIJNS8_6TensorESD_SD_EERKSD_lbbbEUlllE1_EE10hipError_tPvRmT2_T3_mT4_P12ihipStream_tbEUlT_E_NS1_11comp_targetILNS1_3genE4ELNS1_11target_archE910ELNS1_3gpuE8ELNS1_3repE0EEENS1_30default_config_static_selectorELNS0_4arch9wavefront6targetE0EEEvT1_
		.amdhsa_group_segment_fixed_size 0
		.amdhsa_private_segment_fixed_size 0
		.amdhsa_kernarg_size 64
		.amdhsa_user_sgpr_count 2
		.amdhsa_user_sgpr_dispatch_ptr 0
		.amdhsa_user_sgpr_queue_ptr 0
		.amdhsa_user_sgpr_kernarg_segment_ptr 1
		.amdhsa_user_sgpr_dispatch_id 0
		.amdhsa_user_sgpr_kernarg_preload_length 0
		.amdhsa_user_sgpr_kernarg_preload_offset 0
		.amdhsa_user_sgpr_private_segment_size 0
		.amdhsa_wavefront_size32 1
		.amdhsa_uses_dynamic_stack 0
		.amdhsa_enable_private_segment 0
		.amdhsa_system_sgpr_workgroup_id_x 1
		.amdhsa_system_sgpr_workgroup_id_y 0
		.amdhsa_system_sgpr_workgroup_id_z 0
		.amdhsa_system_sgpr_workgroup_info 0
		.amdhsa_system_vgpr_workitem_id 0
		.amdhsa_next_free_vgpr 1
		.amdhsa_next_free_sgpr 1
		.amdhsa_named_barrier_count 0
		.amdhsa_reserve_vcc 0
		.amdhsa_float_round_mode_32 0
		.amdhsa_float_round_mode_16_64 0
		.amdhsa_float_denorm_mode_32 3
		.amdhsa_float_denorm_mode_16_64 3
		.amdhsa_fp16_overflow 0
		.amdhsa_memory_ordered 1
		.amdhsa_forward_progress 1
		.amdhsa_inst_pref_size 0
		.amdhsa_round_robin_scheduling 0
		.amdhsa_exception_fp_ieee_invalid_op 0
		.amdhsa_exception_fp_denorm_src 0
		.amdhsa_exception_fp_ieee_div_zero 0
		.amdhsa_exception_fp_ieee_overflow 0
		.amdhsa_exception_fp_ieee_underflow 0
		.amdhsa_exception_fp_ieee_inexact 0
		.amdhsa_exception_int_div_zero 0
	.end_amdhsa_kernel
	.section	.text._ZN7rocprim17ROCPRIM_400000_NS6detail17trampoline_kernelINS0_14default_configENS1_35adjacent_difference_config_selectorILb1ElEEZNS1_24adjacent_difference_implIS3_Lb1ELb0EPlS7_ZN2at6native12_GLOBAL__N_124unique_dim_cuda_templateIiEESt5tupleIJNS8_6TensorESD_SD_EERKSD_lbbbEUlllE1_EE10hipError_tPvRmT2_T3_mT4_P12ihipStream_tbEUlT_E_NS1_11comp_targetILNS1_3genE4ELNS1_11target_archE910ELNS1_3gpuE8ELNS1_3repE0EEENS1_30default_config_static_selectorELNS0_4arch9wavefront6targetE0EEEvT1_,"axG",@progbits,_ZN7rocprim17ROCPRIM_400000_NS6detail17trampoline_kernelINS0_14default_configENS1_35adjacent_difference_config_selectorILb1ElEEZNS1_24adjacent_difference_implIS3_Lb1ELb0EPlS7_ZN2at6native12_GLOBAL__N_124unique_dim_cuda_templateIiEESt5tupleIJNS8_6TensorESD_SD_EERKSD_lbbbEUlllE1_EE10hipError_tPvRmT2_T3_mT4_P12ihipStream_tbEUlT_E_NS1_11comp_targetILNS1_3genE4ELNS1_11target_archE910ELNS1_3gpuE8ELNS1_3repE0EEENS1_30default_config_static_selectorELNS0_4arch9wavefront6targetE0EEEvT1_,comdat
.Lfunc_end436:
	.size	_ZN7rocprim17ROCPRIM_400000_NS6detail17trampoline_kernelINS0_14default_configENS1_35adjacent_difference_config_selectorILb1ElEEZNS1_24adjacent_difference_implIS3_Lb1ELb0EPlS7_ZN2at6native12_GLOBAL__N_124unique_dim_cuda_templateIiEESt5tupleIJNS8_6TensorESD_SD_EERKSD_lbbbEUlllE1_EE10hipError_tPvRmT2_T3_mT4_P12ihipStream_tbEUlT_E_NS1_11comp_targetILNS1_3genE4ELNS1_11target_archE910ELNS1_3gpuE8ELNS1_3repE0EEENS1_30default_config_static_selectorELNS0_4arch9wavefront6targetE0EEEvT1_, .Lfunc_end436-_ZN7rocprim17ROCPRIM_400000_NS6detail17trampoline_kernelINS0_14default_configENS1_35adjacent_difference_config_selectorILb1ElEEZNS1_24adjacent_difference_implIS3_Lb1ELb0EPlS7_ZN2at6native12_GLOBAL__N_124unique_dim_cuda_templateIiEESt5tupleIJNS8_6TensorESD_SD_EERKSD_lbbbEUlllE1_EE10hipError_tPvRmT2_T3_mT4_P12ihipStream_tbEUlT_E_NS1_11comp_targetILNS1_3genE4ELNS1_11target_archE910ELNS1_3gpuE8ELNS1_3repE0EEENS1_30default_config_static_selectorELNS0_4arch9wavefront6targetE0EEEvT1_
                                        ; -- End function
	.set _ZN7rocprim17ROCPRIM_400000_NS6detail17trampoline_kernelINS0_14default_configENS1_35adjacent_difference_config_selectorILb1ElEEZNS1_24adjacent_difference_implIS3_Lb1ELb0EPlS7_ZN2at6native12_GLOBAL__N_124unique_dim_cuda_templateIiEESt5tupleIJNS8_6TensorESD_SD_EERKSD_lbbbEUlllE1_EE10hipError_tPvRmT2_T3_mT4_P12ihipStream_tbEUlT_E_NS1_11comp_targetILNS1_3genE4ELNS1_11target_archE910ELNS1_3gpuE8ELNS1_3repE0EEENS1_30default_config_static_selectorELNS0_4arch9wavefront6targetE0EEEvT1_.num_vgpr, 0
	.set _ZN7rocprim17ROCPRIM_400000_NS6detail17trampoline_kernelINS0_14default_configENS1_35adjacent_difference_config_selectorILb1ElEEZNS1_24adjacent_difference_implIS3_Lb1ELb0EPlS7_ZN2at6native12_GLOBAL__N_124unique_dim_cuda_templateIiEESt5tupleIJNS8_6TensorESD_SD_EERKSD_lbbbEUlllE1_EE10hipError_tPvRmT2_T3_mT4_P12ihipStream_tbEUlT_E_NS1_11comp_targetILNS1_3genE4ELNS1_11target_archE910ELNS1_3gpuE8ELNS1_3repE0EEENS1_30default_config_static_selectorELNS0_4arch9wavefront6targetE0EEEvT1_.num_agpr, 0
	.set _ZN7rocprim17ROCPRIM_400000_NS6detail17trampoline_kernelINS0_14default_configENS1_35adjacent_difference_config_selectorILb1ElEEZNS1_24adjacent_difference_implIS3_Lb1ELb0EPlS7_ZN2at6native12_GLOBAL__N_124unique_dim_cuda_templateIiEESt5tupleIJNS8_6TensorESD_SD_EERKSD_lbbbEUlllE1_EE10hipError_tPvRmT2_T3_mT4_P12ihipStream_tbEUlT_E_NS1_11comp_targetILNS1_3genE4ELNS1_11target_archE910ELNS1_3gpuE8ELNS1_3repE0EEENS1_30default_config_static_selectorELNS0_4arch9wavefront6targetE0EEEvT1_.numbered_sgpr, 0
	.set _ZN7rocprim17ROCPRIM_400000_NS6detail17trampoline_kernelINS0_14default_configENS1_35adjacent_difference_config_selectorILb1ElEEZNS1_24adjacent_difference_implIS3_Lb1ELb0EPlS7_ZN2at6native12_GLOBAL__N_124unique_dim_cuda_templateIiEESt5tupleIJNS8_6TensorESD_SD_EERKSD_lbbbEUlllE1_EE10hipError_tPvRmT2_T3_mT4_P12ihipStream_tbEUlT_E_NS1_11comp_targetILNS1_3genE4ELNS1_11target_archE910ELNS1_3gpuE8ELNS1_3repE0EEENS1_30default_config_static_selectorELNS0_4arch9wavefront6targetE0EEEvT1_.num_named_barrier, 0
	.set _ZN7rocprim17ROCPRIM_400000_NS6detail17trampoline_kernelINS0_14default_configENS1_35adjacent_difference_config_selectorILb1ElEEZNS1_24adjacent_difference_implIS3_Lb1ELb0EPlS7_ZN2at6native12_GLOBAL__N_124unique_dim_cuda_templateIiEESt5tupleIJNS8_6TensorESD_SD_EERKSD_lbbbEUlllE1_EE10hipError_tPvRmT2_T3_mT4_P12ihipStream_tbEUlT_E_NS1_11comp_targetILNS1_3genE4ELNS1_11target_archE910ELNS1_3gpuE8ELNS1_3repE0EEENS1_30default_config_static_selectorELNS0_4arch9wavefront6targetE0EEEvT1_.private_seg_size, 0
	.set _ZN7rocprim17ROCPRIM_400000_NS6detail17trampoline_kernelINS0_14default_configENS1_35adjacent_difference_config_selectorILb1ElEEZNS1_24adjacent_difference_implIS3_Lb1ELb0EPlS7_ZN2at6native12_GLOBAL__N_124unique_dim_cuda_templateIiEESt5tupleIJNS8_6TensorESD_SD_EERKSD_lbbbEUlllE1_EE10hipError_tPvRmT2_T3_mT4_P12ihipStream_tbEUlT_E_NS1_11comp_targetILNS1_3genE4ELNS1_11target_archE910ELNS1_3gpuE8ELNS1_3repE0EEENS1_30default_config_static_selectorELNS0_4arch9wavefront6targetE0EEEvT1_.uses_vcc, 0
	.set _ZN7rocprim17ROCPRIM_400000_NS6detail17trampoline_kernelINS0_14default_configENS1_35adjacent_difference_config_selectorILb1ElEEZNS1_24adjacent_difference_implIS3_Lb1ELb0EPlS7_ZN2at6native12_GLOBAL__N_124unique_dim_cuda_templateIiEESt5tupleIJNS8_6TensorESD_SD_EERKSD_lbbbEUlllE1_EE10hipError_tPvRmT2_T3_mT4_P12ihipStream_tbEUlT_E_NS1_11comp_targetILNS1_3genE4ELNS1_11target_archE910ELNS1_3gpuE8ELNS1_3repE0EEENS1_30default_config_static_selectorELNS0_4arch9wavefront6targetE0EEEvT1_.uses_flat_scratch, 0
	.set _ZN7rocprim17ROCPRIM_400000_NS6detail17trampoline_kernelINS0_14default_configENS1_35adjacent_difference_config_selectorILb1ElEEZNS1_24adjacent_difference_implIS3_Lb1ELb0EPlS7_ZN2at6native12_GLOBAL__N_124unique_dim_cuda_templateIiEESt5tupleIJNS8_6TensorESD_SD_EERKSD_lbbbEUlllE1_EE10hipError_tPvRmT2_T3_mT4_P12ihipStream_tbEUlT_E_NS1_11comp_targetILNS1_3genE4ELNS1_11target_archE910ELNS1_3gpuE8ELNS1_3repE0EEENS1_30default_config_static_selectorELNS0_4arch9wavefront6targetE0EEEvT1_.has_dyn_sized_stack, 0
	.set _ZN7rocprim17ROCPRIM_400000_NS6detail17trampoline_kernelINS0_14default_configENS1_35adjacent_difference_config_selectorILb1ElEEZNS1_24adjacent_difference_implIS3_Lb1ELb0EPlS7_ZN2at6native12_GLOBAL__N_124unique_dim_cuda_templateIiEESt5tupleIJNS8_6TensorESD_SD_EERKSD_lbbbEUlllE1_EE10hipError_tPvRmT2_T3_mT4_P12ihipStream_tbEUlT_E_NS1_11comp_targetILNS1_3genE4ELNS1_11target_archE910ELNS1_3gpuE8ELNS1_3repE0EEENS1_30default_config_static_selectorELNS0_4arch9wavefront6targetE0EEEvT1_.has_recursion, 0
	.set _ZN7rocprim17ROCPRIM_400000_NS6detail17trampoline_kernelINS0_14default_configENS1_35adjacent_difference_config_selectorILb1ElEEZNS1_24adjacent_difference_implIS3_Lb1ELb0EPlS7_ZN2at6native12_GLOBAL__N_124unique_dim_cuda_templateIiEESt5tupleIJNS8_6TensorESD_SD_EERKSD_lbbbEUlllE1_EE10hipError_tPvRmT2_T3_mT4_P12ihipStream_tbEUlT_E_NS1_11comp_targetILNS1_3genE4ELNS1_11target_archE910ELNS1_3gpuE8ELNS1_3repE0EEENS1_30default_config_static_selectorELNS0_4arch9wavefront6targetE0EEEvT1_.has_indirect_call, 0
	.section	.AMDGPU.csdata,"",@progbits
; Kernel info:
; codeLenInByte = 0
; TotalNumSgprs: 0
; NumVgprs: 0
; ScratchSize: 0
; MemoryBound: 0
; FloatMode: 240
; IeeeMode: 1
; LDSByteSize: 0 bytes/workgroup (compile time only)
; SGPRBlocks: 0
; VGPRBlocks: 0
; NumSGPRsForWavesPerEU: 1
; NumVGPRsForWavesPerEU: 1
; NamedBarCnt: 0
; Occupancy: 16
; WaveLimiterHint : 0
; COMPUTE_PGM_RSRC2:SCRATCH_EN: 0
; COMPUTE_PGM_RSRC2:USER_SGPR: 2
; COMPUTE_PGM_RSRC2:TRAP_HANDLER: 0
; COMPUTE_PGM_RSRC2:TGID_X_EN: 1
; COMPUTE_PGM_RSRC2:TGID_Y_EN: 0
; COMPUTE_PGM_RSRC2:TGID_Z_EN: 0
; COMPUTE_PGM_RSRC2:TIDIG_COMP_CNT: 0
	.section	.text._ZN7rocprim17ROCPRIM_400000_NS6detail17trampoline_kernelINS0_14default_configENS1_35adjacent_difference_config_selectorILb1ElEEZNS1_24adjacent_difference_implIS3_Lb1ELb0EPlS7_ZN2at6native12_GLOBAL__N_124unique_dim_cuda_templateIiEESt5tupleIJNS8_6TensorESD_SD_EERKSD_lbbbEUlllE1_EE10hipError_tPvRmT2_T3_mT4_P12ihipStream_tbEUlT_E_NS1_11comp_targetILNS1_3genE3ELNS1_11target_archE908ELNS1_3gpuE7ELNS1_3repE0EEENS1_30default_config_static_selectorELNS0_4arch9wavefront6targetE0EEEvT1_,"axG",@progbits,_ZN7rocprim17ROCPRIM_400000_NS6detail17trampoline_kernelINS0_14default_configENS1_35adjacent_difference_config_selectorILb1ElEEZNS1_24adjacent_difference_implIS3_Lb1ELb0EPlS7_ZN2at6native12_GLOBAL__N_124unique_dim_cuda_templateIiEESt5tupleIJNS8_6TensorESD_SD_EERKSD_lbbbEUlllE1_EE10hipError_tPvRmT2_T3_mT4_P12ihipStream_tbEUlT_E_NS1_11comp_targetILNS1_3genE3ELNS1_11target_archE908ELNS1_3gpuE7ELNS1_3repE0EEENS1_30default_config_static_selectorELNS0_4arch9wavefront6targetE0EEEvT1_,comdat
	.globl	_ZN7rocprim17ROCPRIM_400000_NS6detail17trampoline_kernelINS0_14default_configENS1_35adjacent_difference_config_selectorILb1ElEEZNS1_24adjacent_difference_implIS3_Lb1ELb0EPlS7_ZN2at6native12_GLOBAL__N_124unique_dim_cuda_templateIiEESt5tupleIJNS8_6TensorESD_SD_EERKSD_lbbbEUlllE1_EE10hipError_tPvRmT2_T3_mT4_P12ihipStream_tbEUlT_E_NS1_11comp_targetILNS1_3genE3ELNS1_11target_archE908ELNS1_3gpuE7ELNS1_3repE0EEENS1_30default_config_static_selectorELNS0_4arch9wavefront6targetE0EEEvT1_ ; -- Begin function _ZN7rocprim17ROCPRIM_400000_NS6detail17trampoline_kernelINS0_14default_configENS1_35adjacent_difference_config_selectorILb1ElEEZNS1_24adjacent_difference_implIS3_Lb1ELb0EPlS7_ZN2at6native12_GLOBAL__N_124unique_dim_cuda_templateIiEESt5tupleIJNS8_6TensorESD_SD_EERKSD_lbbbEUlllE1_EE10hipError_tPvRmT2_T3_mT4_P12ihipStream_tbEUlT_E_NS1_11comp_targetILNS1_3genE3ELNS1_11target_archE908ELNS1_3gpuE7ELNS1_3repE0EEENS1_30default_config_static_selectorELNS0_4arch9wavefront6targetE0EEEvT1_
	.p2align	8
	.type	_ZN7rocprim17ROCPRIM_400000_NS6detail17trampoline_kernelINS0_14default_configENS1_35adjacent_difference_config_selectorILb1ElEEZNS1_24adjacent_difference_implIS3_Lb1ELb0EPlS7_ZN2at6native12_GLOBAL__N_124unique_dim_cuda_templateIiEESt5tupleIJNS8_6TensorESD_SD_EERKSD_lbbbEUlllE1_EE10hipError_tPvRmT2_T3_mT4_P12ihipStream_tbEUlT_E_NS1_11comp_targetILNS1_3genE3ELNS1_11target_archE908ELNS1_3gpuE7ELNS1_3repE0EEENS1_30default_config_static_selectorELNS0_4arch9wavefront6targetE0EEEvT1_,@function
_ZN7rocprim17ROCPRIM_400000_NS6detail17trampoline_kernelINS0_14default_configENS1_35adjacent_difference_config_selectorILb1ElEEZNS1_24adjacent_difference_implIS3_Lb1ELb0EPlS7_ZN2at6native12_GLOBAL__N_124unique_dim_cuda_templateIiEESt5tupleIJNS8_6TensorESD_SD_EERKSD_lbbbEUlllE1_EE10hipError_tPvRmT2_T3_mT4_P12ihipStream_tbEUlT_E_NS1_11comp_targetILNS1_3genE3ELNS1_11target_archE908ELNS1_3gpuE7ELNS1_3repE0EEENS1_30default_config_static_selectorELNS0_4arch9wavefront6targetE0EEEvT1_: ; @_ZN7rocprim17ROCPRIM_400000_NS6detail17trampoline_kernelINS0_14default_configENS1_35adjacent_difference_config_selectorILb1ElEEZNS1_24adjacent_difference_implIS3_Lb1ELb0EPlS7_ZN2at6native12_GLOBAL__N_124unique_dim_cuda_templateIiEESt5tupleIJNS8_6TensorESD_SD_EERKSD_lbbbEUlllE1_EE10hipError_tPvRmT2_T3_mT4_P12ihipStream_tbEUlT_E_NS1_11comp_targetILNS1_3genE3ELNS1_11target_archE908ELNS1_3gpuE7ELNS1_3repE0EEENS1_30default_config_static_selectorELNS0_4arch9wavefront6targetE0EEEvT1_
; %bb.0:
	.section	.rodata,"a",@progbits
	.p2align	6, 0x0
	.amdhsa_kernel _ZN7rocprim17ROCPRIM_400000_NS6detail17trampoline_kernelINS0_14default_configENS1_35adjacent_difference_config_selectorILb1ElEEZNS1_24adjacent_difference_implIS3_Lb1ELb0EPlS7_ZN2at6native12_GLOBAL__N_124unique_dim_cuda_templateIiEESt5tupleIJNS8_6TensorESD_SD_EERKSD_lbbbEUlllE1_EE10hipError_tPvRmT2_T3_mT4_P12ihipStream_tbEUlT_E_NS1_11comp_targetILNS1_3genE3ELNS1_11target_archE908ELNS1_3gpuE7ELNS1_3repE0EEENS1_30default_config_static_selectorELNS0_4arch9wavefront6targetE0EEEvT1_
		.amdhsa_group_segment_fixed_size 0
		.amdhsa_private_segment_fixed_size 0
		.amdhsa_kernarg_size 64
		.amdhsa_user_sgpr_count 2
		.amdhsa_user_sgpr_dispatch_ptr 0
		.amdhsa_user_sgpr_queue_ptr 0
		.amdhsa_user_sgpr_kernarg_segment_ptr 1
		.amdhsa_user_sgpr_dispatch_id 0
		.amdhsa_user_sgpr_kernarg_preload_length 0
		.amdhsa_user_sgpr_kernarg_preload_offset 0
		.amdhsa_user_sgpr_private_segment_size 0
		.amdhsa_wavefront_size32 1
		.amdhsa_uses_dynamic_stack 0
		.amdhsa_enable_private_segment 0
		.amdhsa_system_sgpr_workgroup_id_x 1
		.amdhsa_system_sgpr_workgroup_id_y 0
		.amdhsa_system_sgpr_workgroup_id_z 0
		.amdhsa_system_sgpr_workgroup_info 0
		.amdhsa_system_vgpr_workitem_id 0
		.amdhsa_next_free_vgpr 1
		.amdhsa_next_free_sgpr 1
		.amdhsa_named_barrier_count 0
		.amdhsa_reserve_vcc 0
		.amdhsa_float_round_mode_32 0
		.amdhsa_float_round_mode_16_64 0
		.amdhsa_float_denorm_mode_32 3
		.amdhsa_float_denorm_mode_16_64 3
		.amdhsa_fp16_overflow 0
		.amdhsa_memory_ordered 1
		.amdhsa_forward_progress 1
		.amdhsa_inst_pref_size 0
		.amdhsa_round_robin_scheduling 0
		.amdhsa_exception_fp_ieee_invalid_op 0
		.amdhsa_exception_fp_denorm_src 0
		.amdhsa_exception_fp_ieee_div_zero 0
		.amdhsa_exception_fp_ieee_overflow 0
		.amdhsa_exception_fp_ieee_underflow 0
		.amdhsa_exception_fp_ieee_inexact 0
		.amdhsa_exception_int_div_zero 0
	.end_amdhsa_kernel
	.section	.text._ZN7rocprim17ROCPRIM_400000_NS6detail17trampoline_kernelINS0_14default_configENS1_35adjacent_difference_config_selectorILb1ElEEZNS1_24adjacent_difference_implIS3_Lb1ELb0EPlS7_ZN2at6native12_GLOBAL__N_124unique_dim_cuda_templateIiEESt5tupleIJNS8_6TensorESD_SD_EERKSD_lbbbEUlllE1_EE10hipError_tPvRmT2_T3_mT4_P12ihipStream_tbEUlT_E_NS1_11comp_targetILNS1_3genE3ELNS1_11target_archE908ELNS1_3gpuE7ELNS1_3repE0EEENS1_30default_config_static_selectorELNS0_4arch9wavefront6targetE0EEEvT1_,"axG",@progbits,_ZN7rocprim17ROCPRIM_400000_NS6detail17trampoline_kernelINS0_14default_configENS1_35adjacent_difference_config_selectorILb1ElEEZNS1_24adjacent_difference_implIS3_Lb1ELb0EPlS7_ZN2at6native12_GLOBAL__N_124unique_dim_cuda_templateIiEESt5tupleIJNS8_6TensorESD_SD_EERKSD_lbbbEUlllE1_EE10hipError_tPvRmT2_T3_mT4_P12ihipStream_tbEUlT_E_NS1_11comp_targetILNS1_3genE3ELNS1_11target_archE908ELNS1_3gpuE7ELNS1_3repE0EEENS1_30default_config_static_selectorELNS0_4arch9wavefront6targetE0EEEvT1_,comdat
.Lfunc_end437:
	.size	_ZN7rocprim17ROCPRIM_400000_NS6detail17trampoline_kernelINS0_14default_configENS1_35adjacent_difference_config_selectorILb1ElEEZNS1_24adjacent_difference_implIS3_Lb1ELb0EPlS7_ZN2at6native12_GLOBAL__N_124unique_dim_cuda_templateIiEESt5tupleIJNS8_6TensorESD_SD_EERKSD_lbbbEUlllE1_EE10hipError_tPvRmT2_T3_mT4_P12ihipStream_tbEUlT_E_NS1_11comp_targetILNS1_3genE3ELNS1_11target_archE908ELNS1_3gpuE7ELNS1_3repE0EEENS1_30default_config_static_selectorELNS0_4arch9wavefront6targetE0EEEvT1_, .Lfunc_end437-_ZN7rocprim17ROCPRIM_400000_NS6detail17trampoline_kernelINS0_14default_configENS1_35adjacent_difference_config_selectorILb1ElEEZNS1_24adjacent_difference_implIS3_Lb1ELb0EPlS7_ZN2at6native12_GLOBAL__N_124unique_dim_cuda_templateIiEESt5tupleIJNS8_6TensorESD_SD_EERKSD_lbbbEUlllE1_EE10hipError_tPvRmT2_T3_mT4_P12ihipStream_tbEUlT_E_NS1_11comp_targetILNS1_3genE3ELNS1_11target_archE908ELNS1_3gpuE7ELNS1_3repE0EEENS1_30default_config_static_selectorELNS0_4arch9wavefront6targetE0EEEvT1_
                                        ; -- End function
	.set _ZN7rocprim17ROCPRIM_400000_NS6detail17trampoline_kernelINS0_14default_configENS1_35adjacent_difference_config_selectorILb1ElEEZNS1_24adjacent_difference_implIS3_Lb1ELb0EPlS7_ZN2at6native12_GLOBAL__N_124unique_dim_cuda_templateIiEESt5tupleIJNS8_6TensorESD_SD_EERKSD_lbbbEUlllE1_EE10hipError_tPvRmT2_T3_mT4_P12ihipStream_tbEUlT_E_NS1_11comp_targetILNS1_3genE3ELNS1_11target_archE908ELNS1_3gpuE7ELNS1_3repE0EEENS1_30default_config_static_selectorELNS0_4arch9wavefront6targetE0EEEvT1_.num_vgpr, 0
	.set _ZN7rocprim17ROCPRIM_400000_NS6detail17trampoline_kernelINS0_14default_configENS1_35adjacent_difference_config_selectorILb1ElEEZNS1_24adjacent_difference_implIS3_Lb1ELb0EPlS7_ZN2at6native12_GLOBAL__N_124unique_dim_cuda_templateIiEESt5tupleIJNS8_6TensorESD_SD_EERKSD_lbbbEUlllE1_EE10hipError_tPvRmT2_T3_mT4_P12ihipStream_tbEUlT_E_NS1_11comp_targetILNS1_3genE3ELNS1_11target_archE908ELNS1_3gpuE7ELNS1_3repE0EEENS1_30default_config_static_selectorELNS0_4arch9wavefront6targetE0EEEvT1_.num_agpr, 0
	.set _ZN7rocprim17ROCPRIM_400000_NS6detail17trampoline_kernelINS0_14default_configENS1_35adjacent_difference_config_selectorILb1ElEEZNS1_24adjacent_difference_implIS3_Lb1ELb0EPlS7_ZN2at6native12_GLOBAL__N_124unique_dim_cuda_templateIiEESt5tupleIJNS8_6TensorESD_SD_EERKSD_lbbbEUlllE1_EE10hipError_tPvRmT2_T3_mT4_P12ihipStream_tbEUlT_E_NS1_11comp_targetILNS1_3genE3ELNS1_11target_archE908ELNS1_3gpuE7ELNS1_3repE0EEENS1_30default_config_static_selectorELNS0_4arch9wavefront6targetE0EEEvT1_.numbered_sgpr, 0
	.set _ZN7rocprim17ROCPRIM_400000_NS6detail17trampoline_kernelINS0_14default_configENS1_35adjacent_difference_config_selectorILb1ElEEZNS1_24adjacent_difference_implIS3_Lb1ELb0EPlS7_ZN2at6native12_GLOBAL__N_124unique_dim_cuda_templateIiEESt5tupleIJNS8_6TensorESD_SD_EERKSD_lbbbEUlllE1_EE10hipError_tPvRmT2_T3_mT4_P12ihipStream_tbEUlT_E_NS1_11comp_targetILNS1_3genE3ELNS1_11target_archE908ELNS1_3gpuE7ELNS1_3repE0EEENS1_30default_config_static_selectorELNS0_4arch9wavefront6targetE0EEEvT1_.num_named_barrier, 0
	.set _ZN7rocprim17ROCPRIM_400000_NS6detail17trampoline_kernelINS0_14default_configENS1_35adjacent_difference_config_selectorILb1ElEEZNS1_24adjacent_difference_implIS3_Lb1ELb0EPlS7_ZN2at6native12_GLOBAL__N_124unique_dim_cuda_templateIiEESt5tupleIJNS8_6TensorESD_SD_EERKSD_lbbbEUlllE1_EE10hipError_tPvRmT2_T3_mT4_P12ihipStream_tbEUlT_E_NS1_11comp_targetILNS1_3genE3ELNS1_11target_archE908ELNS1_3gpuE7ELNS1_3repE0EEENS1_30default_config_static_selectorELNS0_4arch9wavefront6targetE0EEEvT1_.private_seg_size, 0
	.set _ZN7rocprim17ROCPRIM_400000_NS6detail17trampoline_kernelINS0_14default_configENS1_35adjacent_difference_config_selectorILb1ElEEZNS1_24adjacent_difference_implIS3_Lb1ELb0EPlS7_ZN2at6native12_GLOBAL__N_124unique_dim_cuda_templateIiEESt5tupleIJNS8_6TensorESD_SD_EERKSD_lbbbEUlllE1_EE10hipError_tPvRmT2_T3_mT4_P12ihipStream_tbEUlT_E_NS1_11comp_targetILNS1_3genE3ELNS1_11target_archE908ELNS1_3gpuE7ELNS1_3repE0EEENS1_30default_config_static_selectorELNS0_4arch9wavefront6targetE0EEEvT1_.uses_vcc, 0
	.set _ZN7rocprim17ROCPRIM_400000_NS6detail17trampoline_kernelINS0_14default_configENS1_35adjacent_difference_config_selectorILb1ElEEZNS1_24adjacent_difference_implIS3_Lb1ELb0EPlS7_ZN2at6native12_GLOBAL__N_124unique_dim_cuda_templateIiEESt5tupleIJNS8_6TensorESD_SD_EERKSD_lbbbEUlllE1_EE10hipError_tPvRmT2_T3_mT4_P12ihipStream_tbEUlT_E_NS1_11comp_targetILNS1_3genE3ELNS1_11target_archE908ELNS1_3gpuE7ELNS1_3repE0EEENS1_30default_config_static_selectorELNS0_4arch9wavefront6targetE0EEEvT1_.uses_flat_scratch, 0
	.set _ZN7rocprim17ROCPRIM_400000_NS6detail17trampoline_kernelINS0_14default_configENS1_35adjacent_difference_config_selectorILb1ElEEZNS1_24adjacent_difference_implIS3_Lb1ELb0EPlS7_ZN2at6native12_GLOBAL__N_124unique_dim_cuda_templateIiEESt5tupleIJNS8_6TensorESD_SD_EERKSD_lbbbEUlllE1_EE10hipError_tPvRmT2_T3_mT4_P12ihipStream_tbEUlT_E_NS1_11comp_targetILNS1_3genE3ELNS1_11target_archE908ELNS1_3gpuE7ELNS1_3repE0EEENS1_30default_config_static_selectorELNS0_4arch9wavefront6targetE0EEEvT1_.has_dyn_sized_stack, 0
	.set _ZN7rocprim17ROCPRIM_400000_NS6detail17trampoline_kernelINS0_14default_configENS1_35adjacent_difference_config_selectorILb1ElEEZNS1_24adjacent_difference_implIS3_Lb1ELb0EPlS7_ZN2at6native12_GLOBAL__N_124unique_dim_cuda_templateIiEESt5tupleIJNS8_6TensorESD_SD_EERKSD_lbbbEUlllE1_EE10hipError_tPvRmT2_T3_mT4_P12ihipStream_tbEUlT_E_NS1_11comp_targetILNS1_3genE3ELNS1_11target_archE908ELNS1_3gpuE7ELNS1_3repE0EEENS1_30default_config_static_selectorELNS0_4arch9wavefront6targetE0EEEvT1_.has_recursion, 0
	.set _ZN7rocprim17ROCPRIM_400000_NS6detail17trampoline_kernelINS0_14default_configENS1_35adjacent_difference_config_selectorILb1ElEEZNS1_24adjacent_difference_implIS3_Lb1ELb0EPlS7_ZN2at6native12_GLOBAL__N_124unique_dim_cuda_templateIiEESt5tupleIJNS8_6TensorESD_SD_EERKSD_lbbbEUlllE1_EE10hipError_tPvRmT2_T3_mT4_P12ihipStream_tbEUlT_E_NS1_11comp_targetILNS1_3genE3ELNS1_11target_archE908ELNS1_3gpuE7ELNS1_3repE0EEENS1_30default_config_static_selectorELNS0_4arch9wavefront6targetE0EEEvT1_.has_indirect_call, 0
	.section	.AMDGPU.csdata,"",@progbits
; Kernel info:
; codeLenInByte = 0
; TotalNumSgprs: 0
; NumVgprs: 0
; ScratchSize: 0
; MemoryBound: 0
; FloatMode: 240
; IeeeMode: 1
; LDSByteSize: 0 bytes/workgroup (compile time only)
; SGPRBlocks: 0
; VGPRBlocks: 0
; NumSGPRsForWavesPerEU: 1
; NumVGPRsForWavesPerEU: 1
; NamedBarCnt: 0
; Occupancy: 16
; WaveLimiterHint : 0
; COMPUTE_PGM_RSRC2:SCRATCH_EN: 0
; COMPUTE_PGM_RSRC2:USER_SGPR: 2
; COMPUTE_PGM_RSRC2:TRAP_HANDLER: 0
; COMPUTE_PGM_RSRC2:TGID_X_EN: 1
; COMPUTE_PGM_RSRC2:TGID_Y_EN: 0
; COMPUTE_PGM_RSRC2:TGID_Z_EN: 0
; COMPUTE_PGM_RSRC2:TIDIG_COMP_CNT: 0
	.section	.text._ZN7rocprim17ROCPRIM_400000_NS6detail17trampoline_kernelINS0_14default_configENS1_35adjacent_difference_config_selectorILb1ElEEZNS1_24adjacent_difference_implIS3_Lb1ELb0EPlS7_ZN2at6native12_GLOBAL__N_124unique_dim_cuda_templateIiEESt5tupleIJNS8_6TensorESD_SD_EERKSD_lbbbEUlllE1_EE10hipError_tPvRmT2_T3_mT4_P12ihipStream_tbEUlT_E_NS1_11comp_targetILNS1_3genE2ELNS1_11target_archE906ELNS1_3gpuE6ELNS1_3repE0EEENS1_30default_config_static_selectorELNS0_4arch9wavefront6targetE0EEEvT1_,"axG",@progbits,_ZN7rocprim17ROCPRIM_400000_NS6detail17trampoline_kernelINS0_14default_configENS1_35adjacent_difference_config_selectorILb1ElEEZNS1_24adjacent_difference_implIS3_Lb1ELb0EPlS7_ZN2at6native12_GLOBAL__N_124unique_dim_cuda_templateIiEESt5tupleIJNS8_6TensorESD_SD_EERKSD_lbbbEUlllE1_EE10hipError_tPvRmT2_T3_mT4_P12ihipStream_tbEUlT_E_NS1_11comp_targetILNS1_3genE2ELNS1_11target_archE906ELNS1_3gpuE6ELNS1_3repE0EEENS1_30default_config_static_selectorELNS0_4arch9wavefront6targetE0EEEvT1_,comdat
	.globl	_ZN7rocprim17ROCPRIM_400000_NS6detail17trampoline_kernelINS0_14default_configENS1_35adjacent_difference_config_selectorILb1ElEEZNS1_24adjacent_difference_implIS3_Lb1ELb0EPlS7_ZN2at6native12_GLOBAL__N_124unique_dim_cuda_templateIiEESt5tupleIJNS8_6TensorESD_SD_EERKSD_lbbbEUlllE1_EE10hipError_tPvRmT2_T3_mT4_P12ihipStream_tbEUlT_E_NS1_11comp_targetILNS1_3genE2ELNS1_11target_archE906ELNS1_3gpuE6ELNS1_3repE0EEENS1_30default_config_static_selectorELNS0_4arch9wavefront6targetE0EEEvT1_ ; -- Begin function _ZN7rocprim17ROCPRIM_400000_NS6detail17trampoline_kernelINS0_14default_configENS1_35adjacent_difference_config_selectorILb1ElEEZNS1_24adjacent_difference_implIS3_Lb1ELb0EPlS7_ZN2at6native12_GLOBAL__N_124unique_dim_cuda_templateIiEESt5tupleIJNS8_6TensorESD_SD_EERKSD_lbbbEUlllE1_EE10hipError_tPvRmT2_T3_mT4_P12ihipStream_tbEUlT_E_NS1_11comp_targetILNS1_3genE2ELNS1_11target_archE906ELNS1_3gpuE6ELNS1_3repE0EEENS1_30default_config_static_selectorELNS0_4arch9wavefront6targetE0EEEvT1_
	.p2align	8
	.type	_ZN7rocprim17ROCPRIM_400000_NS6detail17trampoline_kernelINS0_14default_configENS1_35adjacent_difference_config_selectorILb1ElEEZNS1_24adjacent_difference_implIS3_Lb1ELb0EPlS7_ZN2at6native12_GLOBAL__N_124unique_dim_cuda_templateIiEESt5tupleIJNS8_6TensorESD_SD_EERKSD_lbbbEUlllE1_EE10hipError_tPvRmT2_T3_mT4_P12ihipStream_tbEUlT_E_NS1_11comp_targetILNS1_3genE2ELNS1_11target_archE906ELNS1_3gpuE6ELNS1_3repE0EEENS1_30default_config_static_selectorELNS0_4arch9wavefront6targetE0EEEvT1_,@function
_ZN7rocprim17ROCPRIM_400000_NS6detail17trampoline_kernelINS0_14default_configENS1_35adjacent_difference_config_selectorILb1ElEEZNS1_24adjacent_difference_implIS3_Lb1ELb0EPlS7_ZN2at6native12_GLOBAL__N_124unique_dim_cuda_templateIiEESt5tupleIJNS8_6TensorESD_SD_EERKSD_lbbbEUlllE1_EE10hipError_tPvRmT2_T3_mT4_P12ihipStream_tbEUlT_E_NS1_11comp_targetILNS1_3genE2ELNS1_11target_archE906ELNS1_3gpuE6ELNS1_3repE0EEENS1_30default_config_static_selectorELNS0_4arch9wavefront6targetE0EEEvT1_: ; @_ZN7rocprim17ROCPRIM_400000_NS6detail17trampoline_kernelINS0_14default_configENS1_35adjacent_difference_config_selectorILb1ElEEZNS1_24adjacent_difference_implIS3_Lb1ELb0EPlS7_ZN2at6native12_GLOBAL__N_124unique_dim_cuda_templateIiEESt5tupleIJNS8_6TensorESD_SD_EERKSD_lbbbEUlllE1_EE10hipError_tPvRmT2_T3_mT4_P12ihipStream_tbEUlT_E_NS1_11comp_targetILNS1_3genE2ELNS1_11target_archE906ELNS1_3gpuE6ELNS1_3repE0EEENS1_30default_config_static_selectorELNS0_4arch9wavefront6targetE0EEEvT1_
; %bb.0:
	.section	.rodata,"a",@progbits
	.p2align	6, 0x0
	.amdhsa_kernel _ZN7rocprim17ROCPRIM_400000_NS6detail17trampoline_kernelINS0_14default_configENS1_35adjacent_difference_config_selectorILb1ElEEZNS1_24adjacent_difference_implIS3_Lb1ELb0EPlS7_ZN2at6native12_GLOBAL__N_124unique_dim_cuda_templateIiEESt5tupleIJNS8_6TensorESD_SD_EERKSD_lbbbEUlllE1_EE10hipError_tPvRmT2_T3_mT4_P12ihipStream_tbEUlT_E_NS1_11comp_targetILNS1_3genE2ELNS1_11target_archE906ELNS1_3gpuE6ELNS1_3repE0EEENS1_30default_config_static_selectorELNS0_4arch9wavefront6targetE0EEEvT1_
		.amdhsa_group_segment_fixed_size 0
		.amdhsa_private_segment_fixed_size 0
		.amdhsa_kernarg_size 64
		.amdhsa_user_sgpr_count 2
		.amdhsa_user_sgpr_dispatch_ptr 0
		.amdhsa_user_sgpr_queue_ptr 0
		.amdhsa_user_sgpr_kernarg_segment_ptr 1
		.amdhsa_user_sgpr_dispatch_id 0
		.amdhsa_user_sgpr_kernarg_preload_length 0
		.amdhsa_user_sgpr_kernarg_preload_offset 0
		.amdhsa_user_sgpr_private_segment_size 0
		.amdhsa_wavefront_size32 1
		.amdhsa_uses_dynamic_stack 0
		.amdhsa_enable_private_segment 0
		.amdhsa_system_sgpr_workgroup_id_x 1
		.amdhsa_system_sgpr_workgroup_id_y 0
		.amdhsa_system_sgpr_workgroup_id_z 0
		.amdhsa_system_sgpr_workgroup_info 0
		.amdhsa_system_vgpr_workitem_id 0
		.amdhsa_next_free_vgpr 1
		.amdhsa_next_free_sgpr 1
		.amdhsa_named_barrier_count 0
		.amdhsa_reserve_vcc 0
		.amdhsa_float_round_mode_32 0
		.amdhsa_float_round_mode_16_64 0
		.amdhsa_float_denorm_mode_32 3
		.amdhsa_float_denorm_mode_16_64 3
		.amdhsa_fp16_overflow 0
		.amdhsa_memory_ordered 1
		.amdhsa_forward_progress 1
		.amdhsa_inst_pref_size 0
		.amdhsa_round_robin_scheduling 0
		.amdhsa_exception_fp_ieee_invalid_op 0
		.amdhsa_exception_fp_denorm_src 0
		.amdhsa_exception_fp_ieee_div_zero 0
		.amdhsa_exception_fp_ieee_overflow 0
		.amdhsa_exception_fp_ieee_underflow 0
		.amdhsa_exception_fp_ieee_inexact 0
		.amdhsa_exception_int_div_zero 0
	.end_amdhsa_kernel
	.section	.text._ZN7rocprim17ROCPRIM_400000_NS6detail17trampoline_kernelINS0_14default_configENS1_35adjacent_difference_config_selectorILb1ElEEZNS1_24adjacent_difference_implIS3_Lb1ELb0EPlS7_ZN2at6native12_GLOBAL__N_124unique_dim_cuda_templateIiEESt5tupleIJNS8_6TensorESD_SD_EERKSD_lbbbEUlllE1_EE10hipError_tPvRmT2_T3_mT4_P12ihipStream_tbEUlT_E_NS1_11comp_targetILNS1_3genE2ELNS1_11target_archE906ELNS1_3gpuE6ELNS1_3repE0EEENS1_30default_config_static_selectorELNS0_4arch9wavefront6targetE0EEEvT1_,"axG",@progbits,_ZN7rocprim17ROCPRIM_400000_NS6detail17trampoline_kernelINS0_14default_configENS1_35adjacent_difference_config_selectorILb1ElEEZNS1_24adjacent_difference_implIS3_Lb1ELb0EPlS7_ZN2at6native12_GLOBAL__N_124unique_dim_cuda_templateIiEESt5tupleIJNS8_6TensorESD_SD_EERKSD_lbbbEUlllE1_EE10hipError_tPvRmT2_T3_mT4_P12ihipStream_tbEUlT_E_NS1_11comp_targetILNS1_3genE2ELNS1_11target_archE906ELNS1_3gpuE6ELNS1_3repE0EEENS1_30default_config_static_selectorELNS0_4arch9wavefront6targetE0EEEvT1_,comdat
.Lfunc_end438:
	.size	_ZN7rocprim17ROCPRIM_400000_NS6detail17trampoline_kernelINS0_14default_configENS1_35adjacent_difference_config_selectorILb1ElEEZNS1_24adjacent_difference_implIS3_Lb1ELb0EPlS7_ZN2at6native12_GLOBAL__N_124unique_dim_cuda_templateIiEESt5tupleIJNS8_6TensorESD_SD_EERKSD_lbbbEUlllE1_EE10hipError_tPvRmT2_T3_mT4_P12ihipStream_tbEUlT_E_NS1_11comp_targetILNS1_3genE2ELNS1_11target_archE906ELNS1_3gpuE6ELNS1_3repE0EEENS1_30default_config_static_selectorELNS0_4arch9wavefront6targetE0EEEvT1_, .Lfunc_end438-_ZN7rocprim17ROCPRIM_400000_NS6detail17trampoline_kernelINS0_14default_configENS1_35adjacent_difference_config_selectorILb1ElEEZNS1_24adjacent_difference_implIS3_Lb1ELb0EPlS7_ZN2at6native12_GLOBAL__N_124unique_dim_cuda_templateIiEESt5tupleIJNS8_6TensorESD_SD_EERKSD_lbbbEUlllE1_EE10hipError_tPvRmT2_T3_mT4_P12ihipStream_tbEUlT_E_NS1_11comp_targetILNS1_3genE2ELNS1_11target_archE906ELNS1_3gpuE6ELNS1_3repE0EEENS1_30default_config_static_selectorELNS0_4arch9wavefront6targetE0EEEvT1_
                                        ; -- End function
	.set _ZN7rocprim17ROCPRIM_400000_NS6detail17trampoline_kernelINS0_14default_configENS1_35adjacent_difference_config_selectorILb1ElEEZNS1_24adjacent_difference_implIS3_Lb1ELb0EPlS7_ZN2at6native12_GLOBAL__N_124unique_dim_cuda_templateIiEESt5tupleIJNS8_6TensorESD_SD_EERKSD_lbbbEUlllE1_EE10hipError_tPvRmT2_T3_mT4_P12ihipStream_tbEUlT_E_NS1_11comp_targetILNS1_3genE2ELNS1_11target_archE906ELNS1_3gpuE6ELNS1_3repE0EEENS1_30default_config_static_selectorELNS0_4arch9wavefront6targetE0EEEvT1_.num_vgpr, 0
	.set _ZN7rocprim17ROCPRIM_400000_NS6detail17trampoline_kernelINS0_14default_configENS1_35adjacent_difference_config_selectorILb1ElEEZNS1_24adjacent_difference_implIS3_Lb1ELb0EPlS7_ZN2at6native12_GLOBAL__N_124unique_dim_cuda_templateIiEESt5tupleIJNS8_6TensorESD_SD_EERKSD_lbbbEUlllE1_EE10hipError_tPvRmT2_T3_mT4_P12ihipStream_tbEUlT_E_NS1_11comp_targetILNS1_3genE2ELNS1_11target_archE906ELNS1_3gpuE6ELNS1_3repE0EEENS1_30default_config_static_selectorELNS0_4arch9wavefront6targetE0EEEvT1_.num_agpr, 0
	.set _ZN7rocprim17ROCPRIM_400000_NS6detail17trampoline_kernelINS0_14default_configENS1_35adjacent_difference_config_selectorILb1ElEEZNS1_24adjacent_difference_implIS3_Lb1ELb0EPlS7_ZN2at6native12_GLOBAL__N_124unique_dim_cuda_templateIiEESt5tupleIJNS8_6TensorESD_SD_EERKSD_lbbbEUlllE1_EE10hipError_tPvRmT2_T3_mT4_P12ihipStream_tbEUlT_E_NS1_11comp_targetILNS1_3genE2ELNS1_11target_archE906ELNS1_3gpuE6ELNS1_3repE0EEENS1_30default_config_static_selectorELNS0_4arch9wavefront6targetE0EEEvT1_.numbered_sgpr, 0
	.set _ZN7rocprim17ROCPRIM_400000_NS6detail17trampoline_kernelINS0_14default_configENS1_35adjacent_difference_config_selectorILb1ElEEZNS1_24adjacent_difference_implIS3_Lb1ELb0EPlS7_ZN2at6native12_GLOBAL__N_124unique_dim_cuda_templateIiEESt5tupleIJNS8_6TensorESD_SD_EERKSD_lbbbEUlllE1_EE10hipError_tPvRmT2_T3_mT4_P12ihipStream_tbEUlT_E_NS1_11comp_targetILNS1_3genE2ELNS1_11target_archE906ELNS1_3gpuE6ELNS1_3repE0EEENS1_30default_config_static_selectorELNS0_4arch9wavefront6targetE0EEEvT1_.num_named_barrier, 0
	.set _ZN7rocprim17ROCPRIM_400000_NS6detail17trampoline_kernelINS0_14default_configENS1_35adjacent_difference_config_selectorILb1ElEEZNS1_24adjacent_difference_implIS3_Lb1ELb0EPlS7_ZN2at6native12_GLOBAL__N_124unique_dim_cuda_templateIiEESt5tupleIJNS8_6TensorESD_SD_EERKSD_lbbbEUlllE1_EE10hipError_tPvRmT2_T3_mT4_P12ihipStream_tbEUlT_E_NS1_11comp_targetILNS1_3genE2ELNS1_11target_archE906ELNS1_3gpuE6ELNS1_3repE0EEENS1_30default_config_static_selectorELNS0_4arch9wavefront6targetE0EEEvT1_.private_seg_size, 0
	.set _ZN7rocprim17ROCPRIM_400000_NS6detail17trampoline_kernelINS0_14default_configENS1_35adjacent_difference_config_selectorILb1ElEEZNS1_24adjacent_difference_implIS3_Lb1ELb0EPlS7_ZN2at6native12_GLOBAL__N_124unique_dim_cuda_templateIiEESt5tupleIJNS8_6TensorESD_SD_EERKSD_lbbbEUlllE1_EE10hipError_tPvRmT2_T3_mT4_P12ihipStream_tbEUlT_E_NS1_11comp_targetILNS1_3genE2ELNS1_11target_archE906ELNS1_3gpuE6ELNS1_3repE0EEENS1_30default_config_static_selectorELNS0_4arch9wavefront6targetE0EEEvT1_.uses_vcc, 0
	.set _ZN7rocprim17ROCPRIM_400000_NS6detail17trampoline_kernelINS0_14default_configENS1_35adjacent_difference_config_selectorILb1ElEEZNS1_24adjacent_difference_implIS3_Lb1ELb0EPlS7_ZN2at6native12_GLOBAL__N_124unique_dim_cuda_templateIiEESt5tupleIJNS8_6TensorESD_SD_EERKSD_lbbbEUlllE1_EE10hipError_tPvRmT2_T3_mT4_P12ihipStream_tbEUlT_E_NS1_11comp_targetILNS1_3genE2ELNS1_11target_archE906ELNS1_3gpuE6ELNS1_3repE0EEENS1_30default_config_static_selectorELNS0_4arch9wavefront6targetE0EEEvT1_.uses_flat_scratch, 0
	.set _ZN7rocprim17ROCPRIM_400000_NS6detail17trampoline_kernelINS0_14default_configENS1_35adjacent_difference_config_selectorILb1ElEEZNS1_24adjacent_difference_implIS3_Lb1ELb0EPlS7_ZN2at6native12_GLOBAL__N_124unique_dim_cuda_templateIiEESt5tupleIJNS8_6TensorESD_SD_EERKSD_lbbbEUlllE1_EE10hipError_tPvRmT2_T3_mT4_P12ihipStream_tbEUlT_E_NS1_11comp_targetILNS1_3genE2ELNS1_11target_archE906ELNS1_3gpuE6ELNS1_3repE0EEENS1_30default_config_static_selectorELNS0_4arch9wavefront6targetE0EEEvT1_.has_dyn_sized_stack, 0
	.set _ZN7rocprim17ROCPRIM_400000_NS6detail17trampoline_kernelINS0_14default_configENS1_35adjacent_difference_config_selectorILb1ElEEZNS1_24adjacent_difference_implIS3_Lb1ELb0EPlS7_ZN2at6native12_GLOBAL__N_124unique_dim_cuda_templateIiEESt5tupleIJNS8_6TensorESD_SD_EERKSD_lbbbEUlllE1_EE10hipError_tPvRmT2_T3_mT4_P12ihipStream_tbEUlT_E_NS1_11comp_targetILNS1_3genE2ELNS1_11target_archE906ELNS1_3gpuE6ELNS1_3repE0EEENS1_30default_config_static_selectorELNS0_4arch9wavefront6targetE0EEEvT1_.has_recursion, 0
	.set _ZN7rocprim17ROCPRIM_400000_NS6detail17trampoline_kernelINS0_14default_configENS1_35adjacent_difference_config_selectorILb1ElEEZNS1_24adjacent_difference_implIS3_Lb1ELb0EPlS7_ZN2at6native12_GLOBAL__N_124unique_dim_cuda_templateIiEESt5tupleIJNS8_6TensorESD_SD_EERKSD_lbbbEUlllE1_EE10hipError_tPvRmT2_T3_mT4_P12ihipStream_tbEUlT_E_NS1_11comp_targetILNS1_3genE2ELNS1_11target_archE906ELNS1_3gpuE6ELNS1_3repE0EEENS1_30default_config_static_selectorELNS0_4arch9wavefront6targetE0EEEvT1_.has_indirect_call, 0
	.section	.AMDGPU.csdata,"",@progbits
; Kernel info:
; codeLenInByte = 0
; TotalNumSgprs: 0
; NumVgprs: 0
; ScratchSize: 0
; MemoryBound: 0
; FloatMode: 240
; IeeeMode: 1
; LDSByteSize: 0 bytes/workgroup (compile time only)
; SGPRBlocks: 0
; VGPRBlocks: 0
; NumSGPRsForWavesPerEU: 1
; NumVGPRsForWavesPerEU: 1
; NamedBarCnt: 0
; Occupancy: 16
; WaveLimiterHint : 0
; COMPUTE_PGM_RSRC2:SCRATCH_EN: 0
; COMPUTE_PGM_RSRC2:USER_SGPR: 2
; COMPUTE_PGM_RSRC2:TRAP_HANDLER: 0
; COMPUTE_PGM_RSRC2:TGID_X_EN: 1
; COMPUTE_PGM_RSRC2:TGID_Y_EN: 0
; COMPUTE_PGM_RSRC2:TGID_Z_EN: 0
; COMPUTE_PGM_RSRC2:TIDIG_COMP_CNT: 0
	.section	.text._ZN7rocprim17ROCPRIM_400000_NS6detail17trampoline_kernelINS0_14default_configENS1_35adjacent_difference_config_selectorILb1ElEEZNS1_24adjacent_difference_implIS3_Lb1ELb0EPlS7_ZN2at6native12_GLOBAL__N_124unique_dim_cuda_templateIiEESt5tupleIJNS8_6TensorESD_SD_EERKSD_lbbbEUlllE1_EE10hipError_tPvRmT2_T3_mT4_P12ihipStream_tbEUlT_E_NS1_11comp_targetILNS1_3genE9ELNS1_11target_archE1100ELNS1_3gpuE3ELNS1_3repE0EEENS1_30default_config_static_selectorELNS0_4arch9wavefront6targetE0EEEvT1_,"axG",@progbits,_ZN7rocprim17ROCPRIM_400000_NS6detail17trampoline_kernelINS0_14default_configENS1_35adjacent_difference_config_selectorILb1ElEEZNS1_24adjacent_difference_implIS3_Lb1ELb0EPlS7_ZN2at6native12_GLOBAL__N_124unique_dim_cuda_templateIiEESt5tupleIJNS8_6TensorESD_SD_EERKSD_lbbbEUlllE1_EE10hipError_tPvRmT2_T3_mT4_P12ihipStream_tbEUlT_E_NS1_11comp_targetILNS1_3genE9ELNS1_11target_archE1100ELNS1_3gpuE3ELNS1_3repE0EEENS1_30default_config_static_selectorELNS0_4arch9wavefront6targetE0EEEvT1_,comdat
	.globl	_ZN7rocprim17ROCPRIM_400000_NS6detail17trampoline_kernelINS0_14default_configENS1_35adjacent_difference_config_selectorILb1ElEEZNS1_24adjacent_difference_implIS3_Lb1ELb0EPlS7_ZN2at6native12_GLOBAL__N_124unique_dim_cuda_templateIiEESt5tupleIJNS8_6TensorESD_SD_EERKSD_lbbbEUlllE1_EE10hipError_tPvRmT2_T3_mT4_P12ihipStream_tbEUlT_E_NS1_11comp_targetILNS1_3genE9ELNS1_11target_archE1100ELNS1_3gpuE3ELNS1_3repE0EEENS1_30default_config_static_selectorELNS0_4arch9wavefront6targetE0EEEvT1_ ; -- Begin function _ZN7rocprim17ROCPRIM_400000_NS6detail17trampoline_kernelINS0_14default_configENS1_35adjacent_difference_config_selectorILb1ElEEZNS1_24adjacent_difference_implIS3_Lb1ELb0EPlS7_ZN2at6native12_GLOBAL__N_124unique_dim_cuda_templateIiEESt5tupleIJNS8_6TensorESD_SD_EERKSD_lbbbEUlllE1_EE10hipError_tPvRmT2_T3_mT4_P12ihipStream_tbEUlT_E_NS1_11comp_targetILNS1_3genE9ELNS1_11target_archE1100ELNS1_3gpuE3ELNS1_3repE0EEENS1_30default_config_static_selectorELNS0_4arch9wavefront6targetE0EEEvT1_
	.p2align	8
	.type	_ZN7rocprim17ROCPRIM_400000_NS6detail17trampoline_kernelINS0_14default_configENS1_35adjacent_difference_config_selectorILb1ElEEZNS1_24adjacent_difference_implIS3_Lb1ELb0EPlS7_ZN2at6native12_GLOBAL__N_124unique_dim_cuda_templateIiEESt5tupleIJNS8_6TensorESD_SD_EERKSD_lbbbEUlllE1_EE10hipError_tPvRmT2_T3_mT4_P12ihipStream_tbEUlT_E_NS1_11comp_targetILNS1_3genE9ELNS1_11target_archE1100ELNS1_3gpuE3ELNS1_3repE0EEENS1_30default_config_static_selectorELNS0_4arch9wavefront6targetE0EEEvT1_,@function
_ZN7rocprim17ROCPRIM_400000_NS6detail17trampoline_kernelINS0_14default_configENS1_35adjacent_difference_config_selectorILb1ElEEZNS1_24adjacent_difference_implIS3_Lb1ELb0EPlS7_ZN2at6native12_GLOBAL__N_124unique_dim_cuda_templateIiEESt5tupleIJNS8_6TensorESD_SD_EERKSD_lbbbEUlllE1_EE10hipError_tPvRmT2_T3_mT4_P12ihipStream_tbEUlT_E_NS1_11comp_targetILNS1_3genE9ELNS1_11target_archE1100ELNS1_3gpuE3ELNS1_3repE0EEENS1_30default_config_static_selectorELNS0_4arch9wavefront6targetE0EEEvT1_: ; @_ZN7rocprim17ROCPRIM_400000_NS6detail17trampoline_kernelINS0_14default_configENS1_35adjacent_difference_config_selectorILb1ElEEZNS1_24adjacent_difference_implIS3_Lb1ELb0EPlS7_ZN2at6native12_GLOBAL__N_124unique_dim_cuda_templateIiEESt5tupleIJNS8_6TensorESD_SD_EERKSD_lbbbEUlllE1_EE10hipError_tPvRmT2_T3_mT4_P12ihipStream_tbEUlT_E_NS1_11comp_targetILNS1_3genE9ELNS1_11target_archE1100ELNS1_3gpuE3ELNS1_3repE0EEENS1_30default_config_static_selectorELNS0_4arch9wavefront6targetE0EEEvT1_
; %bb.0:
	.section	.rodata,"a",@progbits
	.p2align	6, 0x0
	.amdhsa_kernel _ZN7rocprim17ROCPRIM_400000_NS6detail17trampoline_kernelINS0_14default_configENS1_35adjacent_difference_config_selectorILb1ElEEZNS1_24adjacent_difference_implIS3_Lb1ELb0EPlS7_ZN2at6native12_GLOBAL__N_124unique_dim_cuda_templateIiEESt5tupleIJNS8_6TensorESD_SD_EERKSD_lbbbEUlllE1_EE10hipError_tPvRmT2_T3_mT4_P12ihipStream_tbEUlT_E_NS1_11comp_targetILNS1_3genE9ELNS1_11target_archE1100ELNS1_3gpuE3ELNS1_3repE0EEENS1_30default_config_static_selectorELNS0_4arch9wavefront6targetE0EEEvT1_
		.amdhsa_group_segment_fixed_size 0
		.amdhsa_private_segment_fixed_size 0
		.amdhsa_kernarg_size 64
		.amdhsa_user_sgpr_count 2
		.amdhsa_user_sgpr_dispatch_ptr 0
		.amdhsa_user_sgpr_queue_ptr 0
		.amdhsa_user_sgpr_kernarg_segment_ptr 1
		.amdhsa_user_sgpr_dispatch_id 0
		.amdhsa_user_sgpr_kernarg_preload_length 0
		.amdhsa_user_sgpr_kernarg_preload_offset 0
		.amdhsa_user_sgpr_private_segment_size 0
		.amdhsa_wavefront_size32 1
		.amdhsa_uses_dynamic_stack 0
		.amdhsa_enable_private_segment 0
		.amdhsa_system_sgpr_workgroup_id_x 1
		.amdhsa_system_sgpr_workgroup_id_y 0
		.amdhsa_system_sgpr_workgroup_id_z 0
		.amdhsa_system_sgpr_workgroup_info 0
		.amdhsa_system_vgpr_workitem_id 0
		.amdhsa_next_free_vgpr 1
		.amdhsa_next_free_sgpr 1
		.amdhsa_named_barrier_count 0
		.amdhsa_reserve_vcc 0
		.amdhsa_float_round_mode_32 0
		.amdhsa_float_round_mode_16_64 0
		.amdhsa_float_denorm_mode_32 3
		.amdhsa_float_denorm_mode_16_64 3
		.amdhsa_fp16_overflow 0
		.amdhsa_memory_ordered 1
		.amdhsa_forward_progress 1
		.amdhsa_inst_pref_size 0
		.amdhsa_round_robin_scheduling 0
		.amdhsa_exception_fp_ieee_invalid_op 0
		.amdhsa_exception_fp_denorm_src 0
		.amdhsa_exception_fp_ieee_div_zero 0
		.amdhsa_exception_fp_ieee_overflow 0
		.amdhsa_exception_fp_ieee_underflow 0
		.amdhsa_exception_fp_ieee_inexact 0
		.amdhsa_exception_int_div_zero 0
	.end_amdhsa_kernel
	.section	.text._ZN7rocprim17ROCPRIM_400000_NS6detail17trampoline_kernelINS0_14default_configENS1_35adjacent_difference_config_selectorILb1ElEEZNS1_24adjacent_difference_implIS3_Lb1ELb0EPlS7_ZN2at6native12_GLOBAL__N_124unique_dim_cuda_templateIiEESt5tupleIJNS8_6TensorESD_SD_EERKSD_lbbbEUlllE1_EE10hipError_tPvRmT2_T3_mT4_P12ihipStream_tbEUlT_E_NS1_11comp_targetILNS1_3genE9ELNS1_11target_archE1100ELNS1_3gpuE3ELNS1_3repE0EEENS1_30default_config_static_selectorELNS0_4arch9wavefront6targetE0EEEvT1_,"axG",@progbits,_ZN7rocprim17ROCPRIM_400000_NS6detail17trampoline_kernelINS0_14default_configENS1_35adjacent_difference_config_selectorILb1ElEEZNS1_24adjacent_difference_implIS3_Lb1ELb0EPlS7_ZN2at6native12_GLOBAL__N_124unique_dim_cuda_templateIiEESt5tupleIJNS8_6TensorESD_SD_EERKSD_lbbbEUlllE1_EE10hipError_tPvRmT2_T3_mT4_P12ihipStream_tbEUlT_E_NS1_11comp_targetILNS1_3genE9ELNS1_11target_archE1100ELNS1_3gpuE3ELNS1_3repE0EEENS1_30default_config_static_selectorELNS0_4arch9wavefront6targetE0EEEvT1_,comdat
.Lfunc_end439:
	.size	_ZN7rocprim17ROCPRIM_400000_NS6detail17trampoline_kernelINS0_14default_configENS1_35adjacent_difference_config_selectorILb1ElEEZNS1_24adjacent_difference_implIS3_Lb1ELb0EPlS7_ZN2at6native12_GLOBAL__N_124unique_dim_cuda_templateIiEESt5tupleIJNS8_6TensorESD_SD_EERKSD_lbbbEUlllE1_EE10hipError_tPvRmT2_T3_mT4_P12ihipStream_tbEUlT_E_NS1_11comp_targetILNS1_3genE9ELNS1_11target_archE1100ELNS1_3gpuE3ELNS1_3repE0EEENS1_30default_config_static_selectorELNS0_4arch9wavefront6targetE0EEEvT1_, .Lfunc_end439-_ZN7rocprim17ROCPRIM_400000_NS6detail17trampoline_kernelINS0_14default_configENS1_35adjacent_difference_config_selectorILb1ElEEZNS1_24adjacent_difference_implIS3_Lb1ELb0EPlS7_ZN2at6native12_GLOBAL__N_124unique_dim_cuda_templateIiEESt5tupleIJNS8_6TensorESD_SD_EERKSD_lbbbEUlllE1_EE10hipError_tPvRmT2_T3_mT4_P12ihipStream_tbEUlT_E_NS1_11comp_targetILNS1_3genE9ELNS1_11target_archE1100ELNS1_3gpuE3ELNS1_3repE0EEENS1_30default_config_static_selectorELNS0_4arch9wavefront6targetE0EEEvT1_
                                        ; -- End function
	.set _ZN7rocprim17ROCPRIM_400000_NS6detail17trampoline_kernelINS0_14default_configENS1_35adjacent_difference_config_selectorILb1ElEEZNS1_24adjacent_difference_implIS3_Lb1ELb0EPlS7_ZN2at6native12_GLOBAL__N_124unique_dim_cuda_templateIiEESt5tupleIJNS8_6TensorESD_SD_EERKSD_lbbbEUlllE1_EE10hipError_tPvRmT2_T3_mT4_P12ihipStream_tbEUlT_E_NS1_11comp_targetILNS1_3genE9ELNS1_11target_archE1100ELNS1_3gpuE3ELNS1_3repE0EEENS1_30default_config_static_selectorELNS0_4arch9wavefront6targetE0EEEvT1_.num_vgpr, 0
	.set _ZN7rocprim17ROCPRIM_400000_NS6detail17trampoline_kernelINS0_14default_configENS1_35adjacent_difference_config_selectorILb1ElEEZNS1_24adjacent_difference_implIS3_Lb1ELb0EPlS7_ZN2at6native12_GLOBAL__N_124unique_dim_cuda_templateIiEESt5tupleIJNS8_6TensorESD_SD_EERKSD_lbbbEUlllE1_EE10hipError_tPvRmT2_T3_mT4_P12ihipStream_tbEUlT_E_NS1_11comp_targetILNS1_3genE9ELNS1_11target_archE1100ELNS1_3gpuE3ELNS1_3repE0EEENS1_30default_config_static_selectorELNS0_4arch9wavefront6targetE0EEEvT1_.num_agpr, 0
	.set _ZN7rocprim17ROCPRIM_400000_NS6detail17trampoline_kernelINS0_14default_configENS1_35adjacent_difference_config_selectorILb1ElEEZNS1_24adjacent_difference_implIS3_Lb1ELb0EPlS7_ZN2at6native12_GLOBAL__N_124unique_dim_cuda_templateIiEESt5tupleIJNS8_6TensorESD_SD_EERKSD_lbbbEUlllE1_EE10hipError_tPvRmT2_T3_mT4_P12ihipStream_tbEUlT_E_NS1_11comp_targetILNS1_3genE9ELNS1_11target_archE1100ELNS1_3gpuE3ELNS1_3repE0EEENS1_30default_config_static_selectorELNS0_4arch9wavefront6targetE0EEEvT1_.numbered_sgpr, 0
	.set _ZN7rocprim17ROCPRIM_400000_NS6detail17trampoline_kernelINS0_14default_configENS1_35adjacent_difference_config_selectorILb1ElEEZNS1_24adjacent_difference_implIS3_Lb1ELb0EPlS7_ZN2at6native12_GLOBAL__N_124unique_dim_cuda_templateIiEESt5tupleIJNS8_6TensorESD_SD_EERKSD_lbbbEUlllE1_EE10hipError_tPvRmT2_T3_mT4_P12ihipStream_tbEUlT_E_NS1_11comp_targetILNS1_3genE9ELNS1_11target_archE1100ELNS1_3gpuE3ELNS1_3repE0EEENS1_30default_config_static_selectorELNS0_4arch9wavefront6targetE0EEEvT1_.num_named_barrier, 0
	.set _ZN7rocprim17ROCPRIM_400000_NS6detail17trampoline_kernelINS0_14default_configENS1_35adjacent_difference_config_selectorILb1ElEEZNS1_24adjacent_difference_implIS3_Lb1ELb0EPlS7_ZN2at6native12_GLOBAL__N_124unique_dim_cuda_templateIiEESt5tupleIJNS8_6TensorESD_SD_EERKSD_lbbbEUlllE1_EE10hipError_tPvRmT2_T3_mT4_P12ihipStream_tbEUlT_E_NS1_11comp_targetILNS1_3genE9ELNS1_11target_archE1100ELNS1_3gpuE3ELNS1_3repE0EEENS1_30default_config_static_selectorELNS0_4arch9wavefront6targetE0EEEvT1_.private_seg_size, 0
	.set _ZN7rocprim17ROCPRIM_400000_NS6detail17trampoline_kernelINS0_14default_configENS1_35adjacent_difference_config_selectorILb1ElEEZNS1_24adjacent_difference_implIS3_Lb1ELb0EPlS7_ZN2at6native12_GLOBAL__N_124unique_dim_cuda_templateIiEESt5tupleIJNS8_6TensorESD_SD_EERKSD_lbbbEUlllE1_EE10hipError_tPvRmT2_T3_mT4_P12ihipStream_tbEUlT_E_NS1_11comp_targetILNS1_3genE9ELNS1_11target_archE1100ELNS1_3gpuE3ELNS1_3repE0EEENS1_30default_config_static_selectorELNS0_4arch9wavefront6targetE0EEEvT1_.uses_vcc, 0
	.set _ZN7rocprim17ROCPRIM_400000_NS6detail17trampoline_kernelINS0_14default_configENS1_35adjacent_difference_config_selectorILb1ElEEZNS1_24adjacent_difference_implIS3_Lb1ELb0EPlS7_ZN2at6native12_GLOBAL__N_124unique_dim_cuda_templateIiEESt5tupleIJNS8_6TensorESD_SD_EERKSD_lbbbEUlllE1_EE10hipError_tPvRmT2_T3_mT4_P12ihipStream_tbEUlT_E_NS1_11comp_targetILNS1_3genE9ELNS1_11target_archE1100ELNS1_3gpuE3ELNS1_3repE0EEENS1_30default_config_static_selectorELNS0_4arch9wavefront6targetE0EEEvT1_.uses_flat_scratch, 0
	.set _ZN7rocprim17ROCPRIM_400000_NS6detail17trampoline_kernelINS0_14default_configENS1_35adjacent_difference_config_selectorILb1ElEEZNS1_24adjacent_difference_implIS3_Lb1ELb0EPlS7_ZN2at6native12_GLOBAL__N_124unique_dim_cuda_templateIiEESt5tupleIJNS8_6TensorESD_SD_EERKSD_lbbbEUlllE1_EE10hipError_tPvRmT2_T3_mT4_P12ihipStream_tbEUlT_E_NS1_11comp_targetILNS1_3genE9ELNS1_11target_archE1100ELNS1_3gpuE3ELNS1_3repE0EEENS1_30default_config_static_selectorELNS0_4arch9wavefront6targetE0EEEvT1_.has_dyn_sized_stack, 0
	.set _ZN7rocprim17ROCPRIM_400000_NS6detail17trampoline_kernelINS0_14default_configENS1_35adjacent_difference_config_selectorILb1ElEEZNS1_24adjacent_difference_implIS3_Lb1ELb0EPlS7_ZN2at6native12_GLOBAL__N_124unique_dim_cuda_templateIiEESt5tupleIJNS8_6TensorESD_SD_EERKSD_lbbbEUlllE1_EE10hipError_tPvRmT2_T3_mT4_P12ihipStream_tbEUlT_E_NS1_11comp_targetILNS1_3genE9ELNS1_11target_archE1100ELNS1_3gpuE3ELNS1_3repE0EEENS1_30default_config_static_selectorELNS0_4arch9wavefront6targetE0EEEvT1_.has_recursion, 0
	.set _ZN7rocprim17ROCPRIM_400000_NS6detail17trampoline_kernelINS0_14default_configENS1_35adjacent_difference_config_selectorILb1ElEEZNS1_24adjacent_difference_implIS3_Lb1ELb0EPlS7_ZN2at6native12_GLOBAL__N_124unique_dim_cuda_templateIiEESt5tupleIJNS8_6TensorESD_SD_EERKSD_lbbbEUlllE1_EE10hipError_tPvRmT2_T3_mT4_P12ihipStream_tbEUlT_E_NS1_11comp_targetILNS1_3genE9ELNS1_11target_archE1100ELNS1_3gpuE3ELNS1_3repE0EEENS1_30default_config_static_selectorELNS0_4arch9wavefront6targetE0EEEvT1_.has_indirect_call, 0
	.section	.AMDGPU.csdata,"",@progbits
; Kernel info:
; codeLenInByte = 0
; TotalNumSgprs: 0
; NumVgprs: 0
; ScratchSize: 0
; MemoryBound: 0
; FloatMode: 240
; IeeeMode: 1
; LDSByteSize: 0 bytes/workgroup (compile time only)
; SGPRBlocks: 0
; VGPRBlocks: 0
; NumSGPRsForWavesPerEU: 1
; NumVGPRsForWavesPerEU: 1
; NamedBarCnt: 0
; Occupancy: 16
; WaveLimiterHint : 0
; COMPUTE_PGM_RSRC2:SCRATCH_EN: 0
; COMPUTE_PGM_RSRC2:USER_SGPR: 2
; COMPUTE_PGM_RSRC2:TRAP_HANDLER: 0
; COMPUTE_PGM_RSRC2:TGID_X_EN: 1
; COMPUTE_PGM_RSRC2:TGID_Y_EN: 0
; COMPUTE_PGM_RSRC2:TGID_Z_EN: 0
; COMPUTE_PGM_RSRC2:TIDIG_COMP_CNT: 0
	.section	.text._ZN7rocprim17ROCPRIM_400000_NS6detail17trampoline_kernelINS0_14default_configENS1_35adjacent_difference_config_selectorILb1ElEEZNS1_24adjacent_difference_implIS3_Lb1ELb0EPlS7_ZN2at6native12_GLOBAL__N_124unique_dim_cuda_templateIiEESt5tupleIJNS8_6TensorESD_SD_EERKSD_lbbbEUlllE1_EE10hipError_tPvRmT2_T3_mT4_P12ihipStream_tbEUlT_E_NS1_11comp_targetILNS1_3genE8ELNS1_11target_archE1030ELNS1_3gpuE2ELNS1_3repE0EEENS1_30default_config_static_selectorELNS0_4arch9wavefront6targetE0EEEvT1_,"axG",@progbits,_ZN7rocprim17ROCPRIM_400000_NS6detail17trampoline_kernelINS0_14default_configENS1_35adjacent_difference_config_selectorILb1ElEEZNS1_24adjacent_difference_implIS3_Lb1ELb0EPlS7_ZN2at6native12_GLOBAL__N_124unique_dim_cuda_templateIiEESt5tupleIJNS8_6TensorESD_SD_EERKSD_lbbbEUlllE1_EE10hipError_tPvRmT2_T3_mT4_P12ihipStream_tbEUlT_E_NS1_11comp_targetILNS1_3genE8ELNS1_11target_archE1030ELNS1_3gpuE2ELNS1_3repE0EEENS1_30default_config_static_selectorELNS0_4arch9wavefront6targetE0EEEvT1_,comdat
	.globl	_ZN7rocprim17ROCPRIM_400000_NS6detail17trampoline_kernelINS0_14default_configENS1_35adjacent_difference_config_selectorILb1ElEEZNS1_24adjacent_difference_implIS3_Lb1ELb0EPlS7_ZN2at6native12_GLOBAL__N_124unique_dim_cuda_templateIiEESt5tupleIJNS8_6TensorESD_SD_EERKSD_lbbbEUlllE1_EE10hipError_tPvRmT2_T3_mT4_P12ihipStream_tbEUlT_E_NS1_11comp_targetILNS1_3genE8ELNS1_11target_archE1030ELNS1_3gpuE2ELNS1_3repE0EEENS1_30default_config_static_selectorELNS0_4arch9wavefront6targetE0EEEvT1_ ; -- Begin function _ZN7rocprim17ROCPRIM_400000_NS6detail17trampoline_kernelINS0_14default_configENS1_35adjacent_difference_config_selectorILb1ElEEZNS1_24adjacent_difference_implIS3_Lb1ELb0EPlS7_ZN2at6native12_GLOBAL__N_124unique_dim_cuda_templateIiEESt5tupleIJNS8_6TensorESD_SD_EERKSD_lbbbEUlllE1_EE10hipError_tPvRmT2_T3_mT4_P12ihipStream_tbEUlT_E_NS1_11comp_targetILNS1_3genE8ELNS1_11target_archE1030ELNS1_3gpuE2ELNS1_3repE0EEENS1_30default_config_static_selectorELNS0_4arch9wavefront6targetE0EEEvT1_
	.p2align	8
	.type	_ZN7rocprim17ROCPRIM_400000_NS6detail17trampoline_kernelINS0_14default_configENS1_35adjacent_difference_config_selectorILb1ElEEZNS1_24adjacent_difference_implIS3_Lb1ELb0EPlS7_ZN2at6native12_GLOBAL__N_124unique_dim_cuda_templateIiEESt5tupleIJNS8_6TensorESD_SD_EERKSD_lbbbEUlllE1_EE10hipError_tPvRmT2_T3_mT4_P12ihipStream_tbEUlT_E_NS1_11comp_targetILNS1_3genE8ELNS1_11target_archE1030ELNS1_3gpuE2ELNS1_3repE0EEENS1_30default_config_static_selectorELNS0_4arch9wavefront6targetE0EEEvT1_,@function
_ZN7rocprim17ROCPRIM_400000_NS6detail17trampoline_kernelINS0_14default_configENS1_35adjacent_difference_config_selectorILb1ElEEZNS1_24adjacent_difference_implIS3_Lb1ELb0EPlS7_ZN2at6native12_GLOBAL__N_124unique_dim_cuda_templateIiEESt5tupleIJNS8_6TensorESD_SD_EERKSD_lbbbEUlllE1_EE10hipError_tPvRmT2_T3_mT4_P12ihipStream_tbEUlT_E_NS1_11comp_targetILNS1_3genE8ELNS1_11target_archE1030ELNS1_3gpuE2ELNS1_3repE0EEENS1_30default_config_static_selectorELNS0_4arch9wavefront6targetE0EEEvT1_: ; @_ZN7rocprim17ROCPRIM_400000_NS6detail17trampoline_kernelINS0_14default_configENS1_35adjacent_difference_config_selectorILb1ElEEZNS1_24adjacent_difference_implIS3_Lb1ELb0EPlS7_ZN2at6native12_GLOBAL__N_124unique_dim_cuda_templateIiEESt5tupleIJNS8_6TensorESD_SD_EERKSD_lbbbEUlllE1_EE10hipError_tPvRmT2_T3_mT4_P12ihipStream_tbEUlT_E_NS1_11comp_targetILNS1_3genE8ELNS1_11target_archE1030ELNS1_3gpuE2ELNS1_3repE0EEENS1_30default_config_static_selectorELNS0_4arch9wavefront6targetE0EEEvT1_
; %bb.0:
	.section	.rodata,"a",@progbits
	.p2align	6, 0x0
	.amdhsa_kernel _ZN7rocprim17ROCPRIM_400000_NS6detail17trampoline_kernelINS0_14default_configENS1_35adjacent_difference_config_selectorILb1ElEEZNS1_24adjacent_difference_implIS3_Lb1ELb0EPlS7_ZN2at6native12_GLOBAL__N_124unique_dim_cuda_templateIiEESt5tupleIJNS8_6TensorESD_SD_EERKSD_lbbbEUlllE1_EE10hipError_tPvRmT2_T3_mT4_P12ihipStream_tbEUlT_E_NS1_11comp_targetILNS1_3genE8ELNS1_11target_archE1030ELNS1_3gpuE2ELNS1_3repE0EEENS1_30default_config_static_selectorELNS0_4arch9wavefront6targetE0EEEvT1_
		.amdhsa_group_segment_fixed_size 0
		.amdhsa_private_segment_fixed_size 0
		.amdhsa_kernarg_size 64
		.amdhsa_user_sgpr_count 2
		.amdhsa_user_sgpr_dispatch_ptr 0
		.amdhsa_user_sgpr_queue_ptr 0
		.amdhsa_user_sgpr_kernarg_segment_ptr 1
		.amdhsa_user_sgpr_dispatch_id 0
		.amdhsa_user_sgpr_kernarg_preload_length 0
		.amdhsa_user_sgpr_kernarg_preload_offset 0
		.amdhsa_user_sgpr_private_segment_size 0
		.amdhsa_wavefront_size32 1
		.amdhsa_uses_dynamic_stack 0
		.amdhsa_enable_private_segment 0
		.amdhsa_system_sgpr_workgroup_id_x 1
		.amdhsa_system_sgpr_workgroup_id_y 0
		.amdhsa_system_sgpr_workgroup_id_z 0
		.amdhsa_system_sgpr_workgroup_info 0
		.amdhsa_system_vgpr_workitem_id 0
		.amdhsa_next_free_vgpr 1
		.amdhsa_next_free_sgpr 1
		.amdhsa_named_barrier_count 0
		.amdhsa_reserve_vcc 0
		.amdhsa_float_round_mode_32 0
		.amdhsa_float_round_mode_16_64 0
		.amdhsa_float_denorm_mode_32 3
		.amdhsa_float_denorm_mode_16_64 3
		.amdhsa_fp16_overflow 0
		.amdhsa_memory_ordered 1
		.amdhsa_forward_progress 1
		.amdhsa_inst_pref_size 0
		.amdhsa_round_robin_scheduling 0
		.amdhsa_exception_fp_ieee_invalid_op 0
		.amdhsa_exception_fp_denorm_src 0
		.amdhsa_exception_fp_ieee_div_zero 0
		.amdhsa_exception_fp_ieee_overflow 0
		.amdhsa_exception_fp_ieee_underflow 0
		.amdhsa_exception_fp_ieee_inexact 0
		.amdhsa_exception_int_div_zero 0
	.end_amdhsa_kernel
	.section	.text._ZN7rocprim17ROCPRIM_400000_NS6detail17trampoline_kernelINS0_14default_configENS1_35adjacent_difference_config_selectorILb1ElEEZNS1_24adjacent_difference_implIS3_Lb1ELb0EPlS7_ZN2at6native12_GLOBAL__N_124unique_dim_cuda_templateIiEESt5tupleIJNS8_6TensorESD_SD_EERKSD_lbbbEUlllE1_EE10hipError_tPvRmT2_T3_mT4_P12ihipStream_tbEUlT_E_NS1_11comp_targetILNS1_3genE8ELNS1_11target_archE1030ELNS1_3gpuE2ELNS1_3repE0EEENS1_30default_config_static_selectorELNS0_4arch9wavefront6targetE0EEEvT1_,"axG",@progbits,_ZN7rocprim17ROCPRIM_400000_NS6detail17trampoline_kernelINS0_14default_configENS1_35adjacent_difference_config_selectorILb1ElEEZNS1_24adjacent_difference_implIS3_Lb1ELb0EPlS7_ZN2at6native12_GLOBAL__N_124unique_dim_cuda_templateIiEESt5tupleIJNS8_6TensorESD_SD_EERKSD_lbbbEUlllE1_EE10hipError_tPvRmT2_T3_mT4_P12ihipStream_tbEUlT_E_NS1_11comp_targetILNS1_3genE8ELNS1_11target_archE1030ELNS1_3gpuE2ELNS1_3repE0EEENS1_30default_config_static_selectorELNS0_4arch9wavefront6targetE0EEEvT1_,comdat
.Lfunc_end440:
	.size	_ZN7rocprim17ROCPRIM_400000_NS6detail17trampoline_kernelINS0_14default_configENS1_35adjacent_difference_config_selectorILb1ElEEZNS1_24adjacent_difference_implIS3_Lb1ELb0EPlS7_ZN2at6native12_GLOBAL__N_124unique_dim_cuda_templateIiEESt5tupleIJNS8_6TensorESD_SD_EERKSD_lbbbEUlllE1_EE10hipError_tPvRmT2_T3_mT4_P12ihipStream_tbEUlT_E_NS1_11comp_targetILNS1_3genE8ELNS1_11target_archE1030ELNS1_3gpuE2ELNS1_3repE0EEENS1_30default_config_static_selectorELNS0_4arch9wavefront6targetE0EEEvT1_, .Lfunc_end440-_ZN7rocprim17ROCPRIM_400000_NS6detail17trampoline_kernelINS0_14default_configENS1_35adjacent_difference_config_selectorILb1ElEEZNS1_24adjacent_difference_implIS3_Lb1ELb0EPlS7_ZN2at6native12_GLOBAL__N_124unique_dim_cuda_templateIiEESt5tupleIJNS8_6TensorESD_SD_EERKSD_lbbbEUlllE1_EE10hipError_tPvRmT2_T3_mT4_P12ihipStream_tbEUlT_E_NS1_11comp_targetILNS1_3genE8ELNS1_11target_archE1030ELNS1_3gpuE2ELNS1_3repE0EEENS1_30default_config_static_selectorELNS0_4arch9wavefront6targetE0EEEvT1_
                                        ; -- End function
	.set _ZN7rocprim17ROCPRIM_400000_NS6detail17trampoline_kernelINS0_14default_configENS1_35adjacent_difference_config_selectorILb1ElEEZNS1_24adjacent_difference_implIS3_Lb1ELb0EPlS7_ZN2at6native12_GLOBAL__N_124unique_dim_cuda_templateIiEESt5tupleIJNS8_6TensorESD_SD_EERKSD_lbbbEUlllE1_EE10hipError_tPvRmT2_T3_mT4_P12ihipStream_tbEUlT_E_NS1_11comp_targetILNS1_3genE8ELNS1_11target_archE1030ELNS1_3gpuE2ELNS1_3repE0EEENS1_30default_config_static_selectorELNS0_4arch9wavefront6targetE0EEEvT1_.num_vgpr, 0
	.set _ZN7rocprim17ROCPRIM_400000_NS6detail17trampoline_kernelINS0_14default_configENS1_35adjacent_difference_config_selectorILb1ElEEZNS1_24adjacent_difference_implIS3_Lb1ELb0EPlS7_ZN2at6native12_GLOBAL__N_124unique_dim_cuda_templateIiEESt5tupleIJNS8_6TensorESD_SD_EERKSD_lbbbEUlllE1_EE10hipError_tPvRmT2_T3_mT4_P12ihipStream_tbEUlT_E_NS1_11comp_targetILNS1_3genE8ELNS1_11target_archE1030ELNS1_3gpuE2ELNS1_3repE0EEENS1_30default_config_static_selectorELNS0_4arch9wavefront6targetE0EEEvT1_.num_agpr, 0
	.set _ZN7rocprim17ROCPRIM_400000_NS6detail17trampoline_kernelINS0_14default_configENS1_35adjacent_difference_config_selectorILb1ElEEZNS1_24adjacent_difference_implIS3_Lb1ELb0EPlS7_ZN2at6native12_GLOBAL__N_124unique_dim_cuda_templateIiEESt5tupleIJNS8_6TensorESD_SD_EERKSD_lbbbEUlllE1_EE10hipError_tPvRmT2_T3_mT4_P12ihipStream_tbEUlT_E_NS1_11comp_targetILNS1_3genE8ELNS1_11target_archE1030ELNS1_3gpuE2ELNS1_3repE0EEENS1_30default_config_static_selectorELNS0_4arch9wavefront6targetE0EEEvT1_.numbered_sgpr, 0
	.set _ZN7rocprim17ROCPRIM_400000_NS6detail17trampoline_kernelINS0_14default_configENS1_35adjacent_difference_config_selectorILb1ElEEZNS1_24adjacent_difference_implIS3_Lb1ELb0EPlS7_ZN2at6native12_GLOBAL__N_124unique_dim_cuda_templateIiEESt5tupleIJNS8_6TensorESD_SD_EERKSD_lbbbEUlllE1_EE10hipError_tPvRmT2_T3_mT4_P12ihipStream_tbEUlT_E_NS1_11comp_targetILNS1_3genE8ELNS1_11target_archE1030ELNS1_3gpuE2ELNS1_3repE0EEENS1_30default_config_static_selectorELNS0_4arch9wavefront6targetE0EEEvT1_.num_named_barrier, 0
	.set _ZN7rocprim17ROCPRIM_400000_NS6detail17trampoline_kernelINS0_14default_configENS1_35adjacent_difference_config_selectorILb1ElEEZNS1_24adjacent_difference_implIS3_Lb1ELb0EPlS7_ZN2at6native12_GLOBAL__N_124unique_dim_cuda_templateIiEESt5tupleIJNS8_6TensorESD_SD_EERKSD_lbbbEUlllE1_EE10hipError_tPvRmT2_T3_mT4_P12ihipStream_tbEUlT_E_NS1_11comp_targetILNS1_3genE8ELNS1_11target_archE1030ELNS1_3gpuE2ELNS1_3repE0EEENS1_30default_config_static_selectorELNS0_4arch9wavefront6targetE0EEEvT1_.private_seg_size, 0
	.set _ZN7rocprim17ROCPRIM_400000_NS6detail17trampoline_kernelINS0_14default_configENS1_35adjacent_difference_config_selectorILb1ElEEZNS1_24adjacent_difference_implIS3_Lb1ELb0EPlS7_ZN2at6native12_GLOBAL__N_124unique_dim_cuda_templateIiEESt5tupleIJNS8_6TensorESD_SD_EERKSD_lbbbEUlllE1_EE10hipError_tPvRmT2_T3_mT4_P12ihipStream_tbEUlT_E_NS1_11comp_targetILNS1_3genE8ELNS1_11target_archE1030ELNS1_3gpuE2ELNS1_3repE0EEENS1_30default_config_static_selectorELNS0_4arch9wavefront6targetE0EEEvT1_.uses_vcc, 0
	.set _ZN7rocprim17ROCPRIM_400000_NS6detail17trampoline_kernelINS0_14default_configENS1_35adjacent_difference_config_selectorILb1ElEEZNS1_24adjacent_difference_implIS3_Lb1ELb0EPlS7_ZN2at6native12_GLOBAL__N_124unique_dim_cuda_templateIiEESt5tupleIJNS8_6TensorESD_SD_EERKSD_lbbbEUlllE1_EE10hipError_tPvRmT2_T3_mT4_P12ihipStream_tbEUlT_E_NS1_11comp_targetILNS1_3genE8ELNS1_11target_archE1030ELNS1_3gpuE2ELNS1_3repE0EEENS1_30default_config_static_selectorELNS0_4arch9wavefront6targetE0EEEvT1_.uses_flat_scratch, 0
	.set _ZN7rocprim17ROCPRIM_400000_NS6detail17trampoline_kernelINS0_14default_configENS1_35adjacent_difference_config_selectorILb1ElEEZNS1_24adjacent_difference_implIS3_Lb1ELb0EPlS7_ZN2at6native12_GLOBAL__N_124unique_dim_cuda_templateIiEESt5tupleIJNS8_6TensorESD_SD_EERKSD_lbbbEUlllE1_EE10hipError_tPvRmT2_T3_mT4_P12ihipStream_tbEUlT_E_NS1_11comp_targetILNS1_3genE8ELNS1_11target_archE1030ELNS1_3gpuE2ELNS1_3repE0EEENS1_30default_config_static_selectorELNS0_4arch9wavefront6targetE0EEEvT1_.has_dyn_sized_stack, 0
	.set _ZN7rocprim17ROCPRIM_400000_NS6detail17trampoline_kernelINS0_14default_configENS1_35adjacent_difference_config_selectorILb1ElEEZNS1_24adjacent_difference_implIS3_Lb1ELb0EPlS7_ZN2at6native12_GLOBAL__N_124unique_dim_cuda_templateIiEESt5tupleIJNS8_6TensorESD_SD_EERKSD_lbbbEUlllE1_EE10hipError_tPvRmT2_T3_mT4_P12ihipStream_tbEUlT_E_NS1_11comp_targetILNS1_3genE8ELNS1_11target_archE1030ELNS1_3gpuE2ELNS1_3repE0EEENS1_30default_config_static_selectorELNS0_4arch9wavefront6targetE0EEEvT1_.has_recursion, 0
	.set _ZN7rocprim17ROCPRIM_400000_NS6detail17trampoline_kernelINS0_14default_configENS1_35adjacent_difference_config_selectorILb1ElEEZNS1_24adjacent_difference_implIS3_Lb1ELb0EPlS7_ZN2at6native12_GLOBAL__N_124unique_dim_cuda_templateIiEESt5tupleIJNS8_6TensorESD_SD_EERKSD_lbbbEUlllE1_EE10hipError_tPvRmT2_T3_mT4_P12ihipStream_tbEUlT_E_NS1_11comp_targetILNS1_3genE8ELNS1_11target_archE1030ELNS1_3gpuE2ELNS1_3repE0EEENS1_30default_config_static_selectorELNS0_4arch9wavefront6targetE0EEEvT1_.has_indirect_call, 0
	.section	.AMDGPU.csdata,"",@progbits
; Kernel info:
; codeLenInByte = 0
; TotalNumSgprs: 0
; NumVgprs: 0
; ScratchSize: 0
; MemoryBound: 0
; FloatMode: 240
; IeeeMode: 1
; LDSByteSize: 0 bytes/workgroup (compile time only)
; SGPRBlocks: 0
; VGPRBlocks: 0
; NumSGPRsForWavesPerEU: 1
; NumVGPRsForWavesPerEU: 1
; NamedBarCnt: 0
; Occupancy: 16
; WaveLimiterHint : 0
; COMPUTE_PGM_RSRC2:SCRATCH_EN: 0
; COMPUTE_PGM_RSRC2:USER_SGPR: 2
; COMPUTE_PGM_RSRC2:TRAP_HANDLER: 0
; COMPUTE_PGM_RSRC2:TGID_X_EN: 1
; COMPUTE_PGM_RSRC2:TGID_Y_EN: 0
; COMPUTE_PGM_RSRC2:TGID_Z_EN: 0
; COMPUTE_PGM_RSRC2:TIDIG_COMP_CNT: 0
	.section	.text._ZN7rocprim17ROCPRIM_400000_NS6detail17trampoline_kernelINS0_14default_configENS1_25partition_config_selectorILNS1_17partition_subalgoE8ElNS0_10empty_typeEbEEZZNS1_14partition_implILS5_8ELb0ES3_jPlPS6_PKS6_NS0_5tupleIJS9_S6_EEENSD_IJSA_SA_EEENS0_18inequality_wrapperIZN2at6native12_GLOBAL__N_124unique_dim_cuda_templateIiEESt5tupleIJNSH_6TensorESM_SM_EERKSM_lbbbEUlllE0_EEPmJS6_EEE10hipError_tPvRmT3_T4_T5_T6_T7_T9_mT8_P12ihipStream_tbDpT10_ENKUlT_T0_E_clISt17integral_constantIbLb0EES1C_EEDaS17_S18_EUlS17_E_NS1_11comp_targetILNS1_3genE0ELNS1_11target_archE4294967295ELNS1_3gpuE0ELNS1_3repE0EEENS1_30default_config_static_selectorELNS0_4arch9wavefront6targetE0EEEvT1_,"axG",@progbits,_ZN7rocprim17ROCPRIM_400000_NS6detail17trampoline_kernelINS0_14default_configENS1_25partition_config_selectorILNS1_17partition_subalgoE8ElNS0_10empty_typeEbEEZZNS1_14partition_implILS5_8ELb0ES3_jPlPS6_PKS6_NS0_5tupleIJS9_S6_EEENSD_IJSA_SA_EEENS0_18inequality_wrapperIZN2at6native12_GLOBAL__N_124unique_dim_cuda_templateIiEESt5tupleIJNSH_6TensorESM_SM_EERKSM_lbbbEUlllE0_EEPmJS6_EEE10hipError_tPvRmT3_T4_T5_T6_T7_T9_mT8_P12ihipStream_tbDpT10_ENKUlT_T0_E_clISt17integral_constantIbLb0EES1C_EEDaS17_S18_EUlS17_E_NS1_11comp_targetILNS1_3genE0ELNS1_11target_archE4294967295ELNS1_3gpuE0ELNS1_3repE0EEENS1_30default_config_static_selectorELNS0_4arch9wavefront6targetE0EEEvT1_,comdat
	.globl	_ZN7rocprim17ROCPRIM_400000_NS6detail17trampoline_kernelINS0_14default_configENS1_25partition_config_selectorILNS1_17partition_subalgoE8ElNS0_10empty_typeEbEEZZNS1_14partition_implILS5_8ELb0ES3_jPlPS6_PKS6_NS0_5tupleIJS9_S6_EEENSD_IJSA_SA_EEENS0_18inequality_wrapperIZN2at6native12_GLOBAL__N_124unique_dim_cuda_templateIiEESt5tupleIJNSH_6TensorESM_SM_EERKSM_lbbbEUlllE0_EEPmJS6_EEE10hipError_tPvRmT3_T4_T5_T6_T7_T9_mT8_P12ihipStream_tbDpT10_ENKUlT_T0_E_clISt17integral_constantIbLb0EES1C_EEDaS17_S18_EUlS17_E_NS1_11comp_targetILNS1_3genE0ELNS1_11target_archE4294967295ELNS1_3gpuE0ELNS1_3repE0EEENS1_30default_config_static_selectorELNS0_4arch9wavefront6targetE0EEEvT1_ ; -- Begin function _ZN7rocprim17ROCPRIM_400000_NS6detail17trampoline_kernelINS0_14default_configENS1_25partition_config_selectorILNS1_17partition_subalgoE8ElNS0_10empty_typeEbEEZZNS1_14partition_implILS5_8ELb0ES3_jPlPS6_PKS6_NS0_5tupleIJS9_S6_EEENSD_IJSA_SA_EEENS0_18inequality_wrapperIZN2at6native12_GLOBAL__N_124unique_dim_cuda_templateIiEESt5tupleIJNSH_6TensorESM_SM_EERKSM_lbbbEUlllE0_EEPmJS6_EEE10hipError_tPvRmT3_T4_T5_T6_T7_T9_mT8_P12ihipStream_tbDpT10_ENKUlT_T0_E_clISt17integral_constantIbLb0EES1C_EEDaS17_S18_EUlS17_E_NS1_11comp_targetILNS1_3genE0ELNS1_11target_archE4294967295ELNS1_3gpuE0ELNS1_3repE0EEENS1_30default_config_static_selectorELNS0_4arch9wavefront6targetE0EEEvT1_
	.p2align	8
	.type	_ZN7rocprim17ROCPRIM_400000_NS6detail17trampoline_kernelINS0_14default_configENS1_25partition_config_selectorILNS1_17partition_subalgoE8ElNS0_10empty_typeEbEEZZNS1_14partition_implILS5_8ELb0ES3_jPlPS6_PKS6_NS0_5tupleIJS9_S6_EEENSD_IJSA_SA_EEENS0_18inequality_wrapperIZN2at6native12_GLOBAL__N_124unique_dim_cuda_templateIiEESt5tupleIJNSH_6TensorESM_SM_EERKSM_lbbbEUlllE0_EEPmJS6_EEE10hipError_tPvRmT3_T4_T5_T6_T7_T9_mT8_P12ihipStream_tbDpT10_ENKUlT_T0_E_clISt17integral_constantIbLb0EES1C_EEDaS17_S18_EUlS17_E_NS1_11comp_targetILNS1_3genE0ELNS1_11target_archE4294967295ELNS1_3gpuE0ELNS1_3repE0EEENS1_30default_config_static_selectorELNS0_4arch9wavefront6targetE0EEEvT1_,@function
_ZN7rocprim17ROCPRIM_400000_NS6detail17trampoline_kernelINS0_14default_configENS1_25partition_config_selectorILNS1_17partition_subalgoE8ElNS0_10empty_typeEbEEZZNS1_14partition_implILS5_8ELb0ES3_jPlPS6_PKS6_NS0_5tupleIJS9_S6_EEENSD_IJSA_SA_EEENS0_18inequality_wrapperIZN2at6native12_GLOBAL__N_124unique_dim_cuda_templateIiEESt5tupleIJNSH_6TensorESM_SM_EERKSM_lbbbEUlllE0_EEPmJS6_EEE10hipError_tPvRmT3_T4_T5_T6_T7_T9_mT8_P12ihipStream_tbDpT10_ENKUlT_T0_E_clISt17integral_constantIbLb0EES1C_EEDaS17_S18_EUlS17_E_NS1_11comp_targetILNS1_3genE0ELNS1_11target_archE4294967295ELNS1_3gpuE0ELNS1_3repE0EEENS1_30default_config_static_selectorELNS0_4arch9wavefront6targetE0EEEvT1_: ; @_ZN7rocprim17ROCPRIM_400000_NS6detail17trampoline_kernelINS0_14default_configENS1_25partition_config_selectorILNS1_17partition_subalgoE8ElNS0_10empty_typeEbEEZZNS1_14partition_implILS5_8ELb0ES3_jPlPS6_PKS6_NS0_5tupleIJS9_S6_EEENSD_IJSA_SA_EEENS0_18inequality_wrapperIZN2at6native12_GLOBAL__N_124unique_dim_cuda_templateIiEESt5tupleIJNSH_6TensorESM_SM_EERKSM_lbbbEUlllE0_EEPmJS6_EEE10hipError_tPvRmT3_T4_T5_T6_T7_T9_mT8_P12ihipStream_tbDpT10_ENKUlT_T0_E_clISt17integral_constantIbLb0EES1C_EEDaS17_S18_EUlS17_E_NS1_11comp_targetILNS1_3genE0ELNS1_11target_archE4294967295ELNS1_3gpuE0ELNS1_3repE0EEENS1_30default_config_static_selectorELNS0_4arch9wavefront6targetE0EEEvT1_
; %bb.0:
	s_clause 0x3
	s_load_b128 s[4:7], s[0:1], 0x8
	s_load_b256 s[12:19], s[0:1], 0x40
	s_load_b32 s24, s[0:1], 0x70
	s_load_b128 s[8:11], s[0:1], 0x60
	s_bfe_u32 s20, ttmp6, 0x4000c
	s_and_b32 s2, ttmp6, 15
	s_add_co_i32 s20, s20, 1
	s_mov_b32 s3, 0
	s_mul_i32 s20, ttmp9, s20
	s_getreg_b32 s22, hwreg(HW_REG_IB_STS2, 6, 4)
	s_add_co_i32 s20, s2, s20
	s_mov_b32 s25, s3
	v_dual_mov_b32 v1, v0 :: v_dual_lshlrev_b32 v18, 3, v0
	s_mov_b32 s21, -1
	s_wait_kmcnt 0x0
	s_lshl_b64 s[26:27], s[6:7], 3
	s_load_b64 s[14:15], s[14:15], 0x0
	s_mul_i32 s2, s24, 0xe00
	s_cmp_eq_u32 s22, 0
	s_add_nc_u64 s[22:23], s[6:7], s[2:3]
	s_cselect_b32 s20, ttmp9, s20
	s_add_co_i32 s2, s2, s6
	v_cmp_le_u64_e64 s17, s[16:17], s[22:23]
	s_add_co_i32 s24, s24, -1
	s_sub_co_i32 s23, s16, s2
	s_cmp_eq_u32 s20, s24
	s_mul_i32 s24, s20, 0xe00
	s_cselect_b32 s16, -1, 0
	s_add_nc_u64 s[2:3], s[4:5], s[26:27]
	s_and_b32 s22, s16, s17
	s_lshl_b64 s[4:5], s[24:25], 3
	s_xor_b32 s17, s22, -1
	s_add_nc_u64 s[2:3], s[2:3], s[4:5]
	s_and_b32 vcc_lo, exec_lo, s17
	s_cbranch_vccz .LBB441_2
; %bb.1:
	s_clause 0x6
	global_load_b64 v[2:3], v0, s[2:3] scale_offset
	global_load_b64 v[4:5], v0, s[2:3] offset:4096 scale_offset
	global_load_b64 v[6:7], v0, s[2:3] offset:8192 scale_offset
	;; [unrolled: 1-line block ×6, first 2 shown]
	v_lshlrev_b32_e32 v16, 3, v0
	s_mov_b32 s21, 0
	s_wait_loadcnt 0x5
	ds_store_2addr_stride64_b64 v16, v[2:3], v[4:5] offset1:8
	s_wait_loadcnt 0x3
	ds_store_2addr_stride64_b64 v16, v[6:7], v[8:9] offset0:16 offset1:24
	s_wait_loadcnt 0x1
	ds_store_2addr_stride64_b64 v16, v[10:11], v[12:13] offset0:32 offset1:40
	s_wait_loadcnt 0x0
	ds_store_b64 v16, v[14:15] offset:24576
	s_wait_dscnt 0x0
	s_barrier_signal -1
	s_barrier_wait -1
.LBB441_2:
	s_and_not1_b32 vcc_lo, exec_lo, s21
	s_add_co_i32 s21, s23, 0xe00
	s_cbranch_vccnz .LBB441_18
; %bb.3:
	v_mov_b32_e32 v2, 0
	s_mov_b32 s4, exec_lo
	s_delay_alu instid0(VALU_DEP_1)
	v_dual_mov_b32 v3, v2 :: v_dual_mov_b32 v4, v2
	v_dual_mov_b32 v5, v2 :: v_dual_mov_b32 v6, v2
	;; [unrolled: 1-line block ×6, first 2 shown]
	v_mov_b32_e32 v15, v2
	v_cmpx_gt_u32_e64 s21, v0
	s_cbranch_execz .LBB441_5
; %bb.4:
	global_load_b64 v[4:5], v0, s[2:3] scale_offset
	v_dual_mov_b32 v6, v2 :: v_dual_mov_b32 v7, v2
	v_dual_mov_b32 v8, v2 :: v_dual_mov_b32 v9, v2
	;; [unrolled: 1-line block ×6, first 2 shown]
	s_wait_loadcnt 0x0
	v_mov_b64_e32 v[2:3], v[4:5]
	v_mov_b64_e32 v[4:5], v[6:7]
	v_mov_b64_e32 v[6:7], v[8:9]
	v_mov_b64_e32 v[8:9], v[10:11]
	v_mov_b64_e32 v[10:11], v[12:13]
	v_mov_b64_e32 v[12:13], v[14:15]
	v_mov_b64_e32 v[14:15], v[16:17]
	v_mov_b64_e32 v[16:17], v[18:19]
.LBB441_5:
	s_or_b32 exec_lo, exec_lo, s4
	v_or_b32_e32 v16, 0x200, v0
	s_mov_b32 s4, exec_lo
	s_delay_alu instid0(VALU_DEP_1)
	v_cmpx_gt_u32_e64 s21, v16
	s_cbranch_execz .LBB441_7
; %bb.6:
	global_load_b64 v[4:5], v0, s[2:3] offset:4096 scale_offset
.LBB441_7:
	s_wait_xcnt 0x0
	s_or_b32 exec_lo, exec_lo, s4
	v_or_b32_e32 v16, 0x400, v0
	s_mov_b32 s4, exec_lo
	s_delay_alu instid0(VALU_DEP_1)
	v_cmpx_gt_u32_e64 s21, v16
	s_cbranch_execz .LBB441_9
; %bb.8:
	global_load_b64 v[6:7], v0, s[2:3] offset:8192 scale_offset
.LBB441_9:
	s_wait_xcnt 0x0
	;; [unrolled: 10-line block ×6, first 2 shown]
	s_or_b32 exec_lo, exec_lo, s4
	v_lshlrev_b32_e32 v16, 3, v0
	s_wait_loadcnt 0x0
	ds_store_2addr_stride64_b64 v16, v[2:3], v[4:5] offset1:8
	ds_store_2addr_stride64_b64 v16, v[6:7], v[8:9] offset0:16 offset1:24
	ds_store_2addr_stride64_b64 v16, v[10:11], v[12:13] offset0:32 offset1:40
	ds_store_b64 v16, v[14:15] offset:24576
	s_wait_dscnt 0x0
	s_barrier_signal -1
	s_barrier_wait -1
.LBB441_18:
	v_mul_u32_u24_e32 v19, 7, v0
	s_cmp_lg_u32 s20, 0
	v_cmp_gt_i64_e64 s24, s[18:19], 0
	s_cselect_b32 s23, -1, 0
	v_lshlrev_b32_e32 v24, 3, v19
	s_cmp_lg_u64 s[6:7], 0
	s_mov_b32 s6, 0
	s_cselect_b32 s4, -1, 0
	ds_load_2addr_b64 v[10:13], v24 offset1:1
	ds_load_2addr_b64 v[6:9], v24 offset0:2 offset1:3
	ds_load_2addr_b64 v[2:5], v24 offset0:4 offset1:5
	ds_load_b64 v[14:15], v24 offset:48
	s_or_b32 s4, s23, s4
	s_wait_dscnt 0x0
	s_and_b32 vcc_lo, exec_lo, s4
	s_barrier_signal -1
	s_barrier_wait -1
	s_cbranch_vccz .LBB441_34
; %bb.19:
	s_add_nc_u64 s[2:3], s[2:3], -8
	v_cndmask_b32_e64 v25, 0, 1, s24
	s_load_b64 s[4:5], s[2:3], 0x0
	v_lshlrev_b32_e32 v26, 3, v0
	s_and_b32 vcc_lo, exec_lo, s17
	s_wait_xcnt 0x0
	v_cmp_ne_u32_e64 s2, 1, v25
	ds_store_b64 v26, v[14:15]
	s_cbranch_vccz .LBB441_36
; %bb.20:
	s_and_b32 vcc_lo, exec_lo, s2
	s_cbranch_vccnz .LBB441_37
; %bb.21:
	v_mul_u64_e32 v[16:17], s[18:19], v[4:5]
	v_mul_u64_e32 v[20:21], s[18:19], v[14:15]
	s_add_nc_u64 s[6:7], s[18:19], -1
	s_mov_b32 s26, 0
	s_mov_b64 s[2:3], s[6:7]
                                        ; implicit-def: $sgpr25
	s_delay_alu instid0(VALU_DEP_2) | instskip(NEXT) | instid1(VALU_DEP_2)
	v_lshl_add_u64 v[16:17], v[16:17], 2, s[8:9]
	v_lshl_add_u64 v[20:21], v[20:21], 2, s[8:9]
	s_delay_alu instid0(VALU_DEP_2)
	v_mov_b64_e32 v[22:23], v[16:17]
.LBB441_22:                             ; =>This Inner Loop Header: Depth=1
	global_load_b32 v27, v[22:23], off
	global_load_b32 v28, v[20:21], off
	s_cmp_eq_u64 s[2:3], 0
	s_add_nc_u64 s[28:29], s[2:3], -1
	s_cselect_b32 s3, -1, 0
	s_wait_xcnt 0x1
	v_add_nc_u64_e32 v[22:23], 4, v[22:23]
	s_wait_xcnt 0x0
	v_add_nc_u64_e32 v[20:21], 4, v[20:21]
	s_wait_loadcnt 0x0
	v_cmp_ne_u32_e32 vcc_lo, v27, v28
	v_cmp_eq_u32_e64 s2, v27, v28
	s_or_b32 s3, vcc_lo, s3
	s_delay_alu instid0(SALU_CYCLE_1) | instskip(NEXT) | instid1(SALU_CYCLE_1)
	s_and_b32 s3, exec_lo, s3
	s_or_b32 s26, s3, s26
	s_and_not1_b32 s25, s25, exec_lo
	s_and_b32 s27, s2, exec_lo
	s_mov_b64 s[2:3], s[28:29]
	s_or_b32 s25, s25, s27
	s_and_not1_b32 exec_lo, exec_lo, s26
	s_cbranch_execnz .LBB441_22
; %bb.23:
	s_or_b32 exec_lo, exec_lo, s26
	v_mul_u64_e32 v[20:21], s[18:19], v[2:3]
	s_mov_b32 s27, 0
	s_mov_b64 s[2:3], s[6:7]
                                        ; implicit-def: $sgpr26
	s_delay_alu instid0(VALU_DEP_1) | instskip(NEXT) | instid1(VALU_DEP_1)
	v_lshl_add_u64 v[20:21], v[20:21], 2, s[8:9]
	v_mov_b64_e32 v[22:23], v[20:21]
.LBB441_24:                             ; =>This Inner Loop Header: Depth=1
	global_load_b32 v27, v[22:23], off
	global_load_b32 v28, v[16:17], off
	s_cmp_eq_u64 s[2:3], 0
	s_add_nc_u64 s[28:29], s[2:3], -1
	s_cselect_b32 s3, -1, 0
	s_wait_xcnt 0x1
	v_add_nc_u64_e32 v[22:23], 4, v[22:23]
	s_wait_xcnt 0x0
	v_add_nc_u64_e32 v[16:17], 4, v[16:17]
	s_wait_loadcnt 0x0
	v_cmp_ne_u32_e32 vcc_lo, v27, v28
	v_cmp_eq_u32_e64 s2, v27, v28
	s_or_b32 s3, vcc_lo, s3
	s_delay_alu instid0(SALU_CYCLE_1) | instskip(NEXT) | instid1(SALU_CYCLE_1)
	s_and_b32 s3, exec_lo, s3
	s_or_b32 s27, s3, s27
	s_and_not1_b32 s26, s26, exec_lo
	s_and_b32 s30, s2, exec_lo
	s_mov_b64 s[2:3], s[28:29]
	s_or_b32 s26, s26, s30
	s_and_not1_b32 exec_lo, exec_lo, s27
	s_cbranch_execnz .LBB441_24
; %bb.25:
	s_or_b32 exec_lo, exec_lo, s27
	v_mul_u64_e32 v[16:17], s[18:19], v[8:9]
	s_mov_b32 s28, 0
	s_mov_b64 s[2:3], s[6:7]
                                        ; implicit-def: $sgpr27
	s_delay_alu instid0(VALU_DEP_1) | instskip(NEXT) | instid1(VALU_DEP_1)
	v_lshl_add_u64 v[16:17], v[16:17], 2, s[8:9]
	v_mov_b64_e32 v[22:23], v[16:17]
.LBB441_26:                             ; =>This Inner Loop Header: Depth=1
	global_load_b32 v27, v[22:23], off
	global_load_b32 v28, v[20:21], off
	s_cmp_eq_u64 s[2:3], 0
	s_add_nc_u64 s[30:31], s[2:3], -1
	s_cselect_b32 s3, -1, 0
	s_wait_xcnt 0x1
	v_add_nc_u64_e32 v[22:23], 4, v[22:23]
	s_wait_xcnt 0x0
	v_add_nc_u64_e32 v[20:21], 4, v[20:21]
	s_wait_loadcnt 0x0
	v_cmp_ne_u32_e32 vcc_lo, v27, v28
	v_cmp_eq_u32_e64 s2, v27, v28
	s_or_b32 s3, vcc_lo, s3
	s_delay_alu instid0(SALU_CYCLE_1) | instskip(NEXT) | instid1(SALU_CYCLE_1)
	s_and_b32 s3, exec_lo, s3
	s_or_b32 s28, s3, s28
	s_and_not1_b32 s27, s27, exec_lo
	s_and_b32 s29, s2, exec_lo
	s_mov_b64 s[2:3], s[30:31]
	s_or_b32 s27, s27, s29
	s_and_not1_b32 exec_lo, exec_lo, s28
	s_cbranch_execnz .LBB441_26
; %bb.27:
	s_or_b32 exec_lo, exec_lo, s28
	v_mul_u64_e32 v[20:21], s[18:19], v[6:7]
	s_mov_b32 s29, 0
	s_mov_b64 s[2:3], s[6:7]
                                        ; implicit-def: $sgpr28
	s_delay_alu instid0(VALU_DEP_1) | instskip(NEXT) | instid1(VALU_DEP_1)
	v_lshl_add_u64 v[20:21], v[20:21], 2, s[8:9]
	v_mov_b64_e32 v[22:23], v[20:21]
.LBB441_28:                             ; =>This Inner Loop Header: Depth=1
	global_load_b32 v27, v[22:23], off
	global_load_b32 v28, v[16:17], off
	s_cmp_eq_u64 s[2:3], 0
	s_add_nc_u64 s[30:31], s[2:3], -1
	s_cselect_b32 s3, -1, 0
	s_wait_xcnt 0x1
	v_add_nc_u64_e32 v[22:23], 4, v[22:23]
	s_wait_xcnt 0x0
	v_add_nc_u64_e32 v[16:17], 4, v[16:17]
	s_wait_loadcnt 0x0
	v_cmp_ne_u32_e32 vcc_lo, v27, v28
	v_cmp_eq_u32_e64 s2, v27, v28
	s_or_b32 s3, vcc_lo, s3
	s_delay_alu instid0(SALU_CYCLE_1) | instskip(NEXT) | instid1(SALU_CYCLE_1)
	s_and_b32 s3, exec_lo, s3
	s_or_b32 s29, s3, s29
	s_and_not1_b32 s28, s28, exec_lo
	s_and_b32 s33, s2, exec_lo
	s_mov_b64 s[2:3], s[30:31]
	s_or_b32 s28, s28, s33
	s_and_not1_b32 exec_lo, exec_lo, s29
	s_cbranch_execnz .LBB441_28
; %bb.29:
	s_or_b32 exec_lo, exec_lo, s29
	v_mul_u64_e32 v[16:17], s[18:19], v[12:13]
	s_mov_b32 s30, 0
	s_mov_b64 s[2:3], s[6:7]
                                        ; implicit-def: $sgpr29
	s_delay_alu instid0(VALU_DEP_1) | instskip(NEXT) | instid1(VALU_DEP_1)
	v_lshl_add_u64 v[16:17], v[16:17], 2, s[8:9]
	v_mov_b64_e32 v[22:23], v[16:17]
.LBB441_30:                             ; =>This Inner Loop Header: Depth=1
	global_load_b32 v27, v[22:23], off
	global_load_b32 v28, v[20:21], off
	s_cmp_eq_u64 s[2:3], 0
	s_add_nc_u64 s[34:35], s[2:3], -1
	s_cselect_b32 s3, -1, 0
	s_wait_xcnt 0x1
	v_add_nc_u64_e32 v[22:23], 4, v[22:23]
	s_wait_xcnt 0x0
	v_add_nc_u64_e32 v[20:21], 4, v[20:21]
	s_wait_loadcnt 0x0
	v_cmp_ne_u32_e32 vcc_lo, v27, v28
	v_cmp_eq_u32_e64 s2, v27, v28
	s_or_b32 s3, vcc_lo, s3
	s_delay_alu instid0(SALU_CYCLE_1) | instskip(NEXT) | instid1(SALU_CYCLE_1)
	s_and_b32 s3, exec_lo, s3
	s_or_b32 s30, s3, s30
	s_and_not1_b32 s29, s29, exec_lo
	s_and_b32 s31, s2, exec_lo
	s_mov_b64 s[2:3], s[34:35]
	s_or_b32 s29, s29, s31
	s_and_not1_b32 exec_lo, exec_lo, s30
	s_cbranch_execnz .LBB441_30
; %bb.31:
	s_or_b32 exec_lo, exec_lo, s30
	v_mul_u64_e32 v[20:21], s[18:19], v[10:11]
	s_mov_b32 s30, 0
                                        ; implicit-def: $sgpr3
	s_delay_alu instid0(VALU_DEP_1)
	v_lshl_add_u64 v[20:21], v[20:21], 2, s[8:9]
.LBB441_32:                             ; =>This Inner Loop Header: Depth=1
	global_load_b32 v22, v[20:21], off
	global_load_b32 v23, v[16:17], off
	s_cmp_eq_u64 s[6:7], 0
	s_add_nc_u64 s[34:35], s[6:7], -1
	s_cselect_b32 s6, -1, 0
	s_wait_xcnt 0x1
	v_add_nc_u64_e32 v[20:21], 4, v[20:21]
	s_wait_xcnt 0x0
	v_add_nc_u64_e32 v[16:17], 4, v[16:17]
	s_wait_loadcnt 0x0
	v_cmp_ne_u32_e32 vcc_lo, v22, v23
	v_cmp_eq_u32_e64 s2, v22, v23
	s_or_b32 s6, vcc_lo, s6
	s_delay_alu instid0(SALU_CYCLE_1) | instskip(NEXT) | instid1(SALU_CYCLE_1)
	s_and_b32 s6, exec_lo, s6
	s_or_b32 s30, s6, s30
	s_and_not1_b32 s3, s3, exec_lo
	s_and_b32 s2, s2, exec_lo
	s_mov_b64 s[6:7], s[34:35]
	s_or_b32 s3, s3, s2
	s_and_not1_b32 exec_lo, exec_lo, s30
	s_cbranch_execnz .LBB441_32
; %bb.33:
	s_or_b32 exec_lo, exec_lo, s30
	s_xor_b32 s2, s28, -1
	s_xor_b32 s3, s3, -1
	v_cndmask_b32_e64 v16, 0, 1, s2
	s_xor_b32 s2, s29, -1
	s_delay_alu instid0(SALU_CYCLE_1) | instskip(SKIP_1) | instid1(VALU_DEP_2)
	v_cndmask_b32_e64 v17, 0, 1, s2
	s_xor_b32 s2, s26, -1
	v_lshlrev_b16 v16, 8, v16
	v_cndmask_b32_e64 v31, 0, 1, s2
	s_xor_b32 s2, s25, -1
	s_delay_alu instid0(SALU_CYCLE_1) | instskip(NEXT) | instid1(VALU_DEP_3)
	v_cndmask_b32_e64 v30, 0, 1, s2
	v_lshrrev_b32_e32 v16, 8, v16
	s_xor_b32 s2, s27, -1
	s_delay_alu instid0(VALU_DEP_1) | instskip(NEXT) | instid1(VALU_DEP_1)
	v_and_b32_e32 v16, 1, v16
	v_lshlrev_b16 v16, 8, v16
	s_delay_alu instid0(VALU_DEP_1) | instskip(SKIP_1) | instid1(VALU_DEP_2)
	v_or_b32_e32 v16, v17, v16
	v_cndmask_b32_e64 v17, 0, 1, s2
	v_lshlrev_b32_e32 v16, 16, v16
	s_branch .LBB441_38
.LBB441_34:
                                        ; implicit-def: $sgpr2
                                        ; implicit-def: $vgpr30
                                        ; implicit-def: $vgpr31
                                        ; implicit-def: $vgpr17
                                        ; implicit-def: $vgpr21
	s_branch .LBB441_91
.LBB441_35:
                                        ; implicit-def: $vgpr33
                                        ; implicit-def: $vgpr32
                                        ; implicit-def: $vgpr20
	s_branch .LBB441_160
.LBB441_36:
                                        ; implicit-def: $sgpr2
                                        ; implicit-def: $vgpr30
                                        ; implicit-def: $vgpr31
                                        ; implicit-def: $vgpr17
                                        ; implicit-def: $vgpr21
	s_cbranch_execnz .LBB441_45
	s_branch .LBB441_90
.LBB441_37:
	v_dual_mov_b32 v16, 0 :: v_dual_mov_b32 v30, 0
	v_dual_mov_b32 v31, 0 :: v_dual_mov_b32 v17, 0
	s_mov_b32 s3, 0
.LBB441_38:
	s_wait_kmcnt 0x0
	v_mov_b64_e32 v[20:21], s[4:5]
	s_mov_b32 s2, 0
	s_mov_b32 s6, exec_lo
	s_wait_dscnt 0x0
	s_barrier_signal -1
	s_barrier_wait -1
	v_cmpx_ne_u32_e32 0, v0
; %bb.39:
	v_add_nc_u32_e32 v20, -8, v26
	ds_load_b64 v[20:21], v20
; %bb.40:
	s_or_b32 exec_lo, exec_lo, s6
	v_cndmask_b32_e64 v22, 0, 1, s3
	v_lshrrev_b32_e32 v23, 16, v16
	s_and_not1_b32 vcc_lo, exec_lo, s24
	s_delay_alu instid0(VALU_DEP_2) | instskip(NEXT) | instid1(VALU_DEP_1)
	v_lshlrev_b16 v22, 8, v22
	v_bitop3_b16 v22, v16, v22, 0xff bitop3:0xec
	s_delay_alu instid0(VALU_DEP_3) | instskip(NEXT) | instid1(VALU_DEP_2)
	v_perm_b32 v16, v23, v16, 0xc0c0304
	v_and_b32_e32 v27, 0xffff, v22
	s_cbranch_vccnz .LBB441_44
; %bb.41:
	s_wait_dscnt 0x0
	v_mul_u64_e32 v[20:21], s[18:19], v[20:21]
	v_mul_u64_e32 v[22:23], s[18:19], v[10:11]
	s_add_nc_u64 s[2:3], s[18:19], -1
	s_mov_b32 s6, 0
                                        ; implicit-def: $sgpr7
	s_delay_alu instid0(VALU_DEP_2) | instskip(NEXT) | instid1(VALU_DEP_2)
	v_lshl_add_u64 v[20:21], v[20:21], 2, s[8:9]
	v_lshl_add_u64 v[22:23], v[22:23], 2, s[8:9]
.LBB441_42:                             ; =>This Inner Loop Header: Depth=1
	global_load_b32 v28, v[20:21], off
	global_load_b32 v29, v[22:23], off
	s_cmp_eq_u64 s[2:3], 0
	s_add_nc_u64 s[26:27], s[2:3], -1
	s_cselect_b32 s3, -1, 0
	s_wait_xcnt 0x1
	v_add_nc_u64_e32 v[20:21], 4, v[20:21]
	s_wait_xcnt 0x0
	v_add_nc_u64_e32 v[22:23], 4, v[22:23]
	s_wait_loadcnt 0x0
	v_cmp_ne_u32_e32 vcc_lo, v28, v29
	v_cmp_eq_u32_e64 s2, v28, v29
	s_or_b32 s3, vcc_lo, s3
	s_delay_alu instid0(SALU_CYCLE_1) | instskip(NEXT) | instid1(SALU_CYCLE_1)
	s_and_b32 s3, exec_lo, s3
	s_or_b32 s6, s3, s6
	s_and_not1_b32 s7, s7, exec_lo
	s_and_b32 s25, s2, exec_lo
	s_mov_b64 s[2:3], s[26:27]
	s_or_b32 s7, s7, s25
	s_and_not1_b32 exec_lo, exec_lo, s6
	s_cbranch_execnz .LBB441_42
; %bb.43:
	s_or_b32 exec_lo, exec_lo, s6
	s_xor_b32 s2, s7, -1
.LBB441_44:
	s_wait_dscnt 0x0
	s_delay_alu instid0(VALU_DEP_1)
	v_lshl_or_b32 v21, v16, 16, v27
	s_branch .LBB441_90
.LBB441_45:
	v_add_nc_u32_e32 v16, 6, v19
	s_mov_b32 s7, 0
	s_mov_b32 s6, 0
	s_mov_b32 s25, exec_lo
	s_delay_alu instid0(VALU_DEP_1)
	v_cmpx_gt_u32_e64 s21, v16
	s_cbranch_execz .LBB441_51
; %bb.46:
	s_and_not1_b32 vcc_lo, exec_lo, s24
	s_mov_b32 s2, 0
	s_cbranch_vccnz .LBB441_50
; %bb.47:
	v_mul_u64_e32 v[16:17], s[18:19], v[4:5]
	v_mul_u64_e32 v[20:21], s[18:19], v[14:15]
	s_add_nc_u64 s[2:3], s[18:19], -1
                                        ; implicit-def: $sgpr24
	s_delay_alu instid0(VALU_DEP_2) | instskip(NEXT) | instid1(VALU_DEP_2)
	v_lshl_add_u64 v[16:17], v[16:17], 2, s[8:9]
	v_lshl_add_u64 v[20:21], v[20:21], 2, s[8:9]
.LBB441_48:                             ; =>This Inner Loop Header: Depth=1
	global_load_b32 v22, v[16:17], off
	global_load_b32 v23, v[20:21], off
	s_cmp_eq_u64 s[2:3], 0
	s_add_nc_u64 s[26:27], s[2:3], -1
	s_cselect_b32 s3, -1, 0
	s_wait_xcnt 0x1
	v_add_nc_u64_e32 v[16:17], 4, v[16:17]
	s_wait_xcnt 0x0
	v_add_nc_u64_e32 v[20:21], 4, v[20:21]
	s_wait_loadcnt 0x0
	v_cmp_ne_u32_e32 vcc_lo, v22, v23
	v_cmp_eq_u32_e64 s2, v22, v23
	s_or_b32 s3, vcc_lo, s3
	s_delay_alu instid0(SALU_CYCLE_1) | instskip(NEXT) | instid1(SALU_CYCLE_1)
	s_and_b32 s3, exec_lo, s3
	s_or_b32 s6, s3, s6
	s_and_not1_b32 s24, s24, exec_lo
	s_and_b32 s28, s2, exec_lo
	s_mov_b64 s[2:3], s[26:27]
	s_or_b32 s24, s24, s28
	s_and_not1_b32 exec_lo, exec_lo, s6
	s_cbranch_execnz .LBB441_48
; %bb.49:
	s_or_b32 exec_lo, exec_lo, s6
	s_xor_b32 s2, s24, -1
.LBB441_50:
	s_delay_alu instid0(SALU_CYCLE_1)
	s_and_b32 s6, s2, exec_lo
.LBB441_51:
	s_or_b32 exec_lo, exec_lo, s25
	v_add_nc_u32_e32 v16, 5, v19
	s_mov_b32 s24, exec_lo
	s_delay_alu instid0(VALU_DEP_1)
	v_cmpx_gt_u32_e64 s21, v16
	s_cbranch_execz .LBB441_57
; %bb.52:
	v_cmp_ne_u32_e32 vcc_lo, 1, v25
	s_mov_b32 s2, 0
	s_cbranch_vccnz .LBB441_56
; %bb.53:
	v_mul_u64_e32 v[16:17], s[18:19], v[2:3]
	v_mul_u64_e32 v[20:21], s[18:19], v[4:5]
	s_add_nc_u64 s[2:3], s[18:19], -1
	s_mov_b32 s7, 0
                                        ; implicit-def: $sgpr25
	s_delay_alu instid0(VALU_DEP_2) | instskip(NEXT) | instid1(VALU_DEP_2)
	v_lshl_add_u64 v[16:17], v[16:17], 2, s[8:9]
	v_lshl_add_u64 v[20:21], v[20:21], 2, s[8:9]
.LBB441_54:                             ; =>This Inner Loop Header: Depth=1
	global_load_b32 v22, v[16:17], off
	global_load_b32 v23, v[20:21], off
	s_cmp_eq_u64 s[2:3], 0
	s_add_nc_u64 s[26:27], s[2:3], -1
	s_cselect_b32 s3, -1, 0
	s_wait_xcnt 0x1
	v_add_nc_u64_e32 v[16:17], 4, v[16:17]
	s_wait_xcnt 0x0
	v_add_nc_u64_e32 v[20:21], 4, v[20:21]
	s_wait_loadcnt 0x0
	v_cmp_ne_u32_e32 vcc_lo, v22, v23
	v_cmp_eq_u32_e64 s2, v22, v23
	s_or_b32 s3, vcc_lo, s3
	s_delay_alu instid0(SALU_CYCLE_1) | instskip(NEXT) | instid1(SALU_CYCLE_1)
	s_and_b32 s3, exec_lo, s3
	s_or_b32 s7, s3, s7
	s_and_not1_b32 s25, s25, exec_lo
	s_and_b32 s28, s2, exec_lo
	s_mov_b64 s[2:3], s[26:27]
	s_or_b32 s25, s25, s28
	s_and_not1_b32 exec_lo, exec_lo, s7
	s_cbranch_execnz .LBB441_54
; %bb.55:
	s_or_b32 exec_lo, exec_lo, s7
	s_xor_b32 s2, s25, -1
.LBB441_56:
	s_delay_alu instid0(SALU_CYCLE_1)
	s_and_b32 s7, s2, exec_lo
.LBB441_57:
	s_or_b32 exec_lo, exec_lo, s24
	v_add_nc_u32_e32 v16, 4, v19
	s_mov_b32 s25, 0
	s_mov_b32 s24, 0
	s_mov_b32 s26, exec_lo
	s_delay_alu instid0(VALU_DEP_1)
	v_cmpx_gt_u32_e64 s21, v16
	s_cbranch_execz .LBB441_63
; %bb.58:
	v_cmp_ne_u32_e32 vcc_lo, 1, v25
	s_mov_b32 s2, 0
	s_cbranch_vccnz .LBB441_62
; %bb.59:
	v_mul_u64_e32 v[16:17], s[18:19], v[8:9]
	v_mul_u64_e32 v[20:21], s[18:19], v[2:3]
	s_add_nc_u64 s[2:3], s[18:19], -1
                                        ; implicit-def: $sgpr27
	s_delay_alu instid0(VALU_DEP_2) | instskip(NEXT) | instid1(VALU_DEP_2)
	v_lshl_add_u64 v[16:17], v[16:17], 2, s[8:9]
	v_lshl_add_u64 v[20:21], v[20:21], 2, s[8:9]
.LBB441_60:                             ; =>This Inner Loop Header: Depth=1
	global_load_b32 v22, v[16:17], off
	global_load_b32 v23, v[20:21], off
	s_cmp_eq_u64 s[2:3], 0
	s_add_nc_u64 s[28:29], s[2:3], -1
	s_cselect_b32 s3, -1, 0
	s_wait_xcnt 0x1
	v_add_nc_u64_e32 v[16:17], 4, v[16:17]
	s_wait_xcnt 0x0
	v_add_nc_u64_e32 v[20:21], 4, v[20:21]
	s_wait_loadcnt 0x0
	v_cmp_ne_u32_e32 vcc_lo, v22, v23
	v_cmp_eq_u32_e64 s2, v22, v23
	s_or_b32 s3, vcc_lo, s3
	s_delay_alu instid0(SALU_CYCLE_1) | instskip(NEXT) | instid1(SALU_CYCLE_1)
	s_and_b32 s3, exec_lo, s3
	s_or_b32 s24, s3, s24
	s_and_not1_b32 s27, s27, exec_lo
	s_and_b32 s30, s2, exec_lo
	s_mov_b64 s[2:3], s[28:29]
	s_or_b32 s27, s27, s30
	s_and_not1_b32 exec_lo, exec_lo, s24
	s_cbranch_execnz .LBB441_60
; %bb.61:
	s_or_b32 exec_lo, exec_lo, s24
	s_xor_b32 s2, s27, -1
.LBB441_62:
	s_delay_alu instid0(SALU_CYCLE_1)
	s_and_b32 s24, s2, exec_lo
.LBB441_63:
	s_or_b32 exec_lo, exec_lo, s26
	v_add_nc_u32_e32 v16, 3, v19
	s_mov_b32 s26, exec_lo
	s_delay_alu instid0(VALU_DEP_1)
	v_cmpx_gt_u32_e64 s21, v16
	s_cbranch_execz .LBB441_69
; %bb.64:
	v_cmp_ne_u32_e32 vcc_lo, 1, v25
	s_mov_b32 s2, 0
	s_cbranch_vccnz .LBB441_68
; %bb.65:
	v_mul_u64_e32 v[16:17], s[18:19], v[6:7]
	v_mul_u64_e32 v[20:21], s[18:19], v[8:9]
	s_add_nc_u64 s[2:3], s[18:19], -1
	s_mov_b32 s25, 0
                                        ; implicit-def: $sgpr27
	s_delay_alu instid0(VALU_DEP_2) | instskip(NEXT) | instid1(VALU_DEP_2)
	v_lshl_add_u64 v[16:17], v[16:17], 2, s[8:9]
	v_lshl_add_u64 v[20:21], v[20:21], 2, s[8:9]
.LBB441_66:                             ; =>This Inner Loop Header: Depth=1
	global_load_b32 v22, v[16:17], off
	global_load_b32 v23, v[20:21], off
	s_cmp_eq_u64 s[2:3], 0
	s_add_nc_u64 s[28:29], s[2:3], -1
	s_cselect_b32 s3, -1, 0
	s_wait_xcnt 0x1
	v_add_nc_u64_e32 v[16:17], 4, v[16:17]
	s_wait_xcnt 0x0
	v_add_nc_u64_e32 v[20:21], 4, v[20:21]
	s_wait_loadcnt 0x0
	v_cmp_ne_u32_e32 vcc_lo, v22, v23
	v_cmp_eq_u32_e64 s2, v22, v23
	s_or_b32 s3, vcc_lo, s3
	s_delay_alu instid0(SALU_CYCLE_1) | instskip(NEXT) | instid1(SALU_CYCLE_1)
	s_and_b32 s3, exec_lo, s3
	s_or_b32 s25, s3, s25
	s_and_not1_b32 s27, s27, exec_lo
	s_and_b32 s30, s2, exec_lo
	s_mov_b64 s[2:3], s[28:29]
	s_or_b32 s27, s27, s30
	s_and_not1_b32 exec_lo, exec_lo, s25
	s_cbranch_execnz .LBB441_66
; %bb.67:
	s_or_b32 exec_lo, exec_lo, s25
	s_xor_b32 s2, s27, -1
.LBB441_68:
	s_delay_alu instid0(SALU_CYCLE_1)
	s_and_b32 s25, s2, exec_lo
.LBB441_69:
	s_or_b32 exec_lo, exec_lo, s26
	v_add_nc_u32_e32 v16, 2, v19
	s_mov_b32 s26, 0
	s_mov_b32 s27, 0
	s_mov_b32 s28, exec_lo
	s_delay_alu instid0(VALU_DEP_1)
	v_cmpx_gt_u32_e64 s21, v16
	s_cbranch_execz .LBB441_75
; %bb.70:
	v_cmp_ne_u32_e32 vcc_lo, 1, v25
	s_mov_b32 s2, 0
	s_cbranch_vccnz .LBB441_74
; %bb.71:
	v_mul_u64_e32 v[16:17], s[18:19], v[12:13]
	v_mul_u64_e32 v[20:21], s[18:19], v[6:7]
	s_add_nc_u64 s[2:3], s[18:19], -1
                                        ; implicit-def: $sgpr29
	s_delay_alu instid0(VALU_DEP_2) | instskip(NEXT) | instid1(VALU_DEP_2)
	v_lshl_add_u64 v[16:17], v[16:17], 2, s[8:9]
	v_lshl_add_u64 v[20:21], v[20:21], 2, s[8:9]
.LBB441_72:                             ; =>This Inner Loop Header: Depth=1
	global_load_b32 v22, v[16:17], off
	global_load_b32 v23, v[20:21], off
	s_cmp_eq_u64 s[2:3], 0
	s_add_nc_u64 s[30:31], s[2:3], -1
	s_cselect_b32 s3, -1, 0
	s_wait_xcnt 0x1
	v_add_nc_u64_e32 v[16:17], 4, v[16:17]
	s_wait_xcnt 0x0
	v_add_nc_u64_e32 v[20:21], 4, v[20:21]
	s_wait_loadcnt 0x0
	v_cmp_ne_u32_e32 vcc_lo, v22, v23
	v_cmp_eq_u32_e64 s2, v22, v23
	s_or_b32 s3, vcc_lo, s3
	s_delay_alu instid0(SALU_CYCLE_1) | instskip(NEXT) | instid1(SALU_CYCLE_1)
	s_and_b32 s3, exec_lo, s3
	s_or_b32 s27, s3, s27
	s_and_not1_b32 s29, s29, exec_lo
	s_and_b32 s33, s2, exec_lo
	s_mov_b64 s[2:3], s[30:31]
	s_or_b32 s29, s29, s33
	s_and_not1_b32 exec_lo, exec_lo, s27
	s_cbranch_execnz .LBB441_72
; %bb.73:
	s_or_b32 exec_lo, exec_lo, s27
	s_xor_b32 s2, s29, -1
.LBB441_74:
	s_delay_alu instid0(SALU_CYCLE_1)
	s_and_b32 s27, s2, exec_lo
.LBB441_75:
	s_or_b32 exec_lo, exec_lo, s28
	v_add_nc_u32_e32 v16, 1, v19
	s_mov_b32 s28, exec_lo
	s_delay_alu instid0(VALU_DEP_1)
	v_cmpx_gt_u32_e64 s21, v16
	s_cbranch_execz .LBB441_81
; %bb.76:
	v_cmp_ne_u32_e32 vcc_lo, 1, v25
	s_mov_b32 s2, 0
	s_cbranch_vccnz .LBB441_80
; %bb.77:
	v_mul_u64_e32 v[16:17], s[18:19], v[10:11]
	v_mul_u64_e32 v[20:21], s[18:19], v[12:13]
	s_add_nc_u64 s[2:3], s[18:19], -1
	s_mov_b32 s26, 0
                                        ; implicit-def: $sgpr29
	s_delay_alu instid0(VALU_DEP_2) | instskip(NEXT) | instid1(VALU_DEP_2)
	v_lshl_add_u64 v[16:17], v[16:17], 2, s[8:9]
	v_lshl_add_u64 v[20:21], v[20:21], 2, s[8:9]
.LBB441_78:                             ; =>This Inner Loop Header: Depth=1
	global_load_b32 v22, v[16:17], off
	global_load_b32 v23, v[20:21], off
	s_cmp_eq_u64 s[2:3], 0
	s_add_nc_u64 s[30:31], s[2:3], -1
	s_cselect_b32 s3, -1, 0
	s_wait_xcnt 0x1
	v_add_nc_u64_e32 v[16:17], 4, v[16:17]
	s_wait_xcnt 0x0
	v_add_nc_u64_e32 v[20:21], 4, v[20:21]
	s_wait_loadcnt 0x0
	v_cmp_ne_u32_e32 vcc_lo, v22, v23
	v_cmp_eq_u32_e64 s2, v22, v23
	s_or_b32 s3, vcc_lo, s3
	s_delay_alu instid0(SALU_CYCLE_1) | instskip(NEXT) | instid1(SALU_CYCLE_1)
	s_and_b32 s3, exec_lo, s3
	s_or_b32 s26, s3, s26
	s_and_not1_b32 s29, s29, exec_lo
	s_and_b32 s33, s2, exec_lo
	s_mov_b64 s[2:3], s[30:31]
	s_or_b32 s29, s29, s33
	s_and_not1_b32 exec_lo, exec_lo, s26
	s_cbranch_execnz .LBB441_78
; %bb.79:
	s_or_b32 exec_lo, exec_lo, s26
	s_xor_b32 s2, s29, -1
.LBB441_80:
	s_delay_alu instid0(SALU_CYCLE_1)
	s_and_b32 s26, s2, exec_lo
.LBB441_81:
	s_or_b32 exec_lo, exec_lo, s28
	s_wait_kmcnt 0x0
	v_mov_b64_e32 v[16:17], s[4:5]
	s_mov_b32 s2, 0
	s_mov_b32 s3, exec_lo
	s_wait_dscnt 0x0
	s_barrier_signal -1
	s_barrier_wait -1
	v_cmpx_ne_u32_e32 0, v0
; %bb.82:
	v_add_nc_u32_e32 v16, -8, v26
	ds_load_b64 v[16:17], v16
; %bb.83:
	s_or_b32 exec_lo, exec_lo, s3
	v_cndmask_b32_e64 v20, 0, 1, s25
	v_cndmask_b32_e64 v21, 0, 1, s27
	;; [unrolled: 1-line block ×3, first 2 shown]
	s_mov_b32 s4, exec_lo
	s_delay_alu instid0(VALU_DEP_3) | instskip(NEXT) | instid1(VALU_DEP_2)
	v_lshlrev_b16 v20, 8, v20
	v_lshlrev_b16 v22, 8, v22
	s_delay_alu instid0(VALU_DEP_2) | instskip(NEXT) | instid1(VALU_DEP_2)
	v_or_b32_e32 v20, v21, v20
	v_and_b32_e32 v22, 0xffff, v22
	s_delay_alu instid0(VALU_DEP_2)
	v_lshlrev_b32_e32 v23, 16, v20
	v_cmpx_gt_u32_e64 s21, v19
	s_cbranch_execz .LBB441_89
; %bb.84:
	v_cmp_ne_u32_e32 vcc_lo, 1, v25
	s_cbranch_vccnz .LBB441_88
; %bb.85:
	s_wait_dscnt 0x0
	v_mul_u64_e32 v[16:17], s[18:19], v[16:17]
	v_mul_u64_e32 v[20:21], s[18:19], v[10:11]
	s_add_nc_u64 s[2:3], s[18:19], -1
	s_mov_b32 s5, 0
                                        ; implicit-def: $sgpr25
	s_delay_alu instid0(VALU_DEP_2) | instskip(NEXT) | instid1(VALU_DEP_2)
	v_lshl_add_u64 v[16:17], v[16:17], 2, s[8:9]
	v_lshl_add_u64 v[20:21], v[20:21], 2, s[8:9]
.LBB441_86:                             ; =>This Inner Loop Header: Depth=1
	global_load_b32 v25, v[16:17], off
	global_load_b32 v26, v[20:21], off
	s_cmp_eq_u64 s[2:3], 0
	s_add_nc_u64 s[26:27], s[2:3], -1
	s_cselect_b32 s3, -1, 0
	s_wait_xcnt 0x1
	v_add_nc_u64_e32 v[16:17], 4, v[16:17]
	s_wait_xcnt 0x0
	v_add_nc_u64_e32 v[20:21], 4, v[20:21]
	s_wait_loadcnt 0x0
	v_cmp_ne_u32_e32 vcc_lo, v25, v26
	v_cmp_eq_u32_e64 s2, v25, v26
	s_or_b32 s3, vcc_lo, s3
	s_delay_alu instid0(SALU_CYCLE_1) | instskip(NEXT) | instid1(SALU_CYCLE_1)
	s_and_b32 s3, exec_lo, s3
	s_or_b32 s5, s3, s5
	s_and_not1_b32 s25, s25, exec_lo
	s_and_b32 s28, s2, exec_lo
	s_mov_b64 s[2:3], s[26:27]
	s_or_b32 s25, s25, s28
	s_and_not1_b32 exec_lo, exec_lo, s5
	s_cbranch_execnz .LBB441_86
; %bb.87:
	s_or_b32 exec_lo, exec_lo, s5
	s_xor_b32 s2, s25, -1
.LBB441_88:
	s_delay_alu instid0(SALU_CYCLE_1)
	s_and_b32 s2, s2, exec_lo
.LBB441_89:
	s_or_b32 exec_lo, exec_lo, s4
	s_wait_dscnt 0x0
	v_cndmask_b32_e64 v17, 0, 1, s24
	v_cndmask_b32_e64 v31, 0, 1, s7
	;; [unrolled: 1-line block ×3, first 2 shown]
	v_or_b32_e32 v21, v22, v23
.LBB441_90:
	s_mov_b32 s6, -1
	s_cbranch_execnz .LBB441_35
.LBB441_91:
	v_cmp_gt_i64_e64 s7, s[18:19], 0
	v_mad_i32_i24 v26, 0xffffffd0, v0, v24
	s_and_b32 vcc_lo, exec_lo, s17
	ds_store_b64 v26, v[14:15]
	s_cbranch_vccz .LBB441_106
; %bb.92:
	s_and_not1_b32 vcc_lo, exec_lo, s7
	s_cbranch_vccnz .LBB441_107
; %bb.93:
	v_mul_u64_e32 v[16:17], s[18:19], v[4:5]
	v_mul_u64_e32 v[20:21], s[18:19], v[14:15]
	s_wait_kmcnt 0x0
	s_add_nc_u64 s[4:5], s[18:19], -1
	s_mov_b32 s25, 0
	s_mov_b64 s[2:3], s[4:5]
                                        ; implicit-def: $sgpr24
	s_delay_alu instid0(VALU_DEP_2) | instskip(NEXT) | instid1(VALU_DEP_2)
	v_lshl_add_u64 v[16:17], v[16:17], 2, s[8:9]
	v_lshl_add_u64 v[20:21], v[20:21], 2, s[8:9]
	s_delay_alu instid0(VALU_DEP_2)
	v_mov_b64_e32 v[22:23], v[16:17]
.LBB441_94:                             ; =>This Inner Loop Header: Depth=1
	global_load_b32 v24, v[22:23], off
	global_load_b32 v25, v[20:21], off
	s_cmp_eq_u64 s[2:3], 0
	s_add_nc_u64 s[26:27], s[2:3], -1
	s_cselect_b32 s3, -1, 0
	s_wait_xcnt 0x1
	v_add_nc_u64_e32 v[22:23], 4, v[22:23]
	s_wait_xcnt 0x0
	v_add_nc_u64_e32 v[20:21], 4, v[20:21]
	s_wait_loadcnt 0x0
	v_cmp_ne_u32_e32 vcc_lo, v24, v25
	v_cmp_eq_u32_e64 s2, v24, v25
	s_or_b32 s3, vcc_lo, s3
	s_delay_alu instid0(SALU_CYCLE_1) | instskip(NEXT) | instid1(SALU_CYCLE_1)
	s_and_b32 s3, exec_lo, s3
	s_or_b32 s25, s3, s25
	s_and_not1_b32 s24, s24, exec_lo
	s_and_b32 s28, s2, exec_lo
	s_mov_b64 s[2:3], s[26:27]
	s_or_b32 s24, s24, s28
	s_and_not1_b32 exec_lo, exec_lo, s25
	s_cbranch_execnz .LBB441_94
; %bb.95:
	s_or_b32 exec_lo, exec_lo, s25
	v_mul_u64_e32 v[20:21], s[18:19], v[2:3]
	s_mov_b32 s26, 0
	s_mov_b64 s[2:3], s[4:5]
                                        ; implicit-def: $sgpr25
	s_delay_alu instid0(VALU_DEP_1) | instskip(NEXT) | instid1(VALU_DEP_1)
	v_lshl_add_u64 v[20:21], v[20:21], 2, s[8:9]
	v_mov_b64_e32 v[22:23], v[20:21]
.LBB441_96:                             ; =>This Inner Loop Header: Depth=1
	global_load_b32 v24, v[22:23], off
	global_load_b32 v25, v[16:17], off
	s_cmp_eq_u64 s[2:3], 0
	s_add_nc_u64 s[28:29], s[2:3], -1
	s_cselect_b32 s3, -1, 0
	s_wait_xcnt 0x1
	v_add_nc_u64_e32 v[22:23], 4, v[22:23]
	s_wait_xcnt 0x0
	v_add_nc_u64_e32 v[16:17], 4, v[16:17]
	s_wait_loadcnt 0x0
	v_cmp_ne_u32_e32 vcc_lo, v24, v25
	v_cmp_eq_u32_e64 s2, v24, v25
	s_or_b32 s3, vcc_lo, s3
	s_delay_alu instid0(SALU_CYCLE_1) | instskip(NEXT) | instid1(SALU_CYCLE_1)
	s_and_b32 s3, exec_lo, s3
	s_or_b32 s26, s3, s26
	s_and_not1_b32 s25, s25, exec_lo
	s_and_b32 s27, s2, exec_lo
	s_mov_b64 s[2:3], s[28:29]
	s_or_b32 s25, s25, s27
	s_and_not1_b32 exec_lo, exec_lo, s26
	s_cbranch_execnz .LBB441_96
; %bb.97:
	s_or_b32 exec_lo, exec_lo, s26
	v_mul_u64_e32 v[16:17], s[18:19], v[8:9]
	s_mov_b32 s27, 0
	s_mov_b64 s[2:3], s[4:5]
                                        ; implicit-def: $sgpr26
	s_delay_alu instid0(VALU_DEP_1) | instskip(NEXT) | instid1(VALU_DEP_1)
	v_lshl_add_u64 v[16:17], v[16:17], 2, s[8:9]
	v_mov_b64_e32 v[22:23], v[16:17]
.LBB441_98:                             ; =>This Inner Loop Header: Depth=1
	global_load_b32 v24, v[22:23], off
	global_load_b32 v25, v[20:21], off
	s_cmp_eq_u64 s[2:3], 0
	s_add_nc_u64 s[28:29], s[2:3], -1
	s_cselect_b32 s3, -1, 0
	s_wait_xcnt 0x1
	v_add_nc_u64_e32 v[22:23], 4, v[22:23]
	s_wait_xcnt 0x0
	v_add_nc_u64_e32 v[20:21], 4, v[20:21]
	s_wait_loadcnt 0x0
	v_cmp_ne_u32_e32 vcc_lo, v24, v25
	v_cmp_eq_u32_e64 s2, v24, v25
	s_or_b32 s3, vcc_lo, s3
	s_delay_alu instid0(SALU_CYCLE_1) | instskip(NEXT) | instid1(SALU_CYCLE_1)
	s_and_b32 s3, exec_lo, s3
	s_or_b32 s27, s3, s27
	s_and_not1_b32 s26, s26, exec_lo
	s_and_b32 s30, s2, exec_lo
	s_mov_b64 s[2:3], s[28:29]
	s_or_b32 s26, s26, s30
	s_and_not1_b32 exec_lo, exec_lo, s27
	s_cbranch_execnz .LBB441_98
; %bb.99:
	s_or_b32 exec_lo, exec_lo, s27
	v_mul_u64_e32 v[20:21], s[18:19], v[6:7]
	s_mov_b32 s28, 0
	s_mov_b64 s[2:3], s[4:5]
                                        ; implicit-def: $sgpr27
	s_delay_alu instid0(VALU_DEP_1) | instskip(NEXT) | instid1(VALU_DEP_1)
	v_lshl_add_u64 v[20:21], v[20:21], 2, s[8:9]
	v_mov_b64_e32 v[22:23], v[20:21]
.LBB441_100:                            ; =>This Inner Loop Header: Depth=1
	global_load_b32 v24, v[22:23], off
	global_load_b32 v25, v[16:17], off
	s_cmp_eq_u64 s[2:3], 0
	s_add_nc_u64 s[30:31], s[2:3], -1
	s_cselect_b32 s3, -1, 0
	s_wait_xcnt 0x1
	v_add_nc_u64_e32 v[22:23], 4, v[22:23]
	s_wait_xcnt 0x0
	v_add_nc_u64_e32 v[16:17], 4, v[16:17]
	s_wait_loadcnt 0x0
	v_cmp_ne_u32_e32 vcc_lo, v24, v25
	v_cmp_eq_u32_e64 s2, v24, v25
	s_or_b32 s3, vcc_lo, s3
	s_delay_alu instid0(SALU_CYCLE_1) | instskip(NEXT) | instid1(SALU_CYCLE_1)
	s_and_b32 s3, exec_lo, s3
	s_or_b32 s28, s3, s28
	s_and_not1_b32 s27, s27, exec_lo
	s_and_b32 s29, s2, exec_lo
	s_mov_b64 s[2:3], s[30:31]
	s_or_b32 s27, s27, s29
	s_and_not1_b32 exec_lo, exec_lo, s28
	s_cbranch_execnz .LBB441_100
; %bb.101:
	s_or_b32 exec_lo, exec_lo, s28
	v_mul_u64_e32 v[16:17], s[18:19], v[12:13]
	s_mov_b32 s29, 0
	s_mov_b64 s[2:3], s[4:5]
                                        ; implicit-def: $sgpr28
	s_delay_alu instid0(VALU_DEP_1) | instskip(NEXT) | instid1(VALU_DEP_1)
	v_lshl_add_u64 v[16:17], v[16:17], 2, s[8:9]
	v_mov_b64_e32 v[22:23], v[16:17]
.LBB441_102:                            ; =>This Inner Loop Header: Depth=1
	global_load_b32 v24, v[22:23], off
	global_load_b32 v25, v[20:21], off
	s_cmp_eq_u64 s[2:3], 0
	s_add_nc_u64 s[30:31], s[2:3], -1
	s_cselect_b32 s3, -1, 0
	s_wait_xcnt 0x1
	v_add_nc_u64_e32 v[22:23], 4, v[22:23]
	s_wait_xcnt 0x0
	v_add_nc_u64_e32 v[20:21], 4, v[20:21]
	s_wait_loadcnt 0x0
	v_cmp_ne_u32_e32 vcc_lo, v24, v25
	v_cmp_eq_u32_e64 s2, v24, v25
	s_or_b32 s3, vcc_lo, s3
	s_delay_alu instid0(SALU_CYCLE_1) | instskip(NEXT) | instid1(SALU_CYCLE_1)
	s_and_b32 s3, exec_lo, s3
	s_or_b32 s29, s3, s29
	s_and_not1_b32 s28, s28, exec_lo
	s_and_b32 s33, s2, exec_lo
	s_mov_b64 s[2:3], s[30:31]
	s_or_b32 s28, s28, s33
	s_and_not1_b32 exec_lo, exec_lo, s29
	s_cbranch_execnz .LBB441_102
; %bb.103:
	s_or_b32 exec_lo, exec_lo, s29
	v_mul_u64_e32 v[20:21], s[18:19], v[10:11]
	s_mov_b32 s29, 0
                                        ; implicit-def: $sgpr3
	s_delay_alu instid0(VALU_DEP_1)
	v_lshl_add_u64 v[20:21], v[20:21], 2, s[8:9]
.LBB441_104:                            ; =>This Inner Loop Header: Depth=1
	global_load_b32 v22, v[20:21], off
	global_load_b32 v23, v[16:17], off
	s_cmp_eq_u64 s[4:5], 0
	s_add_nc_u64 s[30:31], s[4:5], -1
	s_cselect_b32 s4, -1, 0
	s_wait_xcnt 0x1
	v_add_nc_u64_e32 v[20:21], 4, v[20:21]
	s_wait_xcnt 0x0
	v_add_nc_u64_e32 v[16:17], 4, v[16:17]
	s_wait_loadcnt 0x0
	v_cmp_ne_u32_e32 vcc_lo, v22, v23
	v_cmp_eq_u32_e64 s2, v22, v23
	s_or_b32 s4, vcc_lo, s4
	s_delay_alu instid0(SALU_CYCLE_1) | instskip(NEXT) | instid1(SALU_CYCLE_1)
	s_and_b32 s4, exec_lo, s4
	s_or_b32 s29, s4, s29
	s_and_not1_b32 s3, s3, exec_lo
	s_and_b32 s2, s2, exec_lo
	s_mov_b64 s[4:5], s[30:31]
	s_or_b32 s3, s3, s2
	s_and_not1_b32 exec_lo, exec_lo, s29
	s_cbranch_execnz .LBB441_104
; %bb.105:
	s_or_b32 exec_lo, exec_lo, s29
	s_xor_b32 s2, s27, -1
	s_delay_alu instid0(SALU_CYCLE_1) | instskip(SKIP_1) | instid1(SALU_CYCLE_1)
	v_cndmask_b32_e64 v16, 0, 1, s2
	s_xor_b32 s2, s28, -1
	v_cndmask_b32_e64 v17, 0, 1, s2
	s_xor_b32 s2, s25, -1
	s_delay_alu instid0(VALU_DEP_2) | instskip(SKIP_2) | instid1(SALU_CYCLE_1)
	v_lshlrev_b16 v16, 8, v16
	v_cndmask_b32_e64 v31, 0, 1, s2
	s_xor_b32 s2, s24, -1
	v_cndmask_b32_e64 v30, 0, 1, s2
	s_delay_alu instid0(VALU_DEP_3) | instskip(SKIP_1) | instid1(VALU_DEP_1)
	v_lshrrev_b32_e32 v16, 8, v16
	s_xor_b32 s2, s26, -1
	v_and_b32_e32 v16, 1, v16
	s_delay_alu instid0(VALU_DEP_1) | instskip(NEXT) | instid1(VALU_DEP_1)
	v_lshlrev_b16 v16, 8, v16
	v_or_b32_e32 v16, v17, v16
	v_cndmask_b32_e64 v17, 0, 1, s2
	s_xor_b32 s2, s3, -1
	s_delay_alu instid0(VALU_DEP_2)
	v_lshlrev_b32_e32 v16, 16, v16
	s_branch .LBB441_108
.LBB441_106:
	s_wait_kmcnt 0x0
                                        ; implicit-def: $sgpr2
                                        ; implicit-def: $vgpr30
                                        ; implicit-def: $vgpr31
                                        ; implicit-def: $vgpr17
                                        ; implicit-def: $vgpr21
                                        ; implicit-def: $vgpr33
                                        ; implicit-def: $vgpr32
                                        ; implicit-def: $vgpr20
	s_cbranch_execnz .LBB441_115
	s_branch .LBB441_160
.LBB441_107:
	v_dual_mov_b32 v16, 0 :: v_dual_mov_b32 v30, 0
	v_dual_mov_b32 v31, 0 :: v_dual_mov_b32 v17, 0
	s_mov_b32 s2, 0
.LBB441_108:
	s_delay_alu instid0(VALU_DEP_1)
	v_dual_lshrrev_b32 v32, 16, v16 :: v_dual_lshrrev_b32 v20, 24, v16
	v_cndmask_b32_e64 v33, 0, 1, s2
	v_mov_b32_e32 v16, 1
	s_wait_kmcnt 0x0
	s_mov_b32 s4, 0
	s_wait_dscnt 0x0
	s_barrier_signal -1
	s_barrier_wait -1
                                        ; implicit-def: $sgpr2
                                        ; implicit-def: $vgpr21
	s_mov_b32 s3, exec_lo
	v_cmpx_ne_u32_e32 0, v0
	s_xor_b32 s5, exec_lo, s3
	s_cbranch_execz .LBB441_114
; %bb.109:
	v_lshlrev_b16 v21, 8, v20
	v_lshlrev_b16 v22, 8, v33
	s_and_not1_b32 vcc_lo, exec_lo, s7
	s_mov_b32 s2, 0
	s_delay_alu instid0(VALU_DEP_2) | instskip(NEXT) | instid1(VALU_DEP_1)
	v_bitop3_b16 v21, v32, v21, 0xff bitop3:0xec
	v_dual_lshlrev_b32 v21, 16, v21 :: v_dual_bitop2_b32 v22, 1, v22 bitop3:0x54
	s_delay_alu instid0(VALU_DEP_1) | instskip(NEXT) | instid1(VALU_DEP_1)
	v_and_b32_e32 v22, 0xffff, v22
	v_or_b32_e32 v21, v22, v21
	s_cbranch_vccnz .LBB441_113
; %bb.110:
	v_add_nc_u32_e32 v22, -8, v26
	v_mul_u64_e32 v[24:25], s[18:19], v[10:11]
	s_add_nc_u64 s[2:3], s[18:19], -1
	s_mov_b32 s24, 0
                                        ; implicit-def: $sgpr25
	ds_load_b64 v[22:23], v22
	s_wait_dscnt 0x0
	v_mul_u64_e32 v[22:23], s[18:19], v[22:23]
	v_lshl_add_u64 v[24:25], v[24:25], 2, s[8:9]
	s_delay_alu instid0(VALU_DEP_2)
	v_lshl_add_u64 v[22:23], v[22:23], 2, s[8:9]
.LBB441_111:                            ; =>This Inner Loop Header: Depth=1
	global_load_b32 v27, v[22:23], off
	global_load_b32 v28, v[24:25], off
	s_cmp_eq_u64 s[2:3], 0
	s_add_nc_u64 s[26:27], s[2:3], -1
	s_cselect_b32 s3, -1, 0
	s_wait_xcnt 0x1
	v_add_nc_u64_e32 v[22:23], 4, v[22:23]
	s_wait_xcnt 0x0
	v_add_nc_u64_e32 v[24:25], 4, v[24:25]
	s_wait_loadcnt 0x0
	v_cmp_ne_u32_e32 vcc_lo, v27, v28
	v_cmp_eq_u32_e64 s2, v27, v28
	s_or_b32 s3, vcc_lo, s3
	s_delay_alu instid0(SALU_CYCLE_1) | instskip(NEXT) | instid1(SALU_CYCLE_1)
	s_and_b32 s3, exec_lo, s3
	s_or_b32 s24, s3, s24
	s_and_not1_b32 s25, s25, exec_lo
	s_and_b32 s28, s2, exec_lo
	s_mov_b64 s[2:3], s[26:27]
	s_or_b32 s25, s25, s28
	s_and_not1_b32 exec_lo, exec_lo, s24
	s_cbranch_execnz .LBB441_111
; %bb.112:
	s_or_b32 exec_lo, exec_lo, s24
	s_xor_b32 s2, s25, -1
.LBB441_113:
	s_delay_alu instid0(VALU_DEP_1)
	v_perm_b32 v21, v21, v21, 0x3020104
	s_or_b32 s6, s6, exec_lo
.LBB441_114:
	s_or_b32 exec_lo, exec_lo, s5
	s_delay_alu instid0(SALU_CYCLE_1)
	s_and_b32 vcc_lo, exec_lo, s4
	s_cbranch_vccz .LBB441_160
.LBB441_115:
	v_add_nc_u32_e32 v16, 6, v19
	s_mov_b32 s5, 0
	s_mov_b32 s4, 0
	s_mov_b32 s24, exec_lo
	s_delay_alu instid0(VALU_DEP_1)
	v_cmpx_gt_u32_e64 s21, v16
	s_cbranch_execz .LBB441_121
; %bb.116:
	s_and_not1_b32 vcc_lo, exec_lo, s7
	s_mov_b32 s2, 0
	s_cbranch_vccnz .LBB441_120
; %bb.117:
	v_mul_u64_e32 v[16:17], s[18:19], v[4:5]
	v_mul_u64_e32 v[20:21], s[18:19], v[14:15]
	s_add_nc_u64 s[2:3], s[18:19], -1
                                        ; implicit-def: $sgpr25
	s_delay_alu instid0(VALU_DEP_2) | instskip(NEXT) | instid1(VALU_DEP_2)
	v_lshl_add_u64 v[16:17], v[16:17], 2, s[8:9]
	v_lshl_add_u64 v[20:21], v[20:21], 2, s[8:9]
.LBB441_118:                            ; =>This Inner Loop Header: Depth=1
	global_load_b32 v22, v[16:17], off
	global_load_b32 v23, v[20:21], off
	s_cmp_eq_u64 s[2:3], 0
	s_add_nc_u64 s[26:27], s[2:3], -1
	s_cselect_b32 s3, -1, 0
	s_wait_xcnt 0x1
	v_add_nc_u64_e32 v[16:17], 4, v[16:17]
	s_wait_xcnt 0x0
	v_add_nc_u64_e32 v[20:21], 4, v[20:21]
	s_wait_loadcnt 0x0
	v_cmp_ne_u32_e32 vcc_lo, v22, v23
	v_cmp_eq_u32_e64 s2, v22, v23
	s_or_b32 s3, vcc_lo, s3
	s_delay_alu instid0(SALU_CYCLE_1) | instskip(NEXT) | instid1(SALU_CYCLE_1)
	s_and_b32 s3, exec_lo, s3
	s_or_b32 s4, s3, s4
	s_and_not1_b32 s25, s25, exec_lo
	s_and_b32 s28, s2, exec_lo
	s_mov_b64 s[2:3], s[26:27]
	s_or_b32 s25, s25, s28
	s_and_not1_b32 exec_lo, exec_lo, s4
	s_cbranch_execnz .LBB441_118
; %bb.119:
	s_or_b32 exec_lo, exec_lo, s4
	s_xor_b32 s2, s25, -1
.LBB441_120:
	s_delay_alu instid0(SALU_CYCLE_1)
	s_and_b32 s4, s2, exec_lo
.LBB441_121:
	s_or_b32 exec_lo, exec_lo, s24
	v_add_nc_u32_e32 v16, 5, v19
	s_mov_b32 s24, exec_lo
	s_delay_alu instid0(VALU_DEP_1)
	v_cmpx_gt_u32_e64 s21, v16
	s_cbranch_execz .LBB441_127
; %bb.122:
	s_and_not1_b32 vcc_lo, exec_lo, s7
	s_mov_b32 s2, 0
	s_cbranch_vccnz .LBB441_126
; %bb.123:
	v_mul_u64_e32 v[16:17], s[18:19], v[2:3]
	v_mul_u64_e32 v[20:21], s[18:19], v[4:5]
	s_add_nc_u64 s[2:3], s[18:19], -1
	s_mov_b32 s5, 0
                                        ; implicit-def: $sgpr25
	s_delay_alu instid0(VALU_DEP_2) | instskip(NEXT) | instid1(VALU_DEP_2)
	v_lshl_add_u64 v[16:17], v[16:17], 2, s[8:9]
	v_lshl_add_u64 v[20:21], v[20:21], 2, s[8:9]
.LBB441_124:                            ; =>This Inner Loop Header: Depth=1
	global_load_b32 v22, v[16:17], off
	global_load_b32 v23, v[20:21], off
	s_cmp_eq_u64 s[2:3], 0
	s_add_nc_u64 s[26:27], s[2:3], -1
	s_cselect_b32 s3, -1, 0
	s_wait_xcnt 0x1
	v_add_nc_u64_e32 v[16:17], 4, v[16:17]
	s_wait_xcnt 0x0
	v_add_nc_u64_e32 v[20:21], 4, v[20:21]
	s_wait_loadcnt 0x0
	v_cmp_ne_u32_e32 vcc_lo, v22, v23
	v_cmp_eq_u32_e64 s2, v22, v23
	s_or_b32 s3, vcc_lo, s3
	s_delay_alu instid0(SALU_CYCLE_1) | instskip(NEXT) | instid1(SALU_CYCLE_1)
	s_and_b32 s3, exec_lo, s3
	s_or_b32 s5, s3, s5
	s_and_not1_b32 s25, s25, exec_lo
	s_and_b32 s28, s2, exec_lo
	s_mov_b64 s[2:3], s[26:27]
	s_or_b32 s25, s25, s28
	s_and_not1_b32 exec_lo, exec_lo, s5
	s_cbranch_execnz .LBB441_124
; %bb.125:
	s_or_b32 exec_lo, exec_lo, s5
	s_xor_b32 s2, s25, -1
.LBB441_126:
	s_delay_alu instid0(SALU_CYCLE_1)
	s_and_b32 s5, s2, exec_lo
.LBB441_127:
	s_or_b32 exec_lo, exec_lo, s24
	v_add_nc_u32_e32 v16, 4, v19
	s_mov_b32 s24, 0
	s_mov_b32 s25, 0
	s_mov_b32 s26, exec_lo
	s_delay_alu instid0(VALU_DEP_1)
	v_cmpx_gt_u32_e64 s21, v16
	s_cbranch_execz .LBB441_133
; %bb.128:
	s_and_not1_b32 vcc_lo, exec_lo, s7
	s_mov_b32 s2, 0
	s_cbranch_vccnz .LBB441_132
; %bb.129:
	v_mul_u64_e32 v[16:17], s[18:19], v[8:9]
	v_mul_u64_e32 v[20:21], s[18:19], v[2:3]
	s_add_nc_u64 s[2:3], s[18:19], -1
                                        ; implicit-def: $sgpr27
	s_delay_alu instid0(VALU_DEP_2) | instskip(NEXT) | instid1(VALU_DEP_2)
	v_lshl_add_u64 v[16:17], v[16:17], 2, s[8:9]
	v_lshl_add_u64 v[20:21], v[20:21], 2, s[8:9]
.LBB441_130:                            ; =>This Inner Loop Header: Depth=1
	global_load_b32 v22, v[16:17], off
	global_load_b32 v23, v[20:21], off
	s_cmp_eq_u64 s[2:3], 0
	s_add_nc_u64 s[28:29], s[2:3], -1
	s_cselect_b32 s3, -1, 0
	s_wait_xcnt 0x1
	v_add_nc_u64_e32 v[16:17], 4, v[16:17]
	s_wait_xcnt 0x0
	v_add_nc_u64_e32 v[20:21], 4, v[20:21]
	s_wait_loadcnt 0x0
	v_cmp_ne_u32_e32 vcc_lo, v22, v23
	v_cmp_eq_u32_e64 s2, v22, v23
	s_or_b32 s3, vcc_lo, s3
	s_delay_alu instid0(SALU_CYCLE_1) | instskip(NEXT) | instid1(SALU_CYCLE_1)
	s_and_b32 s3, exec_lo, s3
	s_or_b32 s25, s3, s25
	s_and_not1_b32 s27, s27, exec_lo
	s_and_b32 s30, s2, exec_lo
	s_mov_b64 s[2:3], s[28:29]
	s_or_b32 s27, s27, s30
	s_and_not1_b32 exec_lo, exec_lo, s25
	s_cbranch_execnz .LBB441_130
; %bb.131:
	s_or_b32 exec_lo, exec_lo, s25
	s_xor_b32 s2, s27, -1
.LBB441_132:
	s_delay_alu instid0(SALU_CYCLE_1)
	s_and_b32 s25, s2, exec_lo
.LBB441_133:
	s_or_b32 exec_lo, exec_lo, s26
	v_add_nc_u32_e32 v16, 3, v19
	s_mov_b32 s26, exec_lo
	s_delay_alu instid0(VALU_DEP_1)
	v_cmpx_gt_u32_e64 s21, v16
	s_cbranch_execz .LBB441_139
; %bb.134:
	s_and_not1_b32 vcc_lo, exec_lo, s7
	s_mov_b32 s2, 0
	s_cbranch_vccnz .LBB441_138
; %bb.135:
	v_mul_u64_e32 v[16:17], s[18:19], v[6:7]
	v_mul_u64_e32 v[20:21], s[18:19], v[8:9]
	s_add_nc_u64 s[2:3], s[18:19], -1
	s_mov_b32 s24, 0
                                        ; implicit-def: $sgpr27
	s_delay_alu instid0(VALU_DEP_2) | instskip(NEXT) | instid1(VALU_DEP_2)
	v_lshl_add_u64 v[16:17], v[16:17], 2, s[8:9]
	v_lshl_add_u64 v[20:21], v[20:21], 2, s[8:9]
.LBB441_136:                            ; =>This Inner Loop Header: Depth=1
	global_load_b32 v22, v[16:17], off
	global_load_b32 v23, v[20:21], off
	s_cmp_eq_u64 s[2:3], 0
	s_add_nc_u64 s[28:29], s[2:3], -1
	s_cselect_b32 s3, -1, 0
	s_wait_xcnt 0x1
	v_add_nc_u64_e32 v[16:17], 4, v[16:17]
	s_wait_xcnt 0x0
	v_add_nc_u64_e32 v[20:21], 4, v[20:21]
	s_wait_loadcnt 0x0
	v_cmp_ne_u32_e32 vcc_lo, v22, v23
	v_cmp_eq_u32_e64 s2, v22, v23
	s_or_b32 s3, vcc_lo, s3
	s_delay_alu instid0(SALU_CYCLE_1) | instskip(NEXT) | instid1(SALU_CYCLE_1)
	s_and_b32 s3, exec_lo, s3
	s_or_b32 s24, s3, s24
	s_and_not1_b32 s27, s27, exec_lo
	s_and_b32 s30, s2, exec_lo
	s_mov_b64 s[2:3], s[28:29]
	s_or_b32 s27, s27, s30
	s_and_not1_b32 exec_lo, exec_lo, s24
	s_cbranch_execnz .LBB441_136
; %bb.137:
	s_or_b32 exec_lo, exec_lo, s24
	s_xor_b32 s2, s27, -1
.LBB441_138:
	s_delay_alu instid0(SALU_CYCLE_1)
	s_and_b32 s24, s2, exec_lo
.LBB441_139:
	s_or_b32 exec_lo, exec_lo, s26
	v_add_nc_u32_e32 v16, 2, v19
	s_mov_b32 s26, 0
	s_mov_b32 s27, 0
	s_mov_b32 s28, exec_lo
	s_delay_alu instid0(VALU_DEP_1)
	v_cmpx_gt_u32_e64 s21, v16
	s_cbranch_execz .LBB441_145
; %bb.140:
	s_and_not1_b32 vcc_lo, exec_lo, s7
	s_mov_b32 s2, 0
	s_cbranch_vccnz .LBB441_144
; %bb.141:
	v_mul_u64_e32 v[16:17], s[18:19], v[12:13]
	v_mul_u64_e32 v[20:21], s[18:19], v[6:7]
	s_add_nc_u64 s[2:3], s[18:19], -1
                                        ; implicit-def: $sgpr29
	s_delay_alu instid0(VALU_DEP_2) | instskip(NEXT) | instid1(VALU_DEP_2)
	v_lshl_add_u64 v[16:17], v[16:17], 2, s[8:9]
	v_lshl_add_u64 v[20:21], v[20:21], 2, s[8:9]
.LBB441_142:                            ; =>This Inner Loop Header: Depth=1
	global_load_b32 v22, v[16:17], off
	global_load_b32 v23, v[20:21], off
	s_cmp_eq_u64 s[2:3], 0
	s_add_nc_u64 s[30:31], s[2:3], -1
	s_cselect_b32 s3, -1, 0
	s_wait_xcnt 0x1
	v_add_nc_u64_e32 v[16:17], 4, v[16:17]
	s_wait_xcnt 0x0
	v_add_nc_u64_e32 v[20:21], 4, v[20:21]
	s_wait_loadcnt 0x0
	v_cmp_ne_u32_e32 vcc_lo, v22, v23
	v_cmp_eq_u32_e64 s2, v22, v23
	s_or_b32 s3, vcc_lo, s3
	s_delay_alu instid0(SALU_CYCLE_1) | instskip(NEXT) | instid1(SALU_CYCLE_1)
	s_and_b32 s3, exec_lo, s3
	s_or_b32 s27, s3, s27
	s_and_not1_b32 s29, s29, exec_lo
	s_and_b32 s33, s2, exec_lo
	s_mov_b64 s[2:3], s[30:31]
	s_or_b32 s29, s29, s33
	s_and_not1_b32 exec_lo, exec_lo, s27
	s_cbranch_execnz .LBB441_142
; %bb.143:
	s_or_b32 exec_lo, exec_lo, s27
	s_xor_b32 s2, s29, -1
.LBB441_144:
	s_delay_alu instid0(SALU_CYCLE_1)
	s_and_b32 s27, s2, exec_lo
.LBB441_145:
	s_or_b32 exec_lo, exec_lo, s28
	v_add_nc_u32_e32 v16, 1, v19
	s_mov_b32 s28, exec_lo
	s_delay_alu instid0(VALU_DEP_1)
	v_cmpx_gt_u32_e64 s21, v16
	s_cbranch_execz .LBB441_151
; %bb.146:
	s_and_not1_b32 vcc_lo, exec_lo, s7
	s_mov_b32 s2, 0
	s_cbranch_vccnz .LBB441_150
; %bb.147:
	v_mul_u64_e32 v[16:17], s[18:19], v[10:11]
	v_mul_u64_e32 v[20:21], s[18:19], v[12:13]
	s_add_nc_u64 s[2:3], s[18:19], -1
	s_mov_b32 s26, 0
                                        ; implicit-def: $sgpr29
	s_delay_alu instid0(VALU_DEP_2) | instskip(NEXT) | instid1(VALU_DEP_2)
	v_lshl_add_u64 v[16:17], v[16:17], 2, s[8:9]
	v_lshl_add_u64 v[20:21], v[20:21], 2, s[8:9]
.LBB441_148:                            ; =>This Inner Loop Header: Depth=1
	global_load_b32 v22, v[16:17], off
	global_load_b32 v23, v[20:21], off
	s_cmp_eq_u64 s[2:3], 0
	s_add_nc_u64 s[30:31], s[2:3], -1
	s_cselect_b32 s3, -1, 0
	s_wait_xcnt 0x1
	v_add_nc_u64_e32 v[16:17], 4, v[16:17]
	s_wait_xcnt 0x0
	v_add_nc_u64_e32 v[20:21], 4, v[20:21]
	s_wait_loadcnt 0x0
	v_cmp_ne_u32_e32 vcc_lo, v22, v23
	v_cmp_eq_u32_e64 s2, v22, v23
	s_or_b32 s3, vcc_lo, s3
	s_delay_alu instid0(SALU_CYCLE_1) | instskip(NEXT) | instid1(SALU_CYCLE_1)
	s_and_b32 s3, exec_lo, s3
	s_or_b32 s26, s3, s26
	s_and_not1_b32 s29, s29, exec_lo
	s_and_b32 s33, s2, exec_lo
	s_mov_b64 s[2:3], s[30:31]
	s_or_b32 s29, s29, s33
	s_and_not1_b32 exec_lo, exec_lo, s26
	s_cbranch_execnz .LBB441_148
; %bb.149:
	s_or_b32 exec_lo, exec_lo, s26
	s_xor_b32 s2, s29, -1
.LBB441_150:
	s_delay_alu instid0(SALU_CYCLE_1)
	s_and_b32 s26, s2, exec_lo
.LBB441_151:
	s_or_b32 exec_lo, exec_lo, s28
	v_cndmask_b32_e64 v17, 0, 1, s25
	v_cndmask_b32_e64 v31, 0, 1, s5
	;; [unrolled: 1-line block ×6, first 2 shown]
	v_mov_b32_e32 v16, 1
	s_mov_b32 s2, 0
	s_mov_b32 s4, exec_lo
	s_wait_dscnt 0x0
	s_barrier_signal -1
	s_barrier_wait -1
                                        ; implicit-def: $vgpr21
	v_cmpx_ne_u32_e32 0, v0
	s_cbranch_execz .LBB441_159
; %bb.152:
	v_lshlrev_b16 v21, 8, v33
	v_lshlrev_b16 v22, 8, v20
	s_mov_b32 s5, exec_lo
	s_delay_alu instid0(VALU_DEP_1) | instskip(NEXT) | instid1(VALU_DEP_1)
	v_or_b32_e32 v22, v32, v22
	v_dual_lshlrev_b32 v22, 16, v22 :: v_dual_bitop2_b32 v21, 1, v21 bitop3:0x54
	s_delay_alu instid0(VALU_DEP_1) | instskip(NEXT) | instid1(VALU_DEP_1)
	v_and_b32_e32 v21, 0xffff, v21
	v_or_b32_e32 v21, v21, v22
	v_cmpx_gt_u32_e64 s21, v19
	s_cbranch_execz .LBB441_158
; %bb.153:
	s_and_not1_b32 vcc_lo, exec_lo, s7
	s_cbranch_vccnz .LBB441_157
; %bb.154:
	v_add_nc_u32_e32 v22, -8, v26
	v_mul_u64_e32 v[24:25], s[18:19], v[10:11]
	s_add_nc_u64 s[2:3], s[18:19], -1
	s_mov_b32 s7, 0
	ds_load_b64 v[22:23], v22
	s_wait_dscnt 0x0
	v_mul_u64_e32 v[22:23], s[18:19], v[22:23]
	v_lshl_add_u64 v[24:25], v[24:25], 2, s[8:9]
	s_delay_alu instid0(VALU_DEP_2)
	v_lshl_add_u64 v[22:23], v[22:23], 2, s[8:9]
                                        ; implicit-def: $sgpr8
.LBB441_155:                            ; =>This Inner Loop Header: Depth=1
	global_load_b32 v26, v[22:23], off
	global_load_b32 v27, v[24:25], off
	s_cmp_eq_u64 s[2:3], 0
	s_add_nc_u64 s[18:19], s[2:3], -1
	s_cselect_b32 s3, -1, 0
	s_wait_xcnt 0x1
	v_add_nc_u64_e32 v[22:23], 4, v[22:23]
	s_wait_xcnt 0x0
	v_add_nc_u64_e32 v[24:25], 4, v[24:25]
	s_wait_loadcnt 0x0
	v_cmp_ne_u32_e32 vcc_lo, v26, v27
	v_cmp_eq_u32_e64 s2, v26, v27
	s_or_b32 s3, vcc_lo, s3
	s_delay_alu instid0(SALU_CYCLE_1) | instskip(NEXT) | instid1(SALU_CYCLE_1)
	s_and_b32 s3, exec_lo, s3
	s_or_b32 s7, s3, s7
	s_and_not1_b32 s8, s8, exec_lo
	s_and_b32 s9, s2, exec_lo
	s_mov_b64 s[2:3], s[18:19]
	s_or_b32 s8, s8, s9
	s_and_not1_b32 exec_lo, exec_lo, s7
	s_cbranch_execnz .LBB441_155
; %bb.156:
	s_or_b32 exec_lo, exec_lo, s7
	s_xor_b32 s2, s8, -1
.LBB441_157:
	s_delay_alu instid0(SALU_CYCLE_1)
	s_and_b32 s2, s2, exec_lo
.LBB441_158:
	s_or_b32 exec_lo, exec_lo, s5
	s_delay_alu instid0(VALU_DEP_2)
	v_perm_b32 v21, v21, v21, 0x3020104
	s_or_b32 s6, s6, exec_lo
.LBB441_159:
	s_or_b32 exec_lo, exec_lo, s4
.LBB441_160:
	s_and_saveexec_b32 s3, s6
; %bb.161:
	s_delay_alu instid0(VALU_DEP_1)
	v_dual_lshrrev_b32 v20, 24, v21 :: v_dual_lshrrev_b32 v32, 16, v21
	v_lshrrev_b32_e32 v33, 8, v21
	v_cndmask_b32_e64 v16, 0, 1, s2
; %bb.162:
	s_or_b32 exec_lo, exec_lo, s3
	s_delay_alu instid0(SALU_CYCLE_1)
	s_and_not1_b32 vcc_lo, exec_lo, s22
	s_cbranch_vccnz .LBB441_166
; %bb.163:
	s_delay_alu instid0(VALU_DEP_1)
	v_perm_b32 v16, v16, v33, 0xc0c0004
	v_perm_b32 v20, v32, v20, 0xc0c0004
	v_cmp_gt_u32_e32 vcc_lo, s21, v19
	v_and_b32_e32 v22, 0xff, v30
	v_perm_b32 v17, v17, v31, 0xc0c0004
	v_add_nc_u32_e32 v21, 1, v19
	v_lshl_or_b32 v16, v20, 16, v16
	s_delay_alu instid0(VALU_DEP_1) | instskip(NEXT) | instid1(VALU_DEP_3)
	v_dual_cndmask_b32 v20, 0, v16 :: v_dual_add_nc_u32 v23, 4, v19
	v_cmp_gt_u32_e32 vcc_lo, s21, v21
	v_dual_lshlrev_b32 v21, 16, v22 :: v_dual_add_nc_u32 v22, 2, v19
	s_delay_alu instid0(VALU_DEP_3) | instskip(NEXT) | instid1(VALU_DEP_1)
	v_and_b32_e32 v20, 0xff, v20
	v_cndmask_b32_e32 v20, v20, v16, vcc_lo
	s_delay_alu instid0(VALU_DEP_3) | instskip(NEXT) | instid1(VALU_DEP_2)
	v_cmp_gt_u32_e32 vcc_lo, s21, v22
	v_and_b32_e32 v20, 0xffff, v20
	v_or_b32_e32 v24, v17, v21
	v_bitop3_b32 v17, v17, 0xffff00, v21 bitop3:0xc8
	s_delay_alu instid0(VALU_DEP_3) | instskip(SKIP_1) | instid1(VALU_DEP_2)
	v_dual_cndmask_b32 v20, v20, v16 :: v_dual_add_nc_u32 v21, 5, v19
	v_cmp_gt_u32_e32 vcc_lo, s21, v23
	v_cmp_gt_u32_e64 s2, s21, v21
	s_delay_alu instid0(VALU_DEP_3) | instskip(SKIP_3) | instid1(VALU_DEP_2)
	v_and_b32_e32 v20, 0xffffff, v20
	v_dual_cndmask_b32 v17, v17, v24 :: v_dual_add_nc_u32 v22, 3, v19
	s_or_b32 vcc_lo, s2, vcc_lo
	v_add_nc_u32_e32 v19, 6, v19
	v_cmp_gt_u32_e64 s3, s21, v22
	s_delay_alu instid0(VALU_DEP_3) | instskip(NEXT) | instid1(VALU_DEP_2)
	v_and_b32_e32 v17, 0xffff00ff, v17
	v_cndmask_b32_e64 v20, v20, v16, s3
	s_delay_alu instid0(VALU_DEP_2) | instskip(SKIP_1) | instid1(VALU_DEP_1)
	v_cndmask_b32_e64 v17, v17, v24, s2
	s_mov_b32 s2, exec_lo
	v_dual_cndmask_b32 v16, v20, v16, vcc_lo :: v_dual_lshrrev_b32 v30, 16, v17
	v_lshrrev_b32_e32 v31, 8, v17
	s_delay_alu instid0(VALU_DEP_2)
	v_lshrrev_b64 v[20:21], 24, v[16:17]
	v_dual_lshrrev_b32 v32, 16, v16 :: v_dual_lshrrev_b32 v33, 8, v16
	v_cmpx_le_u32_e64 s21, v19
; %bb.164:
	v_mov_b32_e32 v30, 0
; %bb.165:
	s_or_b32 exec_lo, exec_lo, s2
.LBB441_166:
	s_delay_alu instid0(VALU_DEP_1)
	v_and_b32_e32 v19, 0xff, v16
	v_and_b32_e32 v21, 0xff, v33
	;; [unrolled: 1-line block ×5, first 2 shown]
	v_mbcnt_lo_u32_b32 v38, -1, 0
	v_and_b32_e32 v37, 0xff, v31
	v_add3_u32 v22, v21, v19, v34
	v_and_b32_e32 v23, 0xff, v30
	s_delay_alu instid0(VALU_DEP_4) | instskip(SKIP_1) | instid1(VALU_DEP_3)
	v_dual_lshrrev_b32 v39, 5, v0 :: v_dual_bitop2_b32 v24, 15, v38 bitop3:0x40
	s_and_b32 vcc_lo, exec_lo, s23
	v_add3_u32 v22, v22, v35, v36
	s_mov_b32 s8, -1
	s_wait_dscnt 0x0
	v_cmp_eq_u32_e64 s2, 0, v24
	s_wait_kmcnt 0x0
	v_cmp_lt_u32_e64 s4, 1, v24
	v_add3_u32 v40, v22, v37, v23
	v_and_b32_e32 v22, 16, v38
	v_or_b32_e32 v23, 31, v0
	v_cmp_lt_u32_e64 s5, 3, v24
	v_cmp_lt_u32_e64 s3, 7, v24
	s_barrier_signal -1
	v_cmp_eq_u32_e64 s7, 0, v22
	v_cmp_eq_u32_e64 s6, v0, v23
	s_barrier_wait -1
                                        ; implicit-def: $vgpr25
                                        ; implicit-def: $vgpr26
                                        ; implicit-def: $vgpr27
                                        ; implicit-def: $vgpr28
                                        ; implicit-def: $vgpr29
                                        ; implicit-def: $vgpr41
                                        ; implicit-def: $vgpr42
                                        ; implicit-def: $vgpr24
                                        ; implicit-def: $vgpr22
	s_cbranch_vccz .LBB441_193
; %bb.167:
	v_mov_b32_dpp v22, v40 row_shr:1 row_mask:0xf bank_mask:0xf
	s_delay_alu instid0(VALU_DEP_1) | instskip(NEXT) | instid1(VALU_DEP_1)
	v_cndmask_b32_e64 v22, v22, 0, s2
	v_add_nc_u32_e32 v22, v22, v40
	s_delay_alu instid0(VALU_DEP_1) | instskip(NEXT) | instid1(VALU_DEP_1)
	v_mov_b32_dpp v23, v22 row_shr:2 row_mask:0xf bank_mask:0xf
	v_cndmask_b32_e64 v23, 0, v23, s4
	s_delay_alu instid0(VALU_DEP_1) | instskip(NEXT) | instid1(VALU_DEP_1)
	v_add_nc_u32_e32 v22, v22, v23
	v_mov_b32_dpp v23, v22 row_shr:4 row_mask:0xf bank_mask:0xf
	s_delay_alu instid0(VALU_DEP_1) | instskip(NEXT) | instid1(VALU_DEP_1)
	v_cndmask_b32_e64 v23, 0, v23, s5
	v_add_nc_u32_e32 v22, v22, v23
	s_delay_alu instid0(VALU_DEP_1) | instskip(NEXT) | instid1(VALU_DEP_1)
	v_mov_b32_dpp v23, v22 row_shr:8 row_mask:0xf bank_mask:0xf
	v_cndmask_b32_e64 v23, 0, v23, s3
	s_delay_alu instid0(VALU_DEP_1) | instskip(SKIP_3) | instid1(VALU_DEP_1)
	v_add_nc_u32_e32 v22, v22, v23
	ds_swizzle_b32 v23, v22 offset:swizzle(BROADCAST,32,15)
	s_wait_dscnt 0x0
	v_cndmask_b32_e64 v23, v23, 0, s7
	v_add_nc_u32_e32 v22, v22, v23
	s_and_saveexec_b32 s8, s6
; %bb.168:
	v_lshlrev_b32_e32 v23, 2, v39
	ds_store_b32 v23, v22
; %bb.169:
	s_or_b32 exec_lo, exec_lo, s8
	s_delay_alu instid0(SALU_CYCLE_1)
	s_mov_b32 s8, exec_lo
	s_wait_dscnt 0x0
	s_barrier_signal -1
	s_barrier_wait -1
	v_cmpx_gt_u32_e32 16, v0
	s_cbranch_execz .LBB441_171
; %bb.170:
	v_lshlrev_b32_e32 v23, 2, v0
	ds_load_b32 v24, v23
	s_wait_dscnt 0x0
	v_mov_b32_dpp v25, v24 row_shr:1 row_mask:0xf bank_mask:0xf
	s_delay_alu instid0(VALU_DEP_1) | instskip(NEXT) | instid1(VALU_DEP_1)
	v_cndmask_b32_e64 v25, v25, 0, s2
	v_add_nc_u32_e32 v24, v25, v24
	s_delay_alu instid0(VALU_DEP_1) | instskip(NEXT) | instid1(VALU_DEP_1)
	v_mov_b32_dpp v25, v24 row_shr:2 row_mask:0xf bank_mask:0xf
	v_cndmask_b32_e64 v25, 0, v25, s4
	s_delay_alu instid0(VALU_DEP_1) | instskip(NEXT) | instid1(VALU_DEP_1)
	v_add_nc_u32_e32 v24, v24, v25
	v_mov_b32_dpp v25, v24 row_shr:4 row_mask:0xf bank_mask:0xf
	s_delay_alu instid0(VALU_DEP_1) | instskip(NEXT) | instid1(VALU_DEP_1)
	v_cndmask_b32_e64 v25, 0, v25, s5
	v_add_nc_u32_e32 v24, v24, v25
	s_delay_alu instid0(VALU_DEP_1) | instskip(NEXT) | instid1(VALU_DEP_1)
	v_mov_b32_dpp v25, v24 row_shr:8 row_mask:0xf bank_mask:0xf
	v_cndmask_b32_e64 v25, 0, v25, s3
	s_delay_alu instid0(VALU_DEP_1)
	v_add_nc_u32_e32 v24, v24, v25
	ds_store_b32 v23, v24
.LBB441_171:
	s_or_b32 exec_lo, exec_lo, s8
	s_delay_alu instid0(SALU_CYCLE_1)
	s_mov_b32 s9, exec_lo
	v_cmp_gt_u32_e32 vcc_lo, 32, v0
	s_wait_dscnt 0x0
	s_barrier_signal -1
	s_barrier_wait -1
                                        ; implicit-def: $vgpr41
	v_cmpx_lt_u32_e32 31, v0
	s_cbranch_execz .LBB441_173
; %bb.172:
	v_lshl_add_u32 v23, v39, 2, -4
	ds_load_b32 v41, v23
	s_wait_dscnt 0x0
	v_add_nc_u32_e32 v22, v41, v22
.LBB441_173:
	s_or_b32 exec_lo, exec_lo, s9
	v_sub_co_u32 v23, s8, v38, 1
	s_delay_alu instid0(VALU_DEP_1) | instskip(NEXT) | instid1(VALU_DEP_1)
	v_cmp_gt_i32_e64 s9, 0, v23
	v_cndmask_b32_e64 v23, v23, v38, s9
	s_delay_alu instid0(VALU_DEP_1)
	v_lshlrev_b32_e32 v23, 2, v23
	ds_bpermute_b32 v42, v23, v22
	s_and_saveexec_b32 s9, vcc_lo
	s_cbranch_execz .LBB441_192
; %bb.174:
	v_mov_b32_e32 v29, 0
	ds_load_b32 v22, v29 offset:60
	s_and_saveexec_b32 s18, s8
	s_cbranch_execz .LBB441_176
; %bb.175:
	s_add_co_i32 s19, s20, 32
	s_delay_alu instid0(SALU_CYCLE_1)
	v_dual_mov_b32 v23, 1 :: v_dual_mov_b32 v24, s19
	s_wait_dscnt 0x0
	global_store_b64 v24, v[22:23], s[10:11] scale_offset scope:SCOPE_DEV
.LBB441_176:
	s_wait_xcnt 0x0
	s_or_b32 exec_lo, exec_lo, s18
	v_xad_u32 v24, v38, -1, s20
	s_mov_b32 s19, 0
	s_mov_b32 s18, exec_lo
	s_delay_alu instid0(VALU_DEP_1) | instskip(SKIP_4) | instid1(VALU_DEP_1)
	v_add_nc_u32_e32 v28, 32, v24
	global_load_b64 v[26:27], v28, s[10:11] scale_offset scope:SCOPE_DEV
	s_wait_loadcnt 0x0
	v_and_b32_e32 v23, 0xff, v27
	s_wait_xcnt 0x0
	v_cmpx_eq_u16_e32 0, v23
	s_cbranch_execz .LBB441_180
; %bb.177:
	v_lshl_add_u64 v[28:29], v[28:29], 3, s[10:11]
.LBB441_178:                            ; =>This Inner Loop Header: Depth=1
	global_load_b64 v[26:27], v[28:29], off scope:SCOPE_DEV
	s_wait_loadcnt 0x0
	v_and_b32_e32 v23, 0xff, v27
	s_delay_alu instid0(VALU_DEP_1)
	v_cmp_ne_u16_e32 vcc_lo, 0, v23
	s_or_b32 s19, vcc_lo, s19
	s_wait_xcnt 0x0
	s_and_not1_b32 exec_lo, exec_lo, s19
	s_cbranch_execnz .LBB441_178
; %bb.179:
	s_or_b32 exec_lo, exec_lo, s19
.LBB441_180:
	s_delay_alu instid0(SALU_CYCLE_1)
	s_or_b32 exec_lo, exec_lo, s18
	v_cmp_ne_u32_e32 vcc_lo, 31, v38
	v_lshlrev_b32_e64 v44, v38, -1
	v_dual_add_nc_u32 v46, 2, v38 :: v_dual_add_nc_u32 v48, 4, v38
	v_dual_add_nc_u32 v50, 8, v38 :: v_dual_add_nc_u32 v52, 16, v38
	v_add_co_ci_u32_e64 v23, null, 0, v38, vcc_lo
	v_lshl_or_b32 v51, v38, 2, 64
	s_delay_alu instid0(VALU_DEP_2)
	v_lshlrev_b32_e32 v43, 2, v23
	v_and_b32_e32 v23, 0xff, v27
	ds_bpermute_b32 v25, v43, v26
	v_cmp_eq_u16_e32 vcc_lo, 2, v23
	v_and_or_b32 v23, vcc_lo, v44, 0x80000000
	v_cmp_gt_u32_e32 vcc_lo, 30, v38
	s_delay_alu instid0(VALU_DEP_2) | instskip(SKIP_1) | instid1(VALU_DEP_2)
	v_ctz_i32_b32_e32 v23, v23
	v_cndmask_b32_e64 v28, 0, 2, vcc_lo
	v_cmp_lt_u32_e32 vcc_lo, v38, v23
	s_delay_alu instid0(VALU_DEP_2)
	v_add_lshl_u32 v45, v28, v38, 2
	s_wait_dscnt 0x0
	v_cndmask_b32_e32 v25, 0, v25, vcc_lo
	v_cmp_gt_u32_e32 vcc_lo, 28, v38
	v_cndmask_b32_e64 v28, 0, 4, vcc_lo
	v_cmp_le_u32_e32 vcc_lo, v46, v23
	s_delay_alu instid0(VALU_DEP_4) | instskip(NEXT) | instid1(VALU_DEP_3)
	v_add_nc_u32_e32 v25, v25, v26
	v_add_lshl_u32 v47, v28, v38, 2
	ds_bpermute_b32 v26, v45, v25
	s_wait_dscnt 0x0
	v_cndmask_b32_e32 v26, 0, v26, vcc_lo
	v_cmp_gt_u32_e32 vcc_lo, 24, v38
	v_cndmask_b32_e64 v28, 0, 8, vcc_lo
	v_cmp_le_u32_e32 vcc_lo, v48, v23
	s_delay_alu instid0(VALU_DEP_4) | instskip(NEXT) | instid1(VALU_DEP_3)
	v_add_nc_u32_e32 v25, v25, v26
	v_add_lshl_u32 v49, v28, v38, 2
	ds_bpermute_b32 v26, v47, v25
	s_wait_dscnt 0x0
	v_cndmask_b32_e32 v26, 0, v26, vcc_lo
	v_cmp_le_u32_e32 vcc_lo, v50, v23
	s_delay_alu instid0(VALU_DEP_2) | instskip(SKIP_4) | instid1(VALU_DEP_2)
	v_add_nc_u32_e32 v25, v25, v26
	ds_bpermute_b32 v26, v49, v25
	s_wait_dscnt 0x0
	v_cndmask_b32_e32 v26, 0, v26, vcc_lo
	v_cmp_le_u32_e32 vcc_lo, v52, v23
	v_add_nc_u32_e32 v25, v25, v26
	ds_bpermute_b32 v26, v51, v25
	s_wait_dscnt 0x0
	v_cndmask_b32_e32 v23, 0, v26, vcc_lo
	s_delay_alu instid0(VALU_DEP_1)
	v_dual_mov_b32 v25, 0 :: v_dual_add_nc_u32 v26, v25, v23
	s_branch .LBB441_183
.LBB441_181:                            ;   in Loop: Header=BB441_183 Depth=1
	s_or_b32 exec_lo, exec_lo, s18
	v_and_b32_e32 v28, 0xff, v27
	ds_bpermute_b32 v29, v43, v26
	v_subrev_nc_u32_e32 v24, 32, v24
	s_mov_b32 s18, 0
	v_cmp_eq_u16_e32 vcc_lo, 2, v28
	v_and_or_b32 v28, vcc_lo, v44, 0x80000000
	s_delay_alu instid0(VALU_DEP_1) | instskip(NEXT) | instid1(VALU_DEP_1)
	v_ctz_i32_b32_e32 v28, v28
	v_cmp_lt_u32_e32 vcc_lo, v38, v28
	s_wait_dscnt 0x0
	v_cndmask_b32_e32 v29, 0, v29, vcc_lo
	v_cmp_le_u32_e32 vcc_lo, v46, v28
	s_delay_alu instid0(VALU_DEP_2) | instskip(SKIP_4) | instid1(VALU_DEP_2)
	v_add_nc_u32_e32 v26, v29, v26
	ds_bpermute_b32 v29, v45, v26
	s_wait_dscnt 0x0
	v_cndmask_b32_e32 v29, 0, v29, vcc_lo
	v_cmp_le_u32_e32 vcc_lo, v48, v28
	v_add_nc_u32_e32 v26, v26, v29
	ds_bpermute_b32 v29, v47, v26
	s_wait_dscnt 0x0
	v_cndmask_b32_e32 v29, 0, v29, vcc_lo
	v_cmp_le_u32_e32 vcc_lo, v50, v28
	s_delay_alu instid0(VALU_DEP_2) | instskip(SKIP_4) | instid1(VALU_DEP_2)
	v_add_nc_u32_e32 v26, v26, v29
	ds_bpermute_b32 v29, v49, v26
	s_wait_dscnt 0x0
	v_cndmask_b32_e32 v29, 0, v29, vcc_lo
	v_cmp_le_u32_e32 vcc_lo, v52, v28
	v_add_nc_u32_e32 v26, v26, v29
	ds_bpermute_b32 v29, v51, v26
	s_wait_dscnt 0x0
	v_cndmask_b32_e32 v28, 0, v29, vcc_lo
	s_delay_alu instid0(VALU_DEP_1)
	v_add3_u32 v26, v28, v23, v26
.LBB441_182:                            ;   in Loop: Header=BB441_183 Depth=1
	s_and_b32 vcc_lo, exec_lo, s18
	s_cbranch_vccnz .LBB441_188
.LBB441_183:                            ; =>This Loop Header: Depth=1
                                        ;     Child Loop BB441_186 Depth 2
	v_and_b32_e32 v23, 0xff, v27
	s_mov_b32 s18, -1
                                        ; implicit-def: $vgpr27
	s_delay_alu instid0(VALU_DEP_1)
	v_cmp_ne_u16_e32 vcc_lo, 2, v23
	v_mov_b32_e32 v23, v26
                                        ; implicit-def: $vgpr26
	s_cmp_lg_u32 vcc_lo, exec_lo
	s_cbranch_scc1 .LBB441_182
; %bb.184:                              ;   in Loop: Header=BB441_183 Depth=1
	global_load_b64 v[26:27], v24, s[10:11] scale_offset scope:SCOPE_DEV
	s_mov_b32 s18, exec_lo
	s_wait_loadcnt 0x0
	v_and_b32_e32 v28, 0xff, v27
	s_wait_xcnt 0x0
	s_delay_alu instid0(VALU_DEP_1)
	v_cmpx_eq_u16_e32 0, v28
	s_cbranch_execz .LBB441_181
; %bb.185:                              ;   in Loop: Header=BB441_183 Depth=1
	v_lshl_add_u64 v[28:29], v[24:25], 3, s[10:11]
	s_mov_b32 s19, 0
.LBB441_186:                            ;   Parent Loop BB441_183 Depth=1
                                        ; =>  This Inner Loop Header: Depth=2
	global_load_b64 v[26:27], v[28:29], off scope:SCOPE_DEV
	s_wait_loadcnt 0x0
	v_and_b32_e32 v53, 0xff, v27
	s_delay_alu instid0(VALU_DEP_1)
	v_cmp_ne_u16_e32 vcc_lo, 0, v53
	s_or_b32 s19, vcc_lo, s19
	s_wait_xcnt 0x0
	s_and_not1_b32 exec_lo, exec_lo, s19
	s_cbranch_execnz .LBB441_186
; %bb.187:                              ;   in Loop: Header=BB441_183 Depth=1
	s_or_b32 exec_lo, exec_lo, s19
	s_branch .LBB441_181
.LBB441_188:
	s_and_saveexec_b32 s18, s8
	s_cbranch_execz .LBB441_190
; %bb.189:
	s_add_co_i32 s19, s20, 32
	v_dual_mov_b32 v25, 2 :: v_dual_add_nc_u32 v24, v23, v22
	v_dual_mov_b32 v26, s19 :: v_dual_mov_b32 v27, 0
	global_store_b64 v26, v[24:25], s[10:11] scale_offset scope:SCOPE_DEV
	ds_store_b64 v27, v[22:23] offset:28672
.LBB441_190:
	s_wait_xcnt 0x0
	s_or_b32 exec_lo, exec_lo, s18
	v_cmp_eq_u32_e32 vcc_lo, 0, v0
	s_and_b32 exec_lo, exec_lo, vcc_lo
; %bb.191:
	v_mov_b32_e32 v22, 0
	ds_store_b32 v22, v23 offset:60
.LBB441_192:
	s_or_b32 exec_lo, exec_lo, s9
	s_wait_dscnt 0x0
	v_dual_mov_b32 v22, 0 :: v_dual_cndmask_b32 v24, v42, v41, s8
	s_wait_storecnt 0x0
	s_barrier_signal -1
	s_barrier_wait -1
	ds_load_b32 v23, v22 offset:60
	v_cmp_ne_u32_e32 vcc_lo, 0, v0
	s_wait_dscnt 0x0
	s_barrier_signal -1
	s_barrier_wait -1
	v_cndmask_b32_e32 v24, 0, v24, vcc_lo
	s_mov_b32 s8, 0
	s_delay_alu instid0(VALU_DEP_1) | instskip(SKIP_2) | instid1(VALU_DEP_1)
	v_add_nc_u32_e32 v42, v23, v24
	ds_load_b64 v[22:23], v22 offset:28672
	v_add_nc_u32_e32 v41, v42, v19
	v_add_nc_u32_e32 v29, v41, v21
	s_delay_alu instid0(VALU_DEP_1) | instskip(SKIP_1) | instid1(VALU_DEP_1)
	v_add_nc_u32_e32 v28, v29, v34
	s_wait_dscnt 0x0
	v_dual_mov_b32 v24, v23 :: v_dual_add_nc_u32 v27, v28, v35
	s_delay_alu instid0(VALU_DEP_1) | instskip(NEXT) | instid1(VALU_DEP_1)
	v_add_nc_u32_e32 v26, v27, v36
	v_add_nc_u32_e32 v25, v26, v37
.LBB441_193:
	s_and_b32 vcc_lo, exec_lo, s8
	s_cbranch_vccz .LBB441_203
; %bb.194:
	v_mov_b32_dpp v22, v40 row_shr:1 row_mask:0xf bank_mask:0xf
	s_delay_alu instid0(VALU_DEP_1) | instskip(NEXT) | instid1(VALU_DEP_1)
	v_cndmask_b32_e64 v22, v22, 0, s2
	v_add_nc_u32_e32 v22, v22, v40
	s_delay_alu instid0(VALU_DEP_1) | instskip(NEXT) | instid1(VALU_DEP_1)
	v_mov_b32_dpp v23, v22 row_shr:2 row_mask:0xf bank_mask:0xf
	v_cndmask_b32_e64 v23, 0, v23, s4
	s_delay_alu instid0(VALU_DEP_1) | instskip(NEXT) | instid1(VALU_DEP_1)
	v_add_nc_u32_e32 v22, v22, v23
	v_mov_b32_dpp v23, v22 row_shr:4 row_mask:0xf bank_mask:0xf
	s_delay_alu instid0(VALU_DEP_1) | instskip(NEXT) | instid1(VALU_DEP_1)
	v_cndmask_b32_e64 v23, 0, v23, s5
	v_add_nc_u32_e32 v22, v22, v23
	s_delay_alu instid0(VALU_DEP_1) | instskip(NEXT) | instid1(VALU_DEP_1)
	v_mov_b32_dpp v23, v22 row_shr:8 row_mask:0xf bank_mask:0xf
	v_cndmask_b32_e64 v23, 0, v23, s3
	s_delay_alu instid0(VALU_DEP_1) | instskip(SKIP_3) | instid1(VALU_DEP_1)
	v_add_nc_u32_e32 v22, v22, v23
	ds_swizzle_b32 v23, v22 offset:swizzle(BROADCAST,32,15)
	s_wait_dscnt 0x0
	v_cndmask_b32_e64 v23, v23, 0, s7
	v_add_nc_u32_e32 v22, v22, v23
	s_and_saveexec_b32 s7, s6
; %bb.195:
	v_lshlrev_b32_e32 v23, 2, v39
	ds_store_b32 v23, v22
; %bb.196:
	s_or_b32 exec_lo, exec_lo, s7
	s_delay_alu instid0(SALU_CYCLE_1)
	s_mov_b32 s6, exec_lo
	s_wait_dscnt 0x0
	s_barrier_signal -1
	s_barrier_wait -1
	v_cmpx_gt_u32_e32 16, v0
	s_cbranch_execz .LBB441_198
; %bb.197:
	v_lshlrev_b32_e32 v23, 2, v0
	ds_load_b32 v24, v23
	s_wait_dscnt 0x0
	v_mov_b32_dpp v25, v24 row_shr:1 row_mask:0xf bank_mask:0xf
	s_delay_alu instid0(VALU_DEP_1) | instskip(NEXT) | instid1(VALU_DEP_1)
	v_cndmask_b32_e64 v25, v25, 0, s2
	v_add_nc_u32_e32 v24, v25, v24
	s_delay_alu instid0(VALU_DEP_1) | instskip(NEXT) | instid1(VALU_DEP_1)
	v_mov_b32_dpp v25, v24 row_shr:2 row_mask:0xf bank_mask:0xf
	v_cndmask_b32_e64 v25, 0, v25, s4
	s_delay_alu instid0(VALU_DEP_1) | instskip(NEXT) | instid1(VALU_DEP_1)
	v_add_nc_u32_e32 v24, v24, v25
	v_mov_b32_dpp v25, v24 row_shr:4 row_mask:0xf bank_mask:0xf
	s_delay_alu instid0(VALU_DEP_1) | instskip(NEXT) | instid1(VALU_DEP_1)
	v_cndmask_b32_e64 v25, 0, v25, s5
	v_add_nc_u32_e32 v24, v24, v25
	s_delay_alu instid0(VALU_DEP_1) | instskip(NEXT) | instid1(VALU_DEP_1)
	v_mov_b32_dpp v25, v24 row_shr:8 row_mask:0xf bank_mask:0xf
	v_cndmask_b32_e64 v25, 0, v25, s3
	s_delay_alu instid0(VALU_DEP_1)
	v_add_nc_u32_e32 v24, v24, v25
	ds_store_b32 v23, v24
.LBB441_198:
	s_or_b32 exec_lo, exec_lo, s6
	v_dual_mov_b32 v23, 0 :: v_dual_mov_b32 v24, 0
	s_mov_b32 s2, exec_lo
	s_wait_dscnt 0x0
	s_barrier_signal -1
	s_barrier_wait -1
	v_cmpx_lt_u32_e32 31, v0
; %bb.199:
	v_lshl_add_u32 v24, v39, 2, -4
	ds_load_b32 v24, v24
; %bb.200:
	s_or_b32 exec_lo, exec_lo, s2
	v_sub_co_u32 v25, vcc_lo, v38, 1
	s_delay_alu instid0(VALU_DEP_1) | instskip(NEXT) | instid1(VALU_DEP_1)
	v_cmp_gt_i32_e64 s2, 0, v25
	v_cndmask_b32_e64 v25, v25, v38, s2
	s_wait_dscnt 0x0
	v_add_nc_u32_e32 v22, v24, v22
	v_cmp_eq_u32_e64 s2, 0, v0
	s_delay_alu instid0(VALU_DEP_3)
	v_lshlrev_b32_e32 v25, 2, v25
	ds_bpermute_b32 v25, v25, v22
	ds_load_b32 v22, v23 offset:60
	s_and_saveexec_b32 s3, s2
	s_cbranch_execz .LBB441_202
; %bb.201:
	v_dual_mov_b32 v26, 0 :: v_dual_mov_b32 v23, 2
	s_wait_dscnt 0x0
	global_store_b64 v26, v[22:23], s[10:11] offset:256 scope:SCOPE_DEV
.LBB441_202:
	s_wait_xcnt 0x0
	s_or_b32 exec_lo, exec_lo, s3
	s_wait_dscnt 0x1
	v_cndmask_b32_e32 v23, v25, v24, vcc_lo
	s_wait_storecnt_dscnt 0x0
	s_barrier_signal -1
	s_barrier_wait -1
	s_delay_alu instid0(VALU_DEP_1) | instskip(NEXT) | instid1(VALU_DEP_1)
	v_cndmask_b32_e64 v42, v23, 0, s2
	v_dual_mov_b32 v24, 0 :: v_dual_add_nc_u32 v41, v42, v19
	s_delay_alu instid0(VALU_DEP_1) | instskip(NEXT) | instid1(VALU_DEP_1)
	v_add_nc_u32_e32 v29, v41, v21
	v_add_nc_u32_e32 v28, v29, v34
	s_delay_alu instid0(VALU_DEP_1) | instskip(NEXT) | instid1(VALU_DEP_1)
	v_add_nc_u32_e32 v27, v28, v35
	v_add_nc_u32_e32 v26, v27, v36
	s_delay_alu instid0(VALU_DEP_1)
	v_add_nc_u32_e32 v25, v26, v37
.LBB441_203:
	s_load_b64 s[2:3], s[0:1], 0x28
	v_and_b32_e32 v16, 1, v16
	v_cmp_gt_u32_e32 vcc_lo, 0x201, v22
	s_wait_xcnt 0x0
	s_mov_b32 s1, -1
	s_delay_alu instid0(VALU_DEP_2)
	v_cmp_eq_u32_e64 s0, 1, v16
	s_cbranch_vccnz .LBB441_207
; %bb.204:
	s_and_b32 vcc_lo, exec_lo, s1
	s_cbranch_vccnz .LBB441_222
.LBB441_205:
	v_cmp_eq_u32_e32 vcc_lo, 0, v0
	s_and_b32 s0, vcc_lo, s16
	s_delay_alu instid0(SALU_CYCLE_1)
	s_and_saveexec_b32 s1, s0
	s_cbranch_execnz .LBB441_239
.LBB441_206:
	s_endpgm
.LBB441_207:
	v_add_nc_u32_e32 v19, v24, v22
	s_delay_alu instid0(VALU_DEP_1) | instskip(SKIP_1) | instid1(SALU_CYCLE_1)
	v_cmp_lt_u32_e32 vcc_lo, v42, v19
	s_or_b32 s1, s17, vcc_lo
	s_and_b32 s1, s1, s0
	s_delay_alu instid0(SALU_CYCLE_1)
	s_and_saveexec_b32 s0, s1
	s_cbranch_execz .LBB441_209
; %bb.208:
	s_lshl_b64 s[4:5], s[14:15], 3
	s_wait_kmcnt 0x0
	s_add_nc_u64 s[4:5], s[2:3], s[4:5]
	global_store_b64 v42, v[10:11], s[4:5] scale_offset
.LBB441_209:
	s_wait_xcnt 0x0
	s_or_b32 exec_lo, exec_lo, s0
	v_and_b32_e32 v21, 1, v33
	v_cmp_lt_u32_e32 vcc_lo, v41, v19
	s_delay_alu instid0(VALU_DEP_2) | instskip(SKIP_1) | instid1(SALU_CYCLE_1)
	v_cmp_eq_u32_e64 s0, 1, v21
	s_or_b32 s1, s17, vcc_lo
	s_and_b32 s1, s1, s0
	s_delay_alu instid0(SALU_CYCLE_1)
	s_and_saveexec_b32 s0, s1
	s_cbranch_execz .LBB441_211
; %bb.210:
	s_lshl_b64 s[4:5], s[14:15], 3
	s_wait_kmcnt 0x0
	s_add_nc_u64 s[4:5], s[2:3], s[4:5]
	global_store_b64 v41, v[12:13], s[4:5] scale_offset
.LBB441_211:
	s_wait_xcnt 0x0
	s_or_b32 exec_lo, exec_lo, s0
	v_and_b32_e32 v21, 1, v32
	v_cmp_lt_u32_e32 vcc_lo, v29, v19
	s_delay_alu instid0(VALU_DEP_2) | instskip(SKIP_1) | instid1(SALU_CYCLE_1)
	v_cmp_eq_u32_e64 s0, 1, v21
	;; [unrolled: 17-line block ×6, first 2 shown]
	s_or_b32 s1, s17, vcc_lo
	s_and_b32 s1, s1, s0
	s_delay_alu instid0(SALU_CYCLE_1)
	s_and_saveexec_b32 s0, s1
	s_cbranch_execz .LBB441_221
; %bb.220:
	s_lshl_b64 s[4:5], s[14:15], 3
	s_wait_kmcnt 0x0
	s_add_nc_u64 s[4:5], s[2:3], s[4:5]
	global_store_b64 v25, v[14:15], s[4:5] scale_offset
.LBB441_221:
	s_wait_xcnt 0x0
	s_or_b32 exec_lo, exec_lo, s0
	s_branch .LBB441_205
.LBB441_222:
	s_mov_b32 s0, exec_lo
	v_cmpx_eq_u32_e32 1, v16
; %bb.223:
	v_sub_nc_u32_e32 v16, v42, v24
	s_delay_alu instid0(VALU_DEP_1)
	v_lshlrev_b32_e32 v16, 3, v16
	ds_store_b64 v16, v[10:11]
; %bb.224:
	s_or_b32 exec_lo, exec_lo, s0
	v_and_b32_e32 v10, 1, v33
	s_mov_b32 s0, exec_lo
	s_delay_alu instid0(VALU_DEP_1)
	v_cmpx_eq_u32_e32 1, v10
; %bb.225:
	v_sub_nc_u32_e32 v10, v41, v24
	s_delay_alu instid0(VALU_DEP_1)
	v_lshlrev_b32_e32 v10, 3, v10
	ds_store_b64 v10, v[12:13]
; %bb.226:
	s_or_b32 exec_lo, exec_lo, s0
	v_and_b32_e32 v10, 1, v32
	s_mov_b32 s0, exec_lo
	s_delay_alu instid0(VALU_DEP_1)
	;; [unrolled: 11-line block ×6, first 2 shown]
	v_cmpx_eq_u32_e32 1, v2
; %bb.235:
	v_sub_nc_u32_e32 v2, v25, v24
	s_delay_alu instid0(VALU_DEP_1)
	v_lshlrev_b32_e32 v2, 3, v2
	ds_store_b64 v2, v[14:15]
; %bb.236:
	s_or_b32 exec_lo, exec_lo, s0
	v_mov_b32_e32 v25, 0
	s_lshl_b64 s[0:1], s[14:15], 3
	s_wait_storecnt_dscnt 0x0
	s_barrier_signal -1
	s_barrier_wait -1
	v_lshlrev_b64_e32 v[2:3], 3, v[24:25]
	v_mov_b32_e32 v19, v25
	s_delay_alu instid0(VALU_DEP_2) | instskip(SKIP_2) | instid1(VALU_DEP_1)
	v_add_nc_u64_e32 v[2:3], s[0:1], v[2:3]
	s_mov_b32 s0, 0
	s_wait_kmcnt 0x0
	v_add_nc_u64_e32 v[2:3], s[2:3], v[2:3]
	s_delay_alu instid0(VALU_DEP_1)
	v_add_nc_u64_e32 v[2:3], v[2:3], v[18:19]
.LBB441_237:                            ; =>This Inner Loop Header: Depth=1
	ds_load_b64 v[4:5], v18
	v_add_nc_u32_e32 v1, 0x200, v1
	v_add_nc_u32_e32 v18, 0x1000, v18
	s_delay_alu instid0(VALU_DEP_2)
	v_cmp_ge_u32_e32 vcc_lo, v1, v22
	s_or_b32 s0, vcc_lo, s0
	s_wait_dscnt 0x0
	global_store_b64 v[2:3], v[4:5], off
	s_wait_xcnt 0x0
	v_add_nc_u64_e32 v[2:3], 0x1000, v[2:3]
	s_and_not1_b32 exec_lo, exec_lo, s0
	s_cbranch_execnz .LBB441_237
; %bb.238:
	s_or_b32 exec_lo, exec_lo, s0
	v_cmp_eq_u32_e32 vcc_lo, 0, v0
	s_and_b32 s0, vcc_lo, s16
	s_delay_alu instid0(SALU_CYCLE_1)
	s_and_saveexec_b32 s1, s0
	s_cbranch_execz .LBB441_206
.LBB441_239:
	v_mov_b32_e32 v23, 0
	s_delay_alu instid0(VALU_DEP_1) | instskip(SKIP_1) | instid1(VALU_DEP_1)
	v_add_nc_u64_e32 v[0:1], s[14:15], v[22:23]
	v_mov_b32_e32 v25, v23
	v_add_nc_u64_e32 v[0:1], v[0:1], v[24:25]
	global_store_b64 v23, v[0:1], s[12:13]
	s_endpgm
	.section	.rodata,"a",@progbits
	.p2align	6, 0x0
	.amdhsa_kernel _ZN7rocprim17ROCPRIM_400000_NS6detail17trampoline_kernelINS0_14default_configENS1_25partition_config_selectorILNS1_17partition_subalgoE8ElNS0_10empty_typeEbEEZZNS1_14partition_implILS5_8ELb0ES3_jPlPS6_PKS6_NS0_5tupleIJS9_S6_EEENSD_IJSA_SA_EEENS0_18inequality_wrapperIZN2at6native12_GLOBAL__N_124unique_dim_cuda_templateIiEESt5tupleIJNSH_6TensorESM_SM_EERKSM_lbbbEUlllE0_EEPmJS6_EEE10hipError_tPvRmT3_T4_T5_T6_T7_T9_mT8_P12ihipStream_tbDpT10_ENKUlT_T0_E_clISt17integral_constantIbLb0EES1C_EEDaS17_S18_EUlS17_E_NS1_11comp_targetILNS1_3genE0ELNS1_11target_archE4294967295ELNS1_3gpuE0ELNS1_3repE0EEENS1_30default_config_static_selectorELNS0_4arch9wavefront6targetE0EEEvT1_
		.amdhsa_group_segment_fixed_size 28680
		.amdhsa_private_segment_fixed_size 0
		.amdhsa_kernarg_size 120
		.amdhsa_user_sgpr_count 2
		.amdhsa_user_sgpr_dispatch_ptr 0
		.amdhsa_user_sgpr_queue_ptr 0
		.amdhsa_user_sgpr_kernarg_segment_ptr 1
		.amdhsa_user_sgpr_dispatch_id 0
		.amdhsa_user_sgpr_kernarg_preload_length 0
		.amdhsa_user_sgpr_kernarg_preload_offset 0
		.amdhsa_user_sgpr_private_segment_size 0
		.amdhsa_wavefront_size32 1
		.amdhsa_uses_dynamic_stack 0
		.amdhsa_enable_private_segment 0
		.amdhsa_system_sgpr_workgroup_id_x 1
		.amdhsa_system_sgpr_workgroup_id_y 0
		.amdhsa_system_sgpr_workgroup_id_z 0
		.amdhsa_system_sgpr_workgroup_info 0
		.amdhsa_system_vgpr_workitem_id 0
		.amdhsa_next_free_vgpr 54
		.amdhsa_next_free_sgpr 36
		.amdhsa_named_barrier_count 0
		.amdhsa_reserve_vcc 1
		.amdhsa_float_round_mode_32 0
		.amdhsa_float_round_mode_16_64 0
		.amdhsa_float_denorm_mode_32 3
		.amdhsa_float_denorm_mode_16_64 3
		.amdhsa_fp16_overflow 0
		.amdhsa_memory_ordered 1
		.amdhsa_forward_progress 1
		.amdhsa_inst_pref_size 82
		.amdhsa_round_robin_scheduling 0
		.amdhsa_exception_fp_ieee_invalid_op 0
		.amdhsa_exception_fp_denorm_src 0
		.amdhsa_exception_fp_ieee_div_zero 0
		.amdhsa_exception_fp_ieee_overflow 0
		.amdhsa_exception_fp_ieee_underflow 0
		.amdhsa_exception_fp_ieee_inexact 0
		.amdhsa_exception_int_div_zero 0
	.end_amdhsa_kernel
	.section	.text._ZN7rocprim17ROCPRIM_400000_NS6detail17trampoline_kernelINS0_14default_configENS1_25partition_config_selectorILNS1_17partition_subalgoE8ElNS0_10empty_typeEbEEZZNS1_14partition_implILS5_8ELb0ES3_jPlPS6_PKS6_NS0_5tupleIJS9_S6_EEENSD_IJSA_SA_EEENS0_18inequality_wrapperIZN2at6native12_GLOBAL__N_124unique_dim_cuda_templateIiEESt5tupleIJNSH_6TensorESM_SM_EERKSM_lbbbEUlllE0_EEPmJS6_EEE10hipError_tPvRmT3_T4_T5_T6_T7_T9_mT8_P12ihipStream_tbDpT10_ENKUlT_T0_E_clISt17integral_constantIbLb0EES1C_EEDaS17_S18_EUlS17_E_NS1_11comp_targetILNS1_3genE0ELNS1_11target_archE4294967295ELNS1_3gpuE0ELNS1_3repE0EEENS1_30default_config_static_selectorELNS0_4arch9wavefront6targetE0EEEvT1_,"axG",@progbits,_ZN7rocprim17ROCPRIM_400000_NS6detail17trampoline_kernelINS0_14default_configENS1_25partition_config_selectorILNS1_17partition_subalgoE8ElNS0_10empty_typeEbEEZZNS1_14partition_implILS5_8ELb0ES3_jPlPS6_PKS6_NS0_5tupleIJS9_S6_EEENSD_IJSA_SA_EEENS0_18inequality_wrapperIZN2at6native12_GLOBAL__N_124unique_dim_cuda_templateIiEESt5tupleIJNSH_6TensorESM_SM_EERKSM_lbbbEUlllE0_EEPmJS6_EEE10hipError_tPvRmT3_T4_T5_T6_T7_T9_mT8_P12ihipStream_tbDpT10_ENKUlT_T0_E_clISt17integral_constantIbLb0EES1C_EEDaS17_S18_EUlS17_E_NS1_11comp_targetILNS1_3genE0ELNS1_11target_archE4294967295ELNS1_3gpuE0ELNS1_3repE0EEENS1_30default_config_static_selectorELNS0_4arch9wavefront6targetE0EEEvT1_,comdat
.Lfunc_end441:
	.size	_ZN7rocprim17ROCPRIM_400000_NS6detail17trampoline_kernelINS0_14default_configENS1_25partition_config_selectorILNS1_17partition_subalgoE8ElNS0_10empty_typeEbEEZZNS1_14partition_implILS5_8ELb0ES3_jPlPS6_PKS6_NS0_5tupleIJS9_S6_EEENSD_IJSA_SA_EEENS0_18inequality_wrapperIZN2at6native12_GLOBAL__N_124unique_dim_cuda_templateIiEESt5tupleIJNSH_6TensorESM_SM_EERKSM_lbbbEUlllE0_EEPmJS6_EEE10hipError_tPvRmT3_T4_T5_T6_T7_T9_mT8_P12ihipStream_tbDpT10_ENKUlT_T0_E_clISt17integral_constantIbLb0EES1C_EEDaS17_S18_EUlS17_E_NS1_11comp_targetILNS1_3genE0ELNS1_11target_archE4294967295ELNS1_3gpuE0ELNS1_3repE0EEENS1_30default_config_static_selectorELNS0_4arch9wavefront6targetE0EEEvT1_, .Lfunc_end441-_ZN7rocprim17ROCPRIM_400000_NS6detail17trampoline_kernelINS0_14default_configENS1_25partition_config_selectorILNS1_17partition_subalgoE8ElNS0_10empty_typeEbEEZZNS1_14partition_implILS5_8ELb0ES3_jPlPS6_PKS6_NS0_5tupleIJS9_S6_EEENSD_IJSA_SA_EEENS0_18inequality_wrapperIZN2at6native12_GLOBAL__N_124unique_dim_cuda_templateIiEESt5tupleIJNSH_6TensorESM_SM_EERKSM_lbbbEUlllE0_EEPmJS6_EEE10hipError_tPvRmT3_T4_T5_T6_T7_T9_mT8_P12ihipStream_tbDpT10_ENKUlT_T0_E_clISt17integral_constantIbLb0EES1C_EEDaS17_S18_EUlS17_E_NS1_11comp_targetILNS1_3genE0ELNS1_11target_archE4294967295ELNS1_3gpuE0ELNS1_3repE0EEENS1_30default_config_static_selectorELNS0_4arch9wavefront6targetE0EEEvT1_
                                        ; -- End function
	.set _ZN7rocprim17ROCPRIM_400000_NS6detail17trampoline_kernelINS0_14default_configENS1_25partition_config_selectorILNS1_17partition_subalgoE8ElNS0_10empty_typeEbEEZZNS1_14partition_implILS5_8ELb0ES3_jPlPS6_PKS6_NS0_5tupleIJS9_S6_EEENSD_IJSA_SA_EEENS0_18inequality_wrapperIZN2at6native12_GLOBAL__N_124unique_dim_cuda_templateIiEESt5tupleIJNSH_6TensorESM_SM_EERKSM_lbbbEUlllE0_EEPmJS6_EEE10hipError_tPvRmT3_T4_T5_T6_T7_T9_mT8_P12ihipStream_tbDpT10_ENKUlT_T0_E_clISt17integral_constantIbLb0EES1C_EEDaS17_S18_EUlS17_E_NS1_11comp_targetILNS1_3genE0ELNS1_11target_archE4294967295ELNS1_3gpuE0ELNS1_3repE0EEENS1_30default_config_static_selectorELNS0_4arch9wavefront6targetE0EEEvT1_.num_vgpr, 54
	.set _ZN7rocprim17ROCPRIM_400000_NS6detail17trampoline_kernelINS0_14default_configENS1_25partition_config_selectorILNS1_17partition_subalgoE8ElNS0_10empty_typeEbEEZZNS1_14partition_implILS5_8ELb0ES3_jPlPS6_PKS6_NS0_5tupleIJS9_S6_EEENSD_IJSA_SA_EEENS0_18inequality_wrapperIZN2at6native12_GLOBAL__N_124unique_dim_cuda_templateIiEESt5tupleIJNSH_6TensorESM_SM_EERKSM_lbbbEUlllE0_EEPmJS6_EEE10hipError_tPvRmT3_T4_T5_T6_T7_T9_mT8_P12ihipStream_tbDpT10_ENKUlT_T0_E_clISt17integral_constantIbLb0EES1C_EEDaS17_S18_EUlS17_E_NS1_11comp_targetILNS1_3genE0ELNS1_11target_archE4294967295ELNS1_3gpuE0ELNS1_3repE0EEENS1_30default_config_static_selectorELNS0_4arch9wavefront6targetE0EEEvT1_.num_agpr, 0
	.set _ZN7rocprim17ROCPRIM_400000_NS6detail17trampoline_kernelINS0_14default_configENS1_25partition_config_selectorILNS1_17partition_subalgoE8ElNS0_10empty_typeEbEEZZNS1_14partition_implILS5_8ELb0ES3_jPlPS6_PKS6_NS0_5tupleIJS9_S6_EEENSD_IJSA_SA_EEENS0_18inequality_wrapperIZN2at6native12_GLOBAL__N_124unique_dim_cuda_templateIiEESt5tupleIJNSH_6TensorESM_SM_EERKSM_lbbbEUlllE0_EEPmJS6_EEE10hipError_tPvRmT3_T4_T5_T6_T7_T9_mT8_P12ihipStream_tbDpT10_ENKUlT_T0_E_clISt17integral_constantIbLb0EES1C_EEDaS17_S18_EUlS17_E_NS1_11comp_targetILNS1_3genE0ELNS1_11target_archE4294967295ELNS1_3gpuE0ELNS1_3repE0EEENS1_30default_config_static_selectorELNS0_4arch9wavefront6targetE0EEEvT1_.numbered_sgpr, 36
	.set _ZN7rocprim17ROCPRIM_400000_NS6detail17trampoline_kernelINS0_14default_configENS1_25partition_config_selectorILNS1_17partition_subalgoE8ElNS0_10empty_typeEbEEZZNS1_14partition_implILS5_8ELb0ES3_jPlPS6_PKS6_NS0_5tupleIJS9_S6_EEENSD_IJSA_SA_EEENS0_18inequality_wrapperIZN2at6native12_GLOBAL__N_124unique_dim_cuda_templateIiEESt5tupleIJNSH_6TensorESM_SM_EERKSM_lbbbEUlllE0_EEPmJS6_EEE10hipError_tPvRmT3_T4_T5_T6_T7_T9_mT8_P12ihipStream_tbDpT10_ENKUlT_T0_E_clISt17integral_constantIbLb0EES1C_EEDaS17_S18_EUlS17_E_NS1_11comp_targetILNS1_3genE0ELNS1_11target_archE4294967295ELNS1_3gpuE0ELNS1_3repE0EEENS1_30default_config_static_selectorELNS0_4arch9wavefront6targetE0EEEvT1_.num_named_barrier, 0
	.set _ZN7rocprim17ROCPRIM_400000_NS6detail17trampoline_kernelINS0_14default_configENS1_25partition_config_selectorILNS1_17partition_subalgoE8ElNS0_10empty_typeEbEEZZNS1_14partition_implILS5_8ELb0ES3_jPlPS6_PKS6_NS0_5tupleIJS9_S6_EEENSD_IJSA_SA_EEENS0_18inequality_wrapperIZN2at6native12_GLOBAL__N_124unique_dim_cuda_templateIiEESt5tupleIJNSH_6TensorESM_SM_EERKSM_lbbbEUlllE0_EEPmJS6_EEE10hipError_tPvRmT3_T4_T5_T6_T7_T9_mT8_P12ihipStream_tbDpT10_ENKUlT_T0_E_clISt17integral_constantIbLb0EES1C_EEDaS17_S18_EUlS17_E_NS1_11comp_targetILNS1_3genE0ELNS1_11target_archE4294967295ELNS1_3gpuE0ELNS1_3repE0EEENS1_30default_config_static_selectorELNS0_4arch9wavefront6targetE0EEEvT1_.private_seg_size, 0
	.set _ZN7rocprim17ROCPRIM_400000_NS6detail17trampoline_kernelINS0_14default_configENS1_25partition_config_selectorILNS1_17partition_subalgoE8ElNS0_10empty_typeEbEEZZNS1_14partition_implILS5_8ELb0ES3_jPlPS6_PKS6_NS0_5tupleIJS9_S6_EEENSD_IJSA_SA_EEENS0_18inequality_wrapperIZN2at6native12_GLOBAL__N_124unique_dim_cuda_templateIiEESt5tupleIJNSH_6TensorESM_SM_EERKSM_lbbbEUlllE0_EEPmJS6_EEE10hipError_tPvRmT3_T4_T5_T6_T7_T9_mT8_P12ihipStream_tbDpT10_ENKUlT_T0_E_clISt17integral_constantIbLb0EES1C_EEDaS17_S18_EUlS17_E_NS1_11comp_targetILNS1_3genE0ELNS1_11target_archE4294967295ELNS1_3gpuE0ELNS1_3repE0EEENS1_30default_config_static_selectorELNS0_4arch9wavefront6targetE0EEEvT1_.uses_vcc, 1
	.set _ZN7rocprim17ROCPRIM_400000_NS6detail17trampoline_kernelINS0_14default_configENS1_25partition_config_selectorILNS1_17partition_subalgoE8ElNS0_10empty_typeEbEEZZNS1_14partition_implILS5_8ELb0ES3_jPlPS6_PKS6_NS0_5tupleIJS9_S6_EEENSD_IJSA_SA_EEENS0_18inequality_wrapperIZN2at6native12_GLOBAL__N_124unique_dim_cuda_templateIiEESt5tupleIJNSH_6TensorESM_SM_EERKSM_lbbbEUlllE0_EEPmJS6_EEE10hipError_tPvRmT3_T4_T5_T6_T7_T9_mT8_P12ihipStream_tbDpT10_ENKUlT_T0_E_clISt17integral_constantIbLb0EES1C_EEDaS17_S18_EUlS17_E_NS1_11comp_targetILNS1_3genE0ELNS1_11target_archE4294967295ELNS1_3gpuE0ELNS1_3repE0EEENS1_30default_config_static_selectorELNS0_4arch9wavefront6targetE0EEEvT1_.uses_flat_scratch, 0
	.set _ZN7rocprim17ROCPRIM_400000_NS6detail17trampoline_kernelINS0_14default_configENS1_25partition_config_selectorILNS1_17partition_subalgoE8ElNS0_10empty_typeEbEEZZNS1_14partition_implILS5_8ELb0ES3_jPlPS6_PKS6_NS0_5tupleIJS9_S6_EEENSD_IJSA_SA_EEENS0_18inequality_wrapperIZN2at6native12_GLOBAL__N_124unique_dim_cuda_templateIiEESt5tupleIJNSH_6TensorESM_SM_EERKSM_lbbbEUlllE0_EEPmJS6_EEE10hipError_tPvRmT3_T4_T5_T6_T7_T9_mT8_P12ihipStream_tbDpT10_ENKUlT_T0_E_clISt17integral_constantIbLb0EES1C_EEDaS17_S18_EUlS17_E_NS1_11comp_targetILNS1_3genE0ELNS1_11target_archE4294967295ELNS1_3gpuE0ELNS1_3repE0EEENS1_30default_config_static_selectorELNS0_4arch9wavefront6targetE0EEEvT1_.has_dyn_sized_stack, 0
	.set _ZN7rocprim17ROCPRIM_400000_NS6detail17trampoline_kernelINS0_14default_configENS1_25partition_config_selectorILNS1_17partition_subalgoE8ElNS0_10empty_typeEbEEZZNS1_14partition_implILS5_8ELb0ES3_jPlPS6_PKS6_NS0_5tupleIJS9_S6_EEENSD_IJSA_SA_EEENS0_18inequality_wrapperIZN2at6native12_GLOBAL__N_124unique_dim_cuda_templateIiEESt5tupleIJNSH_6TensorESM_SM_EERKSM_lbbbEUlllE0_EEPmJS6_EEE10hipError_tPvRmT3_T4_T5_T6_T7_T9_mT8_P12ihipStream_tbDpT10_ENKUlT_T0_E_clISt17integral_constantIbLb0EES1C_EEDaS17_S18_EUlS17_E_NS1_11comp_targetILNS1_3genE0ELNS1_11target_archE4294967295ELNS1_3gpuE0ELNS1_3repE0EEENS1_30default_config_static_selectorELNS0_4arch9wavefront6targetE0EEEvT1_.has_recursion, 0
	.set _ZN7rocprim17ROCPRIM_400000_NS6detail17trampoline_kernelINS0_14default_configENS1_25partition_config_selectorILNS1_17partition_subalgoE8ElNS0_10empty_typeEbEEZZNS1_14partition_implILS5_8ELb0ES3_jPlPS6_PKS6_NS0_5tupleIJS9_S6_EEENSD_IJSA_SA_EEENS0_18inequality_wrapperIZN2at6native12_GLOBAL__N_124unique_dim_cuda_templateIiEESt5tupleIJNSH_6TensorESM_SM_EERKSM_lbbbEUlllE0_EEPmJS6_EEE10hipError_tPvRmT3_T4_T5_T6_T7_T9_mT8_P12ihipStream_tbDpT10_ENKUlT_T0_E_clISt17integral_constantIbLb0EES1C_EEDaS17_S18_EUlS17_E_NS1_11comp_targetILNS1_3genE0ELNS1_11target_archE4294967295ELNS1_3gpuE0ELNS1_3repE0EEENS1_30default_config_static_selectorELNS0_4arch9wavefront6targetE0EEEvT1_.has_indirect_call, 0
	.section	.AMDGPU.csdata,"",@progbits
; Kernel info:
; codeLenInByte = 10408
; TotalNumSgprs: 38
; NumVgprs: 54
; ScratchSize: 0
; MemoryBound: 0
; FloatMode: 240
; IeeeMode: 1
; LDSByteSize: 28680 bytes/workgroup (compile time only)
; SGPRBlocks: 0
; VGPRBlocks: 3
; NumSGPRsForWavesPerEU: 38
; NumVGPRsForWavesPerEU: 54
; NamedBarCnt: 0
; Occupancy: 16
; WaveLimiterHint : 1
; COMPUTE_PGM_RSRC2:SCRATCH_EN: 0
; COMPUTE_PGM_RSRC2:USER_SGPR: 2
; COMPUTE_PGM_RSRC2:TRAP_HANDLER: 0
; COMPUTE_PGM_RSRC2:TGID_X_EN: 1
; COMPUTE_PGM_RSRC2:TGID_Y_EN: 0
; COMPUTE_PGM_RSRC2:TGID_Z_EN: 0
; COMPUTE_PGM_RSRC2:TIDIG_COMP_CNT: 0
	.section	.text._ZN7rocprim17ROCPRIM_400000_NS6detail17trampoline_kernelINS0_14default_configENS1_25partition_config_selectorILNS1_17partition_subalgoE8ElNS0_10empty_typeEbEEZZNS1_14partition_implILS5_8ELb0ES3_jPlPS6_PKS6_NS0_5tupleIJS9_S6_EEENSD_IJSA_SA_EEENS0_18inequality_wrapperIZN2at6native12_GLOBAL__N_124unique_dim_cuda_templateIiEESt5tupleIJNSH_6TensorESM_SM_EERKSM_lbbbEUlllE0_EEPmJS6_EEE10hipError_tPvRmT3_T4_T5_T6_T7_T9_mT8_P12ihipStream_tbDpT10_ENKUlT_T0_E_clISt17integral_constantIbLb0EES1C_EEDaS17_S18_EUlS17_E_NS1_11comp_targetILNS1_3genE5ELNS1_11target_archE942ELNS1_3gpuE9ELNS1_3repE0EEENS1_30default_config_static_selectorELNS0_4arch9wavefront6targetE0EEEvT1_,"axG",@progbits,_ZN7rocprim17ROCPRIM_400000_NS6detail17trampoline_kernelINS0_14default_configENS1_25partition_config_selectorILNS1_17partition_subalgoE8ElNS0_10empty_typeEbEEZZNS1_14partition_implILS5_8ELb0ES3_jPlPS6_PKS6_NS0_5tupleIJS9_S6_EEENSD_IJSA_SA_EEENS0_18inequality_wrapperIZN2at6native12_GLOBAL__N_124unique_dim_cuda_templateIiEESt5tupleIJNSH_6TensorESM_SM_EERKSM_lbbbEUlllE0_EEPmJS6_EEE10hipError_tPvRmT3_T4_T5_T6_T7_T9_mT8_P12ihipStream_tbDpT10_ENKUlT_T0_E_clISt17integral_constantIbLb0EES1C_EEDaS17_S18_EUlS17_E_NS1_11comp_targetILNS1_3genE5ELNS1_11target_archE942ELNS1_3gpuE9ELNS1_3repE0EEENS1_30default_config_static_selectorELNS0_4arch9wavefront6targetE0EEEvT1_,comdat
	.globl	_ZN7rocprim17ROCPRIM_400000_NS6detail17trampoline_kernelINS0_14default_configENS1_25partition_config_selectorILNS1_17partition_subalgoE8ElNS0_10empty_typeEbEEZZNS1_14partition_implILS5_8ELb0ES3_jPlPS6_PKS6_NS0_5tupleIJS9_S6_EEENSD_IJSA_SA_EEENS0_18inequality_wrapperIZN2at6native12_GLOBAL__N_124unique_dim_cuda_templateIiEESt5tupleIJNSH_6TensorESM_SM_EERKSM_lbbbEUlllE0_EEPmJS6_EEE10hipError_tPvRmT3_T4_T5_T6_T7_T9_mT8_P12ihipStream_tbDpT10_ENKUlT_T0_E_clISt17integral_constantIbLb0EES1C_EEDaS17_S18_EUlS17_E_NS1_11comp_targetILNS1_3genE5ELNS1_11target_archE942ELNS1_3gpuE9ELNS1_3repE0EEENS1_30default_config_static_selectorELNS0_4arch9wavefront6targetE0EEEvT1_ ; -- Begin function _ZN7rocprim17ROCPRIM_400000_NS6detail17trampoline_kernelINS0_14default_configENS1_25partition_config_selectorILNS1_17partition_subalgoE8ElNS0_10empty_typeEbEEZZNS1_14partition_implILS5_8ELb0ES3_jPlPS6_PKS6_NS0_5tupleIJS9_S6_EEENSD_IJSA_SA_EEENS0_18inequality_wrapperIZN2at6native12_GLOBAL__N_124unique_dim_cuda_templateIiEESt5tupleIJNSH_6TensorESM_SM_EERKSM_lbbbEUlllE0_EEPmJS6_EEE10hipError_tPvRmT3_T4_T5_T6_T7_T9_mT8_P12ihipStream_tbDpT10_ENKUlT_T0_E_clISt17integral_constantIbLb0EES1C_EEDaS17_S18_EUlS17_E_NS1_11comp_targetILNS1_3genE5ELNS1_11target_archE942ELNS1_3gpuE9ELNS1_3repE0EEENS1_30default_config_static_selectorELNS0_4arch9wavefront6targetE0EEEvT1_
	.p2align	8
	.type	_ZN7rocprim17ROCPRIM_400000_NS6detail17trampoline_kernelINS0_14default_configENS1_25partition_config_selectorILNS1_17partition_subalgoE8ElNS0_10empty_typeEbEEZZNS1_14partition_implILS5_8ELb0ES3_jPlPS6_PKS6_NS0_5tupleIJS9_S6_EEENSD_IJSA_SA_EEENS0_18inequality_wrapperIZN2at6native12_GLOBAL__N_124unique_dim_cuda_templateIiEESt5tupleIJNSH_6TensorESM_SM_EERKSM_lbbbEUlllE0_EEPmJS6_EEE10hipError_tPvRmT3_T4_T5_T6_T7_T9_mT8_P12ihipStream_tbDpT10_ENKUlT_T0_E_clISt17integral_constantIbLb0EES1C_EEDaS17_S18_EUlS17_E_NS1_11comp_targetILNS1_3genE5ELNS1_11target_archE942ELNS1_3gpuE9ELNS1_3repE0EEENS1_30default_config_static_selectorELNS0_4arch9wavefront6targetE0EEEvT1_,@function
_ZN7rocprim17ROCPRIM_400000_NS6detail17trampoline_kernelINS0_14default_configENS1_25partition_config_selectorILNS1_17partition_subalgoE8ElNS0_10empty_typeEbEEZZNS1_14partition_implILS5_8ELb0ES3_jPlPS6_PKS6_NS0_5tupleIJS9_S6_EEENSD_IJSA_SA_EEENS0_18inequality_wrapperIZN2at6native12_GLOBAL__N_124unique_dim_cuda_templateIiEESt5tupleIJNSH_6TensorESM_SM_EERKSM_lbbbEUlllE0_EEPmJS6_EEE10hipError_tPvRmT3_T4_T5_T6_T7_T9_mT8_P12ihipStream_tbDpT10_ENKUlT_T0_E_clISt17integral_constantIbLb0EES1C_EEDaS17_S18_EUlS17_E_NS1_11comp_targetILNS1_3genE5ELNS1_11target_archE942ELNS1_3gpuE9ELNS1_3repE0EEENS1_30default_config_static_selectorELNS0_4arch9wavefront6targetE0EEEvT1_: ; @_ZN7rocprim17ROCPRIM_400000_NS6detail17trampoline_kernelINS0_14default_configENS1_25partition_config_selectorILNS1_17partition_subalgoE8ElNS0_10empty_typeEbEEZZNS1_14partition_implILS5_8ELb0ES3_jPlPS6_PKS6_NS0_5tupleIJS9_S6_EEENSD_IJSA_SA_EEENS0_18inequality_wrapperIZN2at6native12_GLOBAL__N_124unique_dim_cuda_templateIiEESt5tupleIJNSH_6TensorESM_SM_EERKSM_lbbbEUlllE0_EEPmJS6_EEE10hipError_tPvRmT3_T4_T5_T6_T7_T9_mT8_P12ihipStream_tbDpT10_ENKUlT_T0_E_clISt17integral_constantIbLb0EES1C_EEDaS17_S18_EUlS17_E_NS1_11comp_targetILNS1_3genE5ELNS1_11target_archE942ELNS1_3gpuE9ELNS1_3repE0EEENS1_30default_config_static_selectorELNS0_4arch9wavefront6targetE0EEEvT1_
; %bb.0:
	.section	.rodata,"a",@progbits
	.p2align	6, 0x0
	.amdhsa_kernel _ZN7rocprim17ROCPRIM_400000_NS6detail17trampoline_kernelINS0_14default_configENS1_25partition_config_selectorILNS1_17partition_subalgoE8ElNS0_10empty_typeEbEEZZNS1_14partition_implILS5_8ELb0ES3_jPlPS6_PKS6_NS0_5tupleIJS9_S6_EEENSD_IJSA_SA_EEENS0_18inequality_wrapperIZN2at6native12_GLOBAL__N_124unique_dim_cuda_templateIiEESt5tupleIJNSH_6TensorESM_SM_EERKSM_lbbbEUlllE0_EEPmJS6_EEE10hipError_tPvRmT3_T4_T5_T6_T7_T9_mT8_P12ihipStream_tbDpT10_ENKUlT_T0_E_clISt17integral_constantIbLb0EES1C_EEDaS17_S18_EUlS17_E_NS1_11comp_targetILNS1_3genE5ELNS1_11target_archE942ELNS1_3gpuE9ELNS1_3repE0EEENS1_30default_config_static_selectorELNS0_4arch9wavefront6targetE0EEEvT1_
		.amdhsa_group_segment_fixed_size 0
		.amdhsa_private_segment_fixed_size 0
		.amdhsa_kernarg_size 120
		.amdhsa_user_sgpr_count 2
		.amdhsa_user_sgpr_dispatch_ptr 0
		.amdhsa_user_sgpr_queue_ptr 0
		.amdhsa_user_sgpr_kernarg_segment_ptr 1
		.amdhsa_user_sgpr_dispatch_id 0
		.amdhsa_user_sgpr_kernarg_preload_length 0
		.amdhsa_user_sgpr_kernarg_preload_offset 0
		.amdhsa_user_sgpr_private_segment_size 0
		.amdhsa_wavefront_size32 1
		.amdhsa_uses_dynamic_stack 0
		.amdhsa_enable_private_segment 0
		.amdhsa_system_sgpr_workgroup_id_x 1
		.amdhsa_system_sgpr_workgroup_id_y 0
		.amdhsa_system_sgpr_workgroup_id_z 0
		.amdhsa_system_sgpr_workgroup_info 0
		.amdhsa_system_vgpr_workitem_id 0
		.amdhsa_next_free_vgpr 1
		.amdhsa_next_free_sgpr 1
		.amdhsa_named_barrier_count 0
		.amdhsa_reserve_vcc 0
		.amdhsa_float_round_mode_32 0
		.amdhsa_float_round_mode_16_64 0
		.amdhsa_float_denorm_mode_32 3
		.amdhsa_float_denorm_mode_16_64 3
		.amdhsa_fp16_overflow 0
		.amdhsa_memory_ordered 1
		.amdhsa_forward_progress 1
		.amdhsa_inst_pref_size 0
		.amdhsa_round_robin_scheduling 0
		.amdhsa_exception_fp_ieee_invalid_op 0
		.amdhsa_exception_fp_denorm_src 0
		.amdhsa_exception_fp_ieee_div_zero 0
		.amdhsa_exception_fp_ieee_overflow 0
		.amdhsa_exception_fp_ieee_underflow 0
		.amdhsa_exception_fp_ieee_inexact 0
		.amdhsa_exception_int_div_zero 0
	.end_amdhsa_kernel
	.section	.text._ZN7rocprim17ROCPRIM_400000_NS6detail17trampoline_kernelINS0_14default_configENS1_25partition_config_selectorILNS1_17partition_subalgoE8ElNS0_10empty_typeEbEEZZNS1_14partition_implILS5_8ELb0ES3_jPlPS6_PKS6_NS0_5tupleIJS9_S6_EEENSD_IJSA_SA_EEENS0_18inequality_wrapperIZN2at6native12_GLOBAL__N_124unique_dim_cuda_templateIiEESt5tupleIJNSH_6TensorESM_SM_EERKSM_lbbbEUlllE0_EEPmJS6_EEE10hipError_tPvRmT3_T4_T5_T6_T7_T9_mT8_P12ihipStream_tbDpT10_ENKUlT_T0_E_clISt17integral_constantIbLb0EES1C_EEDaS17_S18_EUlS17_E_NS1_11comp_targetILNS1_3genE5ELNS1_11target_archE942ELNS1_3gpuE9ELNS1_3repE0EEENS1_30default_config_static_selectorELNS0_4arch9wavefront6targetE0EEEvT1_,"axG",@progbits,_ZN7rocprim17ROCPRIM_400000_NS6detail17trampoline_kernelINS0_14default_configENS1_25partition_config_selectorILNS1_17partition_subalgoE8ElNS0_10empty_typeEbEEZZNS1_14partition_implILS5_8ELb0ES3_jPlPS6_PKS6_NS0_5tupleIJS9_S6_EEENSD_IJSA_SA_EEENS0_18inequality_wrapperIZN2at6native12_GLOBAL__N_124unique_dim_cuda_templateIiEESt5tupleIJNSH_6TensorESM_SM_EERKSM_lbbbEUlllE0_EEPmJS6_EEE10hipError_tPvRmT3_T4_T5_T6_T7_T9_mT8_P12ihipStream_tbDpT10_ENKUlT_T0_E_clISt17integral_constantIbLb0EES1C_EEDaS17_S18_EUlS17_E_NS1_11comp_targetILNS1_3genE5ELNS1_11target_archE942ELNS1_3gpuE9ELNS1_3repE0EEENS1_30default_config_static_selectorELNS0_4arch9wavefront6targetE0EEEvT1_,comdat
.Lfunc_end442:
	.size	_ZN7rocprim17ROCPRIM_400000_NS6detail17trampoline_kernelINS0_14default_configENS1_25partition_config_selectorILNS1_17partition_subalgoE8ElNS0_10empty_typeEbEEZZNS1_14partition_implILS5_8ELb0ES3_jPlPS6_PKS6_NS0_5tupleIJS9_S6_EEENSD_IJSA_SA_EEENS0_18inequality_wrapperIZN2at6native12_GLOBAL__N_124unique_dim_cuda_templateIiEESt5tupleIJNSH_6TensorESM_SM_EERKSM_lbbbEUlllE0_EEPmJS6_EEE10hipError_tPvRmT3_T4_T5_T6_T7_T9_mT8_P12ihipStream_tbDpT10_ENKUlT_T0_E_clISt17integral_constantIbLb0EES1C_EEDaS17_S18_EUlS17_E_NS1_11comp_targetILNS1_3genE5ELNS1_11target_archE942ELNS1_3gpuE9ELNS1_3repE0EEENS1_30default_config_static_selectorELNS0_4arch9wavefront6targetE0EEEvT1_, .Lfunc_end442-_ZN7rocprim17ROCPRIM_400000_NS6detail17trampoline_kernelINS0_14default_configENS1_25partition_config_selectorILNS1_17partition_subalgoE8ElNS0_10empty_typeEbEEZZNS1_14partition_implILS5_8ELb0ES3_jPlPS6_PKS6_NS0_5tupleIJS9_S6_EEENSD_IJSA_SA_EEENS0_18inequality_wrapperIZN2at6native12_GLOBAL__N_124unique_dim_cuda_templateIiEESt5tupleIJNSH_6TensorESM_SM_EERKSM_lbbbEUlllE0_EEPmJS6_EEE10hipError_tPvRmT3_T4_T5_T6_T7_T9_mT8_P12ihipStream_tbDpT10_ENKUlT_T0_E_clISt17integral_constantIbLb0EES1C_EEDaS17_S18_EUlS17_E_NS1_11comp_targetILNS1_3genE5ELNS1_11target_archE942ELNS1_3gpuE9ELNS1_3repE0EEENS1_30default_config_static_selectorELNS0_4arch9wavefront6targetE0EEEvT1_
                                        ; -- End function
	.set _ZN7rocprim17ROCPRIM_400000_NS6detail17trampoline_kernelINS0_14default_configENS1_25partition_config_selectorILNS1_17partition_subalgoE8ElNS0_10empty_typeEbEEZZNS1_14partition_implILS5_8ELb0ES3_jPlPS6_PKS6_NS0_5tupleIJS9_S6_EEENSD_IJSA_SA_EEENS0_18inequality_wrapperIZN2at6native12_GLOBAL__N_124unique_dim_cuda_templateIiEESt5tupleIJNSH_6TensorESM_SM_EERKSM_lbbbEUlllE0_EEPmJS6_EEE10hipError_tPvRmT3_T4_T5_T6_T7_T9_mT8_P12ihipStream_tbDpT10_ENKUlT_T0_E_clISt17integral_constantIbLb0EES1C_EEDaS17_S18_EUlS17_E_NS1_11comp_targetILNS1_3genE5ELNS1_11target_archE942ELNS1_3gpuE9ELNS1_3repE0EEENS1_30default_config_static_selectorELNS0_4arch9wavefront6targetE0EEEvT1_.num_vgpr, 0
	.set _ZN7rocprim17ROCPRIM_400000_NS6detail17trampoline_kernelINS0_14default_configENS1_25partition_config_selectorILNS1_17partition_subalgoE8ElNS0_10empty_typeEbEEZZNS1_14partition_implILS5_8ELb0ES3_jPlPS6_PKS6_NS0_5tupleIJS9_S6_EEENSD_IJSA_SA_EEENS0_18inequality_wrapperIZN2at6native12_GLOBAL__N_124unique_dim_cuda_templateIiEESt5tupleIJNSH_6TensorESM_SM_EERKSM_lbbbEUlllE0_EEPmJS6_EEE10hipError_tPvRmT3_T4_T5_T6_T7_T9_mT8_P12ihipStream_tbDpT10_ENKUlT_T0_E_clISt17integral_constantIbLb0EES1C_EEDaS17_S18_EUlS17_E_NS1_11comp_targetILNS1_3genE5ELNS1_11target_archE942ELNS1_3gpuE9ELNS1_3repE0EEENS1_30default_config_static_selectorELNS0_4arch9wavefront6targetE0EEEvT1_.num_agpr, 0
	.set _ZN7rocprim17ROCPRIM_400000_NS6detail17trampoline_kernelINS0_14default_configENS1_25partition_config_selectorILNS1_17partition_subalgoE8ElNS0_10empty_typeEbEEZZNS1_14partition_implILS5_8ELb0ES3_jPlPS6_PKS6_NS0_5tupleIJS9_S6_EEENSD_IJSA_SA_EEENS0_18inequality_wrapperIZN2at6native12_GLOBAL__N_124unique_dim_cuda_templateIiEESt5tupleIJNSH_6TensorESM_SM_EERKSM_lbbbEUlllE0_EEPmJS6_EEE10hipError_tPvRmT3_T4_T5_T6_T7_T9_mT8_P12ihipStream_tbDpT10_ENKUlT_T0_E_clISt17integral_constantIbLb0EES1C_EEDaS17_S18_EUlS17_E_NS1_11comp_targetILNS1_3genE5ELNS1_11target_archE942ELNS1_3gpuE9ELNS1_3repE0EEENS1_30default_config_static_selectorELNS0_4arch9wavefront6targetE0EEEvT1_.numbered_sgpr, 0
	.set _ZN7rocprim17ROCPRIM_400000_NS6detail17trampoline_kernelINS0_14default_configENS1_25partition_config_selectorILNS1_17partition_subalgoE8ElNS0_10empty_typeEbEEZZNS1_14partition_implILS5_8ELb0ES3_jPlPS6_PKS6_NS0_5tupleIJS9_S6_EEENSD_IJSA_SA_EEENS0_18inequality_wrapperIZN2at6native12_GLOBAL__N_124unique_dim_cuda_templateIiEESt5tupleIJNSH_6TensorESM_SM_EERKSM_lbbbEUlllE0_EEPmJS6_EEE10hipError_tPvRmT3_T4_T5_T6_T7_T9_mT8_P12ihipStream_tbDpT10_ENKUlT_T0_E_clISt17integral_constantIbLb0EES1C_EEDaS17_S18_EUlS17_E_NS1_11comp_targetILNS1_3genE5ELNS1_11target_archE942ELNS1_3gpuE9ELNS1_3repE0EEENS1_30default_config_static_selectorELNS0_4arch9wavefront6targetE0EEEvT1_.num_named_barrier, 0
	.set _ZN7rocprim17ROCPRIM_400000_NS6detail17trampoline_kernelINS0_14default_configENS1_25partition_config_selectorILNS1_17partition_subalgoE8ElNS0_10empty_typeEbEEZZNS1_14partition_implILS5_8ELb0ES3_jPlPS6_PKS6_NS0_5tupleIJS9_S6_EEENSD_IJSA_SA_EEENS0_18inequality_wrapperIZN2at6native12_GLOBAL__N_124unique_dim_cuda_templateIiEESt5tupleIJNSH_6TensorESM_SM_EERKSM_lbbbEUlllE0_EEPmJS6_EEE10hipError_tPvRmT3_T4_T5_T6_T7_T9_mT8_P12ihipStream_tbDpT10_ENKUlT_T0_E_clISt17integral_constantIbLb0EES1C_EEDaS17_S18_EUlS17_E_NS1_11comp_targetILNS1_3genE5ELNS1_11target_archE942ELNS1_3gpuE9ELNS1_3repE0EEENS1_30default_config_static_selectorELNS0_4arch9wavefront6targetE0EEEvT1_.private_seg_size, 0
	.set _ZN7rocprim17ROCPRIM_400000_NS6detail17trampoline_kernelINS0_14default_configENS1_25partition_config_selectorILNS1_17partition_subalgoE8ElNS0_10empty_typeEbEEZZNS1_14partition_implILS5_8ELb0ES3_jPlPS6_PKS6_NS0_5tupleIJS9_S6_EEENSD_IJSA_SA_EEENS0_18inequality_wrapperIZN2at6native12_GLOBAL__N_124unique_dim_cuda_templateIiEESt5tupleIJNSH_6TensorESM_SM_EERKSM_lbbbEUlllE0_EEPmJS6_EEE10hipError_tPvRmT3_T4_T5_T6_T7_T9_mT8_P12ihipStream_tbDpT10_ENKUlT_T0_E_clISt17integral_constantIbLb0EES1C_EEDaS17_S18_EUlS17_E_NS1_11comp_targetILNS1_3genE5ELNS1_11target_archE942ELNS1_3gpuE9ELNS1_3repE0EEENS1_30default_config_static_selectorELNS0_4arch9wavefront6targetE0EEEvT1_.uses_vcc, 0
	.set _ZN7rocprim17ROCPRIM_400000_NS6detail17trampoline_kernelINS0_14default_configENS1_25partition_config_selectorILNS1_17partition_subalgoE8ElNS0_10empty_typeEbEEZZNS1_14partition_implILS5_8ELb0ES3_jPlPS6_PKS6_NS0_5tupleIJS9_S6_EEENSD_IJSA_SA_EEENS0_18inequality_wrapperIZN2at6native12_GLOBAL__N_124unique_dim_cuda_templateIiEESt5tupleIJNSH_6TensorESM_SM_EERKSM_lbbbEUlllE0_EEPmJS6_EEE10hipError_tPvRmT3_T4_T5_T6_T7_T9_mT8_P12ihipStream_tbDpT10_ENKUlT_T0_E_clISt17integral_constantIbLb0EES1C_EEDaS17_S18_EUlS17_E_NS1_11comp_targetILNS1_3genE5ELNS1_11target_archE942ELNS1_3gpuE9ELNS1_3repE0EEENS1_30default_config_static_selectorELNS0_4arch9wavefront6targetE0EEEvT1_.uses_flat_scratch, 0
	.set _ZN7rocprim17ROCPRIM_400000_NS6detail17trampoline_kernelINS0_14default_configENS1_25partition_config_selectorILNS1_17partition_subalgoE8ElNS0_10empty_typeEbEEZZNS1_14partition_implILS5_8ELb0ES3_jPlPS6_PKS6_NS0_5tupleIJS9_S6_EEENSD_IJSA_SA_EEENS0_18inequality_wrapperIZN2at6native12_GLOBAL__N_124unique_dim_cuda_templateIiEESt5tupleIJNSH_6TensorESM_SM_EERKSM_lbbbEUlllE0_EEPmJS6_EEE10hipError_tPvRmT3_T4_T5_T6_T7_T9_mT8_P12ihipStream_tbDpT10_ENKUlT_T0_E_clISt17integral_constantIbLb0EES1C_EEDaS17_S18_EUlS17_E_NS1_11comp_targetILNS1_3genE5ELNS1_11target_archE942ELNS1_3gpuE9ELNS1_3repE0EEENS1_30default_config_static_selectorELNS0_4arch9wavefront6targetE0EEEvT1_.has_dyn_sized_stack, 0
	.set _ZN7rocprim17ROCPRIM_400000_NS6detail17trampoline_kernelINS0_14default_configENS1_25partition_config_selectorILNS1_17partition_subalgoE8ElNS0_10empty_typeEbEEZZNS1_14partition_implILS5_8ELb0ES3_jPlPS6_PKS6_NS0_5tupleIJS9_S6_EEENSD_IJSA_SA_EEENS0_18inequality_wrapperIZN2at6native12_GLOBAL__N_124unique_dim_cuda_templateIiEESt5tupleIJNSH_6TensorESM_SM_EERKSM_lbbbEUlllE0_EEPmJS6_EEE10hipError_tPvRmT3_T4_T5_T6_T7_T9_mT8_P12ihipStream_tbDpT10_ENKUlT_T0_E_clISt17integral_constantIbLb0EES1C_EEDaS17_S18_EUlS17_E_NS1_11comp_targetILNS1_3genE5ELNS1_11target_archE942ELNS1_3gpuE9ELNS1_3repE0EEENS1_30default_config_static_selectorELNS0_4arch9wavefront6targetE0EEEvT1_.has_recursion, 0
	.set _ZN7rocprim17ROCPRIM_400000_NS6detail17trampoline_kernelINS0_14default_configENS1_25partition_config_selectorILNS1_17partition_subalgoE8ElNS0_10empty_typeEbEEZZNS1_14partition_implILS5_8ELb0ES3_jPlPS6_PKS6_NS0_5tupleIJS9_S6_EEENSD_IJSA_SA_EEENS0_18inequality_wrapperIZN2at6native12_GLOBAL__N_124unique_dim_cuda_templateIiEESt5tupleIJNSH_6TensorESM_SM_EERKSM_lbbbEUlllE0_EEPmJS6_EEE10hipError_tPvRmT3_T4_T5_T6_T7_T9_mT8_P12ihipStream_tbDpT10_ENKUlT_T0_E_clISt17integral_constantIbLb0EES1C_EEDaS17_S18_EUlS17_E_NS1_11comp_targetILNS1_3genE5ELNS1_11target_archE942ELNS1_3gpuE9ELNS1_3repE0EEENS1_30default_config_static_selectorELNS0_4arch9wavefront6targetE0EEEvT1_.has_indirect_call, 0
	.section	.AMDGPU.csdata,"",@progbits
; Kernel info:
; codeLenInByte = 0
; TotalNumSgprs: 0
; NumVgprs: 0
; ScratchSize: 0
; MemoryBound: 0
; FloatMode: 240
; IeeeMode: 1
; LDSByteSize: 0 bytes/workgroup (compile time only)
; SGPRBlocks: 0
; VGPRBlocks: 0
; NumSGPRsForWavesPerEU: 1
; NumVGPRsForWavesPerEU: 1
; NamedBarCnt: 0
; Occupancy: 16
; WaveLimiterHint : 0
; COMPUTE_PGM_RSRC2:SCRATCH_EN: 0
; COMPUTE_PGM_RSRC2:USER_SGPR: 2
; COMPUTE_PGM_RSRC2:TRAP_HANDLER: 0
; COMPUTE_PGM_RSRC2:TGID_X_EN: 1
; COMPUTE_PGM_RSRC2:TGID_Y_EN: 0
; COMPUTE_PGM_RSRC2:TGID_Z_EN: 0
; COMPUTE_PGM_RSRC2:TIDIG_COMP_CNT: 0
	.section	.text._ZN7rocprim17ROCPRIM_400000_NS6detail17trampoline_kernelINS0_14default_configENS1_25partition_config_selectorILNS1_17partition_subalgoE8ElNS0_10empty_typeEbEEZZNS1_14partition_implILS5_8ELb0ES3_jPlPS6_PKS6_NS0_5tupleIJS9_S6_EEENSD_IJSA_SA_EEENS0_18inequality_wrapperIZN2at6native12_GLOBAL__N_124unique_dim_cuda_templateIiEESt5tupleIJNSH_6TensorESM_SM_EERKSM_lbbbEUlllE0_EEPmJS6_EEE10hipError_tPvRmT3_T4_T5_T6_T7_T9_mT8_P12ihipStream_tbDpT10_ENKUlT_T0_E_clISt17integral_constantIbLb0EES1C_EEDaS17_S18_EUlS17_E_NS1_11comp_targetILNS1_3genE4ELNS1_11target_archE910ELNS1_3gpuE8ELNS1_3repE0EEENS1_30default_config_static_selectorELNS0_4arch9wavefront6targetE0EEEvT1_,"axG",@progbits,_ZN7rocprim17ROCPRIM_400000_NS6detail17trampoline_kernelINS0_14default_configENS1_25partition_config_selectorILNS1_17partition_subalgoE8ElNS0_10empty_typeEbEEZZNS1_14partition_implILS5_8ELb0ES3_jPlPS6_PKS6_NS0_5tupleIJS9_S6_EEENSD_IJSA_SA_EEENS0_18inequality_wrapperIZN2at6native12_GLOBAL__N_124unique_dim_cuda_templateIiEESt5tupleIJNSH_6TensorESM_SM_EERKSM_lbbbEUlllE0_EEPmJS6_EEE10hipError_tPvRmT3_T4_T5_T6_T7_T9_mT8_P12ihipStream_tbDpT10_ENKUlT_T0_E_clISt17integral_constantIbLb0EES1C_EEDaS17_S18_EUlS17_E_NS1_11comp_targetILNS1_3genE4ELNS1_11target_archE910ELNS1_3gpuE8ELNS1_3repE0EEENS1_30default_config_static_selectorELNS0_4arch9wavefront6targetE0EEEvT1_,comdat
	.globl	_ZN7rocprim17ROCPRIM_400000_NS6detail17trampoline_kernelINS0_14default_configENS1_25partition_config_selectorILNS1_17partition_subalgoE8ElNS0_10empty_typeEbEEZZNS1_14partition_implILS5_8ELb0ES3_jPlPS6_PKS6_NS0_5tupleIJS9_S6_EEENSD_IJSA_SA_EEENS0_18inequality_wrapperIZN2at6native12_GLOBAL__N_124unique_dim_cuda_templateIiEESt5tupleIJNSH_6TensorESM_SM_EERKSM_lbbbEUlllE0_EEPmJS6_EEE10hipError_tPvRmT3_T4_T5_T6_T7_T9_mT8_P12ihipStream_tbDpT10_ENKUlT_T0_E_clISt17integral_constantIbLb0EES1C_EEDaS17_S18_EUlS17_E_NS1_11comp_targetILNS1_3genE4ELNS1_11target_archE910ELNS1_3gpuE8ELNS1_3repE0EEENS1_30default_config_static_selectorELNS0_4arch9wavefront6targetE0EEEvT1_ ; -- Begin function _ZN7rocprim17ROCPRIM_400000_NS6detail17trampoline_kernelINS0_14default_configENS1_25partition_config_selectorILNS1_17partition_subalgoE8ElNS0_10empty_typeEbEEZZNS1_14partition_implILS5_8ELb0ES3_jPlPS6_PKS6_NS0_5tupleIJS9_S6_EEENSD_IJSA_SA_EEENS0_18inequality_wrapperIZN2at6native12_GLOBAL__N_124unique_dim_cuda_templateIiEESt5tupleIJNSH_6TensorESM_SM_EERKSM_lbbbEUlllE0_EEPmJS6_EEE10hipError_tPvRmT3_T4_T5_T6_T7_T9_mT8_P12ihipStream_tbDpT10_ENKUlT_T0_E_clISt17integral_constantIbLb0EES1C_EEDaS17_S18_EUlS17_E_NS1_11comp_targetILNS1_3genE4ELNS1_11target_archE910ELNS1_3gpuE8ELNS1_3repE0EEENS1_30default_config_static_selectorELNS0_4arch9wavefront6targetE0EEEvT1_
	.p2align	8
	.type	_ZN7rocprim17ROCPRIM_400000_NS6detail17trampoline_kernelINS0_14default_configENS1_25partition_config_selectorILNS1_17partition_subalgoE8ElNS0_10empty_typeEbEEZZNS1_14partition_implILS5_8ELb0ES3_jPlPS6_PKS6_NS0_5tupleIJS9_S6_EEENSD_IJSA_SA_EEENS0_18inequality_wrapperIZN2at6native12_GLOBAL__N_124unique_dim_cuda_templateIiEESt5tupleIJNSH_6TensorESM_SM_EERKSM_lbbbEUlllE0_EEPmJS6_EEE10hipError_tPvRmT3_T4_T5_T6_T7_T9_mT8_P12ihipStream_tbDpT10_ENKUlT_T0_E_clISt17integral_constantIbLb0EES1C_EEDaS17_S18_EUlS17_E_NS1_11comp_targetILNS1_3genE4ELNS1_11target_archE910ELNS1_3gpuE8ELNS1_3repE0EEENS1_30default_config_static_selectorELNS0_4arch9wavefront6targetE0EEEvT1_,@function
_ZN7rocprim17ROCPRIM_400000_NS6detail17trampoline_kernelINS0_14default_configENS1_25partition_config_selectorILNS1_17partition_subalgoE8ElNS0_10empty_typeEbEEZZNS1_14partition_implILS5_8ELb0ES3_jPlPS6_PKS6_NS0_5tupleIJS9_S6_EEENSD_IJSA_SA_EEENS0_18inequality_wrapperIZN2at6native12_GLOBAL__N_124unique_dim_cuda_templateIiEESt5tupleIJNSH_6TensorESM_SM_EERKSM_lbbbEUlllE0_EEPmJS6_EEE10hipError_tPvRmT3_T4_T5_T6_T7_T9_mT8_P12ihipStream_tbDpT10_ENKUlT_T0_E_clISt17integral_constantIbLb0EES1C_EEDaS17_S18_EUlS17_E_NS1_11comp_targetILNS1_3genE4ELNS1_11target_archE910ELNS1_3gpuE8ELNS1_3repE0EEENS1_30default_config_static_selectorELNS0_4arch9wavefront6targetE0EEEvT1_: ; @_ZN7rocprim17ROCPRIM_400000_NS6detail17trampoline_kernelINS0_14default_configENS1_25partition_config_selectorILNS1_17partition_subalgoE8ElNS0_10empty_typeEbEEZZNS1_14partition_implILS5_8ELb0ES3_jPlPS6_PKS6_NS0_5tupleIJS9_S6_EEENSD_IJSA_SA_EEENS0_18inequality_wrapperIZN2at6native12_GLOBAL__N_124unique_dim_cuda_templateIiEESt5tupleIJNSH_6TensorESM_SM_EERKSM_lbbbEUlllE0_EEPmJS6_EEE10hipError_tPvRmT3_T4_T5_T6_T7_T9_mT8_P12ihipStream_tbDpT10_ENKUlT_T0_E_clISt17integral_constantIbLb0EES1C_EEDaS17_S18_EUlS17_E_NS1_11comp_targetILNS1_3genE4ELNS1_11target_archE910ELNS1_3gpuE8ELNS1_3repE0EEENS1_30default_config_static_selectorELNS0_4arch9wavefront6targetE0EEEvT1_
; %bb.0:
	.section	.rodata,"a",@progbits
	.p2align	6, 0x0
	.amdhsa_kernel _ZN7rocprim17ROCPRIM_400000_NS6detail17trampoline_kernelINS0_14default_configENS1_25partition_config_selectorILNS1_17partition_subalgoE8ElNS0_10empty_typeEbEEZZNS1_14partition_implILS5_8ELb0ES3_jPlPS6_PKS6_NS0_5tupleIJS9_S6_EEENSD_IJSA_SA_EEENS0_18inequality_wrapperIZN2at6native12_GLOBAL__N_124unique_dim_cuda_templateIiEESt5tupleIJNSH_6TensorESM_SM_EERKSM_lbbbEUlllE0_EEPmJS6_EEE10hipError_tPvRmT3_T4_T5_T6_T7_T9_mT8_P12ihipStream_tbDpT10_ENKUlT_T0_E_clISt17integral_constantIbLb0EES1C_EEDaS17_S18_EUlS17_E_NS1_11comp_targetILNS1_3genE4ELNS1_11target_archE910ELNS1_3gpuE8ELNS1_3repE0EEENS1_30default_config_static_selectorELNS0_4arch9wavefront6targetE0EEEvT1_
		.amdhsa_group_segment_fixed_size 0
		.amdhsa_private_segment_fixed_size 0
		.amdhsa_kernarg_size 120
		.amdhsa_user_sgpr_count 2
		.amdhsa_user_sgpr_dispatch_ptr 0
		.amdhsa_user_sgpr_queue_ptr 0
		.amdhsa_user_sgpr_kernarg_segment_ptr 1
		.amdhsa_user_sgpr_dispatch_id 0
		.amdhsa_user_sgpr_kernarg_preload_length 0
		.amdhsa_user_sgpr_kernarg_preload_offset 0
		.amdhsa_user_sgpr_private_segment_size 0
		.amdhsa_wavefront_size32 1
		.amdhsa_uses_dynamic_stack 0
		.amdhsa_enable_private_segment 0
		.amdhsa_system_sgpr_workgroup_id_x 1
		.amdhsa_system_sgpr_workgroup_id_y 0
		.amdhsa_system_sgpr_workgroup_id_z 0
		.amdhsa_system_sgpr_workgroup_info 0
		.amdhsa_system_vgpr_workitem_id 0
		.amdhsa_next_free_vgpr 1
		.amdhsa_next_free_sgpr 1
		.amdhsa_named_barrier_count 0
		.amdhsa_reserve_vcc 0
		.amdhsa_float_round_mode_32 0
		.amdhsa_float_round_mode_16_64 0
		.amdhsa_float_denorm_mode_32 3
		.amdhsa_float_denorm_mode_16_64 3
		.amdhsa_fp16_overflow 0
		.amdhsa_memory_ordered 1
		.amdhsa_forward_progress 1
		.amdhsa_inst_pref_size 0
		.amdhsa_round_robin_scheduling 0
		.amdhsa_exception_fp_ieee_invalid_op 0
		.amdhsa_exception_fp_denorm_src 0
		.amdhsa_exception_fp_ieee_div_zero 0
		.amdhsa_exception_fp_ieee_overflow 0
		.amdhsa_exception_fp_ieee_underflow 0
		.amdhsa_exception_fp_ieee_inexact 0
		.amdhsa_exception_int_div_zero 0
	.end_amdhsa_kernel
	.section	.text._ZN7rocprim17ROCPRIM_400000_NS6detail17trampoline_kernelINS0_14default_configENS1_25partition_config_selectorILNS1_17partition_subalgoE8ElNS0_10empty_typeEbEEZZNS1_14partition_implILS5_8ELb0ES3_jPlPS6_PKS6_NS0_5tupleIJS9_S6_EEENSD_IJSA_SA_EEENS0_18inequality_wrapperIZN2at6native12_GLOBAL__N_124unique_dim_cuda_templateIiEESt5tupleIJNSH_6TensorESM_SM_EERKSM_lbbbEUlllE0_EEPmJS6_EEE10hipError_tPvRmT3_T4_T5_T6_T7_T9_mT8_P12ihipStream_tbDpT10_ENKUlT_T0_E_clISt17integral_constantIbLb0EES1C_EEDaS17_S18_EUlS17_E_NS1_11comp_targetILNS1_3genE4ELNS1_11target_archE910ELNS1_3gpuE8ELNS1_3repE0EEENS1_30default_config_static_selectorELNS0_4arch9wavefront6targetE0EEEvT1_,"axG",@progbits,_ZN7rocprim17ROCPRIM_400000_NS6detail17trampoline_kernelINS0_14default_configENS1_25partition_config_selectorILNS1_17partition_subalgoE8ElNS0_10empty_typeEbEEZZNS1_14partition_implILS5_8ELb0ES3_jPlPS6_PKS6_NS0_5tupleIJS9_S6_EEENSD_IJSA_SA_EEENS0_18inequality_wrapperIZN2at6native12_GLOBAL__N_124unique_dim_cuda_templateIiEESt5tupleIJNSH_6TensorESM_SM_EERKSM_lbbbEUlllE0_EEPmJS6_EEE10hipError_tPvRmT3_T4_T5_T6_T7_T9_mT8_P12ihipStream_tbDpT10_ENKUlT_T0_E_clISt17integral_constantIbLb0EES1C_EEDaS17_S18_EUlS17_E_NS1_11comp_targetILNS1_3genE4ELNS1_11target_archE910ELNS1_3gpuE8ELNS1_3repE0EEENS1_30default_config_static_selectorELNS0_4arch9wavefront6targetE0EEEvT1_,comdat
.Lfunc_end443:
	.size	_ZN7rocprim17ROCPRIM_400000_NS6detail17trampoline_kernelINS0_14default_configENS1_25partition_config_selectorILNS1_17partition_subalgoE8ElNS0_10empty_typeEbEEZZNS1_14partition_implILS5_8ELb0ES3_jPlPS6_PKS6_NS0_5tupleIJS9_S6_EEENSD_IJSA_SA_EEENS0_18inequality_wrapperIZN2at6native12_GLOBAL__N_124unique_dim_cuda_templateIiEESt5tupleIJNSH_6TensorESM_SM_EERKSM_lbbbEUlllE0_EEPmJS6_EEE10hipError_tPvRmT3_T4_T5_T6_T7_T9_mT8_P12ihipStream_tbDpT10_ENKUlT_T0_E_clISt17integral_constantIbLb0EES1C_EEDaS17_S18_EUlS17_E_NS1_11comp_targetILNS1_3genE4ELNS1_11target_archE910ELNS1_3gpuE8ELNS1_3repE0EEENS1_30default_config_static_selectorELNS0_4arch9wavefront6targetE0EEEvT1_, .Lfunc_end443-_ZN7rocprim17ROCPRIM_400000_NS6detail17trampoline_kernelINS0_14default_configENS1_25partition_config_selectorILNS1_17partition_subalgoE8ElNS0_10empty_typeEbEEZZNS1_14partition_implILS5_8ELb0ES3_jPlPS6_PKS6_NS0_5tupleIJS9_S6_EEENSD_IJSA_SA_EEENS0_18inequality_wrapperIZN2at6native12_GLOBAL__N_124unique_dim_cuda_templateIiEESt5tupleIJNSH_6TensorESM_SM_EERKSM_lbbbEUlllE0_EEPmJS6_EEE10hipError_tPvRmT3_T4_T5_T6_T7_T9_mT8_P12ihipStream_tbDpT10_ENKUlT_T0_E_clISt17integral_constantIbLb0EES1C_EEDaS17_S18_EUlS17_E_NS1_11comp_targetILNS1_3genE4ELNS1_11target_archE910ELNS1_3gpuE8ELNS1_3repE0EEENS1_30default_config_static_selectorELNS0_4arch9wavefront6targetE0EEEvT1_
                                        ; -- End function
	.set _ZN7rocprim17ROCPRIM_400000_NS6detail17trampoline_kernelINS0_14default_configENS1_25partition_config_selectorILNS1_17partition_subalgoE8ElNS0_10empty_typeEbEEZZNS1_14partition_implILS5_8ELb0ES3_jPlPS6_PKS6_NS0_5tupleIJS9_S6_EEENSD_IJSA_SA_EEENS0_18inequality_wrapperIZN2at6native12_GLOBAL__N_124unique_dim_cuda_templateIiEESt5tupleIJNSH_6TensorESM_SM_EERKSM_lbbbEUlllE0_EEPmJS6_EEE10hipError_tPvRmT3_T4_T5_T6_T7_T9_mT8_P12ihipStream_tbDpT10_ENKUlT_T0_E_clISt17integral_constantIbLb0EES1C_EEDaS17_S18_EUlS17_E_NS1_11comp_targetILNS1_3genE4ELNS1_11target_archE910ELNS1_3gpuE8ELNS1_3repE0EEENS1_30default_config_static_selectorELNS0_4arch9wavefront6targetE0EEEvT1_.num_vgpr, 0
	.set _ZN7rocprim17ROCPRIM_400000_NS6detail17trampoline_kernelINS0_14default_configENS1_25partition_config_selectorILNS1_17partition_subalgoE8ElNS0_10empty_typeEbEEZZNS1_14partition_implILS5_8ELb0ES3_jPlPS6_PKS6_NS0_5tupleIJS9_S6_EEENSD_IJSA_SA_EEENS0_18inequality_wrapperIZN2at6native12_GLOBAL__N_124unique_dim_cuda_templateIiEESt5tupleIJNSH_6TensorESM_SM_EERKSM_lbbbEUlllE0_EEPmJS6_EEE10hipError_tPvRmT3_T4_T5_T6_T7_T9_mT8_P12ihipStream_tbDpT10_ENKUlT_T0_E_clISt17integral_constantIbLb0EES1C_EEDaS17_S18_EUlS17_E_NS1_11comp_targetILNS1_3genE4ELNS1_11target_archE910ELNS1_3gpuE8ELNS1_3repE0EEENS1_30default_config_static_selectorELNS0_4arch9wavefront6targetE0EEEvT1_.num_agpr, 0
	.set _ZN7rocprim17ROCPRIM_400000_NS6detail17trampoline_kernelINS0_14default_configENS1_25partition_config_selectorILNS1_17partition_subalgoE8ElNS0_10empty_typeEbEEZZNS1_14partition_implILS5_8ELb0ES3_jPlPS6_PKS6_NS0_5tupleIJS9_S6_EEENSD_IJSA_SA_EEENS0_18inequality_wrapperIZN2at6native12_GLOBAL__N_124unique_dim_cuda_templateIiEESt5tupleIJNSH_6TensorESM_SM_EERKSM_lbbbEUlllE0_EEPmJS6_EEE10hipError_tPvRmT3_T4_T5_T6_T7_T9_mT8_P12ihipStream_tbDpT10_ENKUlT_T0_E_clISt17integral_constantIbLb0EES1C_EEDaS17_S18_EUlS17_E_NS1_11comp_targetILNS1_3genE4ELNS1_11target_archE910ELNS1_3gpuE8ELNS1_3repE0EEENS1_30default_config_static_selectorELNS0_4arch9wavefront6targetE0EEEvT1_.numbered_sgpr, 0
	.set _ZN7rocprim17ROCPRIM_400000_NS6detail17trampoline_kernelINS0_14default_configENS1_25partition_config_selectorILNS1_17partition_subalgoE8ElNS0_10empty_typeEbEEZZNS1_14partition_implILS5_8ELb0ES3_jPlPS6_PKS6_NS0_5tupleIJS9_S6_EEENSD_IJSA_SA_EEENS0_18inequality_wrapperIZN2at6native12_GLOBAL__N_124unique_dim_cuda_templateIiEESt5tupleIJNSH_6TensorESM_SM_EERKSM_lbbbEUlllE0_EEPmJS6_EEE10hipError_tPvRmT3_T4_T5_T6_T7_T9_mT8_P12ihipStream_tbDpT10_ENKUlT_T0_E_clISt17integral_constantIbLb0EES1C_EEDaS17_S18_EUlS17_E_NS1_11comp_targetILNS1_3genE4ELNS1_11target_archE910ELNS1_3gpuE8ELNS1_3repE0EEENS1_30default_config_static_selectorELNS0_4arch9wavefront6targetE0EEEvT1_.num_named_barrier, 0
	.set _ZN7rocprim17ROCPRIM_400000_NS6detail17trampoline_kernelINS0_14default_configENS1_25partition_config_selectorILNS1_17partition_subalgoE8ElNS0_10empty_typeEbEEZZNS1_14partition_implILS5_8ELb0ES3_jPlPS6_PKS6_NS0_5tupleIJS9_S6_EEENSD_IJSA_SA_EEENS0_18inequality_wrapperIZN2at6native12_GLOBAL__N_124unique_dim_cuda_templateIiEESt5tupleIJNSH_6TensorESM_SM_EERKSM_lbbbEUlllE0_EEPmJS6_EEE10hipError_tPvRmT3_T4_T5_T6_T7_T9_mT8_P12ihipStream_tbDpT10_ENKUlT_T0_E_clISt17integral_constantIbLb0EES1C_EEDaS17_S18_EUlS17_E_NS1_11comp_targetILNS1_3genE4ELNS1_11target_archE910ELNS1_3gpuE8ELNS1_3repE0EEENS1_30default_config_static_selectorELNS0_4arch9wavefront6targetE0EEEvT1_.private_seg_size, 0
	.set _ZN7rocprim17ROCPRIM_400000_NS6detail17trampoline_kernelINS0_14default_configENS1_25partition_config_selectorILNS1_17partition_subalgoE8ElNS0_10empty_typeEbEEZZNS1_14partition_implILS5_8ELb0ES3_jPlPS6_PKS6_NS0_5tupleIJS9_S6_EEENSD_IJSA_SA_EEENS0_18inequality_wrapperIZN2at6native12_GLOBAL__N_124unique_dim_cuda_templateIiEESt5tupleIJNSH_6TensorESM_SM_EERKSM_lbbbEUlllE0_EEPmJS6_EEE10hipError_tPvRmT3_T4_T5_T6_T7_T9_mT8_P12ihipStream_tbDpT10_ENKUlT_T0_E_clISt17integral_constantIbLb0EES1C_EEDaS17_S18_EUlS17_E_NS1_11comp_targetILNS1_3genE4ELNS1_11target_archE910ELNS1_3gpuE8ELNS1_3repE0EEENS1_30default_config_static_selectorELNS0_4arch9wavefront6targetE0EEEvT1_.uses_vcc, 0
	.set _ZN7rocprim17ROCPRIM_400000_NS6detail17trampoline_kernelINS0_14default_configENS1_25partition_config_selectorILNS1_17partition_subalgoE8ElNS0_10empty_typeEbEEZZNS1_14partition_implILS5_8ELb0ES3_jPlPS6_PKS6_NS0_5tupleIJS9_S6_EEENSD_IJSA_SA_EEENS0_18inequality_wrapperIZN2at6native12_GLOBAL__N_124unique_dim_cuda_templateIiEESt5tupleIJNSH_6TensorESM_SM_EERKSM_lbbbEUlllE0_EEPmJS6_EEE10hipError_tPvRmT3_T4_T5_T6_T7_T9_mT8_P12ihipStream_tbDpT10_ENKUlT_T0_E_clISt17integral_constantIbLb0EES1C_EEDaS17_S18_EUlS17_E_NS1_11comp_targetILNS1_3genE4ELNS1_11target_archE910ELNS1_3gpuE8ELNS1_3repE0EEENS1_30default_config_static_selectorELNS0_4arch9wavefront6targetE0EEEvT1_.uses_flat_scratch, 0
	.set _ZN7rocprim17ROCPRIM_400000_NS6detail17trampoline_kernelINS0_14default_configENS1_25partition_config_selectorILNS1_17partition_subalgoE8ElNS0_10empty_typeEbEEZZNS1_14partition_implILS5_8ELb0ES3_jPlPS6_PKS6_NS0_5tupleIJS9_S6_EEENSD_IJSA_SA_EEENS0_18inequality_wrapperIZN2at6native12_GLOBAL__N_124unique_dim_cuda_templateIiEESt5tupleIJNSH_6TensorESM_SM_EERKSM_lbbbEUlllE0_EEPmJS6_EEE10hipError_tPvRmT3_T4_T5_T6_T7_T9_mT8_P12ihipStream_tbDpT10_ENKUlT_T0_E_clISt17integral_constantIbLb0EES1C_EEDaS17_S18_EUlS17_E_NS1_11comp_targetILNS1_3genE4ELNS1_11target_archE910ELNS1_3gpuE8ELNS1_3repE0EEENS1_30default_config_static_selectorELNS0_4arch9wavefront6targetE0EEEvT1_.has_dyn_sized_stack, 0
	.set _ZN7rocprim17ROCPRIM_400000_NS6detail17trampoline_kernelINS0_14default_configENS1_25partition_config_selectorILNS1_17partition_subalgoE8ElNS0_10empty_typeEbEEZZNS1_14partition_implILS5_8ELb0ES3_jPlPS6_PKS6_NS0_5tupleIJS9_S6_EEENSD_IJSA_SA_EEENS0_18inequality_wrapperIZN2at6native12_GLOBAL__N_124unique_dim_cuda_templateIiEESt5tupleIJNSH_6TensorESM_SM_EERKSM_lbbbEUlllE0_EEPmJS6_EEE10hipError_tPvRmT3_T4_T5_T6_T7_T9_mT8_P12ihipStream_tbDpT10_ENKUlT_T0_E_clISt17integral_constantIbLb0EES1C_EEDaS17_S18_EUlS17_E_NS1_11comp_targetILNS1_3genE4ELNS1_11target_archE910ELNS1_3gpuE8ELNS1_3repE0EEENS1_30default_config_static_selectorELNS0_4arch9wavefront6targetE0EEEvT1_.has_recursion, 0
	.set _ZN7rocprim17ROCPRIM_400000_NS6detail17trampoline_kernelINS0_14default_configENS1_25partition_config_selectorILNS1_17partition_subalgoE8ElNS0_10empty_typeEbEEZZNS1_14partition_implILS5_8ELb0ES3_jPlPS6_PKS6_NS0_5tupleIJS9_S6_EEENSD_IJSA_SA_EEENS0_18inequality_wrapperIZN2at6native12_GLOBAL__N_124unique_dim_cuda_templateIiEESt5tupleIJNSH_6TensorESM_SM_EERKSM_lbbbEUlllE0_EEPmJS6_EEE10hipError_tPvRmT3_T4_T5_T6_T7_T9_mT8_P12ihipStream_tbDpT10_ENKUlT_T0_E_clISt17integral_constantIbLb0EES1C_EEDaS17_S18_EUlS17_E_NS1_11comp_targetILNS1_3genE4ELNS1_11target_archE910ELNS1_3gpuE8ELNS1_3repE0EEENS1_30default_config_static_selectorELNS0_4arch9wavefront6targetE0EEEvT1_.has_indirect_call, 0
	.section	.AMDGPU.csdata,"",@progbits
; Kernel info:
; codeLenInByte = 0
; TotalNumSgprs: 0
; NumVgprs: 0
; ScratchSize: 0
; MemoryBound: 0
; FloatMode: 240
; IeeeMode: 1
; LDSByteSize: 0 bytes/workgroup (compile time only)
; SGPRBlocks: 0
; VGPRBlocks: 0
; NumSGPRsForWavesPerEU: 1
; NumVGPRsForWavesPerEU: 1
; NamedBarCnt: 0
; Occupancy: 16
; WaveLimiterHint : 0
; COMPUTE_PGM_RSRC2:SCRATCH_EN: 0
; COMPUTE_PGM_RSRC2:USER_SGPR: 2
; COMPUTE_PGM_RSRC2:TRAP_HANDLER: 0
; COMPUTE_PGM_RSRC2:TGID_X_EN: 1
; COMPUTE_PGM_RSRC2:TGID_Y_EN: 0
; COMPUTE_PGM_RSRC2:TGID_Z_EN: 0
; COMPUTE_PGM_RSRC2:TIDIG_COMP_CNT: 0
	.section	.text._ZN7rocprim17ROCPRIM_400000_NS6detail17trampoline_kernelINS0_14default_configENS1_25partition_config_selectorILNS1_17partition_subalgoE8ElNS0_10empty_typeEbEEZZNS1_14partition_implILS5_8ELb0ES3_jPlPS6_PKS6_NS0_5tupleIJS9_S6_EEENSD_IJSA_SA_EEENS0_18inequality_wrapperIZN2at6native12_GLOBAL__N_124unique_dim_cuda_templateIiEESt5tupleIJNSH_6TensorESM_SM_EERKSM_lbbbEUlllE0_EEPmJS6_EEE10hipError_tPvRmT3_T4_T5_T6_T7_T9_mT8_P12ihipStream_tbDpT10_ENKUlT_T0_E_clISt17integral_constantIbLb0EES1C_EEDaS17_S18_EUlS17_E_NS1_11comp_targetILNS1_3genE3ELNS1_11target_archE908ELNS1_3gpuE7ELNS1_3repE0EEENS1_30default_config_static_selectorELNS0_4arch9wavefront6targetE0EEEvT1_,"axG",@progbits,_ZN7rocprim17ROCPRIM_400000_NS6detail17trampoline_kernelINS0_14default_configENS1_25partition_config_selectorILNS1_17partition_subalgoE8ElNS0_10empty_typeEbEEZZNS1_14partition_implILS5_8ELb0ES3_jPlPS6_PKS6_NS0_5tupleIJS9_S6_EEENSD_IJSA_SA_EEENS0_18inequality_wrapperIZN2at6native12_GLOBAL__N_124unique_dim_cuda_templateIiEESt5tupleIJNSH_6TensorESM_SM_EERKSM_lbbbEUlllE0_EEPmJS6_EEE10hipError_tPvRmT3_T4_T5_T6_T7_T9_mT8_P12ihipStream_tbDpT10_ENKUlT_T0_E_clISt17integral_constantIbLb0EES1C_EEDaS17_S18_EUlS17_E_NS1_11comp_targetILNS1_3genE3ELNS1_11target_archE908ELNS1_3gpuE7ELNS1_3repE0EEENS1_30default_config_static_selectorELNS0_4arch9wavefront6targetE0EEEvT1_,comdat
	.globl	_ZN7rocprim17ROCPRIM_400000_NS6detail17trampoline_kernelINS0_14default_configENS1_25partition_config_selectorILNS1_17partition_subalgoE8ElNS0_10empty_typeEbEEZZNS1_14partition_implILS5_8ELb0ES3_jPlPS6_PKS6_NS0_5tupleIJS9_S6_EEENSD_IJSA_SA_EEENS0_18inequality_wrapperIZN2at6native12_GLOBAL__N_124unique_dim_cuda_templateIiEESt5tupleIJNSH_6TensorESM_SM_EERKSM_lbbbEUlllE0_EEPmJS6_EEE10hipError_tPvRmT3_T4_T5_T6_T7_T9_mT8_P12ihipStream_tbDpT10_ENKUlT_T0_E_clISt17integral_constantIbLb0EES1C_EEDaS17_S18_EUlS17_E_NS1_11comp_targetILNS1_3genE3ELNS1_11target_archE908ELNS1_3gpuE7ELNS1_3repE0EEENS1_30default_config_static_selectorELNS0_4arch9wavefront6targetE0EEEvT1_ ; -- Begin function _ZN7rocprim17ROCPRIM_400000_NS6detail17trampoline_kernelINS0_14default_configENS1_25partition_config_selectorILNS1_17partition_subalgoE8ElNS0_10empty_typeEbEEZZNS1_14partition_implILS5_8ELb0ES3_jPlPS6_PKS6_NS0_5tupleIJS9_S6_EEENSD_IJSA_SA_EEENS0_18inequality_wrapperIZN2at6native12_GLOBAL__N_124unique_dim_cuda_templateIiEESt5tupleIJNSH_6TensorESM_SM_EERKSM_lbbbEUlllE0_EEPmJS6_EEE10hipError_tPvRmT3_T4_T5_T6_T7_T9_mT8_P12ihipStream_tbDpT10_ENKUlT_T0_E_clISt17integral_constantIbLb0EES1C_EEDaS17_S18_EUlS17_E_NS1_11comp_targetILNS1_3genE3ELNS1_11target_archE908ELNS1_3gpuE7ELNS1_3repE0EEENS1_30default_config_static_selectorELNS0_4arch9wavefront6targetE0EEEvT1_
	.p2align	8
	.type	_ZN7rocprim17ROCPRIM_400000_NS6detail17trampoline_kernelINS0_14default_configENS1_25partition_config_selectorILNS1_17partition_subalgoE8ElNS0_10empty_typeEbEEZZNS1_14partition_implILS5_8ELb0ES3_jPlPS6_PKS6_NS0_5tupleIJS9_S6_EEENSD_IJSA_SA_EEENS0_18inequality_wrapperIZN2at6native12_GLOBAL__N_124unique_dim_cuda_templateIiEESt5tupleIJNSH_6TensorESM_SM_EERKSM_lbbbEUlllE0_EEPmJS6_EEE10hipError_tPvRmT3_T4_T5_T6_T7_T9_mT8_P12ihipStream_tbDpT10_ENKUlT_T0_E_clISt17integral_constantIbLb0EES1C_EEDaS17_S18_EUlS17_E_NS1_11comp_targetILNS1_3genE3ELNS1_11target_archE908ELNS1_3gpuE7ELNS1_3repE0EEENS1_30default_config_static_selectorELNS0_4arch9wavefront6targetE0EEEvT1_,@function
_ZN7rocprim17ROCPRIM_400000_NS6detail17trampoline_kernelINS0_14default_configENS1_25partition_config_selectorILNS1_17partition_subalgoE8ElNS0_10empty_typeEbEEZZNS1_14partition_implILS5_8ELb0ES3_jPlPS6_PKS6_NS0_5tupleIJS9_S6_EEENSD_IJSA_SA_EEENS0_18inequality_wrapperIZN2at6native12_GLOBAL__N_124unique_dim_cuda_templateIiEESt5tupleIJNSH_6TensorESM_SM_EERKSM_lbbbEUlllE0_EEPmJS6_EEE10hipError_tPvRmT3_T4_T5_T6_T7_T9_mT8_P12ihipStream_tbDpT10_ENKUlT_T0_E_clISt17integral_constantIbLb0EES1C_EEDaS17_S18_EUlS17_E_NS1_11comp_targetILNS1_3genE3ELNS1_11target_archE908ELNS1_3gpuE7ELNS1_3repE0EEENS1_30default_config_static_selectorELNS0_4arch9wavefront6targetE0EEEvT1_: ; @_ZN7rocprim17ROCPRIM_400000_NS6detail17trampoline_kernelINS0_14default_configENS1_25partition_config_selectorILNS1_17partition_subalgoE8ElNS0_10empty_typeEbEEZZNS1_14partition_implILS5_8ELb0ES3_jPlPS6_PKS6_NS0_5tupleIJS9_S6_EEENSD_IJSA_SA_EEENS0_18inequality_wrapperIZN2at6native12_GLOBAL__N_124unique_dim_cuda_templateIiEESt5tupleIJNSH_6TensorESM_SM_EERKSM_lbbbEUlllE0_EEPmJS6_EEE10hipError_tPvRmT3_T4_T5_T6_T7_T9_mT8_P12ihipStream_tbDpT10_ENKUlT_T0_E_clISt17integral_constantIbLb0EES1C_EEDaS17_S18_EUlS17_E_NS1_11comp_targetILNS1_3genE3ELNS1_11target_archE908ELNS1_3gpuE7ELNS1_3repE0EEENS1_30default_config_static_selectorELNS0_4arch9wavefront6targetE0EEEvT1_
; %bb.0:
	.section	.rodata,"a",@progbits
	.p2align	6, 0x0
	.amdhsa_kernel _ZN7rocprim17ROCPRIM_400000_NS6detail17trampoline_kernelINS0_14default_configENS1_25partition_config_selectorILNS1_17partition_subalgoE8ElNS0_10empty_typeEbEEZZNS1_14partition_implILS5_8ELb0ES3_jPlPS6_PKS6_NS0_5tupleIJS9_S6_EEENSD_IJSA_SA_EEENS0_18inequality_wrapperIZN2at6native12_GLOBAL__N_124unique_dim_cuda_templateIiEESt5tupleIJNSH_6TensorESM_SM_EERKSM_lbbbEUlllE0_EEPmJS6_EEE10hipError_tPvRmT3_T4_T5_T6_T7_T9_mT8_P12ihipStream_tbDpT10_ENKUlT_T0_E_clISt17integral_constantIbLb0EES1C_EEDaS17_S18_EUlS17_E_NS1_11comp_targetILNS1_3genE3ELNS1_11target_archE908ELNS1_3gpuE7ELNS1_3repE0EEENS1_30default_config_static_selectorELNS0_4arch9wavefront6targetE0EEEvT1_
		.amdhsa_group_segment_fixed_size 0
		.amdhsa_private_segment_fixed_size 0
		.amdhsa_kernarg_size 120
		.amdhsa_user_sgpr_count 2
		.amdhsa_user_sgpr_dispatch_ptr 0
		.amdhsa_user_sgpr_queue_ptr 0
		.amdhsa_user_sgpr_kernarg_segment_ptr 1
		.amdhsa_user_sgpr_dispatch_id 0
		.amdhsa_user_sgpr_kernarg_preload_length 0
		.amdhsa_user_sgpr_kernarg_preload_offset 0
		.amdhsa_user_sgpr_private_segment_size 0
		.amdhsa_wavefront_size32 1
		.amdhsa_uses_dynamic_stack 0
		.amdhsa_enable_private_segment 0
		.amdhsa_system_sgpr_workgroup_id_x 1
		.amdhsa_system_sgpr_workgroup_id_y 0
		.amdhsa_system_sgpr_workgroup_id_z 0
		.amdhsa_system_sgpr_workgroup_info 0
		.amdhsa_system_vgpr_workitem_id 0
		.amdhsa_next_free_vgpr 1
		.amdhsa_next_free_sgpr 1
		.amdhsa_named_barrier_count 0
		.amdhsa_reserve_vcc 0
		.amdhsa_float_round_mode_32 0
		.amdhsa_float_round_mode_16_64 0
		.amdhsa_float_denorm_mode_32 3
		.amdhsa_float_denorm_mode_16_64 3
		.amdhsa_fp16_overflow 0
		.amdhsa_memory_ordered 1
		.amdhsa_forward_progress 1
		.amdhsa_inst_pref_size 0
		.amdhsa_round_robin_scheduling 0
		.amdhsa_exception_fp_ieee_invalid_op 0
		.amdhsa_exception_fp_denorm_src 0
		.amdhsa_exception_fp_ieee_div_zero 0
		.amdhsa_exception_fp_ieee_overflow 0
		.amdhsa_exception_fp_ieee_underflow 0
		.amdhsa_exception_fp_ieee_inexact 0
		.amdhsa_exception_int_div_zero 0
	.end_amdhsa_kernel
	.section	.text._ZN7rocprim17ROCPRIM_400000_NS6detail17trampoline_kernelINS0_14default_configENS1_25partition_config_selectorILNS1_17partition_subalgoE8ElNS0_10empty_typeEbEEZZNS1_14partition_implILS5_8ELb0ES3_jPlPS6_PKS6_NS0_5tupleIJS9_S6_EEENSD_IJSA_SA_EEENS0_18inequality_wrapperIZN2at6native12_GLOBAL__N_124unique_dim_cuda_templateIiEESt5tupleIJNSH_6TensorESM_SM_EERKSM_lbbbEUlllE0_EEPmJS6_EEE10hipError_tPvRmT3_T4_T5_T6_T7_T9_mT8_P12ihipStream_tbDpT10_ENKUlT_T0_E_clISt17integral_constantIbLb0EES1C_EEDaS17_S18_EUlS17_E_NS1_11comp_targetILNS1_3genE3ELNS1_11target_archE908ELNS1_3gpuE7ELNS1_3repE0EEENS1_30default_config_static_selectorELNS0_4arch9wavefront6targetE0EEEvT1_,"axG",@progbits,_ZN7rocprim17ROCPRIM_400000_NS6detail17trampoline_kernelINS0_14default_configENS1_25partition_config_selectorILNS1_17partition_subalgoE8ElNS0_10empty_typeEbEEZZNS1_14partition_implILS5_8ELb0ES3_jPlPS6_PKS6_NS0_5tupleIJS9_S6_EEENSD_IJSA_SA_EEENS0_18inequality_wrapperIZN2at6native12_GLOBAL__N_124unique_dim_cuda_templateIiEESt5tupleIJNSH_6TensorESM_SM_EERKSM_lbbbEUlllE0_EEPmJS6_EEE10hipError_tPvRmT3_T4_T5_T6_T7_T9_mT8_P12ihipStream_tbDpT10_ENKUlT_T0_E_clISt17integral_constantIbLb0EES1C_EEDaS17_S18_EUlS17_E_NS1_11comp_targetILNS1_3genE3ELNS1_11target_archE908ELNS1_3gpuE7ELNS1_3repE0EEENS1_30default_config_static_selectorELNS0_4arch9wavefront6targetE0EEEvT1_,comdat
.Lfunc_end444:
	.size	_ZN7rocprim17ROCPRIM_400000_NS6detail17trampoline_kernelINS0_14default_configENS1_25partition_config_selectorILNS1_17partition_subalgoE8ElNS0_10empty_typeEbEEZZNS1_14partition_implILS5_8ELb0ES3_jPlPS6_PKS6_NS0_5tupleIJS9_S6_EEENSD_IJSA_SA_EEENS0_18inequality_wrapperIZN2at6native12_GLOBAL__N_124unique_dim_cuda_templateIiEESt5tupleIJNSH_6TensorESM_SM_EERKSM_lbbbEUlllE0_EEPmJS6_EEE10hipError_tPvRmT3_T4_T5_T6_T7_T9_mT8_P12ihipStream_tbDpT10_ENKUlT_T0_E_clISt17integral_constantIbLb0EES1C_EEDaS17_S18_EUlS17_E_NS1_11comp_targetILNS1_3genE3ELNS1_11target_archE908ELNS1_3gpuE7ELNS1_3repE0EEENS1_30default_config_static_selectorELNS0_4arch9wavefront6targetE0EEEvT1_, .Lfunc_end444-_ZN7rocprim17ROCPRIM_400000_NS6detail17trampoline_kernelINS0_14default_configENS1_25partition_config_selectorILNS1_17partition_subalgoE8ElNS0_10empty_typeEbEEZZNS1_14partition_implILS5_8ELb0ES3_jPlPS6_PKS6_NS0_5tupleIJS9_S6_EEENSD_IJSA_SA_EEENS0_18inequality_wrapperIZN2at6native12_GLOBAL__N_124unique_dim_cuda_templateIiEESt5tupleIJNSH_6TensorESM_SM_EERKSM_lbbbEUlllE0_EEPmJS6_EEE10hipError_tPvRmT3_T4_T5_T6_T7_T9_mT8_P12ihipStream_tbDpT10_ENKUlT_T0_E_clISt17integral_constantIbLb0EES1C_EEDaS17_S18_EUlS17_E_NS1_11comp_targetILNS1_3genE3ELNS1_11target_archE908ELNS1_3gpuE7ELNS1_3repE0EEENS1_30default_config_static_selectorELNS0_4arch9wavefront6targetE0EEEvT1_
                                        ; -- End function
	.set _ZN7rocprim17ROCPRIM_400000_NS6detail17trampoline_kernelINS0_14default_configENS1_25partition_config_selectorILNS1_17partition_subalgoE8ElNS0_10empty_typeEbEEZZNS1_14partition_implILS5_8ELb0ES3_jPlPS6_PKS6_NS0_5tupleIJS9_S6_EEENSD_IJSA_SA_EEENS0_18inequality_wrapperIZN2at6native12_GLOBAL__N_124unique_dim_cuda_templateIiEESt5tupleIJNSH_6TensorESM_SM_EERKSM_lbbbEUlllE0_EEPmJS6_EEE10hipError_tPvRmT3_T4_T5_T6_T7_T9_mT8_P12ihipStream_tbDpT10_ENKUlT_T0_E_clISt17integral_constantIbLb0EES1C_EEDaS17_S18_EUlS17_E_NS1_11comp_targetILNS1_3genE3ELNS1_11target_archE908ELNS1_3gpuE7ELNS1_3repE0EEENS1_30default_config_static_selectorELNS0_4arch9wavefront6targetE0EEEvT1_.num_vgpr, 0
	.set _ZN7rocprim17ROCPRIM_400000_NS6detail17trampoline_kernelINS0_14default_configENS1_25partition_config_selectorILNS1_17partition_subalgoE8ElNS0_10empty_typeEbEEZZNS1_14partition_implILS5_8ELb0ES3_jPlPS6_PKS6_NS0_5tupleIJS9_S6_EEENSD_IJSA_SA_EEENS0_18inequality_wrapperIZN2at6native12_GLOBAL__N_124unique_dim_cuda_templateIiEESt5tupleIJNSH_6TensorESM_SM_EERKSM_lbbbEUlllE0_EEPmJS6_EEE10hipError_tPvRmT3_T4_T5_T6_T7_T9_mT8_P12ihipStream_tbDpT10_ENKUlT_T0_E_clISt17integral_constantIbLb0EES1C_EEDaS17_S18_EUlS17_E_NS1_11comp_targetILNS1_3genE3ELNS1_11target_archE908ELNS1_3gpuE7ELNS1_3repE0EEENS1_30default_config_static_selectorELNS0_4arch9wavefront6targetE0EEEvT1_.num_agpr, 0
	.set _ZN7rocprim17ROCPRIM_400000_NS6detail17trampoline_kernelINS0_14default_configENS1_25partition_config_selectorILNS1_17partition_subalgoE8ElNS0_10empty_typeEbEEZZNS1_14partition_implILS5_8ELb0ES3_jPlPS6_PKS6_NS0_5tupleIJS9_S6_EEENSD_IJSA_SA_EEENS0_18inequality_wrapperIZN2at6native12_GLOBAL__N_124unique_dim_cuda_templateIiEESt5tupleIJNSH_6TensorESM_SM_EERKSM_lbbbEUlllE0_EEPmJS6_EEE10hipError_tPvRmT3_T4_T5_T6_T7_T9_mT8_P12ihipStream_tbDpT10_ENKUlT_T0_E_clISt17integral_constantIbLb0EES1C_EEDaS17_S18_EUlS17_E_NS1_11comp_targetILNS1_3genE3ELNS1_11target_archE908ELNS1_3gpuE7ELNS1_3repE0EEENS1_30default_config_static_selectorELNS0_4arch9wavefront6targetE0EEEvT1_.numbered_sgpr, 0
	.set _ZN7rocprim17ROCPRIM_400000_NS6detail17trampoline_kernelINS0_14default_configENS1_25partition_config_selectorILNS1_17partition_subalgoE8ElNS0_10empty_typeEbEEZZNS1_14partition_implILS5_8ELb0ES3_jPlPS6_PKS6_NS0_5tupleIJS9_S6_EEENSD_IJSA_SA_EEENS0_18inequality_wrapperIZN2at6native12_GLOBAL__N_124unique_dim_cuda_templateIiEESt5tupleIJNSH_6TensorESM_SM_EERKSM_lbbbEUlllE0_EEPmJS6_EEE10hipError_tPvRmT3_T4_T5_T6_T7_T9_mT8_P12ihipStream_tbDpT10_ENKUlT_T0_E_clISt17integral_constantIbLb0EES1C_EEDaS17_S18_EUlS17_E_NS1_11comp_targetILNS1_3genE3ELNS1_11target_archE908ELNS1_3gpuE7ELNS1_3repE0EEENS1_30default_config_static_selectorELNS0_4arch9wavefront6targetE0EEEvT1_.num_named_barrier, 0
	.set _ZN7rocprim17ROCPRIM_400000_NS6detail17trampoline_kernelINS0_14default_configENS1_25partition_config_selectorILNS1_17partition_subalgoE8ElNS0_10empty_typeEbEEZZNS1_14partition_implILS5_8ELb0ES3_jPlPS6_PKS6_NS0_5tupleIJS9_S6_EEENSD_IJSA_SA_EEENS0_18inequality_wrapperIZN2at6native12_GLOBAL__N_124unique_dim_cuda_templateIiEESt5tupleIJNSH_6TensorESM_SM_EERKSM_lbbbEUlllE0_EEPmJS6_EEE10hipError_tPvRmT3_T4_T5_T6_T7_T9_mT8_P12ihipStream_tbDpT10_ENKUlT_T0_E_clISt17integral_constantIbLb0EES1C_EEDaS17_S18_EUlS17_E_NS1_11comp_targetILNS1_3genE3ELNS1_11target_archE908ELNS1_3gpuE7ELNS1_3repE0EEENS1_30default_config_static_selectorELNS0_4arch9wavefront6targetE0EEEvT1_.private_seg_size, 0
	.set _ZN7rocprim17ROCPRIM_400000_NS6detail17trampoline_kernelINS0_14default_configENS1_25partition_config_selectorILNS1_17partition_subalgoE8ElNS0_10empty_typeEbEEZZNS1_14partition_implILS5_8ELb0ES3_jPlPS6_PKS6_NS0_5tupleIJS9_S6_EEENSD_IJSA_SA_EEENS0_18inequality_wrapperIZN2at6native12_GLOBAL__N_124unique_dim_cuda_templateIiEESt5tupleIJNSH_6TensorESM_SM_EERKSM_lbbbEUlllE0_EEPmJS6_EEE10hipError_tPvRmT3_T4_T5_T6_T7_T9_mT8_P12ihipStream_tbDpT10_ENKUlT_T0_E_clISt17integral_constantIbLb0EES1C_EEDaS17_S18_EUlS17_E_NS1_11comp_targetILNS1_3genE3ELNS1_11target_archE908ELNS1_3gpuE7ELNS1_3repE0EEENS1_30default_config_static_selectorELNS0_4arch9wavefront6targetE0EEEvT1_.uses_vcc, 0
	.set _ZN7rocprim17ROCPRIM_400000_NS6detail17trampoline_kernelINS0_14default_configENS1_25partition_config_selectorILNS1_17partition_subalgoE8ElNS0_10empty_typeEbEEZZNS1_14partition_implILS5_8ELb0ES3_jPlPS6_PKS6_NS0_5tupleIJS9_S6_EEENSD_IJSA_SA_EEENS0_18inequality_wrapperIZN2at6native12_GLOBAL__N_124unique_dim_cuda_templateIiEESt5tupleIJNSH_6TensorESM_SM_EERKSM_lbbbEUlllE0_EEPmJS6_EEE10hipError_tPvRmT3_T4_T5_T6_T7_T9_mT8_P12ihipStream_tbDpT10_ENKUlT_T0_E_clISt17integral_constantIbLb0EES1C_EEDaS17_S18_EUlS17_E_NS1_11comp_targetILNS1_3genE3ELNS1_11target_archE908ELNS1_3gpuE7ELNS1_3repE0EEENS1_30default_config_static_selectorELNS0_4arch9wavefront6targetE0EEEvT1_.uses_flat_scratch, 0
	.set _ZN7rocprim17ROCPRIM_400000_NS6detail17trampoline_kernelINS0_14default_configENS1_25partition_config_selectorILNS1_17partition_subalgoE8ElNS0_10empty_typeEbEEZZNS1_14partition_implILS5_8ELb0ES3_jPlPS6_PKS6_NS0_5tupleIJS9_S6_EEENSD_IJSA_SA_EEENS0_18inequality_wrapperIZN2at6native12_GLOBAL__N_124unique_dim_cuda_templateIiEESt5tupleIJNSH_6TensorESM_SM_EERKSM_lbbbEUlllE0_EEPmJS6_EEE10hipError_tPvRmT3_T4_T5_T6_T7_T9_mT8_P12ihipStream_tbDpT10_ENKUlT_T0_E_clISt17integral_constantIbLb0EES1C_EEDaS17_S18_EUlS17_E_NS1_11comp_targetILNS1_3genE3ELNS1_11target_archE908ELNS1_3gpuE7ELNS1_3repE0EEENS1_30default_config_static_selectorELNS0_4arch9wavefront6targetE0EEEvT1_.has_dyn_sized_stack, 0
	.set _ZN7rocprim17ROCPRIM_400000_NS6detail17trampoline_kernelINS0_14default_configENS1_25partition_config_selectorILNS1_17partition_subalgoE8ElNS0_10empty_typeEbEEZZNS1_14partition_implILS5_8ELb0ES3_jPlPS6_PKS6_NS0_5tupleIJS9_S6_EEENSD_IJSA_SA_EEENS0_18inequality_wrapperIZN2at6native12_GLOBAL__N_124unique_dim_cuda_templateIiEESt5tupleIJNSH_6TensorESM_SM_EERKSM_lbbbEUlllE0_EEPmJS6_EEE10hipError_tPvRmT3_T4_T5_T6_T7_T9_mT8_P12ihipStream_tbDpT10_ENKUlT_T0_E_clISt17integral_constantIbLb0EES1C_EEDaS17_S18_EUlS17_E_NS1_11comp_targetILNS1_3genE3ELNS1_11target_archE908ELNS1_3gpuE7ELNS1_3repE0EEENS1_30default_config_static_selectorELNS0_4arch9wavefront6targetE0EEEvT1_.has_recursion, 0
	.set _ZN7rocprim17ROCPRIM_400000_NS6detail17trampoline_kernelINS0_14default_configENS1_25partition_config_selectorILNS1_17partition_subalgoE8ElNS0_10empty_typeEbEEZZNS1_14partition_implILS5_8ELb0ES3_jPlPS6_PKS6_NS0_5tupleIJS9_S6_EEENSD_IJSA_SA_EEENS0_18inequality_wrapperIZN2at6native12_GLOBAL__N_124unique_dim_cuda_templateIiEESt5tupleIJNSH_6TensorESM_SM_EERKSM_lbbbEUlllE0_EEPmJS6_EEE10hipError_tPvRmT3_T4_T5_T6_T7_T9_mT8_P12ihipStream_tbDpT10_ENKUlT_T0_E_clISt17integral_constantIbLb0EES1C_EEDaS17_S18_EUlS17_E_NS1_11comp_targetILNS1_3genE3ELNS1_11target_archE908ELNS1_3gpuE7ELNS1_3repE0EEENS1_30default_config_static_selectorELNS0_4arch9wavefront6targetE0EEEvT1_.has_indirect_call, 0
	.section	.AMDGPU.csdata,"",@progbits
; Kernel info:
; codeLenInByte = 0
; TotalNumSgprs: 0
; NumVgprs: 0
; ScratchSize: 0
; MemoryBound: 0
; FloatMode: 240
; IeeeMode: 1
; LDSByteSize: 0 bytes/workgroup (compile time only)
; SGPRBlocks: 0
; VGPRBlocks: 0
; NumSGPRsForWavesPerEU: 1
; NumVGPRsForWavesPerEU: 1
; NamedBarCnt: 0
; Occupancy: 16
; WaveLimiterHint : 0
; COMPUTE_PGM_RSRC2:SCRATCH_EN: 0
; COMPUTE_PGM_RSRC2:USER_SGPR: 2
; COMPUTE_PGM_RSRC2:TRAP_HANDLER: 0
; COMPUTE_PGM_RSRC2:TGID_X_EN: 1
; COMPUTE_PGM_RSRC2:TGID_Y_EN: 0
; COMPUTE_PGM_RSRC2:TGID_Z_EN: 0
; COMPUTE_PGM_RSRC2:TIDIG_COMP_CNT: 0
	.section	.text._ZN7rocprim17ROCPRIM_400000_NS6detail17trampoline_kernelINS0_14default_configENS1_25partition_config_selectorILNS1_17partition_subalgoE8ElNS0_10empty_typeEbEEZZNS1_14partition_implILS5_8ELb0ES3_jPlPS6_PKS6_NS0_5tupleIJS9_S6_EEENSD_IJSA_SA_EEENS0_18inequality_wrapperIZN2at6native12_GLOBAL__N_124unique_dim_cuda_templateIiEESt5tupleIJNSH_6TensorESM_SM_EERKSM_lbbbEUlllE0_EEPmJS6_EEE10hipError_tPvRmT3_T4_T5_T6_T7_T9_mT8_P12ihipStream_tbDpT10_ENKUlT_T0_E_clISt17integral_constantIbLb0EES1C_EEDaS17_S18_EUlS17_E_NS1_11comp_targetILNS1_3genE2ELNS1_11target_archE906ELNS1_3gpuE6ELNS1_3repE0EEENS1_30default_config_static_selectorELNS0_4arch9wavefront6targetE0EEEvT1_,"axG",@progbits,_ZN7rocprim17ROCPRIM_400000_NS6detail17trampoline_kernelINS0_14default_configENS1_25partition_config_selectorILNS1_17partition_subalgoE8ElNS0_10empty_typeEbEEZZNS1_14partition_implILS5_8ELb0ES3_jPlPS6_PKS6_NS0_5tupleIJS9_S6_EEENSD_IJSA_SA_EEENS0_18inequality_wrapperIZN2at6native12_GLOBAL__N_124unique_dim_cuda_templateIiEESt5tupleIJNSH_6TensorESM_SM_EERKSM_lbbbEUlllE0_EEPmJS6_EEE10hipError_tPvRmT3_T4_T5_T6_T7_T9_mT8_P12ihipStream_tbDpT10_ENKUlT_T0_E_clISt17integral_constantIbLb0EES1C_EEDaS17_S18_EUlS17_E_NS1_11comp_targetILNS1_3genE2ELNS1_11target_archE906ELNS1_3gpuE6ELNS1_3repE0EEENS1_30default_config_static_selectorELNS0_4arch9wavefront6targetE0EEEvT1_,comdat
	.globl	_ZN7rocprim17ROCPRIM_400000_NS6detail17trampoline_kernelINS0_14default_configENS1_25partition_config_selectorILNS1_17partition_subalgoE8ElNS0_10empty_typeEbEEZZNS1_14partition_implILS5_8ELb0ES3_jPlPS6_PKS6_NS0_5tupleIJS9_S6_EEENSD_IJSA_SA_EEENS0_18inequality_wrapperIZN2at6native12_GLOBAL__N_124unique_dim_cuda_templateIiEESt5tupleIJNSH_6TensorESM_SM_EERKSM_lbbbEUlllE0_EEPmJS6_EEE10hipError_tPvRmT3_T4_T5_T6_T7_T9_mT8_P12ihipStream_tbDpT10_ENKUlT_T0_E_clISt17integral_constantIbLb0EES1C_EEDaS17_S18_EUlS17_E_NS1_11comp_targetILNS1_3genE2ELNS1_11target_archE906ELNS1_3gpuE6ELNS1_3repE0EEENS1_30default_config_static_selectorELNS0_4arch9wavefront6targetE0EEEvT1_ ; -- Begin function _ZN7rocprim17ROCPRIM_400000_NS6detail17trampoline_kernelINS0_14default_configENS1_25partition_config_selectorILNS1_17partition_subalgoE8ElNS0_10empty_typeEbEEZZNS1_14partition_implILS5_8ELb0ES3_jPlPS6_PKS6_NS0_5tupleIJS9_S6_EEENSD_IJSA_SA_EEENS0_18inequality_wrapperIZN2at6native12_GLOBAL__N_124unique_dim_cuda_templateIiEESt5tupleIJNSH_6TensorESM_SM_EERKSM_lbbbEUlllE0_EEPmJS6_EEE10hipError_tPvRmT3_T4_T5_T6_T7_T9_mT8_P12ihipStream_tbDpT10_ENKUlT_T0_E_clISt17integral_constantIbLb0EES1C_EEDaS17_S18_EUlS17_E_NS1_11comp_targetILNS1_3genE2ELNS1_11target_archE906ELNS1_3gpuE6ELNS1_3repE0EEENS1_30default_config_static_selectorELNS0_4arch9wavefront6targetE0EEEvT1_
	.p2align	8
	.type	_ZN7rocprim17ROCPRIM_400000_NS6detail17trampoline_kernelINS0_14default_configENS1_25partition_config_selectorILNS1_17partition_subalgoE8ElNS0_10empty_typeEbEEZZNS1_14partition_implILS5_8ELb0ES3_jPlPS6_PKS6_NS0_5tupleIJS9_S6_EEENSD_IJSA_SA_EEENS0_18inequality_wrapperIZN2at6native12_GLOBAL__N_124unique_dim_cuda_templateIiEESt5tupleIJNSH_6TensorESM_SM_EERKSM_lbbbEUlllE0_EEPmJS6_EEE10hipError_tPvRmT3_T4_T5_T6_T7_T9_mT8_P12ihipStream_tbDpT10_ENKUlT_T0_E_clISt17integral_constantIbLb0EES1C_EEDaS17_S18_EUlS17_E_NS1_11comp_targetILNS1_3genE2ELNS1_11target_archE906ELNS1_3gpuE6ELNS1_3repE0EEENS1_30default_config_static_selectorELNS0_4arch9wavefront6targetE0EEEvT1_,@function
_ZN7rocprim17ROCPRIM_400000_NS6detail17trampoline_kernelINS0_14default_configENS1_25partition_config_selectorILNS1_17partition_subalgoE8ElNS0_10empty_typeEbEEZZNS1_14partition_implILS5_8ELb0ES3_jPlPS6_PKS6_NS0_5tupleIJS9_S6_EEENSD_IJSA_SA_EEENS0_18inequality_wrapperIZN2at6native12_GLOBAL__N_124unique_dim_cuda_templateIiEESt5tupleIJNSH_6TensorESM_SM_EERKSM_lbbbEUlllE0_EEPmJS6_EEE10hipError_tPvRmT3_T4_T5_T6_T7_T9_mT8_P12ihipStream_tbDpT10_ENKUlT_T0_E_clISt17integral_constantIbLb0EES1C_EEDaS17_S18_EUlS17_E_NS1_11comp_targetILNS1_3genE2ELNS1_11target_archE906ELNS1_3gpuE6ELNS1_3repE0EEENS1_30default_config_static_selectorELNS0_4arch9wavefront6targetE0EEEvT1_: ; @_ZN7rocprim17ROCPRIM_400000_NS6detail17trampoline_kernelINS0_14default_configENS1_25partition_config_selectorILNS1_17partition_subalgoE8ElNS0_10empty_typeEbEEZZNS1_14partition_implILS5_8ELb0ES3_jPlPS6_PKS6_NS0_5tupleIJS9_S6_EEENSD_IJSA_SA_EEENS0_18inequality_wrapperIZN2at6native12_GLOBAL__N_124unique_dim_cuda_templateIiEESt5tupleIJNSH_6TensorESM_SM_EERKSM_lbbbEUlllE0_EEPmJS6_EEE10hipError_tPvRmT3_T4_T5_T6_T7_T9_mT8_P12ihipStream_tbDpT10_ENKUlT_T0_E_clISt17integral_constantIbLb0EES1C_EEDaS17_S18_EUlS17_E_NS1_11comp_targetILNS1_3genE2ELNS1_11target_archE906ELNS1_3gpuE6ELNS1_3repE0EEENS1_30default_config_static_selectorELNS0_4arch9wavefront6targetE0EEEvT1_
; %bb.0:
	.section	.rodata,"a",@progbits
	.p2align	6, 0x0
	.amdhsa_kernel _ZN7rocprim17ROCPRIM_400000_NS6detail17trampoline_kernelINS0_14default_configENS1_25partition_config_selectorILNS1_17partition_subalgoE8ElNS0_10empty_typeEbEEZZNS1_14partition_implILS5_8ELb0ES3_jPlPS6_PKS6_NS0_5tupleIJS9_S6_EEENSD_IJSA_SA_EEENS0_18inequality_wrapperIZN2at6native12_GLOBAL__N_124unique_dim_cuda_templateIiEESt5tupleIJNSH_6TensorESM_SM_EERKSM_lbbbEUlllE0_EEPmJS6_EEE10hipError_tPvRmT3_T4_T5_T6_T7_T9_mT8_P12ihipStream_tbDpT10_ENKUlT_T0_E_clISt17integral_constantIbLb0EES1C_EEDaS17_S18_EUlS17_E_NS1_11comp_targetILNS1_3genE2ELNS1_11target_archE906ELNS1_3gpuE6ELNS1_3repE0EEENS1_30default_config_static_selectorELNS0_4arch9wavefront6targetE0EEEvT1_
		.amdhsa_group_segment_fixed_size 0
		.amdhsa_private_segment_fixed_size 0
		.amdhsa_kernarg_size 120
		.amdhsa_user_sgpr_count 2
		.amdhsa_user_sgpr_dispatch_ptr 0
		.amdhsa_user_sgpr_queue_ptr 0
		.amdhsa_user_sgpr_kernarg_segment_ptr 1
		.amdhsa_user_sgpr_dispatch_id 0
		.amdhsa_user_sgpr_kernarg_preload_length 0
		.amdhsa_user_sgpr_kernarg_preload_offset 0
		.amdhsa_user_sgpr_private_segment_size 0
		.amdhsa_wavefront_size32 1
		.amdhsa_uses_dynamic_stack 0
		.amdhsa_enable_private_segment 0
		.amdhsa_system_sgpr_workgroup_id_x 1
		.amdhsa_system_sgpr_workgroup_id_y 0
		.amdhsa_system_sgpr_workgroup_id_z 0
		.amdhsa_system_sgpr_workgroup_info 0
		.amdhsa_system_vgpr_workitem_id 0
		.amdhsa_next_free_vgpr 1
		.amdhsa_next_free_sgpr 1
		.amdhsa_named_barrier_count 0
		.amdhsa_reserve_vcc 0
		.amdhsa_float_round_mode_32 0
		.amdhsa_float_round_mode_16_64 0
		.amdhsa_float_denorm_mode_32 3
		.amdhsa_float_denorm_mode_16_64 3
		.amdhsa_fp16_overflow 0
		.amdhsa_memory_ordered 1
		.amdhsa_forward_progress 1
		.amdhsa_inst_pref_size 0
		.amdhsa_round_robin_scheduling 0
		.amdhsa_exception_fp_ieee_invalid_op 0
		.amdhsa_exception_fp_denorm_src 0
		.amdhsa_exception_fp_ieee_div_zero 0
		.amdhsa_exception_fp_ieee_overflow 0
		.amdhsa_exception_fp_ieee_underflow 0
		.amdhsa_exception_fp_ieee_inexact 0
		.amdhsa_exception_int_div_zero 0
	.end_amdhsa_kernel
	.section	.text._ZN7rocprim17ROCPRIM_400000_NS6detail17trampoline_kernelINS0_14default_configENS1_25partition_config_selectorILNS1_17partition_subalgoE8ElNS0_10empty_typeEbEEZZNS1_14partition_implILS5_8ELb0ES3_jPlPS6_PKS6_NS0_5tupleIJS9_S6_EEENSD_IJSA_SA_EEENS0_18inequality_wrapperIZN2at6native12_GLOBAL__N_124unique_dim_cuda_templateIiEESt5tupleIJNSH_6TensorESM_SM_EERKSM_lbbbEUlllE0_EEPmJS6_EEE10hipError_tPvRmT3_T4_T5_T6_T7_T9_mT8_P12ihipStream_tbDpT10_ENKUlT_T0_E_clISt17integral_constantIbLb0EES1C_EEDaS17_S18_EUlS17_E_NS1_11comp_targetILNS1_3genE2ELNS1_11target_archE906ELNS1_3gpuE6ELNS1_3repE0EEENS1_30default_config_static_selectorELNS0_4arch9wavefront6targetE0EEEvT1_,"axG",@progbits,_ZN7rocprim17ROCPRIM_400000_NS6detail17trampoline_kernelINS0_14default_configENS1_25partition_config_selectorILNS1_17partition_subalgoE8ElNS0_10empty_typeEbEEZZNS1_14partition_implILS5_8ELb0ES3_jPlPS6_PKS6_NS0_5tupleIJS9_S6_EEENSD_IJSA_SA_EEENS0_18inequality_wrapperIZN2at6native12_GLOBAL__N_124unique_dim_cuda_templateIiEESt5tupleIJNSH_6TensorESM_SM_EERKSM_lbbbEUlllE0_EEPmJS6_EEE10hipError_tPvRmT3_T4_T5_T6_T7_T9_mT8_P12ihipStream_tbDpT10_ENKUlT_T0_E_clISt17integral_constantIbLb0EES1C_EEDaS17_S18_EUlS17_E_NS1_11comp_targetILNS1_3genE2ELNS1_11target_archE906ELNS1_3gpuE6ELNS1_3repE0EEENS1_30default_config_static_selectorELNS0_4arch9wavefront6targetE0EEEvT1_,comdat
.Lfunc_end445:
	.size	_ZN7rocprim17ROCPRIM_400000_NS6detail17trampoline_kernelINS0_14default_configENS1_25partition_config_selectorILNS1_17partition_subalgoE8ElNS0_10empty_typeEbEEZZNS1_14partition_implILS5_8ELb0ES3_jPlPS6_PKS6_NS0_5tupleIJS9_S6_EEENSD_IJSA_SA_EEENS0_18inequality_wrapperIZN2at6native12_GLOBAL__N_124unique_dim_cuda_templateIiEESt5tupleIJNSH_6TensorESM_SM_EERKSM_lbbbEUlllE0_EEPmJS6_EEE10hipError_tPvRmT3_T4_T5_T6_T7_T9_mT8_P12ihipStream_tbDpT10_ENKUlT_T0_E_clISt17integral_constantIbLb0EES1C_EEDaS17_S18_EUlS17_E_NS1_11comp_targetILNS1_3genE2ELNS1_11target_archE906ELNS1_3gpuE6ELNS1_3repE0EEENS1_30default_config_static_selectorELNS0_4arch9wavefront6targetE0EEEvT1_, .Lfunc_end445-_ZN7rocprim17ROCPRIM_400000_NS6detail17trampoline_kernelINS0_14default_configENS1_25partition_config_selectorILNS1_17partition_subalgoE8ElNS0_10empty_typeEbEEZZNS1_14partition_implILS5_8ELb0ES3_jPlPS6_PKS6_NS0_5tupleIJS9_S6_EEENSD_IJSA_SA_EEENS0_18inequality_wrapperIZN2at6native12_GLOBAL__N_124unique_dim_cuda_templateIiEESt5tupleIJNSH_6TensorESM_SM_EERKSM_lbbbEUlllE0_EEPmJS6_EEE10hipError_tPvRmT3_T4_T5_T6_T7_T9_mT8_P12ihipStream_tbDpT10_ENKUlT_T0_E_clISt17integral_constantIbLb0EES1C_EEDaS17_S18_EUlS17_E_NS1_11comp_targetILNS1_3genE2ELNS1_11target_archE906ELNS1_3gpuE6ELNS1_3repE0EEENS1_30default_config_static_selectorELNS0_4arch9wavefront6targetE0EEEvT1_
                                        ; -- End function
	.set _ZN7rocprim17ROCPRIM_400000_NS6detail17trampoline_kernelINS0_14default_configENS1_25partition_config_selectorILNS1_17partition_subalgoE8ElNS0_10empty_typeEbEEZZNS1_14partition_implILS5_8ELb0ES3_jPlPS6_PKS6_NS0_5tupleIJS9_S6_EEENSD_IJSA_SA_EEENS0_18inequality_wrapperIZN2at6native12_GLOBAL__N_124unique_dim_cuda_templateIiEESt5tupleIJNSH_6TensorESM_SM_EERKSM_lbbbEUlllE0_EEPmJS6_EEE10hipError_tPvRmT3_T4_T5_T6_T7_T9_mT8_P12ihipStream_tbDpT10_ENKUlT_T0_E_clISt17integral_constantIbLb0EES1C_EEDaS17_S18_EUlS17_E_NS1_11comp_targetILNS1_3genE2ELNS1_11target_archE906ELNS1_3gpuE6ELNS1_3repE0EEENS1_30default_config_static_selectorELNS0_4arch9wavefront6targetE0EEEvT1_.num_vgpr, 0
	.set _ZN7rocprim17ROCPRIM_400000_NS6detail17trampoline_kernelINS0_14default_configENS1_25partition_config_selectorILNS1_17partition_subalgoE8ElNS0_10empty_typeEbEEZZNS1_14partition_implILS5_8ELb0ES3_jPlPS6_PKS6_NS0_5tupleIJS9_S6_EEENSD_IJSA_SA_EEENS0_18inequality_wrapperIZN2at6native12_GLOBAL__N_124unique_dim_cuda_templateIiEESt5tupleIJNSH_6TensorESM_SM_EERKSM_lbbbEUlllE0_EEPmJS6_EEE10hipError_tPvRmT3_T4_T5_T6_T7_T9_mT8_P12ihipStream_tbDpT10_ENKUlT_T0_E_clISt17integral_constantIbLb0EES1C_EEDaS17_S18_EUlS17_E_NS1_11comp_targetILNS1_3genE2ELNS1_11target_archE906ELNS1_3gpuE6ELNS1_3repE0EEENS1_30default_config_static_selectorELNS0_4arch9wavefront6targetE0EEEvT1_.num_agpr, 0
	.set _ZN7rocprim17ROCPRIM_400000_NS6detail17trampoline_kernelINS0_14default_configENS1_25partition_config_selectorILNS1_17partition_subalgoE8ElNS0_10empty_typeEbEEZZNS1_14partition_implILS5_8ELb0ES3_jPlPS6_PKS6_NS0_5tupleIJS9_S6_EEENSD_IJSA_SA_EEENS0_18inequality_wrapperIZN2at6native12_GLOBAL__N_124unique_dim_cuda_templateIiEESt5tupleIJNSH_6TensorESM_SM_EERKSM_lbbbEUlllE0_EEPmJS6_EEE10hipError_tPvRmT3_T4_T5_T6_T7_T9_mT8_P12ihipStream_tbDpT10_ENKUlT_T0_E_clISt17integral_constantIbLb0EES1C_EEDaS17_S18_EUlS17_E_NS1_11comp_targetILNS1_3genE2ELNS1_11target_archE906ELNS1_3gpuE6ELNS1_3repE0EEENS1_30default_config_static_selectorELNS0_4arch9wavefront6targetE0EEEvT1_.numbered_sgpr, 0
	.set _ZN7rocprim17ROCPRIM_400000_NS6detail17trampoline_kernelINS0_14default_configENS1_25partition_config_selectorILNS1_17partition_subalgoE8ElNS0_10empty_typeEbEEZZNS1_14partition_implILS5_8ELb0ES3_jPlPS6_PKS6_NS0_5tupleIJS9_S6_EEENSD_IJSA_SA_EEENS0_18inequality_wrapperIZN2at6native12_GLOBAL__N_124unique_dim_cuda_templateIiEESt5tupleIJNSH_6TensorESM_SM_EERKSM_lbbbEUlllE0_EEPmJS6_EEE10hipError_tPvRmT3_T4_T5_T6_T7_T9_mT8_P12ihipStream_tbDpT10_ENKUlT_T0_E_clISt17integral_constantIbLb0EES1C_EEDaS17_S18_EUlS17_E_NS1_11comp_targetILNS1_3genE2ELNS1_11target_archE906ELNS1_3gpuE6ELNS1_3repE0EEENS1_30default_config_static_selectorELNS0_4arch9wavefront6targetE0EEEvT1_.num_named_barrier, 0
	.set _ZN7rocprim17ROCPRIM_400000_NS6detail17trampoline_kernelINS0_14default_configENS1_25partition_config_selectorILNS1_17partition_subalgoE8ElNS0_10empty_typeEbEEZZNS1_14partition_implILS5_8ELb0ES3_jPlPS6_PKS6_NS0_5tupleIJS9_S6_EEENSD_IJSA_SA_EEENS0_18inequality_wrapperIZN2at6native12_GLOBAL__N_124unique_dim_cuda_templateIiEESt5tupleIJNSH_6TensorESM_SM_EERKSM_lbbbEUlllE0_EEPmJS6_EEE10hipError_tPvRmT3_T4_T5_T6_T7_T9_mT8_P12ihipStream_tbDpT10_ENKUlT_T0_E_clISt17integral_constantIbLb0EES1C_EEDaS17_S18_EUlS17_E_NS1_11comp_targetILNS1_3genE2ELNS1_11target_archE906ELNS1_3gpuE6ELNS1_3repE0EEENS1_30default_config_static_selectorELNS0_4arch9wavefront6targetE0EEEvT1_.private_seg_size, 0
	.set _ZN7rocprim17ROCPRIM_400000_NS6detail17trampoline_kernelINS0_14default_configENS1_25partition_config_selectorILNS1_17partition_subalgoE8ElNS0_10empty_typeEbEEZZNS1_14partition_implILS5_8ELb0ES3_jPlPS6_PKS6_NS0_5tupleIJS9_S6_EEENSD_IJSA_SA_EEENS0_18inequality_wrapperIZN2at6native12_GLOBAL__N_124unique_dim_cuda_templateIiEESt5tupleIJNSH_6TensorESM_SM_EERKSM_lbbbEUlllE0_EEPmJS6_EEE10hipError_tPvRmT3_T4_T5_T6_T7_T9_mT8_P12ihipStream_tbDpT10_ENKUlT_T0_E_clISt17integral_constantIbLb0EES1C_EEDaS17_S18_EUlS17_E_NS1_11comp_targetILNS1_3genE2ELNS1_11target_archE906ELNS1_3gpuE6ELNS1_3repE0EEENS1_30default_config_static_selectorELNS0_4arch9wavefront6targetE0EEEvT1_.uses_vcc, 0
	.set _ZN7rocprim17ROCPRIM_400000_NS6detail17trampoline_kernelINS0_14default_configENS1_25partition_config_selectorILNS1_17partition_subalgoE8ElNS0_10empty_typeEbEEZZNS1_14partition_implILS5_8ELb0ES3_jPlPS6_PKS6_NS0_5tupleIJS9_S6_EEENSD_IJSA_SA_EEENS0_18inequality_wrapperIZN2at6native12_GLOBAL__N_124unique_dim_cuda_templateIiEESt5tupleIJNSH_6TensorESM_SM_EERKSM_lbbbEUlllE0_EEPmJS6_EEE10hipError_tPvRmT3_T4_T5_T6_T7_T9_mT8_P12ihipStream_tbDpT10_ENKUlT_T0_E_clISt17integral_constantIbLb0EES1C_EEDaS17_S18_EUlS17_E_NS1_11comp_targetILNS1_3genE2ELNS1_11target_archE906ELNS1_3gpuE6ELNS1_3repE0EEENS1_30default_config_static_selectorELNS0_4arch9wavefront6targetE0EEEvT1_.uses_flat_scratch, 0
	.set _ZN7rocprim17ROCPRIM_400000_NS6detail17trampoline_kernelINS0_14default_configENS1_25partition_config_selectorILNS1_17partition_subalgoE8ElNS0_10empty_typeEbEEZZNS1_14partition_implILS5_8ELb0ES3_jPlPS6_PKS6_NS0_5tupleIJS9_S6_EEENSD_IJSA_SA_EEENS0_18inequality_wrapperIZN2at6native12_GLOBAL__N_124unique_dim_cuda_templateIiEESt5tupleIJNSH_6TensorESM_SM_EERKSM_lbbbEUlllE0_EEPmJS6_EEE10hipError_tPvRmT3_T4_T5_T6_T7_T9_mT8_P12ihipStream_tbDpT10_ENKUlT_T0_E_clISt17integral_constantIbLb0EES1C_EEDaS17_S18_EUlS17_E_NS1_11comp_targetILNS1_3genE2ELNS1_11target_archE906ELNS1_3gpuE6ELNS1_3repE0EEENS1_30default_config_static_selectorELNS0_4arch9wavefront6targetE0EEEvT1_.has_dyn_sized_stack, 0
	.set _ZN7rocprim17ROCPRIM_400000_NS6detail17trampoline_kernelINS0_14default_configENS1_25partition_config_selectorILNS1_17partition_subalgoE8ElNS0_10empty_typeEbEEZZNS1_14partition_implILS5_8ELb0ES3_jPlPS6_PKS6_NS0_5tupleIJS9_S6_EEENSD_IJSA_SA_EEENS0_18inequality_wrapperIZN2at6native12_GLOBAL__N_124unique_dim_cuda_templateIiEESt5tupleIJNSH_6TensorESM_SM_EERKSM_lbbbEUlllE0_EEPmJS6_EEE10hipError_tPvRmT3_T4_T5_T6_T7_T9_mT8_P12ihipStream_tbDpT10_ENKUlT_T0_E_clISt17integral_constantIbLb0EES1C_EEDaS17_S18_EUlS17_E_NS1_11comp_targetILNS1_3genE2ELNS1_11target_archE906ELNS1_3gpuE6ELNS1_3repE0EEENS1_30default_config_static_selectorELNS0_4arch9wavefront6targetE0EEEvT1_.has_recursion, 0
	.set _ZN7rocprim17ROCPRIM_400000_NS6detail17trampoline_kernelINS0_14default_configENS1_25partition_config_selectorILNS1_17partition_subalgoE8ElNS0_10empty_typeEbEEZZNS1_14partition_implILS5_8ELb0ES3_jPlPS6_PKS6_NS0_5tupleIJS9_S6_EEENSD_IJSA_SA_EEENS0_18inequality_wrapperIZN2at6native12_GLOBAL__N_124unique_dim_cuda_templateIiEESt5tupleIJNSH_6TensorESM_SM_EERKSM_lbbbEUlllE0_EEPmJS6_EEE10hipError_tPvRmT3_T4_T5_T6_T7_T9_mT8_P12ihipStream_tbDpT10_ENKUlT_T0_E_clISt17integral_constantIbLb0EES1C_EEDaS17_S18_EUlS17_E_NS1_11comp_targetILNS1_3genE2ELNS1_11target_archE906ELNS1_3gpuE6ELNS1_3repE0EEENS1_30default_config_static_selectorELNS0_4arch9wavefront6targetE0EEEvT1_.has_indirect_call, 0
	.section	.AMDGPU.csdata,"",@progbits
; Kernel info:
; codeLenInByte = 0
; TotalNumSgprs: 0
; NumVgprs: 0
; ScratchSize: 0
; MemoryBound: 0
; FloatMode: 240
; IeeeMode: 1
; LDSByteSize: 0 bytes/workgroup (compile time only)
; SGPRBlocks: 0
; VGPRBlocks: 0
; NumSGPRsForWavesPerEU: 1
; NumVGPRsForWavesPerEU: 1
; NamedBarCnt: 0
; Occupancy: 16
; WaveLimiterHint : 0
; COMPUTE_PGM_RSRC2:SCRATCH_EN: 0
; COMPUTE_PGM_RSRC2:USER_SGPR: 2
; COMPUTE_PGM_RSRC2:TRAP_HANDLER: 0
; COMPUTE_PGM_RSRC2:TGID_X_EN: 1
; COMPUTE_PGM_RSRC2:TGID_Y_EN: 0
; COMPUTE_PGM_RSRC2:TGID_Z_EN: 0
; COMPUTE_PGM_RSRC2:TIDIG_COMP_CNT: 0
	.section	.text._ZN7rocprim17ROCPRIM_400000_NS6detail17trampoline_kernelINS0_14default_configENS1_25partition_config_selectorILNS1_17partition_subalgoE8ElNS0_10empty_typeEbEEZZNS1_14partition_implILS5_8ELb0ES3_jPlPS6_PKS6_NS0_5tupleIJS9_S6_EEENSD_IJSA_SA_EEENS0_18inequality_wrapperIZN2at6native12_GLOBAL__N_124unique_dim_cuda_templateIiEESt5tupleIJNSH_6TensorESM_SM_EERKSM_lbbbEUlllE0_EEPmJS6_EEE10hipError_tPvRmT3_T4_T5_T6_T7_T9_mT8_P12ihipStream_tbDpT10_ENKUlT_T0_E_clISt17integral_constantIbLb0EES1C_EEDaS17_S18_EUlS17_E_NS1_11comp_targetILNS1_3genE10ELNS1_11target_archE1200ELNS1_3gpuE4ELNS1_3repE0EEENS1_30default_config_static_selectorELNS0_4arch9wavefront6targetE0EEEvT1_,"axG",@progbits,_ZN7rocprim17ROCPRIM_400000_NS6detail17trampoline_kernelINS0_14default_configENS1_25partition_config_selectorILNS1_17partition_subalgoE8ElNS0_10empty_typeEbEEZZNS1_14partition_implILS5_8ELb0ES3_jPlPS6_PKS6_NS0_5tupleIJS9_S6_EEENSD_IJSA_SA_EEENS0_18inequality_wrapperIZN2at6native12_GLOBAL__N_124unique_dim_cuda_templateIiEESt5tupleIJNSH_6TensorESM_SM_EERKSM_lbbbEUlllE0_EEPmJS6_EEE10hipError_tPvRmT3_T4_T5_T6_T7_T9_mT8_P12ihipStream_tbDpT10_ENKUlT_T0_E_clISt17integral_constantIbLb0EES1C_EEDaS17_S18_EUlS17_E_NS1_11comp_targetILNS1_3genE10ELNS1_11target_archE1200ELNS1_3gpuE4ELNS1_3repE0EEENS1_30default_config_static_selectorELNS0_4arch9wavefront6targetE0EEEvT1_,comdat
	.globl	_ZN7rocprim17ROCPRIM_400000_NS6detail17trampoline_kernelINS0_14default_configENS1_25partition_config_selectorILNS1_17partition_subalgoE8ElNS0_10empty_typeEbEEZZNS1_14partition_implILS5_8ELb0ES3_jPlPS6_PKS6_NS0_5tupleIJS9_S6_EEENSD_IJSA_SA_EEENS0_18inequality_wrapperIZN2at6native12_GLOBAL__N_124unique_dim_cuda_templateIiEESt5tupleIJNSH_6TensorESM_SM_EERKSM_lbbbEUlllE0_EEPmJS6_EEE10hipError_tPvRmT3_T4_T5_T6_T7_T9_mT8_P12ihipStream_tbDpT10_ENKUlT_T0_E_clISt17integral_constantIbLb0EES1C_EEDaS17_S18_EUlS17_E_NS1_11comp_targetILNS1_3genE10ELNS1_11target_archE1200ELNS1_3gpuE4ELNS1_3repE0EEENS1_30default_config_static_selectorELNS0_4arch9wavefront6targetE0EEEvT1_ ; -- Begin function _ZN7rocprim17ROCPRIM_400000_NS6detail17trampoline_kernelINS0_14default_configENS1_25partition_config_selectorILNS1_17partition_subalgoE8ElNS0_10empty_typeEbEEZZNS1_14partition_implILS5_8ELb0ES3_jPlPS6_PKS6_NS0_5tupleIJS9_S6_EEENSD_IJSA_SA_EEENS0_18inequality_wrapperIZN2at6native12_GLOBAL__N_124unique_dim_cuda_templateIiEESt5tupleIJNSH_6TensorESM_SM_EERKSM_lbbbEUlllE0_EEPmJS6_EEE10hipError_tPvRmT3_T4_T5_T6_T7_T9_mT8_P12ihipStream_tbDpT10_ENKUlT_T0_E_clISt17integral_constantIbLb0EES1C_EEDaS17_S18_EUlS17_E_NS1_11comp_targetILNS1_3genE10ELNS1_11target_archE1200ELNS1_3gpuE4ELNS1_3repE0EEENS1_30default_config_static_selectorELNS0_4arch9wavefront6targetE0EEEvT1_
	.p2align	8
	.type	_ZN7rocprim17ROCPRIM_400000_NS6detail17trampoline_kernelINS0_14default_configENS1_25partition_config_selectorILNS1_17partition_subalgoE8ElNS0_10empty_typeEbEEZZNS1_14partition_implILS5_8ELb0ES3_jPlPS6_PKS6_NS0_5tupleIJS9_S6_EEENSD_IJSA_SA_EEENS0_18inequality_wrapperIZN2at6native12_GLOBAL__N_124unique_dim_cuda_templateIiEESt5tupleIJNSH_6TensorESM_SM_EERKSM_lbbbEUlllE0_EEPmJS6_EEE10hipError_tPvRmT3_T4_T5_T6_T7_T9_mT8_P12ihipStream_tbDpT10_ENKUlT_T0_E_clISt17integral_constantIbLb0EES1C_EEDaS17_S18_EUlS17_E_NS1_11comp_targetILNS1_3genE10ELNS1_11target_archE1200ELNS1_3gpuE4ELNS1_3repE0EEENS1_30default_config_static_selectorELNS0_4arch9wavefront6targetE0EEEvT1_,@function
_ZN7rocprim17ROCPRIM_400000_NS6detail17trampoline_kernelINS0_14default_configENS1_25partition_config_selectorILNS1_17partition_subalgoE8ElNS0_10empty_typeEbEEZZNS1_14partition_implILS5_8ELb0ES3_jPlPS6_PKS6_NS0_5tupleIJS9_S6_EEENSD_IJSA_SA_EEENS0_18inequality_wrapperIZN2at6native12_GLOBAL__N_124unique_dim_cuda_templateIiEESt5tupleIJNSH_6TensorESM_SM_EERKSM_lbbbEUlllE0_EEPmJS6_EEE10hipError_tPvRmT3_T4_T5_T6_T7_T9_mT8_P12ihipStream_tbDpT10_ENKUlT_T0_E_clISt17integral_constantIbLb0EES1C_EEDaS17_S18_EUlS17_E_NS1_11comp_targetILNS1_3genE10ELNS1_11target_archE1200ELNS1_3gpuE4ELNS1_3repE0EEENS1_30default_config_static_selectorELNS0_4arch9wavefront6targetE0EEEvT1_: ; @_ZN7rocprim17ROCPRIM_400000_NS6detail17trampoline_kernelINS0_14default_configENS1_25partition_config_selectorILNS1_17partition_subalgoE8ElNS0_10empty_typeEbEEZZNS1_14partition_implILS5_8ELb0ES3_jPlPS6_PKS6_NS0_5tupleIJS9_S6_EEENSD_IJSA_SA_EEENS0_18inequality_wrapperIZN2at6native12_GLOBAL__N_124unique_dim_cuda_templateIiEESt5tupleIJNSH_6TensorESM_SM_EERKSM_lbbbEUlllE0_EEPmJS6_EEE10hipError_tPvRmT3_T4_T5_T6_T7_T9_mT8_P12ihipStream_tbDpT10_ENKUlT_T0_E_clISt17integral_constantIbLb0EES1C_EEDaS17_S18_EUlS17_E_NS1_11comp_targetILNS1_3genE10ELNS1_11target_archE1200ELNS1_3gpuE4ELNS1_3repE0EEENS1_30default_config_static_selectorELNS0_4arch9wavefront6targetE0EEEvT1_
; %bb.0:
	.section	.rodata,"a",@progbits
	.p2align	6, 0x0
	.amdhsa_kernel _ZN7rocprim17ROCPRIM_400000_NS6detail17trampoline_kernelINS0_14default_configENS1_25partition_config_selectorILNS1_17partition_subalgoE8ElNS0_10empty_typeEbEEZZNS1_14partition_implILS5_8ELb0ES3_jPlPS6_PKS6_NS0_5tupleIJS9_S6_EEENSD_IJSA_SA_EEENS0_18inequality_wrapperIZN2at6native12_GLOBAL__N_124unique_dim_cuda_templateIiEESt5tupleIJNSH_6TensorESM_SM_EERKSM_lbbbEUlllE0_EEPmJS6_EEE10hipError_tPvRmT3_T4_T5_T6_T7_T9_mT8_P12ihipStream_tbDpT10_ENKUlT_T0_E_clISt17integral_constantIbLb0EES1C_EEDaS17_S18_EUlS17_E_NS1_11comp_targetILNS1_3genE10ELNS1_11target_archE1200ELNS1_3gpuE4ELNS1_3repE0EEENS1_30default_config_static_selectorELNS0_4arch9wavefront6targetE0EEEvT1_
		.amdhsa_group_segment_fixed_size 0
		.amdhsa_private_segment_fixed_size 0
		.amdhsa_kernarg_size 120
		.amdhsa_user_sgpr_count 2
		.amdhsa_user_sgpr_dispatch_ptr 0
		.amdhsa_user_sgpr_queue_ptr 0
		.amdhsa_user_sgpr_kernarg_segment_ptr 1
		.amdhsa_user_sgpr_dispatch_id 0
		.amdhsa_user_sgpr_kernarg_preload_length 0
		.amdhsa_user_sgpr_kernarg_preload_offset 0
		.amdhsa_user_sgpr_private_segment_size 0
		.amdhsa_wavefront_size32 1
		.amdhsa_uses_dynamic_stack 0
		.amdhsa_enable_private_segment 0
		.amdhsa_system_sgpr_workgroup_id_x 1
		.amdhsa_system_sgpr_workgroup_id_y 0
		.amdhsa_system_sgpr_workgroup_id_z 0
		.amdhsa_system_sgpr_workgroup_info 0
		.amdhsa_system_vgpr_workitem_id 0
		.amdhsa_next_free_vgpr 1
		.amdhsa_next_free_sgpr 1
		.amdhsa_named_barrier_count 0
		.amdhsa_reserve_vcc 0
		.amdhsa_float_round_mode_32 0
		.amdhsa_float_round_mode_16_64 0
		.amdhsa_float_denorm_mode_32 3
		.amdhsa_float_denorm_mode_16_64 3
		.amdhsa_fp16_overflow 0
		.amdhsa_memory_ordered 1
		.amdhsa_forward_progress 1
		.amdhsa_inst_pref_size 0
		.amdhsa_round_robin_scheduling 0
		.amdhsa_exception_fp_ieee_invalid_op 0
		.amdhsa_exception_fp_denorm_src 0
		.amdhsa_exception_fp_ieee_div_zero 0
		.amdhsa_exception_fp_ieee_overflow 0
		.amdhsa_exception_fp_ieee_underflow 0
		.amdhsa_exception_fp_ieee_inexact 0
		.amdhsa_exception_int_div_zero 0
	.end_amdhsa_kernel
	.section	.text._ZN7rocprim17ROCPRIM_400000_NS6detail17trampoline_kernelINS0_14default_configENS1_25partition_config_selectorILNS1_17partition_subalgoE8ElNS0_10empty_typeEbEEZZNS1_14partition_implILS5_8ELb0ES3_jPlPS6_PKS6_NS0_5tupleIJS9_S6_EEENSD_IJSA_SA_EEENS0_18inequality_wrapperIZN2at6native12_GLOBAL__N_124unique_dim_cuda_templateIiEESt5tupleIJNSH_6TensorESM_SM_EERKSM_lbbbEUlllE0_EEPmJS6_EEE10hipError_tPvRmT3_T4_T5_T6_T7_T9_mT8_P12ihipStream_tbDpT10_ENKUlT_T0_E_clISt17integral_constantIbLb0EES1C_EEDaS17_S18_EUlS17_E_NS1_11comp_targetILNS1_3genE10ELNS1_11target_archE1200ELNS1_3gpuE4ELNS1_3repE0EEENS1_30default_config_static_selectorELNS0_4arch9wavefront6targetE0EEEvT1_,"axG",@progbits,_ZN7rocprim17ROCPRIM_400000_NS6detail17trampoline_kernelINS0_14default_configENS1_25partition_config_selectorILNS1_17partition_subalgoE8ElNS0_10empty_typeEbEEZZNS1_14partition_implILS5_8ELb0ES3_jPlPS6_PKS6_NS0_5tupleIJS9_S6_EEENSD_IJSA_SA_EEENS0_18inequality_wrapperIZN2at6native12_GLOBAL__N_124unique_dim_cuda_templateIiEESt5tupleIJNSH_6TensorESM_SM_EERKSM_lbbbEUlllE0_EEPmJS6_EEE10hipError_tPvRmT3_T4_T5_T6_T7_T9_mT8_P12ihipStream_tbDpT10_ENKUlT_T0_E_clISt17integral_constantIbLb0EES1C_EEDaS17_S18_EUlS17_E_NS1_11comp_targetILNS1_3genE10ELNS1_11target_archE1200ELNS1_3gpuE4ELNS1_3repE0EEENS1_30default_config_static_selectorELNS0_4arch9wavefront6targetE0EEEvT1_,comdat
.Lfunc_end446:
	.size	_ZN7rocprim17ROCPRIM_400000_NS6detail17trampoline_kernelINS0_14default_configENS1_25partition_config_selectorILNS1_17partition_subalgoE8ElNS0_10empty_typeEbEEZZNS1_14partition_implILS5_8ELb0ES3_jPlPS6_PKS6_NS0_5tupleIJS9_S6_EEENSD_IJSA_SA_EEENS0_18inequality_wrapperIZN2at6native12_GLOBAL__N_124unique_dim_cuda_templateIiEESt5tupleIJNSH_6TensorESM_SM_EERKSM_lbbbEUlllE0_EEPmJS6_EEE10hipError_tPvRmT3_T4_T5_T6_T7_T9_mT8_P12ihipStream_tbDpT10_ENKUlT_T0_E_clISt17integral_constantIbLb0EES1C_EEDaS17_S18_EUlS17_E_NS1_11comp_targetILNS1_3genE10ELNS1_11target_archE1200ELNS1_3gpuE4ELNS1_3repE0EEENS1_30default_config_static_selectorELNS0_4arch9wavefront6targetE0EEEvT1_, .Lfunc_end446-_ZN7rocprim17ROCPRIM_400000_NS6detail17trampoline_kernelINS0_14default_configENS1_25partition_config_selectorILNS1_17partition_subalgoE8ElNS0_10empty_typeEbEEZZNS1_14partition_implILS5_8ELb0ES3_jPlPS6_PKS6_NS0_5tupleIJS9_S6_EEENSD_IJSA_SA_EEENS0_18inequality_wrapperIZN2at6native12_GLOBAL__N_124unique_dim_cuda_templateIiEESt5tupleIJNSH_6TensorESM_SM_EERKSM_lbbbEUlllE0_EEPmJS6_EEE10hipError_tPvRmT3_T4_T5_T6_T7_T9_mT8_P12ihipStream_tbDpT10_ENKUlT_T0_E_clISt17integral_constantIbLb0EES1C_EEDaS17_S18_EUlS17_E_NS1_11comp_targetILNS1_3genE10ELNS1_11target_archE1200ELNS1_3gpuE4ELNS1_3repE0EEENS1_30default_config_static_selectorELNS0_4arch9wavefront6targetE0EEEvT1_
                                        ; -- End function
	.set _ZN7rocprim17ROCPRIM_400000_NS6detail17trampoline_kernelINS0_14default_configENS1_25partition_config_selectorILNS1_17partition_subalgoE8ElNS0_10empty_typeEbEEZZNS1_14partition_implILS5_8ELb0ES3_jPlPS6_PKS6_NS0_5tupleIJS9_S6_EEENSD_IJSA_SA_EEENS0_18inequality_wrapperIZN2at6native12_GLOBAL__N_124unique_dim_cuda_templateIiEESt5tupleIJNSH_6TensorESM_SM_EERKSM_lbbbEUlllE0_EEPmJS6_EEE10hipError_tPvRmT3_T4_T5_T6_T7_T9_mT8_P12ihipStream_tbDpT10_ENKUlT_T0_E_clISt17integral_constantIbLb0EES1C_EEDaS17_S18_EUlS17_E_NS1_11comp_targetILNS1_3genE10ELNS1_11target_archE1200ELNS1_3gpuE4ELNS1_3repE0EEENS1_30default_config_static_selectorELNS0_4arch9wavefront6targetE0EEEvT1_.num_vgpr, 0
	.set _ZN7rocprim17ROCPRIM_400000_NS6detail17trampoline_kernelINS0_14default_configENS1_25partition_config_selectorILNS1_17partition_subalgoE8ElNS0_10empty_typeEbEEZZNS1_14partition_implILS5_8ELb0ES3_jPlPS6_PKS6_NS0_5tupleIJS9_S6_EEENSD_IJSA_SA_EEENS0_18inequality_wrapperIZN2at6native12_GLOBAL__N_124unique_dim_cuda_templateIiEESt5tupleIJNSH_6TensorESM_SM_EERKSM_lbbbEUlllE0_EEPmJS6_EEE10hipError_tPvRmT3_T4_T5_T6_T7_T9_mT8_P12ihipStream_tbDpT10_ENKUlT_T0_E_clISt17integral_constantIbLb0EES1C_EEDaS17_S18_EUlS17_E_NS1_11comp_targetILNS1_3genE10ELNS1_11target_archE1200ELNS1_3gpuE4ELNS1_3repE0EEENS1_30default_config_static_selectorELNS0_4arch9wavefront6targetE0EEEvT1_.num_agpr, 0
	.set _ZN7rocprim17ROCPRIM_400000_NS6detail17trampoline_kernelINS0_14default_configENS1_25partition_config_selectorILNS1_17partition_subalgoE8ElNS0_10empty_typeEbEEZZNS1_14partition_implILS5_8ELb0ES3_jPlPS6_PKS6_NS0_5tupleIJS9_S6_EEENSD_IJSA_SA_EEENS0_18inequality_wrapperIZN2at6native12_GLOBAL__N_124unique_dim_cuda_templateIiEESt5tupleIJNSH_6TensorESM_SM_EERKSM_lbbbEUlllE0_EEPmJS6_EEE10hipError_tPvRmT3_T4_T5_T6_T7_T9_mT8_P12ihipStream_tbDpT10_ENKUlT_T0_E_clISt17integral_constantIbLb0EES1C_EEDaS17_S18_EUlS17_E_NS1_11comp_targetILNS1_3genE10ELNS1_11target_archE1200ELNS1_3gpuE4ELNS1_3repE0EEENS1_30default_config_static_selectorELNS0_4arch9wavefront6targetE0EEEvT1_.numbered_sgpr, 0
	.set _ZN7rocprim17ROCPRIM_400000_NS6detail17trampoline_kernelINS0_14default_configENS1_25partition_config_selectorILNS1_17partition_subalgoE8ElNS0_10empty_typeEbEEZZNS1_14partition_implILS5_8ELb0ES3_jPlPS6_PKS6_NS0_5tupleIJS9_S6_EEENSD_IJSA_SA_EEENS0_18inequality_wrapperIZN2at6native12_GLOBAL__N_124unique_dim_cuda_templateIiEESt5tupleIJNSH_6TensorESM_SM_EERKSM_lbbbEUlllE0_EEPmJS6_EEE10hipError_tPvRmT3_T4_T5_T6_T7_T9_mT8_P12ihipStream_tbDpT10_ENKUlT_T0_E_clISt17integral_constantIbLb0EES1C_EEDaS17_S18_EUlS17_E_NS1_11comp_targetILNS1_3genE10ELNS1_11target_archE1200ELNS1_3gpuE4ELNS1_3repE0EEENS1_30default_config_static_selectorELNS0_4arch9wavefront6targetE0EEEvT1_.num_named_barrier, 0
	.set _ZN7rocprim17ROCPRIM_400000_NS6detail17trampoline_kernelINS0_14default_configENS1_25partition_config_selectorILNS1_17partition_subalgoE8ElNS0_10empty_typeEbEEZZNS1_14partition_implILS5_8ELb0ES3_jPlPS6_PKS6_NS0_5tupleIJS9_S6_EEENSD_IJSA_SA_EEENS0_18inequality_wrapperIZN2at6native12_GLOBAL__N_124unique_dim_cuda_templateIiEESt5tupleIJNSH_6TensorESM_SM_EERKSM_lbbbEUlllE0_EEPmJS6_EEE10hipError_tPvRmT3_T4_T5_T6_T7_T9_mT8_P12ihipStream_tbDpT10_ENKUlT_T0_E_clISt17integral_constantIbLb0EES1C_EEDaS17_S18_EUlS17_E_NS1_11comp_targetILNS1_3genE10ELNS1_11target_archE1200ELNS1_3gpuE4ELNS1_3repE0EEENS1_30default_config_static_selectorELNS0_4arch9wavefront6targetE0EEEvT1_.private_seg_size, 0
	.set _ZN7rocprim17ROCPRIM_400000_NS6detail17trampoline_kernelINS0_14default_configENS1_25partition_config_selectorILNS1_17partition_subalgoE8ElNS0_10empty_typeEbEEZZNS1_14partition_implILS5_8ELb0ES3_jPlPS6_PKS6_NS0_5tupleIJS9_S6_EEENSD_IJSA_SA_EEENS0_18inequality_wrapperIZN2at6native12_GLOBAL__N_124unique_dim_cuda_templateIiEESt5tupleIJNSH_6TensorESM_SM_EERKSM_lbbbEUlllE0_EEPmJS6_EEE10hipError_tPvRmT3_T4_T5_T6_T7_T9_mT8_P12ihipStream_tbDpT10_ENKUlT_T0_E_clISt17integral_constantIbLb0EES1C_EEDaS17_S18_EUlS17_E_NS1_11comp_targetILNS1_3genE10ELNS1_11target_archE1200ELNS1_3gpuE4ELNS1_3repE0EEENS1_30default_config_static_selectorELNS0_4arch9wavefront6targetE0EEEvT1_.uses_vcc, 0
	.set _ZN7rocprim17ROCPRIM_400000_NS6detail17trampoline_kernelINS0_14default_configENS1_25partition_config_selectorILNS1_17partition_subalgoE8ElNS0_10empty_typeEbEEZZNS1_14partition_implILS5_8ELb0ES3_jPlPS6_PKS6_NS0_5tupleIJS9_S6_EEENSD_IJSA_SA_EEENS0_18inequality_wrapperIZN2at6native12_GLOBAL__N_124unique_dim_cuda_templateIiEESt5tupleIJNSH_6TensorESM_SM_EERKSM_lbbbEUlllE0_EEPmJS6_EEE10hipError_tPvRmT3_T4_T5_T6_T7_T9_mT8_P12ihipStream_tbDpT10_ENKUlT_T0_E_clISt17integral_constantIbLb0EES1C_EEDaS17_S18_EUlS17_E_NS1_11comp_targetILNS1_3genE10ELNS1_11target_archE1200ELNS1_3gpuE4ELNS1_3repE0EEENS1_30default_config_static_selectorELNS0_4arch9wavefront6targetE0EEEvT1_.uses_flat_scratch, 0
	.set _ZN7rocprim17ROCPRIM_400000_NS6detail17trampoline_kernelINS0_14default_configENS1_25partition_config_selectorILNS1_17partition_subalgoE8ElNS0_10empty_typeEbEEZZNS1_14partition_implILS5_8ELb0ES3_jPlPS6_PKS6_NS0_5tupleIJS9_S6_EEENSD_IJSA_SA_EEENS0_18inequality_wrapperIZN2at6native12_GLOBAL__N_124unique_dim_cuda_templateIiEESt5tupleIJNSH_6TensorESM_SM_EERKSM_lbbbEUlllE0_EEPmJS6_EEE10hipError_tPvRmT3_T4_T5_T6_T7_T9_mT8_P12ihipStream_tbDpT10_ENKUlT_T0_E_clISt17integral_constantIbLb0EES1C_EEDaS17_S18_EUlS17_E_NS1_11comp_targetILNS1_3genE10ELNS1_11target_archE1200ELNS1_3gpuE4ELNS1_3repE0EEENS1_30default_config_static_selectorELNS0_4arch9wavefront6targetE0EEEvT1_.has_dyn_sized_stack, 0
	.set _ZN7rocprim17ROCPRIM_400000_NS6detail17trampoline_kernelINS0_14default_configENS1_25partition_config_selectorILNS1_17partition_subalgoE8ElNS0_10empty_typeEbEEZZNS1_14partition_implILS5_8ELb0ES3_jPlPS6_PKS6_NS0_5tupleIJS9_S6_EEENSD_IJSA_SA_EEENS0_18inequality_wrapperIZN2at6native12_GLOBAL__N_124unique_dim_cuda_templateIiEESt5tupleIJNSH_6TensorESM_SM_EERKSM_lbbbEUlllE0_EEPmJS6_EEE10hipError_tPvRmT3_T4_T5_T6_T7_T9_mT8_P12ihipStream_tbDpT10_ENKUlT_T0_E_clISt17integral_constantIbLb0EES1C_EEDaS17_S18_EUlS17_E_NS1_11comp_targetILNS1_3genE10ELNS1_11target_archE1200ELNS1_3gpuE4ELNS1_3repE0EEENS1_30default_config_static_selectorELNS0_4arch9wavefront6targetE0EEEvT1_.has_recursion, 0
	.set _ZN7rocprim17ROCPRIM_400000_NS6detail17trampoline_kernelINS0_14default_configENS1_25partition_config_selectorILNS1_17partition_subalgoE8ElNS0_10empty_typeEbEEZZNS1_14partition_implILS5_8ELb0ES3_jPlPS6_PKS6_NS0_5tupleIJS9_S6_EEENSD_IJSA_SA_EEENS0_18inequality_wrapperIZN2at6native12_GLOBAL__N_124unique_dim_cuda_templateIiEESt5tupleIJNSH_6TensorESM_SM_EERKSM_lbbbEUlllE0_EEPmJS6_EEE10hipError_tPvRmT3_T4_T5_T6_T7_T9_mT8_P12ihipStream_tbDpT10_ENKUlT_T0_E_clISt17integral_constantIbLb0EES1C_EEDaS17_S18_EUlS17_E_NS1_11comp_targetILNS1_3genE10ELNS1_11target_archE1200ELNS1_3gpuE4ELNS1_3repE0EEENS1_30default_config_static_selectorELNS0_4arch9wavefront6targetE0EEEvT1_.has_indirect_call, 0
	.section	.AMDGPU.csdata,"",@progbits
; Kernel info:
; codeLenInByte = 0
; TotalNumSgprs: 0
; NumVgprs: 0
; ScratchSize: 0
; MemoryBound: 0
; FloatMode: 240
; IeeeMode: 1
; LDSByteSize: 0 bytes/workgroup (compile time only)
; SGPRBlocks: 0
; VGPRBlocks: 0
; NumSGPRsForWavesPerEU: 1
; NumVGPRsForWavesPerEU: 1
; NamedBarCnt: 0
; Occupancy: 16
; WaveLimiterHint : 0
; COMPUTE_PGM_RSRC2:SCRATCH_EN: 0
; COMPUTE_PGM_RSRC2:USER_SGPR: 2
; COMPUTE_PGM_RSRC2:TRAP_HANDLER: 0
; COMPUTE_PGM_RSRC2:TGID_X_EN: 1
; COMPUTE_PGM_RSRC2:TGID_Y_EN: 0
; COMPUTE_PGM_RSRC2:TGID_Z_EN: 0
; COMPUTE_PGM_RSRC2:TIDIG_COMP_CNT: 0
	.section	.text._ZN7rocprim17ROCPRIM_400000_NS6detail17trampoline_kernelINS0_14default_configENS1_25partition_config_selectorILNS1_17partition_subalgoE8ElNS0_10empty_typeEbEEZZNS1_14partition_implILS5_8ELb0ES3_jPlPS6_PKS6_NS0_5tupleIJS9_S6_EEENSD_IJSA_SA_EEENS0_18inequality_wrapperIZN2at6native12_GLOBAL__N_124unique_dim_cuda_templateIiEESt5tupleIJNSH_6TensorESM_SM_EERKSM_lbbbEUlllE0_EEPmJS6_EEE10hipError_tPvRmT3_T4_T5_T6_T7_T9_mT8_P12ihipStream_tbDpT10_ENKUlT_T0_E_clISt17integral_constantIbLb0EES1C_EEDaS17_S18_EUlS17_E_NS1_11comp_targetILNS1_3genE9ELNS1_11target_archE1100ELNS1_3gpuE3ELNS1_3repE0EEENS1_30default_config_static_selectorELNS0_4arch9wavefront6targetE0EEEvT1_,"axG",@progbits,_ZN7rocprim17ROCPRIM_400000_NS6detail17trampoline_kernelINS0_14default_configENS1_25partition_config_selectorILNS1_17partition_subalgoE8ElNS0_10empty_typeEbEEZZNS1_14partition_implILS5_8ELb0ES3_jPlPS6_PKS6_NS0_5tupleIJS9_S6_EEENSD_IJSA_SA_EEENS0_18inequality_wrapperIZN2at6native12_GLOBAL__N_124unique_dim_cuda_templateIiEESt5tupleIJNSH_6TensorESM_SM_EERKSM_lbbbEUlllE0_EEPmJS6_EEE10hipError_tPvRmT3_T4_T5_T6_T7_T9_mT8_P12ihipStream_tbDpT10_ENKUlT_T0_E_clISt17integral_constantIbLb0EES1C_EEDaS17_S18_EUlS17_E_NS1_11comp_targetILNS1_3genE9ELNS1_11target_archE1100ELNS1_3gpuE3ELNS1_3repE0EEENS1_30default_config_static_selectorELNS0_4arch9wavefront6targetE0EEEvT1_,comdat
	.globl	_ZN7rocprim17ROCPRIM_400000_NS6detail17trampoline_kernelINS0_14default_configENS1_25partition_config_selectorILNS1_17partition_subalgoE8ElNS0_10empty_typeEbEEZZNS1_14partition_implILS5_8ELb0ES3_jPlPS6_PKS6_NS0_5tupleIJS9_S6_EEENSD_IJSA_SA_EEENS0_18inequality_wrapperIZN2at6native12_GLOBAL__N_124unique_dim_cuda_templateIiEESt5tupleIJNSH_6TensorESM_SM_EERKSM_lbbbEUlllE0_EEPmJS6_EEE10hipError_tPvRmT3_T4_T5_T6_T7_T9_mT8_P12ihipStream_tbDpT10_ENKUlT_T0_E_clISt17integral_constantIbLb0EES1C_EEDaS17_S18_EUlS17_E_NS1_11comp_targetILNS1_3genE9ELNS1_11target_archE1100ELNS1_3gpuE3ELNS1_3repE0EEENS1_30default_config_static_selectorELNS0_4arch9wavefront6targetE0EEEvT1_ ; -- Begin function _ZN7rocprim17ROCPRIM_400000_NS6detail17trampoline_kernelINS0_14default_configENS1_25partition_config_selectorILNS1_17partition_subalgoE8ElNS0_10empty_typeEbEEZZNS1_14partition_implILS5_8ELb0ES3_jPlPS6_PKS6_NS0_5tupleIJS9_S6_EEENSD_IJSA_SA_EEENS0_18inequality_wrapperIZN2at6native12_GLOBAL__N_124unique_dim_cuda_templateIiEESt5tupleIJNSH_6TensorESM_SM_EERKSM_lbbbEUlllE0_EEPmJS6_EEE10hipError_tPvRmT3_T4_T5_T6_T7_T9_mT8_P12ihipStream_tbDpT10_ENKUlT_T0_E_clISt17integral_constantIbLb0EES1C_EEDaS17_S18_EUlS17_E_NS1_11comp_targetILNS1_3genE9ELNS1_11target_archE1100ELNS1_3gpuE3ELNS1_3repE0EEENS1_30default_config_static_selectorELNS0_4arch9wavefront6targetE0EEEvT1_
	.p2align	8
	.type	_ZN7rocprim17ROCPRIM_400000_NS6detail17trampoline_kernelINS0_14default_configENS1_25partition_config_selectorILNS1_17partition_subalgoE8ElNS0_10empty_typeEbEEZZNS1_14partition_implILS5_8ELb0ES3_jPlPS6_PKS6_NS0_5tupleIJS9_S6_EEENSD_IJSA_SA_EEENS0_18inequality_wrapperIZN2at6native12_GLOBAL__N_124unique_dim_cuda_templateIiEESt5tupleIJNSH_6TensorESM_SM_EERKSM_lbbbEUlllE0_EEPmJS6_EEE10hipError_tPvRmT3_T4_T5_T6_T7_T9_mT8_P12ihipStream_tbDpT10_ENKUlT_T0_E_clISt17integral_constantIbLb0EES1C_EEDaS17_S18_EUlS17_E_NS1_11comp_targetILNS1_3genE9ELNS1_11target_archE1100ELNS1_3gpuE3ELNS1_3repE0EEENS1_30default_config_static_selectorELNS0_4arch9wavefront6targetE0EEEvT1_,@function
_ZN7rocprim17ROCPRIM_400000_NS6detail17trampoline_kernelINS0_14default_configENS1_25partition_config_selectorILNS1_17partition_subalgoE8ElNS0_10empty_typeEbEEZZNS1_14partition_implILS5_8ELb0ES3_jPlPS6_PKS6_NS0_5tupleIJS9_S6_EEENSD_IJSA_SA_EEENS0_18inequality_wrapperIZN2at6native12_GLOBAL__N_124unique_dim_cuda_templateIiEESt5tupleIJNSH_6TensorESM_SM_EERKSM_lbbbEUlllE0_EEPmJS6_EEE10hipError_tPvRmT3_T4_T5_T6_T7_T9_mT8_P12ihipStream_tbDpT10_ENKUlT_T0_E_clISt17integral_constantIbLb0EES1C_EEDaS17_S18_EUlS17_E_NS1_11comp_targetILNS1_3genE9ELNS1_11target_archE1100ELNS1_3gpuE3ELNS1_3repE0EEENS1_30default_config_static_selectorELNS0_4arch9wavefront6targetE0EEEvT1_: ; @_ZN7rocprim17ROCPRIM_400000_NS6detail17trampoline_kernelINS0_14default_configENS1_25partition_config_selectorILNS1_17partition_subalgoE8ElNS0_10empty_typeEbEEZZNS1_14partition_implILS5_8ELb0ES3_jPlPS6_PKS6_NS0_5tupleIJS9_S6_EEENSD_IJSA_SA_EEENS0_18inequality_wrapperIZN2at6native12_GLOBAL__N_124unique_dim_cuda_templateIiEESt5tupleIJNSH_6TensorESM_SM_EERKSM_lbbbEUlllE0_EEPmJS6_EEE10hipError_tPvRmT3_T4_T5_T6_T7_T9_mT8_P12ihipStream_tbDpT10_ENKUlT_T0_E_clISt17integral_constantIbLb0EES1C_EEDaS17_S18_EUlS17_E_NS1_11comp_targetILNS1_3genE9ELNS1_11target_archE1100ELNS1_3gpuE3ELNS1_3repE0EEENS1_30default_config_static_selectorELNS0_4arch9wavefront6targetE0EEEvT1_
; %bb.0:
	.section	.rodata,"a",@progbits
	.p2align	6, 0x0
	.amdhsa_kernel _ZN7rocprim17ROCPRIM_400000_NS6detail17trampoline_kernelINS0_14default_configENS1_25partition_config_selectorILNS1_17partition_subalgoE8ElNS0_10empty_typeEbEEZZNS1_14partition_implILS5_8ELb0ES3_jPlPS6_PKS6_NS0_5tupleIJS9_S6_EEENSD_IJSA_SA_EEENS0_18inequality_wrapperIZN2at6native12_GLOBAL__N_124unique_dim_cuda_templateIiEESt5tupleIJNSH_6TensorESM_SM_EERKSM_lbbbEUlllE0_EEPmJS6_EEE10hipError_tPvRmT3_T4_T5_T6_T7_T9_mT8_P12ihipStream_tbDpT10_ENKUlT_T0_E_clISt17integral_constantIbLb0EES1C_EEDaS17_S18_EUlS17_E_NS1_11comp_targetILNS1_3genE9ELNS1_11target_archE1100ELNS1_3gpuE3ELNS1_3repE0EEENS1_30default_config_static_selectorELNS0_4arch9wavefront6targetE0EEEvT1_
		.amdhsa_group_segment_fixed_size 0
		.amdhsa_private_segment_fixed_size 0
		.amdhsa_kernarg_size 120
		.amdhsa_user_sgpr_count 2
		.amdhsa_user_sgpr_dispatch_ptr 0
		.amdhsa_user_sgpr_queue_ptr 0
		.amdhsa_user_sgpr_kernarg_segment_ptr 1
		.amdhsa_user_sgpr_dispatch_id 0
		.amdhsa_user_sgpr_kernarg_preload_length 0
		.amdhsa_user_sgpr_kernarg_preload_offset 0
		.amdhsa_user_sgpr_private_segment_size 0
		.amdhsa_wavefront_size32 1
		.amdhsa_uses_dynamic_stack 0
		.amdhsa_enable_private_segment 0
		.amdhsa_system_sgpr_workgroup_id_x 1
		.amdhsa_system_sgpr_workgroup_id_y 0
		.amdhsa_system_sgpr_workgroup_id_z 0
		.amdhsa_system_sgpr_workgroup_info 0
		.amdhsa_system_vgpr_workitem_id 0
		.amdhsa_next_free_vgpr 1
		.amdhsa_next_free_sgpr 1
		.amdhsa_named_barrier_count 0
		.amdhsa_reserve_vcc 0
		.amdhsa_float_round_mode_32 0
		.amdhsa_float_round_mode_16_64 0
		.amdhsa_float_denorm_mode_32 3
		.amdhsa_float_denorm_mode_16_64 3
		.amdhsa_fp16_overflow 0
		.amdhsa_memory_ordered 1
		.amdhsa_forward_progress 1
		.amdhsa_inst_pref_size 0
		.amdhsa_round_robin_scheduling 0
		.amdhsa_exception_fp_ieee_invalid_op 0
		.amdhsa_exception_fp_denorm_src 0
		.amdhsa_exception_fp_ieee_div_zero 0
		.amdhsa_exception_fp_ieee_overflow 0
		.amdhsa_exception_fp_ieee_underflow 0
		.amdhsa_exception_fp_ieee_inexact 0
		.amdhsa_exception_int_div_zero 0
	.end_amdhsa_kernel
	.section	.text._ZN7rocprim17ROCPRIM_400000_NS6detail17trampoline_kernelINS0_14default_configENS1_25partition_config_selectorILNS1_17partition_subalgoE8ElNS0_10empty_typeEbEEZZNS1_14partition_implILS5_8ELb0ES3_jPlPS6_PKS6_NS0_5tupleIJS9_S6_EEENSD_IJSA_SA_EEENS0_18inequality_wrapperIZN2at6native12_GLOBAL__N_124unique_dim_cuda_templateIiEESt5tupleIJNSH_6TensorESM_SM_EERKSM_lbbbEUlllE0_EEPmJS6_EEE10hipError_tPvRmT3_T4_T5_T6_T7_T9_mT8_P12ihipStream_tbDpT10_ENKUlT_T0_E_clISt17integral_constantIbLb0EES1C_EEDaS17_S18_EUlS17_E_NS1_11comp_targetILNS1_3genE9ELNS1_11target_archE1100ELNS1_3gpuE3ELNS1_3repE0EEENS1_30default_config_static_selectorELNS0_4arch9wavefront6targetE0EEEvT1_,"axG",@progbits,_ZN7rocprim17ROCPRIM_400000_NS6detail17trampoline_kernelINS0_14default_configENS1_25partition_config_selectorILNS1_17partition_subalgoE8ElNS0_10empty_typeEbEEZZNS1_14partition_implILS5_8ELb0ES3_jPlPS6_PKS6_NS0_5tupleIJS9_S6_EEENSD_IJSA_SA_EEENS0_18inequality_wrapperIZN2at6native12_GLOBAL__N_124unique_dim_cuda_templateIiEESt5tupleIJNSH_6TensorESM_SM_EERKSM_lbbbEUlllE0_EEPmJS6_EEE10hipError_tPvRmT3_T4_T5_T6_T7_T9_mT8_P12ihipStream_tbDpT10_ENKUlT_T0_E_clISt17integral_constantIbLb0EES1C_EEDaS17_S18_EUlS17_E_NS1_11comp_targetILNS1_3genE9ELNS1_11target_archE1100ELNS1_3gpuE3ELNS1_3repE0EEENS1_30default_config_static_selectorELNS0_4arch9wavefront6targetE0EEEvT1_,comdat
.Lfunc_end447:
	.size	_ZN7rocprim17ROCPRIM_400000_NS6detail17trampoline_kernelINS0_14default_configENS1_25partition_config_selectorILNS1_17partition_subalgoE8ElNS0_10empty_typeEbEEZZNS1_14partition_implILS5_8ELb0ES3_jPlPS6_PKS6_NS0_5tupleIJS9_S6_EEENSD_IJSA_SA_EEENS0_18inequality_wrapperIZN2at6native12_GLOBAL__N_124unique_dim_cuda_templateIiEESt5tupleIJNSH_6TensorESM_SM_EERKSM_lbbbEUlllE0_EEPmJS6_EEE10hipError_tPvRmT3_T4_T5_T6_T7_T9_mT8_P12ihipStream_tbDpT10_ENKUlT_T0_E_clISt17integral_constantIbLb0EES1C_EEDaS17_S18_EUlS17_E_NS1_11comp_targetILNS1_3genE9ELNS1_11target_archE1100ELNS1_3gpuE3ELNS1_3repE0EEENS1_30default_config_static_selectorELNS0_4arch9wavefront6targetE0EEEvT1_, .Lfunc_end447-_ZN7rocprim17ROCPRIM_400000_NS6detail17trampoline_kernelINS0_14default_configENS1_25partition_config_selectorILNS1_17partition_subalgoE8ElNS0_10empty_typeEbEEZZNS1_14partition_implILS5_8ELb0ES3_jPlPS6_PKS6_NS0_5tupleIJS9_S6_EEENSD_IJSA_SA_EEENS0_18inequality_wrapperIZN2at6native12_GLOBAL__N_124unique_dim_cuda_templateIiEESt5tupleIJNSH_6TensorESM_SM_EERKSM_lbbbEUlllE0_EEPmJS6_EEE10hipError_tPvRmT3_T4_T5_T6_T7_T9_mT8_P12ihipStream_tbDpT10_ENKUlT_T0_E_clISt17integral_constantIbLb0EES1C_EEDaS17_S18_EUlS17_E_NS1_11comp_targetILNS1_3genE9ELNS1_11target_archE1100ELNS1_3gpuE3ELNS1_3repE0EEENS1_30default_config_static_selectorELNS0_4arch9wavefront6targetE0EEEvT1_
                                        ; -- End function
	.set _ZN7rocprim17ROCPRIM_400000_NS6detail17trampoline_kernelINS0_14default_configENS1_25partition_config_selectorILNS1_17partition_subalgoE8ElNS0_10empty_typeEbEEZZNS1_14partition_implILS5_8ELb0ES3_jPlPS6_PKS6_NS0_5tupleIJS9_S6_EEENSD_IJSA_SA_EEENS0_18inequality_wrapperIZN2at6native12_GLOBAL__N_124unique_dim_cuda_templateIiEESt5tupleIJNSH_6TensorESM_SM_EERKSM_lbbbEUlllE0_EEPmJS6_EEE10hipError_tPvRmT3_T4_T5_T6_T7_T9_mT8_P12ihipStream_tbDpT10_ENKUlT_T0_E_clISt17integral_constantIbLb0EES1C_EEDaS17_S18_EUlS17_E_NS1_11comp_targetILNS1_3genE9ELNS1_11target_archE1100ELNS1_3gpuE3ELNS1_3repE0EEENS1_30default_config_static_selectorELNS0_4arch9wavefront6targetE0EEEvT1_.num_vgpr, 0
	.set _ZN7rocprim17ROCPRIM_400000_NS6detail17trampoline_kernelINS0_14default_configENS1_25partition_config_selectorILNS1_17partition_subalgoE8ElNS0_10empty_typeEbEEZZNS1_14partition_implILS5_8ELb0ES3_jPlPS6_PKS6_NS0_5tupleIJS9_S6_EEENSD_IJSA_SA_EEENS0_18inequality_wrapperIZN2at6native12_GLOBAL__N_124unique_dim_cuda_templateIiEESt5tupleIJNSH_6TensorESM_SM_EERKSM_lbbbEUlllE0_EEPmJS6_EEE10hipError_tPvRmT3_T4_T5_T6_T7_T9_mT8_P12ihipStream_tbDpT10_ENKUlT_T0_E_clISt17integral_constantIbLb0EES1C_EEDaS17_S18_EUlS17_E_NS1_11comp_targetILNS1_3genE9ELNS1_11target_archE1100ELNS1_3gpuE3ELNS1_3repE0EEENS1_30default_config_static_selectorELNS0_4arch9wavefront6targetE0EEEvT1_.num_agpr, 0
	.set _ZN7rocprim17ROCPRIM_400000_NS6detail17trampoline_kernelINS0_14default_configENS1_25partition_config_selectorILNS1_17partition_subalgoE8ElNS0_10empty_typeEbEEZZNS1_14partition_implILS5_8ELb0ES3_jPlPS6_PKS6_NS0_5tupleIJS9_S6_EEENSD_IJSA_SA_EEENS0_18inequality_wrapperIZN2at6native12_GLOBAL__N_124unique_dim_cuda_templateIiEESt5tupleIJNSH_6TensorESM_SM_EERKSM_lbbbEUlllE0_EEPmJS6_EEE10hipError_tPvRmT3_T4_T5_T6_T7_T9_mT8_P12ihipStream_tbDpT10_ENKUlT_T0_E_clISt17integral_constantIbLb0EES1C_EEDaS17_S18_EUlS17_E_NS1_11comp_targetILNS1_3genE9ELNS1_11target_archE1100ELNS1_3gpuE3ELNS1_3repE0EEENS1_30default_config_static_selectorELNS0_4arch9wavefront6targetE0EEEvT1_.numbered_sgpr, 0
	.set _ZN7rocprim17ROCPRIM_400000_NS6detail17trampoline_kernelINS0_14default_configENS1_25partition_config_selectorILNS1_17partition_subalgoE8ElNS0_10empty_typeEbEEZZNS1_14partition_implILS5_8ELb0ES3_jPlPS6_PKS6_NS0_5tupleIJS9_S6_EEENSD_IJSA_SA_EEENS0_18inequality_wrapperIZN2at6native12_GLOBAL__N_124unique_dim_cuda_templateIiEESt5tupleIJNSH_6TensorESM_SM_EERKSM_lbbbEUlllE0_EEPmJS6_EEE10hipError_tPvRmT3_T4_T5_T6_T7_T9_mT8_P12ihipStream_tbDpT10_ENKUlT_T0_E_clISt17integral_constantIbLb0EES1C_EEDaS17_S18_EUlS17_E_NS1_11comp_targetILNS1_3genE9ELNS1_11target_archE1100ELNS1_3gpuE3ELNS1_3repE0EEENS1_30default_config_static_selectorELNS0_4arch9wavefront6targetE0EEEvT1_.num_named_barrier, 0
	.set _ZN7rocprim17ROCPRIM_400000_NS6detail17trampoline_kernelINS0_14default_configENS1_25partition_config_selectorILNS1_17partition_subalgoE8ElNS0_10empty_typeEbEEZZNS1_14partition_implILS5_8ELb0ES3_jPlPS6_PKS6_NS0_5tupleIJS9_S6_EEENSD_IJSA_SA_EEENS0_18inequality_wrapperIZN2at6native12_GLOBAL__N_124unique_dim_cuda_templateIiEESt5tupleIJNSH_6TensorESM_SM_EERKSM_lbbbEUlllE0_EEPmJS6_EEE10hipError_tPvRmT3_T4_T5_T6_T7_T9_mT8_P12ihipStream_tbDpT10_ENKUlT_T0_E_clISt17integral_constantIbLb0EES1C_EEDaS17_S18_EUlS17_E_NS1_11comp_targetILNS1_3genE9ELNS1_11target_archE1100ELNS1_3gpuE3ELNS1_3repE0EEENS1_30default_config_static_selectorELNS0_4arch9wavefront6targetE0EEEvT1_.private_seg_size, 0
	.set _ZN7rocprim17ROCPRIM_400000_NS6detail17trampoline_kernelINS0_14default_configENS1_25partition_config_selectorILNS1_17partition_subalgoE8ElNS0_10empty_typeEbEEZZNS1_14partition_implILS5_8ELb0ES3_jPlPS6_PKS6_NS0_5tupleIJS9_S6_EEENSD_IJSA_SA_EEENS0_18inequality_wrapperIZN2at6native12_GLOBAL__N_124unique_dim_cuda_templateIiEESt5tupleIJNSH_6TensorESM_SM_EERKSM_lbbbEUlllE0_EEPmJS6_EEE10hipError_tPvRmT3_T4_T5_T6_T7_T9_mT8_P12ihipStream_tbDpT10_ENKUlT_T0_E_clISt17integral_constantIbLb0EES1C_EEDaS17_S18_EUlS17_E_NS1_11comp_targetILNS1_3genE9ELNS1_11target_archE1100ELNS1_3gpuE3ELNS1_3repE0EEENS1_30default_config_static_selectorELNS0_4arch9wavefront6targetE0EEEvT1_.uses_vcc, 0
	.set _ZN7rocprim17ROCPRIM_400000_NS6detail17trampoline_kernelINS0_14default_configENS1_25partition_config_selectorILNS1_17partition_subalgoE8ElNS0_10empty_typeEbEEZZNS1_14partition_implILS5_8ELb0ES3_jPlPS6_PKS6_NS0_5tupleIJS9_S6_EEENSD_IJSA_SA_EEENS0_18inequality_wrapperIZN2at6native12_GLOBAL__N_124unique_dim_cuda_templateIiEESt5tupleIJNSH_6TensorESM_SM_EERKSM_lbbbEUlllE0_EEPmJS6_EEE10hipError_tPvRmT3_T4_T5_T6_T7_T9_mT8_P12ihipStream_tbDpT10_ENKUlT_T0_E_clISt17integral_constantIbLb0EES1C_EEDaS17_S18_EUlS17_E_NS1_11comp_targetILNS1_3genE9ELNS1_11target_archE1100ELNS1_3gpuE3ELNS1_3repE0EEENS1_30default_config_static_selectorELNS0_4arch9wavefront6targetE0EEEvT1_.uses_flat_scratch, 0
	.set _ZN7rocprim17ROCPRIM_400000_NS6detail17trampoline_kernelINS0_14default_configENS1_25partition_config_selectorILNS1_17partition_subalgoE8ElNS0_10empty_typeEbEEZZNS1_14partition_implILS5_8ELb0ES3_jPlPS6_PKS6_NS0_5tupleIJS9_S6_EEENSD_IJSA_SA_EEENS0_18inequality_wrapperIZN2at6native12_GLOBAL__N_124unique_dim_cuda_templateIiEESt5tupleIJNSH_6TensorESM_SM_EERKSM_lbbbEUlllE0_EEPmJS6_EEE10hipError_tPvRmT3_T4_T5_T6_T7_T9_mT8_P12ihipStream_tbDpT10_ENKUlT_T0_E_clISt17integral_constantIbLb0EES1C_EEDaS17_S18_EUlS17_E_NS1_11comp_targetILNS1_3genE9ELNS1_11target_archE1100ELNS1_3gpuE3ELNS1_3repE0EEENS1_30default_config_static_selectorELNS0_4arch9wavefront6targetE0EEEvT1_.has_dyn_sized_stack, 0
	.set _ZN7rocprim17ROCPRIM_400000_NS6detail17trampoline_kernelINS0_14default_configENS1_25partition_config_selectorILNS1_17partition_subalgoE8ElNS0_10empty_typeEbEEZZNS1_14partition_implILS5_8ELb0ES3_jPlPS6_PKS6_NS0_5tupleIJS9_S6_EEENSD_IJSA_SA_EEENS0_18inequality_wrapperIZN2at6native12_GLOBAL__N_124unique_dim_cuda_templateIiEESt5tupleIJNSH_6TensorESM_SM_EERKSM_lbbbEUlllE0_EEPmJS6_EEE10hipError_tPvRmT3_T4_T5_T6_T7_T9_mT8_P12ihipStream_tbDpT10_ENKUlT_T0_E_clISt17integral_constantIbLb0EES1C_EEDaS17_S18_EUlS17_E_NS1_11comp_targetILNS1_3genE9ELNS1_11target_archE1100ELNS1_3gpuE3ELNS1_3repE0EEENS1_30default_config_static_selectorELNS0_4arch9wavefront6targetE0EEEvT1_.has_recursion, 0
	.set _ZN7rocprim17ROCPRIM_400000_NS6detail17trampoline_kernelINS0_14default_configENS1_25partition_config_selectorILNS1_17partition_subalgoE8ElNS0_10empty_typeEbEEZZNS1_14partition_implILS5_8ELb0ES3_jPlPS6_PKS6_NS0_5tupleIJS9_S6_EEENSD_IJSA_SA_EEENS0_18inequality_wrapperIZN2at6native12_GLOBAL__N_124unique_dim_cuda_templateIiEESt5tupleIJNSH_6TensorESM_SM_EERKSM_lbbbEUlllE0_EEPmJS6_EEE10hipError_tPvRmT3_T4_T5_T6_T7_T9_mT8_P12ihipStream_tbDpT10_ENKUlT_T0_E_clISt17integral_constantIbLb0EES1C_EEDaS17_S18_EUlS17_E_NS1_11comp_targetILNS1_3genE9ELNS1_11target_archE1100ELNS1_3gpuE3ELNS1_3repE0EEENS1_30default_config_static_selectorELNS0_4arch9wavefront6targetE0EEEvT1_.has_indirect_call, 0
	.section	.AMDGPU.csdata,"",@progbits
; Kernel info:
; codeLenInByte = 0
; TotalNumSgprs: 0
; NumVgprs: 0
; ScratchSize: 0
; MemoryBound: 0
; FloatMode: 240
; IeeeMode: 1
; LDSByteSize: 0 bytes/workgroup (compile time only)
; SGPRBlocks: 0
; VGPRBlocks: 0
; NumSGPRsForWavesPerEU: 1
; NumVGPRsForWavesPerEU: 1
; NamedBarCnt: 0
; Occupancy: 16
; WaveLimiterHint : 0
; COMPUTE_PGM_RSRC2:SCRATCH_EN: 0
; COMPUTE_PGM_RSRC2:USER_SGPR: 2
; COMPUTE_PGM_RSRC2:TRAP_HANDLER: 0
; COMPUTE_PGM_RSRC2:TGID_X_EN: 1
; COMPUTE_PGM_RSRC2:TGID_Y_EN: 0
; COMPUTE_PGM_RSRC2:TGID_Z_EN: 0
; COMPUTE_PGM_RSRC2:TIDIG_COMP_CNT: 0
	.section	.text._ZN7rocprim17ROCPRIM_400000_NS6detail17trampoline_kernelINS0_14default_configENS1_25partition_config_selectorILNS1_17partition_subalgoE8ElNS0_10empty_typeEbEEZZNS1_14partition_implILS5_8ELb0ES3_jPlPS6_PKS6_NS0_5tupleIJS9_S6_EEENSD_IJSA_SA_EEENS0_18inequality_wrapperIZN2at6native12_GLOBAL__N_124unique_dim_cuda_templateIiEESt5tupleIJNSH_6TensorESM_SM_EERKSM_lbbbEUlllE0_EEPmJS6_EEE10hipError_tPvRmT3_T4_T5_T6_T7_T9_mT8_P12ihipStream_tbDpT10_ENKUlT_T0_E_clISt17integral_constantIbLb0EES1C_EEDaS17_S18_EUlS17_E_NS1_11comp_targetILNS1_3genE8ELNS1_11target_archE1030ELNS1_3gpuE2ELNS1_3repE0EEENS1_30default_config_static_selectorELNS0_4arch9wavefront6targetE0EEEvT1_,"axG",@progbits,_ZN7rocprim17ROCPRIM_400000_NS6detail17trampoline_kernelINS0_14default_configENS1_25partition_config_selectorILNS1_17partition_subalgoE8ElNS0_10empty_typeEbEEZZNS1_14partition_implILS5_8ELb0ES3_jPlPS6_PKS6_NS0_5tupleIJS9_S6_EEENSD_IJSA_SA_EEENS0_18inequality_wrapperIZN2at6native12_GLOBAL__N_124unique_dim_cuda_templateIiEESt5tupleIJNSH_6TensorESM_SM_EERKSM_lbbbEUlllE0_EEPmJS6_EEE10hipError_tPvRmT3_T4_T5_T6_T7_T9_mT8_P12ihipStream_tbDpT10_ENKUlT_T0_E_clISt17integral_constantIbLb0EES1C_EEDaS17_S18_EUlS17_E_NS1_11comp_targetILNS1_3genE8ELNS1_11target_archE1030ELNS1_3gpuE2ELNS1_3repE0EEENS1_30default_config_static_selectorELNS0_4arch9wavefront6targetE0EEEvT1_,comdat
	.globl	_ZN7rocprim17ROCPRIM_400000_NS6detail17trampoline_kernelINS0_14default_configENS1_25partition_config_selectorILNS1_17partition_subalgoE8ElNS0_10empty_typeEbEEZZNS1_14partition_implILS5_8ELb0ES3_jPlPS6_PKS6_NS0_5tupleIJS9_S6_EEENSD_IJSA_SA_EEENS0_18inequality_wrapperIZN2at6native12_GLOBAL__N_124unique_dim_cuda_templateIiEESt5tupleIJNSH_6TensorESM_SM_EERKSM_lbbbEUlllE0_EEPmJS6_EEE10hipError_tPvRmT3_T4_T5_T6_T7_T9_mT8_P12ihipStream_tbDpT10_ENKUlT_T0_E_clISt17integral_constantIbLb0EES1C_EEDaS17_S18_EUlS17_E_NS1_11comp_targetILNS1_3genE8ELNS1_11target_archE1030ELNS1_3gpuE2ELNS1_3repE0EEENS1_30default_config_static_selectorELNS0_4arch9wavefront6targetE0EEEvT1_ ; -- Begin function _ZN7rocprim17ROCPRIM_400000_NS6detail17trampoline_kernelINS0_14default_configENS1_25partition_config_selectorILNS1_17partition_subalgoE8ElNS0_10empty_typeEbEEZZNS1_14partition_implILS5_8ELb0ES3_jPlPS6_PKS6_NS0_5tupleIJS9_S6_EEENSD_IJSA_SA_EEENS0_18inequality_wrapperIZN2at6native12_GLOBAL__N_124unique_dim_cuda_templateIiEESt5tupleIJNSH_6TensorESM_SM_EERKSM_lbbbEUlllE0_EEPmJS6_EEE10hipError_tPvRmT3_T4_T5_T6_T7_T9_mT8_P12ihipStream_tbDpT10_ENKUlT_T0_E_clISt17integral_constantIbLb0EES1C_EEDaS17_S18_EUlS17_E_NS1_11comp_targetILNS1_3genE8ELNS1_11target_archE1030ELNS1_3gpuE2ELNS1_3repE0EEENS1_30default_config_static_selectorELNS0_4arch9wavefront6targetE0EEEvT1_
	.p2align	8
	.type	_ZN7rocprim17ROCPRIM_400000_NS6detail17trampoline_kernelINS0_14default_configENS1_25partition_config_selectorILNS1_17partition_subalgoE8ElNS0_10empty_typeEbEEZZNS1_14partition_implILS5_8ELb0ES3_jPlPS6_PKS6_NS0_5tupleIJS9_S6_EEENSD_IJSA_SA_EEENS0_18inequality_wrapperIZN2at6native12_GLOBAL__N_124unique_dim_cuda_templateIiEESt5tupleIJNSH_6TensorESM_SM_EERKSM_lbbbEUlllE0_EEPmJS6_EEE10hipError_tPvRmT3_T4_T5_T6_T7_T9_mT8_P12ihipStream_tbDpT10_ENKUlT_T0_E_clISt17integral_constantIbLb0EES1C_EEDaS17_S18_EUlS17_E_NS1_11comp_targetILNS1_3genE8ELNS1_11target_archE1030ELNS1_3gpuE2ELNS1_3repE0EEENS1_30default_config_static_selectorELNS0_4arch9wavefront6targetE0EEEvT1_,@function
_ZN7rocprim17ROCPRIM_400000_NS6detail17trampoline_kernelINS0_14default_configENS1_25partition_config_selectorILNS1_17partition_subalgoE8ElNS0_10empty_typeEbEEZZNS1_14partition_implILS5_8ELb0ES3_jPlPS6_PKS6_NS0_5tupleIJS9_S6_EEENSD_IJSA_SA_EEENS0_18inequality_wrapperIZN2at6native12_GLOBAL__N_124unique_dim_cuda_templateIiEESt5tupleIJNSH_6TensorESM_SM_EERKSM_lbbbEUlllE0_EEPmJS6_EEE10hipError_tPvRmT3_T4_T5_T6_T7_T9_mT8_P12ihipStream_tbDpT10_ENKUlT_T0_E_clISt17integral_constantIbLb0EES1C_EEDaS17_S18_EUlS17_E_NS1_11comp_targetILNS1_3genE8ELNS1_11target_archE1030ELNS1_3gpuE2ELNS1_3repE0EEENS1_30default_config_static_selectorELNS0_4arch9wavefront6targetE0EEEvT1_: ; @_ZN7rocprim17ROCPRIM_400000_NS6detail17trampoline_kernelINS0_14default_configENS1_25partition_config_selectorILNS1_17partition_subalgoE8ElNS0_10empty_typeEbEEZZNS1_14partition_implILS5_8ELb0ES3_jPlPS6_PKS6_NS0_5tupleIJS9_S6_EEENSD_IJSA_SA_EEENS0_18inequality_wrapperIZN2at6native12_GLOBAL__N_124unique_dim_cuda_templateIiEESt5tupleIJNSH_6TensorESM_SM_EERKSM_lbbbEUlllE0_EEPmJS6_EEE10hipError_tPvRmT3_T4_T5_T6_T7_T9_mT8_P12ihipStream_tbDpT10_ENKUlT_T0_E_clISt17integral_constantIbLb0EES1C_EEDaS17_S18_EUlS17_E_NS1_11comp_targetILNS1_3genE8ELNS1_11target_archE1030ELNS1_3gpuE2ELNS1_3repE0EEENS1_30default_config_static_selectorELNS0_4arch9wavefront6targetE0EEEvT1_
; %bb.0:
	.section	.rodata,"a",@progbits
	.p2align	6, 0x0
	.amdhsa_kernel _ZN7rocprim17ROCPRIM_400000_NS6detail17trampoline_kernelINS0_14default_configENS1_25partition_config_selectorILNS1_17partition_subalgoE8ElNS0_10empty_typeEbEEZZNS1_14partition_implILS5_8ELb0ES3_jPlPS6_PKS6_NS0_5tupleIJS9_S6_EEENSD_IJSA_SA_EEENS0_18inequality_wrapperIZN2at6native12_GLOBAL__N_124unique_dim_cuda_templateIiEESt5tupleIJNSH_6TensorESM_SM_EERKSM_lbbbEUlllE0_EEPmJS6_EEE10hipError_tPvRmT3_T4_T5_T6_T7_T9_mT8_P12ihipStream_tbDpT10_ENKUlT_T0_E_clISt17integral_constantIbLb0EES1C_EEDaS17_S18_EUlS17_E_NS1_11comp_targetILNS1_3genE8ELNS1_11target_archE1030ELNS1_3gpuE2ELNS1_3repE0EEENS1_30default_config_static_selectorELNS0_4arch9wavefront6targetE0EEEvT1_
		.amdhsa_group_segment_fixed_size 0
		.amdhsa_private_segment_fixed_size 0
		.amdhsa_kernarg_size 120
		.amdhsa_user_sgpr_count 2
		.amdhsa_user_sgpr_dispatch_ptr 0
		.amdhsa_user_sgpr_queue_ptr 0
		.amdhsa_user_sgpr_kernarg_segment_ptr 1
		.amdhsa_user_sgpr_dispatch_id 0
		.amdhsa_user_sgpr_kernarg_preload_length 0
		.amdhsa_user_sgpr_kernarg_preload_offset 0
		.amdhsa_user_sgpr_private_segment_size 0
		.amdhsa_wavefront_size32 1
		.amdhsa_uses_dynamic_stack 0
		.amdhsa_enable_private_segment 0
		.amdhsa_system_sgpr_workgroup_id_x 1
		.amdhsa_system_sgpr_workgroup_id_y 0
		.amdhsa_system_sgpr_workgroup_id_z 0
		.amdhsa_system_sgpr_workgroup_info 0
		.amdhsa_system_vgpr_workitem_id 0
		.amdhsa_next_free_vgpr 1
		.amdhsa_next_free_sgpr 1
		.amdhsa_named_barrier_count 0
		.amdhsa_reserve_vcc 0
		.amdhsa_float_round_mode_32 0
		.amdhsa_float_round_mode_16_64 0
		.amdhsa_float_denorm_mode_32 3
		.amdhsa_float_denorm_mode_16_64 3
		.amdhsa_fp16_overflow 0
		.amdhsa_memory_ordered 1
		.amdhsa_forward_progress 1
		.amdhsa_inst_pref_size 0
		.amdhsa_round_robin_scheduling 0
		.amdhsa_exception_fp_ieee_invalid_op 0
		.amdhsa_exception_fp_denorm_src 0
		.amdhsa_exception_fp_ieee_div_zero 0
		.amdhsa_exception_fp_ieee_overflow 0
		.amdhsa_exception_fp_ieee_underflow 0
		.amdhsa_exception_fp_ieee_inexact 0
		.amdhsa_exception_int_div_zero 0
	.end_amdhsa_kernel
	.section	.text._ZN7rocprim17ROCPRIM_400000_NS6detail17trampoline_kernelINS0_14default_configENS1_25partition_config_selectorILNS1_17partition_subalgoE8ElNS0_10empty_typeEbEEZZNS1_14partition_implILS5_8ELb0ES3_jPlPS6_PKS6_NS0_5tupleIJS9_S6_EEENSD_IJSA_SA_EEENS0_18inequality_wrapperIZN2at6native12_GLOBAL__N_124unique_dim_cuda_templateIiEESt5tupleIJNSH_6TensorESM_SM_EERKSM_lbbbEUlllE0_EEPmJS6_EEE10hipError_tPvRmT3_T4_T5_T6_T7_T9_mT8_P12ihipStream_tbDpT10_ENKUlT_T0_E_clISt17integral_constantIbLb0EES1C_EEDaS17_S18_EUlS17_E_NS1_11comp_targetILNS1_3genE8ELNS1_11target_archE1030ELNS1_3gpuE2ELNS1_3repE0EEENS1_30default_config_static_selectorELNS0_4arch9wavefront6targetE0EEEvT1_,"axG",@progbits,_ZN7rocprim17ROCPRIM_400000_NS6detail17trampoline_kernelINS0_14default_configENS1_25partition_config_selectorILNS1_17partition_subalgoE8ElNS0_10empty_typeEbEEZZNS1_14partition_implILS5_8ELb0ES3_jPlPS6_PKS6_NS0_5tupleIJS9_S6_EEENSD_IJSA_SA_EEENS0_18inequality_wrapperIZN2at6native12_GLOBAL__N_124unique_dim_cuda_templateIiEESt5tupleIJNSH_6TensorESM_SM_EERKSM_lbbbEUlllE0_EEPmJS6_EEE10hipError_tPvRmT3_T4_T5_T6_T7_T9_mT8_P12ihipStream_tbDpT10_ENKUlT_T0_E_clISt17integral_constantIbLb0EES1C_EEDaS17_S18_EUlS17_E_NS1_11comp_targetILNS1_3genE8ELNS1_11target_archE1030ELNS1_3gpuE2ELNS1_3repE0EEENS1_30default_config_static_selectorELNS0_4arch9wavefront6targetE0EEEvT1_,comdat
.Lfunc_end448:
	.size	_ZN7rocprim17ROCPRIM_400000_NS6detail17trampoline_kernelINS0_14default_configENS1_25partition_config_selectorILNS1_17partition_subalgoE8ElNS0_10empty_typeEbEEZZNS1_14partition_implILS5_8ELb0ES3_jPlPS6_PKS6_NS0_5tupleIJS9_S6_EEENSD_IJSA_SA_EEENS0_18inequality_wrapperIZN2at6native12_GLOBAL__N_124unique_dim_cuda_templateIiEESt5tupleIJNSH_6TensorESM_SM_EERKSM_lbbbEUlllE0_EEPmJS6_EEE10hipError_tPvRmT3_T4_T5_T6_T7_T9_mT8_P12ihipStream_tbDpT10_ENKUlT_T0_E_clISt17integral_constantIbLb0EES1C_EEDaS17_S18_EUlS17_E_NS1_11comp_targetILNS1_3genE8ELNS1_11target_archE1030ELNS1_3gpuE2ELNS1_3repE0EEENS1_30default_config_static_selectorELNS0_4arch9wavefront6targetE0EEEvT1_, .Lfunc_end448-_ZN7rocprim17ROCPRIM_400000_NS6detail17trampoline_kernelINS0_14default_configENS1_25partition_config_selectorILNS1_17partition_subalgoE8ElNS0_10empty_typeEbEEZZNS1_14partition_implILS5_8ELb0ES3_jPlPS6_PKS6_NS0_5tupleIJS9_S6_EEENSD_IJSA_SA_EEENS0_18inequality_wrapperIZN2at6native12_GLOBAL__N_124unique_dim_cuda_templateIiEESt5tupleIJNSH_6TensorESM_SM_EERKSM_lbbbEUlllE0_EEPmJS6_EEE10hipError_tPvRmT3_T4_T5_T6_T7_T9_mT8_P12ihipStream_tbDpT10_ENKUlT_T0_E_clISt17integral_constantIbLb0EES1C_EEDaS17_S18_EUlS17_E_NS1_11comp_targetILNS1_3genE8ELNS1_11target_archE1030ELNS1_3gpuE2ELNS1_3repE0EEENS1_30default_config_static_selectorELNS0_4arch9wavefront6targetE0EEEvT1_
                                        ; -- End function
	.set _ZN7rocprim17ROCPRIM_400000_NS6detail17trampoline_kernelINS0_14default_configENS1_25partition_config_selectorILNS1_17partition_subalgoE8ElNS0_10empty_typeEbEEZZNS1_14partition_implILS5_8ELb0ES3_jPlPS6_PKS6_NS0_5tupleIJS9_S6_EEENSD_IJSA_SA_EEENS0_18inequality_wrapperIZN2at6native12_GLOBAL__N_124unique_dim_cuda_templateIiEESt5tupleIJNSH_6TensorESM_SM_EERKSM_lbbbEUlllE0_EEPmJS6_EEE10hipError_tPvRmT3_T4_T5_T6_T7_T9_mT8_P12ihipStream_tbDpT10_ENKUlT_T0_E_clISt17integral_constantIbLb0EES1C_EEDaS17_S18_EUlS17_E_NS1_11comp_targetILNS1_3genE8ELNS1_11target_archE1030ELNS1_3gpuE2ELNS1_3repE0EEENS1_30default_config_static_selectorELNS0_4arch9wavefront6targetE0EEEvT1_.num_vgpr, 0
	.set _ZN7rocprim17ROCPRIM_400000_NS6detail17trampoline_kernelINS0_14default_configENS1_25partition_config_selectorILNS1_17partition_subalgoE8ElNS0_10empty_typeEbEEZZNS1_14partition_implILS5_8ELb0ES3_jPlPS6_PKS6_NS0_5tupleIJS9_S6_EEENSD_IJSA_SA_EEENS0_18inequality_wrapperIZN2at6native12_GLOBAL__N_124unique_dim_cuda_templateIiEESt5tupleIJNSH_6TensorESM_SM_EERKSM_lbbbEUlllE0_EEPmJS6_EEE10hipError_tPvRmT3_T4_T5_T6_T7_T9_mT8_P12ihipStream_tbDpT10_ENKUlT_T0_E_clISt17integral_constantIbLb0EES1C_EEDaS17_S18_EUlS17_E_NS1_11comp_targetILNS1_3genE8ELNS1_11target_archE1030ELNS1_3gpuE2ELNS1_3repE0EEENS1_30default_config_static_selectorELNS0_4arch9wavefront6targetE0EEEvT1_.num_agpr, 0
	.set _ZN7rocprim17ROCPRIM_400000_NS6detail17trampoline_kernelINS0_14default_configENS1_25partition_config_selectorILNS1_17partition_subalgoE8ElNS0_10empty_typeEbEEZZNS1_14partition_implILS5_8ELb0ES3_jPlPS6_PKS6_NS0_5tupleIJS9_S6_EEENSD_IJSA_SA_EEENS0_18inequality_wrapperIZN2at6native12_GLOBAL__N_124unique_dim_cuda_templateIiEESt5tupleIJNSH_6TensorESM_SM_EERKSM_lbbbEUlllE0_EEPmJS6_EEE10hipError_tPvRmT3_T4_T5_T6_T7_T9_mT8_P12ihipStream_tbDpT10_ENKUlT_T0_E_clISt17integral_constantIbLb0EES1C_EEDaS17_S18_EUlS17_E_NS1_11comp_targetILNS1_3genE8ELNS1_11target_archE1030ELNS1_3gpuE2ELNS1_3repE0EEENS1_30default_config_static_selectorELNS0_4arch9wavefront6targetE0EEEvT1_.numbered_sgpr, 0
	.set _ZN7rocprim17ROCPRIM_400000_NS6detail17trampoline_kernelINS0_14default_configENS1_25partition_config_selectorILNS1_17partition_subalgoE8ElNS0_10empty_typeEbEEZZNS1_14partition_implILS5_8ELb0ES3_jPlPS6_PKS6_NS0_5tupleIJS9_S6_EEENSD_IJSA_SA_EEENS0_18inequality_wrapperIZN2at6native12_GLOBAL__N_124unique_dim_cuda_templateIiEESt5tupleIJNSH_6TensorESM_SM_EERKSM_lbbbEUlllE0_EEPmJS6_EEE10hipError_tPvRmT3_T4_T5_T6_T7_T9_mT8_P12ihipStream_tbDpT10_ENKUlT_T0_E_clISt17integral_constantIbLb0EES1C_EEDaS17_S18_EUlS17_E_NS1_11comp_targetILNS1_3genE8ELNS1_11target_archE1030ELNS1_3gpuE2ELNS1_3repE0EEENS1_30default_config_static_selectorELNS0_4arch9wavefront6targetE0EEEvT1_.num_named_barrier, 0
	.set _ZN7rocprim17ROCPRIM_400000_NS6detail17trampoline_kernelINS0_14default_configENS1_25partition_config_selectorILNS1_17partition_subalgoE8ElNS0_10empty_typeEbEEZZNS1_14partition_implILS5_8ELb0ES3_jPlPS6_PKS6_NS0_5tupleIJS9_S6_EEENSD_IJSA_SA_EEENS0_18inequality_wrapperIZN2at6native12_GLOBAL__N_124unique_dim_cuda_templateIiEESt5tupleIJNSH_6TensorESM_SM_EERKSM_lbbbEUlllE0_EEPmJS6_EEE10hipError_tPvRmT3_T4_T5_T6_T7_T9_mT8_P12ihipStream_tbDpT10_ENKUlT_T0_E_clISt17integral_constantIbLb0EES1C_EEDaS17_S18_EUlS17_E_NS1_11comp_targetILNS1_3genE8ELNS1_11target_archE1030ELNS1_3gpuE2ELNS1_3repE0EEENS1_30default_config_static_selectorELNS0_4arch9wavefront6targetE0EEEvT1_.private_seg_size, 0
	.set _ZN7rocprim17ROCPRIM_400000_NS6detail17trampoline_kernelINS0_14default_configENS1_25partition_config_selectorILNS1_17partition_subalgoE8ElNS0_10empty_typeEbEEZZNS1_14partition_implILS5_8ELb0ES3_jPlPS6_PKS6_NS0_5tupleIJS9_S6_EEENSD_IJSA_SA_EEENS0_18inequality_wrapperIZN2at6native12_GLOBAL__N_124unique_dim_cuda_templateIiEESt5tupleIJNSH_6TensorESM_SM_EERKSM_lbbbEUlllE0_EEPmJS6_EEE10hipError_tPvRmT3_T4_T5_T6_T7_T9_mT8_P12ihipStream_tbDpT10_ENKUlT_T0_E_clISt17integral_constantIbLb0EES1C_EEDaS17_S18_EUlS17_E_NS1_11comp_targetILNS1_3genE8ELNS1_11target_archE1030ELNS1_3gpuE2ELNS1_3repE0EEENS1_30default_config_static_selectorELNS0_4arch9wavefront6targetE0EEEvT1_.uses_vcc, 0
	.set _ZN7rocprim17ROCPRIM_400000_NS6detail17trampoline_kernelINS0_14default_configENS1_25partition_config_selectorILNS1_17partition_subalgoE8ElNS0_10empty_typeEbEEZZNS1_14partition_implILS5_8ELb0ES3_jPlPS6_PKS6_NS0_5tupleIJS9_S6_EEENSD_IJSA_SA_EEENS0_18inequality_wrapperIZN2at6native12_GLOBAL__N_124unique_dim_cuda_templateIiEESt5tupleIJNSH_6TensorESM_SM_EERKSM_lbbbEUlllE0_EEPmJS6_EEE10hipError_tPvRmT3_T4_T5_T6_T7_T9_mT8_P12ihipStream_tbDpT10_ENKUlT_T0_E_clISt17integral_constantIbLb0EES1C_EEDaS17_S18_EUlS17_E_NS1_11comp_targetILNS1_3genE8ELNS1_11target_archE1030ELNS1_3gpuE2ELNS1_3repE0EEENS1_30default_config_static_selectorELNS0_4arch9wavefront6targetE0EEEvT1_.uses_flat_scratch, 0
	.set _ZN7rocprim17ROCPRIM_400000_NS6detail17trampoline_kernelINS0_14default_configENS1_25partition_config_selectorILNS1_17partition_subalgoE8ElNS0_10empty_typeEbEEZZNS1_14partition_implILS5_8ELb0ES3_jPlPS6_PKS6_NS0_5tupleIJS9_S6_EEENSD_IJSA_SA_EEENS0_18inequality_wrapperIZN2at6native12_GLOBAL__N_124unique_dim_cuda_templateIiEESt5tupleIJNSH_6TensorESM_SM_EERKSM_lbbbEUlllE0_EEPmJS6_EEE10hipError_tPvRmT3_T4_T5_T6_T7_T9_mT8_P12ihipStream_tbDpT10_ENKUlT_T0_E_clISt17integral_constantIbLb0EES1C_EEDaS17_S18_EUlS17_E_NS1_11comp_targetILNS1_3genE8ELNS1_11target_archE1030ELNS1_3gpuE2ELNS1_3repE0EEENS1_30default_config_static_selectorELNS0_4arch9wavefront6targetE0EEEvT1_.has_dyn_sized_stack, 0
	.set _ZN7rocprim17ROCPRIM_400000_NS6detail17trampoline_kernelINS0_14default_configENS1_25partition_config_selectorILNS1_17partition_subalgoE8ElNS0_10empty_typeEbEEZZNS1_14partition_implILS5_8ELb0ES3_jPlPS6_PKS6_NS0_5tupleIJS9_S6_EEENSD_IJSA_SA_EEENS0_18inequality_wrapperIZN2at6native12_GLOBAL__N_124unique_dim_cuda_templateIiEESt5tupleIJNSH_6TensorESM_SM_EERKSM_lbbbEUlllE0_EEPmJS6_EEE10hipError_tPvRmT3_T4_T5_T6_T7_T9_mT8_P12ihipStream_tbDpT10_ENKUlT_T0_E_clISt17integral_constantIbLb0EES1C_EEDaS17_S18_EUlS17_E_NS1_11comp_targetILNS1_3genE8ELNS1_11target_archE1030ELNS1_3gpuE2ELNS1_3repE0EEENS1_30default_config_static_selectorELNS0_4arch9wavefront6targetE0EEEvT1_.has_recursion, 0
	.set _ZN7rocprim17ROCPRIM_400000_NS6detail17trampoline_kernelINS0_14default_configENS1_25partition_config_selectorILNS1_17partition_subalgoE8ElNS0_10empty_typeEbEEZZNS1_14partition_implILS5_8ELb0ES3_jPlPS6_PKS6_NS0_5tupleIJS9_S6_EEENSD_IJSA_SA_EEENS0_18inequality_wrapperIZN2at6native12_GLOBAL__N_124unique_dim_cuda_templateIiEESt5tupleIJNSH_6TensorESM_SM_EERKSM_lbbbEUlllE0_EEPmJS6_EEE10hipError_tPvRmT3_T4_T5_T6_T7_T9_mT8_P12ihipStream_tbDpT10_ENKUlT_T0_E_clISt17integral_constantIbLb0EES1C_EEDaS17_S18_EUlS17_E_NS1_11comp_targetILNS1_3genE8ELNS1_11target_archE1030ELNS1_3gpuE2ELNS1_3repE0EEENS1_30default_config_static_selectorELNS0_4arch9wavefront6targetE0EEEvT1_.has_indirect_call, 0
	.section	.AMDGPU.csdata,"",@progbits
; Kernel info:
; codeLenInByte = 0
; TotalNumSgprs: 0
; NumVgprs: 0
; ScratchSize: 0
; MemoryBound: 0
; FloatMode: 240
; IeeeMode: 1
; LDSByteSize: 0 bytes/workgroup (compile time only)
; SGPRBlocks: 0
; VGPRBlocks: 0
; NumSGPRsForWavesPerEU: 1
; NumVGPRsForWavesPerEU: 1
; NamedBarCnt: 0
; Occupancy: 16
; WaveLimiterHint : 0
; COMPUTE_PGM_RSRC2:SCRATCH_EN: 0
; COMPUTE_PGM_RSRC2:USER_SGPR: 2
; COMPUTE_PGM_RSRC2:TRAP_HANDLER: 0
; COMPUTE_PGM_RSRC2:TGID_X_EN: 1
; COMPUTE_PGM_RSRC2:TGID_Y_EN: 0
; COMPUTE_PGM_RSRC2:TGID_Z_EN: 0
; COMPUTE_PGM_RSRC2:TIDIG_COMP_CNT: 0
	.section	.text._ZN7rocprim17ROCPRIM_400000_NS6detail17trampoline_kernelINS0_14default_configENS1_25partition_config_selectorILNS1_17partition_subalgoE8ElNS0_10empty_typeEbEEZZNS1_14partition_implILS5_8ELb0ES3_jPlPS6_PKS6_NS0_5tupleIJS9_S6_EEENSD_IJSA_SA_EEENS0_18inequality_wrapperIZN2at6native12_GLOBAL__N_124unique_dim_cuda_templateIiEESt5tupleIJNSH_6TensorESM_SM_EERKSM_lbbbEUlllE0_EEPmJS6_EEE10hipError_tPvRmT3_T4_T5_T6_T7_T9_mT8_P12ihipStream_tbDpT10_ENKUlT_T0_E_clISt17integral_constantIbLb1EES1C_EEDaS17_S18_EUlS17_E_NS1_11comp_targetILNS1_3genE0ELNS1_11target_archE4294967295ELNS1_3gpuE0ELNS1_3repE0EEENS1_30default_config_static_selectorELNS0_4arch9wavefront6targetE0EEEvT1_,"axG",@progbits,_ZN7rocprim17ROCPRIM_400000_NS6detail17trampoline_kernelINS0_14default_configENS1_25partition_config_selectorILNS1_17partition_subalgoE8ElNS0_10empty_typeEbEEZZNS1_14partition_implILS5_8ELb0ES3_jPlPS6_PKS6_NS0_5tupleIJS9_S6_EEENSD_IJSA_SA_EEENS0_18inequality_wrapperIZN2at6native12_GLOBAL__N_124unique_dim_cuda_templateIiEESt5tupleIJNSH_6TensorESM_SM_EERKSM_lbbbEUlllE0_EEPmJS6_EEE10hipError_tPvRmT3_T4_T5_T6_T7_T9_mT8_P12ihipStream_tbDpT10_ENKUlT_T0_E_clISt17integral_constantIbLb1EES1C_EEDaS17_S18_EUlS17_E_NS1_11comp_targetILNS1_3genE0ELNS1_11target_archE4294967295ELNS1_3gpuE0ELNS1_3repE0EEENS1_30default_config_static_selectorELNS0_4arch9wavefront6targetE0EEEvT1_,comdat
	.globl	_ZN7rocprim17ROCPRIM_400000_NS6detail17trampoline_kernelINS0_14default_configENS1_25partition_config_selectorILNS1_17partition_subalgoE8ElNS0_10empty_typeEbEEZZNS1_14partition_implILS5_8ELb0ES3_jPlPS6_PKS6_NS0_5tupleIJS9_S6_EEENSD_IJSA_SA_EEENS0_18inequality_wrapperIZN2at6native12_GLOBAL__N_124unique_dim_cuda_templateIiEESt5tupleIJNSH_6TensorESM_SM_EERKSM_lbbbEUlllE0_EEPmJS6_EEE10hipError_tPvRmT3_T4_T5_T6_T7_T9_mT8_P12ihipStream_tbDpT10_ENKUlT_T0_E_clISt17integral_constantIbLb1EES1C_EEDaS17_S18_EUlS17_E_NS1_11comp_targetILNS1_3genE0ELNS1_11target_archE4294967295ELNS1_3gpuE0ELNS1_3repE0EEENS1_30default_config_static_selectorELNS0_4arch9wavefront6targetE0EEEvT1_ ; -- Begin function _ZN7rocprim17ROCPRIM_400000_NS6detail17trampoline_kernelINS0_14default_configENS1_25partition_config_selectorILNS1_17partition_subalgoE8ElNS0_10empty_typeEbEEZZNS1_14partition_implILS5_8ELb0ES3_jPlPS6_PKS6_NS0_5tupleIJS9_S6_EEENSD_IJSA_SA_EEENS0_18inequality_wrapperIZN2at6native12_GLOBAL__N_124unique_dim_cuda_templateIiEESt5tupleIJNSH_6TensorESM_SM_EERKSM_lbbbEUlllE0_EEPmJS6_EEE10hipError_tPvRmT3_T4_T5_T6_T7_T9_mT8_P12ihipStream_tbDpT10_ENKUlT_T0_E_clISt17integral_constantIbLb1EES1C_EEDaS17_S18_EUlS17_E_NS1_11comp_targetILNS1_3genE0ELNS1_11target_archE4294967295ELNS1_3gpuE0ELNS1_3repE0EEENS1_30default_config_static_selectorELNS0_4arch9wavefront6targetE0EEEvT1_
	.p2align	8
	.type	_ZN7rocprim17ROCPRIM_400000_NS6detail17trampoline_kernelINS0_14default_configENS1_25partition_config_selectorILNS1_17partition_subalgoE8ElNS0_10empty_typeEbEEZZNS1_14partition_implILS5_8ELb0ES3_jPlPS6_PKS6_NS0_5tupleIJS9_S6_EEENSD_IJSA_SA_EEENS0_18inequality_wrapperIZN2at6native12_GLOBAL__N_124unique_dim_cuda_templateIiEESt5tupleIJNSH_6TensorESM_SM_EERKSM_lbbbEUlllE0_EEPmJS6_EEE10hipError_tPvRmT3_T4_T5_T6_T7_T9_mT8_P12ihipStream_tbDpT10_ENKUlT_T0_E_clISt17integral_constantIbLb1EES1C_EEDaS17_S18_EUlS17_E_NS1_11comp_targetILNS1_3genE0ELNS1_11target_archE4294967295ELNS1_3gpuE0ELNS1_3repE0EEENS1_30default_config_static_selectorELNS0_4arch9wavefront6targetE0EEEvT1_,@function
_ZN7rocprim17ROCPRIM_400000_NS6detail17trampoline_kernelINS0_14default_configENS1_25partition_config_selectorILNS1_17partition_subalgoE8ElNS0_10empty_typeEbEEZZNS1_14partition_implILS5_8ELb0ES3_jPlPS6_PKS6_NS0_5tupleIJS9_S6_EEENSD_IJSA_SA_EEENS0_18inequality_wrapperIZN2at6native12_GLOBAL__N_124unique_dim_cuda_templateIiEESt5tupleIJNSH_6TensorESM_SM_EERKSM_lbbbEUlllE0_EEPmJS6_EEE10hipError_tPvRmT3_T4_T5_T6_T7_T9_mT8_P12ihipStream_tbDpT10_ENKUlT_T0_E_clISt17integral_constantIbLb1EES1C_EEDaS17_S18_EUlS17_E_NS1_11comp_targetILNS1_3genE0ELNS1_11target_archE4294967295ELNS1_3gpuE0ELNS1_3repE0EEENS1_30default_config_static_selectorELNS0_4arch9wavefront6targetE0EEEvT1_: ; @_ZN7rocprim17ROCPRIM_400000_NS6detail17trampoline_kernelINS0_14default_configENS1_25partition_config_selectorILNS1_17partition_subalgoE8ElNS0_10empty_typeEbEEZZNS1_14partition_implILS5_8ELb0ES3_jPlPS6_PKS6_NS0_5tupleIJS9_S6_EEENSD_IJSA_SA_EEENS0_18inequality_wrapperIZN2at6native12_GLOBAL__N_124unique_dim_cuda_templateIiEESt5tupleIJNSH_6TensorESM_SM_EERKSM_lbbbEUlllE0_EEPmJS6_EEE10hipError_tPvRmT3_T4_T5_T6_T7_T9_mT8_P12ihipStream_tbDpT10_ENKUlT_T0_E_clISt17integral_constantIbLb1EES1C_EEDaS17_S18_EUlS17_E_NS1_11comp_targetILNS1_3genE0ELNS1_11target_archE4294967295ELNS1_3gpuE0ELNS1_3repE0EEENS1_30default_config_static_selectorELNS0_4arch9wavefront6targetE0EEEvT1_
; %bb.0:
	s_endpgm
	.section	.rodata,"a",@progbits
	.p2align	6, 0x0
	.amdhsa_kernel _ZN7rocprim17ROCPRIM_400000_NS6detail17trampoline_kernelINS0_14default_configENS1_25partition_config_selectorILNS1_17partition_subalgoE8ElNS0_10empty_typeEbEEZZNS1_14partition_implILS5_8ELb0ES3_jPlPS6_PKS6_NS0_5tupleIJS9_S6_EEENSD_IJSA_SA_EEENS0_18inequality_wrapperIZN2at6native12_GLOBAL__N_124unique_dim_cuda_templateIiEESt5tupleIJNSH_6TensorESM_SM_EERKSM_lbbbEUlllE0_EEPmJS6_EEE10hipError_tPvRmT3_T4_T5_T6_T7_T9_mT8_P12ihipStream_tbDpT10_ENKUlT_T0_E_clISt17integral_constantIbLb1EES1C_EEDaS17_S18_EUlS17_E_NS1_11comp_targetILNS1_3genE0ELNS1_11target_archE4294967295ELNS1_3gpuE0ELNS1_3repE0EEENS1_30default_config_static_selectorELNS0_4arch9wavefront6targetE0EEEvT1_
		.amdhsa_group_segment_fixed_size 0
		.amdhsa_private_segment_fixed_size 0
		.amdhsa_kernarg_size 136
		.amdhsa_user_sgpr_count 2
		.amdhsa_user_sgpr_dispatch_ptr 0
		.amdhsa_user_sgpr_queue_ptr 0
		.amdhsa_user_sgpr_kernarg_segment_ptr 1
		.amdhsa_user_sgpr_dispatch_id 0
		.amdhsa_user_sgpr_kernarg_preload_length 0
		.amdhsa_user_sgpr_kernarg_preload_offset 0
		.amdhsa_user_sgpr_private_segment_size 0
		.amdhsa_wavefront_size32 1
		.amdhsa_uses_dynamic_stack 0
		.amdhsa_enable_private_segment 0
		.amdhsa_system_sgpr_workgroup_id_x 1
		.amdhsa_system_sgpr_workgroup_id_y 0
		.amdhsa_system_sgpr_workgroup_id_z 0
		.amdhsa_system_sgpr_workgroup_info 0
		.amdhsa_system_vgpr_workitem_id 0
		.amdhsa_next_free_vgpr 1
		.amdhsa_next_free_sgpr 1
		.amdhsa_named_barrier_count 0
		.amdhsa_reserve_vcc 0
		.amdhsa_float_round_mode_32 0
		.amdhsa_float_round_mode_16_64 0
		.amdhsa_float_denorm_mode_32 3
		.amdhsa_float_denorm_mode_16_64 3
		.amdhsa_fp16_overflow 0
		.amdhsa_memory_ordered 1
		.amdhsa_forward_progress 1
		.amdhsa_inst_pref_size 1
		.amdhsa_round_robin_scheduling 0
		.amdhsa_exception_fp_ieee_invalid_op 0
		.amdhsa_exception_fp_denorm_src 0
		.amdhsa_exception_fp_ieee_div_zero 0
		.amdhsa_exception_fp_ieee_overflow 0
		.amdhsa_exception_fp_ieee_underflow 0
		.amdhsa_exception_fp_ieee_inexact 0
		.amdhsa_exception_int_div_zero 0
	.end_amdhsa_kernel
	.section	.text._ZN7rocprim17ROCPRIM_400000_NS6detail17trampoline_kernelINS0_14default_configENS1_25partition_config_selectorILNS1_17partition_subalgoE8ElNS0_10empty_typeEbEEZZNS1_14partition_implILS5_8ELb0ES3_jPlPS6_PKS6_NS0_5tupleIJS9_S6_EEENSD_IJSA_SA_EEENS0_18inequality_wrapperIZN2at6native12_GLOBAL__N_124unique_dim_cuda_templateIiEESt5tupleIJNSH_6TensorESM_SM_EERKSM_lbbbEUlllE0_EEPmJS6_EEE10hipError_tPvRmT3_T4_T5_T6_T7_T9_mT8_P12ihipStream_tbDpT10_ENKUlT_T0_E_clISt17integral_constantIbLb1EES1C_EEDaS17_S18_EUlS17_E_NS1_11comp_targetILNS1_3genE0ELNS1_11target_archE4294967295ELNS1_3gpuE0ELNS1_3repE0EEENS1_30default_config_static_selectorELNS0_4arch9wavefront6targetE0EEEvT1_,"axG",@progbits,_ZN7rocprim17ROCPRIM_400000_NS6detail17trampoline_kernelINS0_14default_configENS1_25partition_config_selectorILNS1_17partition_subalgoE8ElNS0_10empty_typeEbEEZZNS1_14partition_implILS5_8ELb0ES3_jPlPS6_PKS6_NS0_5tupleIJS9_S6_EEENSD_IJSA_SA_EEENS0_18inequality_wrapperIZN2at6native12_GLOBAL__N_124unique_dim_cuda_templateIiEESt5tupleIJNSH_6TensorESM_SM_EERKSM_lbbbEUlllE0_EEPmJS6_EEE10hipError_tPvRmT3_T4_T5_T6_T7_T9_mT8_P12ihipStream_tbDpT10_ENKUlT_T0_E_clISt17integral_constantIbLb1EES1C_EEDaS17_S18_EUlS17_E_NS1_11comp_targetILNS1_3genE0ELNS1_11target_archE4294967295ELNS1_3gpuE0ELNS1_3repE0EEENS1_30default_config_static_selectorELNS0_4arch9wavefront6targetE0EEEvT1_,comdat
.Lfunc_end449:
	.size	_ZN7rocprim17ROCPRIM_400000_NS6detail17trampoline_kernelINS0_14default_configENS1_25partition_config_selectorILNS1_17partition_subalgoE8ElNS0_10empty_typeEbEEZZNS1_14partition_implILS5_8ELb0ES3_jPlPS6_PKS6_NS0_5tupleIJS9_S6_EEENSD_IJSA_SA_EEENS0_18inequality_wrapperIZN2at6native12_GLOBAL__N_124unique_dim_cuda_templateIiEESt5tupleIJNSH_6TensorESM_SM_EERKSM_lbbbEUlllE0_EEPmJS6_EEE10hipError_tPvRmT3_T4_T5_T6_T7_T9_mT8_P12ihipStream_tbDpT10_ENKUlT_T0_E_clISt17integral_constantIbLb1EES1C_EEDaS17_S18_EUlS17_E_NS1_11comp_targetILNS1_3genE0ELNS1_11target_archE4294967295ELNS1_3gpuE0ELNS1_3repE0EEENS1_30default_config_static_selectorELNS0_4arch9wavefront6targetE0EEEvT1_, .Lfunc_end449-_ZN7rocprim17ROCPRIM_400000_NS6detail17trampoline_kernelINS0_14default_configENS1_25partition_config_selectorILNS1_17partition_subalgoE8ElNS0_10empty_typeEbEEZZNS1_14partition_implILS5_8ELb0ES3_jPlPS6_PKS6_NS0_5tupleIJS9_S6_EEENSD_IJSA_SA_EEENS0_18inequality_wrapperIZN2at6native12_GLOBAL__N_124unique_dim_cuda_templateIiEESt5tupleIJNSH_6TensorESM_SM_EERKSM_lbbbEUlllE0_EEPmJS6_EEE10hipError_tPvRmT3_T4_T5_T6_T7_T9_mT8_P12ihipStream_tbDpT10_ENKUlT_T0_E_clISt17integral_constantIbLb1EES1C_EEDaS17_S18_EUlS17_E_NS1_11comp_targetILNS1_3genE0ELNS1_11target_archE4294967295ELNS1_3gpuE0ELNS1_3repE0EEENS1_30default_config_static_selectorELNS0_4arch9wavefront6targetE0EEEvT1_
                                        ; -- End function
	.set _ZN7rocprim17ROCPRIM_400000_NS6detail17trampoline_kernelINS0_14default_configENS1_25partition_config_selectorILNS1_17partition_subalgoE8ElNS0_10empty_typeEbEEZZNS1_14partition_implILS5_8ELb0ES3_jPlPS6_PKS6_NS0_5tupleIJS9_S6_EEENSD_IJSA_SA_EEENS0_18inequality_wrapperIZN2at6native12_GLOBAL__N_124unique_dim_cuda_templateIiEESt5tupleIJNSH_6TensorESM_SM_EERKSM_lbbbEUlllE0_EEPmJS6_EEE10hipError_tPvRmT3_T4_T5_T6_T7_T9_mT8_P12ihipStream_tbDpT10_ENKUlT_T0_E_clISt17integral_constantIbLb1EES1C_EEDaS17_S18_EUlS17_E_NS1_11comp_targetILNS1_3genE0ELNS1_11target_archE4294967295ELNS1_3gpuE0ELNS1_3repE0EEENS1_30default_config_static_selectorELNS0_4arch9wavefront6targetE0EEEvT1_.num_vgpr, 0
	.set _ZN7rocprim17ROCPRIM_400000_NS6detail17trampoline_kernelINS0_14default_configENS1_25partition_config_selectorILNS1_17partition_subalgoE8ElNS0_10empty_typeEbEEZZNS1_14partition_implILS5_8ELb0ES3_jPlPS6_PKS6_NS0_5tupleIJS9_S6_EEENSD_IJSA_SA_EEENS0_18inequality_wrapperIZN2at6native12_GLOBAL__N_124unique_dim_cuda_templateIiEESt5tupleIJNSH_6TensorESM_SM_EERKSM_lbbbEUlllE0_EEPmJS6_EEE10hipError_tPvRmT3_T4_T5_T6_T7_T9_mT8_P12ihipStream_tbDpT10_ENKUlT_T0_E_clISt17integral_constantIbLb1EES1C_EEDaS17_S18_EUlS17_E_NS1_11comp_targetILNS1_3genE0ELNS1_11target_archE4294967295ELNS1_3gpuE0ELNS1_3repE0EEENS1_30default_config_static_selectorELNS0_4arch9wavefront6targetE0EEEvT1_.num_agpr, 0
	.set _ZN7rocprim17ROCPRIM_400000_NS6detail17trampoline_kernelINS0_14default_configENS1_25partition_config_selectorILNS1_17partition_subalgoE8ElNS0_10empty_typeEbEEZZNS1_14partition_implILS5_8ELb0ES3_jPlPS6_PKS6_NS0_5tupleIJS9_S6_EEENSD_IJSA_SA_EEENS0_18inequality_wrapperIZN2at6native12_GLOBAL__N_124unique_dim_cuda_templateIiEESt5tupleIJNSH_6TensorESM_SM_EERKSM_lbbbEUlllE0_EEPmJS6_EEE10hipError_tPvRmT3_T4_T5_T6_T7_T9_mT8_P12ihipStream_tbDpT10_ENKUlT_T0_E_clISt17integral_constantIbLb1EES1C_EEDaS17_S18_EUlS17_E_NS1_11comp_targetILNS1_3genE0ELNS1_11target_archE4294967295ELNS1_3gpuE0ELNS1_3repE0EEENS1_30default_config_static_selectorELNS0_4arch9wavefront6targetE0EEEvT1_.numbered_sgpr, 0
	.set _ZN7rocprim17ROCPRIM_400000_NS6detail17trampoline_kernelINS0_14default_configENS1_25partition_config_selectorILNS1_17partition_subalgoE8ElNS0_10empty_typeEbEEZZNS1_14partition_implILS5_8ELb0ES3_jPlPS6_PKS6_NS0_5tupleIJS9_S6_EEENSD_IJSA_SA_EEENS0_18inequality_wrapperIZN2at6native12_GLOBAL__N_124unique_dim_cuda_templateIiEESt5tupleIJNSH_6TensorESM_SM_EERKSM_lbbbEUlllE0_EEPmJS6_EEE10hipError_tPvRmT3_T4_T5_T6_T7_T9_mT8_P12ihipStream_tbDpT10_ENKUlT_T0_E_clISt17integral_constantIbLb1EES1C_EEDaS17_S18_EUlS17_E_NS1_11comp_targetILNS1_3genE0ELNS1_11target_archE4294967295ELNS1_3gpuE0ELNS1_3repE0EEENS1_30default_config_static_selectorELNS0_4arch9wavefront6targetE0EEEvT1_.num_named_barrier, 0
	.set _ZN7rocprim17ROCPRIM_400000_NS6detail17trampoline_kernelINS0_14default_configENS1_25partition_config_selectorILNS1_17partition_subalgoE8ElNS0_10empty_typeEbEEZZNS1_14partition_implILS5_8ELb0ES3_jPlPS6_PKS6_NS0_5tupleIJS9_S6_EEENSD_IJSA_SA_EEENS0_18inequality_wrapperIZN2at6native12_GLOBAL__N_124unique_dim_cuda_templateIiEESt5tupleIJNSH_6TensorESM_SM_EERKSM_lbbbEUlllE0_EEPmJS6_EEE10hipError_tPvRmT3_T4_T5_T6_T7_T9_mT8_P12ihipStream_tbDpT10_ENKUlT_T0_E_clISt17integral_constantIbLb1EES1C_EEDaS17_S18_EUlS17_E_NS1_11comp_targetILNS1_3genE0ELNS1_11target_archE4294967295ELNS1_3gpuE0ELNS1_3repE0EEENS1_30default_config_static_selectorELNS0_4arch9wavefront6targetE0EEEvT1_.private_seg_size, 0
	.set _ZN7rocprim17ROCPRIM_400000_NS6detail17trampoline_kernelINS0_14default_configENS1_25partition_config_selectorILNS1_17partition_subalgoE8ElNS0_10empty_typeEbEEZZNS1_14partition_implILS5_8ELb0ES3_jPlPS6_PKS6_NS0_5tupleIJS9_S6_EEENSD_IJSA_SA_EEENS0_18inequality_wrapperIZN2at6native12_GLOBAL__N_124unique_dim_cuda_templateIiEESt5tupleIJNSH_6TensorESM_SM_EERKSM_lbbbEUlllE0_EEPmJS6_EEE10hipError_tPvRmT3_T4_T5_T6_T7_T9_mT8_P12ihipStream_tbDpT10_ENKUlT_T0_E_clISt17integral_constantIbLb1EES1C_EEDaS17_S18_EUlS17_E_NS1_11comp_targetILNS1_3genE0ELNS1_11target_archE4294967295ELNS1_3gpuE0ELNS1_3repE0EEENS1_30default_config_static_selectorELNS0_4arch9wavefront6targetE0EEEvT1_.uses_vcc, 0
	.set _ZN7rocprim17ROCPRIM_400000_NS6detail17trampoline_kernelINS0_14default_configENS1_25partition_config_selectorILNS1_17partition_subalgoE8ElNS0_10empty_typeEbEEZZNS1_14partition_implILS5_8ELb0ES3_jPlPS6_PKS6_NS0_5tupleIJS9_S6_EEENSD_IJSA_SA_EEENS0_18inequality_wrapperIZN2at6native12_GLOBAL__N_124unique_dim_cuda_templateIiEESt5tupleIJNSH_6TensorESM_SM_EERKSM_lbbbEUlllE0_EEPmJS6_EEE10hipError_tPvRmT3_T4_T5_T6_T7_T9_mT8_P12ihipStream_tbDpT10_ENKUlT_T0_E_clISt17integral_constantIbLb1EES1C_EEDaS17_S18_EUlS17_E_NS1_11comp_targetILNS1_3genE0ELNS1_11target_archE4294967295ELNS1_3gpuE0ELNS1_3repE0EEENS1_30default_config_static_selectorELNS0_4arch9wavefront6targetE0EEEvT1_.uses_flat_scratch, 0
	.set _ZN7rocprim17ROCPRIM_400000_NS6detail17trampoline_kernelINS0_14default_configENS1_25partition_config_selectorILNS1_17partition_subalgoE8ElNS0_10empty_typeEbEEZZNS1_14partition_implILS5_8ELb0ES3_jPlPS6_PKS6_NS0_5tupleIJS9_S6_EEENSD_IJSA_SA_EEENS0_18inequality_wrapperIZN2at6native12_GLOBAL__N_124unique_dim_cuda_templateIiEESt5tupleIJNSH_6TensorESM_SM_EERKSM_lbbbEUlllE0_EEPmJS6_EEE10hipError_tPvRmT3_T4_T5_T6_T7_T9_mT8_P12ihipStream_tbDpT10_ENKUlT_T0_E_clISt17integral_constantIbLb1EES1C_EEDaS17_S18_EUlS17_E_NS1_11comp_targetILNS1_3genE0ELNS1_11target_archE4294967295ELNS1_3gpuE0ELNS1_3repE0EEENS1_30default_config_static_selectorELNS0_4arch9wavefront6targetE0EEEvT1_.has_dyn_sized_stack, 0
	.set _ZN7rocprim17ROCPRIM_400000_NS6detail17trampoline_kernelINS0_14default_configENS1_25partition_config_selectorILNS1_17partition_subalgoE8ElNS0_10empty_typeEbEEZZNS1_14partition_implILS5_8ELb0ES3_jPlPS6_PKS6_NS0_5tupleIJS9_S6_EEENSD_IJSA_SA_EEENS0_18inequality_wrapperIZN2at6native12_GLOBAL__N_124unique_dim_cuda_templateIiEESt5tupleIJNSH_6TensorESM_SM_EERKSM_lbbbEUlllE0_EEPmJS6_EEE10hipError_tPvRmT3_T4_T5_T6_T7_T9_mT8_P12ihipStream_tbDpT10_ENKUlT_T0_E_clISt17integral_constantIbLb1EES1C_EEDaS17_S18_EUlS17_E_NS1_11comp_targetILNS1_3genE0ELNS1_11target_archE4294967295ELNS1_3gpuE0ELNS1_3repE0EEENS1_30default_config_static_selectorELNS0_4arch9wavefront6targetE0EEEvT1_.has_recursion, 0
	.set _ZN7rocprim17ROCPRIM_400000_NS6detail17trampoline_kernelINS0_14default_configENS1_25partition_config_selectorILNS1_17partition_subalgoE8ElNS0_10empty_typeEbEEZZNS1_14partition_implILS5_8ELb0ES3_jPlPS6_PKS6_NS0_5tupleIJS9_S6_EEENSD_IJSA_SA_EEENS0_18inequality_wrapperIZN2at6native12_GLOBAL__N_124unique_dim_cuda_templateIiEESt5tupleIJNSH_6TensorESM_SM_EERKSM_lbbbEUlllE0_EEPmJS6_EEE10hipError_tPvRmT3_T4_T5_T6_T7_T9_mT8_P12ihipStream_tbDpT10_ENKUlT_T0_E_clISt17integral_constantIbLb1EES1C_EEDaS17_S18_EUlS17_E_NS1_11comp_targetILNS1_3genE0ELNS1_11target_archE4294967295ELNS1_3gpuE0ELNS1_3repE0EEENS1_30default_config_static_selectorELNS0_4arch9wavefront6targetE0EEEvT1_.has_indirect_call, 0
	.section	.AMDGPU.csdata,"",@progbits
; Kernel info:
; codeLenInByte = 4
; TotalNumSgprs: 0
; NumVgprs: 0
; ScratchSize: 0
; MemoryBound: 0
; FloatMode: 240
; IeeeMode: 1
; LDSByteSize: 0 bytes/workgroup (compile time only)
; SGPRBlocks: 0
; VGPRBlocks: 0
; NumSGPRsForWavesPerEU: 1
; NumVGPRsForWavesPerEU: 1
; NamedBarCnt: 0
; Occupancy: 16
; WaveLimiterHint : 0
; COMPUTE_PGM_RSRC2:SCRATCH_EN: 0
; COMPUTE_PGM_RSRC2:USER_SGPR: 2
; COMPUTE_PGM_RSRC2:TRAP_HANDLER: 0
; COMPUTE_PGM_RSRC2:TGID_X_EN: 1
; COMPUTE_PGM_RSRC2:TGID_Y_EN: 0
; COMPUTE_PGM_RSRC2:TGID_Z_EN: 0
; COMPUTE_PGM_RSRC2:TIDIG_COMP_CNT: 0
	.section	.text._ZN7rocprim17ROCPRIM_400000_NS6detail17trampoline_kernelINS0_14default_configENS1_25partition_config_selectorILNS1_17partition_subalgoE8ElNS0_10empty_typeEbEEZZNS1_14partition_implILS5_8ELb0ES3_jPlPS6_PKS6_NS0_5tupleIJS9_S6_EEENSD_IJSA_SA_EEENS0_18inequality_wrapperIZN2at6native12_GLOBAL__N_124unique_dim_cuda_templateIiEESt5tupleIJNSH_6TensorESM_SM_EERKSM_lbbbEUlllE0_EEPmJS6_EEE10hipError_tPvRmT3_T4_T5_T6_T7_T9_mT8_P12ihipStream_tbDpT10_ENKUlT_T0_E_clISt17integral_constantIbLb1EES1C_EEDaS17_S18_EUlS17_E_NS1_11comp_targetILNS1_3genE5ELNS1_11target_archE942ELNS1_3gpuE9ELNS1_3repE0EEENS1_30default_config_static_selectorELNS0_4arch9wavefront6targetE0EEEvT1_,"axG",@progbits,_ZN7rocprim17ROCPRIM_400000_NS6detail17trampoline_kernelINS0_14default_configENS1_25partition_config_selectorILNS1_17partition_subalgoE8ElNS0_10empty_typeEbEEZZNS1_14partition_implILS5_8ELb0ES3_jPlPS6_PKS6_NS0_5tupleIJS9_S6_EEENSD_IJSA_SA_EEENS0_18inequality_wrapperIZN2at6native12_GLOBAL__N_124unique_dim_cuda_templateIiEESt5tupleIJNSH_6TensorESM_SM_EERKSM_lbbbEUlllE0_EEPmJS6_EEE10hipError_tPvRmT3_T4_T5_T6_T7_T9_mT8_P12ihipStream_tbDpT10_ENKUlT_T0_E_clISt17integral_constantIbLb1EES1C_EEDaS17_S18_EUlS17_E_NS1_11comp_targetILNS1_3genE5ELNS1_11target_archE942ELNS1_3gpuE9ELNS1_3repE0EEENS1_30default_config_static_selectorELNS0_4arch9wavefront6targetE0EEEvT1_,comdat
	.globl	_ZN7rocprim17ROCPRIM_400000_NS6detail17trampoline_kernelINS0_14default_configENS1_25partition_config_selectorILNS1_17partition_subalgoE8ElNS0_10empty_typeEbEEZZNS1_14partition_implILS5_8ELb0ES3_jPlPS6_PKS6_NS0_5tupleIJS9_S6_EEENSD_IJSA_SA_EEENS0_18inequality_wrapperIZN2at6native12_GLOBAL__N_124unique_dim_cuda_templateIiEESt5tupleIJNSH_6TensorESM_SM_EERKSM_lbbbEUlllE0_EEPmJS6_EEE10hipError_tPvRmT3_T4_T5_T6_T7_T9_mT8_P12ihipStream_tbDpT10_ENKUlT_T0_E_clISt17integral_constantIbLb1EES1C_EEDaS17_S18_EUlS17_E_NS1_11comp_targetILNS1_3genE5ELNS1_11target_archE942ELNS1_3gpuE9ELNS1_3repE0EEENS1_30default_config_static_selectorELNS0_4arch9wavefront6targetE0EEEvT1_ ; -- Begin function _ZN7rocprim17ROCPRIM_400000_NS6detail17trampoline_kernelINS0_14default_configENS1_25partition_config_selectorILNS1_17partition_subalgoE8ElNS0_10empty_typeEbEEZZNS1_14partition_implILS5_8ELb0ES3_jPlPS6_PKS6_NS0_5tupleIJS9_S6_EEENSD_IJSA_SA_EEENS0_18inequality_wrapperIZN2at6native12_GLOBAL__N_124unique_dim_cuda_templateIiEESt5tupleIJNSH_6TensorESM_SM_EERKSM_lbbbEUlllE0_EEPmJS6_EEE10hipError_tPvRmT3_T4_T5_T6_T7_T9_mT8_P12ihipStream_tbDpT10_ENKUlT_T0_E_clISt17integral_constantIbLb1EES1C_EEDaS17_S18_EUlS17_E_NS1_11comp_targetILNS1_3genE5ELNS1_11target_archE942ELNS1_3gpuE9ELNS1_3repE0EEENS1_30default_config_static_selectorELNS0_4arch9wavefront6targetE0EEEvT1_
	.p2align	8
	.type	_ZN7rocprim17ROCPRIM_400000_NS6detail17trampoline_kernelINS0_14default_configENS1_25partition_config_selectorILNS1_17partition_subalgoE8ElNS0_10empty_typeEbEEZZNS1_14partition_implILS5_8ELb0ES3_jPlPS6_PKS6_NS0_5tupleIJS9_S6_EEENSD_IJSA_SA_EEENS0_18inequality_wrapperIZN2at6native12_GLOBAL__N_124unique_dim_cuda_templateIiEESt5tupleIJNSH_6TensorESM_SM_EERKSM_lbbbEUlllE0_EEPmJS6_EEE10hipError_tPvRmT3_T4_T5_T6_T7_T9_mT8_P12ihipStream_tbDpT10_ENKUlT_T0_E_clISt17integral_constantIbLb1EES1C_EEDaS17_S18_EUlS17_E_NS1_11comp_targetILNS1_3genE5ELNS1_11target_archE942ELNS1_3gpuE9ELNS1_3repE0EEENS1_30default_config_static_selectorELNS0_4arch9wavefront6targetE0EEEvT1_,@function
_ZN7rocprim17ROCPRIM_400000_NS6detail17trampoline_kernelINS0_14default_configENS1_25partition_config_selectorILNS1_17partition_subalgoE8ElNS0_10empty_typeEbEEZZNS1_14partition_implILS5_8ELb0ES3_jPlPS6_PKS6_NS0_5tupleIJS9_S6_EEENSD_IJSA_SA_EEENS0_18inequality_wrapperIZN2at6native12_GLOBAL__N_124unique_dim_cuda_templateIiEESt5tupleIJNSH_6TensorESM_SM_EERKSM_lbbbEUlllE0_EEPmJS6_EEE10hipError_tPvRmT3_T4_T5_T6_T7_T9_mT8_P12ihipStream_tbDpT10_ENKUlT_T0_E_clISt17integral_constantIbLb1EES1C_EEDaS17_S18_EUlS17_E_NS1_11comp_targetILNS1_3genE5ELNS1_11target_archE942ELNS1_3gpuE9ELNS1_3repE0EEENS1_30default_config_static_selectorELNS0_4arch9wavefront6targetE0EEEvT1_: ; @_ZN7rocprim17ROCPRIM_400000_NS6detail17trampoline_kernelINS0_14default_configENS1_25partition_config_selectorILNS1_17partition_subalgoE8ElNS0_10empty_typeEbEEZZNS1_14partition_implILS5_8ELb0ES3_jPlPS6_PKS6_NS0_5tupleIJS9_S6_EEENSD_IJSA_SA_EEENS0_18inequality_wrapperIZN2at6native12_GLOBAL__N_124unique_dim_cuda_templateIiEESt5tupleIJNSH_6TensorESM_SM_EERKSM_lbbbEUlllE0_EEPmJS6_EEE10hipError_tPvRmT3_T4_T5_T6_T7_T9_mT8_P12ihipStream_tbDpT10_ENKUlT_T0_E_clISt17integral_constantIbLb1EES1C_EEDaS17_S18_EUlS17_E_NS1_11comp_targetILNS1_3genE5ELNS1_11target_archE942ELNS1_3gpuE9ELNS1_3repE0EEENS1_30default_config_static_selectorELNS0_4arch9wavefront6targetE0EEEvT1_
; %bb.0:
	.section	.rodata,"a",@progbits
	.p2align	6, 0x0
	.amdhsa_kernel _ZN7rocprim17ROCPRIM_400000_NS6detail17trampoline_kernelINS0_14default_configENS1_25partition_config_selectorILNS1_17partition_subalgoE8ElNS0_10empty_typeEbEEZZNS1_14partition_implILS5_8ELb0ES3_jPlPS6_PKS6_NS0_5tupleIJS9_S6_EEENSD_IJSA_SA_EEENS0_18inequality_wrapperIZN2at6native12_GLOBAL__N_124unique_dim_cuda_templateIiEESt5tupleIJNSH_6TensorESM_SM_EERKSM_lbbbEUlllE0_EEPmJS6_EEE10hipError_tPvRmT3_T4_T5_T6_T7_T9_mT8_P12ihipStream_tbDpT10_ENKUlT_T0_E_clISt17integral_constantIbLb1EES1C_EEDaS17_S18_EUlS17_E_NS1_11comp_targetILNS1_3genE5ELNS1_11target_archE942ELNS1_3gpuE9ELNS1_3repE0EEENS1_30default_config_static_selectorELNS0_4arch9wavefront6targetE0EEEvT1_
		.amdhsa_group_segment_fixed_size 0
		.amdhsa_private_segment_fixed_size 0
		.amdhsa_kernarg_size 136
		.amdhsa_user_sgpr_count 2
		.amdhsa_user_sgpr_dispatch_ptr 0
		.amdhsa_user_sgpr_queue_ptr 0
		.amdhsa_user_sgpr_kernarg_segment_ptr 1
		.amdhsa_user_sgpr_dispatch_id 0
		.amdhsa_user_sgpr_kernarg_preload_length 0
		.amdhsa_user_sgpr_kernarg_preload_offset 0
		.amdhsa_user_sgpr_private_segment_size 0
		.amdhsa_wavefront_size32 1
		.amdhsa_uses_dynamic_stack 0
		.amdhsa_enable_private_segment 0
		.amdhsa_system_sgpr_workgroup_id_x 1
		.amdhsa_system_sgpr_workgroup_id_y 0
		.amdhsa_system_sgpr_workgroup_id_z 0
		.amdhsa_system_sgpr_workgroup_info 0
		.amdhsa_system_vgpr_workitem_id 0
		.amdhsa_next_free_vgpr 1
		.amdhsa_next_free_sgpr 1
		.amdhsa_named_barrier_count 0
		.amdhsa_reserve_vcc 0
		.amdhsa_float_round_mode_32 0
		.amdhsa_float_round_mode_16_64 0
		.amdhsa_float_denorm_mode_32 3
		.amdhsa_float_denorm_mode_16_64 3
		.amdhsa_fp16_overflow 0
		.amdhsa_memory_ordered 1
		.amdhsa_forward_progress 1
		.amdhsa_inst_pref_size 0
		.amdhsa_round_robin_scheduling 0
		.amdhsa_exception_fp_ieee_invalid_op 0
		.amdhsa_exception_fp_denorm_src 0
		.amdhsa_exception_fp_ieee_div_zero 0
		.amdhsa_exception_fp_ieee_overflow 0
		.amdhsa_exception_fp_ieee_underflow 0
		.amdhsa_exception_fp_ieee_inexact 0
		.amdhsa_exception_int_div_zero 0
	.end_amdhsa_kernel
	.section	.text._ZN7rocprim17ROCPRIM_400000_NS6detail17trampoline_kernelINS0_14default_configENS1_25partition_config_selectorILNS1_17partition_subalgoE8ElNS0_10empty_typeEbEEZZNS1_14partition_implILS5_8ELb0ES3_jPlPS6_PKS6_NS0_5tupleIJS9_S6_EEENSD_IJSA_SA_EEENS0_18inequality_wrapperIZN2at6native12_GLOBAL__N_124unique_dim_cuda_templateIiEESt5tupleIJNSH_6TensorESM_SM_EERKSM_lbbbEUlllE0_EEPmJS6_EEE10hipError_tPvRmT3_T4_T5_T6_T7_T9_mT8_P12ihipStream_tbDpT10_ENKUlT_T0_E_clISt17integral_constantIbLb1EES1C_EEDaS17_S18_EUlS17_E_NS1_11comp_targetILNS1_3genE5ELNS1_11target_archE942ELNS1_3gpuE9ELNS1_3repE0EEENS1_30default_config_static_selectorELNS0_4arch9wavefront6targetE0EEEvT1_,"axG",@progbits,_ZN7rocprim17ROCPRIM_400000_NS6detail17trampoline_kernelINS0_14default_configENS1_25partition_config_selectorILNS1_17partition_subalgoE8ElNS0_10empty_typeEbEEZZNS1_14partition_implILS5_8ELb0ES3_jPlPS6_PKS6_NS0_5tupleIJS9_S6_EEENSD_IJSA_SA_EEENS0_18inequality_wrapperIZN2at6native12_GLOBAL__N_124unique_dim_cuda_templateIiEESt5tupleIJNSH_6TensorESM_SM_EERKSM_lbbbEUlllE0_EEPmJS6_EEE10hipError_tPvRmT3_T4_T5_T6_T7_T9_mT8_P12ihipStream_tbDpT10_ENKUlT_T0_E_clISt17integral_constantIbLb1EES1C_EEDaS17_S18_EUlS17_E_NS1_11comp_targetILNS1_3genE5ELNS1_11target_archE942ELNS1_3gpuE9ELNS1_3repE0EEENS1_30default_config_static_selectorELNS0_4arch9wavefront6targetE0EEEvT1_,comdat
.Lfunc_end450:
	.size	_ZN7rocprim17ROCPRIM_400000_NS6detail17trampoline_kernelINS0_14default_configENS1_25partition_config_selectorILNS1_17partition_subalgoE8ElNS0_10empty_typeEbEEZZNS1_14partition_implILS5_8ELb0ES3_jPlPS6_PKS6_NS0_5tupleIJS9_S6_EEENSD_IJSA_SA_EEENS0_18inequality_wrapperIZN2at6native12_GLOBAL__N_124unique_dim_cuda_templateIiEESt5tupleIJNSH_6TensorESM_SM_EERKSM_lbbbEUlllE0_EEPmJS6_EEE10hipError_tPvRmT3_T4_T5_T6_T7_T9_mT8_P12ihipStream_tbDpT10_ENKUlT_T0_E_clISt17integral_constantIbLb1EES1C_EEDaS17_S18_EUlS17_E_NS1_11comp_targetILNS1_3genE5ELNS1_11target_archE942ELNS1_3gpuE9ELNS1_3repE0EEENS1_30default_config_static_selectorELNS0_4arch9wavefront6targetE0EEEvT1_, .Lfunc_end450-_ZN7rocprim17ROCPRIM_400000_NS6detail17trampoline_kernelINS0_14default_configENS1_25partition_config_selectorILNS1_17partition_subalgoE8ElNS0_10empty_typeEbEEZZNS1_14partition_implILS5_8ELb0ES3_jPlPS6_PKS6_NS0_5tupleIJS9_S6_EEENSD_IJSA_SA_EEENS0_18inequality_wrapperIZN2at6native12_GLOBAL__N_124unique_dim_cuda_templateIiEESt5tupleIJNSH_6TensorESM_SM_EERKSM_lbbbEUlllE0_EEPmJS6_EEE10hipError_tPvRmT3_T4_T5_T6_T7_T9_mT8_P12ihipStream_tbDpT10_ENKUlT_T0_E_clISt17integral_constantIbLb1EES1C_EEDaS17_S18_EUlS17_E_NS1_11comp_targetILNS1_3genE5ELNS1_11target_archE942ELNS1_3gpuE9ELNS1_3repE0EEENS1_30default_config_static_selectorELNS0_4arch9wavefront6targetE0EEEvT1_
                                        ; -- End function
	.set _ZN7rocprim17ROCPRIM_400000_NS6detail17trampoline_kernelINS0_14default_configENS1_25partition_config_selectorILNS1_17partition_subalgoE8ElNS0_10empty_typeEbEEZZNS1_14partition_implILS5_8ELb0ES3_jPlPS6_PKS6_NS0_5tupleIJS9_S6_EEENSD_IJSA_SA_EEENS0_18inequality_wrapperIZN2at6native12_GLOBAL__N_124unique_dim_cuda_templateIiEESt5tupleIJNSH_6TensorESM_SM_EERKSM_lbbbEUlllE0_EEPmJS6_EEE10hipError_tPvRmT3_T4_T5_T6_T7_T9_mT8_P12ihipStream_tbDpT10_ENKUlT_T0_E_clISt17integral_constantIbLb1EES1C_EEDaS17_S18_EUlS17_E_NS1_11comp_targetILNS1_3genE5ELNS1_11target_archE942ELNS1_3gpuE9ELNS1_3repE0EEENS1_30default_config_static_selectorELNS0_4arch9wavefront6targetE0EEEvT1_.num_vgpr, 0
	.set _ZN7rocprim17ROCPRIM_400000_NS6detail17trampoline_kernelINS0_14default_configENS1_25partition_config_selectorILNS1_17partition_subalgoE8ElNS0_10empty_typeEbEEZZNS1_14partition_implILS5_8ELb0ES3_jPlPS6_PKS6_NS0_5tupleIJS9_S6_EEENSD_IJSA_SA_EEENS0_18inequality_wrapperIZN2at6native12_GLOBAL__N_124unique_dim_cuda_templateIiEESt5tupleIJNSH_6TensorESM_SM_EERKSM_lbbbEUlllE0_EEPmJS6_EEE10hipError_tPvRmT3_T4_T5_T6_T7_T9_mT8_P12ihipStream_tbDpT10_ENKUlT_T0_E_clISt17integral_constantIbLb1EES1C_EEDaS17_S18_EUlS17_E_NS1_11comp_targetILNS1_3genE5ELNS1_11target_archE942ELNS1_3gpuE9ELNS1_3repE0EEENS1_30default_config_static_selectorELNS0_4arch9wavefront6targetE0EEEvT1_.num_agpr, 0
	.set _ZN7rocprim17ROCPRIM_400000_NS6detail17trampoline_kernelINS0_14default_configENS1_25partition_config_selectorILNS1_17partition_subalgoE8ElNS0_10empty_typeEbEEZZNS1_14partition_implILS5_8ELb0ES3_jPlPS6_PKS6_NS0_5tupleIJS9_S6_EEENSD_IJSA_SA_EEENS0_18inequality_wrapperIZN2at6native12_GLOBAL__N_124unique_dim_cuda_templateIiEESt5tupleIJNSH_6TensorESM_SM_EERKSM_lbbbEUlllE0_EEPmJS6_EEE10hipError_tPvRmT3_T4_T5_T6_T7_T9_mT8_P12ihipStream_tbDpT10_ENKUlT_T0_E_clISt17integral_constantIbLb1EES1C_EEDaS17_S18_EUlS17_E_NS1_11comp_targetILNS1_3genE5ELNS1_11target_archE942ELNS1_3gpuE9ELNS1_3repE0EEENS1_30default_config_static_selectorELNS0_4arch9wavefront6targetE0EEEvT1_.numbered_sgpr, 0
	.set _ZN7rocprim17ROCPRIM_400000_NS6detail17trampoline_kernelINS0_14default_configENS1_25partition_config_selectorILNS1_17partition_subalgoE8ElNS0_10empty_typeEbEEZZNS1_14partition_implILS5_8ELb0ES3_jPlPS6_PKS6_NS0_5tupleIJS9_S6_EEENSD_IJSA_SA_EEENS0_18inequality_wrapperIZN2at6native12_GLOBAL__N_124unique_dim_cuda_templateIiEESt5tupleIJNSH_6TensorESM_SM_EERKSM_lbbbEUlllE0_EEPmJS6_EEE10hipError_tPvRmT3_T4_T5_T6_T7_T9_mT8_P12ihipStream_tbDpT10_ENKUlT_T0_E_clISt17integral_constantIbLb1EES1C_EEDaS17_S18_EUlS17_E_NS1_11comp_targetILNS1_3genE5ELNS1_11target_archE942ELNS1_3gpuE9ELNS1_3repE0EEENS1_30default_config_static_selectorELNS0_4arch9wavefront6targetE0EEEvT1_.num_named_barrier, 0
	.set _ZN7rocprim17ROCPRIM_400000_NS6detail17trampoline_kernelINS0_14default_configENS1_25partition_config_selectorILNS1_17partition_subalgoE8ElNS0_10empty_typeEbEEZZNS1_14partition_implILS5_8ELb0ES3_jPlPS6_PKS6_NS0_5tupleIJS9_S6_EEENSD_IJSA_SA_EEENS0_18inequality_wrapperIZN2at6native12_GLOBAL__N_124unique_dim_cuda_templateIiEESt5tupleIJNSH_6TensorESM_SM_EERKSM_lbbbEUlllE0_EEPmJS6_EEE10hipError_tPvRmT3_T4_T5_T6_T7_T9_mT8_P12ihipStream_tbDpT10_ENKUlT_T0_E_clISt17integral_constantIbLb1EES1C_EEDaS17_S18_EUlS17_E_NS1_11comp_targetILNS1_3genE5ELNS1_11target_archE942ELNS1_3gpuE9ELNS1_3repE0EEENS1_30default_config_static_selectorELNS0_4arch9wavefront6targetE0EEEvT1_.private_seg_size, 0
	.set _ZN7rocprim17ROCPRIM_400000_NS6detail17trampoline_kernelINS0_14default_configENS1_25partition_config_selectorILNS1_17partition_subalgoE8ElNS0_10empty_typeEbEEZZNS1_14partition_implILS5_8ELb0ES3_jPlPS6_PKS6_NS0_5tupleIJS9_S6_EEENSD_IJSA_SA_EEENS0_18inequality_wrapperIZN2at6native12_GLOBAL__N_124unique_dim_cuda_templateIiEESt5tupleIJNSH_6TensorESM_SM_EERKSM_lbbbEUlllE0_EEPmJS6_EEE10hipError_tPvRmT3_T4_T5_T6_T7_T9_mT8_P12ihipStream_tbDpT10_ENKUlT_T0_E_clISt17integral_constantIbLb1EES1C_EEDaS17_S18_EUlS17_E_NS1_11comp_targetILNS1_3genE5ELNS1_11target_archE942ELNS1_3gpuE9ELNS1_3repE0EEENS1_30default_config_static_selectorELNS0_4arch9wavefront6targetE0EEEvT1_.uses_vcc, 0
	.set _ZN7rocprim17ROCPRIM_400000_NS6detail17trampoline_kernelINS0_14default_configENS1_25partition_config_selectorILNS1_17partition_subalgoE8ElNS0_10empty_typeEbEEZZNS1_14partition_implILS5_8ELb0ES3_jPlPS6_PKS6_NS0_5tupleIJS9_S6_EEENSD_IJSA_SA_EEENS0_18inequality_wrapperIZN2at6native12_GLOBAL__N_124unique_dim_cuda_templateIiEESt5tupleIJNSH_6TensorESM_SM_EERKSM_lbbbEUlllE0_EEPmJS6_EEE10hipError_tPvRmT3_T4_T5_T6_T7_T9_mT8_P12ihipStream_tbDpT10_ENKUlT_T0_E_clISt17integral_constantIbLb1EES1C_EEDaS17_S18_EUlS17_E_NS1_11comp_targetILNS1_3genE5ELNS1_11target_archE942ELNS1_3gpuE9ELNS1_3repE0EEENS1_30default_config_static_selectorELNS0_4arch9wavefront6targetE0EEEvT1_.uses_flat_scratch, 0
	.set _ZN7rocprim17ROCPRIM_400000_NS6detail17trampoline_kernelINS0_14default_configENS1_25partition_config_selectorILNS1_17partition_subalgoE8ElNS0_10empty_typeEbEEZZNS1_14partition_implILS5_8ELb0ES3_jPlPS6_PKS6_NS0_5tupleIJS9_S6_EEENSD_IJSA_SA_EEENS0_18inequality_wrapperIZN2at6native12_GLOBAL__N_124unique_dim_cuda_templateIiEESt5tupleIJNSH_6TensorESM_SM_EERKSM_lbbbEUlllE0_EEPmJS6_EEE10hipError_tPvRmT3_T4_T5_T6_T7_T9_mT8_P12ihipStream_tbDpT10_ENKUlT_T0_E_clISt17integral_constantIbLb1EES1C_EEDaS17_S18_EUlS17_E_NS1_11comp_targetILNS1_3genE5ELNS1_11target_archE942ELNS1_3gpuE9ELNS1_3repE0EEENS1_30default_config_static_selectorELNS0_4arch9wavefront6targetE0EEEvT1_.has_dyn_sized_stack, 0
	.set _ZN7rocprim17ROCPRIM_400000_NS6detail17trampoline_kernelINS0_14default_configENS1_25partition_config_selectorILNS1_17partition_subalgoE8ElNS0_10empty_typeEbEEZZNS1_14partition_implILS5_8ELb0ES3_jPlPS6_PKS6_NS0_5tupleIJS9_S6_EEENSD_IJSA_SA_EEENS0_18inequality_wrapperIZN2at6native12_GLOBAL__N_124unique_dim_cuda_templateIiEESt5tupleIJNSH_6TensorESM_SM_EERKSM_lbbbEUlllE0_EEPmJS6_EEE10hipError_tPvRmT3_T4_T5_T6_T7_T9_mT8_P12ihipStream_tbDpT10_ENKUlT_T0_E_clISt17integral_constantIbLb1EES1C_EEDaS17_S18_EUlS17_E_NS1_11comp_targetILNS1_3genE5ELNS1_11target_archE942ELNS1_3gpuE9ELNS1_3repE0EEENS1_30default_config_static_selectorELNS0_4arch9wavefront6targetE0EEEvT1_.has_recursion, 0
	.set _ZN7rocprim17ROCPRIM_400000_NS6detail17trampoline_kernelINS0_14default_configENS1_25partition_config_selectorILNS1_17partition_subalgoE8ElNS0_10empty_typeEbEEZZNS1_14partition_implILS5_8ELb0ES3_jPlPS6_PKS6_NS0_5tupleIJS9_S6_EEENSD_IJSA_SA_EEENS0_18inequality_wrapperIZN2at6native12_GLOBAL__N_124unique_dim_cuda_templateIiEESt5tupleIJNSH_6TensorESM_SM_EERKSM_lbbbEUlllE0_EEPmJS6_EEE10hipError_tPvRmT3_T4_T5_T6_T7_T9_mT8_P12ihipStream_tbDpT10_ENKUlT_T0_E_clISt17integral_constantIbLb1EES1C_EEDaS17_S18_EUlS17_E_NS1_11comp_targetILNS1_3genE5ELNS1_11target_archE942ELNS1_3gpuE9ELNS1_3repE0EEENS1_30default_config_static_selectorELNS0_4arch9wavefront6targetE0EEEvT1_.has_indirect_call, 0
	.section	.AMDGPU.csdata,"",@progbits
; Kernel info:
; codeLenInByte = 0
; TotalNumSgprs: 0
; NumVgprs: 0
; ScratchSize: 0
; MemoryBound: 0
; FloatMode: 240
; IeeeMode: 1
; LDSByteSize: 0 bytes/workgroup (compile time only)
; SGPRBlocks: 0
; VGPRBlocks: 0
; NumSGPRsForWavesPerEU: 1
; NumVGPRsForWavesPerEU: 1
; NamedBarCnt: 0
; Occupancy: 16
; WaveLimiterHint : 0
; COMPUTE_PGM_RSRC2:SCRATCH_EN: 0
; COMPUTE_PGM_RSRC2:USER_SGPR: 2
; COMPUTE_PGM_RSRC2:TRAP_HANDLER: 0
; COMPUTE_PGM_RSRC2:TGID_X_EN: 1
; COMPUTE_PGM_RSRC2:TGID_Y_EN: 0
; COMPUTE_PGM_RSRC2:TGID_Z_EN: 0
; COMPUTE_PGM_RSRC2:TIDIG_COMP_CNT: 0
	.section	.text._ZN7rocprim17ROCPRIM_400000_NS6detail17trampoline_kernelINS0_14default_configENS1_25partition_config_selectorILNS1_17partition_subalgoE8ElNS0_10empty_typeEbEEZZNS1_14partition_implILS5_8ELb0ES3_jPlPS6_PKS6_NS0_5tupleIJS9_S6_EEENSD_IJSA_SA_EEENS0_18inequality_wrapperIZN2at6native12_GLOBAL__N_124unique_dim_cuda_templateIiEESt5tupleIJNSH_6TensorESM_SM_EERKSM_lbbbEUlllE0_EEPmJS6_EEE10hipError_tPvRmT3_T4_T5_T6_T7_T9_mT8_P12ihipStream_tbDpT10_ENKUlT_T0_E_clISt17integral_constantIbLb1EES1C_EEDaS17_S18_EUlS17_E_NS1_11comp_targetILNS1_3genE4ELNS1_11target_archE910ELNS1_3gpuE8ELNS1_3repE0EEENS1_30default_config_static_selectorELNS0_4arch9wavefront6targetE0EEEvT1_,"axG",@progbits,_ZN7rocprim17ROCPRIM_400000_NS6detail17trampoline_kernelINS0_14default_configENS1_25partition_config_selectorILNS1_17partition_subalgoE8ElNS0_10empty_typeEbEEZZNS1_14partition_implILS5_8ELb0ES3_jPlPS6_PKS6_NS0_5tupleIJS9_S6_EEENSD_IJSA_SA_EEENS0_18inequality_wrapperIZN2at6native12_GLOBAL__N_124unique_dim_cuda_templateIiEESt5tupleIJNSH_6TensorESM_SM_EERKSM_lbbbEUlllE0_EEPmJS6_EEE10hipError_tPvRmT3_T4_T5_T6_T7_T9_mT8_P12ihipStream_tbDpT10_ENKUlT_T0_E_clISt17integral_constantIbLb1EES1C_EEDaS17_S18_EUlS17_E_NS1_11comp_targetILNS1_3genE4ELNS1_11target_archE910ELNS1_3gpuE8ELNS1_3repE0EEENS1_30default_config_static_selectorELNS0_4arch9wavefront6targetE0EEEvT1_,comdat
	.globl	_ZN7rocprim17ROCPRIM_400000_NS6detail17trampoline_kernelINS0_14default_configENS1_25partition_config_selectorILNS1_17partition_subalgoE8ElNS0_10empty_typeEbEEZZNS1_14partition_implILS5_8ELb0ES3_jPlPS6_PKS6_NS0_5tupleIJS9_S6_EEENSD_IJSA_SA_EEENS0_18inequality_wrapperIZN2at6native12_GLOBAL__N_124unique_dim_cuda_templateIiEESt5tupleIJNSH_6TensorESM_SM_EERKSM_lbbbEUlllE0_EEPmJS6_EEE10hipError_tPvRmT3_T4_T5_T6_T7_T9_mT8_P12ihipStream_tbDpT10_ENKUlT_T0_E_clISt17integral_constantIbLb1EES1C_EEDaS17_S18_EUlS17_E_NS1_11comp_targetILNS1_3genE4ELNS1_11target_archE910ELNS1_3gpuE8ELNS1_3repE0EEENS1_30default_config_static_selectorELNS0_4arch9wavefront6targetE0EEEvT1_ ; -- Begin function _ZN7rocprim17ROCPRIM_400000_NS6detail17trampoline_kernelINS0_14default_configENS1_25partition_config_selectorILNS1_17partition_subalgoE8ElNS0_10empty_typeEbEEZZNS1_14partition_implILS5_8ELb0ES3_jPlPS6_PKS6_NS0_5tupleIJS9_S6_EEENSD_IJSA_SA_EEENS0_18inequality_wrapperIZN2at6native12_GLOBAL__N_124unique_dim_cuda_templateIiEESt5tupleIJNSH_6TensorESM_SM_EERKSM_lbbbEUlllE0_EEPmJS6_EEE10hipError_tPvRmT3_T4_T5_T6_T7_T9_mT8_P12ihipStream_tbDpT10_ENKUlT_T0_E_clISt17integral_constantIbLb1EES1C_EEDaS17_S18_EUlS17_E_NS1_11comp_targetILNS1_3genE4ELNS1_11target_archE910ELNS1_3gpuE8ELNS1_3repE0EEENS1_30default_config_static_selectorELNS0_4arch9wavefront6targetE0EEEvT1_
	.p2align	8
	.type	_ZN7rocprim17ROCPRIM_400000_NS6detail17trampoline_kernelINS0_14default_configENS1_25partition_config_selectorILNS1_17partition_subalgoE8ElNS0_10empty_typeEbEEZZNS1_14partition_implILS5_8ELb0ES3_jPlPS6_PKS6_NS0_5tupleIJS9_S6_EEENSD_IJSA_SA_EEENS0_18inequality_wrapperIZN2at6native12_GLOBAL__N_124unique_dim_cuda_templateIiEESt5tupleIJNSH_6TensorESM_SM_EERKSM_lbbbEUlllE0_EEPmJS6_EEE10hipError_tPvRmT3_T4_T5_T6_T7_T9_mT8_P12ihipStream_tbDpT10_ENKUlT_T0_E_clISt17integral_constantIbLb1EES1C_EEDaS17_S18_EUlS17_E_NS1_11comp_targetILNS1_3genE4ELNS1_11target_archE910ELNS1_3gpuE8ELNS1_3repE0EEENS1_30default_config_static_selectorELNS0_4arch9wavefront6targetE0EEEvT1_,@function
_ZN7rocprim17ROCPRIM_400000_NS6detail17trampoline_kernelINS0_14default_configENS1_25partition_config_selectorILNS1_17partition_subalgoE8ElNS0_10empty_typeEbEEZZNS1_14partition_implILS5_8ELb0ES3_jPlPS6_PKS6_NS0_5tupleIJS9_S6_EEENSD_IJSA_SA_EEENS0_18inequality_wrapperIZN2at6native12_GLOBAL__N_124unique_dim_cuda_templateIiEESt5tupleIJNSH_6TensorESM_SM_EERKSM_lbbbEUlllE0_EEPmJS6_EEE10hipError_tPvRmT3_T4_T5_T6_T7_T9_mT8_P12ihipStream_tbDpT10_ENKUlT_T0_E_clISt17integral_constantIbLb1EES1C_EEDaS17_S18_EUlS17_E_NS1_11comp_targetILNS1_3genE4ELNS1_11target_archE910ELNS1_3gpuE8ELNS1_3repE0EEENS1_30default_config_static_selectorELNS0_4arch9wavefront6targetE0EEEvT1_: ; @_ZN7rocprim17ROCPRIM_400000_NS6detail17trampoline_kernelINS0_14default_configENS1_25partition_config_selectorILNS1_17partition_subalgoE8ElNS0_10empty_typeEbEEZZNS1_14partition_implILS5_8ELb0ES3_jPlPS6_PKS6_NS0_5tupleIJS9_S6_EEENSD_IJSA_SA_EEENS0_18inequality_wrapperIZN2at6native12_GLOBAL__N_124unique_dim_cuda_templateIiEESt5tupleIJNSH_6TensorESM_SM_EERKSM_lbbbEUlllE0_EEPmJS6_EEE10hipError_tPvRmT3_T4_T5_T6_T7_T9_mT8_P12ihipStream_tbDpT10_ENKUlT_T0_E_clISt17integral_constantIbLb1EES1C_EEDaS17_S18_EUlS17_E_NS1_11comp_targetILNS1_3genE4ELNS1_11target_archE910ELNS1_3gpuE8ELNS1_3repE0EEENS1_30default_config_static_selectorELNS0_4arch9wavefront6targetE0EEEvT1_
; %bb.0:
	.section	.rodata,"a",@progbits
	.p2align	6, 0x0
	.amdhsa_kernel _ZN7rocprim17ROCPRIM_400000_NS6detail17trampoline_kernelINS0_14default_configENS1_25partition_config_selectorILNS1_17partition_subalgoE8ElNS0_10empty_typeEbEEZZNS1_14partition_implILS5_8ELb0ES3_jPlPS6_PKS6_NS0_5tupleIJS9_S6_EEENSD_IJSA_SA_EEENS0_18inequality_wrapperIZN2at6native12_GLOBAL__N_124unique_dim_cuda_templateIiEESt5tupleIJNSH_6TensorESM_SM_EERKSM_lbbbEUlllE0_EEPmJS6_EEE10hipError_tPvRmT3_T4_T5_T6_T7_T9_mT8_P12ihipStream_tbDpT10_ENKUlT_T0_E_clISt17integral_constantIbLb1EES1C_EEDaS17_S18_EUlS17_E_NS1_11comp_targetILNS1_3genE4ELNS1_11target_archE910ELNS1_3gpuE8ELNS1_3repE0EEENS1_30default_config_static_selectorELNS0_4arch9wavefront6targetE0EEEvT1_
		.amdhsa_group_segment_fixed_size 0
		.amdhsa_private_segment_fixed_size 0
		.amdhsa_kernarg_size 136
		.amdhsa_user_sgpr_count 2
		.amdhsa_user_sgpr_dispatch_ptr 0
		.amdhsa_user_sgpr_queue_ptr 0
		.amdhsa_user_sgpr_kernarg_segment_ptr 1
		.amdhsa_user_sgpr_dispatch_id 0
		.amdhsa_user_sgpr_kernarg_preload_length 0
		.amdhsa_user_sgpr_kernarg_preload_offset 0
		.amdhsa_user_sgpr_private_segment_size 0
		.amdhsa_wavefront_size32 1
		.amdhsa_uses_dynamic_stack 0
		.amdhsa_enable_private_segment 0
		.amdhsa_system_sgpr_workgroup_id_x 1
		.amdhsa_system_sgpr_workgroup_id_y 0
		.amdhsa_system_sgpr_workgroup_id_z 0
		.amdhsa_system_sgpr_workgroup_info 0
		.amdhsa_system_vgpr_workitem_id 0
		.amdhsa_next_free_vgpr 1
		.amdhsa_next_free_sgpr 1
		.amdhsa_named_barrier_count 0
		.amdhsa_reserve_vcc 0
		.amdhsa_float_round_mode_32 0
		.amdhsa_float_round_mode_16_64 0
		.amdhsa_float_denorm_mode_32 3
		.amdhsa_float_denorm_mode_16_64 3
		.amdhsa_fp16_overflow 0
		.amdhsa_memory_ordered 1
		.amdhsa_forward_progress 1
		.amdhsa_inst_pref_size 0
		.amdhsa_round_robin_scheduling 0
		.amdhsa_exception_fp_ieee_invalid_op 0
		.amdhsa_exception_fp_denorm_src 0
		.amdhsa_exception_fp_ieee_div_zero 0
		.amdhsa_exception_fp_ieee_overflow 0
		.amdhsa_exception_fp_ieee_underflow 0
		.amdhsa_exception_fp_ieee_inexact 0
		.amdhsa_exception_int_div_zero 0
	.end_amdhsa_kernel
	.section	.text._ZN7rocprim17ROCPRIM_400000_NS6detail17trampoline_kernelINS0_14default_configENS1_25partition_config_selectorILNS1_17partition_subalgoE8ElNS0_10empty_typeEbEEZZNS1_14partition_implILS5_8ELb0ES3_jPlPS6_PKS6_NS0_5tupleIJS9_S6_EEENSD_IJSA_SA_EEENS0_18inequality_wrapperIZN2at6native12_GLOBAL__N_124unique_dim_cuda_templateIiEESt5tupleIJNSH_6TensorESM_SM_EERKSM_lbbbEUlllE0_EEPmJS6_EEE10hipError_tPvRmT3_T4_T5_T6_T7_T9_mT8_P12ihipStream_tbDpT10_ENKUlT_T0_E_clISt17integral_constantIbLb1EES1C_EEDaS17_S18_EUlS17_E_NS1_11comp_targetILNS1_3genE4ELNS1_11target_archE910ELNS1_3gpuE8ELNS1_3repE0EEENS1_30default_config_static_selectorELNS0_4arch9wavefront6targetE0EEEvT1_,"axG",@progbits,_ZN7rocprim17ROCPRIM_400000_NS6detail17trampoline_kernelINS0_14default_configENS1_25partition_config_selectorILNS1_17partition_subalgoE8ElNS0_10empty_typeEbEEZZNS1_14partition_implILS5_8ELb0ES3_jPlPS6_PKS6_NS0_5tupleIJS9_S6_EEENSD_IJSA_SA_EEENS0_18inequality_wrapperIZN2at6native12_GLOBAL__N_124unique_dim_cuda_templateIiEESt5tupleIJNSH_6TensorESM_SM_EERKSM_lbbbEUlllE0_EEPmJS6_EEE10hipError_tPvRmT3_T4_T5_T6_T7_T9_mT8_P12ihipStream_tbDpT10_ENKUlT_T0_E_clISt17integral_constantIbLb1EES1C_EEDaS17_S18_EUlS17_E_NS1_11comp_targetILNS1_3genE4ELNS1_11target_archE910ELNS1_3gpuE8ELNS1_3repE0EEENS1_30default_config_static_selectorELNS0_4arch9wavefront6targetE0EEEvT1_,comdat
.Lfunc_end451:
	.size	_ZN7rocprim17ROCPRIM_400000_NS6detail17trampoline_kernelINS0_14default_configENS1_25partition_config_selectorILNS1_17partition_subalgoE8ElNS0_10empty_typeEbEEZZNS1_14partition_implILS5_8ELb0ES3_jPlPS6_PKS6_NS0_5tupleIJS9_S6_EEENSD_IJSA_SA_EEENS0_18inequality_wrapperIZN2at6native12_GLOBAL__N_124unique_dim_cuda_templateIiEESt5tupleIJNSH_6TensorESM_SM_EERKSM_lbbbEUlllE0_EEPmJS6_EEE10hipError_tPvRmT3_T4_T5_T6_T7_T9_mT8_P12ihipStream_tbDpT10_ENKUlT_T0_E_clISt17integral_constantIbLb1EES1C_EEDaS17_S18_EUlS17_E_NS1_11comp_targetILNS1_3genE4ELNS1_11target_archE910ELNS1_3gpuE8ELNS1_3repE0EEENS1_30default_config_static_selectorELNS0_4arch9wavefront6targetE0EEEvT1_, .Lfunc_end451-_ZN7rocprim17ROCPRIM_400000_NS6detail17trampoline_kernelINS0_14default_configENS1_25partition_config_selectorILNS1_17partition_subalgoE8ElNS0_10empty_typeEbEEZZNS1_14partition_implILS5_8ELb0ES3_jPlPS6_PKS6_NS0_5tupleIJS9_S6_EEENSD_IJSA_SA_EEENS0_18inequality_wrapperIZN2at6native12_GLOBAL__N_124unique_dim_cuda_templateIiEESt5tupleIJNSH_6TensorESM_SM_EERKSM_lbbbEUlllE0_EEPmJS6_EEE10hipError_tPvRmT3_T4_T5_T6_T7_T9_mT8_P12ihipStream_tbDpT10_ENKUlT_T0_E_clISt17integral_constantIbLb1EES1C_EEDaS17_S18_EUlS17_E_NS1_11comp_targetILNS1_3genE4ELNS1_11target_archE910ELNS1_3gpuE8ELNS1_3repE0EEENS1_30default_config_static_selectorELNS0_4arch9wavefront6targetE0EEEvT1_
                                        ; -- End function
	.set _ZN7rocprim17ROCPRIM_400000_NS6detail17trampoline_kernelINS0_14default_configENS1_25partition_config_selectorILNS1_17partition_subalgoE8ElNS0_10empty_typeEbEEZZNS1_14partition_implILS5_8ELb0ES3_jPlPS6_PKS6_NS0_5tupleIJS9_S6_EEENSD_IJSA_SA_EEENS0_18inequality_wrapperIZN2at6native12_GLOBAL__N_124unique_dim_cuda_templateIiEESt5tupleIJNSH_6TensorESM_SM_EERKSM_lbbbEUlllE0_EEPmJS6_EEE10hipError_tPvRmT3_T4_T5_T6_T7_T9_mT8_P12ihipStream_tbDpT10_ENKUlT_T0_E_clISt17integral_constantIbLb1EES1C_EEDaS17_S18_EUlS17_E_NS1_11comp_targetILNS1_3genE4ELNS1_11target_archE910ELNS1_3gpuE8ELNS1_3repE0EEENS1_30default_config_static_selectorELNS0_4arch9wavefront6targetE0EEEvT1_.num_vgpr, 0
	.set _ZN7rocprim17ROCPRIM_400000_NS6detail17trampoline_kernelINS0_14default_configENS1_25partition_config_selectorILNS1_17partition_subalgoE8ElNS0_10empty_typeEbEEZZNS1_14partition_implILS5_8ELb0ES3_jPlPS6_PKS6_NS0_5tupleIJS9_S6_EEENSD_IJSA_SA_EEENS0_18inequality_wrapperIZN2at6native12_GLOBAL__N_124unique_dim_cuda_templateIiEESt5tupleIJNSH_6TensorESM_SM_EERKSM_lbbbEUlllE0_EEPmJS6_EEE10hipError_tPvRmT3_T4_T5_T6_T7_T9_mT8_P12ihipStream_tbDpT10_ENKUlT_T0_E_clISt17integral_constantIbLb1EES1C_EEDaS17_S18_EUlS17_E_NS1_11comp_targetILNS1_3genE4ELNS1_11target_archE910ELNS1_3gpuE8ELNS1_3repE0EEENS1_30default_config_static_selectorELNS0_4arch9wavefront6targetE0EEEvT1_.num_agpr, 0
	.set _ZN7rocprim17ROCPRIM_400000_NS6detail17trampoline_kernelINS0_14default_configENS1_25partition_config_selectorILNS1_17partition_subalgoE8ElNS0_10empty_typeEbEEZZNS1_14partition_implILS5_8ELb0ES3_jPlPS6_PKS6_NS0_5tupleIJS9_S6_EEENSD_IJSA_SA_EEENS0_18inequality_wrapperIZN2at6native12_GLOBAL__N_124unique_dim_cuda_templateIiEESt5tupleIJNSH_6TensorESM_SM_EERKSM_lbbbEUlllE0_EEPmJS6_EEE10hipError_tPvRmT3_T4_T5_T6_T7_T9_mT8_P12ihipStream_tbDpT10_ENKUlT_T0_E_clISt17integral_constantIbLb1EES1C_EEDaS17_S18_EUlS17_E_NS1_11comp_targetILNS1_3genE4ELNS1_11target_archE910ELNS1_3gpuE8ELNS1_3repE0EEENS1_30default_config_static_selectorELNS0_4arch9wavefront6targetE0EEEvT1_.numbered_sgpr, 0
	.set _ZN7rocprim17ROCPRIM_400000_NS6detail17trampoline_kernelINS0_14default_configENS1_25partition_config_selectorILNS1_17partition_subalgoE8ElNS0_10empty_typeEbEEZZNS1_14partition_implILS5_8ELb0ES3_jPlPS6_PKS6_NS0_5tupleIJS9_S6_EEENSD_IJSA_SA_EEENS0_18inequality_wrapperIZN2at6native12_GLOBAL__N_124unique_dim_cuda_templateIiEESt5tupleIJNSH_6TensorESM_SM_EERKSM_lbbbEUlllE0_EEPmJS6_EEE10hipError_tPvRmT3_T4_T5_T6_T7_T9_mT8_P12ihipStream_tbDpT10_ENKUlT_T0_E_clISt17integral_constantIbLb1EES1C_EEDaS17_S18_EUlS17_E_NS1_11comp_targetILNS1_3genE4ELNS1_11target_archE910ELNS1_3gpuE8ELNS1_3repE0EEENS1_30default_config_static_selectorELNS0_4arch9wavefront6targetE0EEEvT1_.num_named_barrier, 0
	.set _ZN7rocprim17ROCPRIM_400000_NS6detail17trampoline_kernelINS0_14default_configENS1_25partition_config_selectorILNS1_17partition_subalgoE8ElNS0_10empty_typeEbEEZZNS1_14partition_implILS5_8ELb0ES3_jPlPS6_PKS6_NS0_5tupleIJS9_S6_EEENSD_IJSA_SA_EEENS0_18inequality_wrapperIZN2at6native12_GLOBAL__N_124unique_dim_cuda_templateIiEESt5tupleIJNSH_6TensorESM_SM_EERKSM_lbbbEUlllE0_EEPmJS6_EEE10hipError_tPvRmT3_T4_T5_T6_T7_T9_mT8_P12ihipStream_tbDpT10_ENKUlT_T0_E_clISt17integral_constantIbLb1EES1C_EEDaS17_S18_EUlS17_E_NS1_11comp_targetILNS1_3genE4ELNS1_11target_archE910ELNS1_3gpuE8ELNS1_3repE0EEENS1_30default_config_static_selectorELNS0_4arch9wavefront6targetE0EEEvT1_.private_seg_size, 0
	.set _ZN7rocprim17ROCPRIM_400000_NS6detail17trampoline_kernelINS0_14default_configENS1_25partition_config_selectorILNS1_17partition_subalgoE8ElNS0_10empty_typeEbEEZZNS1_14partition_implILS5_8ELb0ES3_jPlPS6_PKS6_NS0_5tupleIJS9_S6_EEENSD_IJSA_SA_EEENS0_18inequality_wrapperIZN2at6native12_GLOBAL__N_124unique_dim_cuda_templateIiEESt5tupleIJNSH_6TensorESM_SM_EERKSM_lbbbEUlllE0_EEPmJS6_EEE10hipError_tPvRmT3_T4_T5_T6_T7_T9_mT8_P12ihipStream_tbDpT10_ENKUlT_T0_E_clISt17integral_constantIbLb1EES1C_EEDaS17_S18_EUlS17_E_NS1_11comp_targetILNS1_3genE4ELNS1_11target_archE910ELNS1_3gpuE8ELNS1_3repE0EEENS1_30default_config_static_selectorELNS0_4arch9wavefront6targetE0EEEvT1_.uses_vcc, 0
	.set _ZN7rocprim17ROCPRIM_400000_NS6detail17trampoline_kernelINS0_14default_configENS1_25partition_config_selectorILNS1_17partition_subalgoE8ElNS0_10empty_typeEbEEZZNS1_14partition_implILS5_8ELb0ES3_jPlPS6_PKS6_NS0_5tupleIJS9_S6_EEENSD_IJSA_SA_EEENS0_18inequality_wrapperIZN2at6native12_GLOBAL__N_124unique_dim_cuda_templateIiEESt5tupleIJNSH_6TensorESM_SM_EERKSM_lbbbEUlllE0_EEPmJS6_EEE10hipError_tPvRmT3_T4_T5_T6_T7_T9_mT8_P12ihipStream_tbDpT10_ENKUlT_T0_E_clISt17integral_constantIbLb1EES1C_EEDaS17_S18_EUlS17_E_NS1_11comp_targetILNS1_3genE4ELNS1_11target_archE910ELNS1_3gpuE8ELNS1_3repE0EEENS1_30default_config_static_selectorELNS0_4arch9wavefront6targetE0EEEvT1_.uses_flat_scratch, 0
	.set _ZN7rocprim17ROCPRIM_400000_NS6detail17trampoline_kernelINS0_14default_configENS1_25partition_config_selectorILNS1_17partition_subalgoE8ElNS0_10empty_typeEbEEZZNS1_14partition_implILS5_8ELb0ES3_jPlPS6_PKS6_NS0_5tupleIJS9_S6_EEENSD_IJSA_SA_EEENS0_18inequality_wrapperIZN2at6native12_GLOBAL__N_124unique_dim_cuda_templateIiEESt5tupleIJNSH_6TensorESM_SM_EERKSM_lbbbEUlllE0_EEPmJS6_EEE10hipError_tPvRmT3_T4_T5_T6_T7_T9_mT8_P12ihipStream_tbDpT10_ENKUlT_T0_E_clISt17integral_constantIbLb1EES1C_EEDaS17_S18_EUlS17_E_NS1_11comp_targetILNS1_3genE4ELNS1_11target_archE910ELNS1_3gpuE8ELNS1_3repE0EEENS1_30default_config_static_selectorELNS0_4arch9wavefront6targetE0EEEvT1_.has_dyn_sized_stack, 0
	.set _ZN7rocprim17ROCPRIM_400000_NS6detail17trampoline_kernelINS0_14default_configENS1_25partition_config_selectorILNS1_17partition_subalgoE8ElNS0_10empty_typeEbEEZZNS1_14partition_implILS5_8ELb0ES3_jPlPS6_PKS6_NS0_5tupleIJS9_S6_EEENSD_IJSA_SA_EEENS0_18inequality_wrapperIZN2at6native12_GLOBAL__N_124unique_dim_cuda_templateIiEESt5tupleIJNSH_6TensorESM_SM_EERKSM_lbbbEUlllE0_EEPmJS6_EEE10hipError_tPvRmT3_T4_T5_T6_T7_T9_mT8_P12ihipStream_tbDpT10_ENKUlT_T0_E_clISt17integral_constantIbLb1EES1C_EEDaS17_S18_EUlS17_E_NS1_11comp_targetILNS1_3genE4ELNS1_11target_archE910ELNS1_3gpuE8ELNS1_3repE0EEENS1_30default_config_static_selectorELNS0_4arch9wavefront6targetE0EEEvT1_.has_recursion, 0
	.set _ZN7rocprim17ROCPRIM_400000_NS6detail17trampoline_kernelINS0_14default_configENS1_25partition_config_selectorILNS1_17partition_subalgoE8ElNS0_10empty_typeEbEEZZNS1_14partition_implILS5_8ELb0ES3_jPlPS6_PKS6_NS0_5tupleIJS9_S6_EEENSD_IJSA_SA_EEENS0_18inequality_wrapperIZN2at6native12_GLOBAL__N_124unique_dim_cuda_templateIiEESt5tupleIJNSH_6TensorESM_SM_EERKSM_lbbbEUlllE0_EEPmJS6_EEE10hipError_tPvRmT3_T4_T5_T6_T7_T9_mT8_P12ihipStream_tbDpT10_ENKUlT_T0_E_clISt17integral_constantIbLb1EES1C_EEDaS17_S18_EUlS17_E_NS1_11comp_targetILNS1_3genE4ELNS1_11target_archE910ELNS1_3gpuE8ELNS1_3repE0EEENS1_30default_config_static_selectorELNS0_4arch9wavefront6targetE0EEEvT1_.has_indirect_call, 0
	.section	.AMDGPU.csdata,"",@progbits
; Kernel info:
; codeLenInByte = 0
; TotalNumSgprs: 0
; NumVgprs: 0
; ScratchSize: 0
; MemoryBound: 0
; FloatMode: 240
; IeeeMode: 1
; LDSByteSize: 0 bytes/workgroup (compile time only)
; SGPRBlocks: 0
; VGPRBlocks: 0
; NumSGPRsForWavesPerEU: 1
; NumVGPRsForWavesPerEU: 1
; NamedBarCnt: 0
; Occupancy: 16
; WaveLimiterHint : 0
; COMPUTE_PGM_RSRC2:SCRATCH_EN: 0
; COMPUTE_PGM_RSRC2:USER_SGPR: 2
; COMPUTE_PGM_RSRC2:TRAP_HANDLER: 0
; COMPUTE_PGM_RSRC2:TGID_X_EN: 1
; COMPUTE_PGM_RSRC2:TGID_Y_EN: 0
; COMPUTE_PGM_RSRC2:TGID_Z_EN: 0
; COMPUTE_PGM_RSRC2:TIDIG_COMP_CNT: 0
	.section	.text._ZN7rocprim17ROCPRIM_400000_NS6detail17trampoline_kernelINS0_14default_configENS1_25partition_config_selectorILNS1_17partition_subalgoE8ElNS0_10empty_typeEbEEZZNS1_14partition_implILS5_8ELb0ES3_jPlPS6_PKS6_NS0_5tupleIJS9_S6_EEENSD_IJSA_SA_EEENS0_18inequality_wrapperIZN2at6native12_GLOBAL__N_124unique_dim_cuda_templateIiEESt5tupleIJNSH_6TensorESM_SM_EERKSM_lbbbEUlllE0_EEPmJS6_EEE10hipError_tPvRmT3_T4_T5_T6_T7_T9_mT8_P12ihipStream_tbDpT10_ENKUlT_T0_E_clISt17integral_constantIbLb1EES1C_EEDaS17_S18_EUlS17_E_NS1_11comp_targetILNS1_3genE3ELNS1_11target_archE908ELNS1_3gpuE7ELNS1_3repE0EEENS1_30default_config_static_selectorELNS0_4arch9wavefront6targetE0EEEvT1_,"axG",@progbits,_ZN7rocprim17ROCPRIM_400000_NS6detail17trampoline_kernelINS0_14default_configENS1_25partition_config_selectorILNS1_17partition_subalgoE8ElNS0_10empty_typeEbEEZZNS1_14partition_implILS5_8ELb0ES3_jPlPS6_PKS6_NS0_5tupleIJS9_S6_EEENSD_IJSA_SA_EEENS0_18inequality_wrapperIZN2at6native12_GLOBAL__N_124unique_dim_cuda_templateIiEESt5tupleIJNSH_6TensorESM_SM_EERKSM_lbbbEUlllE0_EEPmJS6_EEE10hipError_tPvRmT3_T4_T5_T6_T7_T9_mT8_P12ihipStream_tbDpT10_ENKUlT_T0_E_clISt17integral_constantIbLb1EES1C_EEDaS17_S18_EUlS17_E_NS1_11comp_targetILNS1_3genE3ELNS1_11target_archE908ELNS1_3gpuE7ELNS1_3repE0EEENS1_30default_config_static_selectorELNS0_4arch9wavefront6targetE0EEEvT1_,comdat
	.globl	_ZN7rocprim17ROCPRIM_400000_NS6detail17trampoline_kernelINS0_14default_configENS1_25partition_config_selectorILNS1_17partition_subalgoE8ElNS0_10empty_typeEbEEZZNS1_14partition_implILS5_8ELb0ES3_jPlPS6_PKS6_NS0_5tupleIJS9_S6_EEENSD_IJSA_SA_EEENS0_18inequality_wrapperIZN2at6native12_GLOBAL__N_124unique_dim_cuda_templateIiEESt5tupleIJNSH_6TensorESM_SM_EERKSM_lbbbEUlllE0_EEPmJS6_EEE10hipError_tPvRmT3_T4_T5_T6_T7_T9_mT8_P12ihipStream_tbDpT10_ENKUlT_T0_E_clISt17integral_constantIbLb1EES1C_EEDaS17_S18_EUlS17_E_NS1_11comp_targetILNS1_3genE3ELNS1_11target_archE908ELNS1_3gpuE7ELNS1_3repE0EEENS1_30default_config_static_selectorELNS0_4arch9wavefront6targetE0EEEvT1_ ; -- Begin function _ZN7rocprim17ROCPRIM_400000_NS6detail17trampoline_kernelINS0_14default_configENS1_25partition_config_selectorILNS1_17partition_subalgoE8ElNS0_10empty_typeEbEEZZNS1_14partition_implILS5_8ELb0ES3_jPlPS6_PKS6_NS0_5tupleIJS9_S6_EEENSD_IJSA_SA_EEENS0_18inequality_wrapperIZN2at6native12_GLOBAL__N_124unique_dim_cuda_templateIiEESt5tupleIJNSH_6TensorESM_SM_EERKSM_lbbbEUlllE0_EEPmJS6_EEE10hipError_tPvRmT3_T4_T5_T6_T7_T9_mT8_P12ihipStream_tbDpT10_ENKUlT_T0_E_clISt17integral_constantIbLb1EES1C_EEDaS17_S18_EUlS17_E_NS1_11comp_targetILNS1_3genE3ELNS1_11target_archE908ELNS1_3gpuE7ELNS1_3repE0EEENS1_30default_config_static_selectorELNS0_4arch9wavefront6targetE0EEEvT1_
	.p2align	8
	.type	_ZN7rocprim17ROCPRIM_400000_NS6detail17trampoline_kernelINS0_14default_configENS1_25partition_config_selectorILNS1_17partition_subalgoE8ElNS0_10empty_typeEbEEZZNS1_14partition_implILS5_8ELb0ES3_jPlPS6_PKS6_NS0_5tupleIJS9_S6_EEENSD_IJSA_SA_EEENS0_18inequality_wrapperIZN2at6native12_GLOBAL__N_124unique_dim_cuda_templateIiEESt5tupleIJNSH_6TensorESM_SM_EERKSM_lbbbEUlllE0_EEPmJS6_EEE10hipError_tPvRmT3_T4_T5_T6_T7_T9_mT8_P12ihipStream_tbDpT10_ENKUlT_T0_E_clISt17integral_constantIbLb1EES1C_EEDaS17_S18_EUlS17_E_NS1_11comp_targetILNS1_3genE3ELNS1_11target_archE908ELNS1_3gpuE7ELNS1_3repE0EEENS1_30default_config_static_selectorELNS0_4arch9wavefront6targetE0EEEvT1_,@function
_ZN7rocprim17ROCPRIM_400000_NS6detail17trampoline_kernelINS0_14default_configENS1_25partition_config_selectorILNS1_17partition_subalgoE8ElNS0_10empty_typeEbEEZZNS1_14partition_implILS5_8ELb0ES3_jPlPS6_PKS6_NS0_5tupleIJS9_S6_EEENSD_IJSA_SA_EEENS0_18inequality_wrapperIZN2at6native12_GLOBAL__N_124unique_dim_cuda_templateIiEESt5tupleIJNSH_6TensorESM_SM_EERKSM_lbbbEUlllE0_EEPmJS6_EEE10hipError_tPvRmT3_T4_T5_T6_T7_T9_mT8_P12ihipStream_tbDpT10_ENKUlT_T0_E_clISt17integral_constantIbLb1EES1C_EEDaS17_S18_EUlS17_E_NS1_11comp_targetILNS1_3genE3ELNS1_11target_archE908ELNS1_3gpuE7ELNS1_3repE0EEENS1_30default_config_static_selectorELNS0_4arch9wavefront6targetE0EEEvT1_: ; @_ZN7rocprim17ROCPRIM_400000_NS6detail17trampoline_kernelINS0_14default_configENS1_25partition_config_selectorILNS1_17partition_subalgoE8ElNS0_10empty_typeEbEEZZNS1_14partition_implILS5_8ELb0ES3_jPlPS6_PKS6_NS0_5tupleIJS9_S6_EEENSD_IJSA_SA_EEENS0_18inequality_wrapperIZN2at6native12_GLOBAL__N_124unique_dim_cuda_templateIiEESt5tupleIJNSH_6TensorESM_SM_EERKSM_lbbbEUlllE0_EEPmJS6_EEE10hipError_tPvRmT3_T4_T5_T6_T7_T9_mT8_P12ihipStream_tbDpT10_ENKUlT_T0_E_clISt17integral_constantIbLb1EES1C_EEDaS17_S18_EUlS17_E_NS1_11comp_targetILNS1_3genE3ELNS1_11target_archE908ELNS1_3gpuE7ELNS1_3repE0EEENS1_30default_config_static_selectorELNS0_4arch9wavefront6targetE0EEEvT1_
; %bb.0:
	.section	.rodata,"a",@progbits
	.p2align	6, 0x0
	.amdhsa_kernel _ZN7rocprim17ROCPRIM_400000_NS6detail17trampoline_kernelINS0_14default_configENS1_25partition_config_selectorILNS1_17partition_subalgoE8ElNS0_10empty_typeEbEEZZNS1_14partition_implILS5_8ELb0ES3_jPlPS6_PKS6_NS0_5tupleIJS9_S6_EEENSD_IJSA_SA_EEENS0_18inequality_wrapperIZN2at6native12_GLOBAL__N_124unique_dim_cuda_templateIiEESt5tupleIJNSH_6TensorESM_SM_EERKSM_lbbbEUlllE0_EEPmJS6_EEE10hipError_tPvRmT3_T4_T5_T6_T7_T9_mT8_P12ihipStream_tbDpT10_ENKUlT_T0_E_clISt17integral_constantIbLb1EES1C_EEDaS17_S18_EUlS17_E_NS1_11comp_targetILNS1_3genE3ELNS1_11target_archE908ELNS1_3gpuE7ELNS1_3repE0EEENS1_30default_config_static_selectorELNS0_4arch9wavefront6targetE0EEEvT1_
		.amdhsa_group_segment_fixed_size 0
		.amdhsa_private_segment_fixed_size 0
		.amdhsa_kernarg_size 136
		.amdhsa_user_sgpr_count 2
		.amdhsa_user_sgpr_dispatch_ptr 0
		.amdhsa_user_sgpr_queue_ptr 0
		.amdhsa_user_sgpr_kernarg_segment_ptr 1
		.amdhsa_user_sgpr_dispatch_id 0
		.amdhsa_user_sgpr_kernarg_preload_length 0
		.amdhsa_user_sgpr_kernarg_preload_offset 0
		.amdhsa_user_sgpr_private_segment_size 0
		.amdhsa_wavefront_size32 1
		.amdhsa_uses_dynamic_stack 0
		.amdhsa_enable_private_segment 0
		.amdhsa_system_sgpr_workgroup_id_x 1
		.amdhsa_system_sgpr_workgroup_id_y 0
		.amdhsa_system_sgpr_workgroup_id_z 0
		.amdhsa_system_sgpr_workgroup_info 0
		.amdhsa_system_vgpr_workitem_id 0
		.amdhsa_next_free_vgpr 1
		.amdhsa_next_free_sgpr 1
		.amdhsa_named_barrier_count 0
		.amdhsa_reserve_vcc 0
		.amdhsa_float_round_mode_32 0
		.amdhsa_float_round_mode_16_64 0
		.amdhsa_float_denorm_mode_32 3
		.amdhsa_float_denorm_mode_16_64 3
		.amdhsa_fp16_overflow 0
		.amdhsa_memory_ordered 1
		.amdhsa_forward_progress 1
		.amdhsa_inst_pref_size 0
		.amdhsa_round_robin_scheduling 0
		.amdhsa_exception_fp_ieee_invalid_op 0
		.amdhsa_exception_fp_denorm_src 0
		.amdhsa_exception_fp_ieee_div_zero 0
		.amdhsa_exception_fp_ieee_overflow 0
		.amdhsa_exception_fp_ieee_underflow 0
		.amdhsa_exception_fp_ieee_inexact 0
		.amdhsa_exception_int_div_zero 0
	.end_amdhsa_kernel
	.section	.text._ZN7rocprim17ROCPRIM_400000_NS6detail17trampoline_kernelINS0_14default_configENS1_25partition_config_selectorILNS1_17partition_subalgoE8ElNS0_10empty_typeEbEEZZNS1_14partition_implILS5_8ELb0ES3_jPlPS6_PKS6_NS0_5tupleIJS9_S6_EEENSD_IJSA_SA_EEENS0_18inequality_wrapperIZN2at6native12_GLOBAL__N_124unique_dim_cuda_templateIiEESt5tupleIJNSH_6TensorESM_SM_EERKSM_lbbbEUlllE0_EEPmJS6_EEE10hipError_tPvRmT3_T4_T5_T6_T7_T9_mT8_P12ihipStream_tbDpT10_ENKUlT_T0_E_clISt17integral_constantIbLb1EES1C_EEDaS17_S18_EUlS17_E_NS1_11comp_targetILNS1_3genE3ELNS1_11target_archE908ELNS1_3gpuE7ELNS1_3repE0EEENS1_30default_config_static_selectorELNS0_4arch9wavefront6targetE0EEEvT1_,"axG",@progbits,_ZN7rocprim17ROCPRIM_400000_NS6detail17trampoline_kernelINS0_14default_configENS1_25partition_config_selectorILNS1_17partition_subalgoE8ElNS0_10empty_typeEbEEZZNS1_14partition_implILS5_8ELb0ES3_jPlPS6_PKS6_NS0_5tupleIJS9_S6_EEENSD_IJSA_SA_EEENS0_18inequality_wrapperIZN2at6native12_GLOBAL__N_124unique_dim_cuda_templateIiEESt5tupleIJNSH_6TensorESM_SM_EERKSM_lbbbEUlllE0_EEPmJS6_EEE10hipError_tPvRmT3_T4_T5_T6_T7_T9_mT8_P12ihipStream_tbDpT10_ENKUlT_T0_E_clISt17integral_constantIbLb1EES1C_EEDaS17_S18_EUlS17_E_NS1_11comp_targetILNS1_3genE3ELNS1_11target_archE908ELNS1_3gpuE7ELNS1_3repE0EEENS1_30default_config_static_selectorELNS0_4arch9wavefront6targetE0EEEvT1_,comdat
.Lfunc_end452:
	.size	_ZN7rocprim17ROCPRIM_400000_NS6detail17trampoline_kernelINS0_14default_configENS1_25partition_config_selectorILNS1_17partition_subalgoE8ElNS0_10empty_typeEbEEZZNS1_14partition_implILS5_8ELb0ES3_jPlPS6_PKS6_NS0_5tupleIJS9_S6_EEENSD_IJSA_SA_EEENS0_18inequality_wrapperIZN2at6native12_GLOBAL__N_124unique_dim_cuda_templateIiEESt5tupleIJNSH_6TensorESM_SM_EERKSM_lbbbEUlllE0_EEPmJS6_EEE10hipError_tPvRmT3_T4_T5_T6_T7_T9_mT8_P12ihipStream_tbDpT10_ENKUlT_T0_E_clISt17integral_constantIbLb1EES1C_EEDaS17_S18_EUlS17_E_NS1_11comp_targetILNS1_3genE3ELNS1_11target_archE908ELNS1_3gpuE7ELNS1_3repE0EEENS1_30default_config_static_selectorELNS0_4arch9wavefront6targetE0EEEvT1_, .Lfunc_end452-_ZN7rocprim17ROCPRIM_400000_NS6detail17trampoline_kernelINS0_14default_configENS1_25partition_config_selectorILNS1_17partition_subalgoE8ElNS0_10empty_typeEbEEZZNS1_14partition_implILS5_8ELb0ES3_jPlPS6_PKS6_NS0_5tupleIJS9_S6_EEENSD_IJSA_SA_EEENS0_18inequality_wrapperIZN2at6native12_GLOBAL__N_124unique_dim_cuda_templateIiEESt5tupleIJNSH_6TensorESM_SM_EERKSM_lbbbEUlllE0_EEPmJS6_EEE10hipError_tPvRmT3_T4_T5_T6_T7_T9_mT8_P12ihipStream_tbDpT10_ENKUlT_T0_E_clISt17integral_constantIbLb1EES1C_EEDaS17_S18_EUlS17_E_NS1_11comp_targetILNS1_3genE3ELNS1_11target_archE908ELNS1_3gpuE7ELNS1_3repE0EEENS1_30default_config_static_selectorELNS0_4arch9wavefront6targetE0EEEvT1_
                                        ; -- End function
	.set _ZN7rocprim17ROCPRIM_400000_NS6detail17trampoline_kernelINS0_14default_configENS1_25partition_config_selectorILNS1_17partition_subalgoE8ElNS0_10empty_typeEbEEZZNS1_14partition_implILS5_8ELb0ES3_jPlPS6_PKS6_NS0_5tupleIJS9_S6_EEENSD_IJSA_SA_EEENS0_18inequality_wrapperIZN2at6native12_GLOBAL__N_124unique_dim_cuda_templateIiEESt5tupleIJNSH_6TensorESM_SM_EERKSM_lbbbEUlllE0_EEPmJS6_EEE10hipError_tPvRmT3_T4_T5_T6_T7_T9_mT8_P12ihipStream_tbDpT10_ENKUlT_T0_E_clISt17integral_constantIbLb1EES1C_EEDaS17_S18_EUlS17_E_NS1_11comp_targetILNS1_3genE3ELNS1_11target_archE908ELNS1_3gpuE7ELNS1_3repE0EEENS1_30default_config_static_selectorELNS0_4arch9wavefront6targetE0EEEvT1_.num_vgpr, 0
	.set _ZN7rocprim17ROCPRIM_400000_NS6detail17trampoline_kernelINS0_14default_configENS1_25partition_config_selectorILNS1_17partition_subalgoE8ElNS0_10empty_typeEbEEZZNS1_14partition_implILS5_8ELb0ES3_jPlPS6_PKS6_NS0_5tupleIJS9_S6_EEENSD_IJSA_SA_EEENS0_18inequality_wrapperIZN2at6native12_GLOBAL__N_124unique_dim_cuda_templateIiEESt5tupleIJNSH_6TensorESM_SM_EERKSM_lbbbEUlllE0_EEPmJS6_EEE10hipError_tPvRmT3_T4_T5_T6_T7_T9_mT8_P12ihipStream_tbDpT10_ENKUlT_T0_E_clISt17integral_constantIbLb1EES1C_EEDaS17_S18_EUlS17_E_NS1_11comp_targetILNS1_3genE3ELNS1_11target_archE908ELNS1_3gpuE7ELNS1_3repE0EEENS1_30default_config_static_selectorELNS0_4arch9wavefront6targetE0EEEvT1_.num_agpr, 0
	.set _ZN7rocprim17ROCPRIM_400000_NS6detail17trampoline_kernelINS0_14default_configENS1_25partition_config_selectorILNS1_17partition_subalgoE8ElNS0_10empty_typeEbEEZZNS1_14partition_implILS5_8ELb0ES3_jPlPS6_PKS6_NS0_5tupleIJS9_S6_EEENSD_IJSA_SA_EEENS0_18inequality_wrapperIZN2at6native12_GLOBAL__N_124unique_dim_cuda_templateIiEESt5tupleIJNSH_6TensorESM_SM_EERKSM_lbbbEUlllE0_EEPmJS6_EEE10hipError_tPvRmT3_T4_T5_T6_T7_T9_mT8_P12ihipStream_tbDpT10_ENKUlT_T0_E_clISt17integral_constantIbLb1EES1C_EEDaS17_S18_EUlS17_E_NS1_11comp_targetILNS1_3genE3ELNS1_11target_archE908ELNS1_3gpuE7ELNS1_3repE0EEENS1_30default_config_static_selectorELNS0_4arch9wavefront6targetE0EEEvT1_.numbered_sgpr, 0
	.set _ZN7rocprim17ROCPRIM_400000_NS6detail17trampoline_kernelINS0_14default_configENS1_25partition_config_selectorILNS1_17partition_subalgoE8ElNS0_10empty_typeEbEEZZNS1_14partition_implILS5_8ELb0ES3_jPlPS6_PKS6_NS0_5tupleIJS9_S6_EEENSD_IJSA_SA_EEENS0_18inequality_wrapperIZN2at6native12_GLOBAL__N_124unique_dim_cuda_templateIiEESt5tupleIJNSH_6TensorESM_SM_EERKSM_lbbbEUlllE0_EEPmJS6_EEE10hipError_tPvRmT3_T4_T5_T6_T7_T9_mT8_P12ihipStream_tbDpT10_ENKUlT_T0_E_clISt17integral_constantIbLb1EES1C_EEDaS17_S18_EUlS17_E_NS1_11comp_targetILNS1_3genE3ELNS1_11target_archE908ELNS1_3gpuE7ELNS1_3repE0EEENS1_30default_config_static_selectorELNS0_4arch9wavefront6targetE0EEEvT1_.num_named_barrier, 0
	.set _ZN7rocprim17ROCPRIM_400000_NS6detail17trampoline_kernelINS0_14default_configENS1_25partition_config_selectorILNS1_17partition_subalgoE8ElNS0_10empty_typeEbEEZZNS1_14partition_implILS5_8ELb0ES3_jPlPS6_PKS6_NS0_5tupleIJS9_S6_EEENSD_IJSA_SA_EEENS0_18inequality_wrapperIZN2at6native12_GLOBAL__N_124unique_dim_cuda_templateIiEESt5tupleIJNSH_6TensorESM_SM_EERKSM_lbbbEUlllE0_EEPmJS6_EEE10hipError_tPvRmT3_T4_T5_T6_T7_T9_mT8_P12ihipStream_tbDpT10_ENKUlT_T0_E_clISt17integral_constantIbLb1EES1C_EEDaS17_S18_EUlS17_E_NS1_11comp_targetILNS1_3genE3ELNS1_11target_archE908ELNS1_3gpuE7ELNS1_3repE0EEENS1_30default_config_static_selectorELNS0_4arch9wavefront6targetE0EEEvT1_.private_seg_size, 0
	.set _ZN7rocprim17ROCPRIM_400000_NS6detail17trampoline_kernelINS0_14default_configENS1_25partition_config_selectorILNS1_17partition_subalgoE8ElNS0_10empty_typeEbEEZZNS1_14partition_implILS5_8ELb0ES3_jPlPS6_PKS6_NS0_5tupleIJS9_S6_EEENSD_IJSA_SA_EEENS0_18inequality_wrapperIZN2at6native12_GLOBAL__N_124unique_dim_cuda_templateIiEESt5tupleIJNSH_6TensorESM_SM_EERKSM_lbbbEUlllE0_EEPmJS6_EEE10hipError_tPvRmT3_T4_T5_T6_T7_T9_mT8_P12ihipStream_tbDpT10_ENKUlT_T0_E_clISt17integral_constantIbLb1EES1C_EEDaS17_S18_EUlS17_E_NS1_11comp_targetILNS1_3genE3ELNS1_11target_archE908ELNS1_3gpuE7ELNS1_3repE0EEENS1_30default_config_static_selectorELNS0_4arch9wavefront6targetE0EEEvT1_.uses_vcc, 0
	.set _ZN7rocprim17ROCPRIM_400000_NS6detail17trampoline_kernelINS0_14default_configENS1_25partition_config_selectorILNS1_17partition_subalgoE8ElNS0_10empty_typeEbEEZZNS1_14partition_implILS5_8ELb0ES3_jPlPS6_PKS6_NS0_5tupleIJS9_S6_EEENSD_IJSA_SA_EEENS0_18inequality_wrapperIZN2at6native12_GLOBAL__N_124unique_dim_cuda_templateIiEESt5tupleIJNSH_6TensorESM_SM_EERKSM_lbbbEUlllE0_EEPmJS6_EEE10hipError_tPvRmT3_T4_T5_T6_T7_T9_mT8_P12ihipStream_tbDpT10_ENKUlT_T0_E_clISt17integral_constantIbLb1EES1C_EEDaS17_S18_EUlS17_E_NS1_11comp_targetILNS1_3genE3ELNS1_11target_archE908ELNS1_3gpuE7ELNS1_3repE0EEENS1_30default_config_static_selectorELNS0_4arch9wavefront6targetE0EEEvT1_.uses_flat_scratch, 0
	.set _ZN7rocprim17ROCPRIM_400000_NS6detail17trampoline_kernelINS0_14default_configENS1_25partition_config_selectorILNS1_17partition_subalgoE8ElNS0_10empty_typeEbEEZZNS1_14partition_implILS5_8ELb0ES3_jPlPS6_PKS6_NS0_5tupleIJS9_S6_EEENSD_IJSA_SA_EEENS0_18inequality_wrapperIZN2at6native12_GLOBAL__N_124unique_dim_cuda_templateIiEESt5tupleIJNSH_6TensorESM_SM_EERKSM_lbbbEUlllE0_EEPmJS6_EEE10hipError_tPvRmT3_T4_T5_T6_T7_T9_mT8_P12ihipStream_tbDpT10_ENKUlT_T0_E_clISt17integral_constantIbLb1EES1C_EEDaS17_S18_EUlS17_E_NS1_11comp_targetILNS1_3genE3ELNS1_11target_archE908ELNS1_3gpuE7ELNS1_3repE0EEENS1_30default_config_static_selectorELNS0_4arch9wavefront6targetE0EEEvT1_.has_dyn_sized_stack, 0
	.set _ZN7rocprim17ROCPRIM_400000_NS6detail17trampoline_kernelINS0_14default_configENS1_25partition_config_selectorILNS1_17partition_subalgoE8ElNS0_10empty_typeEbEEZZNS1_14partition_implILS5_8ELb0ES3_jPlPS6_PKS6_NS0_5tupleIJS9_S6_EEENSD_IJSA_SA_EEENS0_18inequality_wrapperIZN2at6native12_GLOBAL__N_124unique_dim_cuda_templateIiEESt5tupleIJNSH_6TensorESM_SM_EERKSM_lbbbEUlllE0_EEPmJS6_EEE10hipError_tPvRmT3_T4_T5_T6_T7_T9_mT8_P12ihipStream_tbDpT10_ENKUlT_T0_E_clISt17integral_constantIbLb1EES1C_EEDaS17_S18_EUlS17_E_NS1_11comp_targetILNS1_3genE3ELNS1_11target_archE908ELNS1_3gpuE7ELNS1_3repE0EEENS1_30default_config_static_selectorELNS0_4arch9wavefront6targetE0EEEvT1_.has_recursion, 0
	.set _ZN7rocprim17ROCPRIM_400000_NS6detail17trampoline_kernelINS0_14default_configENS1_25partition_config_selectorILNS1_17partition_subalgoE8ElNS0_10empty_typeEbEEZZNS1_14partition_implILS5_8ELb0ES3_jPlPS6_PKS6_NS0_5tupleIJS9_S6_EEENSD_IJSA_SA_EEENS0_18inequality_wrapperIZN2at6native12_GLOBAL__N_124unique_dim_cuda_templateIiEESt5tupleIJNSH_6TensorESM_SM_EERKSM_lbbbEUlllE0_EEPmJS6_EEE10hipError_tPvRmT3_T4_T5_T6_T7_T9_mT8_P12ihipStream_tbDpT10_ENKUlT_T0_E_clISt17integral_constantIbLb1EES1C_EEDaS17_S18_EUlS17_E_NS1_11comp_targetILNS1_3genE3ELNS1_11target_archE908ELNS1_3gpuE7ELNS1_3repE0EEENS1_30default_config_static_selectorELNS0_4arch9wavefront6targetE0EEEvT1_.has_indirect_call, 0
	.section	.AMDGPU.csdata,"",@progbits
; Kernel info:
; codeLenInByte = 0
; TotalNumSgprs: 0
; NumVgprs: 0
; ScratchSize: 0
; MemoryBound: 0
; FloatMode: 240
; IeeeMode: 1
; LDSByteSize: 0 bytes/workgroup (compile time only)
; SGPRBlocks: 0
; VGPRBlocks: 0
; NumSGPRsForWavesPerEU: 1
; NumVGPRsForWavesPerEU: 1
; NamedBarCnt: 0
; Occupancy: 16
; WaveLimiterHint : 0
; COMPUTE_PGM_RSRC2:SCRATCH_EN: 0
; COMPUTE_PGM_RSRC2:USER_SGPR: 2
; COMPUTE_PGM_RSRC2:TRAP_HANDLER: 0
; COMPUTE_PGM_RSRC2:TGID_X_EN: 1
; COMPUTE_PGM_RSRC2:TGID_Y_EN: 0
; COMPUTE_PGM_RSRC2:TGID_Z_EN: 0
; COMPUTE_PGM_RSRC2:TIDIG_COMP_CNT: 0
	.section	.text._ZN7rocprim17ROCPRIM_400000_NS6detail17trampoline_kernelINS0_14default_configENS1_25partition_config_selectorILNS1_17partition_subalgoE8ElNS0_10empty_typeEbEEZZNS1_14partition_implILS5_8ELb0ES3_jPlPS6_PKS6_NS0_5tupleIJS9_S6_EEENSD_IJSA_SA_EEENS0_18inequality_wrapperIZN2at6native12_GLOBAL__N_124unique_dim_cuda_templateIiEESt5tupleIJNSH_6TensorESM_SM_EERKSM_lbbbEUlllE0_EEPmJS6_EEE10hipError_tPvRmT3_T4_T5_T6_T7_T9_mT8_P12ihipStream_tbDpT10_ENKUlT_T0_E_clISt17integral_constantIbLb1EES1C_EEDaS17_S18_EUlS17_E_NS1_11comp_targetILNS1_3genE2ELNS1_11target_archE906ELNS1_3gpuE6ELNS1_3repE0EEENS1_30default_config_static_selectorELNS0_4arch9wavefront6targetE0EEEvT1_,"axG",@progbits,_ZN7rocprim17ROCPRIM_400000_NS6detail17trampoline_kernelINS0_14default_configENS1_25partition_config_selectorILNS1_17partition_subalgoE8ElNS0_10empty_typeEbEEZZNS1_14partition_implILS5_8ELb0ES3_jPlPS6_PKS6_NS0_5tupleIJS9_S6_EEENSD_IJSA_SA_EEENS0_18inequality_wrapperIZN2at6native12_GLOBAL__N_124unique_dim_cuda_templateIiEESt5tupleIJNSH_6TensorESM_SM_EERKSM_lbbbEUlllE0_EEPmJS6_EEE10hipError_tPvRmT3_T4_T5_T6_T7_T9_mT8_P12ihipStream_tbDpT10_ENKUlT_T0_E_clISt17integral_constantIbLb1EES1C_EEDaS17_S18_EUlS17_E_NS1_11comp_targetILNS1_3genE2ELNS1_11target_archE906ELNS1_3gpuE6ELNS1_3repE0EEENS1_30default_config_static_selectorELNS0_4arch9wavefront6targetE0EEEvT1_,comdat
	.globl	_ZN7rocprim17ROCPRIM_400000_NS6detail17trampoline_kernelINS0_14default_configENS1_25partition_config_selectorILNS1_17partition_subalgoE8ElNS0_10empty_typeEbEEZZNS1_14partition_implILS5_8ELb0ES3_jPlPS6_PKS6_NS0_5tupleIJS9_S6_EEENSD_IJSA_SA_EEENS0_18inequality_wrapperIZN2at6native12_GLOBAL__N_124unique_dim_cuda_templateIiEESt5tupleIJNSH_6TensorESM_SM_EERKSM_lbbbEUlllE0_EEPmJS6_EEE10hipError_tPvRmT3_T4_T5_T6_T7_T9_mT8_P12ihipStream_tbDpT10_ENKUlT_T0_E_clISt17integral_constantIbLb1EES1C_EEDaS17_S18_EUlS17_E_NS1_11comp_targetILNS1_3genE2ELNS1_11target_archE906ELNS1_3gpuE6ELNS1_3repE0EEENS1_30default_config_static_selectorELNS0_4arch9wavefront6targetE0EEEvT1_ ; -- Begin function _ZN7rocprim17ROCPRIM_400000_NS6detail17trampoline_kernelINS0_14default_configENS1_25partition_config_selectorILNS1_17partition_subalgoE8ElNS0_10empty_typeEbEEZZNS1_14partition_implILS5_8ELb0ES3_jPlPS6_PKS6_NS0_5tupleIJS9_S6_EEENSD_IJSA_SA_EEENS0_18inequality_wrapperIZN2at6native12_GLOBAL__N_124unique_dim_cuda_templateIiEESt5tupleIJNSH_6TensorESM_SM_EERKSM_lbbbEUlllE0_EEPmJS6_EEE10hipError_tPvRmT3_T4_T5_T6_T7_T9_mT8_P12ihipStream_tbDpT10_ENKUlT_T0_E_clISt17integral_constantIbLb1EES1C_EEDaS17_S18_EUlS17_E_NS1_11comp_targetILNS1_3genE2ELNS1_11target_archE906ELNS1_3gpuE6ELNS1_3repE0EEENS1_30default_config_static_selectorELNS0_4arch9wavefront6targetE0EEEvT1_
	.p2align	8
	.type	_ZN7rocprim17ROCPRIM_400000_NS6detail17trampoline_kernelINS0_14default_configENS1_25partition_config_selectorILNS1_17partition_subalgoE8ElNS0_10empty_typeEbEEZZNS1_14partition_implILS5_8ELb0ES3_jPlPS6_PKS6_NS0_5tupleIJS9_S6_EEENSD_IJSA_SA_EEENS0_18inequality_wrapperIZN2at6native12_GLOBAL__N_124unique_dim_cuda_templateIiEESt5tupleIJNSH_6TensorESM_SM_EERKSM_lbbbEUlllE0_EEPmJS6_EEE10hipError_tPvRmT3_T4_T5_T6_T7_T9_mT8_P12ihipStream_tbDpT10_ENKUlT_T0_E_clISt17integral_constantIbLb1EES1C_EEDaS17_S18_EUlS17_E_NS1_11comp_targetILNS1_3genE2ELNS1_11target_archE906ELNS1_3gpuE6ELNS1_3repE0EEENS1_30default_config_static_selectorELNS0_4arch9wavefront6targetE0EEEvT1_,@function
_ZN7rocprim17ROCPRIM_400000_NS6detail17trampoline_kernelINS0_14default_configENS1_25partition_config_selectorILNS1_17partition_subalgoE8ElNS0_10empty_typeEbEEZZNS1_14partition_implILS5_8ELb0ES3_jPlPS6_PKS6_NS0_5tupleIJS9_S6_EEENSD_IJSA_SA_EEENS0_18inequality_wrapperIZN2at6native12_GLOBAL__N_124unique_dim_cuda_templateIiEESt5tupleIJNSH_6TensorESM_SM_EERKSM_lbbbEUlllE0_EEPmJS6_EEE10hipError_tPvRmT3_T4_T5_T6_T7_T9_mT8_P12ihipStream_tbDpT10_ENKUlT_T0_E_clISt17integral_constantIbLb1EES1C_EEDaS17_S18_EUlS17_E_NS1_11comp_targetILNS1_3genE2ELNS1_11target_archE906ELNS1_3gpuE6ELNS1_3repE0EEENS1_30default_config_static_selectorELNS0_4arch9wavefront6targetE0EEEvT1_: ; @_ZN7rocprim17ROCPRIM_400000_NS6detail17trampoline_kernelINS0_14default_configENS1_25partition_config_selectorILNS1_17partition_subalgoE8ElNS0_10empty_typeEbEEZZNS1_14partition_implILS5_8ELb0ES3_jPlPS6_PKS6_NS0_5tupleIJS9_S6_EEENSD_IJSA_SA_EEENS0_18inequality_wrapperIZN2at6native12_GLOBAL__N_124unique_dim_cuda_templateIiEESt5tupleIJNSH_6TensorESM_SM_EERKSM_lbbbEUlllE0_EEPmJS6_EEE10hipError_tPvRmT3_T4_T5_T6_T7_T9_mT8_P12ihipStream_tbDpT10_ENKUlT_T0_E_clISt17integral_constantIbLb1EES1C_EEDaS17_S18_EUlS17_E_NS1_11comp_targetILNS1_3genE2ELNS1_11target_archE906ELNS1_3gpuE6ELNS1_3repE0EEENS1_30default_config_static_selectorELNS0_4arch9wavefront6targetE0EEEvT1_
; %bb.0:
	.section	.rodata,"a",@progbits
	.p2align	6, 0x0
	.amdhsa_kernel _ZN7rocprim17ROCPRIM_400000_NS6detail17trampoline_kernelINS0_14default_configENS1_25partition_config_selectorILNS1_17partition_subalgoE8ElNS0_10empty_typeEbEEZZNS1_14partition_implILS5_8ELb0ES3_jPlPS6_PKS6_NS0_5tupleIJS9_S6_EEENSD_IJSA_SA_EEENS0_18inequality_wrapperIZN2at6native12_GLOBAL__N_124unique_dim_cuda_templateIiEESt5tupleIJNSH_6TensorESM_SM_EERKSM_lbbbEUlllE0_EEPmJS6_EEE10hipError_tPvRmT3_T4_T5_T6_T7_T9_mT8_P12ihipStream_tbDpT10_ENKUlT_T0_E_clISt17integral_constantIbLb1EES1C_EEDaS17_S18_EUlS17_E_NS1_11comp_targetILNS1_3genE2ELNS1_11target_archE906ELNS1_3gpuE6ELNS1_3repE0EEENS1_30default_config_static_selectorELNS0_4arch9wavefront6targetE0EEEvT1_
		.amdhsa_group_segment_fixed_size 0
		.amdhsa_private_segment_fixed_size 0
		.amdhsa_kernarg_size 136
		.amdhsa_user_sgpr_count 2
		.amdhsa_user_sgpr_dispatch_ptr 0
		.amdhsa_user_sgpr_queue_ptr 0
		.amdhsa_user_sgpr_kernarg_segment_ptr 1
		.amdhsa_user_sgpr_dispatch_id 0
		.amdhsa_user_sgpr_kernarg_preload_length 0
		.amdhsa_user_sgpr_kernarg_preload_offset 0
		.amdhsa_user_sgpr_private_segment_size 0
		.amdhsa_wavefront_size32 1
		.amdhsa_uses_dynamic_stack 0
		.amdhsa_enable_private_segment 0
		.amdhsa_system_sgpr_workgroup_id_x 1
		.amdhsa_system_sgpr_workgroup_id_y 0
		.amdhsa_system_sgpr_workgroup_id_z 0
		.amdhsa_system_sgpr_workgroup_info 0
		.amdhsa_system_vgpr_workitem_id 0
		.amdhsa_next_free_vgpr 1
		.amdhsa_next_free_sgpr 1
		.amdhsa_named_barrier_count 0
		.amdhsa_reserve_vcc 0
		.amdhsa_float_round_mode_32 0
		.amdhsa_float_round_mode_16_64 0
		.amdhsa_float_denorm_mode_32 3
		.amdhsa_float_denorm_mode_16_64 3
		.amdhsa_fp16_overflow 0
		.amdhsa_memory_ordered 1
		.amdhsa_forward_progress 1
		.amdhsa_inst_pref_size 0
		.amdhsa_round_robin_scheduling 0
		.amdhsa_exception_fp_ieee_invalid_op 0
		.amdhsa_exception_fp_denorm_src 0
		.amdhsa_exception_fp_ieee_div_zero 0
		.amdhsa_exception_fp_ieee_overflow 0
		.amdhsa_exception_fp_ieee_underflow 0
		.amdhsa_exception_fp_ieee_inexact 0
		.amdhsa_exception_int_div_zero 0
	.end_amdhsa_kernel
	.section	.text._ZN7rocprim17ROCPRIM_400000_NS6detail17trampoline_kernelINS0_14default_configENS1_25partition_config_selectorILNS1_17partition_subalgoE8ElNS0_10empty_typeEbEEZZNS1_14partition_implILS5_8ELb0ES3_jPlPS6_PKS6_NS0_5tupleIJS9_S6_EEENSD_IJSA_SA_EEENS0_18inequality_wrapperIZN2at6native12_GLOBAL__N_124unique_dim_cuda_templateIiEESt5tupleIJNSH_6TensorESM_SM_EERKSM_lbbbEUlllE0_EEPmJS6_EEE10hipError_tPvRmT3_T4_T5_T6_T7_T9_mT8_P12ihipStream_tbDpT10_ENKUlT_T0_E_clISt17integral_constantIbLb1EES1C_EEDaS17_S18_EUlS17_E_NS1_11comp_targetILNS1_3genE2ELNS1_11target_archE906ELNS1_3gpuE6ELNS1_3repE0EEENS1_30default_config_static_selectorELNS0_4arch9wavefront6targetE0EEEvT1_,"axG",@progbits,_ZN7rocprim17ROCPRIM_400000_NS6detail17trampoline_kernelINS0_14default_configENS1_25partition_config_selectorILNS1_17partition_subalgoE8ElNS0_10empty_typeEbEEZZNS1_14partition_implILS5_8ELb0ES3_jPlPS6_PKS6_NS0_5tupleIJS9_S6_EEENSD_IJSA_SA_EEENS0_18inequality_wrapperIZN2at6native12_GLOBAL__N_124unique_dim_cuda_templateIiEESt5tupleIJNSH_6TensorESM_SM_EERKSM_lbbbEUlllE0_EEPmJS6_EEE10hipError_tPvRmT3_T4_T5_T6_T7_T9_mT8_P12ihipStream_tbDpT10_ENKUlT_T0_E_clISt17integral_constantIbLb1EES1C_EEDaS17_S18_EUlS17_E_NS1_11comp_targetILNS1_3genE2ELNS1_11target_archE906ELNS1_3gpuE6ELNS1_3repE0EEENS1_30default_config_static_selectorELNS0_4arch9wavefront6targetE0EEEvT1_,comdat
.Lfunc_end453:
	.size	_ZN7rocprim17ROCPRIM_400000_NS6detail17trampoline_kernelINS0_14default_configENS1_25partition_config_selectorILNS1_17partition_subalgoE8ElNS0_10empty_typeEbEEZZNS1_14partition_implILS5_8ELb0ES3_jPlPS6_PKS6_NS0_5tupleIJS9_S6_EEENSD_IJSA_SA_EEENS0_18inequality_wrapperIZN2at6native12_GLOBAL__N_124unique_dim_cuda_templateIiEESt5tupleIJNSH_6TensorESM_SM_EERKSM_lbbbEUlllE0_EEPmJS6_EEE10hipError_tPvRmT3_T4_T5_T6_T7_T9_mT8_P12ihipStream_tbDpT10_ENKUlT_T0_E_clISt17integral_constantIbLb1EES1C_EEDaS17_S18_EUlS17_E_NS1_11comp_targetILNS1_3genE2ELNS1_11target_archE906ELNS1_3gpuE6ELNS1_3repE0EEENS1_30default_config_static_selectorELNS0_4arch9wavefront6targetE0EEEvT1_, .Lfunc_end453-_ZN7rocprim17ROCPRIM_400000_NS6detail17trampoline_kernelINS0_14default_configENS1_25partition_config_selectorILNS1_17partition_subalgoE8ElNS0_10empty_typeEbEEZZNS1_14partition_implILS5_8ELb0ES3_jPlPS6_PKS6_NS0_5tupleIJS9_S6_EEENSD_IJSA_SA_EEENS0_18inequality_wrapperIZN2at6native12_GLOBAL__N_124unique_dim_cuda_templateIiEESt5tupleIJNSH_6TensorESM_SM_EERKSM_lbbbEUlllE0_EEPmJS6_EEE10hipError_tPvRmT3_T4_T5_T6_T7_T9_mT8_P12ihipStream_tbDpT10_ENKUlT_T0_E_clISt17integral_constantIbLb1EES1C_EEDaS17_S18_EUlS17_E_NS1_11comp_targetILNS1_3genE2ELNS1_11target_archE906ELNS1_3gpuE6ELNS1_3repE0EEENS1_30default_config_static_selectorELNS0_4arch9wavefront6targetE0EEEvT1_
                                        ; -- End function
	.set _ZN7rocprim17ROCPRIM_400000_NS6detail17trampoline_kernelINS0_14default_configENS1_25partition_config_selectorILNS1_17partition_subalgoE8ElNS0_10empty_typeEbEEZZNS1_14partition_implILS5_8ELb0ES3_jPlPS6_PKS6_NS0_5tupleIJS9_S6_EEENSD_IJSA_SA_EEENS0_18inequality_wrapperIZN2at6native12_GLOBAL__N_124unique_dim_cuda_templateIiEESt5tupleIJNSH_6TensorESM_SM_EERKSM_lbbbEUlllE0_EEPmJS6_EEE10hipError_tPvRmT3_T4_T5_T6_T7_T9_mT8_P12ihipStream_tbDpT10_ENKUlT_T0_E_clISt17integral_constantIbLb1EES1C_EEDaS17_S18_EUlS17_E_NS1_11comp_targetILNS1_3genE2ELNS1_11target_archE906ELNS1_3gpuE6ELNS1_3repE0EEENS1_30default_config_static_selectorELNS0_4arch9wavefront6targetE0EEEvT1_.num_vgpr, 0
	.set _ZN7rocprim17ROCPRIM_400000_NS6detail17trampoline_kernelINS0_14default_configENS1_25partition_config_selectorILNS1_17partition_subalgoE8ElNS0_10empty_typeEbEEZZNS1_14partition_implILS5_8ELb0ES3_jPlPS6_PKS6_NS0_5tupleIJS9_S6_EEENSD_IJSA_SA_EEENS0_18inequality_wrapperIZN2at6native12_GLOBAL__N_124unique_dim_cuda_templateIiEESt5tupleIJNSH_6TensorESM_SM_EERKSM_lbbbEUlllE0_EEPmJS6_EEE10hipError_tPvRmT3_T4_T5_T6_T7_T9_mT8_P12ihipStream_tbDpT10_ENKUlT_T0_E_clISt17integral_constantIbLb1EES1C_EEDaS17_S18_EUlS17_E_NS1_11comp_targetILNS1_3genE2ELNS1_11target_archE906ELNS1_3gpuE6ELNS1_3repE0EEENS1_30default_config_static_selectorELNS0_4arch9wavefront6targetE0EEEvT1_.num_agpr, 0
	.set _ZN7rocprim17ROCPRIM_400000_NS6detail17trampoline_kernelINS0_14default_configENS1_25partition_config_selectorILNS1_17partition_subalgoE8ElNS0_10empty_typeEbEEZZNS1_14partition_implILS5_8ELb0ES3_jPlPS6_PKS6_NS0_5tupleIJS9_S6_EEENSD_IJSA_SA_EEENS0_18inequality_wrapperIZN2at6native12_GLOBAL__N_124unique_dim_cuda_templateIiEESt5tupleIJNSH_6TensorESM_SM_EERKSM_lbbbEUlllE0_EEPmJS6_EEE10hipError_tPvRmT3_T4_T5_T6_T7_T9_mT8_P12ihipStream_tbDpT10_ENKUlT_T0_E_clISt17integral_constantIbLb1EES1C_EEDaS17_S18_EUlS17_E_NS1_11comp_targetILNS1_3genE2ELNS1_11target_archE906ELNS1_3gpuE6ELNS1_3repE0EEENS1_30default_config_static_selectorELNS0_4arch9wavefront6targetE0EEEvT1_.numbered_sgpr, 0
	.set _ZN7rocprim17ROCPRIM_400000_NS6detail17trampoline_kernelINS0_14default_configENS1_25partition_config_selectorILNS1_17partition_subalgoE8ElNS0_10empty_typeEbEEZZNS1_14partition_implILS5_8ELb0ES3_jPlPS6_PKS6_NS0_5tupleIJS9_S6_EEENSD_IJSA_SA_EEENS0_18inequality_wrapperIZN2at6native12_GLOBAL__N_124unique_dim_cuda_templateIiEESt5tupleIJNSH_6TensorESM_SM_EERKSM_lbbbEUlllE0_EEPmJS6_EEE10hipError_tPvRmT3_T4_T5_T6_T7_T9_mT8_P12ihipStream_tbDpT10_ENKUlT_T0_E_clISt17integral_constantIbLb1EES1C_EEDaS17_S18_EUlS17_E_NS1_11comp_targetILNS1_3genE2ELNS1_11target_archE906ELNS1_3gpuE6ELNS1_3repE0EEENS1_30default_config_static_selectorELNS0_4arch9wavefront6targetE0EEEvT1_.num_named_barrier, 0
	.set _ZN7rocprim17ROCPRIM_400000_NS6detail17trampoline_kernelINS0_14default_configENS1_25partition_config_selectorILNS1_17partition_subalgoE8ElNS0_10empty_typeEbEEZZNS1_14partition_implILS5_8ELb0ES3_jPlPS6_PKS6_NS0_5tupleIJS9_S6_EEENSD_IJSA_SA_EEENS0_18inequality_wrapperIZN2at6native12_GLOBAL__N_124unique_dim_cuda_templateIiEESt5tupleIJNSH_6TensorESM_SM_EERKSM_lbbbEUlllE0_EEPmJS6_EEE10hipError_tPvRmT3_T4_T5_T6_T7_T9_mT8_P12ihipStream_tbDpT10_ENKUlT_T0_E_clISt17integral_constantIbLb1EES1C_EEDaS17_S18_EUlS17_E_NS1_11comp_targetILNS1_3genE2ELNS1_11target_archE906ELNS1_3gpuE6ELNS1_3repE0EEENS1_30default_config_static_selectorELNS0_4arch9wavefront6targetE0EEEvT1_.private_seg_size, 0
	.set _ZN7rocprim17ROCPRIM_400000_NS6detail17trampoline_kernelINS0_14default_configENS1_25partition_config_selectorILNS1_17partition_subalgoE8ElNS0_10empty_typeEbEEZZNS1_14partition_implILS5_8ELb0ES3_jPlPS6_PKS6_NS0_5tupleIJS9_S6_EEENSD_IJSA_SA_EEENS0_18inequality_wrapperIZN2at6native12_GLOBAL__N_124unique_dim_cuda_templateIiEESt5tupleIJNSH_6TensorESM_SM_EERKSM_lbbbEUlllE0_EEPmJS6_EEE10hipError_tPvRmT3_T4_T5_T6_T7_T9_mT8_P12ihipStream_tbDpT10_ENKUlT_T0_E_clISt17integral_constantIbLb1EES1C_EEDaS17_S18_EUlS17_E_NS1_11comp_targetILNS1_3genE2ELNS1_11target_archE906ELNS1_3gpuE6ELNS1_3repE0EEENS1_30default_config_static_selectorELNS0_4arch9wavefront6targetE0EEEvT1_.uses_vcc, 0
	.set _ZN7rocprim17ROCPRIM_400000_NS6detail17trampoline_kernelINS0_14default_configENS1_25partition_config_selectorILNS1_17partition_subalgoE8ElNS0_10empty_typeEbEEZZNS1_14partition_implILS5_8ELb0ES3_jPlPS6_PKS6_NS0_5tupleIJS9_S6_EEENSD_IJSA_SA_EEENS0_18inequality_wrapperIZN2at6native12_GLOBAL__N_124unique_dim_cuda_templateIiEESt5tupleIJNSH_6TensorESM_SM_EERKSM_lbbbEUlllE0_EEPmJS6_EEE10hipError_tPvRmT3_T4_T5_T6_T7_T9_mT8_P12ihipStream_tbDpT10_ENKUlT_T0_E_clISt17integral_constantIbLb1EES1C_EEDaS17_S18_EUlS17_E_NS1_11comp_targetILNS1_3genE2ELNS1_11target_archE906ELNS1_3gpuE6ELNS1_3repE0EEENS1_30default_config_static_selectorELNS0_4arch9wavefront6targetE0EEEvT1_.uses_flat_scratch, 0
	.set _ZN7rocprim17ROCPRIM_400000_NS6detail17trampoline_kernelINS0_14default_configENS1_25partition_config_selectorILNS1_17partition_subalgoE8ElNS0_10empty_typeEbEEZZNS1_14partition_implILS5_8ELb0ES3_jPlPS6_PKS6_NS0_5tupleIJS9_S6_EEENSD_IJSA_SA_EEENS0_18inequality_wrapperIZN2at6native12_GLOBAL__N_124unique_dim_cuda_templateIiEESt5tupleIJNSH_6TensorESM_SM_EERKSM_lbbbEUlllE0_EEPmJS6_EEE10hipError_tPvRmT3_T4_T5_T6_T7_T9_mT8_P12ihipStream_tbDpT10_ENKUlT_T0_E_clISt17integral_constantIbLb1EES1C_EEDaS17_S18_EUlS17_E_NS1_11comp_targetILNS1_3genE2ELNS1_11target_archE906ELNS1_3gpuE6ELNS1_3repE0EEENS1_30default_config_static_selectorELNS0_4arch9wavefront6targetE0EEEvT1_.has_dyn_sized_stack, 0
	.set _ZN7rocprim17ROCPRIM_400000_NS6detail17trampoline_kernelINS0_14default_configENS1_25partition_config_selectorILNS1_17partition_subalgoE8ElNS0_10empty_typeEbEEZZNS1_14partition_implILS5_8ELb0ES3_jPlPS6_PKS6_NS0_5tupleIJS9_S6_EEENSD_IJSA_SA_EEENS0_18inequality_wrapperIZN2at6native12_GLOBAL__N_124unique_dim_cuda_templateIiEESt5tupleIJNSH_6TensorESM_SM_EERKSM_lbbbEUlllE0_EEPmJS6_EEE10hipError_tPvRmT3_T4_T5_T6_T7_T9_mT8_P12ihipStream_tbDpT10_ENKUlT_T0_E_clISt17integral_constantIbLb1EES1C_EEDaS17_S18_EUlS17_E_NS1_11comp_targetILNS1_3genE2ELNS1_11target_archE906ELNS1_3gpuE6ELNS1_3repE0EEENS1_30default_config_static_selectorELNS0_4arch9wavefront6targetE0EEEvT1_.has_recursion, 0
	.set _ZN7rocprim17ROCPRIM_400000_NS6detail17trampoline_kernelINS0_14default_configENS1_25partition_config_selectorILNS1_17partition_subalgoE8ElNS0_10empty_typeEbEEZZNS1_14partition_implILS5_8ELb0ES3_jPlPS6_PKS6_NS0_5tupleIJS9_S6_EEENSD_IJSA_SA_EEENS0_18inequality_wrapperIZN2at6native12_GLOBAL__N_124unique_dim_cuda_templateIiEESt5tupleIJNSH_6TensorESM_SM_EERKSM_lbbbEUlllE0_EEPmJS6_EEE10hipError_tPvRmT3_T4_T5_T6_T7_T9_mT8_P12ihipStream_tbDpT10_ENKUlT_T0_E_clISt17integral_constantIbLb1EES1C_EEDaS17_S18_EUlS17_E_NS1_11comp_targetILNS1_3genE2ELNS1_11target_archE906ELNS1_3gpuE6ELNS1_3repE0EEENS1_30default_config_static_selectorELNS0_4arch9wavefront6targetE0EEEvT1_.has_indirect_call, 0
	.section	.AMDGPU.csdata,"",@progbits
; Kernel info:
; codeLenInByte = 0
; TotalNumSgprs: 0
; NumVgprs: 0
; ScratchSize: 0
; MemoryBound: 0
; FloatMode: 240
; IeeeMode: 1
; LDSByteSize: 0 bytes/workgroup (compile time only)
; SGPRBlocks: 0
; VGPRBlocks: 0
; NumSGPRsForWavesPerEU: 1
; NumVGPRsForWavesPerEU: 1
; NamedBarCnt: 0
; Occupancy: 16
; WaveLimiterHint : 0
; COMPUTE_PGM_RSRC2:SCRATCH_EN: 0
; COMPUTE_PGM_RSRC2:USER_SGPR: 2
; COMPUTE_PGM_RSRC2:TRAP_HANDLER: 0
; COMPUTE_PGM_RSRC2:TGID_X_EN: 1
; COMPUTE_PGM_RSRC2:TGID_Y_EN: 0
; COMPUTE_PGM_RSRC2:TGID_Z_EN: 0
; COMPUTE_PGM_RSRC2:TIDIG_COMP_CNT: 0
	.section	.text._ZN7rocprim17ROCPRIM_400000_NS6detail17trampoline_kernelINS0_14default_configENS1_25partition_config_selectorILNS1_17partition_subalgoE8ElNS0_10empty_typeEbEEZZNS1_14partition_implILS5_8ELb0ES3_jPlPS6_PKS6_NS0_5tupleIJS9_S6_EEENSD_IJSA_SA_EEENS0_18inequality_wrapperIZN2at6native12_GLOBAL__N_124unique_dim_cuda_templateIiEESt5tupleIJNSH_6TensorESM_SM_EERKSM_lbbbEUlllE0_EEPmJS6_EEE10hipError_tPvRmT3_T4_T5_T6_T7_T9_mT8_P12ihipStream_tbDpT10_ENKUlT_T0_E_clISt17integral_constantIbLb1EES1C_EEDaS17_S18_EUlS17_E_NS1_11comp_targetILNS1_3genE10ELNS1_11target_archE1200ELNS1_3gpuE4ELNS1_3repE0EEENS1_30default_config_static_selectorELNS0_4arch9wavefront6targetE0EEEvT1_,"axG",@progbits,_ZN7rocprim17ROCPRIM_400000_NS6detail17trampoline_kernelINS0_14default_configENS1_25partition_config_selectorILNS1_17partition_subalgoE8ElNS0_10empty_typeEbEEZZNS1_14partition_implILS5_8ELb0ES3_jPlPS6_PKS6_NS0_5tupleIJS9_S6_EEENSD_IJSA_SA_EEENS0_18inequality_wrapperIZN2at6native12_GLOBAL__N_124unique_dim_cuda_templateIiEESt5tupleIJNSH_6TensorESM_SM_EERKSM_lbbbEUlllE0_EEPmJS6_EEE10hipError_tPvRmT3_T4_T5_T6_T7_T9_mT8_P12ihipStream_tbDpT10_ENKUlT_T0_E_clISt17integral_constantIbLb1EES1C_EEDaS17_S18_EUlS17_E_NS1_11comp_targetILNS1_3genE10ELNS1_11target_archE1200ELNS1_3gpuE4ELNS1_3repE0EEENS1_30default_config_static_selectorELNS0_4arch9wavefront6targetE0EEEvT1_,comdat
	.globl	_ZN7rocprim17ROCPRIM_400000_NS6detail17trampoline_kernelINS0_14default_configENS1_25partition_config_selectorILNS1_17partition_subalgoE8ElNS0_10empty_typeEbEEZZNS1_14partition_implILS5_8ELb0ES3_jPlPS6_PKS6_NS0_5tupleIJS9_S6_EEENSD_IJSA_SA_EEENS0_18inequality_wrapperIZN2at6native12_GLOBAL__N_124unique_dim_cuda_templateIiEESt5tupleIJNSH_6TensorESM_SM_EERKSM_lbbbEUlllE0_EEPmJS6_EEE10hipError_tPvRmT3_T4_T5_T6_T7_T9_mT8_P12ihipStream_tbDpT10_ENKUlT_T0_E_clISt17integral_constantIbLb1EES1C_EEDaS17_S18_EUlS17_E_NS1_11comp_targetILNS1_3genE10ELNS1_11target_archE1200ELNS1_3gpuE4ELNS1_3repE0EEENS1_30default_config_static_selectorELNS0_4arch9wavefront6targetE0EEEvT1_ ; -- Begin function _ZN7rocprim17ROCPRIM_400000_NS6detail17trampoline_kernelINS0_14default_configENS1_25partition_config_selectorILNS1_17partition_subalgoE8ElNS0_10empty_typeEbEEZZNS1_14partition_implILS5_8ELb0ES3_jPlPS6_PKS6_NS0_5tupleIJS9_S6_EEENSD_IJSA_SA_EEENS0_18inequality_wrapperIZN2at6native12_GLOBAL__N_124unique_dim_cuda_templateIiEESt5tupleIJNSH_6TensorESM_SM_EERKSM_lbbbEUlllE0_EEPmJS6_EEE10hipError_tPvRmT3_T4_T5_T6_T7_T9_mT8_P12ihipStream_tbDpT10_ENKUlT_T0_E_clISt17integral_constantIbLb1EES1C_EEDaS17_S18_EUlS17_E_NS1_11comp_targetILNS1_3genE10ELNS1_11target_archE1200ELNS1_3gpuE4ELNS1_3repE0EEENS1_30default_config_static_selectorELNS0_4arch9wavefront6targetE0EEEvT1_
	.p2align	8
	.type	_ZN7rocprim17ROCPRIM_400000_NS6detail17trampoline_kernelINS0_14default_configENS1_25partition_config_selectorILNS1_17partition_subalgoE8ElNS0_10empty_typeEbEEZZNS1_14partition_implILS5_8ELb0ES3_jPlPS6_PKS6_NS0_5tupleIJS9_S6_EEENSD_IJSA_SA_EEENS0_18inequality_wrapperIZN2at6native12_GLOBAL__N_124unique_dim_cuda_templateIiEESt5tupleIJNSH_6TensorESM_SM_EERKSM_lbbbEUlllE0_EEPmJS6_EEE10hipError_tPvRmT3_T4_T5_T6_T7_T9_mT8_P12ihipStream_tbDpT10_ENKUlT_T0_E_clISt17integral_constantIbLb1EES1C_EEDaS17_S18_EUlS17_E_NS1_11comp_targetILNS1_3genE10ELNS1_11target_archE1200ELNS1_3gpuE4ELNS1_3repE0EEENS1_30default_config_static_selectorELNS0_4arch9wavefront6targetE0EEEvT1_,@function
_ZN7rocprim17ROCPRIM_400000_NS6detail17trampoline_kernelINS0_14default_configENS1_25partition_config_selectorILNS1_17partition_subalgoE8ElNS0_10empty_typeEbEEZZNS1_14partition_implILS5_8ELb0ES3_jPlPS6_PKS6_NS0_5tupleIJS9_S6_EEENSD_IJSA_SA_EEENS0_18inequality_wrapperIZN2at6native12_GLOBAL__N_124unique_dim_cuda_templateIiEESt5tupleIJNSH_6TensorESM_SM_EERKSM_lbbbEUlllE0_EEPmJS6_EEE10hipError_tPvRmT3_T4_T5_T6_T7_T9_mT8_P12ihipStream_tbDpT10_ENKUlT_T0_E_clISt17integral_constantIbLb1EES1C_EEDaS17_S18_EUlS17_E_NS1_11comp_targetILNS1_3genE10ELNS1_11target_archE1200ELNS1_3gpuE4ELNS1_3repE0EEENS1_30default_config_static_selectorELNS0_4arch9wavefront6targetE0EEEvT1_: ; @_ZN7rocprim17ROCPRIM_400000_NS6detail17trampoline_kernelINS0_14default_configENS1_25partition_config_selectorILNS1_17partition_subalgoE8ElNS0_10empty_typeEbEEZZNS1_14partition_implILS5_8ELb0ES3_jPlPS6_PKS6_NS0_5tupleIJS9_S6_EEENSD_IJSA_SA_EEENS0_18inequality_wrapperIZN2at6native12_GLOBAL__N_124unique_dim_cuda_templateIiEESt5tupleIJNSH_6TensorESM_SM_EERKSM_lbbbEUlllE0_EEPmJS6_EEE10hipError_tPvRmT3_T4_T5_T6_T7_T9_mT8_P12ihipStream_tbDpT10_ENKUlT_T0_E_clISt17integral_constantIbLb1EES1C_EEDaS17_S18_EUlS17_E_NS1_11comp_targetILNS1_3genE10ELNS1_11target_archE1200ELNS1_3gpuE4ELNS1_3repE0EEENS1_30default_config_static_selectorELNS0_4arch9wavefront6targetE0EEEvT1_
; %bb.0:
	.section	.rodata,"a",@progbits
	.p2align	6, 0x0
	.amdhsa_kernel _ZN7rocprim17ROCPRIM_400000_NS6detail17trampoline_kernelINS0_14default_configENS1_25partition_config_selectorILNS1_17partition_subalgoE8ElNS0_10empty_typeEbEEZZNS1_14partition_implILS5_8ELb0ES3_jPlPS6_PKS6_NS0_5tupleIJS9_S6_EEENSD_IJSA_SA_EEENS0_18inequality_wrapperIZN2at6native12_GLOBAL__N_124unique_dim_cuda_templateIiEESt5tupleIJNSH_6TensorESM_SM_EERKSM_lbbbEUlllE0_EEPmJS6_EEE10hipError_tPvRmT3_T4_T5_T6_T7_T9_mT8_P12ihipStream_tbDpT10_ENKUlT_T0_E_clISt17integral_constantIbLb1EES1C_EEDaS17_S18_EUlS17_E_NS1_11comp_targetILNS1_3genE10ELNS1_11target_archE1200ELNS1_3gpuE4ELNS1_3repE0EEENS1_30default_config_static_selectorELNS0_4arch9wavefront6targetE0EEEvT1_
		.amdhsa_group_segment_fixed_size 0
		.amdhsa_private_segment_fixed_size 0
		.amdhsa_kernarg_size 136
		.amdhsa_user_sgpr_count 2
		.amdhsa_user_sgpr_dispatch_ptr 0
		.amdhsa_user_sgpr_queue_ptr 0
		.amdhsa_user_sgpr_kernarg_segment_ptr 1
		.amdhsa_user_sgpr_dispatch_id 0
		.amdhsa_user_sgpr_kernarg_preload_length 0
		.amdhsa_user_sgpr_kernarg_preload_offset 0
		.amdhsa_user_sgpr_private_segment_size 0
		.amdhsa_wavefront_size32 1
		.amdhsa_uses_dynamic_stack 0
		.amdhsa_enable_private_segment 0
		.amdhsa_system_sgpr_workgroup_id_x 1
		.amdhsa_system_sgpr_workgroup_id_y 0
		.amdhsa_system_sgpr_workgroup_id_z 0
		.amdhsa_system_sgpr_workgroup_info 0
		.amdhsa_system_vgpr_workitem_id 0
		.amdhsa_next_free_vgpr 1
		.amdhsa_next_free_sgpr 1
		.amdhsa_named_barrier_count 0
		.amdhsa_reserve_vcc 0
		.amdhsa_float_round_mode_32 0
		.amdhsa_float_round_mode_16_64 0
		.amdhsa_float_denorm_mode_32 3
		.amdhsa_float_denorm_mode_16_64 3
		.amdhsa_fp16_overflow 0
		.amdhsa_memory_ordered 1
		.amdhsa_forward_progress 1
		.amdhsa_inst_pref_size 0
		.amdhsa_round_robin_scheduling 0
		.amdhsa_exception_fp_ieee_invalid_op 0
		.amdhsa_exception_fp_denorm_src 0
		.amdhsa_exception_fp_ieee_div_zero 0
		.amdhsa_exception_fp_ieee_overflow 0
		.amdhsa_exception_fp_ieee_underflow 0
		.amdhsa_exception_fp_ieee_inexact 0
		.amdhsa_exception_int_div_zero 0
	.end_amdhsa_kernel
	.section	.text._ZN7rocprim17ROCPRIM_400000_NS6detail17trampoline_kernelINS0_14default_configENS1_25partition_config_selectorILNS1_17partition_subalgoE8ElNS0_10empty_typeEbEEZZNS1_14partition_implILS5_8ELb0ES3_jPlPS6_PKS6_NS0_5tupleIJS9_S6_EEENSD_IJSA_SA_EEENS0_18inequality_wrapperIZN2at6native12_GLOBAL__N_124unique_dim_cuda_templateIiEESt5tupleIJNSH_6TensorESM_SM_EERKSM_lbbbEUlllE0_EEPmJS6_EEE10hipError_tPvRmT3_T4_T5_T6_T7_T9_mT8_P12ihipStream_tbDpT10_ENKUlT_T0_E_clISt17integral_constantIbLb1EES1C_EEDaS17_S18_EUlS17_E_NS1_11comp_targetILNS1_3genE10ELNS1_11target_archE1200ELNS1_3gpuE4ELNS1_3repE0EEENS1_30default_config_static_selectorELNS0_4arch9wavefront6targetE0EEEvT1_,"axG",@progbits,_ZN7rocprim17ROCPRIM_400000_NS6detail17trampoline_kernelINS0_14default_configENS1_25partition_config_selectorILNS1_17partition_subalgoE8ElNS0_10empty_typeEbEEZZNS1_14partition_implILS5_8ELb0ES3_jPlPS6_PKS6_NS0_5tupleIJS9_S6_EEENSD_IJSA_SA_EEENS0_18inequality_wrapperIZN2at6native12_GLOBAL__N_124unique_dim_cuda_templateIiEESt5tupleIJNSH_6TensorESM_SM_EERKSM_lbbbEUlllE0_EEPmJS6_EEE10hipError_tPvRmT3_T4_T5_T6_T7_T9_mT8_P12ihipStream_tbDpT10_ENKUlT_T0_E_clISt17integral_constantIbLb1EES1C_EEDaS17_S18_EUlS17_E_NS1_11comp_targetILNS1_3genE10ELNS1_11target_archE1200ELNS1_3gpuE4ELNS1_3repE0EEENS1_30default_config_static_selectorELNS0_4arch9wavefront6targetE0EEEvT1_,comdat
.Lfunc_end454:
	.size	_ZN7rocprim17ROCPRIM_400000_NS6detail17trampoline_kernelINS0_14default_configENS1_25partition_config_selectorILNS1_17partition_subalgoE8ElNS0_10empty_typeEbEEZZNS1_14partition_implILS5_8ELb0ES3_jPlPS6_PKS6_NS0_5tupleIJS9_S6_EEENSD_IJSA_SA_EEENS0_18inequality_wrapperIZN2at6native12_GLOBAL__N_124unique_dim_cuda_templateIiEESt5tupleIJNSH_6TensorESM_SM_EERKSM_lbbbEUlllE0_EEPmJS6_EEE10hipError_tPvRmT3_T4_T5_T6_T7_T9_mT8_P12ihipStream_tbDpT10_ENKUlT_T0_E_clISt17integral_constantIbLb1EES1C_EEDaS17_S18_EUlS17_E_NS1_11comp_targetILNS1_3genE10ELNS1_11target_archE1200ELNS1_3gpuE4ELNS1_3repE0EEENS1_30default_config_static_selectorELNS0_4arch9wavefront6targetE0EEEvT1_, .Lfunc_end454-_ZN7rocprim17ROCPRIM_400000_NS6detail17trampoline_kernelINS0_14default_configENS1_25partition_config_selectorILNS1_17partition_subalgoE8ElNS0_10empty_typeEbEEZZNS1_14partition_implILS5_8ELb0ES3_jPlPS6_PKS6_NS0_5tupleIJS9_S6_EEENSD_IJSA_SA_EEENS0_18inequality_wrapperIZN2at6native12_GLOBAL__N_124unique_dim_cuda_templateIiEESt5tupleIJNSH_6TensorESM_SM_EERKSM_lbbbEUlllE0_EEPmJS6_EEE10hipError_tPvRmT3_T4_T5_T6_T7_T9_mT8_P12ihipStream_tbDpT10_ENKUlT_T0_E_clISt17integral_constantIbLb1EES1C_EEDaS17_S18_EUlS17_E_NS1_11comp_targetILNS1_3genE10ELNS1_11target_archE1200ELNS1_3gpuE4ELNS1_3repE0EEENS1_30default_config_static_selectorELNS0_4arch9wavefront6targetE0EEEvT1_
                                        ; -- End function
	.set _ZN7rocprim17ROCPRIM_400000_NS6detail17trampoline_kernelINS0_14default_configENS1_25partition_config_selectorILNS1_17partition_subalgoE8ElNS0_10empty_typeEbEEZZNS1_14partition_implILS5_8ELb0ES3_jPlPS6_PKS6_NS0_5tupleIJS9_S6_EEENSD_IJSA_SA_EEENS0_18inequality_wrapperIZN2at6native12_GLOBAL__N_124unique_dim_cuda_templateIiEESt5tupleIJNSH_6TensorESM_SM_EERKSM_lbbbEUlllE0_EEPmJS6_EEE10hipError_tPvRmT3_T4_T5_T6_T7_T9_mT8_P12ihipStream_tbDpT10_ENKUlT_T0_E_clISt17integral_constantIbLb1EES1C_EEDaS17_S18_EUlS17_E_NS1_11comp_targetILNS1_3genE10ELNS1_11target_archE1200ELNS1_3gpuE4ELNS1_3repE0EEENS1_30default_config_static_selectorELNS0_4arch9wavefront6targetE0EEEvT1_.num_vgpr, 0
	.set _ZN7rocprim17ROCPRIM_400000_NS6detail17trampoline_kernelINS0_14default_configENS1_25partition_config_selectorILNS1_17partition_subalgoE8ElNS0_10empty_typeEbEEZZNS1_14partition_implILS5_8ELb0ES3_jPlPS6_PKS6_NS0_5tupleIJS9_S6_EEENSD_IJSA_SA_EEENS0_18inequality_wrapperIZN2at6native12_GLOBAL__N_124unique_dim_cuda_templateIiEESt5tupleIJNSH_6TensorESM_SM_EERKSM_lbbbEUlllE0_EEPmJS6_EEE10hipError_tPvRmT3_T4_T5_T6_T7_T9_mT8_P12ihipStream_tbDpT10_ENKUlT_T0_E_clISt17integral_constantIbLb1EES1C_EEDaS17_S18_EUlS17_E_NS1_11comp_targetILNS1_3genE10ELNS1_11target_archE1200ELNS1_3gpuE4ELNS1_3repE0EEENS1_30default_config_static_selectorELNS0_4arch9wavefront6targetE0EEEvT1_.num_agpr, 0
	.set _ZN7rocprim17ROCPRIM_400000_NS6detail17trampoline_kernelINS0_14default_configENS1_25partition_config_selectorILNS1_17partition_subalgoE8ElNS0_10empty_typeEbEEZZNS1_14partition_implILS5_8ELb0ES3_jPlPS6_PKS6_NS0_5tupleIJS9_S6_EEENSD_IJSA_SA_EEENS0_18inequality_wrapperIZN2at6native12_GLOBAL__N_124unique_dim_cuda_templateIiEESt5tupleIJNSH_6TensorESM_SM_EERKSM_lbbbEUlllE0_EEPmJS6_EEE10hipError_tPvRmT3_T4_T5_T6_T7_T9_mT8_P12ihipStream_tbDpT10_ENKUlT_T0_E_clISt17integral_constantIbLb1EES1C_EEDaS17_S18_EUlS17_E_NS1_11comp_targetILNS1_3genE10ELNS1_11target_archE1200ELNS1_3gpuE4ELNS1_3repE0EEENS1_30default_config_static_selectorELNS0_4arch9wavefront6targetE0EEEvT1_.numbered_sgpr, 0
	.set _ZN7rocprim17ROCPRIM_400000_NS6detail17trampoline_kernelINS0_14default_configENS1_25partition_config_selectorILNS1_17partition_subalgoE8ElNS0_10empty_typeEbEEZZNS1_14partition_implILS5_8ELb0ES3_jPlPS6_PKS6_NS0_5tupleIJS9_S6_EEENSD_IJSA_SA_EEENS0_18inequality_wrapperIZN2at6native12_GLOBAL__N_124unique_dim_cuda_templateIiEESt5tupleIJNSH_6TensorESM_SM_EERKSM_lbbbEUlllE0_EEPmJS6_EEE10hipError_tPvRmT3_T4_T5_T6_T7_T9_mT8_P12ihipStream_tbDpT10_ENKUlT_T0_E_clISt17integral_constantIbLb1EES1C_EEDaS17_S18_EUlS17_E_NS1_11comp_targetILNS1_3genE10ELNS1_11target_archE1200ELNS1_3gpuE4ELNS1_3repE0EEENS1_30default_config_static_selectorELNS0_4arch9wavefront6targetE0EEEvT1_.num_named_barrier, 0
	.set _ZN7rocprim17ROCPRIM_400000_NS6detail17trampoline_kernelINS0_14default_configENS1_25partition_config_selectorILNS1_17partition_subalgoE8ElNS0_10empty_typeEbEEZZNS1_14partition_implILS5_8ELb0ES3_jPlPS6_PKS6_NS0_5tupleIJS9_S6_EEENSD_IJSA_SA_EEENS0_18inequality_wrapperIZN2at6native12_GLOBAL__N_124unique_dim_cuda_templateIiEESt5tupleIJNSH_6TensorESM_SM_EERKSM_lbbbEUlllE0_EEPmJS6_EEE10hipError_tPvRmT3_T4_T5_T6_T7_T9_mT8_P12ihipStream_tbDpT10_ENKUlT_T0_E_clISt17integral_constantIbLb1EES1C_EEDaS17_S18_EUlS17_E_NS1_11comp_targetILNS1_3genE10ELNS1_11target_archE1200ELNS1_3gpuE4ELNS1_3repE0EEENS1_30default_config_static_selectorELNS0_4arch9wavefront6targetE0EEEvT1_.private_seg_size, 0
	.set _ZN7rocprim17ROCPRIM_400000_NS6detail17trampoline_kernelINS0_14default_configENS1_25partition_config_selectorILNS1_17partition_subalgoE8ElNS0_10empty_typeEbEEZZNS1_14partition_implILS5_8ELb0ES3_jPlPS6_PKS6_NS0_5tupleIJS9_S6_EEENSD_IJSA_SA_EEENS0_18inequality_wrapperIZN2at6native12_GLOBAL__N_124unique_dim_cuda_templateIiEESt5tupleIJNSH_6TensorESM_SM_EERKSM_lbbbEUlllE0_EEPmJS6_EEE10hipError_tPvRmT3_T4_T5_T6_T7_T9_mT8_P12ihipStream_tbDpT10_ENKUlT_T0_E_clISt17integral_constantIbLb1EES1C_EEDaS17_S18_EUlS17_E_NS1_11comp_targetILNS1_3genE10ELNS1_11target_archE1200ELNS1_3gpuE4ELNS1_3repE0EEENS1_30default_config_static_selectorELNS0_4arch9wavefront6targetE0EEEvT1_.uses_vcc, 0
	.set _ZN7rocprim17ROCPRIM_400000_NS6detail17trampoline_kernelINS0_14default_configENS1_25partition_config_selectorILNS1_17partition_subalgoE8ElNS0_10empty_typeEbEEZZNS1_14partition_implILS5_8ELb0ES3_jPlPS6_PKS6_NS0_5tupleIJS9_S6_EEENSD_IJSA_SA_EEENS0_18inequality_wrapperIZN2at6native12_GLOBAL__N_124unique_dim_cuda_templateIiEESt5tupleIJNSH_6TensorESM_SM_EERKSM_lbbbEUlllE0_EEPmJS6_EEE10hipError_tPvRmT3_T4_T5_T6_T7_T9_mT8_P12ihipStream_tbDpT10_ENKUlT_T0_E_clISt17integral_constantIbLb1EES1C_EEDaS17_S18_EUlS17_E_NS1_11comp_targetILNS1_3genE10ELNS1_11target_archE1200ELNS1_3gpuE4ELNS1_3repE0EEENS1_30default_config_static_selectorELNS0_4arch9wavefront6targetE0EEEvT1_.uses_flat_scratch, 0
	.set _ZN7rocprim17ROCPRIM_400000_NS6detail17trampoline_kernelINS0_14default_configENS1_25partition_config_selectorILNS1_17partition_subalgoE8ElNS0_10empty_typeEbEEZZNS1_14partition_implILS5_8ELb0ES3_jPlPS6_PKS6_NS0_5tupleIJS9_S6_EEENSD_IJSA_SA_EEENS0_18inequality_wrapperIZN2at6native12_GLOBAL__N_124unique_dim_cuda_templateIiEESt5tupleIJNSH_6TensorESM_SM_EERKSM_lbbbEUlllE0_EEPmJS6_EEE10hipError_tPvRmT3_T4_T5_T6_T7_T9_mT8_P12ihipStream_tbDpT10_ENKUlT_T0_E_clISt17integral_constantIbLb1EES1C_EEDaS17_S18_EUlS17_E_NS1_11comp_targetILNS1_3genE10ELNS1_11target_archE1200ELNS1_3gpuE4ELNS1_3repE0EEENS1_30default_config_static_selectorELNS0_4arch9wavefront6targetE0EEEvT1_.has_dyn_sized_stack, 0
	.set _ZN7rocprim17ROCPRIM_400000_NS6detail17trampoline_kernelINS0_14default_configENS1_25partition_config_selectorILNS1_17partition_subalgoE8ElNS0_10empty_typeEbEEZZNS1_14partition_implILS5_8ELb0ES3_jPlPS6_PKS6_NS0_5tupleIJS9_S6_EEENSD_IJSA_SA_EEENS0_18inequality_wrapperIZN2at6native12_GLOBAL__N_124unique_dim_cuda_templateIiEESt5tupleIJNSH_6TensorESM_SM_EERKSM_lbbbEUlllE0_EEPmJS6_EEE10hipError_tPvRmT3_T4_T5_T6_T7_T9_mT8_P12ihipStream_tbDpT10_ENKUlT_T0_E_clISt17integral_constantIbLb1EES1C_EEDaS17_S18_EUlS17_E_NS1_11comp_targetILNS1_3genE10ELNS1_11target_archE1200ELNS1_3gpuE4ELNS1_3repE0EEENS1_30default_config_static_selectorELNS0_4arch9wavefront6targetE0EEEvT1_.has_recursion, 0
	.set _ZN7rocprim17ROCPRIM_400000_NS6detail17trampoline_kernelINS0_14default_configENS1_25partition_config_selectorILNS1_17partition_subalgoE8ElNS0_10empty_typeEbEEZZNS1_14partition_implILS5_8ELb0ES3_jPlPS6_PKS6_NS0_5tupleIJS9_S6_EEENSD_IJSA_SA_EEENS0_18inequality_wrapperIZN2at6native12_GLOBAL__N_124unique_dim_cuda_templateIiEESt5tupleIJNSH_6TensorESM_SM_EERKSM_lbbbEUlllE0_EEPmJS6_EEE10hipError_tPvRmT3_T4_T5_T6_T7_T9_mT8_P12ihipStream_tbDpT10_ENKUlT_T0_E_clISt17integral_constantIbLb1EES1C_EEDaS17_S18_EUlS17_E_NS1_11comp_targetILNS1_3genE10ELNS1_11target_archE1200ELNS1_3gpuE4ELNS1_3repE0EEENS1_30default_config_static_selectorELNS0_4arch9wavefront6targetE0EEEvT1_.has_indirect_call, 0
	.section	.AMDGPU.csdata,"",@progbits
; Kernel info:
; codeLenInByte = 0
; TotalNumSgprs: 0
; NumVgprs: 0
; ScratchSize: 0
; MemoryBound: 0
; FloatMode: 240
; IeeeMode: 1
; LDSByteSize: 0 bytes/workgroup (compile time only)
; SGPRBlocks: 0
; VGPRBlocks: 0
; NumSGPRsForWavesPerEU: 1
; NumVGPRsForWavesPerEU: 1
; NamedBarCnt: 0
; Occupancy: 16
; WaveLimiterHint : 0
; COMPUTE_PGM_RSRC2:SCRATCH_EN: 0
; COMPUTE_PGM_RSRC2:USER_SGPR: 2
; COMPUTE_PGM_RSRC2:TRAP_HANDLER: 0
; COMPUTE_PGM_RSRC2:TGID_X_EN: 1
; COMPUTE_PGM_RSRC2:TGID_Y_EN: 0
; COMPUTE_PGM_RSRC2:TGID_Z_EN: 0
; COMPUTE_PGM_RSRC2:TIDIG_COMP_CNT: 0
	.section	.text._ZN7rocprim17ROCPRIM_400000_NS6detail17trampoline_kernelINS0_14default_configENS1_25partition_config_selectorILNS1_17partition_subalgoE8ElNS0_10empty_typeEbEEZZNS1_14partition_implILS5_8ELb0ES3_jPlPS6_PKS6_NS0_5tupleIJS9_S6_EEENSD_IJSA_SA_EEENS0_18inequality_wrapperIZN2at6native12_GLOBAL__N_124unique_dim_cuda_templateIiEESt5tupleIJNSH_6TensorESM_SM_EERKSM_lbbbEUlllE0_EEPmJS6_EEE10hipError_tPvRmT3_T4_T5_T6_T7_T9_mT8_P12ihipStream_tbDpT10_ENKUlT_T0_E_clISt17integral_constantIbLb1EES1C_EEDaS17_S18_EUlS17_E_NS1_11comp_targetILNS1_3genE9ELNS1_11target_archE1100ELNS1_3gpuE3ELNS1_3repE0EEENS1_30default_config_static_selectorELNS0_4arch9wavefront6targetE0EEEvT1_,"axG",@progbits,_ZN7rocprim17ROCPRIM_400000_NS6detail17trampoline_kernelINS0_14default_configENS1_25partition_config_selectorILNS1_17partition_subalgoE8ElNS0_10empty_typeEbEEZZNS1_14partition_implILS5_8ELb0ES3_jPlPS6_PKS6_NS0_5tupleIJS9_S6_EEENSD_IJSA_SA_EEENS0_18inequality_wrapperIZN2at6native12_GLOBAL__N_124unique_dim_cuda_templateIiEESt5tupleIJNSH_6TensorESM_SM_EERKSM_lbbbEUlllE0_EEPmJS6_EEE10hipError_tPvRmT3_T4_T5_T6_T7_T9_mT8_P12ihipStream_tbDpT10_ENKUlT_T0_E_clISt17integral_constantIbLb1EES1C_EEDaS17_S18_EUlS17_E_NS1_11comp_targetILNS1_3genE9ELNS1_11target_archE1100ELNS1_3gpuE3ELNS1_3repE0EEENS1_30default_config_static_selectorELNS0_4arch9wavefront6targetE0EEEvT1_,comdat
	.globl	_ZN7rocprim17ROCPRIM_400000_NS6detail17trampoline_kernelINS0_14default_configENS1_25partition_config_selectorILNS1_17partition_subalgoE8ElNS0_10empty_typeEbEEZZNS1_14partition_implILS5_8ELb0ES3_jPlPS6_PKS6_NS0_5tupleIJS9_S6_EEENSD_IJSA_SA_EEENS0_18inequality_wrapperIZN2at6native12_GLOBAL__N_124unique_dim_cuda_templateIiEESt5tupleIJNSH_6TensorESM_SM_EERKSM_lbbbEUlllE0_EEPmJS6_EEE10hipError_tPvRmT3_T4_T5_T6_T7_T9_mT8_P12ihipStream_tbDpT10_ENKUlT_T0_E_clISt17integral_constantIbLb1EES1C_EEDaS17_S18_EUlS17_E_NS1_11comp_targetILNS1_3genE9ELNS1_11target_archE1100ELNS1_3gpuE3ELNS1_3repE0EEENS1_30default_config_static_selectorELNS0_4arch9wavefront6targetE0EEEvT1_ ; -- Begin function _ZN7rocprim17ROCPRIM_400000_NS6detail17trampoline_kernelINS0_14default_configENS1_25partition_config_selectorILNS1_17partition_subalgoE8ElNS0_10empty_typeEbEEZZNS1_14partition_implILS5_8ELb0ES3_jPlPS6_PKS6_NS0_5tupleIJS9_S6_EEENSD_IJSA_SA_EEENS0_18inequality_wrapperIZN2at6native12_GLOBAL__N_124unique_dim_cuda_templateIiEESt5tupleIJNSH_6TensorESM_SM_EERKSM_lbbbEUlllE0_EEPmJS6_EEE10hipError_tPvRmT3_T4_T5_T6_T7_T9_mT8_P12ihipStream_tbDpT10_ENKUlT_T0_E_clISt17integral_constantIbLb1EES1C_EEDaS17_S18_EUlS17_E_NS1_11comp_targetILNS1_3genE9ELNS1_11target_archE1100ELNS1_3gpuE3ELNS1_3repE0EEENS1_30default_config_static_selectorELNS0_4arch9wavefront6targetE0EEEvT1_
	.p2align	8
	.type	_ZN7rocprim17ROCPRIM_400000_NS6detail17trampoline_kernelINS0_14default_configENS1_25partition_config_selectorILNS1_17partition_subalgoE8ElNS0_10empty_typeEbEEZZNS1_14partition_implILS5_8ELb0ES3_jPlPS6_PKS6_NS0_5tupleIJS9_S6_EEENSD_IJSA_SA_EEENS0_18inequality_wrapperIZN2at6native12_GLOBAL__N_124unique_dim_cuda_templateIiEESt5tupleIJNSH_6TensorESM_SM_EERKSM_lbbbEUlllE0_EEPmJS6_EEE10hipError_tPvRmT3_T4_T5_T6_T7_T9_mT8_P12ihipStream_tbDpT10_ENKUlT_T0_E_clISt17integral_constantIbLb1EES1C_EEDaS17_S18_EUlS17_E_NS1_11comp_targetILNS1_3genE9ELNS1_11target_archE1100ELNS1_3gpuE3ELNS1_3repE0EEENS1_30default_config_static_selectorELNS0_4arch9wavefront6targetE0EEEvT1_,@function
_ZN7rocprim17ROCPRIM_400000_NS6detail17trampoline_kernelINS0_14default_configENS1_25partition_config_selectorILNS1_17partition_subalgoE8ElNS0_10empty_typeEbEEZZNS1_14partition_implILS5_8ELb0ES3_jPlPS6_PKS6_NS0_5tupleIJS9_S6_EEENSD_IJSA_SA_EEENS0_18inequality_wrapperIZN2at6native12_GLOBAL__N_124unique_dim_cuda_templateIiEESt5tupleIJNSH_6TensorESM_SM_EERKSM_lbbbEUlllE0_EEPmJS6_EEE10hipError_tPvRmT3_T4_T5_T6_T7_T9_mT8_P12ihipStream_tbDpT10_ENKUlT_T0_E_clISt17integral_constantIbLb1EES1C_EEDaS17_S18_EUlS17_E_NS1_11comp_targetILNS1_3genE9ELNS1_11target_archE1100ELNS1_3gpuE3ELNS1_3repE0EEENS1_30default_config_static_selectorELNS0_4arch9wavefront6targetE0EEEvT1_: ; @_ZN7rocprim17ROCPRIM_400000_NS6detail17trampoline_kernelINS0_14default_configENS1_25partition_config_selectorILNS1_17partition_subalgoE8ElNS0_10empty_typeEbEEZZNS1_14partition_implILS5_8ELb0ES3_jPlPS6_PKS6_NS0_5tupleIJS9_S6_EEENSD_IJSA_SA_EEENS0_18inequality_wrapperIZN2at6native12_GLOBAL__N_124unique_dim_cuda_templateIiEESt5tupleIJNSH_6TensorESM_SM_EERKSM_lbbbEUlllE0_EEPmJS6_EEE10hipError_tPvRmT3_T4_T5_T6_T7_T9_mT8_P12ihipStream_tbDpT10_ENKUlT_T0_E_clISt17integral_constantIbLb1EES1C_EEDaS17_S18_EUlS17_E_NS1_11comp_targetILNS1_3genE9ELNS1_11target_archE1100ELNS1_3gpuE3ELNS1_3repE0EEENS1_30default_config_static_selectorELNS0_4arch9wavefront6targetE0EEEvT1_
; %bb.0:
	.section	.rodata,"a",@progbits
	.p2align	6, 0x0
	.amdhsa_kernel _ZN7rocprim17ROCPRIM_400000_NS6detail17trampoline_kernelINS0_14default_configENS1_25partition_config_selectorILNS1_17partition_subalgoE8ElNS0_10empty_typeEbEEZZNS1_14partition_implILS5_8ELb0ES3_jPlPS6_PKS6_NS0_5tupleIJS9_S6_EEENSD_IJSA_SA_EEENS0_18inequality_wrapperIZN2at6native12_GLOBAL__N_124unique_dim_cuda_templateIiEESt5tupleIJNSH_6TensorESM_SM_EERKSM_lbbbEUlllE0_EEPmJS6_EEE10hipError_tPvRmT3_T4_T5_T6_T7_T9_mT8_P12ihipStream_tbDpT10_ENKUlT_T0_E_clISt17integral_constantIbLb1EES1C_EEDaS17_S18_EUlS17_E_NS1_11comp_targetILNS1_3genE9ELNS1_11target_archE1100ELNS1_3gpuE3ELNS1_3repE0EEENS1_30default_config_static_selectorELNS0_4arch9wavefront6targetE0EEEvT1_
		.amdhsa_group_segment_fixed_size 0
		.amdhsa_private_segment_fixed_size 0
		.amdhsa_kernarg_size 136
		.amdhsa_user_sgpr_count 2
		.amdhsa_user_sgpr_dispatch_ptr 0
		.amdhsa_user_sgpr_queue_ptr 0
		.amdhsa_user_sgpr_kernarg_segment_ptr 1
		.amdhsa_user_sgpr_dispatch_id 0
		.amdhsa_user_sgpr_kernarg_preload_length 0
		.amdhsa_user_sgpr_kernarg_preload_offset 0
		.amdhsa_user_sgpr_private_segment_size 0
		.amdhsa_wavefront_size32 1
		.amdhsa_uses_dynamic_stack 0
		.amdhsa_enable_private_segment 0
		.amdhsa_system_sgpr_workgroup_id_x 1
		.amdhsa_system_sgpr_workgroup_id_y 0
		.amdhsa_system_sgpr_workgroup_id_z 0
		.amdhsa_system_sgpr_workgroup_info 0
		.amdhsa_system_vgpr_workitem_id 0
		.amdhsa_next_free_vgpr 1
		.amdhsa_next_free_sgpr 1
		.amdhsa_named_barrier_count 0
		.amdhsa_reserve_vcc 0
		.amdhsa_float_round_mode_32 0
		.amdhsa_float_round_mode_16_64 0
		.amdhsa_float_denorm_mode_32 3
		.amdhsa_float_denorm_mode_16_64 3
		.amdhsa_fp16_overflow 0
		.amdhsa_memory_ordered 1
		.amdhsa_forward_progress 1
		.amdhsa_inst_pref_size 0
		.amdhsa_round_robin_scheduling 0
		.amdhsa_exception_fp_ieee_invalid_op 0
		.amdhsa_exception_fp_denorm_src 0
		.amdhsa_exception_fp_ieee_div_zero 0
		.amdhsa_exception_fp_ieee_overflow 0
		.amdhsa_exception_fp_ieee_underflow 0
		.amdhsa_exception_fp_ieee_inexact 0
		.amdhsa_exception_int_div_zero 0
	.end_amdhsa_kernel
	.section	.text._ZN7rocprim17ROCPRIM_400000_NS6detail17trampoline_kernelINS0_14default_configENS1_25partition_config_selectorILNS1_17partition_subalgoE8ElNS0_10empty_typeEbEEZZNS1_14partition_implILS5_8ELb0ES3_jPlPS6_PKS6_NS0_5tupleIJS9_S6_EEENSD_IJSA_SA_EEENS0_18inequality_wrapperIZN2at6native12_GLOBAL__N_124unique_dim_cuda_templateIiEESt5tupleIJNSH_6TensorESM_SM_EERKSM_lbbbEUlllE0_EEPmJS6_EEE10hipError_tPvRmT3_T4_T5_T6_T7_T9_mT8_P12ihipStream_tbDpT10_ENKUlT_T0_E_clISt17integral_constantIbLb1EES1C_EEDaS17_S18_EUlS17_E_NS1_11comp_targetILNS1_3genE9ELNS1_11target_archE1100ELNS1_3gpuE3ELNS1_3repE0EEENS1_30default_config_static_selectorELNS0_4arch9wavefront6targetE0EEEvT1_,"axG",@progbits,_ZN7rocprim17ROCPRIM_400000_NS6detail17trampoline_kernelINS0_14default_configENS1_25partition_config_selectorILNS1_17partition_subalgoE8ElNS0_10empty_typeEbEEZZNS1_14partition_implILS5_8ELb0ES3_jPlPS6_PKS6_NS0_5tupleIJS9_S6_EEENSD_IJSA_SA_EEENS0_18inequality_wrapperIZN2at6native12_GLOBAL__N_124unique_dim_cuda_templateIiEESt5tupleIJNSH_6TensorESM_SM_EERKSM_lbbbEUlllE0_EEPmJS6_EEE10hipError_tPvRmT3_T4_T5_T6_T7_T9_mT8_P12ihipStream_tbDpT10_ENKUlT_T0_E_clISt17integral_constantIbLb1EES1C_EEDaS17_S18_EUlS17_E_NS1_11comp_targetILNS1_3genE9ELNS1_11target_archE1100ELNS1_3gpuE3ELNS1_3repE0EEENS1_30default_config_static_selectorELNS0_4arch9wavefront6targetE0EEEvT1_,comdat
.Lfunc_end455:
	.size	_ZN7rocprim17ROCPRIM_400000_NS6detail17trampoline_kernelINS0_14default_configENS1_25partition_config_selectorILNS1_17partition_subalgoE8ElNS0_10empty_typeEbEEZZNS1_14partition_implILS5_8ELb0ES3_jPlPS6_PKS6_NS0_5tupleIJS9_S6_EEENSD_IJSA_SA_EEENS0_18inequality_wrapperIZN2at6native12_GLOBAL__N_124unique_dim_cuda_templateIiEESt5tupleIJNSH_6TensorESM_SM_EERKSM_lbbbEUlllE0_EEPmJS6_EEE10hipError_tPvRmT3_T4_T5_T6_T7_T9_mT8_P12ihipStream_tbDpT10_ENKUlT_T0_E_clISt17integral_constantIbLb1EES1C_EEDaS17_S18_EUlS17_E_NS1_11comp_targetILNS1_3genE9ELNS1_11target_archE1100ELNS1_3gpuE3ELNS1_3repE0EEENS1_30default_config_static_selectorELNS0_4arch9wavefront6targetE0EEEvT1_, .Lfunc_end455-_ZN7rocprim17ROCPRIM_400000_NS6detail17trampoline_kernelINS0_14default_configENS1_25partition_config_selectorILNS1_17partition_subalgoE8ElNS0_10empty_typeEbEEZZNS1_14partition_implILS5_8ELb0ES3_jPlPS6_PKS6_NS0_5tupleIJS9_S6_EEENSD_IJSA_SA_EEENS0_18inequality_wrapperIZN2at6native12_GLOBAL__N_124unique_dim_cuda_templateIiEESt5tupleIJNSH_6TensorESM_SM_EERKSM_lbbbEUlllE0_EEPmJS6_EEE10hipError_tPvRmT3_T4_T5_T6_T7_T9_mT8_P12ihipStream_tbDpT10_ENKUlT_T0_E_clISt17integral_constantIbLb1EES1C_EEDaS17_S18_EUlS17_E_NS1_11comp_targetILNS1_3genE9ELNS1_11target_archE1100ELNS1_3gpuE3ELNS1_3repE0EEENS1_30default_config_static_selectorELNS0_4arch9wavefront6targetE0EEEvT1_
                                        ; -- End function
	.set _ZN7rocprim17ROCPRIM_400000_NS6detail17trampoline_kernelINS0_14default_configENS1_25partition_config_selectorILNS1_17partition_subalgoE8ElNS0_10empty_typeEbEEZZNS1_14partition_implILS5_8ELb0ES3_jPlPS6_PKS6_NS0_5tupleIJS9_S6_EEENSD_IJSA_SA_EEENS0_18inequality_wrapperIZN2at6native12_GLOBAL__N_124unique_dim_cuda_templateIiEESt5tupleIJNSH_6TensorESM_SM_EERKSM_lbbbEUlllE0_EEPmJS6_EEE10hipError_tPvRmT3_T4_T5_T6_T7_T9_mT8_P12ihipStream_tbDpT10_ENKUlT_T0_E_clISt17integral_constantIbLb1EES1C_EEDaS17_S18_EUlS17_E_NS1_11comp_targetILNS1_3genE9ELNS1_11target_archE1100ELNS1_3gpuE3ELNS1_3repE0EEENS1_30default_config_static_selectorELNS0_4arch9wavefront6targetE0EEEvT1_.num_vgpr, 0
	.set _ZN7rocprim17ROCPRIM_400000_NS6detail17trampoline_kernelINS0_14default_configENS1_25partition_config_selectorILNS1_17partition_subalgoE8ElNS0_10empty_typeEbEEZZNS1_14partition_implILS5_8ELb0ES3_jPlPS6_PKS6_NS0_5tupleIJS9_S6_EEENSD_IJSA_SA_EEENS0_18inequality_wrapperIZN2at6native12_GLOBAL__N_124unique_dim_cuda_templateIiEESt5tupleIJNSH_6TensorESM_SM_EERKSM_lbbbEUlllE0_EEPmJS6_EEE10hipError_tPvRmT3_T4_T5_T6_T7_T9_mT8_P12ihipStream_tbDpT10_ENKUlT_T0_E_clISt17integral_constantIbLb1EES1C_EEDaS17_S18_EUlS17_E_NS1_11comp_targetILNS1_3genE9ELNS1_11target_archE1100ELNS1_3gpuE3ELNS1_3repE0EEENS1_30default_config_static_selectorELNS0_4arch9wavefront6targetE0EEEvT1_.num_agpr, 0
	.set _ZN7rocprim17ROCPRIM_400000_NS6detail17trampoline_kernelINS0_14default_configENS1_25partition_config_selectorILNS1_17partition_subalgoE8ElNS0_10empty_typeEbEEZZNS1_14partition_implILS5_8ELb0ES3_jPlPS6_PKS6_NS0_5tupleIJS9_S6_EEENSD_IJSA_SA_EEENS0_18inequality_wrapperIZN2at6native12_GLOBAL__N_124unique_dim_cuda_templateIiEESt5tupleIJNSH_6TensorESM_SM_EERKSM_lbbbEUlllE0_EEPmJS6_EEE10hipError_tPvRmT3_T4_T5_T6_T7_T9_mT8_P12ihipStream_tbDpT10_ENKUlT_T0_E_clISt17integral_constantIbLb1EES1C_EEDaS17_S18_EUlS17_E_NS1_11comp_targetILNS1_3genE9ELNS1_11target_archE1100ELNS1_3gpuE3ELNS1_3repE0EEENS1_30default_config_static_selectorELNS0_4arch9wavefront6targetE0EEEvT1_.numbered_sgpr, 0
	.set _ZN7rocprim17ROCPRIM_400000_NS6detail17trampoline_kernelINS0_14default_configENS1_25partition_config_selectorILNS1_17partition_subalgoE8ElNS0_10empty_typeEbEEZZNS1_14partition_implILS5_8ELb0ES3_jPlPS6_PKS6_NS0_5tupleIJS9_S6_EEENSD_IJSA_SA_EEENS0_18inequality_wrapperIZN2at6native12_GLOBAL__N_124unique_dim_cuda_templateIiEESt5tupleIJNSH_6TensorESM_SM_EERKSM_lbbbEUlllE0_EEPmJS6_EEE10hipError_tPvRmT3_T4_T5_T6_T7_T9_mT8_P12ihipStream_tbDpT10_ENKUlT_T0_E_clISt17integral_constantIbLb1EES1C_EEDaS17_S18_EUlS17_E_NS1_11comp_targetILNS1_3genE9ELNS1_11target_archE1100ELNS1_3gpuE3ELNS1_3repE0EEENS1_30default_config_static_selectorELNS0_4arch9wavefront6targetE0EEEvT1_.num_named_barrier, 0
	.set _ZN7rocprim17ROCPRIM_400000_NS6detail17trampoline_kernelINS0_14default_configENS1_25partition_config_selectorILNS1_17partition_subalgoE8ElNS0_10empty_typeEbEEZZNS1_14partition_implILS5_8ELb0ES3_jPlPS6_PKS6_NS0_5tupleIJS9_S6_EEENSD_IJSA_SA_EEENS0_18inequality_wrapperIZN2at6native12_GLOBAL__N_124unique_dim_cuda_templateIiEESt5tupleIJNSH_6TensorESM_SM_EERKSM_lbbbEUlllE0_EEPmJS6_EEE10hipError_tPvRmT3_T4_T5_T6_T7_T9_mT8_P12ihipStream_tbDpT10_ENKUlT_T0_E_clISt17integral_constantIbLb1EES1C_EEDaS17_S18_EUlS17_E_NS1_11comp_targetILNS1_3genE9ELNS1_11target_archE1100ELNS1_3gpuE3ELNS1_3repE0EEENS1_30default_config_static_selectorELNS0_4arch9wavefront6targetE0EEEvT1_.private_seg_size, 0
	.set _ZN7rocprim17ROCPRIM_400000_NS6detail17trampoline_kernelINS0_14default_configENS1_25partition_config_selectorILNS1_17partition_subalgoE8ElNS0_10empty_typeEbEEZZNS1_14partition_implILS5_8ELb0ES3_jPlPS6_PKS6_NS0_5tupleIJS9_S6_EEENSD_IJSA_SA_EEENS0_18inequality_wrapperIZN2at6native12_GLOBAL__N_124unique_dim_cuda_templateIiEESt5tupleIJNSH_6TensorESM_SM_EERKSM_lbbbEUlllE0_EEPmJS6_EEE10hipError_tPvRmT3_T4_T5_T6_T7_T9_mT8_P12ihipStream_tbDpT10_ENKUlT_T0_E_clISt17integral_constantIbLb1EES1C_EEDaS17_S18_EUlS17_E_NS1_11comp_targetILNS1_3genE9ELNS1_11target_archE1100ELNS1_3gpuE3ELNS1_3repE0EEENS1_30default_config_static_selectorELNS0_4arch9wavefront6targetE0EEEvT1_.uses_vcc, 0
	.set _ZN7rocprim17ROCPRIM_400000_NS6detail17trampoline_kernelINS0_14default_configENS1_25partition_config_selectorILNS1_17partition_subalgoE8ElNS0_10empty_typeEbEEZZNS1_14partition_implILS5_8ELb0ES3_jPlPS6_PKS6_NS0_5tupleIJS9_S6_EEENSD_IJSA_SA_EEENS0_18inequality_wrapperIZN2at6native12_GLOBAL__N_124unique_dim_cuda_templateIiEESt5tupleIJNSH_6TensorESM_SM_EERKSM_lbbbEUlllE0_EEPmJS6_EEE10hipError_tPvRmT3_T4_T5_T6_T7_T9_mT8_P12ihipStream_tbDpT10_ENKUlT_T0_E_clISt17integral_constantIbLb1EES1C_EEDaS17_S18_EUlS17_E_NS1_11comp_targetILNS1_3genE9ELNS1_11target_archE1100ELNS1_3gpuE3ELNS1_3repE0EEENS1_30default_config_static_selectorELNS0_4arch9wavefront6targetE0EEEvT1_.uses_flat_scratch, 0
	.set _ZN7rocprim17ROCPRIM_400000_NS6detail17trampoline_kernelINS0_14default_configENS1_25partition_config_selectorILNS1_17partition_subalgoE8ElNS0_10empty_typeEbEEZZNS1_14partition_implILS5_8ELb0ES3_jPlPS6_PKS6_NS0_5tupleIJS9_S6_EEENSD_IJSA_SA_EEENS0_18inequality_wrapperIZN2at6native12_GLOBAL__N_124unique_dim_cuda_templateIiEESt5tupleIJNSH_6TensorESM_SM_EERKSM_lbbbEUlllE0_EEPmJS6_EEE10hipError_tPvRmT3_T4_T5_T6_T7_T9_mT8_P12ihipStream_tbDpT10_ENKUlT_T0_E_clISt17integral_constantIbLb1EES1C_EEDaS17_S18_EUlS17_E_NS1_11comp_targetILNS1_3genE9ELNS1_11target_archE1100ELNS1_3gpuE3ELNS1_3repE0EEENS1_30default_config_static_selectorELNS0_4arch9wavefront6targetE0EEEvT1_.has_dyn_sized_stack, 0
	.set _ZN7rocprim17ROCPRIM_400000_NS6detail17trampoline_kernelINS0_14default_configENS1_25partition_config_selectorILNS1_17partition_subalgoE8ElNS0_10empty_typeEbEEZZNS1_14partition_implILS5_8ELb0ES3_jPlPS6_PKS6_NS0_5tupleIJS9_S6_EEENSD_IJSA_SA_EEENS0_18inequality_wrapperIZN2at6native12_GLOBAL__N_124unique_dim_cuda_templateIiEESt5tupleIJNSH_6TensorESM_SM_EERKSM_lbbbEUlllE0_EEPmJS6_EEE10hipError_tPvRmT3_T4_T5_T6_T7_T9_mT8_P12ihipStream_tbDpT10_ENKUlT_T0_E_clISt17integral_constantIbLb1EES1C_EEDaS17_S18_EUlS17_E_NS1_11comp_targetILNS1_3genE9ELNS1_11target_archE1100ELNS1_3gpuE3ELNS1_3repE0EEENS1_30default_config_static_selectorELNS0_4arch9wavefront6targetE0EEEvT1_.has_recursion, 0
	.set _ZN7rocprim17ROCPRIM_400000_NS6detail17trampoline_kernelINS0_14default_configENS1_25partition_config_selectorILNS1_17partition_subalgoE8ElNS0_10empty_typeEbEEZZNS1_14partition_implILS5_8ELb0ES3_jPlPS6_PKS6_NS0_5tupleIJS9_S6_EEENSD_IJSA_SA_EEENS0_18inequality_wrapperIZN2at6native12_GLOBAL__N_124unique_dim_cuda_templateIiEESt5tupleIJNSH_6TensorESM_SM_EERKSM_lbbbEUlllE0_EEPmJS6_EEE10hipError_tPvRmT3_T4_T5_T6_T7_T9_mT8_P12ihipStream_tbDpT10_ENKUlT_T0_E_clISt17integral_constantIbLb1EES1C_EEDaS17_S18_EUlS17_E_NS1_11comp_targetILNS1_3genE9ELNS1_11target_archE1100ELNS1_3gpuE3ELNS1_3repE0EEENS1_30default_config_static_selectorELNS0_4arch9wavefront6targetE0EEEvT1_.has_indirect_call, 0
	.section	.AMDGPU.csdata,"",@progbits
; Kernel info:
; codeLenInByte = 0
; TotalNumSgprs: 0
; NumVgprs: 0
; ScratchSize: 0
; MemoryBound: 0
; FloatMode: 240
; IeeeMode: 1
; LDSByteSize: 0 bytes/workgroup (compile time only)
; SGPRBlocks: 0
; VGPRBlocks: 0
; NumSGPRsForWavesPerEU: 1
; NumVGPRsForWavesPerEU: 1
; NamedBarCnt: 0
; Occupancy: 16
; WaveLimiterHint : 0
; COMPUTE_PGM_RSRC2:SCRATCH_EN: 0
; COMPUTE_PGM_RSRC2:USER_SGPR: 2
; COMPUTE_PGM_RSRC2:TRAP_HANDLER: 0
; COMPUTE_PGM_RSRC2:TGID_X_EN: 1
; COMPUTE_PGM_RSRC2:TGID_Y_EN: 0
; COMPUTE_PGM_RSRC2:TGID_Z_EN: 0
; COMPUTE_PGM_RSRC2:TIDIG_COMP_CNT: 0
	.section	.text._ZN7rocprim17ROCPRIM_400000_NS6detail17trampoline_kernelINS0_14default_configENS1_25partition_config_selectorILNS1_17partition_subalgoE8ElNS0_10empty_typeEbEEZZNS1_14partition_implILS5_8ELb0ES3_jPlPS6_PKS6_NS0_5tupleIJS9_S6_EEENSD_IJSA_SA_EEENS0_18inequality_wrapperIZN2at6native12_GLOBAL__N_124unique_dim_cuda_templateIiEESt5tupleIJNSH_6TensorESM_SM_EERKSM_lbbbEUlllE0_EEPmJS6_EEE10hipError_tPvRmT3_T4_T5_T6_T7_T9_mT8_P12ihipStream_tbDpT10_ENKUlT_T0_E_clISt17integral_constantIbLb1EES1C_EEDaS17_S18_EUlS17_E_NS1_11comp_targetILNS1_3genE8ELNS1_11target_archE1030ELNS1_3gpuE2ELNS1_3repE0EEENS1_30default_config_static_selectorELNS0_4arch9wavefront6targetE0EEEvT1_,"axG",@progbits,_ZN7rocprim17ROCPRIM_400000_NS6detail17trampoline_kernelINS0_14default_configENS1_25partition_config_selectorILNS1_17partition_subalgoE8ElNS0_10empty_typeEbEEZZNS1_14partition_implILS5_8ELb0ES3_jPlPS6_PKS6_NS0_5tupleIJS9_S6_EEENSD_IJSA_SA_EEENS0_18inequality_wrapperIZN2at6native12_GLOBAL__N_124unique_dim_cuda_templateIiEESt5tupleIJNSH_6TensorESM_SM_EERKSM_lbbbEUlllE0_EEPmJS6_EEE10hipError_tPvRmT3_T4_T5_T6_T7_T9_mT8_P12ihipStream_tbDpT10_ENKUlT_T0_E_clISt17integral_constantIbLb1EES1C_EEDaS17_S18_EUlS17_E_NS1_11comp_targetILNS1_3genE8ELNS1_11target_archE1030ELNS1_3gpuE2ELNS1_3repE0EEENS1_30default_config_static_selectorELNS0_4arch9wavefront6targetE0EEEvT1_,comdat
	.globl	_ZN7rocprim17ROCPRIM_400000_NS6detail17trampoline_kernelINS0_14default_configENS1_25partition_config_selectorILNS1_17partition_subalgoE8ElNS0_10empty_typeEbEEZZNS1_14partition_implILS5_8ELb0ES3_jPlPS6_PKS6_NS0_5tupleIJS9_S6_EEENSD_IJSA_SA_EEENS0_18inequality_wrapperIZN2at6native12_GLOBAL__N_124unique_dim_cuda_templateIiEESt5tupleIJNSH_6TensorESM_SM_EERKSM_lbbbEUlllE0_EEPmJS6_EEE10hipError_tPvRmT3_T4_T5_T6_T7_T9_mT8_P12ihipStream_tbDpT10_ENKUlT_T0_E_clISt17integral_constantIbLb1EES1C_EEDaS17_S18_EUlS17_E_NS1_11comp_targetILNS1_3genE8ELNS1_11target_archE1030ELNS1_3gpuE2ELNS1_3repE0EEENS1_30default_config_static_selectorELNS0_4arch9wavefront6targetE0EEEvT1_ ; -- Begin function _ZN7rocprim17ROCPRIM_400000_NS6detail17trampoline_kernelINS0_14default_configENS1_25partition_config_selectorILNS1_17partition_subalgoE8ElNS0_10empty_typeEbEEZZNS1_14partition_implILS5_8ELb0ES3_jPlPS6_PKS6_NS0_5tupleIJS9_S6_EEENSD_IJSA_SA_EEENS0_18inequality_wrapperIZN2at6native12_GLOBAL__N_124unique_dim_cuda_templateIiEESt5tupleIJNSH_6TensorESM_SM_EERKSM_lbbbEUlllE0_EEPmJS6_EEE10hipError_tPvRmT3_T4_T5_T6_T7_T9_mT8_P12ihipStream_tbDpT10_ENKUlT_T0_E_clISt17integral_constantIbLb1EES1C_EEDaS17_S18_EUlS17_E_NS1_11comp_targetILNS1_3genE8ELNS1_11target_archE1030ELNS1_3gpuE2ELNS1_3repE0EEENS1_30default_config_static_selectorELNS0_4arch9wavefront6targetE0EEEvT1_
	.p2align	8
	.type	_ZN7rocprim17ROCPRIM_400000_NS6detail17trampoline_kernelINS0_14default_configENS1_25partition_config_selectorILNS1_17partition_subalgoE8ElNS0_10empty_typeEbEEZZNS1_14partition_implILS5_8ELb0ES3_jPlPS6_PKS6_NS0_5tupleIJS9_S6_EEENSD_IJSA_SA_EEENS0_18inequality_wrapperIZN2at6native12_GLOBAL__N_124unique_dim_cuda_templateIiEESt5tupleIJNSH_6TensorESM_SM_EERKSM_lbbbEUlllE0_EEPmJS6_EEE10hipError_tPvRmT3_T4_T5_T6_T7_T9_mT8_P12ihipStream_tbDpT10_ENKUlT_T0_E_clISt17integral_constantIbLb1EES1C_EEDaS17_S18_EUlS17_E_NS1_11comp_targetILNS1_3genE8ELNS1_11target_archE1030ELNS1_3gpuE2ELNS1_3repE0EEENS1_30default_config_static_selectorELNS0_4arch9wavefront6targetE0EEEvT1_,@function
_ZN7rocprim17ROCPRIM_400000_NS6detail17trampoline_kernelINS0_14default_configENS1_25partition_config_selectorILNS1_17partition_subalgoE8ElNS0_10empty_typeEbEEZZNS1_14partition_implILS5_8ELb0ES3_jPlPS6_PKS6_NS0_5tupleIJS9_S6_EEENSD_IJSA_SA_EEENS0_18inequality_wrapperIZN2at6native12_GLOBAL__N_124unique_dim_cuda_templateIiEESt5tupleIJNSH_6TensorESM_SM_EERKSM_lbbbEUlllE0_EEPmJS6_EEE10hipError_tPvRmT3_T4_T5_T6_T7_T9_mT8_P12ihipStream_tbDpT10_ENKUlT_T0_E_clISt17integral_constantIbLb1EES1C_EEDaS17_S18_EUlS17_E_NS1_11comp_targetILNS1_3genE8ELNS1_11target_archE1030ELNS1_3gpuE2ELNS1_3repE0EEENS1_30default_config_static_selectorELNS0_4arch9wavefront6targetE0EEEvT1_: ; @_ZN7rocprim17ROCPRIM_400000_NS6detail17trampoline_kernelINS0_14default_configENS1_25partition_config_selectorILNS1_17partition_subalgoE8ElNS0_10empty_typeEbEEZZNS1_14partition_implILS5_8ELb0ES3_jPlPS6_PKS6_NS0_5tupleIJS9_S6_EEENSD_IJSA_SA_EEENS0_18inequality_wrapperIZN2at6native12_GLOBAL__N_124unique_dim_cuda_templateIiEESt5tupleIJNSH_6TensorESM_SM_EERKSM_lbbbEUlllE0_EEPmJS6_EEE10hipError_tPvRmT3_T4_T5_T6_T7_T9_mT8_P12ihipStream_tbDpT10_ENKUlT_T0_E_clISt17integral_constantIbLb1EES1C_EEDaS17_S18_EUlS17_E_NS1_11comp_targetILNS1_3genE8ELNS1_11target_archE1030ELNS1_3gpuE2ELNS1_3repE0EEENS1_30default_config_static_selectorELNS0_4arch9wavefront6targetE0EEEvT1_
; %bb.0:
	.section	.rodata,"a",@progbits
	.p2align	6, 0x0
	.amdhsa_kernel _ZN7rocprim17ROCPRIM_400000_NS6detail17trampoline_kernelINS0_14default_configENS1_25partition_config_selectorILNS1_17partition_subalgoE8ElNS0_10empty_typeEbEEZZNS1_14partition_implILS5_8ELb0ES3_jPlPS6_PKS6_NS0_5tupleIJS9_S6_EEENSD_IJSA_SA_EEENS0_18inequality_wrapperIZN2at6native12_GLOBAL__N_124unique_dim_cuda_templateIiEESt5tupleIJNSH_6TensorESM_SM_EERKSM_lbbbEUlllE0_EEPmJS6_EEE10hipError_tPvRmT3_T4_T5_T6_T7_T9_mT8_P12ihipStream_tbDpT10_ENKUlT_T0_E_clISt17integral_constantIbLb1EES1C_EEDaS17_S18_EUlS17_E_NS1_11comp_targetILNS1_3genE8ELNS1_11target_archE1030ELNS1_3gpuE2ELNS1_3repE0EEENS1_30default_config_static_selectorELNS0_4arch9wavefront6targetE0EEEvT1_
		.amdhsa_group_segment_fixed_size 0
		.amdhsa_private_segment_fixed_size 0
		.amdhsa_kernarg_size 136
		.amdhsa_user_sgpr_count 2
		.amdhsa_user_sgpr_dispatch_ptr 0
		.amdhsa_user_sgpr_queue_ptr 0
		.amdhsa_user_sgpr_kernarg_segment_ptr 1
		.amdhsa_user_sgpr_dispatch_id 0
		.amdhsa_user_sgpr_kernarg_preload_length 0
		.amdhsa_user_sgpr_kernarg_preload_offset 0
		.amdhsa_user_sgpr_private_segment_size 0
		.amdhsa_wavefront_size32 1
		.amdhsa_uses_dynamic_stack 0
		.amdhsa_enable_private_segment 0
		.amdhsa_system_sgpr_workgroup_id_x 1
		.amdhsa_system_sgpr_workgroup_id_y 0
		.amdhsa_system_sgpr_workgroup_id_z 0
		.amdhsa_system_sgpr_workgroup_info 0
		.amdhsa_system_vgpr_workitem_id 0
		.amdhsa_next_free_vgpr 1
		.amdhsa_next_free_sgpr 1
		.amdhsa_named_barrier_count 0
		.amdhsa_reserve_vcc 0
		.amdhsa_float_round_mode_32 0
		.amdhsa_float_round_mode_16_64 0
		.amdhsa_float_denorm_mode_32 3
		.amdhsa_float_denorm_mode_16_64 3
		.amdhsa_fp16_overflow 0
		.amdhsa_memory_ordered 1
		.amdhsa_forward_progress 1
		.amdhsa_inst_pref_size 0
		.amdhsa_round_robin_scheduling 0
		.amdhsa_exception_fp_ieee_invalid_op 0
		.amdhsa_exception_fp_denorm_src 0
		.amdhsa_exception_fp_ieee_div_zero 0
		.amdhsa_exception_fp_ieee_overflow 0
		.amdhsa_exception_fp_ieee_underflow 0
		.amdhsa_exception_fp_ieee_inexact 0
		.amdhsa_exception_int_div_zero 0
	.end_amdhsa_kernel
	.section	.text._ZN7rocprim17ROCPRIM_400000_NS6detail17trampoline_kernelINS0_14default_configENS1_25partition_config_selectorILNS1_17partition_subalgoE8ElNS0_10empty_typeEbEEZZNS1_14partition_implILS5_8ELb0ES3_jPlPS6_PKS6_NS0_5tupleIJS9_S6_EEENSD_IJSA_SA_EEENS0_18inequality_wrapperIZN2at6native12_GLOBAL__N_124unique_dim_cuda_templateIiEESt5tupleIJNSH_6TensorESM_SM_EERKSM_lbbbEUlllE0_EEPmJS6_EEE10hipError_tPvRmT3_T4_T5_T6_T7_T9_mT8_P12ihipStream_tbDpT10_ENKUlT_T0_E_clISt17integral_constantIbLb1EES1C_EEDaS17_S18_EUlS17_E_NS1_11comp_targetILNS1_3genE8ELNS1_11target_archE1030ELNS1_3gpuE2ELNS1_3repE0EEENS1_30default_config_static_selectorELNS0_4arch9wavefront6targetE0EEEvT1_,"axG",@progbits,_ZN7rocprim17ROCPRIM_400000_NS6detail17trampoline_kernelINS0_14default_configENS1_25partition_config_selectorILNS1_17partition_subalgoE8ElNS0_10empty_typeEbEEZZNS1_14partition_implILS5_8ELb0ES3_jPlPS6_PKS6_NS0_5tupleIJS9_S6_EEENSD_IJSA_SA_EEENS0_18inequality_wrapperIZN2at6native12_GLOBAL__N_124unique_dim_cuda_templateIiEESt5tupleIJNSH_6TensorESM_SM_EERKSM_lbbbEUlllE0_EEPmJS6_EEE10hipError_tPvRmT3_T4_T5_T6_T7_T9_mT8_P12ihipStream_tbDpT10_ENKUlT_T0_E_clISt17integral_constantIbLb1EES1C_EEDaS17_S18_EUlS17_E_NS1_11comp_targetILNS1_3genE8ELNS1_11target_archE1030ELNS1_3gpuE2ELNS1_3repE0EEENS1_30default_config_static_selectorELNS0_4arch9wavefront6targetE0EEEvT1_,comdat
.Lfunc_end456:
	.size	_ZN7rocprim17ROCPRIM_400000_NS6detail17trampoline_kernelINS0_14default_configENS1_25partition_config_selectorILNS1_17partition_subalgoE8ElNS0_10empty_typeEbEEZZNS1_14partition_implILS5_8ELb0ES3_jPlPS6_PKS6_NS0_5tupleIJS9_S6_EEENSD_IJSA_SA_EEENS0_18inequality_wrapperIZN2at6native12_GLOBAL__N_124unique_dim_cuda_templateIiEESt5tupleIJNSH_6TensorESM_SM_EERKSM_lbbbEUlllE0_EEPmJS6_EEE10hipError_tPvRmT3_T4_T5_T6_T7_T9_mT8_P12ihipStream_tbDpT10_ENKUlT_T0_E_clISt17integral_constantIbLb1EES1C_EEDaS17_S18_EUlS17_E_NS1_11comp_targetILNS1_3genE8ELNS1_11target_archE1030ELNS1_3gpuE2ELNS1_3repE0EEENS1_30default_config_static_selectorELNS0_4arch9wavefront6targetE0EEEvT1_, .Lfunc_end456-_ZN7rocprim17ROCPRIM_400000_NS6detail17trampoline_kernelINS0_14default_configENS1_25partition_config_selectorILNS1_17partition_subalgoE8ElNS0_10empty_typeEbEEZZNS1_14partition_implILS5_8ELb0ES3_jPlPS6_PKS6_NS0_5tupleIJS9_S6_EEENSD_IJSA_SA_EEENS0_18inequality_wrapperIZN2at6native12_GLOBAL__N_124unique_dim_cuda_templateIiEESt5tupleIJNSH_6TensorESM_SM_EERKSM_lbbbEUlllE0_EEPmJS6_EEE10hipError_tPvRmT3_T4_T5_T6_T7_T9_mT8_P12ihipStream_tbDpT10_ENKUlT_T0_E_clISt17integral_constantIbLb1EES1C_EEDaS17_S18_EUlS17_E_NS1_11comp_targetILNS1_3genE8ELNS1_11target_archE1030ELNS1_3gpuE2ELNS1_3repE0EEENS1_30default_config_static_selectorELNS0_4arch9wavefront6targetE0EEEvT1_
                                        ; -- End function
	.set _ZN7rocprim17ROCPRIM_400000_NS6detail17trampoline_kernelINS0_14default_configENS1_25partition_config_selectorILNS1_17partition_subalgoE8ElNS0_10empty_typeEbEEZZNS1_14partition_implILS5_8ELb0ES3_jPlPS6_PKS6_NS0_5tupleIJS9_S6_EEENSD_IJSA_SA_EEENS0_18inequality_wrapperIZN2at6native12_GLOBAL__N_124unique_dim_cuda_templateIiEESt5tupleIJNSH_6TensorESM_SM_EERKSM_lbbbEUlllE0_EEPmJS6_EEE10hipError_tPvRmT3_T4_T5_T6_T7_T9_mT8_P12ihipStream_tbDpT10_ENKUlT_T0_E_clISt17integral_constantIbLb1EES1C_EEDaS17_S18_EUlS17_E_NS1_11comp_targetILNS1_3genE8ELNS1_11target_archE1030ELNS1_3gpuE2ELNS1_3repE0EEENS1_30default_config_static_selectorELNS0_4arch9wavefront6targetE0EEEvT1_.num_vgpr, 0
	.set _ZN7rocprim17ROCPRIM_400000_NS6detail17trampoline_kernelINS0_14default_configENS1_25partition_config_selectorILNS1_17partition_subalgoE8ElNS0_10empty_typeEbEEZZNS1_14partition_implILS5_8ELb0ES3_jPlPS6_PKS6_NS0_5tupleIJS9_S6_EEENSD_IJSA_SA_EEENS0_18inequality_wrapperIZN2at6native12_GLOBAL__N_124unique_dim_cuda_templateIiEESt5tupleIJNSH_6TensorESM_SM_EERKSM_lbbbEUlllE0_EEPmJS6_EEE10hipError_tPvRmT3_T4_T5_T6_T7_T9_mT8_P12ihipStream_tbDpT10_ENKUlT_T0_E_clISt17integral_constantIbLb1EES1C_EEDaS17_S18_EUlS17_E_NS1_11comp_targetILNS1_3genE8ELNS1_11target_archE1030ELNS1_3gpuE2ELNS1_3repE0EEENS1_30default_config_static_selectorELNS0_4arch9wavefront6targetE0EEEvT1_.num_agpr, 0
	.set _ZN7rocprim17ROCPRIM_400000_NS6detail17trampoline_kernelINS0_14default_configENS1_25partition_config_selectorILNS1_17partition_subalgoE8ElNS0_10empty_typeEbEEZZNS1_14partition_implILS5_8ELb0ES3_jPlPS6_PKS6_NS0_5tupleIJS9_S6_EEENSD_IJSA_SA_EEENS0_18inequality_wrapperIZN2at6native12_GLOBAL__N_124unique_dim_cuda_templateIiEESt5tupleIJNSH_6TensorESM_SM_EERKSM_lbbbEUlllE0_EEPmJS6_EEE10hipError_tPvRmT3_T4_T5_T6_T7_T9_mT8_P12ihipStream_tbDpT10_ENKUlT_T0_E_clISt17integral_constantIbLb1EES1C_EEDaS17_S18_EUlS17_E_NS1_11comp_targetILNS1_3genE8ELNS1_11target_archE1030ELNS1_3gpuE2ELNS1_3repE0EEENS1_30default_config_static_selectorELNS0_4arch9wavefront6targetE0EEEvT1_.numbered_sgpr, 0
	.set _ZN7rocprim17ROCPRIM_400000_NS6detail17trampoline_kernelINS0_14default_configENS1_25partition_config_selectorILNS1_17partition_subalgoE8ElNS0_10empty_typeEbEEZZNS1_14partition_implILS5_8ELb0ES3_jPlPS6_PKS6_NS0_5tupleIJS9_S6_EEENSD_IJSA_SA_EEENS0_18inequality_wrapperIZN2at6native12_GLOBAL__N_124unique_dim_cuda_templateIiEESt5tupleIJNSH_6TensorESM_SM_EERKSM_lbbbEUlllE0_EEPmJS6_EEE10hipError_tPvRmT3_T4_T5_T6_T7_T9_mT8_P12ihipStream_tbDpT10_ENKUlT_T0_E_clISt17integral_constantIbLb1EES1C_EEDaS17_S18_EUlS17_E_NS1_11comp_targetILNS1_3genE8ELNS1_11target_archE1030ELNS1_3gpuE2ELNS1_3repE0EEENS1_30default_config_static_selectorELNS0_4arch9wavefront6targetE0EEEvT1_.num_named_barrier, 0
	.set _ZN7rocprim17ROCPRIM_400000_NS6detail17trampoline_kernelINS0_14default_configENS1_25partition_config_selectorILNS1_17partition_subalgoE8ElNS0_10empty_typeEbEEZZNS1_14partition_implILS5_8ELb0ES3_jPlPS6_PKS6_NS0_5tupleIJS9_S6_EEENSD_IJSA_SA_EEENS0_18inequality_wrapperIZN2at6native12_GLOBAL__N_124unique_dim_cuda_templateIiEESt5tupleIJNSH_6TensorESM_SM_EERKSM_lbbbEUlllE0_EEPmJS6_EEE10hipError_tPvRmT3_T4_T5_T6_T7_T9_mT8_P12ihipStream_tbDpT10_ENKUlT_T0_E_clISt17integral_constantIbLb1EES1C_EEDaS17_S18_EUlS17_E_NS1_11comp_targetILNS1_3genE8ELNS1_11target_archE1030ELNS1_3gpuE2ELNS1_3repE0EEENS1_30default_config_static_selectorELNS0_4arch9wavefront6targetE0EEEvT1_.private_seg_size, 0
	.set _ZN7rocprim17ROCPRIM_400000_NS6detail17trampoline_kernelINS0_14default_configENS1_25partition_config_selectorILNS1_17partition_subalgoE8ElNS0_10empty_typeEbEEZZNS1_14partition_implILS5_8ELb0ES3_jPlPS6_PKS6_NS0_5tupleIJS9_S6_EEENSD_IJSA_SA_EEENS0_18inequality_wrapperIZN2at6native12_GLOBAL__N_124unique_dim_cuda_templateIiEESt5tupleIJNSH_6TensorESM_SM_EERKSM_lbbbEUlllE0_EEPmJS6_EEE10hipError_tPvRmT3_T4_T5_T6_T7_T9_mT8_P12ihipStream_tbDpT10_ENKUlT_T0_E_clISt17integral_constantIbLb1EES1C_EEDaS17_S18_EUlS17_E_NS1_11comp_targetILNS1_3genE8ELNS1_11target_archE1030ELNS1_3gpuE2ELNS1_3repE0EEENS1_30default_config_static_selectorELNS0_4arch9wavefront6targetE0EEEvT1_.uses_vcc, 0
	.set _ZN7rocprim17ROCPRIM_400000_NS6detail17trampoline_kernelINS0_14default_configENS1_25partition_config_selectorILNS1_17partition_subalgoE8ElNS0_10empty_typeEbEEZZNS1_14partition_implILS5_8ELb0ES3_jPlPS6_PKS6_NS0_5tupleIJS9_S6_EEENSD_IJSA_SA_EEENS0_18inequality_wrapperIZN2at6native12_GLOBAL__N_124unique_dim_cuda_templateIiEESt5tupleIJNSH_6TensorESM_SM_EERKSM_lbbbEUlllE0_EEPmJS6_EEE10hipError_tPvRmT3_T4_T5_T6_T7_T9_mT8_P12ihipStream_tbDpT10_ENKUlT_T0_E_clISt17integral_constantIbLb1EES1C_EEDaS17_S18_EUlS17_E_NS1_11comp_targetILNS1_3genE8ELNS1_11target_archE1030ELNS1_3gpuE2ELNS1_3repE0EEENS1_30default_config_static_selectorELNS0_4arch9wavefront6targetE0EEEvT1_.uses_flat_scratch, 0
	.set _ZN7rocprim17ROCPRIM_400000_NS6detail17trampoline_kernelINS0_14default_configENS1_25partition_config_selectorILNS1_17partition_subalgoE8ElNS0_10empty_typeEbEEZZNS1_14partition_implILS5_8ELb0ES3_jPlPS6_PKS6_NS0_5tupleIJS9_S6_EEENSD_IJSA_SA_EEENS0_18inequality_wrapperIZN2at6native12_GLOBAL__N_124unique_dim_cuda_templateIiEESt5tupleIJNSH_6TensorESM_SM_EERKSM_lbbbEUlllE0_EEPmJS6_EEE10hipError_tPvRmT3_T4_T5_T6_T7_T9_mT8_P12ihipStream_tbDpT10_ENKUlT_T0_E_clISt17integral_constantIbLb1EES1C_EEDaS17_S18_EUlS17_E_NS1_11comp_targetILNS1_3genE8ELNS1_11target_archE1030ELNS1_3gpuE2ELNS1_3repE0EEENS1_30default_config_static_selectorELNS0_4arch9wavefront6targetE0EEEvT1_.has_dyn_sized_stack, 0
	.set _ZN7rocprim17ROCPRIM_400000_NS6detail17trampoline_kernelINS0_14default_configENS1_25partition_config_selectorILNS1_17partition_subalgoE8ElNS0_10empty_typeEbEEZZNS1_14partition_implILS5_8ELb0ES3_jPlPS6_PKS6_NS0_5tupleIJS9_S6_EEENSD_IJSA_SA_EEENS0_18inequality_wrapperIZN2at6native12_GLOBAL__N_124unique_dim_cuda_templateIiEESt5tupleIJNSH_6TensorESM_SM_EERKSM_lbbbEUlllE0_EEPmJS6_EEE10hipError_tPvRmT3_T4_T5_T6_T7_T9_mT8_P12ihipStream_tbDpT10_ENKUlT_T0_E_clISt17integral_constantIbLb1EES1C_EEDaS17_S18_EUlS17_E_NS1_11comp_targetILNS1_3genE8ELNS1_11target_archE1030ELNS1_3gpuE2ELNS1_3repE0EEENS1_30default_config_static_selectorELNS0_4arch9wavefront6targetE0EEEvT1_.has_recursion, 0
	.set _ZN7rocprim17ROCPRIM_400000_NS6detail17trampoline_kernelINS0_14default_configENS1_25partition_config_selectorILNS1_17partition_subalgoE8ElNS0_10empty_typeEbEEZZNS1_14partition_implILS5_8ELb0ES3_jPlPS6_PKS6_NS0_5tupleIJS9_S6_EEENSD_IJSA_SA_EEENS0_18inequality_wrapperIZN2at6native12_GLOBAL__N_124unique_dim_cuda_templateIiEESt5tupleIJNSH_6TensorESM_SM_EERKSM_lbbbEUlllE0_EEPmJS6_EEE10hipError_tPvRmT3_T4_T5_T6_T7_T9_mT8_P12ihipStream_tbDpT10_ENKUlT_T0_E_clISt17integral_constantIbLb1EES1C_EEDaS17_S18_EUlS17_E_NS1_11comp_targetILNS1_3genE8ELNS1_11target_archE1030ELNS1_3gpuE2ELNS1_3repE0EEENS1_30default_config_static_selectorELNS0_4arch9wavefront6targetE0EEEvT1_.has_indirect_call, 0
	.section	.AMDGPU.csdata,"",@progbits
; Kernel info:
; codeLenInByte = 0
; TotalNumSgprs: 0
; NumVgprs: 0
; ScratchSize: 0
; MemoryBound: 0
; FloatMode: 240
; IeeeMode: 1
; LDSByteSize: 0 bytes/workgroup (compile time only)
; SGPRBlocks: 0
; VGPRBlocks: 0
; NumSGPRsForWavesPerEU: 1
; NumVGPRsForWavesPerEU: 1
; NamedBarCnt: 0
; Occupancy: 16
; WaveLimiterHint : 0
; COMPUTE_PGM_RSRC2:SCRATCH_EN: 0
; COMPUTE_PGM_RSRC2:USER_SGPR: 2
; COMPUTE_PGM_RSRC2:TRAP_HANDLER: 0
; COMPUTE_PGM_RSRC2:TGID_X_EN: 1
; COMPUTE_PGM_RSRC2:TGID_Y_EN: 0
; COMPUTE_PGM_RSRC2:TGID_Z_EN: 0
; COMPUTE_PGM_RSRC2:TIDIG_COMP_CNT: 0
	.section	.text._ZN7rocprim17ROCPRIM_400000_NS6detail17trampoline_kernelINS0_14default_configENS1_25partition_config_selectorILNS1_17partition_subalgoE8ElNS0_10empty_typeEbEEZZNS1_14partition_implILS5_8ELb0ES3_jPlPS6_PKS6_NS0_5tupleIJS9_S6_EEENSD_IJSA_SA_EEENS0_18inequality_wrapperIZN2at6native12_GLOBAL__N_124unique_dim_cuda_templateIiEESt5tupleIJNSH_6TensorESM_SM_EERKSM_lbbbEUlllE0_EEPmJS6_EEE10hipError_tPvRmT3_T4_T5_T6_T7_T9_mT8_P12ihipStream_tbDpT10_ENKUlT_T0_E_clISt17integral_constantIbLb1EES1B_IbLb0EEEEDaS17_S18_EUlS17_E_NS1_11comp_targetILNS1_3genE0ELNS1_11target_archE4294967295ELNS1_3gpuE0ELNS1_3repE0EEENS1_30default_config_static_selectorELNS0_4arch9wavefront6targetE0EEEvT1_,"axG",@progbits,_ZN7rocprim17ROCPRIM_400000_NS6detail17trampoline_kernelINS0_14default_configENS1_25partition_config_selectorILNS1_17partition_subalgoE8ElNS0_10empty_typeEbEEZZNS1_14partition_implILS5_8ELb0ES3_jPlPS6_PKS6_NS0_5tupleIJS9_S6_EEENSD_IJSA_SA_EEENS0_18inequality_wrapperIZN2at6native12_GLOBAL__N_124unique_dim_cuda_templateIiEESt5tupleIJNSH_6TensorESM_SM_EERKSM_lbbbEUlllE0_EEPmJS6_EEE10hipError_tPvRmT3_T4_T5_T6_T7_T9_mT8_P12ihipStream_tbDpT10_ENKUlT_T0_E_clISt17integral_constantIbLb1EES1B_IbLb0EEEEDaS17_S18_EUlS17_E_NS1_11comp_targetILNS1_3genE0ELNS1_11target_archE4294967295ELNS1_3gpuE0ELNS1_3repE0EEENS1_30default_config_static_selectorELNS0_4arch9wavefront6targetE0EEEvT1_,comdat
	.globl	_ZN7rocprim17ROCPRIM_400000_NS6detail17trampoline_kernelINS0_14default_configENS1_25partition_config_selectorILNS1_17partition_subalgoE8ElNS0_10empty_typeEbEEZZNS1_14partition_implILS5_8ELb0ES3_jPlPS6_PKS6_NS0_5tupleIJS9_S6_EEENSD_IJSA_SA_EEENS0_18inequality_wrapperIZN2at6native12_GLOBAL__N_124unique_dim_cuda_templateIiEESt5tupleIJNSH_6TensorESM_SM_EERKSM_lbbbEUlllE0_EEPmJS6_EEE10hipError_tPvRmT3_T4_T5_T6_T7_T9_mT8_P12ihipStream_tbDpT10_ENKUlT_T0_E_clISt17integral_constantIbLb1EES1B_IbLb0EEEEDaS17_S18_EUlS17_E_NS1_11comp_targetILNS1_3genE0ELNS1_11target_archE4294967295ELNS1_3gpuE0ELNS1_3repE0EEENS1_30default_config_static_selectorELNS0_4arch9wavefront6targetE0EEEvT1_ ; -- Begin function _ZN7rocprim17ROCPRIM_400000_NS6detail17trampoline_kernelINS0_14default_configENS1_25partition_config_selectorILNS1_17partition_subalgoE8ElNS0_10empty_typeEbEEZZNS1_14partition_implILS5_8ELb0ES3_jPlPS6_PKS6_NS0_5tupleIJS9_S6_EEENSD_IJSA_SA_EEENS0_18inequality_wrapperIZN2at6native12_GLOBAL__N_124unique_dim_cuda_templateIiEESt5tupleIJNSH_6TensorESM_SM_EERKSM_lbbbEUlllE0_EEPmJS6_EEE10hipError_tPvRmT3_T4_T5_T6_T7_T9_mT8_P12ihipStream_tbDpT10_ENKUlT_T0_E_clISt17integral_constantIbLb1EES1B_IbLb0EEEEDaS17_S18_EUlS17_E_NS1_11comp_targetILNS1_3genE0ELNS1_11target_archE4294967295ELNS1_3gpuE0ELNS1_3repE0EEENS1_30default_config_static_selectorELNS0_4arch9wavefront6targetE0EEEvT1_
	.p2align	8
	.type	_ZN7rocprim17ROCPRIM_400000_NS6detail17trampoline_kernelINS0_14default_configENS1_25partition_config_selectorILNS1_17partition_subalgoE8ElNS0_10empty_typeEbEEZZNS1_14partition_implILS5_8ELb0ES3_jPlPS6_PKS6_NS0_5tupleIJS9_S6_EEENSD_IJSA_SA_EEENS0_18inequality_wrapperIZN2at6native12_GLOBAL__N_124unique_dim_cuda_templateIiEESt5tupleIJNSH_6TensorESM_SM_EERKSM_lbbbEUlllE0_EEPmJS6_EEE10hipError_tPvRmT3_T4_T5_T6_T7_T9_mT8_P12ihipStream_tbDpT10_ENKUlT_T0_E_clISt17integral_constantIbLb1EES1B_IbLb0EEEEDaS17_S18_EUlS17_E_NS1_11comp_targetILNS1_3genE0ELNS1_11target_archE4294967295ELNS1_3gpuE0ELNS1_3repE0EEENS1_30default_config_static_selectorELNS0_4arch9wavefront6targetE0EEEvT1_,@function
_ZN7rocprim17ROCPRIM_400000_NS6detail17trampoline_kernelINS0_14default_configENS1_25partition_config_selectorILNS1_17partition_subalgoE8ElNS0_10empty_typeEbEEZZNS1_14partition_implILS5_8ELb0ES3_jPlPS6_PKS6_NS0_5tupleIJS9_S6_EEENSD_IJSA_SA_EEENS0_18inequality_wrapperIZN2at6native12_GLOBAL__N_124unique_dim_cuda_templateIiEESt5tupleIJNSH_6TensorESM_SM_EERKSM_lbbbEUlllE0_EEPmJS6_EEE10hipError_tPvRmT3_T4_T5_T6_T7_T9_mT8_P12ihipStream_tbDpT10_ENKUlT_T0_E_clISt17integral_constantIbLb1EES1B_IbLb0EEEEDaS17_S18_EUlS17_E_NS1_11comp_targetILNS1_3genE0ELNS1_11target_archE4294967295ELNS1_3gpuE0ELNS1_3repE0EEENS1_30default_config_static_selectorELNS0_4arch9wavefront6targetE0EEEvT1_: ; @_ZN7rocprim17ROCPRIM_400000_NS6detail17trampoline_kernelINS0_14default_configENS1_25partition_config_selectorILNS1_17partition_subalgoE8ElNS0_10empty_typeEbEEZZNS1_14partition_implILS5_8ELb0ES3_jPlPS6_PKS6_NS0_5tupleIJS9_S6_EEENSD_IJSA_SA_EEENS0_18inequality_wrapperIZN2at6native12_GLOBAL__N_124unique_dim_cuda_templateIiEESt5tupleIJNSH_6TensorESM_SM_EERKSM_lbbbEUlllE0_EEPmJS6_EEE10hipError_tPvRmT3_T4_T5_T6_T7_T9_mT8_P12ihipStream_tbDpT10_ENKUlT_T0_E_clISt17integral_constantIbLb1EES1B_IbLb0EEEEDaS17_S18_EUlS17_E_NS1_11comp_targetILNS1_3genE0ELNS1_11target_archE4294967295ELNS1_3gpuE0ELNS1_3repE0EEENS1_30default_config_static_selectorELNS0_4arch9wavefront6targetE0EEEvT1_
; %bb.0:
	s_endpgm
	.section	.rodata,"a",@progbits
	.p2align	6, 0x0
	.amdhsa_kernel _ZN7rocprim17ROCPRIM_400000_NS6detail17trampoline_kernelINS0_14default_configENS1_25partition_config_selectorILNS1_17partition_subalgoE8ElNS0_10empty_typeEbEEZZNS1_14partition_implILS5_8ELb0ES3_jPlPS6_PKS6_NS0_5tupleIJS9_S6_EEENSD_IJSA_SA_EEENS0_18inequality_wrapperIZN2at6native12_GLOBAL__N_124unique_dim_cuda_templateIiEESt5tupleIJNSH_6TensorESM_SM_EERKSM_lbbbEUlllE0_EEPmJS6_EEE10hipError_tPvRmT3_T4_T5_T6_T7_T9_mT8_P12ihipStream_tbDpT10_ENKUlT_T0_E_clISt17integral_constantIbLb1EES1B_IbLb0EEEEDaS17_S18_EUlS17_E_NS1_11comp_targetILNS1_3genE0ELNS1_11target_archE4294967295ELNS1_3gpuE0ELNS1_3repE0EEENS1_30default_config_static_selectorELNS0_4arch9wavefront6targetE0EEEvT1_
		.amdhsa_group_segment_fixed_size 0
		.amdhsa_private_segment_fixed_size 0
		.amdhsa_kernarg_size 120
		.amdhsa_user_sgpr_count 2
		.amdhsa_user_sgpr_dispatch_ptr 0
		.amdhsa_user_sgpr_queue_ptr 0
		.amdhsa_user_sgpr_kernarg_segment_ptr 1
		.amdhsa_user_sgpr_dispatch_id 0
		.amdhsa_user_sgpr_kernarg_preload_length 0
		.amdhsa_user_sgpr_kernarg_preload_offset 0
		.amdhsa_user_sgpr_private_segment_size 0
		.amdhsa_wavefront_size32 1
		.amdhsa_uses_dynamic_stack 0
		.amdhsa_enable_private_segment 0
		.amdhsa_system_sgpr_workgroup_id_x 1
		.amdhsa_system_sgpr_workgroup_id_y 0
		.amdhsa_system_sgpr_workgroup_id_z 0
		.amdhsa_system_sgpr_workgroup_info 0
		.amdhsa_system_vgpr_workitem_id 0
		.amdhsa_next_free_vgpr 1
		.amdhsa_next_free_sgpr 1
		.amdhsa_named_barrier_count 0
		.amdhsa_reserve_vcc 0
		.amdhsa_float_round_mode_32 0
		.amdhsa_float_round_mode_16_64 0
		.amdhsa_float_denorm_mode_32 3
		.amdhsa_float_denorm_mode_16_64 3
		.amdhsa_fp16_overflow 0
		.amdhsa_memory_ordered 1
		.amdhsa_forward_progress 1
		.amdhsa_inst_pref_size 1
		.amdhsa_round_robin_scheduling 0
		.amdhsa_exception_fp_ieee_invalid_op 0
		.amdhsa_exception_fp_denorm_src 0
		.amdhsa_exception_fp_ieee_div_zero 0
		.amdhsa_exception_fp_ieee_overflow 0
		.amdhsa_exception_fp_ieee_underflow 0
		.amdhsa_exception_fp_ieee_inexact 0
		.amdhsa_exception_int_div_zero 0
	.end_amdhsa_kernel
	.section	.text._ZN7rocprim17ROCPRIM_400000_NS6detail17trampoline_kernelINS0_14default_configENS1_25partition_config_selectorILNS1_17partition_subalgoE8ElNS0_10empty_typeEbEEZZNS1_14partition_implILS5_8ELb0ES3_jPlPS6_PKS6_NS0_5tupleIJS9_S6_EEENSD_IJSA_SA_EEENS0_18inequality_wrapperIZN2at6native12_GLOBAL__N_124unique_dim_cuda_templateIiEESt5tupleIJNSH_6TensorESM_SM_EERKSM_lbbbEUlllE0_EEPmJS6_EEE10hipError_tPvRmT3_T4_T5_T6_T7_T9_mT8_P12ihipStream_tbDpT10_ENKUlT_T0_E_clISt17integral_constantIbLb1EES1B_IbLb0EEEEDaS17_S18_EUlS17_E_NS1_11comp_targetILNS1_3genE0ELNS1_11target_archE4294967295ELNS1_3gpuE0ELNS1_3repE0EEENS1_30default_config_static_selectorELNS0_4arch9wavefront6targetE0EEEvT1_,"axG",@progbits,_ZN7rocprim17ROCPRIM_400000_NS6detail17trampoline_kernelINS0_14default_configENS1_25partition_config_selectorILNS1_17partition_subalgoE8ElNS0_10empty_typeEbEEZZNS1_14partition_implILS5_8ELb0ES3_jPlPS6_PKS6_NS0_5tupleIJS9_S6_EEENSD_IJSA_SA_EEENS0_18inequality_wrapperIZN2at6native12_GLOBAL__N_124unique_dim_cuda_templateIiEESt5tupleIJNSH_6TensorESM_SM_EERKSM_lbbbEUlllE0_EEPmJS6_EEE10hipError_tPvRmT3_T4_T5_T6_T7_T9_mT8_P12ihipStream_tbDpT10_ENKUlT_T0_E_clISt17integral_constantIbLb1EES1B_IbLb0EEEEDaS17_S18_EUlS17_E_NS1_11comp_targetILNS1_3genE0ELNS1_11target_archE4294967295ELNS1_3gpuE0ELNS1_3repE0EEENS1_30default_config_static_selectorELNS0_4arch9wavefront6targetE0EEEvT1_,comdat
.Lfunc_end457:
	.size	_ZN7rocprim17ROCPRIM_400000_NS6detail17trampoline_kernelINS0_14default_configENS1_25partition_config_selectorILNS1_17partition_subalgoE8ElNS0_10empty_typeEbEEZZNS1_14partition_implILS5_8ELb0ES3_jPlPS6_PKS6_NS0_5tupleIJS9_S6_EEENSD_IJSA_SA_EEENS0_18inequality_wrapperIZN2at6native12_GLOBAL__N_124unique_dim_cuda_templateIiEESt5tupleIJNSH_6TensorESM_SM_EERKSM_lbbbEUlllE0_EEPmJS6_EEE10hipError_tPvRmT3_T4_T5_T6_T7_T9_mT8_P12ihipStream_tbDpT10_ENKUlT_T0_E_clISt17integral_constantIbLb1EES1B_IbLb0EEEEDaS17_S18_EUlS17_E_NS1_11comp_targetILNS1_3genE0ELNS1_11target_archE4294967295ELNS1_3gpuE0ELNS1_3repE0EEENS1_30default_config_static_selectorELNS0_4arch9wavefront6targetE0EEEvT1_, .Lfunc_end457-_ZN7rocprim17ROCPRIM_400000_NS6detail17trampoline_kernelINS0_14default_configENS1_25partition_config_selectorILNS1_17partition_subalgoE8ElNS0_10empty_typeEbEEZZNS1_14partition_implILS5_8ELb0ES3_jPlPS6_PKS6_NS0_5tupleIJS9_S6_EEENSD_IJSA_SA_EEENS0_18inequality_wrapperIZN2at6native12_GLOBAL__N_124unique_dim_cuda_templateIiEESt5tupleIJNSH_6TensorESM_SM_EERKSM_lbbbEUlllE0_EEPmJS6_EEE10hipError_tPvRmT3_T4_T5_T6_T7_T9_mT8_P12ihipStream_tbDpT10_ENKUlT_T0_E_clISt17integral_constantIbLb1EES1B_IbLb0EEEEDaS17_S18_EUlS17_E_NS1_11comp_targetILNS1_3genE0ELNS1_11target_archE4294967295ELNS1_3gpuE0ELNS1_3repE0EEENS1_30default_config_static_selectorELNS0_4arch9wavefront6targetE0EEEvT1_
                                        ; -- End function
	.set _ZN7rocprim17ROCPRIM_400000_NS6detail17trampoline_kernelINS0_14default_configENS1_25partition_config_selectorILNS1_17partition_subalgoE8ElNS0_10empty_typeEbEEZZNS1_14partition_implILS5_8ELb0ES3_jPlPS6_PKS6_NS0_5tupleIJS9_S6_EEENSD_IJSA_SA_EEENS0_18inequality_wrapperIZN2at6native12_GLOBAL__N_124unique_dim_cuda_templateIiEESt5tupleIJNSH_6TensorESM_SM_EERKSM_lbbbEUlllE0_EEPmJS6_EEE10hipError_tPvRmT3_T4_T5_T6_T7_T9_mT8_P12ihipStream_tbDpT10_ENKUlT_T0_E_clISt17integral_constantIbLb1EES1B_IbLb0EEEEDaS17_S18_EUlS17_E_NS1_11comp_targetILNS1_3genE0ELNS1_11target_archE4294967295ELNS1_3gpuE0ELNS1_3repE0EEENS1_30default_config_static_selectorELNS0_4arch9wavefront6targetE0EEEvT1_.num_vgpr, 0
	.set _ZN7rocprim17ROCPRIM_400000_NS6detail17trampoline_kernelINS0_14default_configENS1_25partition_config_selectorILNS1_17partition_subalgoE8ElNS0_10empty_typeEbEEZZNS1_14partition_implILS5_8ELb0ES3_jPlPS6_PKS6_NS0_5tupleIJS9_S6_EEENSD_IJSA_SA_EEENS0_18inequality_wrapperIZN2at6native12_GLOBAL__N_124unique_dim_cuda_templateIiEESt5tupleIJNSH_6TensorESM_SM_EERKSM_lbbbEUlllE0_EEPmJS6_EEE10hipError_tPvRmT3_T4_T5_T6_T7_T9_mT8_P12ihipStream_tbDpT10_ENKUlT_T0_E_clISt17integral_constantIbLb1EES1B_IbLb0EEEEDaS17_S18_EUlS17_E_NS1_11comp_targetILNS1_3genE0ELNS1_11target_archE4294967295ELNS1_3gpuE0ELNS1_3repE0EEENS1_30default_config_static_selectorELNS0_4arch9wavefront6targetE0EEEvT1_.num_agpr, 0
	.set _ZN7rocprim17ROCPRIM_400000_NS6detail17trampoline_kernelINS0_14default_configENS1_25partition_config_selectorILNS1_17partition_subalgoE8ElNS0_10empty_typeEbEEZZNS1_14partition_implILS5_8ELb0ES3_jPlPS6_PKS6_NS0_5tupleIJS9_S6_EEENSD_IJSA_SA_EEENS0_18inequality_wrapperIZN2at6native12_GLOBAL__N_124unique_dim_cuda_templateIiEESt5tupleIJNSH_6TensorESM_SM_EERKSM_lbbbEUlllE0_EEPmJS6_EEE10hipError_tPvRmT3_T4_T5_T6_T7_T9_mT8_P12ihipStream_tbDpT10_ENKUlT_T0_E_clISt17integral_constantIbLb1EES1B_IbLb0EEEEDaS17_S18_EUlS17_E_NS1_11comp_targetILNS1_3genE0ELNS1_11target_archE4294967295ELNS1_3gpuE0ELNS1_3repE0EEENS1_30default_config_static_selectorELNS0_4arch9wavefront6targetE0EEEvT1_.numbered_sgpr, 0
	.set _ZN7rocprim17ROCPRIM_400000_NS6detail17trampoline_kernelINS0_14default_configENS1_25partition_config_selectorILNS1_17partition_subalgoE8ElNS0_10empty_typeEbEEZZNS1_14partition_implILS5_8ELb0ES3_jPlPS6_PKS6_NS0_5tupleIJS9_S6_EEENSD_IJSA_SA_EEENS0_18inequality_wrapperIZN2at6native12_GLOBAL__N_124unique_dim_cuda_templateIiEESt5tupleIJNSH_6TensorESM_SM_EERKSM_lbbbEUlllE0_EEPmJS6_EEE10hipError_tPvRmT3_T4_T5_T6_T7_T9_mT8_P12ihipStream_tbDpT10_ENKUlT_T0_E_clISt17integral_constantIbLb1EES1B_IbLb0EEEEDaS17_S18_EUlS17_E_NS1_11comp_targetILNS1_3genE0ELNS1_11target_archE4294967295ELNS1_3gpuE0ELNS1_3repE0EEENS1_30default_config_static_selectorELNS0_4arch9wavefront6targetE0EEEvT1_.num_named_barrier, 0
	.set _ZN7rocprim17ROCPRIM_400000_NS6detail17trampoline_kernelINS0_14default_configENS1_25partition_config_selectorILNS1_17partition_subalgoE8ElNS0_10empty_typeEbEEZZNS1_14partition_implILS5_8ELb0ES3_jPlPS6_PKS6_NS0_5tupleIJS9_S6_EEENSD_IJSA_SA_EEENS0_18inequality_wrapperIZN2at6native12_GLOBAL__N_124unique_dim_cuda_templateIiEESt5tupleIJNSH_6TensorESM_SM_EERKSM_lbbbEUlllE0_EEPmJS6_EEE10hipError_tPvRmT3_T4_T5_T6_T7_T9_mT8_P12ihipStream_tbDpT10_ENKUlT_T0_E_clISt17integral_constantIbLb1EES1B_IbLb0EEEEDaS17_S18_EUlS17_E_NS1_11comp_targetILNS1_3genE0ELNS1_11target_archE4294967295ELNS1_3gpuE0ELNS1_3repE0EEENS1_30default_config_static_selectorELNS0_4arch9wavefront6targetE0EEEvT1_.private_seg_size, 0
	.set _ZN7rocprim17ROCPRIM_400000_NS6detail17trampoline_kernelINS0_14default_configENS1_25partition_config_selectorILNS1_17partition_subalgoE8ElNS0_10empty_typeEbEEZZNS1_14partition_implILS5_8ELb0ES3_jPlPS6_PKS6_NS0_5tupleIJS9_S6_EEENSD_IJSA_SA_EEENS0_18inequality_wrapperIZN2at6native12_GLOBAL__N_124unique_dim_cuda_templateIiEESt5tupleIJNSH_6TensorESM_SM_EERKSM_lbbbEUlllE0_EEPmJS6_EEE10hipError_tPvRmT3_T4_T5_T6_T7_T9_mT8_P12ihipStream_tbDpT10_ENKUlT_T0_E_clISt17integral_constantIbLb1EES1B_IbLb0EEEEDaS17_S18_EUlS17_E_NS1_11comp_targetILNS1_3genE0ELNS1_11target_archE4294967295ELNS1_3gpuE0ELNS1_3repE0EEENS1_30default_config_static_selectorELNS0_4arch9wavefront6targetE0EEEvT1_.uses_vcc, 0
	.set _ZN7rocprim17ROCPRIM_400000_NS6detail17trampoline_kernelINS0_14default_configENS1_25partition_config_selectorILNS1_17partition_subalgoE8ElNS0_10empty_typeEbEEZZNS1_14partition_implILS5_8ELb0ES3_jPlPS6_PKS6_NS0_5tupleIJS9_S6_EEENSD_IJSA_SA_EEENS0_18inequality_wrapperIZN2at6native12_GLOBAL__N_124unique_dim_cuda_templateIiEESt5tupleIJNSH_6TensorESM_SM_EERKSM_lbbbEUlllE0_EEPmJS6_EEE10hipError_tPvRmT3_T4_T5_T6_T7_T9_mT8_P12ihipStream_tbDpT10_ENKUlT_T0_E_clISt17integral_constantIbLb1EES1B_IbLb0EEEEDaS17_S18_EUlS17_E_NS1_11comp_targetILNS1_3genE0ELNS1_11target_archE4294967295ELNS1_3gpuE0ELNS1_3repE0EEENS1_30default_config_static_selectorELNS0_4arch9wavefront6targetE0EEEvT1_.uses_flat_scratch, 0
	.set _ZN7rocprim17ROCPRIM_400000_NS6detail17trampoline_kernelINS0_14default_configENS1_25partition_config_selectorILNS1_17partition_subalgoE8ElNS0_10empty_typeEbEEZZNS1_14partition_implILS5_8ELb0ES3_jPlPS6_PKS6_NS0_5tupleIJS9_S6_EEENSD_IJSA_SA_EEENS0_18inequality_wrapperIZN2at6native12_GLOBAL__N_124unique_dim_cuda_templateIiEESt5tupleIJNSH_6TensorESM_SM_EERKSM_lbbbEUlllE0_EEPmJS6_EEE10hipError_tPvRmT3_T4_T5_T6_T7_T9_mT8_P12ihipStream_tbDpT10_ENKUlT_T0_E_clISt17integral_constantIbLb1EES1B_IbLb0EEEEDaS17_S18_EUlS17_E_NS1_11comp_targetILNS1_3genE0ELNS1_11target_archE4294967295ELNS1_3gpuE0ELNS1_3repE0EEENS1_30default_config_static_selectorELNS0_4arch9wavefront6targetE0EEEvT1_.has_dyn_sized_stack, 0
	.set _ZN7rocprim17ROCPRIM_400000_NS6detail17trampoline_kernelINS0_14default_configENS1_25partition_config_selectorILNS1_17partition_subalgoE8ElNS0_10empty_typeEbEEZZNS1_14partition_implILS5_8ELb0ES3_jPlPS6_PKS6_NS0_5tupleIJS9_S6_EEENSD_IJSA_SA_EEENS0_18inequality_wrapperIZN2at6native12_GLOBAL__N_124unique_dim_cuda_templateIiEESt5tupleIJNSH_6TensorESM_SM_EERKSM_lbbbEUlllE0_EEPmJS6_EEE10hipError_tPvRmT3_T4_T5_T6_T7_T9_mT8_P12ihipStream_tbDpT10_ENKUlT_T0_E_clISt17integral_constantIbLb1EES1B_IbLb0EEEEDaS17_S18_EUlS17_E_NS1_11comp_targetILNS1_3genE0ELNS1_11target_archE4294967295ELNS1_3gpuE0ELNS1_3repE0EEENS1_30default_config_static_selectorELNS0_4arch9wavefront6targetE0EEEvT1_.has_recursion, 0
	.set _ZN7rocprim17ROCPRIM_400000_NS6detail17trampoline_kernelINS0_14default_configENS1_25partition_config_selectorILNS1_17partition_subalgoE8ElNS0_10empty_typeEbEEZZNS1_14partition_implILS5_8ELb0ES3_jPlPS6_PKS6_NS0_5tupleIJS9_S6_EEENSD_IJSA_SA_EEENS0_18inequality_wrapperIZN2at6native12_GLOBAL__N_124unique_dim_cuda_templateIiEESt5tupleIJNSH_6TensorESM_SM_EERKSM_lbbbEUlllE0_EEPmJS6_EEE10hipError_tPvRmT3_T4_T5_T6_T7_T9_mT8_P12ihipStream_tbDpT10_ENKUlT_T0_E_clISt17integral_constantIbLb1EES1B_IbLb0EEEEDaS17_S18_EUlS17_E_NS1_11comp_targetILNS1_3genE0ELNS1_11target_archE4294967295ELNS1_3gpuE0ELNS1_3repE0EEENS1_30default_config_static_selectorELNS0_4arch9wavefront6targetE0EEEvT1_.has_indirect_call, 0
	.section	.AMDGPU.csdata,"",@progbits
; Kernel info:
; codeLenInByte = 4
; TotalNumSgprs: 0
; NumVgprs: 0
; ScratchSize: 0
; MemoryBound: 0
; FloatMode: 240
; IeeeMode: 1
; LDSByteSize: 0 bytes/workgroup (compile time only)
; SGPRBlocks: 0
; VGPRBlocks: 0
; NumSGPRsForWavesPerEU: 1
; NumVGPRsForWavesPerEU: 1
; NamedBarCnt: 0
; Occupancy: 16
; WaveLimiterHint : 0
; COMPUTE_PGM_RSRC2:SCRATCH_EN: 0
; COMPUTE_PGM_RSRC2:USER_SGPR: 2
; COMPUTE_PGM_RSRC2:TRAP_HANDLER: 0
; COMPUTE_PGM_RSRC2:TGID_X_EN: 1
; COMPUTE_PGM_RSRC2:TGID_Y_EN: 0
; COMPUTE_PGM_RSRC2:TGID_Z_EN: 0
; COMPUTE_PGM_RSRC2:TIDIG_COMP_CNT: 0
	.section	.text._ZN7rocprim17ROCPRIM_400000_NS6detail17trampoline_kernelINS0_14default_configENS1_25partition_config_selectorILNS1_17partition_subalgoE8ElNS0_10empty_typeEbEEZZNS1_14partition_implILS5_8ELb0ES3_jPlPS6_PKS6_NS0_5tupleIJS9_S6_EEENSD_IJSA_SA_EEENS0_18inequality_wrapperIZN2at6native12_GLOBAL__N_124unique_dim_cuda_templateIiEESt5tupleIJNSH_6TensorESM_SM_EERKSM_lbbbEUlllE0_EEPmJS6_EEE10hipError_tPvRmT3_T4_T5_T6_T7_T9_mT8_P12ihipStream_tbDpT10_ENKUlT_T0_E_clISt17integral_constantIbLb1EES1B_IbLb0EEEEDaS17_S18_EUlS17_E_NS1_11comp_targetILNS1_3genE5ELNS1_11target_archE942ELNS1_3gpuE9ELNS1_3repE0EEENS1_30default_config_static_selectorELNS0_4arch9wavefront6targetE0EEEvT1_,"axG",@progbits,_ZN7rocprim17ROCPRIM_400000_NS6detail17trampoline_kernelINS0_14default_configENS1_25partition_config_selectorILNS1_17partition_subalgoE8ElNS0_10empty_typeEbEEZZNS1_14partition_implILS5_8ELb0ES3_jPlPS6_PKS6_NS0_5tupleIJS9_S6_EEENSD_IJSA_SA_EEENS0_18inequality_wrapperIZN2at6native12_GLOBAL__N_124unique_dim_cuda_templateIiEESt5tupleIJNSH_6TensorESM_SM_EERKSM_lbbbEUlllE0_EEPmJS6_EEE10hipError_tPvRmT3_T4_T5_T6_T7_T9_mT8_P12ihipStream_tbDpT10_ENKUlT_T0_E_clISt17integral_constantIbLb1EES1B_IbLb0EEEEDaS17_S18_EUlS17_E_NS1_11comp_targetILNS1_3genE5ELNS1_11target_archE942ELNS1_3gpuE9ELNS1_3repE0EEENS1_30default_config_static_selectorELNS0_4arch9wavefront6targetE0EEEvT1_,comdat
	.globl	_ZN7rocprim17ROCPRIM_400000_NS6detail17trampoline_kernelINS0_14default_configENS1_25partition_config_selectorILNS1_17partition_subalgoE8ElNS0_10empty_typeEbEEZZNS1_14partition_implILS5_8ELb0ES3_jPlPS6_PKS6_NS0_5tupleIJS9_S6_EEENSD_IJSA_SA_EEENS0_18inequality_wrapperIZN2at6native12_GLOBAL__N_124unique_dim_cuda_templateIiEESt5tupleIJNSH_6TensorESM_SM_EERKSM_lbbbEUlllE0_EEPmJS6_EEE10hipError_tPvRmT3_T4_T5_T6_T7_T9_mT8_P12ihipStream_tbDpT10_ENKUlT_T0_E_clISt17integral_constantIbLb1EES1B_IbLb0EEEEDaS17_S18_EUlS17_E_NS1_11comp_targetILNS1_3genE5ELNS1_11target_archE942ELNS1_3gpuE9ELNS1_3repE0EEENS1_30default_config_static_selectorELNS0_4arch9wavefront6targetE0EEEvT1_ ; -- Begin function _ZN7rocprim17ROCPRIM_400000_NS6detail17trampoline_kernelINS0_14default_configENS1_25partition_config_selectorILNS1_17partition_subalgoE8ElNS0_10empty_typeEbEEZZNS1_14partition_implILS5_8ELb0ES3_jPlPS6_PKS6_NS0_5tupleIJS9_S6_EEENSD_IJSA_SA_EEENS0_18inequality_wrapperIZN2at6native12_GLOBAL__N_124unique_dim_cuda_templateIiEESt5tupleIJNSH_6TensorESM_SM_EERKSM_lbbbEUlllE0_EEPmJS6_EEE10hipError_tPvRmT3_T4_T5_T6_T7_T9_mT8_P12ihipStream_tbDpT10_ENKUlT_T0_E_clISt17integral_constantIbLb1EES1B_IbLb0EEEEDaS17_S18_EUlS17_E_NS1_11comp_targetILNS1_3genE5ELNS1_11target_archE942ELNS1_3gpuE9ELNS1_3repE0EEENS1_30default_config_static_selectorELNS0_4arch9wavefront6targetE0EEEvT1_
	.p2align	8
	.type	_ZN7rocprim17ROCPRIM_400000_NS6detail17trampoline_kernelINS0_14default_configENS1_25partition_config_selectorILNS1_17partition_subalgoE8ElNS0_10empty_typeEbEEZZNS1_14partition_implILS5_8ELb0ES3_jPlPS6_PKS6_NS0_5tupleIJS9_S6_EEENSD_IJSA_SA_EEENS0_18inequality_wrapperIZN2at6native12_GLOBAL__N_124unique_dim_cuda_templateIiEESt5tupleIJNSH_6TensorESM_SM_EERKSM_lbbbEUlllE0_EEPmJS6_EEE10hipError_tPvRmT3_T4_T5_T6_T7_T9_mT8_P12ihipStream_tbDpT10_ENKUlT_T0_E_clISt17integral_constantIbLb1EES1B_IbLb0EEEEDaS17_S18_EUlS17_E_NS1_11comp_targetILNS1_3genE5ELNS1_11target_archE942ELNS1_3gpuE9ELNS1_3repE0EEENS1_30default_config_static_selectorELNS0_4arch9wavefront6targetE0EEEvT1_,@function
_ZN7rocprim17ROCPRIM_400000_NS6detail17trampoline_kernelINS0_14default_configENS1_25partition_config_selectorILNS1_17partition_subalgoE8ElNS0_10empty_typeEbEEZZNS1_14partition_implILS5_8ELb0ES3_jPlPS6_PKS6_NS0_5tupleIJS9_S6_EEENSD_IJSA_SA_EEENS0_18inequality_wrapperIZN2at6native12_GLOBAL__N_124unique_dim_cuda_templateIiEESt5tupleIJNSH_6TensorESM_SM_EERKSM_lbbbEUlllE0_EEPmJS6_EEE10hipError_tPvRmT3_T4_T5_T6_T7_T9_mT8_P12ihipStream_tbDpT10_ENKUlT_T0_E_clISt17integral_constantIbLb1EES1B_IbLb0EEEEDaS17_S18_EUlS17_E_NS1_11comp_targetILNS1_3genE5ELNS1_11target_archE942ELNS1_3gpuE9ELNS1_3repE0EEENS1_30default_config_static_selectorELNS0_4arch9wavefront6targetE0EEEvT1_: ; @_ZN7rocprim17ROCPRIM_400000_NS6detail17trampoline_kernelINS0_14default_configENS1_25partition_config_selectorILNS1_17partition_subalgoE8ElNS0_10empty_typeEbEEZZNS1_14partition_implILS5_8ELb0ES3_jPlPS6_PKS6_NS0_5tupleIJS9_S6_EEENSD_IJSA_SA_EEENS0_18inequality_wrapperIZN2at6native12_GLOBAL__N_124unique_dim_cuda_templateIiEESt5tupleIJNSH_6TensorESM_SM_EERKSM_lbbbEUlllE0_EEPmJS6_EEE10hipError_tPvRmT3_T4_T5_T6_T7_T9_mT8_P12ihipStream_tbDpT10_ENKUlT_T0_E_clISt17integral_constantIbLb1EES1B_IbLb0EEEEDaS17_S18_EUlS17_E_NS1_11comp_targetILNS1_3genE5ELNS1_11target_archE942ELNS1_3gpuE9ELNS1_3repE0EEENS1_30default_config_static_selectorELNS0_4arch9wavefront6targetE0EEEvT1_
; %bb.0:
	.section	.rodata,"a",@progbits
	.p2align	6, 0x0
	.amdhsa_kernel _ZN7rocprim17ROCPRIM_400000_NS6detail17trampoline_kernelINS0_14default_configENS1_25partition_config_selectorILNS1_17partition_subalgoE8ElNS0_10empty_typeEbEEZZNS1_14partition_implILS5_8ELb0ES3_jPlPS6_PKS6_NS0_5tupleIJS9_S6_EEENSD_IJSA_SA_EEENS0_18inequality_wrapperIZN2at6native12_GLOBAL__N_124unique_dim_cuda_templateIiEESt5tupleIJNSH_6TensorESM_SM_EERKSM_lbbbEUlllE0_EEPmJS6_EEE10hipError_tPvRmT3_T4_T5_T6_T7_T9_mT8_P12ihipStream_tbDpT10_ENKUlT_T0_E_clISt17integral_constantIbLb1EES1B_IbLb0EEEEDaS17_S18_EUlS17_E_NS1_11comp_targetILNS1_3genE5ELNS1_11target_archE942ELNS1_3gpuE9ELNS1_3repE0EEENS1_30default_config_static_selectorELNS0_4arch9wavefront6targetE0EEEvT1_
		.amdhsa_group_segment_fixed_size 0
		.amdhsa_private_segment_fixed_size 0
		.amdhsa_kernarg_size 120
		.amdhsa_user_sgpr_count 2
		.amdhsa_user_sgpr_dispatch_ptr 0
		.amdhsa_user_sgpr_queue_ptr 0
		.amdhsa_user_sgpr_kernarg_segment_ptr 1
		.amdhsa_user_sgpr_dispatch_id 0
		.amdhsa_user_sgpr_kernarg_preload_length 0
		.amdhsa_user_sgpr_kernarg_preload_offset 0
		.amdhsa_user_sgpr_private_segment_size 0
		.amdhsa_wavefront_size32 1
		.amdhsa_uses_dynamic_stack 0
		.amdhsa_enable_private_segment 0
		.amdhsa_system_sgpr_workgroup_id_x 1
		.amdhsa_system_sgpr_workgroup_id_y 0
		.amdhsa_system_sgpr_workgroup_id_z 0
		.amdhsa_system_sgpr_workgroup_info 0
		.amdhsa_system_vgpr_workitem_id 0
		.amdhsa_next_free_vgpr 1
		.amdhsa_next_free_sgpr 1
		.amdhsa_named_barrier_count 0
		.amdhsa_reserve_vcc 0
		.amdhsa_float_round_mode_32 0
		.amdhsa_float_round_mode_16_64 0
		.amdhsa_float_denorm_mode_32 3
		.amdhsa_float_denorm_mode_16_64 3
		.amdhsa_fp16_overflow 0
		.amdhsa_memory_ordered 1
		.amdhsa_forward_progress 1
		.amdhsa_inst_pref_size 0
		.amdhsa_round_robin_scheduling 0
		.amdhsa_exception_fp_ieee_invalid_op 0
		.amdhsa_exception_fp_denorm_src 0
		.amdhsa_exception_fp_ieee_div_zero 0
		.amdhsa_exception_fp_ieee_overflow 0
		.amdhsa_exception_fp_ieee_underflow 0
		.amdhsa_exception_fp_ieee_inexact 0
		.amdhsa_exception_int_div_zero 0
	.end_amdhsa_kernel
	.section	.text._ZN7rocprim17ROCPRIM_400000_NS6detail17trampoline_kernelINS0_14default_configENS1_25partition_config_selectorILNS1_17partition_subalgoE8ElNS0_10empty_typeEbEEZZNS1_14partition_implILS5_8ELb0ES3_jPlPS6_PKS6_NS0_5tupleIJS9_S6_EEENSD_IJSA_SA_EEENS0_18inequality_wrapperIZN2at6native12_GLOBAL__N_124unique_dim_cuda_templateIiEESt5tupleIJNSH_6TensorESM_SM_EERKSM_lbbbEUlllE0_EEPmJS6_EEE10hipError_tPvRmT3_T4_T5_T6_T7_T9_mT8_P12ihipStream_tbDpT10_ENKUlT_T0_E_clISt17integral_constantIbLb1EES1B_IbLb0EEEEDaS17_S18_EUlS17_E_NS1_11comp_targetILNS1_3genE5ELNS1_11target_archE942ELNS1_3gpuE9ELNS1_3repE0EEENS1_30default_config_static_selectorELNS0_4arch9wavefront6targetE0EEEvT1_,"axG",@progbits,_ZN7rocprim17ROCPRIM_400000_NS6detail17trampoline_kernelINS0_14default_configENS1_25partition_config_selectorILNS1_17partition_subalgoE8ElNS0_10empty_typeEbEEZZNS1_14partition_implILS5_8ELb0ES3_jPlPS6_PKS6_NS0_5tupleIJS9_S6_EEENSD_IJSA_SA_EEENS0_18inequality_wrapperIZN2at6native12_GLOBAL__N_124unique_dim_cuda_templateIiEESt5tupleIJNSH_6TensorESM_SM_EERKSM_lbbbEUlllE0_EEPmJS6_EEE10hipError_tPvRmT3_T4_T5_T6_T7_T9_mT8_P12ihipStream_tbDpT10_ENKUlT_T0_E_clISt17integral_constantIbLb1EES1B_IbLb0EEEEDaS17_S18_EUlS17_E_NS1_11comp_targetILNS1_3genE5ELNS1_11target_archE942ELNS1_3gpuE9ELNS1_3repE0EEENS1_30default_config_static_selectorELNS0_4arch9wavefront6targetE0EEEvT1_,comdat
.Lfunc_end458:
	.size	_ZN7rocprim17ROCPRIM_400000_NS6detail17trampoline_kernelINS0_14default_configENS1_25partition_config_selectorILNS1_17partition_subalgoE8ElNS0_10empty_typeEbEEZZNS1_14partition_implILS5_8ELb0ES3_jPlPS6_PKS6_NS0_5tupleIJS9_S6_EEENSD_IJSA_SA_EEENS0_18inequality_wrapperIZN2at6native12_GLOBAL__N_124unique_dim_cuda_templateIiEESt5tupleIJNSH_6TensorESM_SM_EERKSM_lbbbEUlllE0_EEPmJS6_EEE10hipError_tPvRmT3_T4_T5_T6_T7_T9_mT8_P12ihipStream_tbDpT10_ENKUlT_T0_E_clISt17integral_constantIbLb1EES1B_IbLb0EEEEDaS17_S18_EUlS17_E_NS1_11comp_targetILNS1_3genE5ELNS1_11target_archE942ELNS1_3gpuE9ELNS1_3repE0EEENS1_30default_config_static_selectorELNS0_4arch9wavefront6targetE0EEEvT1_, .Lfunc_end458-_ZN7rocprim17ROCPRIM_400000_NS6detail17trampoline_kernelINS0_14default_configENS1_25partition_config_selectorILNS1_17partition_subalgoE8ElNS0_10empty_typeEbEEZZNS1_14partition_implILS5_8ELb0ES3_jPlPS6_PKS6_NS0_5tupleIJS9_S6_EEENSD_IJSA_SA_EEENS0_18inequality_wrapperIZN2at6native12_GLOBAL__N_124unique_dim_cuda_templateIiEESt5tupleIJNSH_6TensorESM_SM_EERKSM_lbbbEUlllE0_EEPmJS6_EEE10hipError_tPvRmT3_T4_T5_T6_T7_T9_mT8_P12ihipStream_tbDpT10_ENKUlT_T0_E_clISt17integral_constantIbLb1EES1B_IbLb0EEEEDaS17_S18_EUlS17_E_NS1_11comp_targetILNS1_3genE5ELNS1_11target_archE942ELNS1_3gpuE9ELNS1_3repE0EEENS1_30default_config_static_selectorELNS0_4arch9wavefront6targetE0EEEvT1_
                                        ; -- End function
	.set _ZN7rocprim17ROCPRIM_400000_NS6detail17trampoline_kernelINS0_14default_configENS1_25partition_config_selectorILNS1_17partition_subalgoE8ElNS0_10empty_typeEbEEZZNS1_14partition_implILS5_8ELb0ES3_jPlPS6_PKS6_NS0_5tupleIJS9_S6_EEENSD_IJSA_SA_EEENS0_18inequality_wrapperIZN2at6native12_GLOBAL__N_124unique_dim_cuda_templateIiEESt5tupleIJNSH_6TensorESM_SM_EERKSM_lbbbEUlllE0_EEPmJS6_EEE10hipError_tPvRmT3_T4_T5_T6_T7_T9_mT8_P12ihipStream_tbDpT10_ENKUlT_T0_E_clISt17integral_constantIbLb1EES1B_IbLb0EEEEDaS17_S18_EUlS17_E_NS1_11comp_targetILNS1_3genE5ELNS1_11target_archE942ELNS1_3gpuE9ELNS1_3repE0EEENS1_30default_config_static_selectorELNS0_4arch9wavefront6targetE0EEEvT1_.num_vgpr, 0
	.set _ZN7rocprim17ROCPRIM_400000_NS6detail17trampoline_kernelINS0_14default_configENS1_25partition_config_selectorILNS1_17partition_subalgoE8ElNS0_10empty_typeEbEEZZNS1_14partition_implILS5_8ELb0ES3_jPlPS6_PKS6_NS0_5tupleIJS9_S6_EEENSD_IJSA_SA_EEENS0_18inequality_wrapperIZN2at6native12_GLOBAL__N_124unique_dim_cuda_templateIiEESt5tupleIJNSH_6TensorESM_SM_EERKSM_lbbbEUlllE0_EEPmJS6_EEE10hipError_tPvRmT3_T4_T5_T6_T7_T9_mT8_P12ihipStream_tbDpT10_ENKUlT_T0_E_clISt17integral_constantIbLb1EES1B_IbLb0EEEEDaS17_S18_EUlS17_E_NS1_11comp_targetILNS1_3genE5ELNS1_11target_archE942ELNS1_3gpuE9ELNS1_3repE0EEENS1_30default_config_static_selectorELNS0_4arch9wavefront6targetE0EEEvT1_.num_agpr, 0
	.set _ZN7rocprim17ROCPRIM_400000_NS6detail17trampoline_kernelINS0_14default_configENS1_25partition_config_selectorILNS1_17partition_subalgoE8ElNS0_10empty_typeEbEEZZNS1_14partition_implILS5_8ELb0ES3_jPlPS6_PKS6_NS0_5tupleIJS9_S6_EEENSD_IJSA_SA_EEENS0_18inequality_wrapperIZN2at6native12_GLOBAL__N_124unique_dim_cuda_templateIiEESt5tupleIJNSH_6TensorESM_SM_EERKSM_lbbbEUlllE0_EEPmJS6_EEE10hipError_tPvRmT3_T4_T5_T6_T7_T9_mT8_P12ihipStream_tbDpT10_ENKUlT_T0_E_clISt17integral_constantIbLb1EES1B_IbLb0EEEEDaS17_S18_EUlS17_E_NS1_11comp_targetILNS1_3genE5ELNS1_11target_archE942ELNS1_3gpuE9ELNS1_3repE0EEENS1_30default_config_static_selectorELNS0_4arch9wavefront6targetE0EEEvT1_.numbered_sgpr, 0
	.set _ZN7rocprim17ROCPRIM_400000_NS6detail17trampoline_kernelINS0_14default_configENS1_25partition_config_selectorILNS1_17partition_subalgoE8ElNS0_10empty_typeEbEEZZNS1_14partition_implILS5_8ELb0ES3_jPlPS6_PKS6_NS0_5tupleIJS9_S6_EEENSD_IJSA_SA_EEENS0_18inequality_wrapperIZN2at6native12_GLOBAL__N_124unique_dim_cuda_templateIiEESt5tupleIJNSH_6TensorESM_SM_EERKSM_lbbbEUlllE0_EEPmJS6_EEE10hipError_tPvRmT3_T4_T5_T6_T7_T9_mT8_P12ihipStream_tbDpT10_ENKUlT_T0_E_clISt17integral_constantIbLb1EES1B_IbLb0EEEEDaS17_S18_EUlS17_E_NS1_11comp_targetILNS1_3genE5ELNS1_11target_archE942ELNS1_3gpuE9ELNS1_3repE0EEENS1_30default_config_static_selectorELNS0_4arch9wavefront6targetE0EEEvT1_.num_named_barrier, 0
	.set _ZN7rocprim17ROCPRIM_400000_NS6detail17trampoline_kernelINS0_14default_configENS1_25partition_config_selectorILNS1_17partition_subalgoE8ElNS0_10empty_typeEbEEZZNS1_14partition_implILS5_8ELb0ES3_jPlPS6_PKS6_NS0_5tupleIJS9_S6_EEENSD_IJSA_SA_EEENS0_18inequality_wrapperIZN2at6native12_GLOBAL__N_124unique_dim_cuda_templateIiEESt5tupleIJNSH_6TensorESM_SM_EERKSM_lbbbEUlllE0_EEPmJS6_EEE10hipError_tPvRmT3_T4_T5_T6_T7_T9_mT8_P12ihipStream_tbDpT10_ENKUlT_T0_E_clISt17integral_constantIbLb1EES1B_IbLb0EEEEDaS17_S18_EUlS17_E_NS1_11comp_targetILNS1_3genE5ELNS1_11target_archE942ELNS1_3gpuE9ELNS1_3repE0EEENS1_30default_config_static_selectorELNS0_4arch9wavefront6targetE0EEEvT1_.private_seg_size, 0
	.set _ZN7rocprim17ROCPRIM_400000_NS6detail17trampoline_kernelINS0_14default_configENS1_25partition_config_selectorILNS1_17partition_subalgoE8ElNS0_10empty_typeEbEEZZNS1_14partition_implILS5_8ELb0ES3_jPlPS6_PKS6_NS0_5tupleIJS9_S6_EEENSD_IJSA_SA_EEENS0_18inequality_wrapperIZN2at6native12_GLOBAL__N_124unique_dim_cuda_templateIiEESt5tupleIJNSH_6TensorESM_SM_EERKSM_lbbbEUlllE0_EEPmJS6_EEE10hipError_tPvRmT3_T4_T5_T6_T7_T9_mT8_P12ihipStream_tbDpT10_ENKUlT_T0_E_clISt17integral_constantIbLb1EES1B_IbLb0EEEEDaS17_S18_EUlS17_E_NS1_11comp_targetILNS1_3genE5ELNS1_11target_archE942ELNS1_3gpuE9ELNS1_3repE0EEENS1_30default_config_static_selectorELNS0_4arch9wavefront6targetE0EEEvT1_.uses_vcc, 0
	.set _ZN7rocprim17ROCPRIM_400000_NS6detail17trampoline_kernelINS0_14default_configENS1_25partition_config_selectorILNS1_17partition_subalgoE8ElNS0_10empty_typeEbEEZZNS1_14partition_implILS5_8ELb0ES3_jPlPS6_PKS6_NS0_5tupleIJS9_S6_EEENSD_IJSA_SA_EEENS0_18inequality_wrapperIZN2at6native12_GLOBAL__N_124unique_dim_cuda_templateIiEESt5tupleIJNSH_6TensorESM_SM_EERKSM_lbbbEUlllE0_EEPmJS6_EEE10hipError_tPvRmT3_T4_T5_T6_T7_T9_mT8_P12ihipStream_tbDpT10_ENKUlT_T0_E_clISt17integral_constantIbLb1EES1B_IbLb0EEEEDaS17_S18_EUlS17_E_NS1_11comp_targetILNS1_3genE5ELNS1_11target_archE942ELNS1_3gpuE9ELNS1_3repE0EEENS1_30default_config_static_selectorELNS0_4arch9wavefront6targetE0EEEvT1_.uses_flat_scratch, 0
	.set _ZN7rocprim17ROCPRIM_400000_NS6detail17trampoline_kernelINS0_14default_configENS1_25partition_config_selectorILNS1_17partition_subalgoE8ElNS0_10empty_typeEbEEZZNS1_14partition_implILS5_8ELb0ES3_jPlPS6_PKS6_NS0_5tupleIJS9_S6_EEENSD_IJSA_SA_EEENS0_18inequality_wrapperIZN2at6native12_GLOBAL__N_124unique_dim_cuda_templateIiEESt5tupleIJNSH_6TensorESM_SM_EERKSM_lbbbEUlllE0_EEPmJS6_EEE10hipError_tPvRmT3_T4_T5_T6_T7_T9_mT8_P12ihipStream_tbDpT10_ENKUlT_T0_E_clISt17integral_constantIbLb1EES1B_IbLb0EEEEDaS17_S18_EUlS17_E_NS1_11comp_targetILNS1_3genE5ELNS1_11target_archE942ELNS1_3gpuE9ELNS1_3repE0EEENS1_30default_config_static_selectorELNS0_4arch9wavefront6targetE0EEEvT1_.has_dyn_sized_stack, 0
	.set _ZN7rocprim17ROCPRIM_400000_NS6detail17trampoline_kernelINS0_14default_configENS1_25partition_config_selectorILNS1_17partition_subalgoE8ElNS0_10empty_typeEbEEZZNS1_14partition_implILS5_8ELb0ES3_jPlPS6_PKS6_NS0_5tupleIJS9_S6_EEENSD_IJSA_SA_EEENS0_18inequality_wrapperIZN2at6native12_GLOBAL__N_124unique_dim_cuda_templateIiEESt5tupleIJNSH_6TensorESM_SM_EERKSM_lbbbEUlllE0_EEPmJS6_EEE10hipError_tPvRmT3_T4_T5_T6_T7_T9_mT8_P12ihipStream_tbDpT10_ENKUlT_T0_E_clISt17integral_constantIbLb1EES1B_IbLb0EEEEDaS17_S18_EUlS17_E_NS1_11comp_targetILNS1_3genE5ELNS1_11target_archE942ELNS1_3gpuE9ELNS1_3repE0EEENS1_30default_config_static_selectorELNS0_4arch9wavefront6targetE0EEEvT1_.has_recursion, 0
	.set _ZN7rocprim17ROCPRIM_400000_NS6detail17trampoline_kernelINS0_14default_configENS1_25partition_config_selectorILNS1_17partition_subalgoE8ElNS0_10empty_typeEbEEZZNS1_14partition_implILS5_8ELb0ES3_jPlPS6_PKS6_NS0_5tupleIJS9_S6_EEENSD_IJSA_SA_EEENS0_18inequality_wrapperIZN2at6native12_GLOBAL__N_124unique_dim_cuda_templateIiEESt5tupleIJNSH_6TensorESM_SM_EERKSM_lbbbEUlllE0_EEPmJS6_EEE10hipError_tPvRmT3_T4_T5_T6_T7_T9_mT8_P12ihipStream_tbDpT10_ENKUlT_T0_E_clISt17integral_constantIbLb1EES1B_IbLb0EEEEDaS17_S18_EUlS17_E_NS1_11comp_targetILNS1_3genE5ELNS1_11target_archE942ELNS1_3gpuE9ELNS1_3repE0EEENS1_30default_config_static_selectorELNS0_4arch9wavefront6targetE0EEEvT1_.has_indirect_call, 0
	.section	.AMDGPU.csdata,"",@progbits
; Kernel info:
; codeLenInByte = 0
; TotalNumSgprs: 0
; NumVgprs: 0
; ScratchSize: 0
; MemoryBound: 0
; FloatMode: 240
; IeeeMode: 1
; LDSByteSize: 0 bytes/workgroup (compile time only)
; SGPRBlocks: 0
; VGPRBlocks: 0
; NumSGPRsForWavesPerEU: 1
; NumVGPRsForWavesPerEU: 1
; NamedBarCnt: 0
; Occupancy: 16
; WaveLimiterHint : 0
; COMPUTE_PGM_RSRC2:SCRATCH_EN: 0
; COMPUTE_PGM_RSRC2:USER_SGPR: 2
; COMPUTE_PGM_RSRC2:TRAP_HANDLER: 0
; COMPUTE_PGM_RSRC2:TGID_X_EN: 1
; COMPUTE_PGM_RSRC2:TGID_Y_EN: 0
; COMPUTE_PGM_RSRC2:TGID_Z_EN: 0
; COMPUTE_PGM_RSRC2:TIDIG_COMP_CNT: 0
	.section	.text._ZN7rocprim17ROCPRIM_400000_NS6detail17trampoline_kernelINS0_14default_configENS1_25partition_config_selectorILNS1_17partition_subalgoE8ElNS0_10empty_typeEbEEZZNS1_14partition_implILS5_8ELb0ES3_jPlPS6_PKS6_NS0_5tupleIJS9_S6_EEENSD_IJSA_SA_EEENS0_18inequality_wrapperIZN2at6native12_GLOBAL__N_124unique_dim_cuda_templateIiEESt5tupleIJNSH_6TensorESM_SM_EERKSM_lbbbEUlllE0_EEPmJS6_EEE10hipError_tPvRmT3_T4_T5_T6_T7_T9_mT8_P12ihipStream_tbDpT10_ENKUlT_T0_E_clISt17integral_constantIbLb1EES1B_IbLb0EEEEDaS17_S18_EUlS17_E_NS1_11comp_targetILNS1_3genE4ELNS1_11target_archE910ELNS1_3gpuE8ELNS1_3repE0EEENS1_30default_config_static_selectorELNS0_4arch9wavefront6targetE0EEEvT1_,"axG",@progbits,_ZN7rocprim17ROCPRIM_400000_NS6detail17trampoline_kernelINS0_14default_configENS1_25partition_config_selectorILNS1_17partition_subalgoE8ElNS0_10empty_typeEbEEZZNS1_14partition_implILS5_8ELb0ES3_jPlPS6_PKS6_NS0_5tupleIJS9_S6_EEENSD_IJSA_SA_EEENS0_18inequality_wrapperIZN2at6native12_GLOBAL__N_124unique_dim_cuda_templateIiEESt5tupleIJNSH_6TensorESM_SM_EERKSM_lbbbEUlllE0_EEPmJS6_EEE10hipError_tPvRmT3_T4_T5_T6_T7_T9_mT8_P12ihipStream_tbDpT10_ENKUlT_T0_E_clISt17integral_constantIbLb1EES1B_IbLb0EEEEDaS17_S18_EUlS17_E_NS1_11comp_targetILNS1_3genE4ELNS1_11target_archE910ELNS1_3gpuE8ELNS1_3repE0EEENS1_30default_config_static_selectorELNS0_4arch9wavefront6targetE0EEEvT1_,comdat
	.globl	_ZN7rocprim17ROCPRIM_400000_NS6detail17trampoline_kernelINS0_14default_configENS1_25partition_config_selectorILNS1_17partition_subalgoE8ElNS0_10empty_typeEbEEZZNS1_14partition_implILS5_8ELb0ES3_jPlPS6_PKS6_NS0_5tupleIJS9_S6_EEENSD_IJSA_SA_EEENS0_18inequality_wrapperIZN2at6native12_GLOBAL__N_124unique_dim_cuda_templateIiEESt5tupleIJNSH_6TensorESM_SM_EERKSM_lbbbEUlllE0_EEPmJS6_EEE10hipError_tPvRmT3_T4_T5_T6_T7_T9_mT8_P12ihipStream_tbDpT10_ENKUlT_T0_E_clISt17integral_constantIbLb1EES1B_IbLb0EEEEDaS17_S18_EUlS17_E_NS1_11comp_targetILNS1_3genE4ELNS1_11target_archE910ELNS1_3gpuE8ELNS1_3repE0EEENS1_30default_config_static_selectorELNS0_4arch9wavefront6targetE0EEEvT1_ ; -- Begin function _ZN7rocprim17ROCPRIM_400000_NS6detail17trampoline_kernelINS0_14default_configENS1_25partition_config_selectorILNS1_17partition_subalgoE8ElNS0_10empty_typeEbEEZZNS1_14partition_implILS5_8ELb0ES3_jPlPS6_PKS6_NS0_5tupleIJS9_S6_EEENSD_IJSA_SA_EEENS0_18inequality_wrapperIZN2at6native12_GLOBAL__N_124unique_dim_cuda_templateIiEESt5tupleIJNSH_6TensorESM_SM_EERKSM_lbbbEUlllE0_EEPmJS6_EEE10hipError_tPvRmT3_T4_T5_T6_T7_T9_mT8_P12ihipStream_tbDpT10_ENKUlT_T0_E_clISt17integral_constantIbLb1EES1B_IbLb0EEEEDaS17_S18_EUlS17_E_NS1_11comp_targetILNS1_3genE4ELNS1_11target_archE910ELNS1_3gpuE8ELNS1_3repE0EEENS1_30default_config_static_selectorELNS0_4arch9wavefront6targetE0EEEvT1_
	.p2align	8
	.type	_ZN7rocprim17ROCPRIM_400000_NS6detail17trampoline_kernelINS0_14default_configENS1_25partition_config_selectorILNS1_17partition_subalgoE8ElNS0_10empty_typeEbEEZZNS1_14partition_implILS5_8ELb0ES3_jPlPS6_PKS6_NS0_5tupleIJS9_S6_EEENSD_IJSA_SA_EEENS0_18inequality_wrapperIZN2at6native12_GLOBAL__N_124unique_dim_cuda_templateIiEESt5tupleIJNSH_6TensorESM_SM_EERKSM_lbbbEUlllE0_EEPmJS6_EEE10hipError_tPvRmT3_T4_T5_T6_T7_T9_mT8_P12ihipStream_tbDpT10_ENKUlT_T0_E_clISt17integral_constantIbLb1EES1B_IbLb0EEEEDaS17_S18_EUlS17_E_NS1_11comp_targetILNS1_3genE4ELNS1_11target_archE910ELNS1_3gpuE8ELNS1_3repE0EEENS1_30default_config_static_selectorELNS0_4arch9wavefront6targetE0EEEvT1_,@function
_ZN7rocprim17ROCPRIM_400000_NS6detail17trampoline_kernelINS0_14default_configENS1_25partition_config_selectorILNS1_17partition_subalgoE8ElNS0_10empty_typeEbEEZZNS1_14partition_implILS5_8ELb0ES3_jPlPS6_PKS6_NS0_5tupleIJS9_S6_EEENSD_IJSA_SA_EEENS0_18inequality_wrapperIZN2at6native12_GLOBAL__N_124unique_dim_cuda_templateIiEESt5tupleIJNSH_6TensorESM_SM_EERKSM_lbbbEUlllE0_EEPmJS6_EEE10hipError_tPvRmT3_T4_T5_T6_T7_T9_mT8_P12ihipStream_tbDpT10_ENKUlT_T0_E_clISt17integral_constantIbLb1EES1B_IbLb0EEEEDaS17_S18_EUlS17_E_NS1_11comp_targetILNS1_3genE4ELNS1_11target_archE910ELNS1_3gpuE8ELNS1_3repE0EEENS1_30default_config_static_selectorELNS0_4arch9wavefront6targetE0EEEvT1_: ; @_ZN7rocprim17ROCPRIM_400000_NS6detail17trampoline_kernelINS0_14default_configENS1_25partition_config_selectorILNS1_17partition_subalgoE8ElNS0_10empty_typeEbEEZZNS1_14partition_implILS5_8ELb0ES3_jPlPS6_PKS6_NS0_5tupleIJS9_S6_EEENSD_IJSA_SA_EEENS0_18inequality_wrapperIZN2at6native12_GLOBAL__N_124unique_dim_cuda_templateIiEESt5tupleIJNSH_6TensorESM_SM_EERKSM_lbbbEUlllE0_EEPmJS6_EEE10hipError_tPvRmT3_T4_T5_T6_T7_T9_mT8_P12ihipStream_tbDpT10_ENKUlT_T0_E_clISt17integral_constantIbLb1EES1B_IbLb0EEEEDaS17_S18_EUlS17_E_NS1_11comp_targetILNS1_3genE4ELNS1_11target_archE910ELNS1_3gpuE8ELNS1_3repE0EEENS1_30default_config_static_selectorELNS0_4arch9wavefront6targetE0EEEvT1_
; %bb.0:
	.section	.rodata,"a",@progbits
	.p2align	6, 0x0
	.amdhsa_kernel _ZN7rocprim17ROCPRIM_400000_NS6detail17trampoline_kernelINS0_14default_configENS1_25partition_config_selectorILNS1_17partition_subalgoE8ElNS0_10empty_typeEbEEZZNS1_14partition_implILS5_8ELb0ES3_jPlPS6_PKS6_NS0_5tupleIJS9_S6_EEENSD_IJSA_SA_EEENS0_18inequality_wrapperIZN2at6native12_GLOBAL__N_124unique_dim_cuda_templateIiEESt5tupleIJNSH_6TensorESM_SM_EERKSM_lbbbEUlllE0_EEPmJS6_EEE10hipError_tPvRmT3_T4_T5_T6_T7_T9_mT8_P12ihipStream_tbDpT10_ENKUlT_T0_E_clISt17integral_constantIbLb1EES1B_IbLb0EEEEDaS17_S18_EUlS17_E_NS1_11comp_targetILNS1_3genE4ELNS1_11target_archE910ELNS1_3gpuE8ELNS1_3repE0EEENS1_30default_config_static_selectorELNS0_4arch9wavefront6targetE0EEEvT1_
		.amdhsa_group_segment_fixed_size 0
		.amdhsa_private_segment_fixed_size 0
		.amdhsa_kernarg_size 120
		.amdhsa_user_sgpr_count 2
		.amdhsa_user_sgpr_dispatch_ptr 0
		.amdhsa_user_sgpr_queue_ptr 0
		.amdhsa_user_sgpr_kernarg_segment_ptr 1
		.amdhsa_user_sgpr_dispatch_id 0
		.amdhsa_user_sgpr_kernarg_preload_length 0
		.amdhsa_user_sgpr_kernarg_preload_offset 0
		.amdhsa_user_sgpr_private_segment_size 0
		.amdhsa_wavefront_size32 1
		.amdhsa_uses_dynamic_stack 0
		.amdhsa_enable_private_segment 0
		.amdhsa_system_sgpr_workgroup_id_x 1
		.amdhsa_system_sgpr_workgroup_id_y 0
		.amdhsa_system_sgpr_workgroup_id_z 0
		.amdhsa_system_sgpr_workgroup_info 0
		.amdhsa_system_vgpr_workitem_id 0
		.amdhsa_next_free_vgpr 1
		.amdhsa_next_free_sgpr 1
		.amdhsa_named_barrier_count 0
		.amdhsa_reserve_vcc 0
		.amdhsa_float_round_mode_32 0
		.amdhsa_float_round_mode_16_64 0
		.amdhsa_float_denorm_mode_32 3
		.amdhsa_float_denorm_mode_16_64 3
		.amdhsa_fp16_overflow 0
		.amdhsa_memory_ordered 1
		.amdhsa_forward_progress 1
		.amdhsa_inst_pref_size 0
		.amdhsa_round_robin_scheduling 0
		.amdhsa_exception_fp_ieee_invalid_op 0
		.amdhsa_exception_fp_denorm_src 0
		.amdhsa_exception_fp_ieee_div_zero 0
		.amdhsa_exception_fp_ieee_overflow 0
		.amdhsa_exception_fp_ieee_underflow 0
		.amdhsa_exception_fp_ieee_inexact 0
		.amdhsa_exception_int_div_zero 0
	.end_amdhsa_kernel
	.section	.text._ZN7rocprim17ROCPRIM_400000_NS6detail17trampoline_kernelINS0_14default_configENS1_25partition_config_selectorILNS1_17partition_subalgoE8ElNS0_10empty_typeEbEEZZNS1_14partition_implILS5_8ELb0ES3_jPlPS6_PKS6_NS0_5tupleIJS9_S6_EEENSD_IJSA_SA_EEENS0_18inequality_wrapperIZN2at6native12_GLOBAL__N_124unique_dim_cuda_templateIiEESt5tupleIJNSH_6TensorESM_SM_EERKSM_lbbbEUlllE0_EEPmJS6_EEE10hipError_tPvRmT3_T4_T5_T6_T7_T9_mT8_P12ihipStream_tbDpT10_ENKUlT_T0_E_clISt17integral_constantIbLb1EES1B_IbLb0EEEEDaS17_S18_EUlS17_E_NS1_11comp_targetILNS1_3genE4ELNS1_11target_archE910ELNS1_3gpuE8ELNS1_3repE0EEENS1_30default_config_static_selectorELNS0_4arch9wavefront6targetE0EEEvT1_,"axG",@progbits,_ZN7rocprim17ROCPRIM_400000_NS6detail17trampoline_kernelINS0_14default_configENS1_25partition_config_selectorILNS1_17partition_subalgoE8ElNS0_10empty_typeEbEEZZNS1_14partition_implILS5_8ELb0ES3_jPlPS6_PKS6_NS0_5tupleIJS9_S6_EEENSD_IJSA_SA_EEENS0_18inequality_wrapperIZN2at6native12_GLOBAL__N_124unique_dim_cuda_templateIiEESt5tupleIJNSH_6TensorESM_SM_EERKSM_lbbbEUlllE0_EEPmJS6_EEE10hipError_tPvRmT3_T4_T5_T6_T7_T9_mT8_P12ihipStream_tbDpT10_ENKUlT_T0_E_clISt17integral_constantIbLb1EES1B_IbLb0EEEEDaS17_S18_EUlS17_E_NS1_11comp_targetILNS1_3genE4ELNS1_11target_archE910ELNS1_3gpuE8ELNS1_3repE0EEENS1_30default_config_static_selectorELNS0_4arch9wavefront6targetE0EEEvT1_,comdat
.Lfunc_end459:
	.size	_ZN7rocprim17ROCPRIM_400000_NS6detail17trampoline_kernelINS0_14default_configENS1_25partition_config_selectorILNS1_17partition_subalgoE8ElNS0_10empty_typeEbEEZZNS1_14partition_implILS5_8ELb0ES3_jPlPS6_PKS6_NS0_5tupleIJS9_S6_EEENSD_IJSA_SA_EEENS0_18inequality_wrapperIZN2at6native12_GLOBAL__N_124unique_dim_cuda_templateIiEESt5tupleIJNSH_6TensorESM_SM_EERKSM_lbbbEUlllE0_EEPmJS6_EEE10hipError_tPvRmT3_T4_T5_T6_T7_T9_mT8_P12ihipStream_tbDpT10_ENKUlT_T0_E_clISt17integral_constantIbLb1EES1B_IbLb0EEEEDaS17_S18_EUlS17_E_NS1_11comp_targetILNS1_3genE4ELNS1_11target_archE910ELNS1_3gpuE8ELNS1_3repE0EEENS1_30default_config_static_selectorELNS0_4arch9wavefront6targetE0EEEvT1_, .Lfunc_end459-_ZN7rocprim17ROCPRIM_400000_NS6detail17trampoline_kernelINS0_14default_configENS1_25partition_config_selectorILNS1_17partition_subalgoE8ElNS0_10empty_typeEbEEZZNS1_14partition_implILS5_8ELb0ES3_jPlPS6_PKS6_NS0_5tupleIJS9_S6_EEENSD_IJSA_SA_EEENS0_18inequality_wrapperIZN2at6native12_GLOBAL__N_124unique_dim_cuda_templateIiEESt5tupleIJNSH_6TensorESM_SM_EERKSM_lbbbEUlllE0_EEPmJS6_EEE10hipError_tPvRmT3_T4_T5_T6_T7_T9_mT8_P12ihipStream_tbDpT10_ENKUlT_T0_E_clISt17integral_constantIbLb1EES1B_IbLb0EEEEDaS17_S18_EUlS17_E_NS1_11comp_targetILNS1_3genE4ELNS1_11target_archE910ELNS1_3gpuE8ELNS1_3repE0EEENS1_30default_config_static_selectorELNS0_4arch9wavefront6targetE0EEEvT1_
                                        ; -- End function
	.set _ZN7rocprim17ROCPRIM_400000_NS6detail17trampoline_kernelINS0_14default_configENS1_25partition_config_selectorILNS1_17partition_subalgoE8ElNS0_10empty_typeEbEEZZNS1_14partition_implILS5_8ELb0ES3_jPlPS6_PKS6_NS0_5tupleIJS9_S6_EEENSD_IJSA_SA_EEENS0_18inequality_wrapperIZN2at6native12_GLOBAL__N_124unique_dim_cuda_templateIiEESt5tupleIJNSH_6TensorESM_SM_EERKSM_lbbbEUlllE0_EEPmJS6_EEE10hipError_tPvRmT3_T4_T5_T6_T7_T9_mT8_P12ihipStream_tbDpT10_ENKUlT_T0_E_clISt17integral_constantIbLb1EES1B_IbLb0EEEEDaS17_S18_EUlS17_E_NS1_11comp_targetILNS1_3genE4ELNS1_11target_archE910ELNS1_3gpuE8ELNS1_3repE0EEENS1_30default_config_static_selectorELNS0_4arch9wavefront6targetE0EEEvT1_.num_vgpr, 0
	.set _ZN7rocprim17ROCPRIM_400000_NS6detail17trampoline_kernelINS0_14default_configENS1_25partition_config_selectorILNS1_17partition_subalgoE8ElNS0_10empty_typeEbEEZZNS1_14partition_implILS5_8ELb0ES3_jPlPS6_PKS6_NS0_5tupleIJS9_S6_EEENSD_IJSA_SA_EEENS0_18inequality_wrapperIZN2at6native12_GLOBAL__N_124unique_dim_cuda_templateIiEESt5tupleIJNSH_6TensorESM_SM_EERKSM_lbbbEUlllE0_EEPmJS6_EEE10hipError_tPvRmT3_T4_T5_T6_T7_T9_mT8_P12ihipStream_tbDpT10_ENKUlT_T0_E_clISt17integral_constantIbLb1EES1B_IbLb0EEEEDaS17_S18_EUlS17_E_NS1_11comp_targetILNS1_3genE4ELNS1_11target_archE910ELNS1_3gpuE8ELNS1_3repE0EEENS1_30default_config_static_selectorELNS0_4arch9wavefront6targetE0EEEvT1_.num_agpr, 0
	.set _ZN7rocprim17ROCPRIM_400000_NS6detail17trampoline_kernelINS0_14default_configENS1_25partition_config_selectorILNS1_17partition_subalgoE8ElNS0_10empty_typeEbEEZZNS1_14partition_implILS5_8ELb0ES3_jPlPS6_PKS6_NS0_5tupleIJS9_S6_EEENSD_IJSA_SA_EEENS0_18inequality_wrapperIZN2at6native12_GLOBAL__N_124unique_dim_cuda_templateIiEESt5tupleIJNSH_6TensorESM_SM_EERKSM_lbbbEUlllE0_EEPmJS6_EEE10hipError_tPvRmT3_T4_T5_T6_T7_T9_mT8_P12ihipStream_tbDpT10_ENKUlT_T0_E_clISt17integral_constantIbLb1EES1B_IbLb0EEEEDaS17_S18_EUlS17_E_NS1_11comp_targetILNS1_3genE4ELNS1_11target_archE910ELNS1_3gpuE8ELNS1_3repE0EEENS1_30default_config_static_selectorELNS0_4arch9wavefront6targetE0EEEvT1_.numbered_sgpr, 0
	.set _ZN7rocprim17ROCPRIM_400000_NS6detail17trampoline_kernelINS0_14default_configENS1_25partition_config_selectorILNS1_17partition_subalgoE8ElNS0_10empty_typeEbEEZZNS1_14partition_implILS5_8ELb0ES3_jPlPS6_PKS6_NS0_5tupleIJS9_S6_EEENSD_IJSA_SA_EEENS0_18inequality_wrapperIZN2at6native12_GLOBAL__N_124unique_dim_cuda_templateIiEESt5tupleIJNSH_6TensorESM_SM_EERKSM_lbbbEUlllE0_EEPmJS6_EEE10hipError_tPvRmT3_T4_T5_T6_T7_T9_mT8_P12ihipStream_tbDpT10_ENKUlT_T0_E_clISt17integral_constantIbLb1EES1B_IbLb0EEEEDaS17_S18_EUlS17_E_NS1_11comp_targetILNS1_3genE4ELNS1_11target_archE910ELNS1_3gpuE8ELNS1_3repE0EEENS1_30default_config_static_selectorELNS0_4arch9wavefront6targetE0EEEvT1_.num_named_barrier, 0
	.set _ZN7rocprim17ROCPRIM_400000_NS6detail17trampoline_kernelINS0_14default_configENS1_25partition_config_selectorILNS1_17partition_subalgoE8ElNS0_10empty_typeEbEEZZNS1_14partition_implILS5_8ELb0ES3_jPlPS6_PKS6_NS0_5tupleIJS9_S6_EEENSD_IJSA_SA_EEENS0_18inequality_wrapperIZN2at6native12_GLOBAL__N_124unique_dim_cuda_templateIiEESt5tupleIJNSH_6TensorESM_SM_EERKSM_lbbbEUlllE0_EEPmJS6_EEE10hipError_tPvRmT3_T4_T5_T6_T7_T9_mT8_P12ihipStream_tbDpT10_ENKUlT_T0_E_clISt17integral_constantIbLb1EES1B_IbLb0EEEEDaS17_S18_EUlS17_E_NS1_11comp_targetILNS1_3genE4ELNS1_11target_archE910ELNS1_3gpuE8ELNS1_3repE0EEENS1_30default_config_static_selectorELNS0_4arch9wavefront6targetE0EEEvT1_.private_seg_size, 0
	.set _ZN7rocprim17ROCPRIM_400000_NS6detail17trampoline_kernelINS0_14default_configENS1_25partition_config_selectorILNS1_17partition_subalgoE8ElNS0_10empty_typeEbEEZZNS1_14partition_implILS5_8ELb0ES3_jPlPS6_PKS6_NS0_5tupleIJS9_S6_EEENSD_IJSA_SA_EEENS0_18inequality_wrapperIZN2at6native12_GLOBAL__N_124unique_dim_cuda_templateIiEESt5tupleIJNSH_6TensorESM_SM_EERKSM_lbbbEUlllE0_EEPmJS6_EEE10hipError_tPvRmT3_T4_T5_T6_T7_T9_mT8_P12ihipStream_tbDpT10_ENKUlT_T0_E_clISt17integral_constantIbLb1EES1B_IbLb0EEEEDaS17_S18_EUlS17_E_NS1_11comp_targetILNS1_3genE4ELNS1_11target_archE910ELNS1_3gpuE8ELNS1_3repE0EEENS1_30default_config_static_selectorELNS0_4arch9wavefront6targetE0EEEvT1_.uses_vcc, 0
	.set _ZN7rocprim17ROCPRIM_400000_NS6detail17trampoline_kernelINS0_14default_configENS1_25partition_config_selectorILNS1_17partition_subalgoE8ElNS0_10empty_typeEbEEZZNS1_14partition_implILS5_8ELb0ES3_jPlPS6_PKS6_NS0_5tupleIJS9_S6_EEENSD_IJSA_SA_EEENS0_18inequality_wrapperIZN2at6native12_GLOBAL__N_124unique_dim_cuda_templateIiEESt5tupleIJNSH_6TensorESM_SM_EERKSM_lbbbEUlllE0_EEPmJS6_EEE10hipError_tPvRmT3_T4_T5_T6_T7_T9_mT8_P12ihipStream_tbDpT10_ENKUlT_T0_E_clISt17integral_constantIbLb1EES1B_IbLb0EEEEDaS17_S18_EUlS17_E_NS1_11comp_targetILNS1_3genE4ELNS1_11target_archE910ELNS1_3gpuE8ELNS1_3repE0EEENS1_30default_config_static_selectorELNS0_4arch9wavefront6targetE0EEEvT1_.uses_flat_scratch, 0
	.set _ZN7rocprim17ROCPRIM_400000_NS6detail17trampoline_kernelINS0_14default_configENS1_25partition_config_selectorILNS1_17partition_subalgoE8ElNS0_10empty_typeEbEEZZNS1_14partition_implILS5_8ELb0ES3_jPlPS6_PKS6_NS0_5tupleIJS9_S6_EEENSD_IJSA_SA_EEENS0_18inequality_wrapperIZN2at6native12_GLOBAL__N_124unique_dim_cuda_templateIiEESt5tupleIJNSH_6TensorESM_SM_EERKSM_lbbbEUlllE0_EEPmJS6_EEE10hipError_tPvRmT3_T4_T5_T6_T7_T9_mT8_P12ihipStream_tbDpT10_ENKUlT_T0_E_clISt17integral_constantIbLb1EES1B_IbLb0EEEEDaS17_S18_EUlS17_E_NS1_11comp_targetILNS1_3genE4ELNS1_11target_archE910ELNS1_3gpuE8ELNS1_3repE0EEENS1_30default_config_static_selectorELNS0_4arch9wavefront6targetE0EEEvT1_.has_dyn_sized_stack, 0
	.set _ZN7rocprim17ROCPRIM_400000_NS6detail17trampoline_kernelINS0_14default_configENS1_25partition_config_selectorILNS1_17partition_subalgoE8ElNS0_10empty_typeEbEEZZNS1_14partition_implILS5_8ELb0ES3_jPlPS6_PKS6_NS0_5tupleIJS9_S6_EEENSD_IJSA_SA_EEENS0_18inequality_wrapperIZN2at6native12_GLOBAL__N_124unique_dim_cuda_templateIiEESt5tupleIJNSH_6TensorESM_SM_EERKSM_lbbbEUlllE0_EEPmJS6_EEE10hipError_tPvRmT3_T4_T5_T6_T7_T9_mT8_P12ihipStream_tbDpT10_ENKUlT_T0_E_clISt17integral_constantIbLb1EES1B_IbLb0EEEEDaS17_S18_EUlS17_E_NS1_11comp_targetILNS1_3genE4ELNS1_11target_archE910ELNS1_3gpuE8ELNS1_3repE0EEENS1_30default_config_static_selectorELNS0_4arch9wavefront6targetE0EEEvT1_.has_recursion, 0
	.set _ZN7rocprim17ROCPRIM_400000_NS6detail17trampoline_kernelINS0_14default_configENS1_25partition_config_selectorILNS1_17partition_subalgoE8ElNS0_10empty_typeEbEEZZNS1_14partition_implILS5_8ELb0ES3_jPlPS6_PKS6_NS0_5tupleIJS9_S6_EEENSD_IJSA_SA_EEENS0_18inequality_wrapperIZN2at6native12_GLOBAL__N_124unique_dim_cuda_templateIiEESt5tupleIJNSH_6TensorESM_SM_EERKSM_lbbbEUlllE0_EEPmJS6_EEE10hipError_tPvRmT3_T4_T5_T6_T7_T9_mT8_P12ihipStream_tbDpT10_ENKUlT_T0_E_clISt17integral_constantIbLb1EES1B_IbLb0EEEEDaS17_S18_EUlS17_E_NS1_11comp_targetILNS1_3genE4ELNS1_11target_archE910ELNS1_3gpuE8ELNS1_3repE0EEENS1_30default_config_static_selectorELNS0_4arch9wavefront6targetE0EEEvT1_.has_indirect_call, 0
	.section	.AMDGPU.csdata,"",@progbits
; Kernel info:
; codeLenInByte = 0
; TotalNumSgprs: 0
; NumVgprs: 0
; ScratchSize: 0
; MemoryBound: 0
; FloatMode: 240
; IeeeMode: 1
; LDSByteSize: 0 bytes/workgroup (compile time only)
; SGPRBlocks: 0
; VGPRBlocks: 0
; NumSGPRsForWavesPerEU: 1
; NumVGPRsForWavesPerEU: 1
; NamedBarCnt: 0
; Occupancy: 16
; WaveLimiterHint : 0
; COMPUTE_PGM_RSRC2:SCRATCH_EN: 0
; COMPUTE_PGM_RSRC2:USER_SGPR: 2
; COMPUTE_PGM_RSRC2:TRAP_HANDLER: 0
; COMPUTE_PGM_RSRC2:TGID_X_EN: 1
; COMPUTE_PGM_RSRC2:TGID_Y_EN: 0
; COMPUTE_PGM_RSRC2:TGID_Z_EN: 0
; COMPUTE_PGM_RSRC2:TIDIG_COMP_CNT: 0
	.section	.text._ZN7rocprim17ROCPRIM_400000_NS6detail17trampoline_kernelINS0_14default_configENS1_25partition_config_selectorILNS1_17partition_subalgoE8ElNS0_10empty_typeEbEEZZNS1_14partition_implILS5_8ELb0ES3_jPlPS6_PKS6_NS0_5tupleIJS9_S6_EEENSD_IJSA_SA_EEENS0_18inequality_wrapperIZN2at6native12_GLOBAL__N_124unique_dim_cuda_templateIiEESt5tupleIJNSH_6TensorESM_SM_EERKSM_lbbbEUlllE0_EEPmJS6_EEE10hipError_tPvRmT3_T4_T5_T6_T7_T9_mT8_P12ihipStream_tbDpT10_ENKUlT_T0_E_clISt17integral_constantIbLb1EES1B_IbLb0EEEEDaS17_S18_EUlS17_E_NS1_11comp_targetILNS1_3genE3ELNS1_11target_archE908ELNS1_3gpuE7ELNS1_3repE0EEENS1_30default_config_static_selectorELNS0_4arch9wavefront6targetE0EEEvT1_,"axG",@progbits,_ZN7rocprim17ROCPRIM_400000_NS6detail17trampoline_kernelINS0_14default_configENS1_25partition_config_selectorILNS1_17partition_subalgoE8ElNS0_10empty_typeEbEEZZNS1_14partition_implILS5_8ELb0ES3_jPlPS6_PKS6_NS0_5tupleIJS9_S6_EEENSD_IJSA_SA_EEENS0_18inequality_wrapperIZN2at6native12_GLOBAL__N_124unique_dim_cuda_templateIiEESt5tupleIJNSH_6TensorESM_SM_EERKSM_lbbbEUlllE0_EEPmJS6_EEE10hipError_tPvRmT3_T4_T5_T6_T7_T9_mT8_P12ihipStream_tbDpT10_ENKUlT_T0_E_clISt17integral_constantIbLb1EES1B_IbLb0EEEEDaS17_S18_EUlS17_E_NS1_11comp_targetILNS1_3genE3ELNS1_11target_archE908ELNS1_3gpuE7ELNS1_3repE0EEENS1_30default_config_static_selectorELNS0_4arch9wavefront6targetE0EEEvT1_,comdat
	.globl	_ZN7rocprim17ROCPRIM_400000_NS6detail17trampoline_kernelINS0_14default_configENS1_25partition_config_selectorILNS1_17partition_subalgoE8ElNS0_10empty_typeEbEEZZNS1_14partition_implILS5_8ELb0ES3_jPlPS6_PKS6_NS0_5tupleIJS9_S6_EEENSD_IJSA_SA_EEENS0_18inequality_wrapperIZN2at6native12_GLOBAL__N_124unique_dim_cuda_templateIiEESt5tupleIJNSH_6TensorESM_SM_EERKSM_lbbbEUlllE0_EEPmJS6_EEE10hipError_tPvRmT3_T4_T5_T6_T7_T9_mT8_P12ihipStream_tbDpT10_ENKUlT_T0_E_clISt17integral_constantIbLb1EES1B_IbLb0EEEEDaS17_S18_EUlS17_E_NS1_11comp_targetILNS1_3genE3ELNS1_11target_archE908ELNS1_3gpuE7ELNS1_3repE0EEENS1_30default_config_static_selectorELNS0_4arch9wavefront6targetE0EEEvT1_ ; -- Begin function _ZN7rocprim17ROCPRIM_400000_NS6detail17trampoline_kernelINS0_14default_configENS1_25partition_config_selectorILNS1_17partition_subalgoE8ElNS0_10empty_typeEbEEZZNS1_14partition_implILS5_8ELb0ES3_jPlPS6_PKS6_NS0_5tupleIJS9_S6_EEENSD_IJSA_SA_EEENS0_18inequality_wrapperIZN2at6native12_GLOBAL__N_124unique_dim_cuda_templateIiEESt5tupleIJNSH_6TensorESM_SM_EERKSM_lbbbEUlllE0_EEPmJS6_EEE10hipError_tPvRmT3_T4_T5_T6_T7_T9_mT8_P12ihipStream_tbDpT10_ENKUlT_T0_E_clISt17integral_constantIbLb1EES1B_IbLb0EEEEDaS17_S18_EUlS17_E_NS1_11comp_targetILNS1_3genE3ELNS1_11target_archE908ELNS1_3gpuE7ELNS1_3repE0EEENS1_30default_config_static_selectorELNS0_4arch9wavefront6targetE0EEEvT1_
	.p2align	8
	.type	_ZN7rocprim17ROCPRIM_400000_NS6detail17trampoline_kernelINS0_14default_configENS1_25partition_config_selectorILNS1_17partition_subalgoE8ElNS0_10empty_typeEbEEZZNS1_14partition_implILS5_8ELb0ES3_jPlPS6_PKS6_NS0_5tupleIJS9_S6_EEENSD_IJSA_SA_EEENS0_18inequality_wrapperIZN2at6native12_GLOBAL__N_124unique_dim_cuda_templateIiEESt5tupleIJNSH_6TensorESM_SM_EERKSM_lbbbEUlllE0_EEPmJS6_EEE10hipError_tPvRmT3_T4_T5_T6_T7_T9_mT8_P12ihipStream_tbDpT10_ENKUlT_T0_E_clISt17integral_constantIbLb1EES1B_IbLb0EEEEDaS17_S18_EUlS17_E_NS1_11comp_targetILNS1_3genE3ELNS1_11target_archE908ELNS1_3gpuE7ELNS1_3repE0EEENS1_30default_config_static_selectorELNS0_4arch9wavefront6targetE0EEEvT1_,@function
_ZN7rocprim17ROCPRIM_400000_NS6detail17trampoline_kernelINS0_14default_configENS1_25partition_config_selectorILNS1_17partition_subalgoE8ElNS0_10empty_typeEbEEZZNS1_14partition_implILS5_8ELb0ES3_jPlPS6_PKS6_NS0_5tupleIJS9_S6_EEENSD_IJSA_SA_EEENS0_18inequality_wrapperIZN2at6native12_GLOBAL__N_124unique_dim_cuda_templateIiEESt5tupleIJNSH_6TensorESM_SM_EERKSM_lbbbEUlllE0_EEPmJS6_EEE10hipError_tPvRmT3_T4_T5_T6_T7_T9_mT8_P12ihipStream_tbDpT10_ENKUlT_T0_E_clISt17integral_constantIbLb1EES1B_IbLb0EEEEDaS17_S18_EUlS17_E_NS1_11comp_targetILNS1_3genE3ELNS1_11target_archE908ELNS1_3gpuE7ELNS1_3repE0EEENS1_30default_config_static_selectorELNS0_4arch9wavefront6targetE0EEEvT1_: ; @_ZN7rocprim17ROCPRIM_400000_NS6detail17trampoline_kernelINS0_14default_configENS1_25partition_config_selectorILNS1_17partition_subalgoE8ElNS0_10empty_typeEbEEZZNS1_14partition_implILS5_8ELb0ES3_jPlPS6_PKS6_NS0_5tupleIJS9_S6_EEENSD_IJSA_SA_EEENS0_18inequality_wrapperIZN2at6native12_GLOBAL__N_124unique_dim_cuda_templateIiEESt5tupleIJNSH_6TensorESM_SM_EERKSM_lbbbEUlllE0_EEPmJS6_EEE10hipError_tPvRmT3_T4_T5_T6_T7_T9_mT8_P12ihipStream_tbDpT10_ENKUlT_T0_E_clISt17integral_constantIbLb1EES1B_IbLb0EEEEDaS17_S18_EUlS17_E_NS1_11comp_targetILNS1_3genE3ELNS1_11target_archE908ELNS1_3gpuE7ELNS1_3repE0EEENS1_30default_config_static_selectorELNS0_4arch9wavefront6targetE0EEEvT1_
; %bb.0:
	.section	.rodata,"a",@progbits
	.p2align	6, 0x0
	.amdhsa_kernel _ZN7rocprim17ROCPRIM_400000_NS6detail17trampoline_kernelINS0_14default_configENS1_25partition_config_selectorILNS1_17partition_subalgoE8ElNS0_10empty_typeEbEEZZNS1_14partition_implILS5_8ELb0ES3_jPlPS6_PKS6_NS0_5tupleIJS9_S6_EEENSD_IJSA_SA_EEENS0_18inequality_wrapperIZN2at6native12_GLOBAL__N_124unique_dim_cuda_templateIiEESt5tupleIJNSH_6TensorESM_SM_EERKSM_lbbbEUlllE0_EEPmJS6_EEE10hipError_tPvRmT3_T4_T5_T6_T7_T9_mT8_P12ihipStream_tbDpT10_ENKUlT_T0_E_clISt17integral_constantIbLb1EES1B_IbLb0EEEEDaS17_S18_EUlS17_E_NS1_11comp_targetILNS1_3genE3ELNS1_11target_archE908ELNS1_3gpuE7ELNS1_3repE0EEENS1_30default_config_static_selectorELNS0_4arch9wavefront6targetE0EEEvT1_
		.amdhsa_group_segment_fixed_size 0
		.amdhsa_private_segment_fixed_size 0
		.amdhsa_kernarg_size 120
		.amdhsa_user_sgpr_count 2
		.amdhsa_user_sgpr_dispatch_ptr 0
		.amdhsa_user_sgpr_queue_ptr 0
		.amdhsa_user_sgpr_kernarg_segment_ptr 1
		.amdhsa_user_sgpr_dispatch_id 0
		.amdhsa_user_sgpr_kernarg_preload_length 0
		.amdhsa_user_sgpr_kernarg_preload_offset 0
		.amdhsa_user_sgpr_private_segment_size 0
		.amdhsa_wavefront_size32 1
		.amdhsa_uses_dynamic_stack 0
		.amdhsa_enable_private_segment 0
		.amdhsa_system_sgpr_workgroup_id_x 1
		.amdhsa_system_sgpr_workgroup_id_y 0
		.amdhsa_system_sgpr_workgroup_id_z 0
		.amdhsa_system_sgpr_workgroup_info 0
		.amdhsa_system_vgpr_workitem_id 0
		.amdhsa_next_free_vgpr 1
		.amdhsa_next_free_sgpr 1
		.amdhsa_named_barrier_count 0
		.amdhsa_reserve_vcc 0
		.amdhsa_float_round_mode_32 0
		.amdhsa_float_round_mode_16_64 0
		.amdhsa_float_denorm_mode_32 3
		.amdhsa_float_denorm_mode_16_64 3
		.amdhsa_fp16_overflow 0
		.amdhsa_memory_ordered 1
		.amdhsa_forward_progress 1
		.amdhsa_inst_pref_size 0
		.amdhsa_round_robin_scheduling 0
		.amdhsa_exception_fp_ieee_invalid_op 0
		.amdhsa_exception_fp_denorm_src 0
		.amdhsa_exception_fp_ieee_div_zero 0
		.amdhsa_exception_fp_ieee_overflow 0
		.amdhsa_exception_fp_ieee_underflow 0
		.amdhsa_exception_fp_ieee_inexact 0
		.amdhsa_exception_int_div_zero 0
	.end_amdhsa_kernel
	.section	.text._ZN7rocprim17ROCPRIM_400000_NS6detail17trampoline_kernelINS0_14default_configENS1_25partition_config_selectorILNS1_17partition_subalgoE8ElNS0_10empty_typeEbEEZZNS1_14partition_implILS5_8ELb0ES3_jPlPS6_PKS6_NS0_5tupleIJS9_S6_EEENSD_IJSA_SA_EEENS0_18inequality_wrapperIZN2at6native12_GLOBAL__N_124unique_dim_cuda_templateIiEESt5tupleIJNSH_6TensorESM_SM_EERKSM_lbbbEUlllE0_EEPmJS6_EEE10hipError_tPvRmT3_T4_T5_T6_T7_T9_mT8_P12ihipStream_tbDpT10_ENKUlT_T0_E_clISt17integral_constantIbLb1EES1B_IbLb0EEEEDaS17_S18_EUlS17_E_NS1_11comp_targetILNS1_3genE3ELNS1_11target_archE908ELNS1_3gpuE7ELNS1_3repE0EEENS1_30default_config_static_selectorELNS0_4arch9wavefront6targetE0EEEvT1_,"axG",@progbits,_ZN7rocprim17ROCPRIM_400000_NS6detail17trampoline_kernelINS0_14default_configENS1_25partition_config_selectorILNS1_17partition_subalgoE8ElNS0_10empty_typeEbEEZZNS1_14partition_implILS5_8ELb0ES3_jPlPS6_PKS6_NS0_5tupleIJS9_S6_EEENSD_IJSA_SA_EEENS0_18inequality_wrapperIZN2at6native12_GLOBAL__N_124unique_dim_cuda_templateIiEESt5tupleIJNSH_6TensorESM_SM_EERKSM_lbbbEUlllE0_EEPmJS6_EEE10hipError_tPvRmT3_T4_T5_T6_T7_T9_mT8_P12ihipStream_tbDpT10_ENKUlT_T0_E_clISt17integral_constantIbLb1EES1B_IbLb0EEEEDaS17_S18_EUlS17_E_NS1_11comp_targetILNS1_3genE3ELNS1_11target_archE908ELNS1_3gpuE7ELNS1_3repE0EEENS1_30default_config_static_selectorELNS0_4arch9wavefront6targetE0EEEvT1_,comdat
.Lfunc_end460:
	.size	_ZN7rocprim17ROCPRIM_400000_NS6detail17trampoline_kernelINS0_14default_configENS1_25partition_config_selectorILNS1_17partition_subalgoE8ElNS0_10empty_typeEbEEZZNS1_14partition_implILS5_8ELb0ES3_jPlPS6_PKS6_NS0_5tupleIJS9_S6_EEENSD_IJSA_SA_EEENS0_18inequality_wrapperIZN2at6native12_GLOBAL__N_124unique_dim_cuda_templateIiEESt5tupleIJNSH_6TensorESM_SM_EERKSM_lbbbEUlllE0_EEPmJS6_EEE10hipError_tPvRmT3_T4_T5_T6_T7_T9_mT8_P12ihipStream_tbDpT10_ENKUlT_T0_E_clISt17integral_constantIbLb1EES1B_IbLb0EEEEDaS17_S18_EUlS17_E_NS1_11comp_targetILNS1_3genE3ELNS1_11target_archE908ELNS1_3gpuE7ELNS1_3repE0EEENS1_30default_config_static_selectorELNS0_4arch9wavefront6targetE0EEEvT1_, .Lfunc_end460-_ZN7rocprim17ROCPRIM_400000_NS6detail17trampoline_kernelINS0_14default_configENS1_25partition_config_selectorILNS1_17partition_subalgoE8ElNS0_10empty_typeEbEEZZNS1_14partition_implILS5_8ELb0ES3_jPlPS6_PKS6_NS0_5tupleIJS9_S6_EEENSD_IJSA_SA_EEENS0_18inequality_wrapperIZN2at6native12_GLOBAL__N_124unique_dim_cuda_templateIiEESt5tupleIJNSH_6TensorESM_SM_EERKSM_lbbbEUlllE0_EEPmJS6_EEE10hipError_tPvRmT3_T4_T5_T6_T7_T9_mT8_P12ihipStream_tbDpT10_ENKUlT_T0_E_clISt17integral_constantIbLb1EES1B_IbLb0EEEEDaS17_S18_EUlS17_E_NS1_11comp_targetILNS1_3genE3ELNS1_11target_archE908ELNS1_3gpuE7ELNS1_3repE0EEENS1_30default_config_static_selectorELNS0_4arch9wavefront6targetE0EEEvT1_
                                        ; -- End function
	.set _ZN7rocprim17ROCPRIM_400000_NS6detail17trampoline_kernelINS0_14default_configENS1_25partition_config_selectorILNS1_17partition_subalgoE8ElNS0_10empty_typeEbEEZZNS1_14partition_implILS5_8ELb0ES3_jPlPS6_PKS6_NS0_5tupleIJS9_S6_EEENSD_IJSA_SA_EEENS0_18inequality_wrapperIZN2at6native12_GLOBAL__N_124unique_dim_cuda_templateIiEESt5tupleIJNSH_6TensorESM_SM_EERKSM_lbbbEUlllE0_EEPmJS6_EEE10hipError_tPvRmT3_T4_T5_T6_T7_T9_mT8_P12ihipStream_tbDpT10_ENKUlT_T0_E_clISt17integral_constantIbLb1EES1B_IbLb0EEEEDaS17_S18_EUlS17_E_NS1_11comp_targetILNS1_3genE3ELNS1_11target_archE908ELNS1_3gpuE7ELNS1_3repE0EEENS1_30default_config_static_selectorELNS0_4arch9wavefront6targetE0EEEvT1_.num_vgpr, 0
	.set _ZN7rocprim17ROCPRIM_400000_NS6detail17trampoline_kernelINS0_14default_configENS1_25partition_config_selectorILNS1_17partition_subalgoE8ElNS0_10empty_typeEbEEZZNS1_14partition_implILS5_8ELb0ES3_jPlPS6_PKS6_NS0_5tupleIJS9_S6_EEENSD_IJSA_SA_EEENS0_18inequality_wrapperIZN2at6native12_GLOBAL__N_124unique_dim_cuda_templateIiEESt5tupleIJNSH_6TensorESM_SM_EERKSM_lbbbEUlllE0_EEPmJS6_EEE10hipError_tPvRmT3_T4_T5_T6_T7_T9_mT8_P12ihipStream_tbDpT10_ENKUlT_T0_E_clISt17integral_constantIbLb1EES1B_IbLb0EEEEDaS17_S18_EUlS17_E_NS1_11comp_targetILNS1_3genE3ELNS1_11target_archE908ELNS1_3gpuE7ELNS1_3repE0EEENS1_30default_config_static_selectorELNS0_4arch9wavefront6targetE0EEEvT1_.num_agpr, 0
	.set _ZN7rocprim17ROCPRIM_400000_NS6detail17trampoline_kernelINS0_14default_configENS1_25partition_config_selectorILNS1_17partition_subalgoE8ElNS0_10empty_typeEbEEZZNS1_14partition_implILS5_8ELb0ES3_jPlPS6_PKS6_NS0_5tupleIJS9_S6_EEENSD_IJSA_SA_EEENS0_18inequality_wrapperIZN2at6native12_GLOBAL__N_124unique_dim_cuda_templateIiEESt5tupleIJNSH_6TensorESM_SM_EERKSM_lbbbEUlllE0_EEPmJS6_EEE10hipError_tPvRmT3_T4_T5_T6_T7_T9_mT8_P12ihipStream_tbDpT10_ENKUlT_T0_E_clISt17integral_constantIbLb1EES1B_IbLb0EEEEDaS17_S18_EUlS17_E_NS1_11comp_targetILNS1_3genE3ELNS1_11target_archE908ELNS1_3gpuE7ELNS1_3repE0EEENS1_30default_config_static_selectorELNS0_4arch9wavefront6targetE0EEEvT1_.numbered_sgpr, 0
	.set _ZN7rocprim17ROCPRIM_400000_NS6detail17trampoline_kernelINS0_14default_configENS1_25partition_config_selectorILNS1_17partition_subalgoE8ElNS0_10empty_typeEbEEZZNS1_14partition_implILS5_8ELb0ES3_jPlPS6_PKS6_NS0_5tupleIJS9_S6_EEENSD_IJSA_SA_EEENS0_18inequality_wrapperIZN2at6native12_GLOBAL__N_124unique_dim_cuda_templateIiEESt5tupleIJNSH_6TensorESM_SM_EERKSM_lbbbEUlllE0_EEPmJS6_EEE10hipError_tPvRmT3_T4_T5_T6_T7_T9_mT8_P12ihipStream_tbDpT10_ENKUlT_T0_E_clISt17integral_constantIbLb1EES1B_IbLb0EEEEDaS17_S18_EUlS17_E_NS1_11comp_targetILNS1_3genE3ELNS1_11target_archE908ELNS1_3gpuE7ELNS1_3repE0EEENS1_30default_config_static_selectorELNS0_4arch9wavefront6targetE0EEEvT1_.num_named_barrier, 0
	.set _ZN7rocprim17ROCPRIM_400000_NS6detail17trampoline_kernelINS0_14default_configENS1_25partition_config_selectorILNS1_17partition_subalgoE8ElNS0_10empty_typeEbEEZZNS1_14partition_implILS5_8ELb0ES3_jPlPS6_PKS6_NS0_5tupleIJS9_S6_EEENSD_IJSA_SA_EEENS0_18inequality_wrapperIZN2at6native12_GLOBAL__N_124unique_dim_cuda_templateIiEESt5tupleIJNSH_6TensorESM_SM_EERKSM_lbbbEUlllE0_EEPmJS6_EEE10hipError_tPvRmT3_T4_T5_T6_T7_T9_mT8_P12ihipStream_tbDpT10_ENKUlT_T0_E_clISt17integral_constantIbLb1EES1B_IbLb0EEEEDaS17_S18_EUlS17_E_NS1_11comp_targetILNS1_3genE3ELNS1_11target_archE908ELNS1_3gpuE7ELNS1_3repE0EEENS1_30default_config_static_selectorELNS0_4arch9wavefront6targetE0EEEvT1_.private_seg_size, 0
	.set _ZN7rocprim17ROCPRIM_400000_NS6detail17trampoline_kernelINS0_14default_configENS1_25partition_config_selectorILNS1_17partition_subalgoE8ElNS0_10empty_typeEbEEZZNS1_14partition_implILS5_8ELb0ES3_jPlPS6_PKS6_NS0_5tupleIJS9_S6_EEENSD_IJSA_SA_EEENS0_18inequality_wrapperIZN2at6native12_GLOBAL__N_124unique_dim_cuda_templateIiEESt5tupleIJNSH_6TensorESM_SM_EERKSM_lbbbEUlllE0_EEPmJS6_EEE10hipError_tPvRmT3_T4_T5_T6_T7_T9_mT8_P12ihipStream_tbDpT10_ENKUlT_T0_E_clISt17integral_constantIbLb1EES1B_IbLb0EEEEDaS17_S18_EUlS17_E_NS1_11comp_targetILNS1_3genE3ELNS1_11target_archE908ELNS1_3gpuE7ELNS1_3repE0EEENS1_30default_config_static_selectorELNS0_4arch9wavefront6targetE0EEEvT1_.uses_vcc, 0
	.set _ZN7rocprim17ROCPRIM_400000_NS6detail17trampoline_kernelINS0_14default_configENS1_25partition_config_selectorILNS1_17partition_subalgoE8ElNS0_10empty_typeEbEEZZNS1_14partition_implILS5_8ELb0ES3_jPlPS6_PKS6_NS0_5tupleIJS9_S6_EEENSD_IJSA_SA_EEENS0_18inequality_wrapperIZN2at6native12_GLOBAL__N_124unique_dim_cuda_templateIiEESt5tupleIJNSH_6TensorESM_SM_EERKSM_lbbbEUlllE0_EEPmJS6_EEE10hipError_tPvRmT3_T4_T5_T6_T7_T9_mT8_P12ihipStream_tbDpT10_ENKUlT_T0_E_clISt17integral_constantIbLb1EES1B_IbLb0EEEEDaS17_S18_EUlS17_E_NS1_11comp_targetILNS1_3genE3ELNS1_11target_archE908ELNS1_3gpuE7ELNS1_3repE0EEENS1_30default_config_static_selectorELNS0_4arch9wavefront6targetE0EEEvT1_.uses_flat_scratch, 0
	.set _ZN7rocprim17ROCPRIM_400000_NS6detail17trampoline_kernelINS0_14default_configENS1_25partition_config_selectorILNS1_17partition_subalgoE8ElNS0_10empty_typeEbEEZZNS1_14partition_implILS5_8ELb0ES3_jPlPS6_PKS6_NS0_5tupleIJS9_S6_EEENSD_IJSA_SA_EEENS0_18inequality_wrapperIZN2at6native12_GLOBAL__N_124unique_dim_cuda_templateIiEESt5tupleIJNSH_6TensorESM_SM_EERKSM_lbbbEUlllE0_EEPmJS6_EEE10hipError_tPvRmT3_T4_T5_T6_T7_T9_mT8_P12ihipStream_tbDpT10_ENKUlT_T0_E_clISt17integral_constantIbLb1EES1B_IbLb0EEEEDaS17_S18_EUlS17_E_NS1_11comp_targetILNS1_3genE3ELNS1_11target_archE908ELNS1_3gpuE7ELNS1_3repE0EEENS1_30default_config_static_selectorELNS0_4arch9wavefront6targetE0EEEvT1_.has_dyn_sized_stack, 0
	.set _ZN7rocprim17ROCPRIM_400000_NS6detail17trampoline_kernelINS0_14default_configENS1_25partition_config_selectorILNS1_17partition_subalgoE8ElNS0_10empty_typeEbEEZZNS1_14partition_implILS5_8ELb0ES3_jPlPS6_PKS6_NS0_5tupleIJS9_S6_EEENSD_IJSA_SA_EEENS0_18inequality_wrapperIZN2at6native12_GLOBAL__N_124unique_dim_cuda_templateIiEESt5tupleIJNSH_6TensorESM_SM_EERKSM_lbbbEUlllE0_EEPmJS6_EEE10hipError_tPvRmT3_T4_T5_T6_T7_T9_mT8_P12ihipStream_tbDpT10_ENKUlT_T0_E_clISt17integral_constantIbLb1EES1B_IbLb0EEEEDaS17_S18_EUlS17_E_NS1_11comp_targetILNS1_3genE3ELNS1_11target_archE908ELNS1_3gpuE7ELNS1_3repE0EEENS1_30default_config_static_selectorELNS0_4arch9wavefront6targetE0EEEvT1_.has_recursion, 0
	.set _ZN7rocprim17ROCPRIM_400000_NS6detail17trampoline_kernelINS0_14default_configENS1_25partition_config_selectorILNS1_17partition_subalgoE8ElNS0_10empty_typeEbEEZZNS1_14partition_implILS5_8ELb0ES3_jPlPS6_PKS6_NS0_5tupleIJS9_S6_EEENSD_IJSA_SA_EEENS0_18inequality_wrapperIZN2at6native12_GLOBAL__N_124unique_dim_cuda_templateIiEESt5tupleIJNSH_6TensorESM_SM_EERKSM_lbbbEUlllE0_EEPmJS6_EEE10hipError_tPvRmT3_T4_T5_T6_T7_T9_mT8_P12ihipStream_tbDpT10_ENKUlT_T0_E_clISt17integral_constantIbLb1EES1B_IbLb0EEEEDaS17_S18_EUlS17_E_NS1_11comp_targetILNS1_3genE3ELNS1_11target_archE908ELNS1_3gpuE7ELNS1_3repE0EEENS1_30default_config_static_selectorELNS0_4arch9wavefront6targetE0EEEvT1_.has_indirect_call, 0
	.section	.AMDGPU.csdata,"",@progbits
; Kernel info:
; codeLenInByte = 0
; TotalNumSgprs: 0
; NumVgprs: 0
; ScratchSize: 0
; MemoryBound: 0
; FloatMode: 240
; IeeeMode: 1
; LDSByteSize: 0 bytes/workgroup (compile time only)
; SGPRBlocks: 0
; VGPRBlocks: 0
; NumSGPRsForWavesPerEU: 1
; NumVGPRsForWavesPerEU: 1
; NamedBarCnt: 0
; Occupancy: 16
; WaveLimiterHint : 0
; COMPUTE_PGM_RSRC2:SCRATCH_EN: 0
; COMPUTE_PGM_RSRC2:USER_SGPR: 2
; COMPUTE_PGM_RSRC2:TRAP_HANDLER: 0
; COMPUTE_PGM_RSRC2:TGID_X_EN: 1
; COMPUTE_PGM_RSRC2:TGID_Y_EN: 0
; COMPUTE_PGM_RSRC2:TGID_Z_EN: 0
; COMPUTE_PGM_RSRC2:TIDIG_COMP_CNT: 0
	.section	.text._ZN7rocprim17ROCPRIM_400000_NS6detail17trampoline_kernelINS0_14default_configENS1_25partition_config_selectorILNS1_17partition_subalgoE8ElNS0_10empty_typeEbEEZZNS1_14partition_implILS5_8ELb0ES3_jPlPS6_PKS6_NS0_5tupleIJS9_S6_EEENSD_IJSA_SA_EEENS0_18inequality_wrapperIZN2at6native12_GLOBAL__N_124unique_dim_cuda_templateIiEESt5tupleIJNSH_6TensorESM_SM_EERKSM_lbbbEUlllE0_EEPmJS6_EEE10hipError_tPvRmT3_T4_T5_T6_T7_T9_mT8_P12ihipStream_tbDpT10_ENKUlT_T0_E_clISt17integral_constantIbLb1EES1B_IbLb0EEEEDaS17_S18_EUlS17_E_NS1_11comp_targetILNS1_3genE2ELNS1_11target_archE906ELNS1_3gpuE6ELNS1_3repE0EEENS1_30default_config_static_selectorELNS0_4arch9wavefront6targetE0EEEvT1_,"axG",@progbits,_ZN7rocprim17ROCPRIM_400000_NS6detail17trampoline_kernelINS0_14default_configENS1_25partition_config_selectorILNS1_17partition_subalgoE8ElNS0_10empty_typeEbEEZZNS1_14partition_implILS5_8ELb0ES3_jPlPS6_PKS6_NS0_5tupleIJS9_S6_EEENSD_IJSA_SA_EEENS0_18inequality_wrapperIZN2at6native12_GLOBAL__N_124unique_dim_cuda_templateIiEESt5tupleIJNSH_6TensorESM_SM_EERKSM_lbbbEUlllE0_EEPmJS6_EEE10hipError_tPvRmT3_T4_T5_T6_T7_T9_mT8_P12ihipStream_tbDpT10_ENKUlT_T0_E_clISt17integral_constantIbLb1EES1B_IbLb0EEEEDaS17_S18_EUlS17_E_NS1_11comp_targetILNS1_3genE2ELNS1_11target_archE906ELNS1_3gpuE6ELNS1_3repE0EEENS1_30default_config_static_selectorELNS0_4arch9wavefront6targetE0EEEvT1_,comdat
	.globl	_ZN7rocprim17ROCPRIM_400000_NS6detail17trampoline_kernelINS0_14default_configENS1_25partition_config_selectorILNS1_17partition_subalgoE8ElNS0_10empty_typeEbEEZZNS1_14partition_implILS5_8ELb0ES3_jPlPS6_PKS6_NS0_5tupleIJS9_S6_EEENSD_IJSA_SA_EEENS0_18inequality_wrapperIZN2at6native12_GLOBAL__N_124unique_dim_cuda_templateIiEESt5tupleIJNSH_6TensorESM_SM_EERKSM_lbbbEUlllE0_EEPmJS6_EEE10hipError_tPvRmT3_T4_T5_T6_T7_T9_mT8_P12ihipStream_tbDpT10_ENKUlT_T0_E_clISt17integral_constantIbLb1EES1B_IbLb0EEEEDaS17_S18_EUlS17_E_NS1_11comp_targetILNS1_3genE2ELNS1_11target_archE906ELNS1_3gpuE6ELNS1_3repE0EEENS1_30default_config_static_selectorELNS0_4arch9wavefront6targetE0EEEvT1_ ; -- Begin function _ZN7rocprim17ROCPRIM_400000_NS6detail17trampoline_kernelINS0_14default_configENS1_25partition_config_selectorILNS1_17partition_subalgoE8ElNS0_10empty_typeEbEEZZNS1_14partition_implILS5_8ELb0ES3_jPlPS6_PKS6_NS0_5tupleIJS9_S6_EEENSD_IJSA_SA_EEENS0_18inequality_wrapperIZN2at6native12_GLOBAL__N_124unique_dim_cuda_templateIiEESt5tupleIJNSH_6TensorESM_SM_EERKSM_lbbbEUlllE0_EEPmJS6_EEE10hipError_tPvRmT3_T4_T5_T6_T7_T9_mT8_P12ihipStream_tbDpT10_ENKUlT_T0_E_clISt17integral_constantIbLb1EES1B_IbLb0EEEEDaS17_S18_EUlS17_E_NS1_11comp_targetILNS1_3genE2ELNS1_11target_archE906ELNS1_3gpuE6ELNS1_3repE0EEENS1_30default_config_static_selectorELNS0_4arch9wavefront6targetE0EEEvT1_
	.p2align	8
	.type	_ZN7rocprim17ROCPRIM_400000_NS6detail17trampoline_kernelINS0_14default_configENS1_25partition_config_selectorILNS1_17partition_subalgoE8ElNS0_10empty_typeEbEEZZNS1_14partition_implILS5_8ELb0ES3_jPlPS6_PKS6_NS0_5tupleIJS9_S6_EEENSD_IJSA_SA_EEENS0_18inequality_wrapperIZN2at6native12_GLOBAL__N_124unique_dim_cuda_templateIiEESt5tupleIJNSH_6TensorESM_SM_EERKSM_lbbbEUlllE0_EEPmJS6_EEE10hipError_tPvRmT3_T4_T5_T6_T7_T9_mT8_P12ihipStream_tbDpT10_ENKUlT_T0_E_clISt17integral_constantIbLb1EES1B_IbLb0EEEEDaS17_S18_EUlS17_E_NS1_11comp_targetILNS1_3genE2ELNS1_11target_archE906ELNS1_3gpuE6ELNS1_3repE0EEENS1_30default_config_static_selectorELNS0_4arch9wavefront6targetE0EEEvT1_,@function
_ZN7rocprim17ROCPRIM_400000_NS6detail17trampoline_kernelINS0_14default_configENS1_25partition_config_selectorILNS1_17partition_subalgoE8ElNS0_10empty_typeEbEEZZNS1_14partition_implILS5_8ELb0ES3_jPlPS6_PKS6_NS0_5tupleIJS9_S6_EEENSD_IJSA_SA_EEENS0_18inequality_wrapperIZN2at6native12_GLOBAL__N_124unique_dim_cuda_templateIiEESt5tupleIJNSH_6TensorESM_SM_EERKSM_lbbbEUlllE0_EEPmJS6_EEE10hipError_tPvRmT3_T4_T5_T6_T7_T9_mT8_P12ihipStream_tbDpT10_ENKUlT_T0_E_clISt17integral_constantIbLb1EES1B_IbLb0EEEEDaS17_S18_EUlS17_E_NS1_11comp_targetILNS1_3genE2ELNS1_11target_archE906ELNS1_3gpuE6ELNS1_3repE0EEENS1_30default_config_static_selectorELNS0_4arch9wavefront6targetE0EEEvT1_: ; @_ZN7rocprim17ROCPRIM_400000_NS6detail17trampoline_kernelINS0_14default_configENS1_25partition_config_selectorILNS1_17partition_subalgoE8ElNS0_10empty_typeEbEEZZNS1_14partition_implILS5_8ELb0ES3_jPlPS6_PKS6_NS0_5tupleIJS9_S6_EEENSD_IJSA_SA_EEENS0_18inequality_wrapperIZN2at6native12_GLOBAL__N_124unique_dim_cuda_templateIiEESt5tupleIJNSH_6TensorESM_SM_EERKSM_lbbbEUlllE0_EEPmJS6_EEE10hipError_tPvRmT3_T4_T5_T6_T7_T9_mT8_P12ihipStream_tbDpT10_ENKUlT_T0_E_clISt17integral_constantIbLb1EES1B_IbLb0EEEEDaS17_S18_EUlS17_E_NS1_11comp_targetILNS1_3genE2ELNS1_11target_archE906ELNS1_3gpuE6ELNS1_3repE0EEENS1_30default_config_static_selectorELNS0_4arch9wavefront6targetE0EEEvT1_
; %bb.0:
	.section	.rodata,"a",@progbits
	.p2align	6, 0x0
	.amdhsa_kernel _ZN7rocprim17ROCPRIM_400000_NS6detail17trampoline_kernelINS0_14default_configENS1_25partition_config_selectorILNS1_17partition_subalgoE8ElNS0_10empty_typeEbEEZZNS1_14partition_implILS5_8ELb0ES3_jPlPS6_PKS6_NS0_5tupleIJS9_S6_EEENSD_IJSA_SA_EEENS0_18inequality_wrapperIZN2at6native12_GLOBAL__N_124unique_dim_cuda_templateIiEESt5tupleIJNSH_6TensorESM_SM_EERKSM_lbbbEUlllE0_EEPmJS6_EEE10hipError_tPvRmT3_T4_T5_T6_T7_T9_mT8_P12ihipStream_tbDpT10_ENKUlT_T0_E_clISt17integral_constantIbLb1EES1B_IbLb0EEEEDaS17_S18_EUlS17_E_NS1_11comp_targetILNS1_3genE2ELNS1_11target_archE906ELNS1_3gpuE6ELNS1_3repE0EEENS1_30default_config_static_selectorELNS0_4arch9wavefront6targetE0EEEvT1_
		.amdhsa_group_segment_fixed_size 0
		.amdhsa_private_segment_fixed_size 0
		.amdhsa_kernarg_size 120
		.amdhsa_user_sgpr_count 2
		.amdhsa_user_sgpr_dispatch_ptr 0
		.amdhsa_user_sgpr_queue_ptr 0
		.amdhsa_user_sgpr_kernarg_segment_ptr 1
		.amdhsa_user_sgpr_dispatch_id 0
		.amdhsa_user_sgpr_kernarg_preload_length 0
		.amdhsa_user_sgpr_kernarg_preload_offset 0
		.amdhsa_user_sgpr_private_segment_size 0
		.amdhsa_wavefront_size32 1
		.amdhsa_uses_dynamic_stack 0
		.amdhsa_enable_private_segment 0
		.amdhsa_system_sgpr_workgroup_id_x 1
		.amdhsa_system_sgpr_workgroup_id_y 0
		.amdhsa_system_sgpr_workgroup_id_z 0
		.amdhsa_system_sgpr_workgroup_info 0
		.amdhsa_system_vgpr_workitem_id 0
		.amdhsa_next_free_vgpr 1
		.amdhsa_next_free_sgpr 1
		.amdhsa_named_barrier_count 0
		.amdhsa_reserve_vcc 0
		.amdhsa_float_round_mode_32 0
		.amdhsa_float_round_mode_16_64 0
		.amdhsa_float_denorm_mode_32 3
		.amdhsa_float_denorm_mode_16_64 3
		.amdhsa_fp16_overflow 0
		.amdhsa_memory_ordered 1
		.amdhsa_forward_progress 1
		.amdhsa_inst_pref_size 0
		.amdhsa_round_robin_scheduling 0
		.amdhsa_exception_fp_ieee_invalid_op 0
		.amdhsa_exception_fp_denorm_src 0
		.amdhsa_exception_fp_ieee_div_zero 0
		.amdhsa_exception_fp_ieee_overflow 0
		.amdhsa_exception_fp_ieee_underflow 0
		.amdhsa_exception_fp_ieee_inexact 0
		.amdhsa_exception_int_div_zero 0
	.end_amdhsa_kernel
	.section	.text._ZN7rocprim17ROCPRIM_400000_NS6detail17trampoline_kernelINS0_14default_configENS1_25partition_config_selectorILNS1_17partition_subalgoE8ElNS0_10empty_typeEbEEZZNS1_14partition_implILS5_8ELb0ES3_jPlPS6_PKS6_NS0_5tupleIJS9_S6_EEENSD_IJSA_SA_EEENS0_18inequality_wrapperIZN2at6native12_GLOBAL__N_124unique_dim_cuda_templateIiEESt5tupleIJNSH_6TensorESM_SM_EERKSM_lbbbEUlllE0_EEPmJS6_EEE10hipError_tPvRmT3_T4_T5_T6_T7_T9_mT8_P12ihipStream_tbDpT10_ENKUlT_T0_E_clISt17integral_constantIbLb1EES1B_IbLb0EEEEDaS17_S18_EUlS17_E_NS1_11comp_targetILNS1_3genE2ELNS1_11target_archE906ELNS1_3gpuE6ELNS1_3repE0EEENS1_30default_config_static_selectorELNS0_4arch9wavefront6targetE0EEEvT1_,"axG",@progbits,_ZN7rocprim17ROCPRIM_400000_NS6detail17trampoline_kernelINS0_14default_configENS1_25partition_config_selectorILNS1_17partition_subalgoE8ElNS0_10empty_typeEbEEZZNS1_14partition_implILS5_8ELb0ES3_jPlPS6_PKS6_NS0_5tupleIJS9_S6_EEENSD_IJSA_SA_EEENS0_18inequality_wrapperIZN2at6native12_GLOBAL__N_124unique_dim_cuda_templateIiEESt5tupleIJNSH_6TensorESM_SM_EERKSM_lbbbEUlllE0_EEPmJS6_EEE10hipError_tPvRmT3_T4_T5_T6_T7_T9_mT8_P12ihipStream_tbDpT10_ENKUlT_T0_E_clISt17integral_constantIbLb1EES1B_IbLb0EEEEDaS17_S18_EUlS17_E_NS1_11comp_targetILNS1_3genE2ELNS1_11target_archE906ELNS1_3gpuE6ELNS1_3repE0EEENS1_30default_config_static_selectorELNS0_4arch9wavefront6targetE0EEEvT1_,comdat
.Lfunc_end461:
	.size	_ZN7rocprim17ROCPRIM_400000_NS6detail17trampoline_kernelINS0_14default_configENS1_25partition_config_selectorILNS1_17partition_subalgoE8ElNS0_10empty_typeEbEEZZNS1_14partition_implILS5_8ELb0ES3_jPlPS6_PKS6_NS0_5tupleIJS9_S6_EEENSD_IJSA_SA_EEENS0_18inequality_wrapperIZN2at6native12_GLOBAL__N_124unique_dim_cuda_templateIiEESt5tupleIJNSH_6TensorESM_SM_EERKSM_lbbbEUlllE0_EEPmJS6_EEE10hipError_tPvRmT3_T4_T5_T6_T7_T9_mT8_P12ihipStream_tbDpT10_ENKUlT_T0_E_clISt17integral_constantIbLb1EES1B_IbLb0EEEEDaS17_S18_EUlS17_E_NS1_11comp_targetILNS1_3genE2ELNS1_11target_archE906ELNS1_3gpuE6ELNS1_3repE0EEENS1_30default_config_static_selectorELNS0_4arch9wavefront6targetE0EEEvT1_, .Lfunc_end461-_ZN7rocprim17ROCPRIM_400000_NS6detail17trampoline_kernelINS0_14default_configENS1_25partition_config_selectorILNS1_17partition_subalgoE8ElNS0_10empty_typeEbEEZZNS1_14partition_implILS5_8ELb0ES3_jPlPS6_PKS6_NS0_5tupleIJS9_S6_EEENSD_IJSA_SA_EEENS0_18inequality_wrapperIZN2at6native12_GLOBAL__N_124unique_dim_cuda_templateIiEESt5tupleIJNSH_6TensorESM_SM_EERKSM_lbbbEUlllE0_EEPmJS6_EEE10hipError_tPvRmT3_T4_T5_T6_T7_T9_mT8_P12ihipStream_tbDpT10_ENKUlT_T0_E_clISt17integral_constantIbLb1EES1B_IbLb0EEEEDaS17_S18_EUlS17_E_NS1_11comp_targetILNS1_3genE2ELNS1_11target_archE906ELNS1_3gpuE6ELNS1_3repE0EEENS1_30default_config_static_selectorELNS0_4arch9wavefront6targetE0EEEvT1_
                                        ; -- End function
	.set _ZN7rocprim17ROCPRIM_400000_NS6detail17trampoline_kernelINS0_14default_configENS1_25partition_config_selectorILNS1_17partition_subalgoE8ElNS0_10empty_typeEbEEZZNS1_14partition_implILS5_8ELb0ES3_jPlPS6_PKS6_NS0_5tupleIJS9_S6_EEENSD_IJSA_SA_EEENS0_18inequality_wrapperIZN2at6native12_GLOBAL__N_124unique_dim_cuda_templateIiEESt5tupleIJNSH_6TensorESM_SM_EERKSM_lbbbEUlllE0_EEPmJS6_EEE10hipError_tPvRmT3_T4_T5_T6_T7_T9_mT8_P12ihipStream_tbDpT10_ENKUlT_T0_E_clISt17integral_constantIbLb1EES1B_IbLb0EEEEDaS17_S18_EUlS17_E_NS1_11comp_targetILNS1_3genE2ELNS1_11target_archE906ELNS1_3gpuE6ELNS1_3repE0EEENS1_30default_config_static_selectorELNS0_4arch9wavefront6targetE0EEEvT1_.num_vgpr, 0
	.set _ZN7rocprim17ROCPRIM_400000_NS6detail17trampoline_kernelINS0_14default_configENS1_25partition_config_selectorILNS1_17partition_subalgoE8ElNS0_10empty_typeEbEEZZNS1_14partition_implILS5_8ELb0ES3_jPlPS6_PKS6_NS0_5tupleIJS9_S6_EEENSD_IJSA_SA_EEENS0_18inequality_wrapperIZN2at6native12_GLOBAL__N_124unique_dim_cuda_templateIiEESt5tupleIJNSH_6TensorESM_SM_EERKSM_lbbbEUlllE0_EEPmJS6_EEE10hipError_tPvRmT3_T4_T5_T6_T7_T9_mT8_P12ihipStream_tbDpT10_ENKUlT_T0_E_clISt17integral_constantIbLb1EES1B_IbLb0EEEEDaS17_S18_EUlS17_E_NS1_11comp_targetILNS1_3genE2ELNS1_11target_archE906ELNS1_3gpuE6ELNS1_3repE0EEENS1_30default_config_static_selectorELNS0_4arch9wavefront6targetE0EEEvT1_.num_agpr, 0
	.set _ZN7rocprim17ROCPRIM_400000_NS6detail17trampoline_kernelINS0_14default_configENS1_25partition_config_selectorILNS1_17partition_subalgoE8ElNS0_10empty_typeEbEEZZNS1_14partition_implILS5_8ELb0ES3_jPlPS6_PKS6_NS0_5tupleIJS9_S6_EEENSD_IJSA_SA_EEENS0_18inequality_wrapperIZN2at6native12_GLOBAL__N_124unique_dim_cuda_templateIiEESt5tupleIJNSH_6TensorESM_SM_EERKSM_lbbbEUlllE0_EEPmJS6_EEE10hipError_tPvRmT3_T4_T5_T6_T7_T9_mT8_P12ihipStream_tbDpT10_ENKUlT_T0_E_clISt17integral_constantIbLb1EES1B_IbLb0EEEEDaS17_S18_EUlS17_E_NS1_11comp_targetILNS1_3genE2ELNS1_11target_archE906ELNS1_3gpuE6ELNS1_3repE0EEENS1_30default_config_static_selectorELNS0_4arch9wavefront6targetE0EEEvT1_.numbered_sgpr, 0
	.set _ZN7rocprim17ROCPRIM_400000_NS6detail17trampoline_kernelINS0_14default_configENS1_25partition_config_selectorILNS1_17partition_subalgoE8ElNS0_10empty_typeEbEEZZNS1_14partition_implILS5_8ELb0ES3_jPlPS6_PKS6_NS0_5tupleIJS9_S6_EEENSD_IJSA_SA_EEENS0_18inequality_wrapperIZN2at6native12_GLOBAL__N_124unique_dim_cuda_templateIiEESt5tupleIJNSH_6TensorESM_SM_EERKSM_lbbbEUlllE0_EEPmJS6_EEE10hipError_tPvRmT3_T4_T5_T6_T7_T9_mT8_P12ihipStream_tbDpT10_ENKUlT_T0_E_clISt17integral_constantIbLb1EES1B_IbLb0EEEEDaS17_S18_EUlS17_E_NS1_11comp_targetILNS1_3genE2ELNS1_11target_archE906ELNS1_3gpuE6ELNS1_3repE0EEENS1_30default_config_static_selectorELNS0_4arch9wavefront6targetE0EEEvT1_.num_named_barrier, 0
	.set _ZN7rocprim17ROCPRIM_400000_NS6detail17trampoline_kernelINS0_14default_configENS1_25partition_config_selectorILNS1_17partition_subalgoE8ElNS0_10empty_typeEbEEZZNS1_14partition_implILS5_8ELb0ES3_jPlPS6_PKS6_NS0_5tupleIJS9_S6_EEENSD_IJSA_SA_EEENS0_18inequality_wrapperIZN2at6native12_GLOBAL__N_124unique_dim_cuda_templateIiEESt5tupleIJNSH_6TensorESM_SM_EERKSM_lbbbEUlllE0_EEPmJS6_EEE10hipError_tPvRmT3_T4_T5_T6_T7_T9_mT8_P12ihipStream_tbDpT10_ENKUlT_T0_E_clISt17integral_constantIbLb1EES1B_IbLb0EEEEDaS17_S18_EUlS17_E_NS1_11comp_targetILNS1_3genE2ELNS1_11target_archE906ELNS1_3gpuE6ELNS1_3repE0EEENS1_30default_config_static_selectorELNS0_4arch9wavefront6targetE0EEEvT1_.private_seg_size, 0
	.set _ZN7rocprim17ROCPRIM_400000_NS6detail17trampoline_kernelINS0_14default_configENS1_25partition_config_selectorILNS1_17partition_subalgoE8ElNS0_10empty_typeEbEEZZNS1_14partition_implILS5_8ELb0ES3_jPlPS6_PKS6_NS0_5tupleIJS9_S6_EEENSD_IJSA_SA_EEENS0_18inequality_wrapperIZN2at6native12_GLOBAL__N_124unique_dim_cuda_templateIiEESt5tupleIJNSH_6TensorESM_SM_EERKSM_lbbbEUlllE0_EEPmJS6_EEE10hipError_tPvRmT3_T4_T5_T6_T7_T9_mT8_P12ihipStream_tbDpT10_ENKUlT_T0_E_clISt17integral_constantIbLb1EES1B_IbLb0EEEEDaS17_S18_EUlS17_E_NS1_11comp_targetILNS1_3genE2ELNS1_11target_archE906ELNS1_3gpuE6ELNS1_3repE0EEENS1_30default_config_static_selectorELNS0_4arch9wavefront6targetE0EEEvT1_.uses_vcc, 0
	.set _ZN7rocprim17ROCPRIM_400000_NS6detail17trampoline_kernelINS0_14default_configENS1_25partition_config_selectorILNS1_17partition_subalgoE8ElNS0_10empty_typeEbEEZZNS1_14partition_implILS5_8ELb0ES3_jPlPS6_PKS6_NS0_5tupleIJS9_S6_EEENSD_IJSA_SA_EEENS0_18inequality_wrapperIZN2at6native12_GLOBAL__N_124unique_dim_cuda_templateIiEESt5tupleIJNSH_6TensorESM_SM_EERKSM_lbbbEUlllE0_EEPmJS6_EEE10hipError_tPvRmT3_T4_T5_T6_T7_T9_mT8_P12ihipStream_tbDpT10_ENKUlT_T0_E_clISt17integral_constantIbLb1EES1B_IbLb0EEEEDaS17_S18_EUlS17_E_NS1_11comp_targetILNS1_3genE2ELNS1_11target_archE906ELNS1_3gpuE6ELNS1_3repE0EEENS1_30default_config_static_selectorELNS0_4arch9wavefront6targetE0EEEvT1_.uses_flat_scratch, 0
	.set _ZN7rocprim17ROCPRIM_400000_NS6detail17trampoline_kernelINS0_14default_configENS1_25partition_config_selectorILNS1_17partition_subalgoE8ElNS0_10empty_typeEbEEZZNS1_14partition_implILS5_8ELb0ES3_jPlPS6_PKS6_NS0_5tupleIJS9_S6_EEENSD_IJSA_SA_EEENS0_18inequality_wrapperIZN2at6native12_GLOBAL__N_124unique_dim_cuda_templateIiEESt5tupleIJNSH_6TensorESM_SM_EERKSM_lbbbEUlllE0_EEPmJS6_EEE10hipError_tPvRmT3_T4_T5_T6_T7_T9_mT8_P12ihipStream_tbDpT10_ENKUlT_T0_E_clISt17integral_constantIbLb1EES1B_IbLb0EEEEDaS17_S18_EUlS17_E_NS1_11comp_targetILNS1_3genE2ELNS1_11target_archE906ELNS1_3gpuE6ELNS1_3repE0EEENS1_30default_config_static_selectorELNS0_4arch9wavefront6targetE0EEEvT1_.has_dyn_sized_stack, 0
	.set _ZN7rocprim17ROCPRIM_400000_NS6detail17trampoline_kernelINS0_14default_configENS1_25partition_config_selectorILNS1_17partition_subalgoE8ElNS0_10empty_typeEbEEZZNS1_14partition_implILS5_8ELb0ES3_jPlPS6_PKS6_NS0_5tupleIJS9_S6_EEENSD_IJSA_SA_EEENS0_18inequality_wrapperIZN2at6native12_GLOBAL__N_124unique_dim_cuda_templateIiEESt5tupleIJNSH_6TensorESM_SM_EERKSM_lbbbEUlllE0_EEPmJS6_EEE10hipError_tPvRmT3_T4_T5_T6_T7_T9_mT8_P12ihipStream_tbDpT10_ENKUlT_T0_E_clISt17integral_constantIbLb1EES1B_IbLb0EEEEDaS17_S18_EUlS17_E_NS1_11comp_targetILNS1_3genE2ELNS1_11target_archE906ELNS1_3gpuE6ELNS1_3repE0EEENS1_30default_config_static_selectorELNS0_4arch9wavefront6targetE0EEEvT1_.has_recursion, 0
	.set _ZN7rocprim17ROCPRIM_400000_NS6detail17trampoline_kernelINS0_14default_configENS1_25partition_config_selectorILNS1_17partition_subalgoE8ElNS0_10empty_typeEbEEZZNS1_14partition_implILS5_8ELb0ES3_jPlPS6_PKS6_NS0_5tupleIJS9_S6_EEENSD_IJSA_SA_EEENS0_18inequality_wrapperIZN2at6native12_GLOBAL__N_124unique_dim_cuda_templateIiEESt5tupleIJNSH_6TensorESM_SM_EERKSM_lbbbEUlllE0_EEPmJS6_EEE10hipError_tPvRmT3_T4_T5_T6_T7_T9_mT8_P12ihipStream_tbDpT10_ENKUlT_T0_E_clISt17integral_constantIbLb1EES1B_IbLb0EEEEDaS17_S18_EUlS17_E_NS1_11comp_targetILNS1_3genE2ELNS1_11target_archE906ELNS1_3gpuE6ELNS1_3repE0EEENS1_30default_config_static_selectorELNS0_4arch9wavefront6targetE0EEEvT1_.has_indirect_call, 0
	.section	.AMDGPU.csdata,"",@progbits
; Kernel info:
; codeLenInByte = 0
; TotalNumSgprs: 0
; NumVgprs: 0
; ScratchSize: 0
; MemoryBound: 0
; FloatMode: 240
; IeeeMode: 1
; LDSByteSize: 0 bytes/workgroup (compile time only)
; SGPRBlocks: 0
; VGPRBlocks: 0
; NumSGPRsForWavesPerEU: 1
; NumVGPRsForWavesPerEU: 1
; NamedBarCnt: 0
; Occupancy: 16
; WaveLimiterHint : 0
; COMPUTE_PGM_RSRC2:SCRATCH_EN: 0
; COMPUTE_PGM_RSRC2:USER_SGPR: 2
; COMPUTE_PGM_RSRC2:TRAP_HANDLER: 0
; COMPUTE_PGM_RSRC2:TGID_X_EN: 1
; COMPUTE_PGM_RSRC2:TGID_Y_EN: 0
; COMPUTE_PGM_RSRC2:TGID_Z_EN: 0
; COMPUTE_PGM_RSRC2:TIDIG_COMP_CNT: 0
	.section	.text._ZN7rocprim17ROCPRIM_400000_NS6detail17trampoline_kernelINS0_14default_configENS1_25partition_config_selectorILNS1_17partition_subalgoE8ElNS0_10empty_typeEbEEZZNS1_14partition_implILS5_8ELb0ES3_jPlPS6_PKS6_NS0_5tupleIJS9_S6_EEENSD_IJSA_SA_EEENS0_18inequality_wrapperIZN2at6native12_GLOBAL__N_124unique_dim_cuda_templateIiEESt5tupleIJNSH_6TensorESM_SM_EERKSM_lbbbEUlllE0_EEPmJS6_EEE10hipError_tPvRmT3_T4_T5_T6_T7_T9_mT8_P12ihipStream_tbDpT10_ENKUlT_T0_E_clISt17integral_constantIbLb1EES1B_IbLb0EEEEDaS17_S18_EUlS17_E_NS1_11comp_targetILNS1_3genE10ELNS1_11target_archE1200ELNS1_3gpuE4ELNS1_3repE0EEENS1_30default_config_static_selectorELNS0_4arch9wavefront6targetE0EEEvT1_,"axG",@progbits,_ZN7rocprim17ROCPRIM_400000_NS6detail17trampoline_kernelINS0_14default_configENS1_25partition_config_selectorILNS1_17partition_subalgoE8ElNS0_10empty_typeEbEEZZNS1_14partition_implILS5_8ELb0ES3_jPlPS6_PKS6_NS0_5tupleIJS9_S6_EEENSD_IJSA_SA_EEENS0_18inequality_wrapperIZN2at6native12_GLOBAL__N_124unique_dim_cuda_templateIiEESt5tupleIJNSH_6TensorESM_SM_EERKSM_lbbbEUlllE0_EEPmJS6_EEE10hipError_tPvRmT3_T4_T5_T6_T7_T9_mT8_P12ihipStream_tbDpT10_ENKUlT_T0_E_clISt17integral_constantIbLb1EES1B_IbLb0EEEEDaS17_S18_EUlS17_E_NS1_11comp_targetILNS1_3genE10ELNS1_11target_archE1200ELNS1_3gpuE4ELNS1_3repE0EEENS1_30default_config_static_selectorELNS0_4arch9wavefront6targetE0EEEvT1_,comdat
	.globl	_ZN7rocprim17ROCPRIM_400000_NS6detail17trampoline_kernelINS0_14default_configENS1_25partition_config_selectorILNS1_17partition_subalgoE8ElNS0_10empty_typeEbEEZZNS1_14partition_implILS5_8ELb0ES3_jPlPS6_PKS6_NS0_5tupleIJS9_S6_EEENSD_IJSA_SA_EEENS0_18inequality_wrapperIZN2at6native12_GLOBAL__N_124unique_dim_cuda_templateIiEESt5tupleIJNSH_6TensorESM_SM_EERKSM_lbbbEUlllE0_EEPmJS6_EEE10hipError_tPvRmT3_T4_T5_T6_T7_T9_mT8_P12ihipStream_tbDpT10_ENKUlT_T0_E_clISt17integral_constantIbLb1EES1B_IbLb0EEEEDaS17_S18_EUlS17_E_NS1_11comp_targetILNS1_3genE10ELNS1_11target_archE1200ELNS1_3gpuE4ELNS1_3repE0EEENS1_30default_config_static_selectorELNS0_4arch9wavefront6targetE0EEEvT1_ ; -- Begin function _ZN7rocprim17ROCPRIM_400000_NS6detail17trampoline_kernelINS0_14default_configENS1_25partition_config_selectorILNS1_17partition_subalgoE8ElNS0_10empty_typeEbEEZZNS1_14partition_implILS5_8ELb0ES3_jPlPS6_PKS6_NS0_5tupleIJS9_S6_EEENSD_IJSA_SA_EEENS0_18inequality_wrapperIZN2at6native12_GLOBAL__N_124unique_dim_cuda_templateIiEESt5tupleIJNSH_6TensorESM_SM_EERKSM_lbbbEUlllE0_EEPmJS6_EEE10hipError_tPvRmT3_T4_T5_T6_T7_T9_mT8_P12ihipStream_tbDpT10_ENKUlT_T0_E_clISt17integral_constantIbLb1EES1B_IbLb0EEEEDaS17_S18_EUlS17_E_NS1_11comp_targetILNS1_3genE10ELNS1_11target_archE1200ELNS1_3gpuE4ELNS1_3repE0EEENS1_30default_config_static_selectorELNS0_4arch9wavefront6targetE0EEEvT1_
	.p2align	8
	.type	_ZN7rocprim17ROCPRIM_400000_NS6detail17trampoline_kernelINS0_14default_configENS1_25partition_config_selectorILNS1_17partition_subalgoE8ElNS0_10empty_typeEbEEZZNS1_14partition_implILS5_8ELb0ES3_jPlPS6_PKS6_NS0_5tupleIJS9_S6_EEENSD_IJSA_SA_EEENS0_18inequality_wrapperIZN2at6native12_GLOBAL__N_124unique_dim_cuda_templateIiEESt5tupleIJNSH_6TensorESM_SM_EERKSM_lbbbEUlllE0_EEPmJS6_EEE10hipError_tPvRmT3_T4_T5_T6_T7_T9_mT8_P12ihipStream_tbDpT10_ENKUlT_T0_E_clISt17integral_constantIbLb1EES1B_IbLb0EEEEDaS17_S18_EUlS17_E_NS1_11comp_targetILNS1_3genE10ELNS1_11target_archE1200ELNS1_3gpuE4ELNS1_3repE0EEENS1_30default_config_static_selectorELNS0_4arch9wavefront6targetE0EEEvT1_,@function
_ZN7rocprim17ROCPRIM_400000_NS6detail17trampoline_kernelINS0_14default_configENS1_25partition_config_selectorILNS1_17partition_subalgoE8ElNS0_10empty_typeEbEEZZNS1_14partition_implILS5_8ELb0ES3_jPlPS6_PKS6_NS0_5tupleIJS9_S6_EEENSD_IJSA_SA_EEENS0_18inequality_wrapperIZN2at6native12_GLOBAL__N_124unique_dim_cuda_templateIiEESt5tupleIJNSH_6TensorESM_SM_EERKSM_lbbbEUlllE0_EEPmJS6_EEE10hipError_tPvRmT3_T4_T5_T6_T7_T9_mT8_P12ihipStream_tbDpT10_ENKUlT_T0_E_clISt17integral_constantIbLb1EES1B_IbLb0EEEEDaS17_S18_EUlS17_E_NS1_11comp_targetILNS1_3genE10ELNS1_11target_archE1200ELNS1_3gpuE4ELNS1_3repE0EEENS1_30default_config_static_selectorELNS0_4arch9wavefront6targetE0EEEvT1_: ; @_ZN7rocprim17ROCPRIM_400000_NS6detail17trampoline_kernelINS0_14default_configENS1_25partition_config_selectorILNS1_17partition_subalgoE8ElNS0_10empty_typeEbEEZZNS1_14partition_implILS5_8ELb0ES3_jPlPS6_PKS6_NS0_5tupleIJS9_S6_EEENSD_IJSA_SA_EEENS0_18inequality_wrapperIZN2at6native12_GLOBAL__N_124unique_dim_cuda_templateIiEESt5tupleIJNSH_6TensorESM_SM_EERKSM_lbbbEUlllE0_EEPmJS6_EEE10hipError_tPvRmT3_T4_T5_T6_T7_T9_mT8_P12ihipStream_tbDpT10_ENKUlT_T0_E_clISt17integral_constantIbLb1EES1B_IbLb0EEEEDaS17_S18_EUlS17_E_NS1_11comp_targetILNS1_3genE10ELNS1_11target_archE1200ELNS1_3gpuE4ELNS1_3repE0EEENS1_30default_config_static_selectorELNS0_4arch9wavefront6targetE0EEEvT1_
; %bb.0:
	.section	.rodata,"a",@progbits
	.p2align	6, 0x0
	.amdhsa_kernel _ZN7rocprim17ROCPRIM_400000_NS6detail17trampoline_kernelINS0_14default_configENS1_25partition_config_selectorILNS1_17partition_subalgoE8ElNS0_10empty_typeEbEEZZNS1_14partition_implILS5_8ELb0ES3_jPlPS6_PKS6_NS0_5tupleIJS9_S6_EEENSD_IJSA_SA_EEENS0_18inequality_wrapperIZN2at6native12_GLOBAL__N_124unique_dim_cuda_templateIiEESt5tupleIJNSH_6TensorESM_SM_EERKSM_lbbbEUlllE0_EEPmJS6_EEE10hipError_tPvRmT3_T4_T5_T6_T7_T9_mT8_P12ihipStream_tbDpT10_ENKUlT_T0_E_clISt17integral_constantIbLb1EES1B_IbLb0EEEEDaS17_S18_EUlS17_E_NS1_11comp_targetILNS1_3genE10ELNS1_11target_archE1200ELNS1_3gpuE4ELNS1_3repE0EEENS1_30default_config_static_selectorELNS0_4arch9wavefront6targetE0EEEvT1_
		.amdhsa_group_segment_fixed_size 0
		.amdhsa_private_segment_fixed_size 0
		.amdhsa_kernarg_size 120
		.amdhsa_user_sgpr_count 2
		.amdhsa_user_sgpr_dispatch_ptr 0
		.amdhsa_user_sgpr_queue_ptr 0
		.amdhsa_user_sgpr_kernarg_segment_ptr 1
		.amdhsa_user_sgpr_dispatch_id 0
		.amdhsa_user_sgpr_kernarg_preload_length 0
		.amdhsa_user_sgpr_kernarg_preload_offset 0
		.amdhsa_user_sgpr_private_segment_size 0
		.amdhsa_wavefront_size32 1
		.amdhsa_uses_dynamic_stack 0
		.amdhsa_enable_private_segment 0
		.amdhsa_system_sgpr_workgroup_id_x 1
		.amdhsa_system_sgpr_workgroup_id_y 0
		.amdhsa_system_sgpr_workgroup_id_z 0
		.amdhsa_system_sgpr_workgroup_info 0
		.amdhsa_system_vgpr_workitem_id 0
		.amdhsa_next_free_vgpr 1
		.amdhsa_next_free_sgpr 1
		.amdhsa_named_barrier_count 0
		.amdhsa_reserve_vcc 0
		.amdhsa_float_round_mode_32 0
		.amdhsa_float_round_mode_16_64 0
		.amdhsa_float_denorm_mode_32 3
		.amdhsa_float_denorm_mode_16_64 3
		.amdhsa_fp16_overflow 0
		.amdhsa_memory_ordered 1
		.amdhsa_forward_progress 1
		.amdhsa_inst_pref_size 0
		.amdhsa_round_robin_scheduling 0
		.amdhsa_exception_fp_ieee_invalid_op 0
		.amdhsa_exception_fp_denorm_src 0
		.amdhsa_exception_fp_ieee_div_zero 0
		.amdhsa_exception_fp_ieee_overflow 0
		.amdhsa_exception_fp_ieee_underflow 0
		.amdhsa_exception_fp_ieee_inexact 0
		.amdhsa_exception_int_div_zero 0
	.end_amdhsa_kernel
	.section	.text._ZN7rocprim17ROCPRIM_400000_NS6detail17trampoline_kernelINS0_14default_configENS1_25partition_config_selectorILNS1_17partition_subalgoE8ElNS0_10empty_typeEbEEZZNS1_14partition_implILS5_8ELb0ES3_jPlPS6_PKS6_NS0_5tupleIJS9_S6_EEENSD_IJSA_SA_EEENS0_18inequality_wrapperIZN2at6native12_GLOBAL__N_124unique_dim_cuda_templateIiEESt5tupleIJNSH_6TensorESM_SM_EERKSM_lbbbEUlllE0_EEPmJS6_EEE10hipError_tPvRmT3_T4_T5_T6_T7_T9_mT8_P12ihipStream_tbDpT10_ENKUlT_T0_E_clISt17integral_constantIbLb1EES1B_IbLb0EEEEDaS17_S18_EUlS17_E_NS1_11comp_targetILNS1_3genE10ELNS1_11target_archE1200ELNS1_3gpuE4ELNS1_3repE0EEENS1_30default_config_static_selectorELNS0_4arch9wavefront6targetE0EEEvT1_,"axG",@progbits,_ZN7rocprim17ROCPRIM_400000_NS6detail17trampoline_kernelINS0_14default_configENS1_25partition_config_selectorILNS1_17partition_subalgoE8ElNS0_10empty_typeEbEEZZNS1_14partition_implILS5_8ELb0ES3_jPlPS6_PKS6_NS0_5tupleIJS9_S6_EEENSD_IJSA_SA_EEENS0_18inequality_wrapperIZN2at6native12_GLOBAL__N_124unique_dim_cuda_templateIiEESt5tupleIJNSH_6TensorESM_SM_EERKSM_lbbbEUlllE0_EEPmJS6_EEE10hipError_tPvRmT3_T4_T5_T6_T7_T9_mT8_P12ihipStream_tbDpT10_ENKUlT_T0_E_clISt17integral_constantIbLb1EES1B_IbLb0EEEEDaS17_S18_EUlS17_E_NS1_11comp_targetILNS1_3genE10ELNS1_11target_archE1200ELNS1_3gpuE4ELNS1_3repE0EEENS1_30default_config_static_selectorELNS0_4arch9wavefront6targetE0EEEvT1_,comdat
.Lfunc_end462:
	.size	_ZN7rocprim17ROCPRIM_400000_NS6detail17trampoline_kernelINS0_14default_configENS1_25partition_config_selectorILNS1_17partition_subalgoE8ElNS0_10empty_typeEbEEZZNS1_14partition_implILS5_8ELb0ES3_jPlPS6_PKS6_NS0_5tupleIJS9_S6_EEENSD_IJSA_SA_EEENS0_18inequality_wrapperIZN2at6native12_GLOBAL__N_124unique_dim_cuda_templateIiEESt5tupleIJNSH_6TensorESM_SM_EERKSM_lbbbEUlllE0_EEPmJS6_EEE10hipError_tPvRmT3_T4_T5_T6_T7_T9_mT8_P12ihipStream_tbDpT10_ENKUlT_T0_E_clISt17integral_constantIbLb1EES1B_IbLb0EEEEDaS17_S18_EUlS17_E_NS1_11comp_targetILNS1_3genE10ELNS1_11target_archE1200ELNS1_3gpuE4ELNS1_3repE0EEENS1_30default_config_static_selectorELNS0_4arch9wavefront6targetE0EEEvT1_, .Lfunc_end462-_ZN7rocprim17ROCPRIM_400000_NS6detail17trampoline_kernelINS0_14default_configENS1_25partition_config_selectorILNS1_17partition_subalgoE8ElNS0_10empty_typeEbEEZZNS1_14partition_implILS5_8ELb0ES3_jPlPS6_PKS6_NS0_5tupleIJS9_S6_EEENSD_IJSA_SA_EEENS0_18inequality_wrapperIZN2at6native12_GLOBAL__N_124unique_dim_cuda_templateIiEESt5tupleIJNSH_6TensorESM_SM_EERKSM_lbbbEUlllE0_EEPmJS6_EEE10hipError_tPvRmT3_T4_T5_T6_T7_T9_mT8_P12ihipStream_tbDpT10_ENKUlT_T0_E_clISt17integral_constantIbLb1EES1B_IbLb0EEEEDaS17_S18_EUlS17_E_NS1_11comp_targetILNS1_3genE10ELNS1_11target_archE1200ELNS1_3gpuE4ELNS1_3repE0EEENS1_30default_config_static_selectorELNS0_4arch9wavefront6targetE0EEEvT1_
                                        ; -- End function
	.set _ZN7rocprim17ROCPRIM_400000_NS6detail17trampoline_kernelINS0_14default_configENS1_25partition_config_selectorILNS1_17partition_subalgoE8ElNS0_10empty_typeEbEEZZNS1_14partition_implILS5_8ELb0ES3_jPlPS6_PKS6_NS0_5tupleIJS9_S6_EEENSD_IJSA_SA_EEENS0_18inequality_wrapperIZN2at6native12_GLOBAL__N_124unique_dim_cuda_templateIiEESt5tupleIJNSH_6TensorESM_SM_EERKSM_lbbbEUlllE0_EEPmJS6_EEE10hipError_tPvRmT3_T4_T5_T6_T7_T9_mT8_P12ihipStream_tbDpT10_ENKUlT_T0_E_clISt17integral_constantIbLb1EES1B_IbLb0EEEEDaS17_S18_EUlS17_E_NS1_11comp_targetILNS1_3genE10ELNS1_11target_archE1200ELNS1_3gpuE4ELNS1_3repE0EEENS1_30default_config_static_selectorELNS0_4arch9wavefront6targetE0EEEvT1_.num_vgpr, 0
	.set _ZN7rocprim17ROCPRIM_400000_NS6detail17trampoline_kernelINS0_14default_configENS1_25partition_config_selectorILNS1_17partition_subalgoE8ElNS0_10empty_typeEbEEZZNS1_14partition_implILS5_8ELb0ES3_jPlPS6_PKS6_NS0_5tupleIJS9_S6_EEENSD_IJSA_SA_EEENS0_18inequality_wrapperIZN2at6native12_GLOBAL__N_124unique_dim_cuda_templateIiEESt5tupleIJNSH_6TensorESM_SM_EERKSM_lbbbEUlllE0_EEPmJS6_EEE10hipError_tPvRmT3_T4_T5_T6_T7_T9_mT8_P12ihipStream_tbDpT10_ENKUlT_T0_E_clISt17integral_constantIbLb1EES1B_IbLb0EEEEDaS17_S18_EUlS17_E_NS1_11comp_targetILNS1_3genE10ELNS1_11target_archE1200ELNS1_3gpuE4ELNS1_3repE0EEENS1_30default_config_static_selectorELNS0_4arch9wavefront6targetE0EEEvT1_.num_agpr, 0
	.set _ZN7rocprim17ROCPRIM_400000_NS6detail17trampoline_kernelINS0_14default_configENS1_25partition_config_selectorILNS1_17partition_subalgoE8ElNS0_10empty_typeEbEEZZNS1_14partition_implILS5_8ELb0ES3_jPlPS6_PKS6_NS0_5tupleIJS9_S6_EEENSD_IJSA_SA_EEENS0_18inequality_wrapperIZN2at6native12_GLOBAL__N_124unique_dim_cuda_templateIiEESt5tupleIJNSH_6TensorESM_SM_EERKSM_lbbbEUlllE0_EEPmJS6_EEE10hipError_tPvRmT3_T4_T5_T6_T7_T9_mT8_P12ihipStream_tbDpT10_ENKUlT_T0_E_clISt17integral_constantIbLb1EES1B_IbLb0EEEEDaS17_S18_EUlS17_E_NS1_11comp_targetILNS1_3genE10ELNS1_11target_archE1200ELNS1_3gpuE4ELNS1_3repE0EEENS1_30default_config_static_selectorELNS0_4arch9wavefront6targetE0EEEvT1_.numbered_sgpr, 0
	.set _ZN7rocprim17ROCPRIM_400000_NS6detail17trampoline_kernelINS0_14default_configENS1_25partition_config_selectorILNS1_17partition_subalgoE8ElNS0_10empty_typeEbEEZZNS1_14partition_implILS5_8ELb0ES3_jPlPS6_PKS6_NS0_5tupleIJS9_S6_EEENSD_IJSA_SA_EEENS0_18inequality_wrapperIZN2at6native12_GLOBAL__N_124unique_dim_cuda_templateIiEESt5tupleIJNSH_6TensorESM_SM_EERKSM_lbbbEUlllE0_EEPmJS6_EEE10hipError_tPvRmT3_T4_T5_T6_T7_T9_mT8_P12ihipStream_tbDpT10_ENKUlT_T0_E_clISt17integral_constantIbLb1EES1B_IbLb0EEEEDaS17_S18_EUlS17_E_NS1_11comp_targetILNS1_3genE10ELNS1_11target_archE1200ELNS1_3gpuE4ELNS1_3repE0EEENS1_30default_config_static_selectorELNS0_4arch9wavefront6targetE0EEEvT1_.num_named_barrier, 0
	.set _ZN7rocprim17ROCPRIM_400000_NS6detail17trampoline_kernelINS0_14default_configENS1_25partition_config_selectorILNS1_17partition_subalgoE8ElNS0_10empty_typeEbEEZZNS1_14partition_implILS5_8ELb0ES3_jPlPS6_PKS6_NS0_5tupleIJS9_S6_EEENSD_IJSA_SA_EEENS0_18inequality_wrapperIZN2at6native12_GLOBAL__N_124unique_dim_cuda_templateIiEESt5tupleIJNSH_6TensorESM_SM_EERKSM_lbbbEUlllE0_EEPmJS6_EEE10hipError_tPvRmT3_T4_T5_T6_T7_T9_mT8_P12ihipStream_tbDpT10_ENKUlT_T0_E_clISt17integral_constantIbLb1EES1B_IbLb0EEEEDaS17_S18_EUlS17_E_NS1_11comp_targetILNS1_3genE10ELNS1_11target_archE1200ELNS1_3gpuE4ELNS1_3repE0EEENS1_30default_config_static_selectorELNS0_4arch9wavefront6targetE0EEEvT1_.private_seg_size, 0
	.set _ZN7rocprim17ROCPRIM_400000_NS6detail17trampoline_kernelINS0_14default_configENS1_25partition_config_selectorILNS1_17partition_subalgoE8ElNS0_10empty_typeEbEEZZNS1_14partition_implILS5_8ELb0ES3_jPlPS6_PKS6_NS0_5tupleIJS9_S6_EEENSD_IJSA_SA_EEENS0_18inequality_wrapperIZN2at6native12_GLOBAL__N_124unique_dim_cuda_templateIiEESt5tupleIJNSH_6TensorESM_SM_EERKSM_lbbbEUlllE0_EEPmJS6_EEE10hipError_tPvRmT3_T4_T5_T6_T7_T9_mT8_P12ihipStream_tbDpT10_ENKUlT_T0_E_clISt17integral_constantIbLb1EES1B_IbLb0EEEEDaS17_S18_EUlS17_E_NS1_11comp_targetILNS1_3genE10ELNS1_11target_archE1200ELNS1_3gpuE4ELNS1_3repE0EEENS1_30default_config_static_selectorELNS0_4arch9wavefront6targetE0EEEvT1_.uses_vcc, 0
	.set _ZN7rocprim17ROCPRIM_400000_NS6detail17trampoline_kernelINS0_14default_configENS1_25partition_config_selectorILNS1_17partition_subalgoE8ElNS0_10empty_typeEbEEZZNS1_14partition_implILS5_8ELb0ES3_jPlPS6_PKS6_NS0_5tupleIJS9_S6_EEENSD_IJSA_SA_EEENS0_18inequality_wrapperIZN2at6native12_GLOBAL__N_124unique_dim_cuda_templateIiEESt5tupleIJNSH_6TensorESM_SM_EERKSM_lbbbEUlllE0_EEPmJS6_EEE10hipError_tPvRmT3_T4_T5_T6_T7_T9_mT8_P12ihipStream_tbDpT10_ENKUlT_T0_E_clISt17integral_constantIbLb1EES1B_IbLb0EEEEDaS17_S18_EUlS17_E_NS1_11comp_targetILNS1_3genE10ELNS1_11target_archE1200ELNS1_3gpuE4ELNS1_3repE0EEENS1_30default_config_static_selectorELNS0_4arch9wavefront6targetE0EEEvT1_.uses_flat_scratch, 0
	.set _ZN7rocprim17ROCPRIM_400000_NS6detail17trampoline_kernelINS0_14default_configENS1_25partition_config_selectorILNS1_17partition_subalgoE8ElNS0_10empty_typeEbEEZZNS1_14partition_implILS5_8ELb0ES3_jPlPS6_PKS6_NS0_5tupleIJS9_S6_EEENSD_IJSA_SA_EEENS0_18inequality_wrapperIZN2at6native12_GLOBAL__N_124unique_dim_cuda_templateIiEESt5tupleIJNSH_6TensorESM_SM_EERKSM_lbbbEUlllE0_EEPmJS6_EEE10hipError_tPvRmT3_T4_T5_T6_T7_T9_mT8_P12ihipStream_tbDpT10_ENKUlT_T0_E_clISt17integral_constantIbLb1EES1B_IbLb0EEEEDaS17_S18_EUlS17_E_NS1_11comp_targetILNS1_3genE10ELNS1_11target_archE1200ELNS1_3gpuE4ELNS1_3repE0EEENS1_30default_config_static_selectorELNS0_4arch9wavefront6targetE0EEEvT1_.has_dyn_sized_stack, 0
	.set _ZN7rocprim17ROCPRIM_400000_NS6detail17trampoline_kernelINS0_14default_configENS1_25partition_config_selectorILNS1_17partition_subalgoE8ElNS0_10empty_typeEbEEZZNS1_14partition_implILS5_8ELb0ES3_jPlPS6_PKS6_NS0_5tupleIJS9_S6_EEENSD_IJSA_SA_EEENS0_18inequality_wrapperIZN2at6native12_GLOBAL__N_124unique_dim_cuda_templateIiEESt5tupleIJNSH_6TensorESM_SM_EERKSM_lbbbEUlllE0_EEPmJS6_EEE10hipError_tPvRmT3_T4_T5_T6_T7_T9_mT8_P12ihipStream_tbDpT10_ENKUlT_T0_E_clISt17integral_constantIbLb1EES1B_IbLb0EEEEDaS17_S18_EUlS17_E_NS1_11comp_targetILNS1_3genE10ELNS1_11target_archE1200ELNS1_3gpuE4ELNS1_3repE0EEENS1_30default_config_static_selectorELNS0_4arch9wavefront6targetE0EEEvT1_.has_recursion, 0
	.set _ZN7rocprim17ROCPRIM_400000_NS6detail17trampoline_kernelINS0_14default_configENS1_25partition_config_selectorILNS1_17partition_subalgoE8ElNS0_10empty_typeEbEEZZNS1_14partition_implILS5_8ELb0ES3_jPlPS6_PKS6_NS0_5tupleIJS9_S6_EEENSD_IJSA_SA_EEENS0_18inequality_wrapperIZN2at6native12_GLOBAL__N_124unique_dim_cuda_templateIiEESt5tupleIJNSH_6TensorESM_SM_EERKSM_lbbbEUlllE0_EEPmJS6_EEE10hipError_tPvRmT3_T4_T5_T6_T7_T9_mT8_P12ihipStream_tbDpT10_ENKUlT_T0_E_clISt17integral_constantIbLb1EES1B_IbLb0EEEEDaS17_S18_EUlS17_E_NS1_11comp_targetILNS1_3genE10ELNS1_11target_archE1200ELNS1_3gpuE4ELNS1_3repE0EEENS1_30default_config_static_selectorELNS0_4arch9wavefront6targetE0EEEvT1_.has_indirect_call, 0
	.section	.AMDGPU.csdata,"",@progbits
; Kernel info:
; codeLenInByte = 0
; TotalNumSgprs: 0
; NumVgprs: 0
; ScratchSize: 0
; MemoryBound: 0
; FloatMode: 240
; IeeeMode: 1
; LDSByteSize: 0 bytes/workgroup (compile time only)
; SGPRBlocks: 0
; VGPRBlocks: 0
; NumSGPRsForWavesPerEU: 1
; NumVGPRsForWavesPerEU: 1
; NamedBarCnt: 0
; Occupancy: 16
; WaveLimiterHint : 0
; COMPUTE_PGM_RSRC2:SCRATCH_EN: 0
; COMPUTE_PGM_RSRC2:USER_SGPR: 2
; COMPUTE_PGM_RSRC2:TRAP_HANDLER: 0
; COMPUTE_PGM_RSRC2:TGID_X_EN: 1
; COMPUTE_PGM_RSRC2:TGID_Y_EN: 0
; COMPUTE_PGM_RSRC2:TGID_Z_EN: 0
; COMPUTE_PGM_RSRC2:TIDIG_COMP_CNT: 0
	.section	.text._ZN7rocprim17ROCPRIM_400000_NS6detail17trampoline_kernelINS0_14default_configENS1_25partition_config_selectorILNS1_17partition_subalgoE8ElNS0_10empty_typeEbEEZZNS1_14partition_implILS5_8ELb0ES3_jPlPS6_PKS6_NS0_5tupleIJS9_S6_EEENSD_IJSA_SA_EEENS0_18inequality_wrapperIZN2at6native12_GLOBAL__N_124unique_dim_cuda_templateIiEESt5tupleIJNSH_6TensorESM_SM_EERKSM_lbbbEUlllE0_EEPmJS6_EEE10hipError_tPvRmT3_T4_T5_T6_T7_T9_mT8_P12ihipStream_tbDpT10_ENKUlT_T0_E_clISt17integral_constantIbLb1EES1B_IbLb0EEEEDaS17_S18_EUlS17_E_NS1_11comp_targetILNS1_3genE9ELNS1_11target_archE1100ELNS1_3gpuE3ELNS1_3repE0EEENS1_30default_config_static_selectorELNS0_4arch9wavefront6targetE0EEEvT1_,"axG",@progbits,_ZN7rocprim17ROCPRIM_400000_NS6detail17trampoline_kernelINS0_14default_configENS1_25partition_config_selectorILNS1_17partition_subalgoE8ElNS0_10empty_typeEbEEZZNS1_14partition_implILS5_8ELb0ES3_jPlPS6_PKS6_NS0_5tupleIJS9_S6_EEENSD_IJSA_SA_EEENS0_18inequality_wrapperIZN2at6native12_GLOBAL__N_124unique_dim_cuda_templateIiEESt5tupleIJNSH_6TensorESM_SM_EERKSM_lbbbEUlllE0_EEPmJS6_EEE10hipError_tPvRmT3_T4_T5_T6_T7_T9_mT8_P12ihipStream_tbDpT10_ENKUlT_T0_E_clISt17integral_constantIbLb1EES1B_IbLb0EEEEDaS17_S18_EUlS17_E_NS1_11comp_targetILNS1_3genE9ELNS1_11target_archE1100ELNS1_3gpuE3ELNS1_3repE0EEENS1_30default_config_static_selectorELNS0_4arch9wavefront6targetE0EEEvT1_,comdat
	.globl	_ZN7rocprim17ROCPRIM_400000_NS6detail17trampoline_kernelINS0_14default_configENS1_25partition_config_selectorILNS1_17partition_subalgoE8ElNS0_10empty_typeEbEEZZNS1_14partition_implILS5_8ELb0ES3_jPlPS6_PKS6_NS0_5tupleIJS9_S6_EEENSD_IJSA_SA_EEENS0_18inequality_wrapperIZN2at6native12_GLOBAL__N_124unique_dim_cuda_templateIiEESt5tupleIJNSH_6TensorESM_SM_EERKSM_lbbbEUlllE0_EEPmJS6_EEE10hipError_tPvRmT3_T4_T5_T6_T7_T9_mT8_P12ihipStream_tbDpT10_ENKUlT_T0_E_clISt17integral_constantIbLb1EES1B_IbLb0EEEEDaS17_S18_EUlS17_E_NS1_11comp_targetILNS1_3genE9ELNS1_11target_archE1100ELNS1_3gpuE3ELNS1_3repE0EEENS1_30default_config_static_selectorELNS0_4arch9wavefront6targetE0EEEvT1_ ; -- Begin function _ZN7rocprim17ROCPRIM_400000_NS6detail17trampoline_kernelINS0_14default_configENS1_25partition_config_selectorILNS1_17partition_subalgoE8ElNS0_10empty_typeEbEEZZNS1_14partition_implILS5_8ELb0ES3_jPlPS6_PKS6_NS0_5tupleIJS9_S6_EEENSD_IJSA_SA_EEENS0_18inequality_wrapperIZN2at6native12_GLOBAL__N_124unique_dim_cuda_templateIiEESt5tupleIJNSH_6TensorESM_SM_EERKSM_lbbbEUlllE0_EEPmJS6_EEE10hipError_tPvRmT3_T4_T5_T6_T7_T9_mT8_P12ihipStream_tbDpT10_ENKUlT_T0_E_clISt17integral_constantIbLb1EES1B_IbLb0EEEEDaS17_S18_EUlS17_E_NS1_11comp_targetILNS1_3genE9ELNS1_11target_archE1100ELNS1_3gpuE3ELNS1_3repE0EEENS1_30default_config_static_selectorELNS0_4arch9wavefront6targetE0EEEvT1_
	.p2align	8
	.type	_ZN7rocprim17ROCPRIM_400000_NS6detail17trampoline_kernelINS0_14default_configENS1_25partition_config_selectorILNS1_17partition_subalgoE8ElNS0_10empty_typeEbEEZZNS1_14partition_implILS5_8ELb0ES3_jPlPS6_PKS6_NS0_5tupleIJS9_S6_EEENSD_IJSA_SA_EEENS0_18inequality_wrapperIZN2at6native12_GLOBAL__N_124unique_dim_cuda_templateIiEESt5tupleIJNSH_6TensorESM_SM_EERKSM_lbbbEUlllE0_EEPmJS6_EEE10hipError_tPvRmT3_T4_T5_T6_T7_T9_mT8_P12ihipStream_tbDpT10_ENKUlT_T0_E_clISt17integral_constantIbLb1EES1B_IbLb0EEEEDaS17_S18_EUlS17_E_NS1_11comp_targetILNS1_3genE9ELNS1_11target_archE1100ELNS1_3gpuE3ELNS1_3repE0EEENS1_30default_config_static_selectorELNS0_4arch9wavefront6targetE0EEEvT1_,@function
_ZN7rocprim17ROCPRIM_400000_NS6detail17trampoline_kernelINS0_14default_configENS1_25partition_config_selectorILNS1_17partition_subalgoE8ElNS0_10empty_typeEbEEZZNS1_14partition_implILS5_8ELb0ES3_jPlPS6_PKS6_NS0_5tupleIJS9_S6_EEENSD_IJSA_SA_EEENS0_18inequality_wrapperIZN2at6native12_GLOBAL__N_124unique_dim_cuda_templateIiEESt5tupleIJNSH_6TensorESM_SM_EERKSM_lbbbEUlllE0_EEPmJS6_EEE10hipError_tPvRmT3_T4_T5_T6_T7_T9_mT8_P12ihipStream_tbDpT10_ENKUlT_T0_E_clISt17integral_constantIbLb1EES1B_IbLb0EEEEDaS17_S18_EUlS17_E_NS1_11comp_targetILNS1_3genE9ELNS1_11target_archE1100ELNS1_3gpuE3ELNS1_3repE0EEENS1_30default_config_static_selectorELNS0_4arch9wavefront6targetE0EEEvT1_: ; @_ZN7rocprim17ROCPRIM_400000_NS6detail17trampoline_kernelINS0_14default_configENS1_25partition_config_selectorILNS1_17partition_subalgoE8ElNS0_10empty_typeEbEEZZNS1_14partition_implILS5_8ELb0ES3_jPlPS6_PKS6_NS0_5tupleIJS9_S6_EEENSD_IJSA_SA_EEENS0_18inequality_wrapperIZN2at6native12_GLOBAL__N_124unique_dim_cuda_templateIiEESt5tupleIJNSH_6TensorESM_SM_EERKSM_lbbbEUlllE0_EEPmJS6_EEE10hipError_tPvRmT3_T4_T5_T6_T7_T9_mT8_P12ihipStream_tbDpT10_ENKUlT_T0_E_clISt17integral_constantIbLb1EES1B_IbLb0EEEEDaS17_S18_EUlS17_E_NS1_11comp_targetILNS1_3genE9ELNS1_11target_archE1100ELNS1_3gpuE3ELNS1_3repE0EEENS1_30default_config_static_selectorELNS0_4arch9wavefront6targetE0EEEvT1_
; %bb.0:
	.section	.rodata,"a",@progbits
	.p2align	6, 0x0
	.amdhsa_kernel _ZN7rocprim17ROCPRIM_400000_NS6detail17trampoline_kernelINS0_14default_configENS1_25partition_config_selectorILNS1_17partition_subalgoE8ElNS0_10empty_typeEbEEZZNS1_14partition_implILS5_8ELb0ES3_jPlPS6_PKS6_NS0_5tupleIJS9_S6_EEENSD_IJSA_SA_EEENS0_18inequality_wrapperIZN2at6native12_GLOBAL__N_124unique_dim_cuda_templateIiEESt5tupleIJNSH_6TensorESM_SM_EERKSM_lbbbEUlllE0_EEPmJS6_EEE10hipError_tPvRmT3_T4_T5_T6_T7_T9_mT8_P12ihipStream_tbDpT10_ENKUlT_T0_E_clISt17integral_constantIbLb1EES1B_IbLb0EEEEDaS17_S18_EUlS17_E_NS1_11comp_targetILNS1_3genE9ELNS1_11target_archE1100ELNS1_3gpuE3ELNS1_3repE0EEENS1_30default_config_static_selectorELNS0_4arch9wavefront6targetE0EEEvT1_
		.amdhsa_group_segment_fixed_size 0
		.amdhsa_private_segment_fixed_size 0
		.amdhsa_kernarg_size 120
		.amdhsa_user_sgpr_count 2
		.amdhsa_user_sgpr_dispatch_ptr 0
		.amdhsa_user_sgpr_queue_ptr 0
		.amdhsa_user_sgpr_kernarg_segment_ptr 1
		.amdhsa_user_sgpr_dispatch_id 0
		.amdhsa_user_sgpr_kernarg_preload_length 0
		.amdhsa_user_sgpr_kernarg_preload_offset 0
		.amdhsa_user_sgpr_private_segment_size 0
		.amdhsa_wavefront_size32 1
		.amdhsa_uses_dynamic_stack 0
		.amdhsa_enable_private_segment 0
		.amdhsa_system_sgpr_workgroup_id_x 1
		.amdhsa_system_sgpr_workgroup_id_y 0
		.amdhsa_system_sgpr_workgroup_id_z 0
		.amdhsa_system_sgpr_workgroup_info 0
		.amdhsa_system_vgpr_workitem_id 0
		.amdhsa_next_free_vgpr 1
		.amdhsa_next_free_sgpr 1
		.amdhsa_named_barrier_count 0
		.amdhsa_reserve_vcc 0
		.amdhsa_float_round_mode_32 0
		.amdhsa_float_round_mode_16_64 0
		.amdhsa_float_denorm_mode_32 3
		.amdhsa_float_denorm_mode_16_64 3
		.amdhsa_fp16_overflow 0
		.amdhsa_memory_ordered 1
		.amdhsa_forward_progress 1
		.amdhsa_inst_pref_size 0
		.amdhsa_round_robin_scheduling 0
		.amdhsa_exception_fp_ieee_invalid_op 0
		.amdhsa_exception_fp_denorm_src 0
		.amdhsa_exception_fp_ieee_div_zero 0
		.amdhsa_exception_fp_ieee_overflow 0
		.amdhsa_exception_fp_ieee_underflow 0
		.amdhsa_exception_fp_ieee_inexact 0
		.amdhsa_exception_int_div_zero 0
	.end_amdhsa_kernel
	.section	.text._ZN7rocprim17ROCPRIM_400000_NS6detail17trampoline_kernelINS0_14default_configENS1_25partition_config_selectorILNS1_17partition_subalgoE8ElNS0_10empty_typeEbEEZZNS1_14partition_implILS5_8ELb0ES3_jPlPS6_PKS6_NS0_5tupleIJS9_S6_EEENSD_IJSA_SA_EEENS0_18inequality_wrapperIZN2at6native12_GLOBAL__N_124unique_dim_cuda_templateIiEESt5tupleIJNSH_6TensorESM_SM_EERKSM_lbbbEUlllE0_EEPmJS6_EEE10hipError_tPvRmT3_T4_T5_T6_T7_T9_mT8_P12ihipStream_tbDpT10_ENKUlT_T0_E_clISt17integral_constantIbLb1EES1B_IbLb0EEEEDaS17_S18_EUlS17_E_NS1_11comp_targetILNS1_3genE9ELNS1_11target_archE1100ELNS1_3gpuE3ELNS1_3repE0EEENS1_30default_config_static_selectorELNS0_4arch9wavefront6targetE0EEEvT1_,"axG",@progbits,_ZN7rocprim17ROCPRIM_400000_NS6detail17trampoline_kernelINS0_14default_configENS1_25partition_config_selectorILNS1_17partition_subalgoE8ElNS0_10empty_typeEbEEZZNS1_14partition_implILS5_8ELb0ES3_jPlPS6_PKS6_NS0_5tupleIJS9_S6_EEENSD_IJSA_SA_EEENS0_18inequality_wrapperIZN2at6native12_GLOBAL__N_124unique_dim_cuda_templateIiEESt5tupleIJNSH_6TensorESM_SM_EERKSM_lbbbEUlllE0_EEPmJS6_EEE10hipError_tPvRmT3_T4_T5_T6_T7_T9_mT8_P12ihipStream_tbDpT10_ENKUlT_T0_E_clISt17integral_constantIbLb1EES1B_IbLb0EEEEDaS17_S18_EUlS17_E_NS1_11comp_targetILNS1_3genE9ELNS1_11target_archE1100ELNS1_3gpuE3ELNS1_3repE0EEENS1_30default_config_static_selectorELNS0_4arch9wavefront6targetE0EEEvT1_,comdat
.Lfunc_end463:
	.size	_ZN7rocprim17ROCPRIM_400000_NS6detail17trampoline_kernelINS0_14default_configENS1_25partition_config_selectorILNS1_17partition_subalgoE8ElNS0_10empty_typeEbEEZZNS1_14partition_implILS5_8ELb0ES3_jPlPS6_PKS6_NS0_5tupleIJS9_S6_EEENSD_IJSA_SA_EEENS0_18inequality_wrapperIZN2at6native12_GLOBAL__N_124unique_dim_cuda_templateIiEESt5tupleIJNSH_6TensorESM_SM_EERKSM_lbbbEUlllE0_EEPmJS6_EEE10hipError_tPvRmT3_T4_T5_T6_T7_T9_mT8_P12ihipStream_tbDpT10_ENKUlT_T0_E_clISt17integral_constantIbLb1EES1B_IbLb0EEEEDaS17_S18_EUlS17_E_NS1_11comp_targetILNS1_3genE9ELNS1_11target_archE1100ELNS1_3gpuE3ELNS1_3repE0EEENS1_30default_config_static_selectorELNS0_4arch9wavefront6targetE0EEEvT1_, .Lfunc_end463-_ZN7rocprim17ROCPRIM_400000_NS6detail17trampoline_kernelINS0_14default_configENS1_25partition_config_selectorILNS1_17partition_subalgoE8ElNS0_10empty_typeEbEEZZNS1_14partition_implILS5_8ELb0ES3_jPlPS6_PKS6_NS0_5tupleIJS9_S6_EEENSD_IJSA_SA_EEENS0_18inequality_wrapperIZN2at6native12_GLOBAL__N_124unique_dim_cuda_templateIiEESt5tupleIJNSH_6TensorESM_SM_EERKSM_lbbbEUlllE0_EEPmJS6_EEE10hipError_tPvRmT3_T4_T5_T6_T7_T9_mT8_P12ihipStream_tbDpT10_ENKUlT_T0_E_clISt17integral_constantIbLb1EES1B_IbLb0EEEEDaS17_S18_EUlS17_E_NS1_11comp_targetILNS1_3genE9ELNS1_11target_archE1100ELNS1_3gpuE3ELNS1_3repE0EEENS1_30default_config_static_selectorELNS0_4arch9wavefront6targetE0EEEvT1_
                                        ; -- End function
	.set _ZN7rocprim17ROCPRIM_400000_NS6detail17trampoline_kernelINS0_14default_configENS1_25partition_config_selectorILNS1_17partition_subalgoE8ElNS0_10empty_typeEbEEZZNS1_14partition_implILS5_8ELb0ES3_jPlPS6_PKS6_NS0_5tupleIJS9_S6_EEENSD_IJSA_SA_EEENS0_18inequality_wrapperIZN2at6native12_GLOBAL__N_124unique_dim_cuda_templateIiEESt5tupleIJNSH_6TensorESM_SM_EERKSM_lbbbEUlllE0_EEPmJS6_EEE10hipError_tPvRmT3_T4_T5_T6_T7_T9_mT8_P12ihipStream_tbDpT10_ENKUlT_T0_E_clISt17integral_constantIbLb1EES1B_IbLb0EEEEDaS17_S18_EUlS17_E_NS1_11comp_targetILNS1_3genE9ELNS1_11target_archE1100ELNS1_3gpuE3ELNS1_3repE0EEENS1_30default_config_static_selectorELNS0_4arch9wavefront6targetE0EEEvT1_.num_vgpr, 0
	.set _ZN7rocprim17ROCPRIM_400000_NS6detail17trampoline_kernelINS0_14default_configENS1_25partition_config_selectorILNS1_17partition_subalgoE8ElNS0_10empty_typeEbEEZZNS1_14partition_implILS5_8ELb0ES3_jPlPS6_PKS6_NS0_5tupleIJS9_S6_EEENSD_IJSA_SA_EEENS0_18inequality_wrapperIZN2at6native12_GLOBAL__N_124unique_dim_cuda_templateIiEESt5tupleIJNSH_6TensorESM_SM_EERKSM_lbbbEUlllE0_EEPmJS6_EEE10hipError_tPvRmT3_T4_T5_T6_T7_T9_mT8_P12ihipStream_tbDpT10_ENKUlT_T0_E_clISt17integral_constantIbLb1EES1B_IbLb0EEEEDaS17_S18_EUlS17_E_NS1_11comp_targetILNS1_3genE9ELNS1_11target_archE1100ELNS1_3gpuE3ELNS1_3repE0EEENS1_30default_config_static_selectorELNS0_4arch9wavefront6targetE0EEEvT1_.num_agpr, 0
	.set _ZN7rocprim17ROCPRIM_400000_NS6detail17trampoline_kernelINS0_14default_configENS1_25partition_config_selectorILNS1_17partition_subalgoE8ElNS0_10empty_typeEbEEZZNS1_14partition_implILS5_8ELb0ES3_jPlPS6_PKS6_NS0_5tupleIJS9_S6_EEENSD_IJSA_SA_EEENS0_18inequality_wrapperIZN2at6native12_GLOBAL__N_124unique_dim_cuda_templateIiEESt5tupleIJNSH_6TensorESM_SM_EERKSM_lbbbEUlllE0_EEPmJS6_EEE10hipError_tPvRmT3_T4_T5_T6_T7_T9_mT8_P12ihipStream_tbDpT10_ENKUlT_T0_E_clISt17integral_constantIbLb1EES1B_IbLb0EEEEDaS17_S18_EUlS17_E_NS1_11comp_targetILNS1_3genE9ELNS1_11target_archE1100ELNS1_3gpuE3ELNS1_3repE0EEENS1_30default_config_static_selectorELNS0_4arch9wavefront6targetE0EEEvT1_.numbered_sgpr, 0
	.set _ZN7rocprim17ROCPRIM_400000_NS6detail17trampoline_kernelINS0_14default_configENS1_25partition_config_selectorILNS1_17partition_subalgoE8ElNS0_10empty_typeEbEEZZNS1_14partition_implILS5_8ELb0ES3_jPlPS6_PKS6_NS0_5tupleIJS9_S6_EEENSD_IJSA_SA_EEENS0_18inequality_wrapperIZN2at6native12_GLOBAL__N_124unique_dim_cuda_templateIiEESt5tupleIJNSH_6TensorESM_SM_EERKSM_lbbbEUlllE0_EEPmJS6_EEE10hipError_tPvRmT3_T4_T5_T6_T7_T9_mT8_P12ihipStream_tbDpT10_ENKUlT_T0_E_clISt17integral_constantIbLb1EES1B_IbLb0EEEEDaS17_S18_EUlS17_E_NS1_11comp_targetILNS1_3genE9ELNS1_11target_archE1100ELNS1_3gpuE3ELNS1_3repE0EEENS1_30default_config_static_selectorELNS0_4arch9wavefront6targetE0EEEvT1_.num_named_barrier, 0
	.set _ZN7rocprim17ROCPRIM_400000_NS6detail17trampoline_kernelINS0_14default_configENS1_25partition_config_selectorILNS1_17partition_subalgoE8ElNS0_10empty_typeEbEEZZNS1_14partition_implILS5_8ELb0ES3_jPlPS6_PKS6_NS0_5tupleIJS9_S6_EEENSD_IJSA_SA_EEENS0_18inequality_wrapperIZN2at6native12_GLOBAL__N_124unique_dim_cuda_templateIiEESt5tupleIJNSH_6TensorESM_SM_EERKSM_lbbbEUlllE0_EEPmJS6_EEE10hipError_tPvRmT3_T4_T5_T6_T7_T9_mT8_P12ihipStream_tbDpT10_ENKUlT_T0_E_clISt17integral_constantIbLb1EES1B_IbLb0EEEEDaS17_S18_EUlS17_E_NS1_11comp_targetILNS1_3genE9ELNS1_11target_archE1100ELNS1_3gpuE3ELNS1_3repE0EEENS1_30default_config_static_selectorELNS0_4arch9wavefront6targetE0EEEvT1_.private_seg_size, 0
	.set _ZN7rocprim17ROCPRIM_400000_NS6detail17trampoline_kernelINS0_14default_configENS1_25partition_config_selectorILNS1_17partition_subalgoE8ElNS0_10empty_typeEbEEZZNS1_14partition_implILS5_8ELb0ES3_jPlPS6_PKS6_NS0_5tupleIJS9_S6_EEENSD_IJSA_SA_EEENS0_18inequality_wrapperIZN2at6native12_GLOBAL__N_124unique_dim_cuda_templateIiEESt5tupleIJNSH_6TensorESM_SM_EERKSM_lbbbEUlllE0_EEPmJS6_EEE10hipError_tPvRmT3_T4_T5_T6_T7_T9_mT8_P12ihipStream_tbDpT10_ENKUlT_T0_E_clISt17integral_constantIbLb1EES1B_IbLb0EEEEDaS17_S18_EUlS17_E_NS1_11comp_targetILNS1_3genE9ELNS1_11target_archE1100ELNS1_3gpuE3ELNS1_3repE0EEENS1_30default_config_static_selectorELNS0_4arch9wavefront6targetE0EEEvT1_.uses_vcc, 0
	.set _ZN7rocprim17ROCPRIM_400000_NS6detail17trampoline_kernelINS0_14default_configENS1_25partition_config_selectorILNS1_17partition_subalgoE8ElNS0_10empty_typeEbEEZZNS1_14partition_implILS5_8ELb0ES3_jPlPS6_PKS6_NS0_5tupleIJS9_S6_EEENSD_IJSA_SA_EEENS0_18inequality_wrapperIZN2at6native12_GLOBAL__N_124unique_dim_cuda_templateIiEESt5tupleIJNSH_6TensorESM_SM_EERKSM_lbbbEUlllE0_EEPmJS6_EEE10hipError_tPvRmT3_T4_T5_T6_T7_T9_mT8_P12ihipStream_tbDpT10_ENKUlT_T0_E_clISt17integral_constantIbLb1EES1B_IbLb0EEEEDaS17_S18_EUlS17_E_NS1_11comp_targetILNS1_3genE9ELNS1_11target_archE1100ELNS1_3gpuE3ELNS1_3repE0EEENS1_30default_config_static_selectorELNS0_4arch9wavefront6targetE0EEEvT1_.uses_flat_scratch, 0
	.set _ZN7rocprim17ROCPRIM_400000_NS6detail17trampoline_kernelINS0_14default_configENS1_25partition_config_selectorILNS1_17partition_subalgoE8ElNS0_10empty_typeEbEEZZNS1_14partition_implILS5_8ELb0ES3_jPlPS6_PKS6_NS0_5tupleIJS9_S6_EEENSD_IJSA_SA_EEENS0_18inequality_wrapperIZN2at6native12_GLOBAL__N_124unique_dim_cuda_templateIiEESt5tupleIJNSH_6TensorESM_SM_EERKSM_lbbbEUlllE0_EEPmJS6_EEE10hipError_tPvRmT3_T4_T5_T6_T7_T9_mT8_P12ihipStream_tbDpT10_ENKUlT_T0_E_clISt17integral_constantIbLb1EES1B_IbLb0EEEEDaS17_S18_EUlS17_E_NS1_11comp_targetILNS1_3genE9ELNS1_11target_archE1100ELNS1_3gpuE3ELNS1_3repE0EEENS1_30default_config_static_selectorELNS0_4arch9wavefront6targetE0EEEvT1_.has_dyn_sized_stack, 0
	.set _ZN7rocprim17ROCPRIM_400000_NS6detail17trampoline_kernelINS0_14default_configENS1_25partition_config_selectorILNS1_17partition_subalgoE8ElNS0_10empty_typeEbEEZZNS1_14partition_implILS5_8ELb0ES3_jPlPS6_PKS6_NS0_5tupleIJS9_S6_EEENSD_IJSA_SA_EEENS0_18inequality_wrapperIZN2at6native12_GLOBAL__N_124unique_dim_cuda_templateIiEESt5tupleIJNSH_6TensorESM_SM_EERKSM_lbbbEUlllE0_EEPmJS6_EEE10hipError_tPvRmT3_T4_T5_T6_T7_T9_mT8_P12ihipStream_tbDpT10_ENKUlT_T0_E_clISt17integral_constantIbLb1EES1B_IbLb0EEEEDaS17_S18_EUlS17_E_NS1_11comp_targetILNS1_3genE9ELNS1_11target_archE1100ELNS1_3gpuE3ELNS1_3repE0EEENS1_30default_config_static_selectorELNS0_4arch9wavefront6targetE0EEEvT1_.has_recursion, 0
	.set _ZN7rocprim17ROCPRIM_400000_NS6detail17trampoline_kernelINS0_14default_configENS1_25partition_config_selectorILNS1_17partition_subalgoE8ElNS0_10empty_typeEbEEZZNS1_14partition_implILS5_8ELb0ES3_jPlPS6_PKS6_NS0_5tupleIJS9_S6_EEENSD_IJSA_SA_EEENS0_18inequality_wrapperIZN2at6native12_GLOBAL__N_124unique_dim_cuda_templateIiEESt5tupleIJNSH_6TensorESM_SM_EERKSM_lbbbEUlllE0_EEPmJS6_EEE10hipError_tPvRmT3_T4_T5_T6_T7_T9_mT8_P12ihipStream_tbDpT10_ENKUlT_T0_E_clISt17integral_constantIbLb1EES1B_IbLb0EEEEDaS17_S18_EUlS17_E_NS1_11comp_targetILNS1_3genE9ELNS1_11target_archE1100ELNS1_3gpuE3ELNS1_3repE0EEENS1_30default_config_static_selectorELNS0_4arch9wavefront6targetE0EEEvT1_.has_indirect_call, 0
	.section	.AMDGPU.csdata,"",@progbits
; Kernel info:
; codeLenInByte = 0
; TotalNumSgprs: 0
; NumVgprs: 0
; ScratchSize: 0
; MemoryBound: 0
; FloatMode: 240
; IeeeMode: 1
; LDSByteSize: 0 bytes/workgroup (compile time only)
; SGPRBlocks: 0
; VGPRBlocks: 0
; NumSGPRsForWavesPerEU: 1
; NumVGPRsForWavesPerEU: 1
; NamedBarCnt: 0
; Occupancy: 16
; WaveLimiterHint : 0
; COMPUTE_PGM_RSRC2:SCRATCH_EN: 0
; COMPUTE_PGM_RSRC2:USER_SGPR: 2
; COMPUTE_PGM_RSRC2:TRAP_HANDLER: 0
; COMPUTE_PGM_RSRC2:TGID_X_EN: 1
; COMPUTE_PGM_RSRC2:TGID_Y_EN: 0
; COMPUTE_PGM_RSRC2:TGID_Z_EN: 0
; COMPUTE_PGM_RSRC2:TIDIG_COMP_CNT: 0
	.section	.text._ZN7rocprim17ROCPRIM_400000_NS6detail17trampoline_kernelINS0_14default_configENS1_25partition_config_selectorILNS1_17partition_subalgoE8ElNS0_10empty_typeEbEEZZNS1_14partition_implILS5_8ELb0ES3_jPlPS6_PKS6_NS0_5tupleIJS9_S6_EEENSD_IJSA_SA_EEENS0_18inequality_wrapperIZN2at6native12_GLOBAL__N_124unique_dim_cuda_templateIiEESt5tupleIJNSH_6TensorESM_SM_EERKSM_lbbbEUlllE0_EEPmJS6_EEE10hipError_tPvRmT3_T4_T5_T6_T7_T9_mT8_P12ihipStream_tbDpT10_ENKUlT_T0_E_clISt17integral_constantIbLb1EES1B_IbLb0EEEEDaS17_S18_EUlS17_E_NS1_11comp_targetILNS1_3genE8ELNS1_11target_archE1030ELNS1_3gpuE2ELNS1_3repE0EEENS1_30default_config_static_selectorELNS0_4arch9wavefront6targetE0EEEvT1_,"axG",@progbits,_ZN7rocprim17ROCPRIM_400000_NS6detail17trampoline_kernelINS0_14default_configENS1_25partition_config_selectorILNS1_17partition_subalgoE8ElNS0_10empty_typeEbEEZZNS1_14partition_implILS5_8ELb0ES3_jPlPS6_PKS6_NS0_5tupleIJS9_S6_EEENSD_IJSA_SA_EEENS0_18inequality_wrapperIZN2at6native12_GLOBAL__N_124unique_dim_cuda_templateIiEESt5tupleIJNSH_6TensorESM_SM_EERKSM_lbbbEUlllE0_EEPmJS6_EEE10hipError_tPvRmT3_T4_T5_T6_T7_T9_mT8_P12ihipStream_tbDpT10_ENKUlT_T0_E_clISt17integral_constantIbLb1EES1B_IbLb0EEEEDaS17_S18_EUlS17_E_NS1_11comp_targetILNS1_3genE8ELNS1_11target_archE1030ELNS1_3gpuE2ELNS1_3repE0EEENS1_30default_config_static_selectorELNS0_4arch9wavefront6targetE0EEEvT1_,comdat
	.globl	_ZN7rocprim17ROCPRIM_400000_NS6detail17trampoline_kernelINS0_14default_configENS1_25partition_config_selectorILNS1_17partition_subalgoE8ElNS0_10empty_typeEbEEZZNS1_14partition_implILS5_8ELb0ES3_jPlPS6_PKS6_NS0_5tupleIJS9_S6_EEENSD_IJSA_SA_EEENS0_18inequality_wrapperIZN2at6native12_GLOBAL__N_124unique_dim_cuda_templateIiEESt5tupleIJNSH_6TensorESM_SM_EERKSM_lbbbEUlllE0_EEPmJS6_EEE10hipError_tPvRmT3_T4_T5_T6_T7_T9_mT8_P12ihipStream_tbDpT10_ENKUlT_T0_E_clISt17integral_constantIbLb1EES1B_IbLb0EEEEDaS17_S18_EUlS17_E_NS1_11comp_targetILNS1_3genE8ELNS1_11target_archE1030ELNS1_3gpuE2ELNS1_3repE0EEENS1_30default_config_static_selectorELNS0_4arch9wavefront6targetE0EEEvT1_ ; -- Begin function _ZN7rocprim17ROCPRIM_400000_NS6detail17trampoline_kernelINS0_14default_configENS1_25partition_config_selectorILNS1_17partition_subalgoE8ElNS0_10empty_typeEbEEZZNS1_14partition_implILS5_8ELb0ES3_jPlPS6_PKS6_NS0_5tupleIJS9_S6_EEENSD_IJSA_SA_EEENS0_18inequality_wrapperIZN2at6native12_GLOBAL__N_124unique_dim_cuda_templateIiEESt5tupleIJNSH_6TensorESM_SM_EERKSM_lbbbEUlllE0_EEPmJS6_EEE10hipError_tPvRmT3_T4_T5_T6_T7_T9_mT8_P12ihipStream_tbDpT10_ENKUlT_T0_E_clISt17integral_constantIbLb1EES1B_IbLb0EEEEDaS17_S18_EUlS17_E_NS1_11comp_targetILNS1_3genE8ELNS1_11target_archE1030ELNS1_3gpuE2ELNS1_3repE0EEENS1_30default_config_static_selectorELNS0_4arch9wavefront6targetE0EEEvT1_
	.p2align	8
	.type	_ZN7rocprim17ROCPRIM_400000_NS6detail17trampoline_kernelINS0_14default_configENS1_25partition_config_selectorILNS1_17partition_subalgoE8ElNS0_10empty_typeEbEEZZNS1_14partition_implILS5_8ELb0ES3_jPlPS6_PKS6_NS0_5tupleIJS9_S6_EEENSD_IJSA_SA_EEENS0_18inequality_wrapperIZN2at6native12_GLOBAL__N_124unique_dim_cuda_templateIiEESt5tupleIJNSH_6TensorESM_SM_EERKSM_lbbbEUlllE0_EEPmJS6_EEE10hipError_tPvRmT3_T4_T5_T6_T7_T9_mT8_P12ihipStream_tbDpT10_ENKUlT_T0_E_clISt17integral_constantIbLb1EES1B_IbLb0EEEEDaS17_S18_EUlS17_E_NS1_11comp_targetILNS1_3genE8ELNS1_11target_archE1030ELNS1_3gpuE2ELNS1_3repE0EEENS1_30default_config_static_selectorELNS0_4arch9wavefront6targetE0EEEvT1_,@function
_ZN7rocprim17ROCPRIM_400000_NS6detail17trampoline_kernelINS0_14default_configENS1_25partition_config_selectorILNS1_17partition_subalgoE8ElNS0_10empty_typeEbEEZZNS1_14partition_implILS5_8ELb0ES3_jPlPS6_PKS6_NS0_5tupleIJS9_S6_EEENSD_IJSA_SA_EEENS0_18inequality_wrapperIZN2at6native12_GLOBAL__N_124unique_dim_cuda_templateIiEESt5tupleIJNSH_6TensorESM_SM_EERKSM_lbbbEUlllE0_EEPmJS6_EEE10hipError_tPvRmT3_T4_T5_T6_T7_T9_mT8_P12ihipStream_tbDpT10_ENKUlT_T0_E_clISt17integral_constantIbLb1EES1B_IbLb0EEEEDaS17_S18_EUlS17_E_NS1_11comp_targetILNS1_3genE8ELNS1_11target_archE1030ELNS1_3gpuE2ELNS1_3repE0EEENS1_30default_config_static_selectorELNS0_4arch9wavefront6targetE0EEEvT1_: ; @_ZN7rocprim17ROCPRIM_400000_NS6detail17trampoline_kernelINS0_14default_configENS1_25partition_config_selectorILNS1_17partition_subalgoE8ElNS0_10empty_typeEbEEZZNS1_14partition_implILS5_8ELb0ES3_jPlPS6_PKS6_NS0_5tupleIJS9_S6_EEENSD_IJSA_SA_EEENS0_18inequality_wrapperIZN2at6native12_GLOBAL__N_124unique_dim_cuda_templateIiEESt5tupleIJNSH_6TensorESM_SM_EERKSM_lbbbEUlllE0_EEPmJS6_EEE10hipError_tPvRmT3_T4_T5_T6_T7_T9_mT8_P12ihipStream_tbDpT10_ENKUlT_T0_E_clISt17integral_constantIbLb1EES1B_IbLb0EEEEDaS17_S18_EUlS17_E_NS1_11comp_targetILNS1_3genE8ELNS1_11target_archE1030ELNS1_3gpuE2ELNS1_3repE0EEENS1_30default_config_static_selectorELNS0_4arch9wavefront6targetE0EEEvT1_
; %bb.0:
	.section	.rodata,"a",@progbits
	.p2align	6, 0x0
	.amdhsa_kernel _ZN7rocprim17ROCPRIM_400000_NS6detail17trampoline_kernelINS0_14default_configENS1_25partition_config_selectorILNS1_17partition_subalgoE8ElNS0_10empty_typeEbEEZZNS1_14partition_implILS5_8ELb0ES3_jPlPS6_PKS6_NS0_5tupleIJS9_S6_EEENSD_IJSA_SA_EEENS0_18inequality_wrapperIZN2at6native12_GLOBAL__N_124unique_dim_cuda_templateIiEESt5tupleIJNSH_6TensorESM_SM_EERKSM_lbbbEUlllE0_EEPmJS6_EEE10hipError_tPvRmT3_T4_T5_T6_T7_T9_mT8_P12ihipStream_tbDpT10_ENKUlT_T0_E_clISt17integral_constantIbLb1EES1B_IbLb0EEEEDaS17_S18_EUlS17_E_NS1_11comp_targetILNS1_3genE8ELNS1_11target_archE1030ELNS1_3gpuE2ELNS1_3repE0EEENS1_30default_config_static_selectorELNS0_4arch9wavefront6targetE0EEEvT1_
		.amdhsa_group_segment_fixed_size 0
		.amdhsa_private_segment_fixed_size 0
		.amdhsa_kernarg_size 120
		.amdhsa_user_sgpr_count 2
		.amdhsa_user_sgpr_dispatch_ptr 0
		.amdhsa_user_sgpr_queue_ptr 0
		.amdhsa_user_sgpr_kernarg_segment_ptr 1
		.amdhsa_user_sgpr_dispatch_id 0
		.amdhsa_user_sgpr_kernarg_preload_length 0
		.amdhsa_user_sgpr_kernarg_preload_offset 0
		.amdhsa_user_sgpr_private_segment_size 0
		.amdhsa_wavefront_size32 1
		.amdhsa_uses_dynamic_stack 0
		.amdhsa_enable_private_segment 0
		.amdhsa_system_sgpr_workgroup_id_x 1
		.amdhsa_system_sgpr_workgroup_id_y 0
		.amdhsa_system_sgpr_workgroup_id_z 0
		.amdhsa_system_sgpr_workgroup_info 0
		.amdhsa_system_vgpr_workitem_id 0
		.amdhsa_next_free_vgpr 1
		.amdhsa_next_free_sgpr 1
		.amdhsa_named_barrier_count 0
		.amdhsa_reserve_vcc 0
		.amdhsa_float_round_mode_32 0
		.amdhsa_float_round_mode_16_64 0
		.amdhsa_float_denorm_mode_32 3
		.amdhsa_float_denorm_mode_16_64 3
		.amdhsa_fp16_overflow 0
		.amdhsa_memory_ordered 1
		.amdhsa_forward_progress 1
		.amdhsa_inst_pref_size 0
		.amdhsa_round_robin_scheduling 0
		.amdhsa_exception_fp_ieee_invalid_op 0
		.amdhsa_exception_fp_denorm_src 0
		.amdhsa_exception_fp_ieee_div_zero 0
		.amdhsa_exception_fp_ieee_overflow 0
		.amdhsa_exception_fp_ieee_underflow 0
		.amdhsa_exception_fp_ieee_inexact 0
		.amdhsa_exception_int_div_zero 0
	.end_amdhsa_kernel
	.section	.text._ZN7rocprim17ROCPRIM_400000_NS6detail17trampoline_kernelINS0_14default_configENS1_25partition_config_selectorILNS1_17partition_subalgoE8ElNS0_10empty_typeEbEEZZNS1_14partition_implILS5_8ELb0ES3_jPlPS6_PKS6_NS0_5tupleIJS9_S6_EEENSD_IJSA_SA_EEENS0_18inequality_wrapperIZN2at6native12_GLOBAL__N_124unique_dim_cuda_templateIiEESt5tupleIJNSH_6TensorESM_SM_EERKSM_lbbbEUlllE0_EEPmJS6_EEE10hipError_tPvRmT3_T4_T5_T6_T7_T9_mT8_P12ihipStream_tbDpT10_ENKUlT_T0_E_clISt17integral_constantIbLb1EES1B_IbLb0EEEEDaS17_S18_EUlS17_E_NS1_11comp_targetILNS1_3genE8ELNS1_11target_archE1030ELNS1_3gpuE2ELNS1_3repE0EEENS1_30default_config_static_selectorELNS0_4arch9wavefront6targetE0EEEvT1_,"axG",@progbits,_ZN7rocprim17ROCPRIM_400000_NS6detail17trampoline_kernelINS0_14default_configENS1_25partition_config_selectorILNS1_17partition_subalgoE8ElNS0_10empty_typeEbEEZZNS1_14partition_implILS5_8ELb0ES3_jPlPS6_PKS6_NS0_5tupleIJS9_S6_EEENSD_IJSA_SA_EEENS0_18inequality_wrapperIZN2at6native12_GLOBAL__N_124unique_dim_cuda_templateIiEESt5tupleIJNSH_6TensorESM_SM_EERKSM_lbbbEUlllE0_EEPmJS6_EEE10hipError_tPvRmT3_T4_T5_T6_T7_T9_mT8_P12ihipStream_tbDpT10_ENKUlT_T0_E_clISt17integral_constantIbLb1EES1B_IbLb0EEEEDaS17_S18_EUlS17_E_NS1_11comp_targetILNS1_3genE8ELNS1_11target_archE1030ELNS1_3gpuE2ELNS1_3repE0EEENS1_30default_config_static_selectorELNS0_4arch9wavefront6targetE0EEEvT1_,comdat
.Lfunc_end464:
	.size	_ZN7rocprim17ROCPRIM_400000_NS6detail17trampoline_kernelINS0_14default_configENS1_25partition_config_selectorILNS1_17partition_subalgoE8ElNS0_10empty_typeEbEEZZNS1_14partition_implILS5_8ELb0ES3_jPlPS6_PKS6_NS0_5tupleIJS9_S6_EEENSD_IJSA_SA_EEENS0_18inequality_wrapperIZN2at6native12_GLOBAL__N_124unique_dim_cuda_templateIiEESt5tupleIJNSH_6TensorESM_SM_EERKSM_lbbbEUlllE0_EEPmJS6_EEE10hipError_tPvRmT3_T4_T5_T6_T7_T9_mT8_P12ihipStream_tbDpT10_ENKUlT_T0_E_clISt17integral_constantIbLb1EES1B_IbLb0EEEEDaS17_S18_EUlS17_E_NS1_11comp_targetILNS1_3genE8ELNS1_11target_archE1030ELNS1_3gpuE2ELNS1_3repE0EEENS1_30default_config_static_selectorELNS0_4arch9wavefront6targetE0EEEvT1_, .Lfunc_end464-_ZN7rocprim17ROCPRIM_400000_NS6detail17trampoline_kernelINS0_14default_configENS1_25partition_config_selectorILNS1_17partition_subalgoE8ElNS0_10empty_typeEbEEZZNS1_14partition_implILS5_8ELb0ES3_jPlPS6_PKS6_NS0_5tupleIJS9_S6_EEENSD_IJSA_SA_EEENS0_18inequality_wrapperIZN2at6native12_GLOBAL__N_124unique_dim_cuda_templateIiEESt5tupleIJNSH_6TensorESM_SM_EERKSM_lbbbEUlllE0_EEPmJS6_EEE10hipError_tPvRmT3_T4_T5_T6_T7_T9_mT8_P12ihipStream_tbDpT10_ENKUlT_T0_E_clISt17integral_constantIbLb1EES1B_IbLb0EEEEDaS17_S18_EUlS17_E_NS1_11comp_targetILNS1_3genE8ELNS1_11target_archE1030ELNS1_3gpuE2ELNS1_3repE0EEENS1_30default_config_static_selectorELNS0_4arch9wavefront6targetE0EEEvT1_
                                        ; -- End function
	.set _ZN7rocprim17ROCPRIM_400000_NS6detail17trampoline_kernelINS0_14default_configENS1_25partition_config_selectorILNS1_17partition_subalgoE8ElNS0_10empty_typeEbEEZZNS1_14partition_implILS5_8ELb0ES3_jPlPS6_PKS6_NS0_5tupleIJS9_S6_EEENSD_IJSA_SA_EEENS0_18inequality_wrapperIZN2at6native12_GLOBAL__N_124unique_dim_cuda_templateIiEESt5tupleIJNSH_6TensorESM_SM_EERKSM_lbbbEUlllE0_EEPmJS6_EEE10hipError_tPvRmT3_T4_T5_T6_T7_T9_mT8_P12ihipStream_tbDpT10_ENKUlT_T0_E_clISt17integral_constantIbLb1EES1B_IbLb0EEEEDaS17_S18_EUlS17_E_NS1_11comp_targetILNS1_3genE8ELNS1_11target_archE1030ELNS1_3gpuE2ELNS1_3repE0EEENS1_30default_config_static_selectorELNS0_4arch9wavefront6targetE0EEEvT1_.num_vgpr, 0
	.set _ZN7rocprim17ROCPRIM_400000_NS6detail17trampoline_kernelINS0_14default_configENS1_25partition_config_selectorILNS1_17partition_subalgoE8ElNS0_10empty_typeEbEEZZNS1_14partition_implILS5_8ELb0ES3_jPlPS6_PKS6_NS0_5tupleIJS9_S6_EEENSD_IJSA_SA_EEENS0_18inequality_wrapperIZN2at6native12_GLOBAL__N_124unique_dim_cuda_templateIiEESt5tupleIJNSH_6TensorESM_SM_EERKSM_lbbbEUlllE0_EEPmJS6_EEE10hipError_tPvRmT3_T4_T5_T6_T7_T9_mT8_P12ihipStream_tbDpT10_ENKUlT_T0_E_clISt17integral_constantIbLb1EES1B_IbLb0EEEEDaS17_S18_EUlS17_E_NS1_11comp_targetILNS1_3genE8ELNS1_11target_archE1030ELNS1_3gpuE2ELNS1_3repE0EEENS1_30default_config_static_selectorELNS0_4arch9wavefront6targetE0EEEvT1_.num_agpr, 0
	.set _ZN7rocprim17ROCPRIM_400000_NS6detail17trampoline_kernelINS0_14default_configENS1_25partition_config_selectorILNS1_17partition_subalgoE8ElNS0_10empty_typeEbEEZZNS1_14partition_implILS5_8ELb0ES3_jPlPS6_PKS6_NS0_5tupleIJS9_S6_EEENSD_IJSA_SA_EEENS0_18inequality_wrapperIZN2at6native12_GLOBAL__N_124unique_dim_cuda_templateIiEESt5tupleIJNSH_6TensorESM_SM_EERKSM_lbbbEUlllE0_EEPmJS6_EEE10hipError_tPvRmT3_T4_T5_T6_T7_T9_mT8_P12ihipStream_tbDpT10_ENKUlT_T0_E_clISt17integral_constantIbLb1EES1B_IbLb0EEEEDaS17_S18_EUlS17_E_NS1_11comp_targetILNS1_3genE8ELNS1_11target_archE1030ELNS1_3gpuE2ELNS1_3repE0EEENS1_30default_config_static_selectorELNS0_4arch9wavefront6targetE0EEEvT1_.numbered_sgpr, 0
	.set _ZN7rocprim17ROCPRIM_400000_NS6detail17trampoline_kernelINS0_14default_configENS1_25partition_config_selectorILNS1_17partition_subalgoE8ElNS0_10empty_typeEbEEZZNS1_14partition_implILS5_8ELb0ES3_jPlPS6_PKS6_NS0_5tupleIJS9_S6_EEENSD_IJSA_SA_EEENS0_18inequality_wrapperIZN2at6native12_GLOBAL__N_124unique_dim_cuda_templateIiEESt5tupleIJNSH_6TensorESM_SM_EERKSM_lbbbEUlllE0_EEPmJS6_EEE10hipError_tPvRmT3_T4_T5_T6_T7_T9_mT8_P12ihipStream_tbDpT10_ENKUlT_T0_E_clISt17integral_constantIbLb1EES1B_IbLb0EEEEDaS17_S18_EUlS17_E_NS1_11comp_targetILNS1_3genE8ELNS1_11target_archE1030ELNS1_3gpuE2ELNS1_3repE0EEENS1_30default_config_static_selectorELNS0_4arch9wavefront6targetE0EEEvT1_.num_named_barrier, 0
	.set _ZN7rocprim17ROCPRIM_400000_NS6detail17trampoline_kernelINS0_14default_configENS1_25partition_config_selectorILNS1_17partition_subalgoE8ElNS0_10empty_typeEbEEZZNS1_14partition_implILS5_8ELb0ES3_jPlPS6_PKS6_NS0_5tupleIJS9_S6_EEENSD_IJSA_SA_EEENS0_18inequality_wrapperIZN2at6native12_GLOBAL__N_124unique_dim_cuda_templateIiEESt5tupleIJNSH_6TensorESM_SM_EERKSM_lbbbEUlllE0_EEPmJS6_EEE10hipError_tPvRmT3_T4_T5_T6_T7_T9_mT8_P12ihipStream_tbDpT10_ENKUlT_T0_E_clISt17integral_constantIbLb1EES1B_IbLb0EEEEDaS17_S18_EUlS17_E_NS1_11comp_targetILNS1_3genE8ELNS1_11target_archE1030ELNS1_3gpuE2ELNS1_3repE0EEENS1_30default_config_static_selectorELNS0_4arch9wavefront6targetE0EEEvT1_.private_seg_size, 0
	.set _ZN7rocprim17ROCPRIM_400000_NS6detail17trampoline_kernelINS0_14default_configENS1_25partition_config_selectorILNS1_17partition_subalgoE8ElNS0_10empty_typeEbEEZZNS1_14partition_implILS5_8ELb0ES3_jPlPS6_PKS6_NS0_5tupleIJS9_S6_EEENSD_IJSA_SA_EEENS0_18inequality_wrapperIZN2at6native12_GLOBAL__N_124unique_dim_cuda_templateIiEESt5tupleIJNSH_6TensorESM_SM_EERKSM_lbbbEUlllE0_EEPmJS6_EEE10hipError_tPvRmT3_T4_T5_T6_T7_T9_mT8_P12ihipStream_tbDpT10_ENKUlT_T0_E_clISt17integral_constantIbLb1EES1B_IbLb0EEEEDaS17_S18_EUlS17_E_NS1_11comp_targetILNS1_3genE8ELNS1_11target_archE1030ELNS1_3gpuE2ELNS1_3repE0EEENS1_30default_config_static_selectorELNS0_4arch9wavefront6targetE0EEEvT1_.uses_vcc, 0
	.set _ZN7rocprim17ROCPRIM_400000_NS6detail17trampoline_kernelINS0_14default_configENS1_25partition_config_selectorILNS1_17partition_subalgoE8ElNS0_10empty_typeEbEEZZNS1_14partition_implILS5_8ELb0ES3_jPlPS6_PKS6_NS0_5tupleIJS9_S6_EEENSD_IJSA_SA_EEENS0_18inequality_wrapperIZN2at6native12_GLOBAL__N_124unique_dim_cuda_templateIiEESt5tupleIJNSH_6TensorESM_SM_EERKSM_lbbbEUlllE0_EEPmJS6_EEE10hipError_tPvRmT3_T4_T5_T6_T7_T9_mT8_P12ihipStream_tbDpT10_ENKUlT_T0_E_clISt17integral_constantIbLb1EES1B_IbLb0EEEEDaS17_S18_EUlS17_E_NS1_11comp_targetILNS1_3genE8ELNS1_11target_archE1030ELNS1_3gpuE2ELNS1_3repE0EEENS1_30default_config_static_selectorELNS0_4arch9wavefront6targetE0EEEvT1_.uses_flat_scratch, 0
	.set _ZN7rocprim17ROCPRIM_400000_NS6detail17trampoline_kernelINS0_14default_configENS1_25partition_config_selectorILNS1_17partition_subalgoE8ElNS0_10empty_typeEbEEZZNS1_14partition_implILS5_8ELb0ES3_jPlPS6_PKS6_NS0_5tupleIJS9_S6_EEENSD_IJSA_SA_EEENS0_18inequality_wrapperIZN2at6native12_GLOBAL__N_124unique_dim_cuda_templateIiEESt5tupleIJNSH_6TensorESM_SM_EERKSM_lbbbEUlllE0_EEPmJS6_EEE10hipError_tPvRmT3_T4_T5_T6_T7_T9_mT8_P12ihipStream_tbDpT10_ENKUlT_T0_E_clISt17integral_constantIbLb1EES1B_IbLb0EEEEDaS17_S18_EUlS17_E_NS1_11comp_targetILNS1_3genE8ELNS1_11target_archE1030ELNS1_3gpuE2ELNS1_3repE0EEENS1_30default_config_static_selectorELNS0_4arch9wavefront6targetE0EEEvT1_.has_dyn_sized_stack, 0
	.set _ZN7rocprim17ROCPRIM_400000_NS6detail17trampoline_kernelINS0_14default_configENS1_25partition_config_selectorILNS1_17partition_subalgoE8ElNS0_10empty_typeEbEEZZNS1_14partition_implILS5_8ELb0ES3_jPlPS6_PKS6_NS0_5tupleIJS9_S6_EEENSD_IJSA_SA_EEENS0_18inequality_wrapperIZN2at6native12_GLOBAL__N_124unique_dim_cuda_templateIiEESt5tupleIJNSH_6TensorESM_SM_EERKSM_lbbbEUlllE0_EEPmJS6_EEE10hipError_tPvRmT3_T4_T5_T6_T7_T9_mT8_P12ihipStream_tbDpT10_ENKUlT_T0_E_clISt17integral_constantIbLb1EES1B_IbLb0EEEEDaS17_S18_EUlS17_E_NS1_11comp_targetILNS1_3genE8ELNS1_11target_archE1030ELNS1_3gpuE2ELNS1_3repE0EEENS1_30default_config_static_selectorELNS0_4arch9wavefront6targetE0EEEvT1_.has_recursion, 0
	.set _ZN7rocprim17ROCPRIM_400000_NS6detail17trampoline_kernelINS0_14default_configENS1_25partition_config_selectorILNS1_17partition_subalgoE8ElNS0_10empty_typeEbEEZZNS1_14partition_implILS5_8ELb0ES3_jPlPS6_PKS6_NS0_5tupleIJS9_S6_EEENSD_IJSA_SA_EEENS0_18inequality_wrapperIZN2at6native12_GLOBAL__N_124unique_dim_cuda_templateIiEESt5tupleIJNSH_6TensorESM_SM_EERKSM_lbbbEUlllE0_EEPmJS6_EEE10hipError_tPvRmT3_T4_T5_T6_T7_T9_mT8_P12ihipStream_tbDpT10_ENKUlT_T0_E_clISt17integral_constantIbLb1EES1B_IbLb0EEEEDaS17_S18_EUlS17_E_NS1_11comp_targetILNS1_3genE8ELNS1_11target_archE1030ELNS1_3gpuE2ELNS1_3repE0EEENS1_30default_config_static_selectorELNS0_4arch9wavefront6targetE0EEEvT1_.has_indirect_call, 0
	.section	.AMDGPU.csdata,"",@progbits
; Kernel info:
; codeLenInByte = 0
; TotalNumSgprs: 0
; NumVgprs: 0
; ScratchSize: 0
; MemoryBound: 0
; FloatMode: 240
; IeeeMode: 1
; LDSByteSize: 0 bytes/workgroup (compile time only)
; SGPRBlocks: 0
; VGPRBlocks: 0
; NumSGPRsForWavesPerEU: 1
; NumVGPRsForWavesPerEU: 1
; NamedBarCnt: 0
; Occupancy: 16
; WaveLimiterHint : 0
; COMPUTE_PGM_RSRC2:SCRATCH_EN: 0
; COMPUTE_PGM_RSRC2:USER_SGPR: 2
; COMPUTE_PGM_RSRC2:TRAP_HANDLER: 0
; COMPUTE_PGM_RSRC2:TGID_X_EN: 1
; COMPUTE_PGM_RSRC2:TGID_Y_EN: 0
; COMPUTE_PGM_RSRC2:TGID_Z_EN: 0
; COMPUTE_PGM_RSRC2:TIDIG_COMP_CNT: 0
	.section	.text._ZN7rocprim17ROCPRIM_400000_NS6detail17trampoline_kernelINS0_14default_configENS1_25partition_config_selectorILNS1_17partition_subalgoE8ElNS0_10empty_typeEbEEZZNS1_14partition_implILS5_8ELb0ES3_jPlPS6_PKS6_NS0_5tupleIJS9_S6_EEENSD_IJSA_SA_EEENS0_18inequality_wrapperIZN2at6native12_GLOBAL__N_124unique_dim_cuda_templateIiEESt5tupleIJNSH_6TensorESM_SM_EERKSM_lbbbEUlllE0_EEPmJS6_EEE10hipError_tPvRmT3_T4_T5_T6_T7_T9_mT8_P12ihipStream_tbDpT10_ENKUlT_T0_E_clISt17integral_constantIbLb0EES1B_IbLb1EEEEDaS17_S18_EUlS17_E_NS1_11comp_targetILNS1_3genE0ELNS1_11target_archE4294967295ELNS1_3gpuE0ELNS1_3repE0EEENS1_30default_config_static_selectorELNS0_4arch9wavefront6targetE0EEEvT1_,"axG",@progbits,_ZN7rocprim17ROCPRIM_400000_NS6detail17trampoline_kernelINS0_14default_configENS1_25partition_config_selectorILNS1_17partition_subalgoE8ElNS0_10empty_typeEbEEZZNS1_14partition_implILS5_8ELb0ES3_jPlPS6_PKS6_NS0_5tupleIJS9_S6_EEENSD_IJSA_SA_EEENS0_18inequality_wrapperIZN2at6native12_GLOBAL__N_124unique_dim_cuda_templateIiEESt5tupleIJNSH_6TensorESM_SM_EERKSM_lbbbEUlllE0_EEPmJS6_EEE10hipError_tPvRmT3_T4_T5_T6_T7_T9_mT8_P12ihipStream_tbDpT10_ENKUlT_T0_E_clISt17integral_constantIbLb0EES1B_IbLb1EEEEDaS17_S18_EUlS17_E_NS1_11comp_targetILNS1_3genE0ELNS1_11target_archE4294967295ELNS1_3gpuE0ELNS1_3repE0EEENS1_30default_config_static_selectorELNS0_4arch9wavefront6targetE0EEEvT1_,comdat
	.globl	_ZN7rocprim17ROCPRIM_400000_NS6detail17trampoline_kernelINS0_14default_configENS1_25partition_config_selectorILNS1_17partition_subalgoE8ElNS0_10empty_typeEbEEZZNS1_14partition_implILS5_8ELb0ES3_jPlPS6_PKS6_NS0_5tupleIJS9_S6_EEENSD_IJSA_SA_EEENS0_18inequality_wrapperIZN2at6native12_GLOBAL__N_124unique_dim_cuda_templateIiEESt5tupleIJNSH_6TensorESM_SM_EERKSM_lbbbEUlllE0_EEPmJS6_EEE10hipError_tPvRmT3_T4_T5_T6_T7_T9_mT8_P12ihipStream_tbDpT10_ENKUlT_T0_E_clISt17integral_constantIbLb0EES1B_IbLb1EEEEDaS17_S18_EUlS17_E_NS1_11comp_targetILNS1_3genE0ELNS1_11target_archE4294967295ELNS1_3gpuE0ELNS1_3repE0EEENS1_30default_config_static_selectorELNS0_4arch9wavefront6targetE0EEEvT1_ ; -- Begin function _ZN7rocprim17ROCPRIM_400000_NS6detail17trampoline_kernelINS0_14default_configENS1_25partition_config_selectorILNS1_17partition_subalgoE8ElNS0_10empty_typeEbEEZZNS1_14partition_implILS5_8ELb0ES3_jPlPS6_PKS6_NS0_5tupleIJS9_S6_EEENSD_IJSA_SA_EEENS0_18inequality_wrapperIZN2at6native12_GLOBAL__N_124unique_dim_cuda_templateIiEESt5tupleIJNSH_6TensorESM_SM_EERKSM_lbbbEUlllE0_EEPmJS6_EEE10hipError_tPvRmT3_T4_T5_T6_T7_T9_mT8_P12ihipStream_tbDpT10_ENKUlT_T0_E_clISt17integral_constantIbLb0EES1B_IbLb1EEEEDaS17_S18_EUlS17_E_NS1_11comp_targetILNS1_3genE0ELNS1_11target_archE4294967295ELNS1_3gpuE0ELNS1_3repE0EEENS1_30default_config_static_selectorELNS0_4arch9wavefront6targetE0EEEvT1_
	.p2align	8
	.type	_ZN7rocprim17ROCPRIM_400000_NS6detail17trampoline_kernelINS0_14default_configENS1_25partition_config_selectorILNS1_17partition_subalgoE8ElNS0_10empty_typeEbEEZZNS1_14partition_implILS5_8ELb0ES3_jPlPS6_PKS6_NS0_5tupleIJS9_S6_EEENSD_IJSA_SA_EEENS0_18inequality_wrapperIZN2at6native12_GLOBAL__N_124unique_dim_cuda_templateIiEESt5tupleIJNSH_6TensorESM_SM_EERKSM_lbbbEUlllE0_EEPmJS6_EEE10hipError_tPvRmT3_T4_T5_T6_T7_T9_mT8_P12ihipStream_tbDpT10_ENKUlT_T0_E_clISt17integral_constantIbLb0EES1B_IbLb1EEEEDaS17_S18_EUlS17_E_NS1_11comp_targetILNS1_3genE0ELNS1_11target_archE4294967295ELNS1_3gpuE0ELNS1_3repE0EEENS1_30default_config_static_selectorELNS0_4arch9wavefront6targetE0EEEvT1_,@function
_ZN7rocprim17ROCPRIM_400000_NS6detail17trampoline_kernelINS0_14default_configENS1_25partition_config_selectorILNS1_17partition_subalgoE8ElNS0_10empty_typeEbEEZZNS1_14partition_implILS5_8ELb0ES3_jPlPS6_PKS6_NS0_5tupleIJS9_S6_EEENSD_IJSA_SA_EEENS0_18inequality_wrapperIZN2at6native12_GLOBAL__N_124unique_dim_cuda_templateIiEESt5tupleIJNSH_6TensorESM_SM_EERKSM_lbbbEUlllE0_EEPmJS6_EEE10hipError_tPvRmT3_T4_T5_T6_T7_T9_mT8_P12ihipStream_tbDpT10_ENKUlT_T0_E_clISt17integral_constantIbLb0EES1B_IbLb1EEEEDaS17_S18_EUlS17_E_NS1_11comp_targetILNS1_3genE0ELNS1_11target_archE4294967295ELNS1_3gpuE0ELNS1_3repE0EEENS1_30default_config_static_selectorELNS0_4arch9wavefront6targetE0EEEvT1_: ; @_ZN7rocprim17ROCPRIM_400000_NS6detail17trampoline_kernelINS0_14default_configENS1_25partition_config_selectorILNS1_17partition_subalgoE8ElNS0_10empty_typeEbEEZZNS1_14partition_implILS5_8ELb0ES3_jPlPS6_PKS6_NS0_5tupleIJS9_S6_EEENSD_IJSA_SA_EEENS0_18inequality_wrapperIZN2at6native12_GLOBAL__N_124unique_dim_cuda_templateIiEESt5tupleIJNSH_6TensorESM_SM_EERKSM_lbbbEUlllE0_EEPmJS6_EEE10hipError_tPvRmT3_T4_T5_T6_T7_T9_mT8_P12ihipStream_tbDpT10_ENKUlT_T0_E_clISt17integral_constantIbLb0EES1B_IbLb1EEEEDaS17_S18_EUlS17_E_NS1_11comp_targetILNS1_3genE0ELNS1_11target_archE4294967295ELNS1_3gpuE0ELNS1_3repE0EEENS1_30default_config_static_selectorELNS0_4arch9wavefront6targetE0EEEvT1_
; %bb.0:
	s_clause 0x1
	s_load_b256 s[12:19], s[0:1], 0x40
	s_load_b128 s[8:11], s[0:1], 0x60
	v_cmp_ne_u32_e64 s3, 0, v0
	v_cmp_eq_u32_e64 s2, 0, v0
	s_and_saveexec_b32 s4, s2
	s_cbranch_execz .LBB465_4
; %bb.1:
	s_mov_b32 s6, exec_lo
	s_mov_b32 s5, exec_lo
	v_mbcnt_lo_u32_b32 v1, s6, 0
                                        ; implicit-def: $vgpr2
	s_delay_alu instid0(VALU_DEP_1)
	v_cmpx_eq_u32_e32 0, v1
	s_cbranch_execz .LBB465_3
; %bb.2:
	s_load_b64 s[20:21], s[0:1], 0x78
	s_bcnt1_i32_b32 s6, s6
	s_delay_alu instid0(SALU_CYCLE_1)
	v_dual_mov_b32 v2, 0 :: v_dual_mov_b32 v3, s6
	s_wait_xcnt 0x0
	s_wait_kmcnt 0x0
	global_atomic_add_u32 v2, v2, v3, s[20:21] th:TH_ATOMIC_RETURN scope:SCOPE_DEV
.LBB465_3:
	s_wait_xcnt 0x0
	s_or_b32 exec_lo, exec_lo, s5
	s_wait_loadcnt 0x0
	v_readfirstlane_b32 s5, v2
	s_delay_alu instid0(VALU_DEP_1)
	v_dual_mov_b32 v2, 0 :: v_dual_add_nc_u32 v1, s5, v1
	ds_store_b32 v2, v1
.LBB465_4:
	s_or_b32 exec_lo, exec_lo, s4
	v_dual_mov_b32 v3, 0 :: v_dual_lshlrev_b32 v18, 3, v0
	s_clause 0x2
	s_load_b128 s[4:7], s[0:1], 0x8
	s_load_b64 s[20:21], s[0:1], 0x28
	s_load_b32 s22, s[0:1], 0x70
	s_wait_dscnt 0x0
	s_barrier_signal -1
	s_barrier_wait -1
	ds_load_b32 v1, v3
	s_wait_dscnt 0x0
	s_barrier_signal -1
	s_barrier_wait -1
	s_wait_kmcnt 0x0
	global_load_b64 v[4:5], v3, s[14:15]
	s_wait_xcnt 0x0
	s_mov_b32 s15, 0
	s_lshl_b64 s[0:1], s[6:7], 3
	s_mul_i32 s14, s22, 0xe00
	s_add_co_i32 s26, s22, -1
	s_add_nc_u64 s[24:25], s[6:7], s[14:15]
	s_add_co_i32 s14, s14, s6
	v_cmp_le_u64_e64 s15, s[16:17], s[24:25]
	v_mul_lo_u32 v2, 0xe00, v1
	v_readfirstlane_b32 s22, v1
	s_sub_co_i32 s23, s16, s14
	s_add_nc_u64 s[0:1], s[4:5], s[0:1]
	s_cmp_eq_u32 s22, s26
	s_cselect_b32 s16, -1, 0
	s_delay_alu instid0(SALU_CYCLE_1) | instskip(SKIP_2) | instid1(SALU_CYCLE_1)
	s_and_b32 s24, s15, s16
	v_lshlrev_b64_e32 v[2:3], 3, v[2:3]
	s_xor_b32 s17, s24, -1
	s_and_b32 vcc_lo, exec_lo, s17
	s_delay_alu instid0(VALU_DEP_1)
	v_add_nc_u64_e32 v[20:21], s[0:1], v[2:3]
	s_mov_b32 s0, -1
	s_wait_loadcnt 0x0
	v_readfirstlane_b32 s14, v4
	v_readfirstlane_b32 s15, v5
	s_cbranch_vccz .LBB465_6
; %bb.5:
	v_readfirstlane_b32 s0, v20
	v_readfirstlane_b32 s1, v21
	v_lshlrev_b32_e32 v1, 3, v0
	s_clause 0x6
	global_load_b64 v[2:3], v0, s[0:1] scale_offset
	global_load_b64 v[4:5], v0, s[0:1] offset:4096 scale_offset
	global_load_b64 v[6:7], v0, s[0:1] offset:8192 scale_offset
	global_load_b64 v[8:9], v0, s[0:1] offset:12288 scale_offset
	global_load_b64 v[10:11], v0, s[0:1] offset:16384 scale_offset
	global_load_b64 v[12:13], v0, s[0:1] offset:20480 scale_offset
	global_load_b64 v[14:15], v0, s[0:1] offset:24576 scale_offset
	s_wait_xcnt 0x0
	s_mov_b32 s0, 0
	s_wait_loadcnt 0x5
	ds_store_2addr_stride64_b64 v1, v[2:3], v[4:5] offset1:8
	s_wait_loadcnt 0x3
	ds_store_2addr_stride64_b64 v1, v[6:7], v[8:9] offset0:16 offset1:24
	s_wait_loadcnt 0x1
	ds_store_2addr_stride64_b64 v1, v[10:11], v[12:13] offset0:32 offset1:40
	s_wait_loadcnt 0x0
	ds_store_b64 v1, v[14:15] offset:24576
	s_wait_dscnt 0x0
	s_barrier_signal -1
	s_barrier_wait -1
.LBB465_6:
	s_and_not1_b32 vcc_lo, exec_lo, s0
	s_addk_co_i32 s23, 0xe00
	s_cbranch_vccnz .LBB465_22
; %bb.7:
	v_mov_b32_e32 v2, 0
	s_mov_b32 s0, exec_lo
	s_delay_alu instid0(VALU_DEP_1)
	v_dual_mov_b32 v3, v2 :: v_dual_mov_b32 v4, v2
	v_dual_mov_b32 v5, v2 :: v_dual_mov_b32 v6, v2
	v_dual_mov_b32 v7, v2 :: v_dual_mov_b32 v8, v2
	v_dual_mov_b32 v9, v2 :: v_dual_mov_b32 v10, v2
	v_dual_mov_b32 v11, v2 :: v_dual_mov_b32 v12, v2
	v_dual_mov_b32 v13, v2 :: v_dual_mov_b32 v14, v2
	v_mov_b32_e32 v15, v2
	v_cmpx_gt_u32_e64 s23, v0
	s_cbranch_execz .LBB465_9
; %bb.8:
	v_readfirstlane_b32 s4, v20
	v_readfirstlane_b32 s5, v21
	v_dual_mov_b32 v6, v2 :: v_dual_mov_b32 v7, v2
	v_dual_mov_b32 v8, v2 :: v_dual_mov_b32 v9, v2
	global_load_b64 v[4:5], v0, s[4:5] scale_offset
	v_dual_mov_b32 v10, v2 :: v_dual_mov_b32 v11, v2
	v_dual_mov_b32 v12, v2 :: v_dual_mov_b32 v13, v2
	;; [unrolled: 1-line block ×4, first 2 shown]
	s_wait_loadcnt 0x0
	v_mov_b64_e32 v[2:3], v[4:5]
	v_mov_b64_e32 v[4:5], v[6:7]
	v_mov_b64_e32 v[6:7], v[8:9]
	v_mov_b64_e32 v[8:9], v[10:11]
	v_mov_b64_e32 v[10:11], v[12:13]
	v_mov_b64_e32 v[12:13], v[14:15]
	v_mov_b64_e32 v[14:15], v[16:17]
	v_mov_b64_e32 v[16:17], v[18:19]
.LBB465_9:
	s_or_b32 exec_lo, exec_lo, s0
	v_or_b32_e32 v1, 0x200, v0
	s_mov_b32 s0, exec_lo
	s_delay_alu instid0(VALU_DEP_1)
	v_cmpx_gt_u32_e64 s23, v1
	s_cbranch_execz .LBB465_11
; %bb.10:
	v_readfirstlane_b32 s4, v20
	v_readfirstlane_b32 s5, v21
	global_load_b64 v[4:5], v0, s[4:5] offset:4096 scale_offset
.LBB465_11:
	s_wait_xcnt 0x0
	s_or_b32 exec_lo, exec_lo, s0
	v_or_b32_e32 v1, 0x400, v0
	s_mov_b32 s0, exec_lo
	s_delay_alu instid0(VALU_DEP_1)
	v_cmpx_gt_u32_e64 s23, v1
	s_cbranch_execz .LBB465_13
; %bb.12:
	v_readfirstlane_b32 s4, v20
	v_readfirstlane_b32 s5, v21
	global_load_b64 v[6:7], v0, s[4:5] offset:8192 scale_offset
.LBB465_13:
	s_wait_xcnt 0x0
	;; [unrolled: 12-line block ×6, first 2 shown]
	s_or_b32 exec_lo, exec_lo, s0
	v_lshlrev_b32_e32 v1, 3, v0
	s_wait_loadcnt 0x0
	ds_store_2addr_stride64_b64 v1, v[2:3], v[4:5] offset1:8
	ds_store_2addr_stride64_b64 v1, v[6:7], v[8:9] offset0:16 offset1:24
	ds_store_2addr_stride64_b64 v1, v[10:11], v[12:13] offset0:32 offset1:40
	ds_store_b64 v1, v[14:15] offset:24576
	s_wait_dscnt 0x0
	s_barrier_signal -1
	s_barrier_wait -1
.LBB465_22:
	v_mul_u32_u24_e32 v1, 7, v0
	s_cmp_lg_u32 s22, 0
	s_cselect_b32 s25, -1, 0
	s_delay_alu instid0(VALU_DEP_1)
	v_lshlrev_b32_e32 v26, 3, v1
	s_cmp_lg_u64 s[6:7], 0
	v_cmp_gt_i64_e64 s7, s[18:19], 0
	s_cselect_b32 s0, -1, 0
	s_mov_b32 s6, 0
	ds_load_2addr_b64 v[10:13], v26 offset1:1
	ds_load_2addr_b64 v[6:9], v26 offset0:2 offset1:3
	ds_load_2addr_b64 v[2:5], v26 offset0:4 offset1:5
	ds_load_b64 v[14:15], v26 offset:48
	s_or_b32 s0, s0, s25
	s_wait_dscnt 0x0
	s_and_b32 vcc_lo, exec_lo, s0
	s_barrier_signal -1
	s_barrier_wait -1
	s_cbranch_vccz .LBB465_38
; %bb.23:
	global_load_b64 v[20:21], v[20:21], off offset:-8
	v_cndmask_b32_e64 v27, 0, 1, s7
	v_lshlrev_b32_e32 v28, 3, v0
	s_and_b32 vcc_lo, exec_lo, s17
	s_delay_alu instid0(VALU_DEP_2)
	v_cmp_ne_u32_e64 s0, 1, v27
	ds_store_b64 v28, v[14:15]
	s_cbranch_vccz .LBB465_40
; %bb.24:
	s_and_b32 vcc_lo, exec_lo, s0
	s_cbranch_vccnz .LBB465_41
; %bb.25:
	v_mul_u64_e32 v[16:17], s[18:19], v[4:5]
	v_mul_u64_e32 v[22:23], s[18:19], v[14:15]
	s_add_nc_u64 s[4:5], s[18:19], -1
	s_mov_b32 s26, 0
	s_mov_b64 s[0:1], s[4:5]
                                        ; implicit-def: $sgpr6
	s_delay_alu instid0(VALU_DEP_2) | instskip(NEXT) | instid1(VALU_DEP_2)
	v_lshl_add_u64 v[16:17], v[16:17], 2, s[8:9]
	v_lshl_add_u64 v[22:23], v[22:23], 2, s[8:9]
	s_delay_alu instid0(VALU_DEP_2)
	v_mov_b64_e32 v[24:25], v[16:17]
.LBB465_26:                             ; =>This Inner Loop Header: Depth=1
	global_load_b32 v19, v[24:25], off
	global_load_b32 v29, v[22:23], off
	s_cmp_eq_u64 s[0:1], 0
	s_add_nc_u64 s[28:29], s[0:1], -1
	s_cselect_b32 s1, -1, 0
	s_wait_xcnt 0x1
	v_add_nc_u64_e32 v[24:25], 4, v[24:25]
	s_wait_xcnt 0x0
	v_add_nc_u64_e32 v[22:23], 4, v[22:23]
	s_wait_loadcnt 0x0
	v_cmp_ne_u32_e32 vcc_lo, v19, v29
	v_cmp_eq_u32_e64 s0, v19, v29
	s_or_b32 s1, vcc_lo, s1
	s_delay_alu instid0(SALU_CYCLE_1) | instskip(NEXT) | instid1(SALU_CYCLE_1)
	s_and_b32 s1, exec_lo, s1
	s_or_b32 s26, s1, s26
	s_and_not1_b32 s6, s6, exec_lo
	s_and_b32 s27, s0, exec_lo
	s_mov_b64 s[0:1], s[28:29]
	s_or_b32 s6, s6, s27
	s_and_not1_b32 exec_lo, exec_lo, s26
	s_cbranch_execnz .LBB465_26
; %bb.27:
	s_or_b32 exec_lo, exec_lo, s26
	v_mul_u64_e32 v[22:23], s[18:19], v[2:3]
	s_mov_b32 s27, 0
	s_mov_b64 s[0:1], s[4:5]
                                        ; implicit-def: $sgpr26
	s_delay_alu instid0(VALU_DEP_1) | instskip(NEXT) | instid1(VALU_DEP_1)
	v_lshl_add_u64 v[22:23], v[22:23], 2, s[8:9]
	v_mov_b64_e32 v[24:25], v[22:23]
.LBB465_28:                             ; =>This Inner Loop Header: Depth=1
	global_load_b32 v19, v[24:25], off
	global_load_b32 v29, v[16:17], off
	s_cmp_eq_u64 s[0:1], 0
	s_add_nc_u64 s[28:29], s[0:1], -1
	s_cselect_b32 s1, -1, 0
	s_wait_xcnt 0x1
	v_add_nc_u64_e32 v[24:25], 4, v[24:25]
	s_wait_xcnt 0x0
	v_add_nc_u64_e32 v[16:17], 4, v[16:17]
	s_wait_loadcnt 0x0
	v_cmp_ne_u32_e32 vcc_lo, v19, v29
	v_cmp_eq_u32_e64 s0, v19, v29
	s_or_b32 s1, vcc_lo, s1
	s_delay_alu instid0(SALU_CYCLE_1) | instskip(NEXT) | instid1(SALU_CYCLE_1)
	s_and_b32 s1, exec_lo, s1
	s_or_b32 s27, s1, s27
	s_and_not1_b32 s26, s26, exec_lo
	s_and_b32 s30, s0, exec_lo
	s_mov_b64 s[0:1], s[28:29]
	s_or_b32 s26, s26, s30
	s_and_not1_b32 exec_lo, exec_lo, s27
	s_cbranch_execnz .LBB465_28
; %bb.29:
	s_or_b32 exec_lo, exec_lo, s27
	v_mul_u64_e32 v[16:17], s[18:19], v[8:9]
	s_mov_b32 s28, 0
	s_mov_b64 s[0:1], s[4:5]
                                        ; implicit-def: $sgpr27
	s_delay_alu instid0(VALU_DEP_1) | instskip(NEXT) | instid1(VALU_DEP_1)
	v_lshl_add_u64 v[16:17], v[16:17], 2, s[8:9]
	v_mov_b64_e32 v[24:25], v[16:17]
.LBB465_30:                             ; =>This Inner Loop Header: Depth=1
	global_load_b32 v19, v[24:25], off
	global_load_b32 v29, v[22:23], off
	s_cmp_eq_u64 s[0:1], 0
	s_add_nc_u64 s[30:31], s[0:1], -1
	s_cselect_b32 s1, -1, 0
	s_wait_xcnt 0x1
	v_add_nc_u64_e32 v[24:25], 4, v[24:25]
	s_wait_xcnt 0x0
	v_add_nc_u64_e32 v[22:23], 4, v[22:23]
	s_wait_loadcnt 0x0
	v_cmp_ne_u32_e32 vcc_lo, v19, v29
	v_cmp_eq_u32_e64 s0, v19, v29
	s_or_b32 s1, vcc_lo, s1
	s_delay_alu instid0(SALU_CYCLE_1) | instskip(NEXT) | instid1(SALU_CYCLE_1)
	s_and_b32 s1, exec_lo, s1
	s_or_b32 s28, s1, s28
	s_and_not1_b32 s27, s27, exec_lo
	s_and_b32 s29, s0, exec_lo
	s_mov_b64 s[0:1], s[30:31]
	s_or_b32 s27, s27, s29
	s_and_not1_b32 exec_lo, exec_lo, s28
	s_cbranch_execnz .LBB465_30
; %bb.31:
	s_or_b32 exec_lo, exec_lo, s28
	v_mul_u64_e32 v[22:23], s[18:19], v[6:7]
	s_mov_b32 s29, 0
	s_mov_b64 s[0:1], s[4:5]
                                        ; implicit-def: $sgpr28
	s_delay_alu instid0(VALU_DEP_1) | instskip(NEXT) | instid1(VALU_DEP_1)
	v_lshl_add_u64 v[22:23], v[22:23], 2, s[8:9]
	v_mov_b64_e32 v[24:25], v[22:23]
.LBB465_32:                             ; =>This Inner Loop Header: Depth=1
	global_load_b32 v19, v[24:25], off
	global_load_b32 v29, v[16:17], off
	s_cmp_eq_u64 s[0:1], 0
	s_add_nc_u64 s[30:31], s[0:1], -1
	s_cselect_b32 s1, -1, 0
	s_wait_xcnt 0x1
	v_add_nc_u64_e32 v[24:25], 4, v[24:25]
	s_wait_xcnt 0x0
	v_add_nc_u64_e32 v[16:17], 4, v[16:17]
	s_wait_loadcnt 0x0
	v_cmp_ne_u32_e32 vcc_lo, v19, v29
	v_cmp_eq_u32_e64 s0, v19, v29
	s_or_b32 s1, vcc_lo, s1
	s_delay_alu instid0(SALU_CYCLE_1) | instskip(NEXT) | instid1(SALU_CYCLE_1)
	s_and_b32 s1, exec_lo, s1
	s_or_b32 s29, s1, s29
	s_and_not1_b32 s28, s28, exec_lo
	s_and_b32 s33, s0, exec_lo
	s_mov_b64 s[0:1], s[30:31]
	s_or_b32 s28, s28, s33
	s_and_not1_b32 exec_lo, exec_lo, s29
	s_cbranch_execnz .LBB465_32
; %bb.33:
	s_or_b32 exec_lo, exec_lo, s29
	v_mul_u64_e32 v[16:17], s[18:19], v[12:13]
	s_mov_b32 s30, 0
	s_mov_b64 s[0:1], s[4:5]
                                        ; implicit-def: $sgpr29
	s_delay_alu instid0(VALU_DEP_1) | instskip(NEXT) | instid1(VALU_DEP_1)
	v_lshl_add_u64 v[16:17], v[16:17], 2, s[8:9]
	v_mov_b64_e32 v[24:25], v[16:17]
.LBB465_34:                             ; =>This Inner Loop Header: Depth=1
	global_load_b32 v19, v[24:25], off
	global_load_b32 v29, v[22:23], off
	s_cmp_eq_u64 s[0:1], 0
	s_add_nc_u64 s[34:35], s[0:1], -1
	s_cselect_b32 s1, -1, 0
	s_wait_xcnt 0x1
	v_add_nc_u64_e32 v[24:25], 4, v[24:25]
	s_wait_xcnt 0x0
	v_add_nc_u64_e32 v[22:23], 4, v[22:23]
	s_wait_loadcnt 0x0
	v_cmp_ne_u32_e32 vcc_lo, v19, v29
	v_cmp_eq_u32_e64 s0, v19, v29
	s_or_b32 s1, vcc_lo, s1
	s_delay_alu instid0(SALU_CYCLE_1) | instskip(NEXT) | instid1(SALU_CYCLE_1)
	s_and_b32 s1, exec_lo, s1
	s_or_b32 s30, s1, s30
	s_and_not1_b32 s29, s29, exec_lo
	s_and_b32 s31, s0, exec_lo
	s_mov_b64 s[0:1], s[34:35]
	s_or_b32 s29, s29, s31
	s_and_not1_b32 exec_lo, exec_lo, s30
	s_cbranch_execnz .LBB465_34
; %bb.35:
	s_or_b32 exec_lo, exec_lo, s30
	v_mul_u64_e32 v[22:23], s[18:19], v[10:11]
	s_mov_b32 s30, 0
                                        ; implicit-def: $sgpr1
	s_delay_alu instid0(VALU_DEP_1)
	v_lshl_add_u64 v[22:23], v[22:23], 2, s[8:9]
.LBB465_36:                             ; =>This Inner Loop Header: Depth=1
	global_load_b32 v19, v[22:23], off
	global_load_b32 v24, v[16:17], off
	s_cmp_eq_u64 s[4:5], 0
	s_add_nc_u64 s[34:35], s[4:5], -1
	s_cselect_b32 s4, -1, 0
	s_wait_xcnt 0x1
	v_add_nc_u64_e32 v[22:23], 4, v[22:23]
	s_wait_xcnt 0x0
	v_add_nc_u64_e32 v[16:17], 4, v[16:17]
	s_wait_loadcnt 0x0
	v_cmp_ne_u32_e32 vcc_lo, v19, v24
	v_cmp_eq_u32_e64 s0, v19, v24
	s_or_b32 s4, vcc_lo, s4
	s_delay_alu instid0(SALU_CYCLE_1) | instskip(NEXT) | instid1(SALU_CYCLE_1)
	s_and_b32 s4, exec_lo, s4
	s_or_b32 s30, s4, s30
	s_and_not1_b32 s1, s1, exec_lo
	s_and_b32 s0, s0, exec_lo
	s_mov_b64 s[4:5], s[34:35]
	s_or_b32 s1, s1, s0
	s_and_not1_b32 exec_lo, exec_lo, s30
	s_cbranch_execnz .LBB465_36
; %bb.37:
	s_or_b32 exec_lo, exec_lo, s30
	s_xor_b32 s0, s28, -1
	s_delay_alu instid0(SALU_CYCLE_1) | instskip(SKIP_1) | instid1(SALU_CYCLE_1)
	v_cndmask_b32_e64 v16, 0, 1, s0
	s_xor_b32 s0, s29, -1
	v_cndmask_b32_e64 v17, 0, 1, s0
	s_xor_b32 s0, s26, -1
	s_delay_alu instid0(VALU_DEP_2) | instskip(SKIP_2) | instid1(SALU_CYCLE_1)
	v_lshlrev_b16 v16, 8, v16
	v_cndmask_b32_e64 v30, 0, 1, s0
	s_xor_b32 s0, s6, -1
	v_cndmask_b32_e64 v19, 0, 1, s0
	s_delay_alu instid0(VALU_DEP_3) | instskip(SKIP_1) | instid1(VALU_DEP_1)
	v_lshrrev_b32_e32 v16, 8, v16
	s_xor_b32 s0, s27, -1
	v_and_b32_e32 v16, 1, v16
	s_delay_alu instid0(VALU_DEP_1) | instskip(NEXT) | instid1(VALU_DEP_1)
	v_lshlrev_b16 v16, 8, v16
	v_or_b32_e32 v16, v17, v16
	v_cndmask_b32_e64 v17, 0, 1, s0
	s_xor_b32 s0, s1, -1
	s_delay_alu instid0(VALU_DEP_2)
	v_lshlrev_b32_e32 v16, 16, v16
	s_branch .LBB465_42
.LBB465_38:
                                        ; implicit-def: $sgpr0
                                        ; implicit-def: $vgpr19
                                        ; implicit-def: $vgpr30
                                        ; implicit-def: $vgpr17
                                        ; implicit-def: $vgpr22
	s_branch .LBB465_95
.LBB465_39:
                                        ; implicit-def: $vgpr32
                                        ; implicit-def: $vgpr31
                                        ; implicit-def: $vgpr20
	s_branch .LBB465_164
.LBB465_40:
                                        ; implicit-def: $sgpr0
                                        ; implicit-def: $vgpr19
                                        ; implicit-def: $vgpr30
                                        ; implicit-def: $vgpr17
                                        ; implicit-def: $vgpr22
	s_cbranch_execnz .LBB465_49
	s_branch .LBB465_94
.LBB465_41:
	v_dual_mov_b32 v16, 0 :: v_dual_mov_b32 v19, 0
	v_dual_mov_b32 v30, 0 :: v_dual_mov_b32 v17, 0
	s_mov_b32 s0, 0
.LBB465_42:
	s_wait_loadcnt 0x0
	v_mov_b64_e32 v[22:23], v[20:21]
	s_wait_dscnt 0x0
	s_barrier_signal -1
	s_barrier_wait -1
	s_and_saveexec_b32 s1, s3
; %bb.43:
	v_add_nc_u32_e32 v22, -8, v28
	ds_load_b64 v[22:23], v22
; %bb.44:
	s_or_b32 exec_lo, exec_lo, s1
	v_cndmask_b32_e64 v24, 0, 1, s0
	v_lshrrev_b32_e32 v25, 16, v16
	s_mov_b32 s4, 0
	s_and_not1_b32 vcc_lo, exec_lo, s7
	s_mov_b32 s0, 0
	v_lshlrev_b16 v24, 8, v24
	s_delay_alu instid0(VALU_DEP_1) | instskip(SKIP_1) | instid1(VALU_DEP_2)
	v_bitop3_b16 v24, v16, v24, 0xff bitop3:0xec
	v_perm_b32 v16, v25, v16, 0xc0c0304
	v_and_b32_e32 v29, 0xffff, v24
	s_cbranch_vccnz .LBB465_48
; %bb.45:
	s_wait_dscnt 0x0
	v_mul_u64_e32 v[22:23], s[18:19], v[22:23]
	v_mul_u64_e32 v[24:25], s[18:19], v[10:11]
	s_add_nc_u64 s[0:1], s[18:19], -1
	s_mov_b32 s5, 0
                                        ; implicit-def: $sgpr6
	s_delay_alu instid0(VALU_DEP_2) | instskip(NEXT) | instid1(VALU_DEP_2)
	v_lshl_add_u64 v[22:23], v[22:23], 2, s[8:9]
	v_lshl_add_u64 v[24:25], v[24:25], 2, s[8:9]
.LBB465_46:                             ; =>This Inner Loop Header: Depth=1
	global_load_b32 v31, v[22:23], off
	global_load_b32 v32, v[24:25], off
	s_cmp_eq_u64 s[0:1], 0
	s_add_nc_u64 s[26:27], s[0:1], -1
	s_cselect_b32 s1, -1, 0
	s_wait_xcnt 0x1
	v_add_nc_u64_e32 v[22:23], 4, v[22:23]
	s_wait_xcnt 0x0
	v_add_nc_u64_e32 v[24:25], 4, v[24:25]
	s_wait_loadcnt 0x0
	v_cmp_ne_u32_e32 vcc_lo, v31, v32
	v_cmp_eq_u32_e64 s0, v31, v32
	s_or_b32 s1, vcc_lo, s1
	s_delay_alu instid0(SALU_CYCLE_1) | instskip(NEXT) | instid1(SALU_CYCLE_1)
	s_and_b32 s1, exec_lo, s1
	s_or_b32 s5, s1, s5
	s_and_not1_b32 s6, s6, exec_lo
	s_and_b32 s28, s0, exec_lo
	s_mov_b64 s[0:1], s[26:27]
	s_or_b32 s6, s6, s28
	s_and_not1_b32 exec_lo, exec_lo, s5
	s_cbranch_execnz .LBB465_46
; %bb.47:
	s_or_b32 exec_lo, exec_lo, s5
	s_xor_b32 s0, s6, -1
.LBB465_48:
	s_wait_dscnt 0x0
	s_delay_alu instid0(VALU_DEP_1)
	v_lshl_or_b32 v22, v16, 16, v29
	s_and_b32 vcc_lo, exec_lo, s4
	s_cbranch_vccz .LBB465_94
.LBB465_49:
	v_add_nc_u32_e32 v16, 6, v1
	s_mov_b32 s5, 0
	s_mov_b32 s4, 0
	s_mov_b32 s6, exec_lo
	s_wait_xcnt 0x0
	v_cmpx_gt_u32_e64 s23, v16
	s_cbranch_execz .LBB465_55
; %bb.50:
	s_and_not1_b32 vcc_lo, exec_lo, s7
	s_mov_b32 s0, 0
	s_cbranch_vccnz .LBB465_54
; %bb.51:
	v_mul_u64_e32 v[16:17], s[18:19], v[4:5]
	v_mul_u64_e32 v[22:23], s[18:19], v[14:15]
	s_add_nc_u64 s[0:1], s[18:19], -1
                                        ; implicit-def: $sgpr7
	s_delay_alu instid0(VALU_DEP_2) | instskip(NEXT) | instid1(VALU_DEP_2)
	v_lshl_add_u64 v[16:17], v[16:17], 2, s[8:9]
	v_lshl_add_u64 v[22:23], v[22:23], 2, s[8:9]
.LBB465_52:                             ; =>This Inner Loop Header: Depth=1
	global_load_b32 v19, v[16:17], off
	global_load_b32 v24, v[22:23], off
	s_cmp_eq_u64 s[0:1], 0
	s_add_nc_u64 s[26:27], s[0:1], -1
	s_cselect_b32 s1, -1, 0
	s_wait_xcnt 0x1
	v_add_nc_u64_e32 v[16:17], 4, v[16:17]
	s_wait_xcnt 0x0
	v_add_nc_u64_e32 v[22:23], 4, v[22:23]
	s_wait_loadcnt 0x0
	v_cmp_ne_u32_e32 vcc_lo, v19, v24
	v_cmp_eq_u32_e64 s0, v19, v24
	s_or_b32 s1, vcc_lo, s1
	s_delay_alu instid0(SALU_CYCLE_1) | instskip(NEXT) | instid1(SALU_CYCLE_1)
	s_and_b32 s1, exec_lo, s1
	s_or_b32 s4, s1, s4
	s_and_not1_b32 s7, s7, exec_lo
	s_and_b32 s28, s0, exec_lo
	s_mov_b64 s[0:1], s[26:27]
	s_or_b32 s7, s7, s28
	s_and_not1_b32 exec_lo, exec_lo, s4
	s_cbranch_execnz .LBB465_52
; %bb.53:
	s_or_b32 exec_lo, exec_lo, s4
	s_xor_b32 s0, s7, -1
.LBB465_54:
	s_delay_alu instid0(SALU_CYCLE_1)
	s_and_b32 s4, s0, exec_lo
.LBB465_55:
	s_or_b32 exec_lo, exec_lo, s6
	v_add_nc_u32_e32 v16, 5, v1
	s_mov_b32 s6, exec_lo
	s_delay_alu instid0(VALU_DEP_1)
	v_cmpx_gt_u32_e64 s23, v16
	s_cbranch_execz .LBB465_61
; %bb.56:
	v_cmp_ne_u32_e32 vcc_lo, 1, v27
	s_mov_b32 s0, 0
	s_cbranch_vccnz .LBB465_60
; %bb.57:
	v_mul_u64_e32 v[16:17], s[18:19], v[2:3]
	v_mul_u64_e32 v[22:23], s[18:19], v[4:5]
	s_add_nc_u64 s[0:1], s[18:19], -1
	s_mov_b32 s5, 0
                                        ; implicit-def: $sgpr7
	s_delay_alu instid0(VALU_DEP_2) | instskip(NEXT) | instid1(VALU_DEP_2)
	v_lshl_add_u64 v[16:17], v[16:17], 2, s[8:9]
	v_lshl_add_u64 v[22:23], v[22:23], 2, s[8:9]
.LBB465_58:                             ; =>This Inner Loop Header: Depth=1
	global_load_b32 v19, v[16:17], off
	global_load_b32 v24, v[22:23], off
	s_cmp_eq_u64 s[0:1], 0
	s_add_nc_u64 s[26:27], s[0:1], -1
	s_cselect_b32 s1, -1, 0
	s_wait_xcnt 0x1
	v_add_nc_u64_e32 v[16:17], 4, v[16:17]
	s_wait_xcnt 0x0
	v_add_nc_u64_e32 v[22:23], 4, v[22:23]
	s_wait_loadcnt 0x0
	v_cmp_ne_u32_e32 vcc_lo, v19, v24
	v_cmp_eq_u32_e64 s0, v19, v24
	s_or_b32 s1, vcc_lo, s1
	s_delay_alu instid0(SALU_CYCLE_1) | instskip(NEXT) | instid1(SALU_CYCLE_1)
	s_and_b32 s1, exec_lo, s1
	s_or_b32 s5, s1, s5
	s_and_not1_b32 s7, s7, exec_lo
	s_and_b32 s28, s0, exec_lo
	s_mov_b64 s[0:1], s[26:27]
	s_or_b32 s7, s7, s28
	s_and_not1_b32 exec_lo, exec_lo, s5
	s_cbranch_execnz .LBB465_58
; %bb.59:
	s_or_b32 exec_lo, exec_lo, s5
	s_xor_b32 s0, s7, -1
.LBB465_60:
	s_delay_alu instid0(SALU_CYCLE_1)
	s_and_b32 s5, s0, exec_lo
.LBB465_61:
	s_or_b32 exec_lo, exec_lo, s6
	v_add_nc_u32_e32 v16, 4, v1
	s_mov_b32 s7, 0
	s_mov_b32 s6, 0
	s_mov_b32 s26, exec_lo
	s_delay_alu instid0(VALU_DEP_1)
	v_cmpx_gt_u32_e64 s23, v16
	s_cbranch_execz .LBB465_67
; %bb.62:
	v_cmp_ne_u32_e32 vcc_lo, 1, v27
	s_mov_b32 s0, 0
	s_cbranch_vccnz .LBB465_66
; %bb.63:
	v_mul_u64_e32 v[16:17], s[18:19], v[8:9]
	v_mul_u64_e32 v[22:23], s[18:19], v[2:3]
	s_add_nc_u64 s[0:1], s[18:19], -1
                                        ; implicit-def: $sgpr27
	s_delay_alu instid0(VALU_DEP_2) | instskip(NEXT) | instid1(VALU_DEP_2)
	v_lshl_add_u64 v[16:17], v[16:17], 2, s[8:9]
	v_lshl_add_u64 v[22:23], v[22:23], 2, s[8:9]
.LBB465_64:                             ; =>This Inner Loop Header: Depth=1
	global_load_b32 v19, v[16:17], off
	global_load_b32 v24, v[22:23], off
	s_cmp_eq_u64 s[0:1], 0
	s_add_nc_u64 s[28:29], s[0:1], -1
	s_cselect_b32 s1, -1, 0
	s_wait_xcnt 0x1
	v_add_nc_u64_e32 v[16:17], 4, v[16:17]
	s_wait_xcnt 0x0
	v_add_nc_u64_e32 v[22:23], 4, v[22:23]
	s_wait_loadcnt 0x0
	v_cmp_ne_u32_e32 vcc_lo, v19, v24
	v_cmp_eq_u32_e64 s0, v19, v24
	s_or_b32 s1, vcc_lo, s1
	s_delay_alu instid0(SALU_CYCLE_1) | instskip(NEXT) | instid1(SALU_CYCLE_1)
	s_and_b32 s1, exec_lo, s1
	s_or_b32 s6, s1, s6
	s_and_not1_b32 s27, s27, exec_lo
	s_and_b32 s30, s0, exec_lo
	s_mov_b64 s[0:1], s[28:29]
	s_or_b32 s27, s27, s30
	s_and_not1_b32 exec_lo, exec_lo, s6
	s_cbranch_execnz .LBB465_64
; %bb.65:
	s_or_b32 exec_lo, exec_lo, s6
	s_xor_b32 s0, s27, -1
.LBB465_66:
	s_delay_alu instid0(SALU_CYCLE_1)
	s_and_b32 s6, s0, exec_lo
.LBB465_67:
	s_or_b32 exec_lo, exec_lo, s26
	v_add_nc_u32_e32 v16, 3, v1
	s_mov_b32 s26, exec_lo
	s_delay_alu instid0(VALU_DEP_1)
	v_cmpx_gt_u32_e64 s23, v16
	s_cbranch_execz .LBB465_73
; %bb.68:
	v_cmp_ne_u32_e32 vcc_lo, 1, v27
	s_mov_b32 s0, 0
	s_cbranch_vccnz .LBB465_72
; %bb.69:
	v_mul_u64_e32 v[16:17], s[18:19], v[6:7]
	v_mul_u64_e32 v[22:23], s[18:19], v[8:9]
	s_add_nc_u64 s[0:1], s[18:19], -1
	s_mov_b32 s7, 0
                                        ; implicit-def: $sgpr27
	s_delay_alu instid0(VALU_DEP_2) | instskip(NEXT) | instid1(VALU_DEP_2)
	v_lshl_add_u64 v[16:17], v[16:17], 2, s[8:9]
	v_lshl_add_u64 v[22:23], v[22:23], 2, s[8:9]
.LBB465_70:                             ; =>This Inner Loop Header: Depth=1
	global_load_b32 v19, v[16:17], off
	global_load_b32 v24, v[22:23], off
	s_cmp_eq_u64 s[0:1], 0
	s_add_nc_u64 s[28:29], s[0:1], -1
	s_cselect_b32 s1, -1, 0
	s_wait_xcnt 0x1
	v_add_nc_u64_e32 v[16:17], 4, v[16:17]
	s_wait_xcnt 0x0
	v_add_nc_u64_e32 v[22:23], 4, v[22:23]
	s_wait_loadcnt 0x0
	v_cmp_ne_u32_e32 vcc_lo, v19, v24
	v_cmp_eq_u32_e64 s0, v19, v24
	s_or_b32 s1, vcc_lo, s1
	s_delay_alu instid0(SALU_CYCLE_1) | instskip(NEXT) | instid1(SALU_CYCLE_1)
	s_and_b32 s1, exec_lo, s1
	s_or_b32 s7, s1, s7
	s_and_not1_b32 s27, s27, exec_lo
	s_and_b32 s30, s0, exec_lo
	s_mov_b64 s[0:1], s[28:29]
	s_or_b32 s27, s27, s30
	s_and_not1_b32 exec_lo, exec_lo, s7
	s_cbranch_execnz .LBB465_70
; %bb.71:
	s_or_b32 exec_lo, exec_lo, s7
	s_xor_b32 s0, s27, -1
.LBB465_72:
	s_delay_alu instid0(SALU_CYCLE_1)
	s_and_b32 s7, s0, exec_lo
.LBB465_73:
	s_or_b32 exec_lo, exec_lo, s26
	v_add_nc_u32_e32 v16, 2, v1
	s_mov_b32 s26, 0
	s_mov_b32 s27, 0
	s_mov_b32 s28, exec_lo
	s_delay_alu instid0(VALU_DEP_1)
	v_cmpx_gt_u32_e64 s23, v16
	s_cbranch_execz .LBB465_79
; %bb.74:
	v_cmp_ne_u32_e32 vcc_lo, 1, v27
	s_mov_b32 s0, 0
	s_cbranch_vccnz .LBB465_78
; %bb.75:
	v_mul_u64_e32 v[16:17], s[18:19], v[12:13]
	v_mul_u64_e32 v[22:23], s[18:19], v[6:7]
	s_add_nc_u64 s[0:1], s[18:19], -1
                                        ; implicit-def: $sgpr29
	s_delay_alu instid0(VALU_DEP_2) | instskip(NEXT) | instid1(VALU_DEP_2)
	v_lshl_add_u64 v[16:17], v[16:17], 2, s[8:9]
	v_lshl_add_u64 v[22:23], v[22:23], 2, s[8:9]
.LBB465_76:                             ; =>This Inner Loop Header: Depth=1
	global_load_b32 v19, v[16:17], off
	global_load_b32 v24, v[22:23], off
	s_cmp_eq_u64 s[0:1], 0
	s_add_nc_u64 s[30:31], s[0:1], -1
	s_cselect_b32 s1, -1, 0
	s_wait_xcnt 0x1
	v_add_nc_u64_e32 v[16:17], 4, v[16:17]
	s_wait_xcnt 0x0
	v_add_nc_u64_e32 v[22:23], 4, v[22:23]
	s_wait_loadcnt 0x0
	v_cmp_ne_u32_e32 vcc_lo, v19, v24
	v_cmp_eq_u32_e64 s0, v19, v24
	s_or_b32 s1, vcc_lo, s1
	s_delay_alu instid0(SALU_CYCLE_1) | instskip(NEXT) | instid1(SALU_CYCLE_1)
	s_and_b32 s1, exec_lo, s1
	s_or_b32 s27, s1, s27
	s_and_not1_b32 s29, s29, exec_lo
	s_and_b32 s33, s0, exec_lo
	s_mov_b64 s[0:1], s[30:31]
	s_or_b32 s29, s29, s33
	s_and_not1_b32 exec_lo, exec_lo, s27
	s_cbranch_execnz .LBB465_76
; %bb.77:
	s_or_b32 exec_lo, exec_lo, s27
	s_xor_b32 s0, s29, -1
.LBB465_78:
	s_delay_alu instid0(SALU_CYCLE_1)
	s_and_b32 s27, s0, exec_lo
.LBB465_79:
	s_or_b32 exec_lo, exec_lo, s28
	v_add_nc_u32_e32 v16, 1, v1
	s_mov_b32 s28, exec_lo
	s_delay_alu instid0(VALU_DEP_1)
	v_cmpx_gt_u32_e64 s23, v16
	s_cbranch_execz .LBB465_85
; %bb.80:
	v_cmp_ne_u32_e32 vcc_lo, 1, v27
	s_mov_b32 s0, 0
	s_cbranch_vccnz .LBB465_84
; %bb.81:
	v_mul_u64_e32 v[16:17], s[18:19], v[10:11]
	v_mul_u64_e32 v[22:23], s[18:19], v[12:13]
	s_add_nc_u64 s[0:1], s[18:19], -1
	s_mov_b32 s26, 0
                                        ; implicit-def: $sgpr29
	s_delay_alu instid0(VALU_DEP_2) | instskip(NEXT) | instid1(VALU_DEP_2)
	v_lshl_add_u64 v[16:17], v[16:17], 2, s[8:9]
	v_lshl_add_u64 v[22:23], v[22:23], 2, s[8:9]
.LBB465_82:                             ; =>This Inner Loop Header: Depth=1
	global_load_b32 v19, v[16:17], off
	global_load_b32 v24, v[22:23], off
	s_cmp_eq_u64 s[0:1], 0
	s_add_nc_u64 s[30:31], s[0:1], -1
	s_cselect_b32 s1, -1, 0
	s_wait_xcnt 0x1
	v_add_nc_u64_e32 v[16:17], 4, v[16:17]
	s_wait_xcnt 0x0
	v_add_nc_u64_e32 v[22:23], 4, v[22:23]
	s_wait_loadcnt 0x0
	v_cmp_ne_u32_e32 vcc_lo, v19, v24
	v_cmp_eq_u32_e64 s0, v19, v24
	s_or_b32 s1, vcc_lo, s1
	s_delay_alu instid0(SALU_CYCLE_1) | instskip(NEXT) | instid1(SALU_CYCLE_1)
	s_and_b32 s1, exec_lo, s1
	s_or_b32 s26, s1, s26
	s_and_not1_b32 s29, s29, exec_lo
	s_and_b32 s33, s0, exec_lo
	s_mov_b64 s[0:1], s[30:31]
	s_or_b32 s29, s29, s33
	s_and_not1_b32 exec_lo, exec_lo, s26
	s_cbranch_execnz .LBB465_82
; %bb.83:
	s_or_b32 exec_lo, exec_lo, s26
	s_xor_b32 s0, s29, -1
.LBB465_84:
	s_delay_alu instid0(SALU_CYCLE_1)
	s_and_b32 s26, s0, exec_lo
.LBB465_85:
	s_or_b32 exec_lo, exec_lo, s28
	s_wait_loadcnt_dscnt 0x0
	s_barrier_signal -1
	s_barrier_wait -1
	s_and_saveexec_b32 s0, s3
; %bb.86:
	v_add_nc_u32_e32 v16, -8, v28
	ds_load_b64 v[20:21], v16
; %bb.87:
	s_or_b32 exec_lo, exec_lo, s0
	v_cndmask_b32_e64 v16, 0, 1, s7
	v_cndmask_b32_e64 v17, 0, 1, s27
	;; [unrolled: 1-line block ×3, first 2 shown]
	s_mov_b32 s0, 0
	s_mov_b32 s7, exec_lo
	v_lshlrev_b16 v16, 8, v16
	s_delay_alu instid0(VALU_DEP_2) | instskip(NEXT) | instid1(VALU_DEP_2)
	v_lshlrev_b16 v19, 8, v19
	v_or_b32_e32 v16, v17, v16
	s_delay_alu instid0(VALU_DEP_2) | instskip(NEXT) | instid1(VALU_DEP_2)
	v_and_b32_e32 v22, 0xffff, v19
	v_lshlrev_b32_e32 v23, 16, v16
	v_cmpx_gt_u32_e64 s23, v1
	s_cbranch_execz .LBB465_93
; %bb.88:
	v_cmp_ne_u32_e32 vcc_lo, 1, v27
	s_cbranch_vccnz .LBB465_92
; %bb.89:
	s_wait_dscnt 0x0
	v_mul_u64_e32 v[16:17], s[18:19], v[20:21]
	v_mul_u64_e32 v[20:21], s[18:19], v[10:11]
	s_add_nc_u64 s[0:1], s[18:19], -1
	s_mov_b32 s26, 0
                                        ; implicit-def: $sgpr27
	s_delay_alu instid0(VALU_DEP_2) | instskip(NEXT) | instid1(VALU_DEP_2)
	v_lshl_add_u64 v[16:17], v[16:17], 2, s[8:9]
	v_lshl_add_u64 v[20:21], v[20:21], 2, s[8:9]
.LBB465_90:                             ; =>This Inner Loop Header: Depth=1
	global_load_b32 v19, v[16:17], off
	global_load_b32 v24, v[20:21], off
	s_cmp_eq_u64 s[0:1], 0
	s_add_nc_u64 s[28:29], s[0:1], -1
	s_cselect_b32 s1, -1, 0
	s_wait_xcnt 0x1
	v_add_nc_u64_e32 v[16:17], 4, v[16:17]
	s_wait_xcnt 0x0
	v_add_nc_u64_e32 v[20:21], 4, v[20:21]
	s_wait_loadcnt 0x0
	v_cmp_ne_u32_e32 vcc_lo, v19, v24
	v_cmp_eq_u32_e64 s0, v19, v24
	s_or_b32 s1, vcc_lo, s1
	s_delay_alu instid0(SALU_CYCLE_1) | instskip(NEXT) | instid1(SALU_CYCLE_1)
	s_and_b32 s1, exec_lo, s1
	s_or_b32 s26, s1, s26
	s_and_not1_b32 s27, s27, exec_lo
	s_and_b32 s30, s0, exec_lo
	s_mov_b64 s[0:1], s[28:29]
	s_or_b32 s27, s27, s30
	s_and_not1_b32 exec_lo, exec_lo, s26
	s_cbranch_execnz .LBB465_90
; %bb.91:
	s_or_b32 exec_lo, exec_lo, s26
	s_xor_b32 s0, s27, -1
.LBB465_92:
	s_delay_alu instid0(SALU_CYCLE_1)
	s_and_b32 s0, s0, exec_lo
.LBB465_93:
	s_or_b32 exec_lo, exec_lo, s7
	v_cndmask_b32_e64 v17, 0, 1, s6
	v_cndmask_b32_e64 v30, 0, 1, s5
	;; [unrolled: 1-line block ×3, first 2 shown]
	v_or_b32_e32 v22, v22, v23
.LBB465_94:
	s_mov_b32 s6, -1
	s_cbranch_execnz .LBB465_39
.LBB465_95:
	v_cmp_gt_i64_e64 s7, s[18:19], 0
	v_mad_i32_i24 v26, 0xffffffd0, v0, v26
	s_and_b32 vcc_lo, exec_lo, s17
	ds_store_b64 v26, v[14:15]
	s_cbranch_vccz .LBB465_110
; %bb.96:
	s_and_not1_b32 vcc_lo, exec_lo, s7
	s_cbranch_vccnz .LBB465_111
; %bb.97:
	v_mul_u64_e32 v[16:17], s[18:19], v[4:5]
	s_wait_loadcnt_dscnt 0x1
	v_mul_u64_e32 v[20:21], s[18:19], v[14:15]
	s_add_nc_u64 s[4:5], s[18:19], -1
	s_mov_b32 s27, 0
	s_mov_b64 s[0:1], s[4:5]
                                        ; implicit-def: $sgpr26
	s_delay_alu instid0(VALU_DEP_2) | instskip(NEXT) | instid1(VALU_DEP_2)
	v_lshl_add_u64 v[16:17], v[16:17], 2, s[8:9]
	v_lshl_add_u64 v[20:21], v[20:21], 2, s[8:9]
	s_delay_alu instid0(VALU_DEP_2)
	v_mov_b64_e32 v[22:23], v[16:17]
.LBB465_98:                             ; =>This Inner Loop Header: Depth=1
	global_load_b32 v19, v[22:23], off
	global_load_b32 v24, v[20:21], off
	s_cmp_eq_u64 s[0:1], 0
	s_add_nc_u64 s[28:29], s[0:1], -1
	s_cselect_b32 s1, -1, 0
	s_wait_xcnt 0x1
	v_add_nc_u64_e32 v[22:23], 4, v[22:23]
	s_wait_xcnt 0x0
	v_add_nc_u64_e32 v[20:21], 4, v[20:21]
	s_wait_loadcnt 0x0
	v_cmp_ne_u32_e32 vcc_lo, v19, v24
	v_cmp_eq_u32_e64 s0, v19, v24
	s_or_b32 s1, vcc_lo, s1
	s_delay_alu instid0(SALU_CYCLE_1) | instskip(NEXT) | instid1(SALU_CYCLE_1)
	s_and_b32 s1, exec_lo, s1
	s_or_b32 s27, s1, s27
	s_and_not1_b32 s26, s26, exec_lo
	s_and_b32 s30, s0, exec_lo
	s_mov_b64 s[0:1], s[28:29]
	s_or_b32 s26, s26, s30
	s_and_not1_b32 exec_lo, exec_lo, s27
	s_cbranch_execnz .LBB465_98
; %bb.99:
	s_or_b32 exec_lo, exec_lo, s27
	v_mul_u64_e32 v[20:21], s[18:19], v[2:3]
	s_mov_b32 s28, 0
	s_mov_b64 s[0:1], s[4:5]
                                        ; implicit-def: $sgpr27
	s_delay_alu instid0(VALU_DEP_1) | instskip(NEXT) | instid1(VALU_DEP_1)
	v_lshl_add_u64 v[20:21], v[20:21], 2, s[8:9]
	v_mov_b64_e32 v[22:23], v[20:21]
.LBB465_100:                            ; =>This Inner Loop Header: Depth=1
	global_load_b32 v19, v[22:23], off
	global_load_b32 v24, v[16:17], off
	s_cmp_eq_u64 s[0:1], 0
	s_add_nc_u64 s[30:31], s[0:1], -1
	s_cselect_b32 s1, -1, 0
	s_wait_xcnt 0x1
	v_add_nc_u64_e32 v[22:23], 4, v[22:23]
	s_wait_xcnt 0x0
	v_add_nc_u64_e32 v[16:17], 4, v[16:17]
	s_wait_loadcnt 0x0
	v_cmp_ne_u32_e32 vcc_lo, v19, v24
	v_cmp_eq_u32_e64 s0, v19, v24
	s_or_b32 s1, vcc_lo, s1
	s_delay_alu instid0(SALU_CYCLE_1) | instskip(NEXT) | instid1(SALU_CYCLE_1)
	s_and_b32 s1, exec_lo, s1
	s_or_b32 s28, s1, s28
	s_and_not1_b32 s27, s27, exec_lo
	s_and_b32 s29, s0, exec_lo
	s_mov_b64 s[0:1], s[30:31]
	s_or_b32 s27, s27, s29
	s_and_not1_b32 exec_lo, exec_lo, s28
	s_cbranch_execnz .LBB465_100
; %bb.101:
	s_or_b32 exec_lo, exec_lo, s28
	v_mul_u64_e32 v[16:17], s[18:19], v[8:9]
	s_mov_b32 s29, 0
	s_mov_b64 s[0:1], s[4:5]
                                        ; implicit-def: $sgpr28
	s_delay_alu instid0(VALU_DEP_1) | instskip(NEXT) | instid1(VALU_DEP_1)
	v_lshl_add_u64 v[16:17], v[16:17], 2, s[8:9]
	v_mov_b64_e32 v[22:23], v[16:17]
.LBB465_102:                            ; =>This Inner Loop Header: Depth=1
	global_load_b32 v19, v[22:23], off
	global_load_b32 v24, v[20:21], off
	s_cmp_eq_u64 s[0:1], 0
	s_add_nc_u64 s[30:31], s[0:1], -1
	s_cselect_b32 s1, -1, 0
	s_wait_xcnt 0x1
	v_add_nc_u64_e32 v[22:23], 4, v[22:23]
	s_wait_xcnt 0x0
	v_add_nc_u64_e32 v[20:21], 4, v[20:21]
	s_wait_loadcnt 0x0
	v_cmp_ne_u32_e32 vcc_lo, v19, v24
	v_cmp_eq_u32_e64 s0, v19, v24
	s_or_b32 s1, vcc_lo, s1
	s_delay_alu instid0(SALU_CYCLE_1) | instskip(NEXT) | instid1(SALU_CYCLE_1)
	s_and_b32 s1, exec_lo, s1
	s_or_b32 s29, s1, s29
	s_and_not1_b32 s28, s28, exec_lo
	s_and_b32 s33, s0, exec_lo
	s_mov_b64 s[0:1], s[30:31]
	s_or_b32 s28, s28, s33
	s_and_not1_b32 exec_lo, exec_lo, s29
	s_cbranch_execnz .LBB465_102
; %bb.103:
	s_or_b32 exec_lo, exec_lo, s29
	v_mul_u64_e32 v[20:21], s[18:19], v[6:7]
	s_mov_b32 s30, 0
	s_mov_b64 s[0:1], s[4:5]
                                        ; implicit-def: $sgpr29
	s_delay_alu instid0(VALU_DEP_1) | instskip(NEXT) | instid1(VALU_DEP_1)
	v_lshl_add_u64 v[20:21], v[20:21], 2, s[8:9]
	v_mov_b64_e32 v[22:23], v[20:21]
.LBB465_104:                            ; =>This Inner Loop Header: Depth=1
	global_load_b32 v19, v[22:23], off
	global_load_b32 v24, v[16:17], off
	s_cmp_eq_u64 s[0:1], 0
	s_add_nc_u64 s[34:35], s[0:1], -1
	s_cselect_b32 s1, -1, 0
	s_wait_xcnt 0x1
	v_add_nc_u64_e32 v[22:23], 4, v[22:23]
	s_wait_xcnt 0x0
	v_add_nc_u64_e32 v[16:17], 4, v[16:17]
	s_wait_loadcnt 0x0
	v_cmp_ne_u32_e32 vcc_lo, v19, v24
	v_cmp_eq_u32_e64 s0, v19, v24
	s_or_b32 s1, vcc_lo, s1
	s_delay_alu instid0(SALU_CYCLE_1) | instskip(NEXT) | instid1(SALU_CYCLE_1)
	s_and_b32 s1, exec_lo, s1
	s_or_b32 s30, s1, s30
	s_and_not1_b32 s29, s29, exec_lo
	s_and_b32 s31, s0, exec_lo
	s_mov_b64 s[0:1], s[34:35]
	s_or_b32 s29, s29, s31
	s_and_not1_b32 exec_lo, exec_lo, s30
	s_cbranch_execnz .LBB465_104
; %bb.105:
	s_or_b32 exec_lo, exec_lo, s30
	v_mul_u64_e32 v[16:17], s[18:19], v[12:13]
	s_mov_b32 s31, 0
	s_mov_b64 s[0:1], s[4:5]
                                        ; implicit-def: $sgpr30
	s_delay_alu instid0(VALU_DEP_1) | instskip(NEXT) | instid1(VALU_DEP_1)
	v_lshl_add_u64 v[16:17], v[16:17], 2, s[8:9]
	v_mov_b64_e32 v[22:23], v[16:17]
.LBB465_106:                            ; =>This Inner Loop Header: Depth=1
	global_load_b32 v19, v[22:23], off
	global_load_b32 v24, v[20:21], off
	s_cmp_eq_u64 s[0:1], 0
	s_add_nc_u64 s[34:35], s[0:1], -1
	s_cselect_b32 s1, -1, 0
	s_wait_xcnt 0x1
	v_add_nc_u64_e32 v[22:23], 4, v[22:23]
	s_wait_xcnt 0x0
	v_add_nc_u64_e32 v[20:21], 4, v[20:21]
	s_wait_loadcnt 0x0
	v_cmp_ne_u32_e32 vcc_lo, v19, v24
	v_cmp_eq_u32_e64 s0, v19, v24
	s_or_b32 s1, vcc_lo, s1
	s_delay_alu instid0(SALU_CYCLE_1) | instskip(NEXT) | instid1(SALU_CYCLE_1)
	s_and_b32 s1, exec_lo, s1
	s_or_b32 s31, s1, s31
	s_and_not1_b32 s30, s30, exec_lo
	s_and_b32 s33, s0, exec_lo
	s_mov_b64 s[0:1], s[34:35]
	s_or_b32 s30, s30, s33
	s_and_not1_b32 exec_lo, exec_lo, s31
	s_cbranch_execnz .LBB465_106
; %bb.107:
	s_or_b32 exec_lo, exec_lo, s31
	v_mul_u64_e32 v[20:21], s[18:19], v[10:11]
	s_mov_b32 s31, 0
                                        ; implicit-def: $sgpr1
	s_delay_alu instid0(VALU_DEP_1)
	v_lshl_add_u64 v[20:21], v[20:21], 2, s[8:9]
.LBB465_108:                            ; =>This Inner Loop Header: Depth=1
	global_load_b32 v19, v[20:21], off
	global_load_b32 v22, v[16:17], off
	s_cmp_eq_u64 s[4:5], 0
	s_add_nc_u64 s[34:35], s[4:5], -1
	s_cselect_b32 s4, -1, 0
	s_wait_xcnt 0x1
	v_add_nc_u64_e32 v[20:21], 4, v[20:21]
	s_wait_xcnt 0x0
	v_add_nc_u64_e32 v[16:17], 4, v[16:17]
	s_wait_loadcnt 0x0
	v_cmp_ne_u32_e32 vcc_lo, v19, v22
	v_cmp_eq_u32_e64 s0, v19, v22
	s_or_b32 s4, vcc_lo, s4
	s_delay_alu instid0(SALU_CYCLE_1) | instskip(NEXT) | instid1(SALU_CYCLE_1)
	s_and_b32 s4, exec_lo, s4
	s_or_b32 s31, s4, s31
	s_and_not1_b32 s1, s1, exec_lo
	s_and_b32 s0, s0, exec_lo
	s_mov_b64 s[4:5], s[34:35]
	s_or_b32 s1, s1, s0
	s_and_not1_b32 exec_lo, exec_lo, s31
	s_cbranch_execnz .LBB465_108
; %bb.109:
	s_or_b32 exec_lo, exec_lo, s31
	s_xor_b32 s0, s29, -1
	s_delay_alu instid0(SALU_CYCLE_1) | instskip(SKIP_1) | instid1(SALU_CYCLE_1)
	v_cndmask_b32_e64 v16, 0, 1, s0
	s_xor_b32 s0, s30, -1
	v_cndmask_b32_e64 v17, 0, 1, s0
	s_xor_b32 s0, s27, -1
	s_delay_alu instid0(VALU_DEP_2) | instskip(SKIP_2) | instid1(SALU_CYCLE_1)
	v_lshlrev_b16 v16, 8, v16
	v_cndmask_b32_e64 v30, 0, 1, s0
	s_xor_b32 s0, s26, -1
	v_cndmask_b32_e64 v19, 0, 1, s0
	s_delay_alu instid0(VALU_DEP_3) | instskip(SKIP_1) | instid1(VALU_DEP_1)
	v_lshrrev_b32_e32 v16, 8, v16
	s_xor_b32 s0, s28, -1
	v_and_b32_e32 v16, 1, v16
	s_delay_alu instid0(VALU_DEP_1) | instskip(NEXT) | instid1(VALU_DEP_1)
	v_lshlrev_b16 v16, 8, v16
	v_or_b32_e32 v16, v17, v16
	v_cndmask_b32_e64 v17, 0, 1, s0
	s_xor_b32 s0, s1, -1
	s_delay_alu instid0(VALU_DEP_2)
	v_lshlrev_b32_e32 v16, 16, v16
	s_branch .LBB465_112
.LBB465_110:
                                        ; implicit-def: $sgpr0
                                        ; implicit-def: $vgpr19
                                        ; implicit-def: $vgpr30
                                        ; implicit-def: $vgpr17
                                        ; implicit-def: $vgpr22
                                        ; implicit-def: $vgpr32
                                        ; implicit-def: $vgpr31
                                        ; implicit-def: $vgpr20
	s_cbranch_execnz .LBB465_119
	s_branch .LBB465_164
.LBB465_111:
	v_dual_mov_b32 v16, 0 :: v_dual_mov_b32 v19, 0
	v_dual_mov_b32 v30, 0 :: v_dual_mov_b32 v17, 0
	s_mov_b32 s0, 0
.LBB465_112:
	s_wait_loadcnt_dscnt 0x1
	s_delay_alu instid0(VALU_DEP_1)
	v_dual_lshrrev_b32 v31, 16, v16 :: v_dual_lshrrev_b32 v20, 24, v16
	v_cndmask_b32_e64 v32, 0, 1, s0
	v_mov_b32_e32 v16, 1
	s_wait_dscnt 0x0
	s_barrier_signal -1
	s_barrier_wait -1
                                        ; implicit-def: $sgpr0
                                        ; implicit-def: $vgpr22
	s_and_saveexec_b32 s1, s3
	s_delay_alu instid0(SALU_CYCLE_1)
	s_xor_b32 s4, exec_lo, s1
	s_cbranch_execz .LBB465_118
; %bb.113:
	v_lshlrev_b16 v21, 8, v20
	v_lshlrev_b16 v22, 8, v32
	s_and_not1_b32 vcc_lo, exec_lo, s7
	s_mov_b32 s0, 0
	s_delay_alu instid0(VALU_DEP_2) | instskip(NEXT) | instid1(VALU_DEP_1)
	v_bitop3_b16 v21, v31, v21, 0xff bitop3:0xec
	v_dual_lshlrev_b32 v21, 16, v21 :: v_dual_bitop2_b32 v22, 1, v22 bitop3:0x54
	s_delay_alu instid0(VALU_DEP_1) | instskip(NEXT) | instid1(VALU_DEP_1)
	v_and_b32_e32 v22, 0xffff, v22
	v_or_b32_e32 v21, v22, v21
	s_cbranch_vccnz .LBB465_117
; %bb.114:
	v_add_nc_u32_e32 v22, -8, v26
	v_mul_u64_e32 v[24:25], s[18:19], v[10:11]
	s_add_nc_u64 s[0:1], s[18:19], -1
	s_mov_b32 s5, 0
                                        ; implicit-def: $sgpr26
	ds_load_b64 v[22:23], v22
	s_wait_dscnt 0x0
	v_mul_u64_e32 v[22:23], s[18:19], v[22:23]
	v_lshl_add_u64 v[24:25], v[24:25], 2, s[8:9]
	s_delay_alu instid0(VALU_DEP_2)
	v_lshl_add_u64 v[22:23], v[22:23], 2, s[8:9]
.LBB465_115:                            ; =>This Inner Loop Header: Depth=1
	global_load_b32 v27, v[22:23], off
	global_load_b32 v28, v[24:25], off
	s_cmp_eq_u64 s[0:1], 0
	s_add_nc_u64 s[28:29], s[0:1], -1
	s_cselect_b32 s1, -1, 0
	s_wait_xcnt 0x1
	v_add_nc_u64_e32 v[22:23], 4, v[22:23]
	s_wait_xcnt 0x0
	v_add_nc_u64_e32 v[24:25], 4, v[24:25]
	s_wait_loadcnt 0x0
	v_cmp_ne_u32_e32 vcc_lo, v27, v28
	v_cmp_eq_u32_e64 s0, v27, v28
	s_or_b32 s1, vcc_lo, s1
	s_delay_alu instid0(SALU_CYCLE_1) | instskip(NEXT) | instid1(SALU_CYCLE_1)
	s_and_b32 s1, exec_lo, s1
	s_or_b32 s5, s1, s5
	s_and_not1_b32 s26, s26, exec_lo
	s_and_b32 s27, s0, exec_lo
	s_mov_b64 s[0:1], s[28:29]
	s_or_b32 s26, s26, s27
	s_and_not1_b32 exec_lo, exec_lo, s5
	s_cbranch_execnz .LBB465_115
; %bb.116:
	s_or_b32 exec_lo, exec_lo, s5
	s_xor_b32 s0, s26, -1
.LBB465_117:
	s_delay_alu instid0(VALU_DEP_1)
	v_perm_b32 v22, v21, v21, 0x3020104
	s_or_b32 s6, s6, exec_lo
.LBB465_118:
	s_or_b32 exec_lo, exec_lo, s4
	s_branch .LBB465_164
.LBB465_119:
	v_add_nc_u32_e32 v16, 6, v1
	s_mov_b32 s5, 0
	s_mov_b32 s4, 0
	s_mov_b32 s26, exec_lo
	s_wait_xcnt 0x0
	v_cmpx_gt_u32_e64 s23, v16
	s_cbranch_execz .LBB465_125
; %bb.120:
	s_and_not1_b32 vcc_lo, exec_lo, s7
	s_mov_b32 s0, 0
	s_cbranch_vccnz .LBB465_124
; %bb.121:
	v_mul_u64_e32 v[16:17], s[18:19], v[4:5]
	s_wait_loadcnt_dscnt 0x1
	v_mul_u64_e32 v[20:21], s[18:19], v[14:15]
	s_add_nc_u64 s[0:1], s[18:19], -1
                                        ; implicit-def: $sgpr27
	s_delay_alu instid0(VALU_DEP_2) | instskip(NEXT) | instid1(VALU_DEP_2)
	v_lshl_add_u64 v[16:17], v[16:17], 2, s[8:9]
	v_lshl_add_u64 v[20:21], v[20:21], 2, s[8:9]
.LBB465_122:                            ; =>This Inner Loop Header: Depth=1
	global_load_b32 v19, v[16:17], off
	global_load_b32 v22, v[20:21], off
	s_cmp_eq_u64 s[0:1], 0
	s_add_nc_u64 s[28:29], s[0:1], -1
	s_cselect_b32 s1, -1, 0
	s_wait_xcnt 0x1
	v_add_nc_u64_e32 v[16:17], 4, v[16:17]
	s_wait_xcnt 0x0
	v_add_nc_u64_e32 v[20:21], 4, v[20:21]
	s_wait_loadcnt 0x0
	v_cmp_ne_u32_e32 vcc_lo, v19, v22
	v_cmp_eq_u32_e64 s0, v19, v22
	s_or_b32 s1, vcc_lo, s1
	s_delay_alu instid0(SALU_CYCLE_1) | instskip(NEXT) | instid1(SALU_CYCLE_1)
	s_and_b32 s1, exec_lo, s1
	s_or_b32 s4, s1, s4
	s_and_not1_b32 s27, s27, exec_lo
	s_and_b32 s30, s0, exec_lo
	s_mov_b64 s[0:1], s[28:29]
	s_or_b32 s27, s27, s30
	s_and_not1_b32 exec_lo, exec_lo, s4
	s_cbranch_execnz .LBB465_122
; %bb.123:
	s_or_b32 exec_lo, exec_lo, s4
	s_xor_b32 s0, s27, -1
.LBB465_124:
	s_delay_alu instid0(SALU_CYCLE_1)
	s_and_b32 s4, s0, exec_lo
.LBB465_125:
	s_or_b32 exec_lo, exec_lo, s26
	v_add_nc_u32_e32 v16, 5, v1
	s_mov_b32 s26, exec_lo
	s_delay_alu instid0(VALU_DEP_1)
	v_cmpx_gt_u32_e64 s23, v16
	s_cbranch_execz .LBB465_131
; %bb.126:
	s_and_not1_b32 vcc_lo, exec_lo, s7
	s_mov_b32 s0, 0
	s_cbranch_vccnz .LBB465_130
; %bb.127:
	v_mul_u64_e32 v[16:17], s[18:19], v[2:3]
	s_wait_loadcnt_dscnt 0x1
	v_mul_u64_e32 v[20:21], s[18:19], v[4:5]
	s_add_nc_u64 s[0:1], s[18:19], -1
	s_mov_b32 s5, 0
                                        ; implicit-def: $sgpr27
	s_delay_alu instid0(VALU_DEP_2) | instskip(NEXT) | instid1(VALU_DEP_2)
	v_lshl_add_u64 v[16:17], v[16:17], 2, s[8:9]
	v_lshl_add_u64 v[20:21], v[20:21], 2, s[8:9]
.LBB465_128:                            ; =>This Inner Loop Header: Depth=1
	global_load_b32 v19, v[16:17], off
	global_load_b32 v22, v[20:21], off
	s_cmp_eq_u64 s[0:1], 0
	s_add_nc_u64 s[28:29], s[0:1], -1
	s_cselect_b32 s1, -1, 0
	s_wait_xcnt 0x1
	v_add_nc_u64_e32 v[16:17], 4, v[16:17]
	s_wait_xcnt 0x0
	v_add_nc_u64_e32 v[20:21], 4, v[20:21]
	s_wait_loadcnt 0x0
	v_cmp_ne_u32_e32 vcc_lo, v19, v22
	v_cmp_eq_u32_e64 s0, v19, v22
	s_or_b32 s1, vcc_lo, s1
	s_delay_alu instid0(SALU_CYCLE_1) | instskip(NEXT) | instid1(SALU_CYCLE_1)
	s_and_b32 s1, exec_lo, s1
	s_or_b32 s5, s1, s5
	s_and_not1_b32 s27, s27, exec_lo
	s_and_b32 s30, s0, exec_lo
	s_mov_b64 s[0:1], s[28:29]
	s_or_b32 s27, s27, s30
	s_and_not1_b32 exec_lo, exec_lo, s5
	s_cbranch_execnz .LBB465_128
; %bb.129:
	s_or_b32 exec_lo, exec_lo, s5
	s_xor_b32 s0, s27, -1
.LBB465_130:
	s_delay_alu instid0(SALU_CYCLE_1)
	s_and_b32 s5, s0, exec_lo
.LBB465_131:
	s_or_b32 exec_lo, exec_lo, s26
	v_add_nc_u32_e32 v16, 4, v1
	s_mov_b32 s26, 0
	s_mov_b32 s27, 0
	s_mov_b32 s28, exec_lo
	s_delay_alu instid0(VALU_DEP_1)
	v_cmpx_gt_u32_e64 s23, v16
	s_cbranch_execz .LBB465_137
; %bb.132:
	s_and_not1_b32 vcc_lo, exec_lo, s7
	s_mov_b32 s0, 0
	s_cbranch_vccnz .LBB465_136
; %bb.133:
	v_mul_u64_e32 v[16:17], s[18:19], v[8:9]
	s_wait_loadcnt_dscnt 0x1
	v_mul_u64_e32 v[20:21], s[18:19], v[2:3]
	s_add_nc_u64 s[0:1], s[18:19], -1
                                        ; implicit-def: $sgpr29
	s_delay_alu instid0(VALU_DEP_2) | instskip(NEXT) | instid1(VALU_DEP_2)
	v_lshl_add_u64 v[16:17], v[16:17], 2, s[8:9]
	v_lshl_add_u64 v[20:21], v[20:21], 2, s[8:9]
.LBB465_134:                            ; =>This Inner Loop Header: Depth=1
	global_load_b32 v19, v[16:17], off
	global_load_b32 v22, v[20:21], off
	s_cmp_eq_u64 s[0:1], 0
	s_add_nc_u64 s[30:31], s[0:1], -1
	s_cselect_b32 s1, -1, 0
	s_wait_xcnt 0x1
	v_add_nc_u64_e32 v[16:17], 4, v[16:17]
	s_wait_xcnt 0x0
	v_add_nc_u64_e32 v[20:21], 4, v[20:21]
	s_wait_loadcnt 0x0
	v_cmp_ne_u32_e32 vcc_lo, v19, v22
	v_cmp_eq_u32_e64 s0, v19, v22
	s_or_b32 s1, vcc_lo, s1
	s_delay_alu instid0(SALU_CYCLE_1) | instskip(NEXT) | instid1(SALU_CYCLE_1)
	s_and_b32 s1, exec_lo, s1
	s_or_b32 s27, s1, s27
	s_and_not1_b32 s29, s29, exec_lo
	s_and_b32 s33, s0, exec_lo
	s_mov_b64 s[0:1], s[30:31]
	s_or_b32 s29, s29, s33
	s_and_not1_b32 exec_lo, exec_lo, s27
	s_cbranch_execnz .LBB465_134
; %bb.135:
	s_or_b32 exec_lo, exec_lo, s27
	s_xor_b32 s0, s29, -1
.LBB465_136:
	s_delay_alu instid0(SALU_CYCLE_1)
	s_and_b32 s27, s0, exec_lo
.LBB465_137:
	s_or_b32 exec_lo, exec_lo, s28
	v_add_nc_u32_e32 v16, 3, v1
	s_mov_b32 s28, exec_lo
	s_delay_alu instid0(VALU_DEP_1)
	v_cmpx_gt_u32_e64 s23, v16
	s_cbranch_execz .LBB465_143
; %bb.138:
	s_and_not1_b32 vcc_lo, exec_lo, s7
	s_mov_b32 s0, 0
	s_cbranch_vccnz .LBB465_142
; %bb.139:
	v_mul_u64_e32 v[16:17], s[18:19], v[6:7]
	s_wait_loadcnt_dscnt 0x1
	v_mul_u64_e32 v[20:21], s[18:19], v[8:9]
	s_add_nc_u64 s[0:1], s[18:19], -1
	s_mov_b32 s26, 0
                                        ; implicit-def: $sgpr29
	s_delay_alu instid0(VALU_DEP_2) | instskip(NEXT) | instid1(VALU_DEP_2)
	v_lshl_add_u64 v[16:17], v[16:17], 2, s[8:9]
	v_lshl_add_u64 v[20:21], v[20:21], 2, s[8:9]
.LBB465_140:                            ; =>This Inner Loop Header: Depth=1
	global_load_b32 v19, v[16:17], off
	global_load_b32 v22, v[20:21], off
	s_cmp_eq_u64 s[0:1], 0
	s_add_nc_u64 s[30:31], s[0:1], -1
	s_cselect_b32 s1, -1, 0
	s_wait_xcnt 0x1
	v_add_nc_u64_e32 v[16:17], 4, v[16:17]
	s_wait_xcnt 0x0
	v_add_nc_u64_e32 v[20:21], 4, v[20:21]
	s_wait_loadcnt 0x0
	v_cmp_ne_u32_e32 vcc_lo, v19, v22
	v_cmp_eq_u32_e64 s0, v19, v22
	s_or_b32 s1, vcc_lo, s1
	s_delay_alu instid0(SALU_CYCLE_1) | instskip(NEXT) | instid1(SALU_CYCLE_1)
	s_and_b32 s1, exec_lo, s1
	s_or_b32 s26, s1, s26
	s_and_not1_b32 s29, s29, exec_lo
	s_and_b32 s33, s0, exec_lo
	s_mov_b64 s[0:1], s[30:31]
	s_or_b32 s29, s29, s33
	s_and_not1_b32 exec_lo, exec_lo, s26
	s_cbranch_execnz .LBB465_140
; %bb.141:
	s_or_b32 exec_lo, exec_lo, s26
	s_xor_b32 s0, s29, -1
.LBB465_142:
	s_delay_alu instid0(SALU_CYCLE_1)
	s_and_b32 s26, s0, exec_lo
.LBB465_143:
	s_or_b32 exec_lo, exec_lo, s28
	v_add_nc_u32_e32 v16, 2, v1
	s_mov_b32 s28, 0
	s_mov_b32 s29, 0
	s_mov_b32 s30, exec_lo
	s_delay_alu instid0(VALU_DEP_1)
	v_cmpx_gt_u32_e64 s23, v16
	s_cbranch_execz .LBB465_149
; %bb.144:
	s_and_not1_b32 vcc_lo, exec_lo, s7
	s_mov_b32 s0, 0
	s_cbranch_vccnz .LBB465_148
; %bb.145:
	v_mul_u64_e32 v[16:17], s[18:19], v[12:13]
	s_wait_loadcnt_dscnt 0x1
	v_mul_u64_e32 v[20:21], s[18:19], v[6:7]
	s_add_nc_u64 s[0:1], s[18:19], -1
                                        ; implicit-def: $sgpr31
	s_delay_alu instid0(VALU_DEP_2) | instskip(NEXT) | instid1(VALU_DEP_2)
	v_lshl_add_u64 v[16:17], v[16:17], 2, s[8:9]
	v_lshl_add_u64 v[20:21], v[20:21], 2, s[8:9]
.LBB465_146:                            ; =>This Inner Loop Header: Depth=1
	global_load_b32 v19, v[16:17], off
	global_load_b32 v22, v[20:21], off
	s_cmp_eq_u64 s[0:1], 0
	s_add_nc_u64 s[34:35], s[0:1], -1
	s_cselect_b32 s1, -1, 0
	s_wait_xcnt 0x1
	v_add_nc_u64_e32 v[16:17], 4, v[16:17]
	s_wait_xcnt 0x0
	v_add_nc_u64_e32 v[20:21], 4, v[20:21]
	s_wait_loadcnt 0x0
	v_cmp_ne_u32_e32 vcc_lo, v19, v22
	v_cmp_eq_u32_e64 s0, v19, v22
	s_or_b32 s1, vcc_lo, s1
	s_delay_alu instid0(SALU_CYCLE_1) | instskip(NEXT) | instid1(SALU_CYCLE_1)
	s_and_b32 s1, exec_lo, s1
	s_or_b32 s29, s1, s29
	s_and_not1_b32 s31, s31, exec_lo
	s_and_b32 s33, s0, exec_lo
	s_mov_b64 s[0:1], s[34:35]
	s_or_b32 s31, s31, s33
	s_and_not1_b32 exec_lo, exec_lo, s29
	s_cbranch_execnz .LBB465_146
; %bb.147:
	s_or_b32 exec_lo, exec_lo, s29
	s_xor_b32 s0, s31, -1
.LBB465_148:
	s_delay_alu instid0(SALU_CYCLE_1)
	s_and_b32 s29, s0, exec_lo
.LBB465_149:
	s_or_b32 exec_lo, exec_lo, s30
	v_add_nc_u32_e32 v16, 1, v1
	s_mov_b32 s30, exec_lo
	s_delay_alu instid0(VALU_DEP_1)
	v_cmpx_gt_u32_e64 s23, v16
	s_cbranch_execz .LBB465_155
; %bb.150:
	s_and_not1_b32 vcc_lo, exec_lo, s7
	s_mov_b32 s0, 0
	s_cbranch_vccnz .LBB465_154
; %bb.151:
	v_mul_u64_e32 v[16:17], s[18:19], v[10:11]
	s_wait_loadcnt_dscnt 0x1
	v_mul_u64_e32 v[20:21], s[18:19], v[12:13]
	s_add_nc_u64 s[0:1], s[18:19], -1
	s_mov_b32 s28, 0
                                        ; implicit-def: $sgpr31
	s_delay_alu instid0(VALU_DEP_2) | instskip(NEXT) | instid1(VALU_DEP_2)
	v_lshl_add_u64 v[16:17], v[16:17], 2, s[8:9]
	v_lshl_add_u64 v[20:21], v[20:21], 2, s[8:9]
.LBB465_152:                            ; =>This Inner Loop Header: Depth=1
	global_load_b32 v19, v[16:17], off
	global_load_b32 v22, v[20:21], off
	s_cmp_eq_u64 s[0:1], 0
	s_add_nc_u64 s[34:35], s[0:1], -1
	s_cselect_b32 s1, -1, 0
	s_wait_xcnt 0x1
	v_add_nc_u64_e32 v[16:17], 4, v[16:17]
	s_wait_xcnt 0x0
	v_add_nc_u64_e32 v[20:21], 4, v[20:21]
	s_wait_loadcnt 0x0
	v_cmp_ne_u32_e32 vcc_lo, v19, v22
	v_cmp_eq_u32_e64 s0, v19, v22
	s_or_b32 s1, vcc_lo, s1
	s_delay_alu instid0(SALU_CYCLE_1) | instskip(NEXT) | instid1(SALU_CYCLE_1)
	s_and_b32 s1, exec_lo, s1
	s_or_b32 s28, s1, s28
	s_and_not1_b32 s31, s31, exec_lo
	s_and_b32 s33, s0, exec_lo
	s_mov_b64 s[0:1], s[34:35]
	s_or_b32 s31, s31, s33
	s_and_not1_b32 exec_lo, exec_lo, s28
	s_cbranch_execnz .LBB465_152
; %bb.153:
	s_or_b32 exec_lo, exec_lo, s28
	s_xor_b32 s0, s31, -1
.LBB465_154:
	s_delay_alu instid0(SALU_CYCLE_1)
	s_and_b32 s28, s0, exec_lo
.LBB465_155:
	s_or_b32 exec_lo, exec_lo, s30
	v_cndmask_b32_e64 v17, 0, 1, s27
	v_cndmask_b32_e64 v30, 0, 1, s5
	;; [unrolled: 1-line block ×4, first 2 shown]
	s_wait_loadcnt_dscnt 0x1
	v_cndmask_b32_e64 v20, 0, 1, s26
	v_cndmask_b32_e64 v32, 0, 1, s28
	v_mov_b32_e32 v16, 1
	s_wait_dscnt 0x0
	s_barrier_signal -1
	s_barrier_wait -1
                                        ; implicit-def: $sgpr0
                                        ; implicit-def: $vgpr22
	s_and_saveexec_b32 s4, s3
	s_cbranch_execz .LBB465_163
; %bb.156:
	v_lshlrev_b16 v21, 8, v32
	v_lshlrev_b16 v22, 8, v20
	s_mov_b32 s0, 0
	s_mov_b32 s3, exec_lo
	s_delay_alu instid0(VALU_DEP_1) | instskip(NEXT) | instid1(VALU_DEP_1)
	v_or_b32_e32 v22, v31, v22
	v_dual_lshlrev_b32 v22, 16, v22 :: v_dual_bitop2_b32 v21, 1, v21 bitop3:0x54
	s_delay_alu instid0(VALU_DEP_1) | instskip(NEXT) | instid1(VALU_DEP_1)
	v_and_b32_e32 v21, 0xffff, v21
	v_or_b32_e32 v21, v21, v22
	v_cmpx_gt_u32_e64 s23, v1
	s_cbranch_execz .LBB465_162
; %bb.157:
	s_and_not1_b32 vcc_lo, exec_lo, s7
	s_cbranch_vccnz .LBB465_161
; %bb.158:
	v_add_nc_u32_e32 v22, -8, v26
	v_mul_u64_e32 v[24:25], s[18:19], v[10:11]
	s_add_nc_u64 s[0:1], s[18:19], -1
	s_mov_b32 s5, 0
                                        ; implicit-def: $sgpr7
	ds_load_b64 v[22:23], v22
	s_wait_dscnt 0x0
	v_mul_u64_e32 v[22:23], s[18:19], v[22:23]
	v_lshl_add_u64 v[24:25], v[24:25], 2, s[8:9]
	s_delay_alu instid0(VALU_DEP_2)
	v_lshl_add_u64 v[22:23], v[22:23], 2, s[8:9]
.LBB465_159:                            ; =>This Inner Loop Header: Depth=1
	global_load_b32 v26, v[22:23], off
	global_load_b32 v27, v[24:25], off
	s_cmp_eq_u64 s[0:1], 0
	s_add_nc_u64 s[8:9], s[0:1], -1
	s_cselect_b32 s1, -1, 0
	s_wait_xcnt 0x1
	v_add_nc_u64_e32 v[22:23], 4, v[22:23]
	s_wait_xcnt 0x0
	v_add_nc_u64_e32 v[24:25], 4, v[24:25]
	s_wait_loadcnt 0x0
	v_cmp_ne_u32_e32 vcc_lo, v26, v27
	v_cmp_eq_u32_e64 s0, v26, v27
	s_or_b32 s1, vcc_lo, s1
	s_delay_alu instid0(SALU_CYCLE_1) | instskip(NEXT) | instid1(SALU_CYCLE_1)
	s_and_b32 s1, exec_lo, s1
	s_or_b32 s5, s1, s5
	s_and_not1_b32 s7, s7, exec_lo
	s_and_b32 s18, s0, exec_lo
	s_mov_b64 s[0:1], s[8:9]
	s_or_b32 s7, s7, s18
	s_and_not1_b32 exec_lo, exec_lo, s5
	s_cbranch_execnz .LBB465_159
; %bb.160:
	s_or_b32 exec_lo, exec_lo, s5
	s_xor_b32 s0, s7, -1
.LBB465_161:
	s_delay_alu instid0(SALU_CYCLE_1)
	s_and_b32 s0, s0, exec_lo
.LBB465_162:
	s_or_b32 exec_lo, exec_lo, s3
	s_delay_alu instid0(VALU_DEP_2)
	v_perm_b32 v22, v21, v21, 0x3020104
	s_or_b32 s6, s6, exec_lo
.LBB465_163:
	s_or_b32 exec_lo, exec_lo, s4
.LBB465_164:
	s_wait_xcnt 0x0
	s_and_saveexec_b32 s1, s6
	s_cbranch_execz .LBB465_166
; %bb.165:
	s_wait_loadcnt_dscnt 0x0
	v_dual_lshrrev_b32 v20, 24, v22 :: v_dual_lshrrev_b32 v31, 16, v22
	v_lshrrev_b32_e32 v32, 8, v22
	v_cndmask_b32_e64 v16, 0, 1, s0
.LBB465_166:
	s_or_b32 exec_lo, exec_lo, s1
	s_delay_alu instid0(SALU_CYCLE_1)
	s_and_not1_b32 vcc_lo, exec_lo, s24
	s_cbranch_vccnz .LBB465_170
; %bb.167:
	s_delay_alu instid0(VALU_DEP_1)
	v_perm_b32 v16, v16, v32, 0xc0c0004
	s_wait_loadcnt_dscnt 0x0
	v_perm_b32 v20, v31, v20, 0xc0c0004
	v_cmp_gt_u32_e32 vcc_lo, s23, v1
	v_and_b32_e32 v19, 0xff, v19
	v_perm_b32 v17, v17, v30, 0xc0c0004
	v_add_nc_u32_e32 v21, 1, v1
	v_lshl_or_b32 v16, v20, 16, v16
	s_delay_alu instid0(VALU_DEP_4) | instskip(NEXT) | instid1(VALU_DEP_2)
	v_dual_add_nc_u32 v22, 4, v1 :: v_dual_lshlrev_b32 v19, 16, v19
	v_cndmask_b32_e32 v20, 0, v16, vcc_lo
	s_delay_alu instid0(VALU_DEP_4) | instskip(SKIP_1) | instid1(VALU_DEP_3)
	v_cmp_gt_u32_e32 vcc_lo, s23, v21
	v_add_nc_u32_e32 v21, 2, v1
	v_and_b32_e32 v20, 0xff, v20
	s_delay_alu instid0(VALU_DEP_1) | instskip(NEXT) | instid1(VALU_DEP_3)
	v_cndmask_b32_e32 v20, v20, v16, vcc_lo
	v_cmp_gt_u32_e32 vcc_lo, s23, v21
	s_delay_alu instid0(VALU_DEP_2) | instskip(SKIP_2) | instid1(VALU_DEP_3)
	v_and_b32_e32 v20, 0xffff, v20
	v_or_b32_e32 v23, v17, v19
	v_bitop3_b32 v17, v17, 0xffff00, v19 bitop3:0xc8
	v_cndmask_b32_e32 v19, v20, v16, vcc_lo
	v_cmp_gt_u32_e32 vcc_lo, s23, v22
	v_add_nc_u32_e32 v20, 5, v1
	s_delay_alu instid0(VALU_DEP_3) | instskip(SKIP_1) | instid1(VALU_DEP_3)
	v_and_b32_e32 v19, 0xffffff, v19
	v_dual_add_nc_u32 v21, 3, v1 :: v_dual_cndmask_b32 v17, v17, v23, vcc_lo
	v_cmp_gt_u32_e64 s0, s23, v20
	s_delay_alu instid0(VALU_DEP_2) | instskip(NEXT) | instid1(VALU_DEP_3)
	v_cmp_gt_u32_e64 s1, s23, v21
	v_and_b32_e32 v17, 0xffff00ff, v17
	s_or_b32 vcc_lo, s0, vcc_lo
	s_delay_alu instid0(VALU_DEP_1) | instskip(SKIP_1) | instid1(VALU_DEP_1)
	v_dual_cndmask_b32 v19, v19, v16, s1 :: v_dual_cndmask_b32 v17, v17, v23, s0
	s_mov_b32 s0, exec_lo
	v_dual_cndmask_b32 v16, v19, v16 :: v_dual_add_nc_u32 v1, 6, v1
	s_delay_alu instid0(VALU_DEP_2) | instskip(NEXT) | instid1(VALU_DEP_2)
	v_dual_lshrrev_b32 v30, 8, v17 :: v_dual_lshrrev_b32 v19, 16, v17
	v_lshrrev_b32_e32 v32, 8, v16
	v_lshrrev_b64 v[20:21], 24, v[16:17]
	v_lshrrev_b32_e32 v31, 16, v16
	v_cmpx_le_u32_e64 s23, v1
; %bb.168:
	v_mov_b32_e32 v19, 0
; %bb.169:
	s_or_b32 exec_lo, exec_lo, s0
.LBB465_170:
	s_delay_alu instid0(VALU_DEP_1)
	v_and_b32_e32 v1, 0xff, v16
	s_wait_loadcnt_dscnt 0x0
	v_and_b32_e32 v21, 0xff, v32
	v_and_b32_e32 v33, 0xff, v31
	;; [unrolled: 1-line block ×4, first 2 shown]
	v_mbcnt_lo_u32_b32 v37, -1, 0
	v_and_b32_e32 v36, 0xff, v30
	v_add3_u32 v22, v21, v1, v33
	v_and_b32_e32 v23, 0xff, v19
	s_delay_alu instid0(VALU_DEP_4) | instskip(SKIP_1) | instid1(VALU_DEP_3)
	v_dual_lshrrev_b32 v38, 5, v0 :: v_dual_bitop2_b32 v24, 15, v37 bitop3:0x40
	s_and_b32 vcc_lo, exec_lo, s25
	v_add3_u32 v22, v22, v34, v35
	s_mov_b32 s7, -1
	s_delay_alu instid0(VALU_DEP_2) | instskip(SKIP_1) | instid1(VALU_DEP_3)
	v_cmp_eq_u32_e64 s0, 0, v24
	v_cmp_lt_u32_e64 s3, 1, v24
	v_add3_u32 v39, v22, v36, v23
	v_and_b32_e32 v22, 16, v37
	v_or_b32_e32 v23, 31, v0
	v_cmp_lt_u32_e64 s4, 3, v24
	v_cmp_lt_u32_e64 s1, 7, v24
	s_barrier_signal -1
	v_cmp_eq_u32_e64 s6, 0, v22
	v_cmp_eq_u32_e64 s5, v0, v23
	s_barrier_wait -1
                                        ; implicit-def: $vgpr25
                                        ; implicit-def: $vgpr26
                                        ; implicit-def: $vgpr27
                                        ; implicit-def: $vgpr28
                                        ; implicit-def: $vgpr29
                                        ; implicit-def: $vgpr40
                                        ; implicit-def: $vgpr41
                                        ; implicit-def: $vgpr24
                                        ; implicit-def: $vgpr22
	s_cbranch_vccz .LBB465_197
; %bb.171:
	v_mov_b32_dpp v22, v39 row_shr:1 row_mask:0xf bank_mask:0xf
	s_delay_alu instid0(VALU_DEP_1) | instskip(NEXT) | instid1(VALU_DEP_1)
	v_cndmask_b32_e64 v22, v22, 0, s0
	v_add_nc_u32_e32 v22, v22, v39
	s_delay_alu instid0(VALU_DEP_1) | instskip(NEXT) | instid1(VALU_DEP_1)
	v_mov_b32_dpp v23, v22 row_shr:2 row_mask:0xf bank_mask:0xf
	v_cndmask_b32_e64 v23, 0, v23, s3
	s_delay_alu instid0(VALU_DEP_1) | instskip(NEXT) | instid1(VALU_DEP_1)
	v_add_nc_u32_e32 v22, v22, v23
	v_mov_b32_dpp v23, v22 row_shr:4 row_mask:0xf bank_mask:0xf
	s_delay_alu instid0(VALU_DEP_1) | instskip(NEXT) | instid1(VALU_DEP_1)
	v_cndmask_b32_e64 v23, 0, v23, s4
	v_add_nc_u32_e32 v22, v22, v23
	s_delay_alu instid0(VALU_DEP_1) | instskip(NEXT) | instid1(VALU_DEP_1)
	v_mov_b32_dpp v23, v22 row_shr:8 row_mask:0xf bank_mask:0xf
	v_cndmask_b32_e64 v23, 0, v23, s1
	s_delay_alu instid0(VALU_DEP_1) | instskip(SKIP_3) | instid1(VALU_DEP_1)
	v_add_nc_u32_e32 v22, v22, v23
	ds_swizzle_b32 v23, v22 offset:swizzle(BROADCAST,32,15)
	s_wait_dscnt 0x0
	v_cndmask_b32_e64 v23, v23, 0, s6
	v_add_nc_u32_e32 v22, v22, v23
	s_and_saveexec_b32 s7, s5
; %bb.172:
	v_lshlrev_b32_e32 v23, 2, v38
	ds_store_b32 v23, v22
; %bb.173:
	s_or_b32 exec_lo, exec_lo, s7
	s_delay_alu instid0(SALU_CYCLE_1)
	s_mov_b32 s7, exec_lo
	s_wait_dscnt 0x0
	s_barrier_signal -1
	s_barrier_wait -1
	v_cmpx_gt_u32_e32 16, v0
	s_cbranch_execz .LBB465_175
; %bb.174:
	v_lshlrev_b32_e32 v23, 2, v0
	ds_load_b32 v24, v23
	s_wait_dscnt 0x0
	v_mov_b32_dpp v25, v24 row_shr:1 row_mask:0xf bank_mask:0xf
	s_delay_alu instid0(VALU_DEP_1) | instskip(NEXT) | instid1(VALU_DEP_1)
	v_cndmask_b32_e64 v25, v25, 0, s0
	v_add_nc_u32_e32 v24, v25, v24
	s_delay_alu instid0(VALU_DEP_1) | instskip(NEXT) | instid1(VALU_DEP_1)
	v_mov_b32_dpp v25, v24 row_shr:2 row_mask:0xf bank_mask:0xf
	v_cndmask_b32_e64 v25, 0, v25, s3
	s_delay_alu instid0(VALU_DEP_1) | instskip(NEXT) | instid1(VALU_DEP_1)
	v_add_nc_u32_e32 v24, v24, v25
	v_mov_b32_dpp v25, v24 row_shr:4 row_mask:0xf bank_mask:0xf
	s_delay_alu instid0(VALU_DEP_1) | instskip(NEXT) | instid1(VALU_DEP_1)
	v_cndmask_b32_e64 v25, 0, v25, s4
	v_add_nc_u32_e32 v24, v24, v25
	s_delay_alu instid0(VALU_DEP_1) | instskip(NEXT) | instid1(VALU_DEP_1)
	v_mov_b32_dpp v25, v24 row_shr:8 row_mask:0xf bank_mask:0xf
	v_cndmask_b32_e64 v25, 0, v25, s1
	s_delay_alu instid0(VALU_DEP_1)
	v_add_nc_u32_e32 v24, v24, v25
	ds_store_b32 v23, v24
.LBB465_175:
	s_or_b32 exec_lo, exec_lo, s7
	s_delay_alu instid0(SALU_CYCLE_1)
	s_mov_b32 s8, exec_lo
	v_cmp_gt_u32_e32 vcc_lo, 32, v0
	s_wait_dscnt 0x0
	s_barrier_signal -1
	s_barrier_wait -1
                                        ; implicit-def: $vgpr40
	v_cmpx_lt_u32_e32 31, v0
	s_cbranch_execz .LBB465_177
; %bb.176:
	v_lshl_add_u32 v23, v38, 2, -4
	ds_load_b32 v40, v23
	s_wait_dscnt 0x0
	v_add_nc_u32_e32 v22, v40, v22
.LBB465_177:
	s_or_b32 exec_lo, exec_lo, s8
	v_sub_co_u32 v23, s7, v37, 1
	s_delay_alu instid0(VALU_DEP_1) | instskip(NEXT) | instid1(VALU_DEP_1)
	v_cmp_gt_i32_e64 s8, 0, v23
	v_cndmask_b32_e64 v23, v23, v37, s8
	s_delay_alu instid0(VALU_DEP_1)
	v_lshlrev_b32_e32 v23, 2, v23
	ds_bpermute_b32 v41, v23, v22
	s_and_saveexec_b32 s8, vcc_lo
	s_cbranch_execz .LBB465_196
; %bb.178:
	v_mov_b32_e32 v29, 0
	ds_load_b32 v22, v29 offset:60
	s_and_saveexec_b32 s9, s7
	s_cbranch_execz .LBB465_180
; %bb.179:
	s_add_co_i32 s18, s22, 32
	s_delay_alu instid0(SALU_CYCLE_1)
	v_dual_mov_b32 v23, 1 :: v_dual_mov_b32 v24, s18
	s_wait_dscnt 0x0
	global_store_b64 v24, v[22:23], s[10:11] scale_offset scope:SCOPE_DEV
.LBB465_180:
	s_wait_xcnt 0x0
	s_or_b32 exec_lo, exec_lo, s9
	v_xad_u32 v24, v37, -1, s22
	s_mov_b32 s18, 0
	s_mov_b32 s9, exec_lo
	s_delay_alu instid0(VALU_DEP_1) | instskip(SKIP_4) | instid1(VALU_DEP_1)
	v_add_nc_u32_e32 v28, 32, v24
	global_load_b64 v[26:27], v28, s[10:11] scale_offset scope:SCOPE_DEV
	s_wait_loadcnt 0x0
	v_and_b32_e32 v23, 0xff, v27
	s_wait_xcnt 0x0
	v_cmpx_eq_u16_e32 0, v23
	s_cbranch_execz .LBB465_184
; %bb.181:
	v_lshl_add_u64 v[28:29], v[28:29], 3, s[10:11]
.LBB465_182:                            ; =>This Inner Loop Header: Depth=1
	global_load_b64 v[26:27], v[28:29], off scope:SCOPE_DEV
	s_wait_loadcnt 0x0
	v_and_b32_e32 v23, 0xff, v27
	s_delay_alu instid0(VALU_DEP_1)
	v_cmp_ne_u16_e32 vcc_lo, 0, v23
	s_or_b32 s18, vcc_lo, s18
	s_wait_xcnt 0x0
	s_and_not1_b32 exec_lo, exec_lo, s18
	s_cbranch_execnz .LBB465_182
; %bb.183:
	s_or_b32 exec_lo, exec_lo, s18
.LBB465_184:
	s_delay_alu instid0(SALU_CYCLE_1)
	s_or_b32 exec_lo, exec_lo, s9
	v_cmp_ne_u32_e32 vcc_lo, 31, v37
	v_lshlrev_b32_e64 v43, v37, -1
	v_lshl_or_b32 v50, v37, 2, 64
	v_dual_add_nc_u32 v45, 2, v37 :: v_dual_add_nc_u32 v47, 4, v37
	v_add_co_ci_u32_e64 v23, null, 0, v37, vcc_lo
	v_dual_add_nc_u32 v49, 8, v37 :: v_dual_add_nc_u32 v51, 16, v37
	s_delay_alu instid0(VALU_DEP_2)
	v_lshlrev_b32_e32 v42, 2, v23
	v_and_b32_e32 v23, 0xff, v27
	ds_bpermute_b32 v25, v42, v26
	v_cmp_eq_u16_e32 vcc_lo, 2, v23
	v_and_or_b32 v23, vcc_lo, v43, 0x80000000
	v_cmp_gt_u32_e32 vcc_lo, 30, v37
	s_delay_alu instid0(VALU_DEP_2) | instskip(SKIP_1) | instid1(VALU_DEP_2)
	v_ctz_i32_b32_e32 v23, v23
	v_cndmask_b32_e64 v28, 0, 2, vcc_lo
	v_cmp_lt_u32_e32 vcc_lo, v37, v23
	s_delay_alu instid0(VALU_DEP_2) | instskip(SKIP_3) | instid1(VALU_DEP_2)
	v_add_lshl_u32 v44, v28, v37, 2
	s_wait_dscnt 0x0
	v_cndmask_b32_e32 v25, 0, v25, vcc_lo
	v_cmp_gt_u32_e32 vcc_lo, 28, v37
	v_add_nc_u32_e32 v25, v25, v26
	v_cndmask_b32_e64 v28, 0, 4, vcc_lo
	v_cmp_le_u32_e32 vcc_lo, v45, v23
	ds_bpermute_b32 v26, v44, v25
	v_add_lshl_u32 v46, v28, v37, 2
	s_wait_dscnt 0x0
	v_cndmask_b32_e32 v26, 0, v26, vcc_lo
	v_cmp_gt_u32_e32 vcc_lo, 24, v37
	v_cndmask_b32_e64 v28, 0, 8, vcc_lo
	v_cmp_le_u32_e32 vcc_lo, v47, v23
	s_delay_alu instid0(VALU_DEP_4) | instskip(NEXT) | instid1(VALU_DEP_3)
	v_add_nc_u32_e32 v25, v25, v26
	v_add_lshl_u32 v48, v28, v37, 2
	ds_bpermute_b32 v26, v46, v25
	s_wait_dscnt 0x0
	v_cndmask_b32_e32 v26, 0, v26, vcc_lo
	v_cmp_le_u32_e32 vcc_lo, v49, v23
	s_delay_alu instid0(VALU_DEP_2) | instskip(SKIP_4) | instid1(VALU_DEP_2)
	v_add_nc_u32_e32 v25, v25, v26
	ds_bpermute_b32 v26, v48, v25
	s_wait_dscnt 0x0
	v_cndmask_b32_e32 v26, 0, v26, vcc_lo
	v_cmp_le_u32_e32 vcc_lo, v51, v23
	v_add_nc_u32_e32 v25, v25, v26
	ds_bpermute_b32 v26, v50, v25
	s_wait_dscnt 0x0
	v_cndmask_b32_e32 v23, 0, v26, vcc_lo
	s_delay_alu instid0(VALU_DEP_1)
	v_dual_mov_b32 v25, 0 :: v_dual_add_nc_u32 v26, v25, v23
	s_branch .LBB465_187
.LBB465_185:                            ;   in Loop: Header=BB465_187 Depth=1
	s_or_b32 exec_lo, exec_lo, s9
	v_and_b32_e32 v28, 0xff, v27
	ds_bpermute_b32 v29, v42, v26
	v_subrev_nc_u32_e32 v24, 32, v24
	s_mov_b32 s9, 0
	v_cmp_eq_u16_e32 vcc_lo, 2, v28
	v_and_or_b32 v28, vcc_lo, v43, 0x80000000
	s_delay_alu instid0(VALU_DEP_1) | instskip(NEXT) | instid1(VALU_DEP_1)
	v_ctz_i32_b32_e32 v28, v28
	v_cmp_lt_u32_e32 vcc_lo, v37, v28
	s_wait_dscnt 0x0
	v_cndmask_b32_e32 v29, 0, v29, vcc_lo
	v_cmp_le_u32_e32 vcc_lo, v45, v28
	s_delay_alu instid0(VALU_DEP_2) | instskip(SKIP_4) | instid1(VALU_DEP_2)
	v_add_nc_u32_e32 v26, v29, v26
	ds_bpermute_b32 v29, v44, v26
	s_wait_dscnt 0x0
	v_cndmask_b32_e32 v29, 0, v29, vcc_lo
	v_cmp_le_u32_e32 vcc_lo, v47, v28
	v_add_nc_u32_e32 v26, v26, v29
	ds_bpermute_b32 v29, v46, v26
	s_wait_dscnt 0x0
	v_cndmask_b32_e32 v29, 0, v29, vcc_lo
	v_cmp_le_u32_e32 vcc_lo, v49, v28
	s_delay_alu instid0(VALU_DEP_2) | instskip(SKIP_4) | instid1(VALU_DEP_2)
	v_add_nc_u32_e32 v26, v26, v29
	ds_bpermute_b32 v29, v48, v26
	s_wait_dscnt 0x0
	v_cndmask_b32_e32 v29, 0, v29, vcc_lo
	v_cmp_le_u32_e32 vcc_lo, v51, v28
	v_add_nc_u32_e32 v26, v26, v29
	ds_bpermute_b32 v29, v50, v26
	s_wait_dscnt 0x0
	v_cndmask_b32_e32 v28, 0, v29, vcc_lo
	s_delay_alu instid0(VALU_DEP_1)
	v_add3_u32 v26, v28, v23, v26
.LBB465_186:                            ;   in Loop: Header=BB465_187 Depth=1
	s_and_b32 vcc_lo, exec_lo, s9
	s_cbranch_vccnz .LBB465_192
.LBB465_187:                            ; =>This Loop Header: Depth=1
                                        ;     Child Loop BB465_190 Depth 2
	v_and_b32_e32 v23, 0xff, v27
	s_mov_b32 s9, -1
                                        ; implicit-def: $vgpr27
	s_delay_alu instid0(VALU_DEP_1)
	v_cmp_ne_u16_e32 vcc_lo, 2, v23
	v_mov_b32_e32 v23, v26
                                        ; implicit-def: $vgpr26
	s_cmp_lg_u32 vcc_lo, exec_lo
	s_cbranch_scc1 .LBB465_186
; %bb.188:                              ;   in Loop: Header=BB465_187 Depth=1
	global_load_b64 v[26:27], v24, s[10:11] scale_offset scope:SCOPE_DEV
	s_mov_b32 s9, exec_lo
	s_wait_loadcnt 0x0
	v_and_b32_e32 v28, 0xff, v27
	s_wait_xcnt 0x0
	s_delay_alu instid0(VALU_DEP_1)
	v_cmpx_eq_u16_e32 0, v28
	s_cbranch_execz .LBB465_185
; %bb.189:                              ;   in Loop: Header=BB465_187 Depth=1
	v_lshl_add_u64 v[28:29], v[24:25], 3, s[10:11]
	s_mov_b32 s18, 0
.LBB465_190:                            ;   Parent Loop BB465_187 Depth=1
                                        ; =>  This Inner Loop Header: Depth=2
	global_load_b64 v[26:27], v[28:29], off scope:SCOPE_DEV
	s_wait_loadcnt 0x0
	v_and_b32_e32 v52, 0xff, v27
	s_delay_alu instid0(VALU_DEP_1)
	v_cmp_ne_u16_e32 vcc_lo, 0, v52
	s_or_b32 s18, vcc_lo, s18
	s_wait_xcnt 0x0
	s_and_not1_b32 exec_lo, exec_lo, s18
	s_cbranch_execnz .LBB465_190
; %bb.191:                              ;   in Loop: Header=BB465_187 Depth=1
	s_or_b32 exec_lo, exec_lo, s18
	s_branch .LBB465_185
.LBB465_192:
	s_and_saveexec_b32 s9, s7
	s_cbranch_execz .LBB465_194
; %bb.193:
	s_add_co_i32 s18, s22, 32
	v_dual_mov_b32 v25, 2 :: v_dual_add_nc_u32 v24, v23, v22
	v_dual_mov_b32 v26, s18 :: v_dual_mov_b32 v27, 0
	global_store_b64 v26, v[24:25], s[10:11] scale_offset scope:SCOPE_DEV
	ds_store_b64 v27, v[22:23] offset:28672
.LBB465_194:
	s_wait_xcnt 0x0
	s_or_b32 exec_lo, exec_lo, s9
	s_delay_alu instid0(SALU_CYCLE_1)
	s_and_b32 exec_lo, exec_lo, s2
; %bb.195:
	v_mov_b32_e32 v22, 0
	ds_store_b32 v22, v23 offset:60
.LBB465_196:
	s_or_b32 exec_lo, exec_lo, s8
	s_wait_dscnt 0x0
	v_dual_mov_b32 v22, 0 :: v_dual_cndmask_b32 v24, v41, v40, s7
	s_wait_storecnt 0x0
	s_barrier_signal -1
	s_barrier_wait -1
	ds_load_b32 v23, v22 offset:60
	v_cndmask_b32_e64 v24, v24, 0, s2
	s_wait_dscnt 0x0
	s_barrier_signal -1
	s_barrier_wait -1
	s_mov_b32 s7, 0
	v_add_nc_u32_e32 v41, v23, v24
	ds_load_b64 v[22:23], v22 offset:28672
	v_add_nc_u32_e32 v40, v41, v1
	s_delay_alu instid0(VALU_DEP_1) | instskip(NEXT) | instid1(VALU_DEP_1)
	v_add_nc_u32_e32 v29, v40, v21
	v_add_nc_u32_e32 v28, v29, v33
	s_wait_dscnt 0x0
	s_delay_alu instid0(VALU_DEP_1) | instskip(NEXT) | instid1(VALU_DEP_1)
	v_dual_mov_b32 v24, v23 :: v_dual_add_nc_u32 v27, v28, v34
	v_add_nc_u32_e32 v26, v27, v35
	s_delay_alu instid0(VALU_DEP_1)
	v_add_nc_u32_e32 v25, v26, v36
.LBB465_197:
	s_and_b32 vcc_lo, exec_lo, s7
	s_cbranch_vccz .LBB465_207
; %bb.198:
	v_mov_b32_dpp v22, v39 row_shr:1 row_mask:0xf bank_mask:0xf
	s_delay_alu instid0(VALU_DEP_1) | instskip(NEXT) | instid1(VALU_DEP_1)
	v_cndmask_b32_e64 v22, v22, 0, s0
	v_add_nc_u32_e32 v22, v22, v39
	s_delay_alu instid0(VALU_DEP_1) | instskip(NEXT) | instid1(VALU_DEP_1)
	v_mov_b32_dpp v23, v22 row_shr:2 row_mask:0xf bank_mask:0xf
	v_cndmask_b32_e64 v23, 0, v23, s3
	s_delay_alu instid0(VALU_DEP_1) | instskip(NEXT) | instid1(VALU_DEP_1)
	v_add_nc_u32_e32 v22, v22, v23
	v_mov_b32_dpp v23, v22 row_shr:4 row_mask:0xf bank_mask:0xf
	s_delay_alu instid0(VALU_DEP_1) | instskip(NEXT) | instid1(VALU_DEP_1)
	v_cndmask_b32_e64 v23, 0, v23, s4
	v_add_nc_u32_e32 v22, v22, v23
	s_delay_alu instid0(VALU_DEP_1) | instskip(NEXT) | instid1(VALU_DEP_1)
	v_mov_b32_dpp v23, v22 row_shr:8 row_mask:0xf bank_mask:0xf
	v_cndmask_b32_e64 v23, 0, v23, s1
	s_delay_alu instid0(VALU_DEP_1) | instskip(SKIP_3) | instid1(VALU_DEP_1)
	v_add_nc_u32_e32 v22, v22, v23
	ds_swizzle_b32 v23, v22 offset:swizzle(BROADCAST,32,15)
	s_wait_dscnt 0x0
	v_cndmask_b32_e64 v23, v23, 0, s6
	v_add_nc_u32_e32 v22, v22, v23
	s_and_saveexec_b32 s6, s5
; %bb.199:
	v_lshlrev_b32_e32 v23, 2, v38
	ds_store_b32 v23, v22
; %bb.200:
	s_or_b32 exec_lo, exec_lo, s6
	s_delay_alu instid0(SALU_CYCLE_1)
	s_mov_b32 s5, exec_lo
	s_wait_dscnt 0x0
	s_barrier_signal -1
	s_barrier_wait -1
	v_cmpx_gt_u32_e32 16, v0
	s_cbranch_execz .LBB465_202
; %bb.201:
	v_lshlrev_b32_e32 v23, 2, v0
	ds_load_b32 v24, v23
	s_wait_dscnt 0x0
	v_mov_b32_dpp v25, v24 row_shr:1 row_mask:0xf bank_mask:0xf
	s_delay_alu instid0(VALU_DEP_1) | instskip(NEXT) | instid1(VALU_DEP_1)
	v_cndmask_b32_e64 v25, v25, 0, s0
	v_add_nc_u32_e32 v24, v25, v24
	s_delay_alu instid0(VALU_DEP_1) | instskip(NEXT) | instid1(VALU_DEP_1)
	v_mov_b32_dpp v25, v24 row_shr:2 row_mask:0xf bank_mask:0xf
	v_cndmask_b32_e64 v25, 0, v25, s3
	s_delay_alu instid0(VALU_DEP_1) | instskip(NEXT) | instid1(VALU_DEP_1)
	v_add_nc_u32_e32 v24, v24, v25
	v_mov_b32_dpp v25, v24 row_shr:4 row_mask:0xf bank_mask:0xf
	s_delay_alu instid0(VALU_DEP_1) | instskip(NEXT) | instid1(VALU_DEP_1)
	v_cndmask_b32_e64 v25, 0, v25, s4
	v_add_nc_u32_e32 v24, v24, v25
	s_delay_alu instid0(VALU_DEP_1) | instskip(NEXT) | instid1(VALU_DEP_1)
	v_mov_b32_dpp v25, v24 row_shr:8 row_mask:0xf bank_mask:0xf
	v_cndmask_b32_e64 v25, 0, v25, s1
	s_delay_alu instid0(VALU_DEP_1)
	v_add_nc_u32_e32 v24, v24, v25
	ds_store_b32 v23, v24
.LBB465_202:
	s_or_b32 exec_lo, exec_lo, s5
	v_dual_mov_b32 v23, 0 :: v_dual_mov_b32 v24, 0
	s_mov_b32 s0, exec_lo
	s_wait_dscnt 0x0
	s_barrier_signal -1
	s_barrier_wait -1
	v_cmpx_lt_u32_e32 31, v0
; %bb.203:
	v_lshl_add_u32 v24, v38, 2, -4
	ds_load_b32 v24, v24
; %bb.204:
	s_or_b32 exec_lo, exec_lo, s0
	v_sub_co_u32 v25, vcc_lo, v37, 1
	s_wait_dscnt 0x0
	v_add_nc_u32_e32 v22, v24, v22
	s_delay_alu instid0(VALU_DEP_2) | instskip(NEXT) | instid1(VALU_DEP_1)
	v_cmp_gt_i32_e64 s0, 0, v25
	v_cndmask_b32_e64 v25, v25, v37, s0
	s_delay_alu instid0(VALU_DEP_1)
	v_lshlrev_b32_e32 v25, 2, v25
	ds_bpermute_b32 v25, v25, v22
	ds_load_b32 v22, v23 offset:60
	s_and_saveexec_b32 s0, s2
	s_cbranch_execz .LBB465_206
; %bb.205:
	v_dual_mov_b32 v26, 0 :: v_dual_mov_b32 v23, 2
	s_wait_dscnt 0x0
	global_store_b64 v26, v[22:23], s[10:11] offset:256 scope:SCOPE_DEV
.LBB465_206:
	s_wait_xcnt 0x0
	s_or_b32 exec_lo, exec_lo, s0
	s_wait_dscnt 0x1
	v_cndmask_b32_e32 v23, v25, v24, vcc_lo
	s_wait_storecnt_dscnt 0x0
	s_barrier_signal -1
	s_barrier_wait -1
	s_delay_alu instid0(VALU_DEP_1) | instskip(NEXT) | instid1(VALU_DEP_1)
	v_cndmask_b32_e64 v41, v23, 0, s2
	v_dual_mov_b32 v24, 0 :: v_dual_add_nc_u32 v40, v41, v1
	s_delay_alu instid0(VALU_DEP_1) | instskip(NEXT) | instid1(VALU_DEP_1)
	v_add_nc_u32_e32 v29, v40, v21
	v_add_nc_u32_e32 v28, v29, v33
	s_delay_alu instid0(VALU_DEP_1) | instskip(NEXT) | instid1(VALU_DEP_1)
	v_add_nc_u32_e32 v27, v28, v34
	v_add_nc_u32_e32 v26, v27, v35
	s_delay_alu instid0(VALU_DEP_1)
	v_add_nc_u32_e32 v25, v26, v36
.LBB465_207:
	v_and_b32_e32 v1, 1, v16
	v_cmp_gt_u32_e32 vcc_lo, 0x201, v22
	s_mov_b32 s1, -1
	s_delay_alu instid0(VALU_DEP_2)
	v_cmp_eq_u32_e64 s0, 1, v1
	s_cbranch_vccnz .LBB465_211
; %bb.208:
	s_and_b32 vcc_lo, exec_lo, s1
	s_cbranch_vccnz .LBB465_226
.LBB465_209:
	s_and_b32 s0, s2, s16
	s_delay_alu instid0(SALU_CYCLE_1)
	s_and_saveexec_b32 s1, s0
	s_cbranch_execnz .LBB465_243
.LBB465_210:
	s_endpgm
.LBB465_211:
	v_add_nc_u32_e32 v16, v24, v22
	s_delay_alu instid0(VALU_DEP_1) | instskip(SKIP_1) | instid1(SALU_CYCLE_1)
	v_cmp_lt_u32_e32 vcc_lo, v41, v16
	s_or_b32 s1, s17, vcc_lo
	s_and_b32 s1, s1, s0
	s_delay_alu instid0(SALU_CYCLE_1)
	s_and_saveexec_b32 s0, s1
	s_cbranch_execz .LBB465_213
; %bb.212:
	s_lshl_b64 s[4:5], s[14:15], 3
	s_delay_alu instid0(SALU_CYCLE_1)
	s_add_nc_u64 s[4:5], s[20:21], s[4:5]
	global_store_b64 v41, v[10:11], s[4:5] scale_offset
.LBB465_213:
	s_wait_xcnt 0x0
	s_or_b32 exec_lo, exec_lo, s0
	v_and_b32_e32 v21, 1, v32
	v_cmp_lt_u32_e32 vcc_lo, v40, v16
	s_delay_alu instid0(VALU_DEP_2) | instskip(SKIP_1) | instid1(SALU_CYCLE_1)
	v_cmp_eq_u32_e64 s0, 1, v21
	s_or_b32 s1, s17, vcc_lo
	s_and_b32 s1, s1, s0
	s_delay_alu instid0(SALU_CYCLE_1)
	s_and_saveexec_b32 s0, s1
	s_cbranch_execz .LBB465_215
; %bb.214:
	s_lshl_b64 s[4:5], s[14:15], 3
	s_delay_alu instid0(SALU_CYCLE_1)
	s_add_nc_u64 s[4:5], s[20:21], s[4:5]
	global_store_b64 v40, v[12:13], s[4:5] scale_offset
.LBB465_215:
	s_wait_xcnt 0x0
	s_or_b32 exec_lo, exec_lo, s0
	v_and_b32_e32 v21, 1, v31
	v_cmp_lt_u32_e32 vcc_lo, v29, v16
	s_delay_alu instid0(VALU_DEP_2) | instskip(SKIP_1) | instid1(SALU_CYCLE_1)
	v_cmp_eq_u32_e64 s0, 1, v21
	;; [unrolled: 17-line block ×6, first 2 shown]
	s_or_b32 s1, s17, vcc_lo
	s_and_b32 s1, s1, s0
	s_delay_alu instid0(SALU_CYCLE_1)
	s_and_saveexec_b32 s0, s1
	s_cbranch_execz .LBB465_225
; %bb.224:
	s_lshl_b64 s[4:5], s[14:15], 3
	s_delay_alu instid0(SALU_CYCLE_1)
	s_add_nc_u64 s[4:5], s[20:21], s[4:5]
	global_store_b64 v25, v[14:15], s[4:5] scale_offset
.LBB465_225:
	s_wait_xcnt 0x0
	s_or_b32 exec_lo, exec_lo, s0
	s_branch .LBB465_209
.LBB465_226:
	s_mov_b32 s0, exec_lo
	v_cmpx_eq_u32_e32 1, v1
; %bb.227:
	v_sub_nc_u32_e32 v1, v41, v24
	s_delay_alu instid0(VALU_DEP_1)
	v_lshlrev_b32_e32 v1, 3, v1
	ds_store_b64 v1, v[10:11]
; %bb.228:
	s_or_b32 exec_lo, exec_lo, s0
	v_and_b32_e32 v1, 1, v32
	s_mov_b32 s0, exec_lo
	s_delay_alu instid0(VALU_DEP_1)
	v_cmpx_eq_u32_e32 1, v1
; %bb.229:
	v_sub_nc_u32_e32 v1, v40, v24
	s_delay_alu instid0(VALU_DEP_1)
	v_lshlrev_b32_e32 v1, 3, v1
	ds_store_b64 v1, v[12:13]
; %bb.230:
	s_or_b32 exec_lo, exec_lo, s0
	v_and_b32_e32 v1, 1, v31
	s_mov_b32 s0, exec_lo
	s_delay_alu instid0(VALU_DEP_1)
	;; [unrolled: 11-line block ×6, first 2 shown]
	v_cmpx_eq_u32_e32 1, v1
; %bb.239:
	v_sub_nc_u32_e32 v1, v25, v24
	s_delay_alu instid0(VALU_DEP_1)
	v_lshlrev_b32_e32 v1, 3, v1
	ds_store_b64 v1, v[14:15]
; %bb.240:
	s_or_b32 exec_lo, exec_lo, s0
	v_mov_b32_e32 v25, 0
	s_lshl_b64 s[0:1], s[14:15], 3
	s_wait_storecnt_dscnt 0x0
	s_barrier_signal -1
	s_barrier_wait -1
	v_lshlrev_b64_e32 v[2:3], 3, v[24:25]
	v_mov_b32_e32 v19, v25
	s_delay_alu instid0(VALU_DEP_2) | instskip(SKIP_1) | instid1(VALU_DEP_1)
	v_add_nc_u64_e32 v[2:3], s[0:1], v[2:3]
	s_mov_b32 s0, 0
	v_add_nc_u64_e32 v[2:3], s[20:21], v[2:3]
	s_delay_alu instid0(VALU_DEP_1)
	v_add_nc_u64_e32 v[2:3], v[2:3], v[18:19]
.LBB465_241:                            ; =>This Inner Loop Header: Depth=1
	ds_load_b64 v[4:5], v18
	v_add_nc_u32_e32 v0, 0x200, v0
	v_add_nc_u32_e32 v18, 0x1000, v18
	s_delay_alu instid0(VALU_DEP_2)
	v_cmp_ge_u32_e32 vcc_lo, v0, v22
	s_or_b32 s0, vcc_lo, s0
	s_wait_dscnt 0x0
	global_store_b64 v[2:3], v[4:5], off
	s_wait_xcnt 0x0
	v_add_nc_u64_e32 v[2:3], 0x1000, v[2:3]
	s_and_not1_b32 exec_lo, exec_lo, s0
	s_cbranch_execnz .LBB465_241
; %bb.242:
	s_or_b32 exec_lo, exec_lo, s0
	s_and_b32 s0, s2, s16
	s_delay_alu instid0(SALU_CYCLE_1)
	s_and_saveexec_b32 s1, s0
	s_cbranch_execz .LBB465_210
.LBB465_243:
	v_mov_b32_e32 v23, 0
	s_delay_alu instid0(VALU_DEP_1) | instskip(SKIP_1) | instid1(VALU_DEP_1)
	v_add_nc_u64_e32 v[0:1], s[14:15], v[22:23]
	v_mov_b32_e32 v25, v23
	v_add_nc_u64_e32 v[0:1], v[0:1], v[24:25]
	global_store_b64 v23, v[0:1], s[12:13]
	s_endpgm
	.section	.rodata,"a",@progbits
	.p2align	6, 0x0
	.amdhsa_kernel _ZN7rocprim17ROCPRIM_400000_NS6detail17trampoline_kernelINS0_14default_configENS1_25partition_config_selectorILNS1_17partition_subalgoE8ElNS0_10empty_typeEbEEZZNS1_14partition_implILS5_8ELb0ES3_jPlPS6_PKS6_NS0_5tupleIJS9_S6_EEENSD_IJSA_SA_EEENS0_18inequality_wrapperIZN2at6native12_GLOBAL__N_124unique_dim_cuda_templateIiEESt5tupleIJNSH_6TensorESM_SM_EERKSM_lbbbEUlllE0_EEPmJS6_EEE10hipError_tPvRmT3_T4_T5_T6_T7_T9_mT8_P12ihipStream_tbDpT10_ENKUlT_T0_E_clISt17integral_constantIbLb0EES1B_IbLb1EEEEDaS17_S18_EUlS17_E_NS1_11comp_targetILNS1_3genE0ELNS1_11target_archE4294967295ELNS1_3gpuE0ELNS1_3repE0EEENS1_30default_config_static_selectorELNS0_4arch9wavefront6targetE0EEEvT1_
		.amdhsa_group_segment_fixed_size 28680
		.amdhsa_private_segment_fixed_size 0
		.amdhsa_kernarg_size 136
		.amdhsa_user_sgpr_count 2
		.amdhsa_user_sgpr_dispatch_ptr 0
		.amdhsa_user_sgpr_queue_ptr 0
		.amdhsa_user_sgpr_kernarg_segment_ptr 1
		.amdhsa_user_sgpr_dispatch_id 0
		.amdhsa_user_sgpr_kernarg_preload_length 0
		.amdhsa_user_sgpr_kernarg_preload_offset 0
		.amdhsa_user_sgpr_private_segment_size 0
		.amdhsa_wavefront_size32 1
		.amdhsa_uses_dynamic_stack 0
		.amdhsa_enable_private_segment 0
		.amdhsa_system_sgpr_workgroup_id_x 1
		.amdhsa_system_sgpr_workgroup_id_y 0
		.amdhsa_system_sgpr_workgroup_id_z 0
		.amdhsa_system_sgpr_workgroup_info 0
		.amdhsa_system_vgpr_workitem_id 0
		.amdhsa_next_free_vgpr 53
		.amdhsa_next_free_sgpr 36
		.amdhsa_named_barrier_count 0
		.amdhsa_reserve_vcc 1
		.amdhsa_float_round_mode_32 0
		.amdhsa_float_round_mode_16_64 0
		.amdhsa_float_denorm_mode_32 3
		.amdhsa_float_denorm_mode_16_64 3
		.amdhsa_fp16_overflow 0
		.amdhsa_memory_ordered 1
		.amdhsa_forward_progress 1
		.amdhsa_inst_pref_size 83
		.amdhsa_round_robin_scheduling 0
		.amdhsa_exception_fp_ieee_invalid_op 0
		.amdhsa_exception_fp_denorm_src 0
		.amdhsa_exception_fp_ieee_div_zero 0
		.amdhsa_exception_fp_ieee_overflow 0
		.amdhsa_exception_fp_ieee_underflow 0
		.amdhsa_exception_fp_ieee_inexact 0
		.amdhsa_exception_int_div_zero 0
	.end_amdhsa_kernel
	.section	.text._ZN7rocprim17ROCPRIM_400000_NS6detail17trampoline_kernelINS0_14default_configENS1_25partition_config_selectorILNS1_17partition_subalgoE8ElNS0_10empty_typeEbEEZZNS1_14partition_implILS5_8ELb0ES3_jPlPS6_PKS6_NS0_5tupleIJS9_S6_EEENSD_IJSA_SA_EEENS0_18inequality_wrapperIZN2at6native12_GLOBAL__N_124unique_dim_cuda_templateIiEESt5tupleIJNSH_6TensorESM_SM_EERKSM_lbbbEUlllE0_EEPmJS6_EEE10hipError_tPvRmT3_T4_T5_T6_T7_T9_mT8_P12ihipStream_tbDpT10_ENKUlT_T0_E_clISt17integral_constantIbLb0EES1B_IbLb1EEEEDaS17_S18_EUlS17_E_NS1_11comp_targetILNS1_3genE0ELNS1_11target_archE4294967295ELNS1_3gpuE0ELNS1_3repE0EEENS1_30default_config_static_selectorELNS0_4arch9wavefront6targetE0EEEvT1_,"axG",@progbits,_ZN7rocprim17ROCPRIM_400000_NS6detail17trampoline_kernelINS0_14default_configENS1_25partition_config_selectorILNS1_17partition_subalgoE8ElNS0_10empty_typeEbEEZZNS1_14partition_implILS5_8ELb0ES3_jPlPS6_PKS6_NS0_5tupleIJS9_S6_EEENSD_IJSA_SA_EEENS0_18inequality_wrapperIZN2at6native12_GLOBAL__N_124unique_dim_cuda_templateIiEESt5tupleIJNSH_6TensorESM_SM_EERKSM_lbbbEUlllE0_EEPmJS6_EEE10hipError_tPvRmT3_T4_T5_T6_T7_T9_mT8_P12ihipStream_tbDpT10_ENKUlT_T0_E_clISt17integral_constantIbLb0EES1B_IbLb1EEEEDaS17_S18_EUlS17_E_NS1_11comp_targetILNS1_3genE0ELNS1_11target_archE4294967295ELNS1_3gpuE0ELNS1_3repE0EEENS1_30default_config_static_selectorELNS0_4arch9wavefront6targetE0EEEvT1_,comdat
.Lfunc_end465:
	.size	_ZN7rocprim17ROCPRIM_400000_NS6detail17trampoline_kernelINS0_14default_configENS1_25partition_config_selectorILNS1_17partition_subalgoE8ElNS0_10empty_typeEbEEZZNS1_14partition_implILS5_8ELb0ES3_jPlPS6_PKS6_NS0_5tupleIJS9_S6_EEENSD_IJSA_SA_EEENS0_18inequality_wrapperIZN2at6native12_GLOBAL__N_124unique_dim_cuda_templateIiEESt5tupleIJNSH_6TensorESM_SM_EERKSM_lbbbEUlllE0_EEPmJS6_EEE10hipError_tPvRmT3_T4_T5_T6_T7_T9_mT8_P12ihipStream_tbDpT10_ENKUlT_T0_E_clISt17integral_constantIbLb0EES1B_IbLb1EEEEDaS17_S18_EUlS17_E_NS1_11comp_targetILNS1_3genE0ELNS1_11target_archE4294967295ELNS1_3gpuE0ELNS1_3repE0EEENS1_30default_config_static_selectorELNS0_4arch9wavefront6targetE0EEEvT1_, .Lfunc_end465-_ZN7rocprim17ROCPRIM_400000_NS6detail17trampoline_kernelINS0_14default_configENS1_25partition_config_selectorILNS1_17partition_subalgoE8ElNS0_10empty_typeEbEEZZNS1_14partition_implILS5_8ELb0ES3_jPlPS6_PKS6_NS0_5tupleIJS9_S6_EEENSD_IJSA_SA_EEENS0_18inequality_wrapperIZN2at6native12_GLOBAL__N_124unique_dim_cuda_templateIiEESt5tupleIJNSH_6TensorESM_SM_EERKSM_lbbbEUlllE0_EEPmJS6_EEE10hipError_tPvRmT3_T4_T5_T6_T7_T9_mT8_P12ihipStream_tbDpT10_ENKUlT_T0_E_clISt17integral_constantIbLb0EES1B_IbLb1EEEEDaS17_S18_EUlS17_E_NS1_11comp_targetILNS1_3genE0ELNS1_11target_archE4294967295ELNS1_3gpuE0ELNS1_3repE0EEENS1_30default_config_static_selectorELNS0_4arch9wavefront6targetE0EEEvT1_
                                        ; -- End function
	.set _ZN7rocprim17ROCPRIM_400000_NS6detail17trampoline_kernelINS0_14default_configENS1_25partition_config_selectorILNS1_17partition_subalgoE8ElNS0_10empty_typeEbEEZZNS1_14partition_implILS5_8ELb0ES3_jPlPS6_PKS6_NS0_5tupleIJS9_S6_EEENSD_IJSA_SA_EEENS0_18inequality_wrapperIZN2at6native12_GLOBAL__N_124unique_dim_cuda_templateIiEESt5tupleIJNSH_6TensorESM_SM_EERKSM_lbbbEUlllE0_EEPmJS6_EEE10hipError_tPvRmT3_T4_T5_T6_T7_T9_mT8_P12ihipStream_tbDpT10_ENKUlT_T0_E_clISt17integral_constantIbLb0EES1B_IbLb1EEEEDaS17_S18_EUlS17_E_NS1_11comp_targetILNS1_3genE0ELNS1_11target_archE4294967295ELNS1_3gpuE0ELNS1_3repE0EEENS1_30default_config_static_selectorELNS0_4arch9wavefront6targetE0EEEvT1_.num_vgpr, 53
	.set _ZN7rocprim17ROCPRIM_400000_NS6detail17trampoline_kernelINS0_14default_configENS1_25partition_config_selectorILNS1_17partition_subalgoE8ElNS0_10empty_typeEbEEZZNS1_14partition_implILS5_8ELb0ES3_jPlPS6_PKS6_NS0_5tupleIJS9_S6_EEENSD_IJSA_SA_EEENS0_18inequality_wrapperIZN2at6native12_GLOBAL__N_124unique_dim_cuda_templateIiEESt5tupleIJNSH_6TensorESM_SM_EERKSM_lbbbEUlllE0_EEPmJS6_EEE10hipError_tPvRmT3_T4_T5_T6_T7_T9_mT8_P12ihipStream_tbDpT10_ENKUlT_T0_E_clISt17integral_constantIbLb0EES1B_IbLb1EEEEDaS17_S18_EUlS17_E_NS1_11comp_targetILNS1_3genE0ELNS1_11target_archE4294967295ELNS1_3gpuE0ELNS1_3repE0EEENS1_30default_config_static_selectorELNS0_4arch9wavefront6targetE0EEEvT1_.num_agpr, 0
	.set _ZN7rocprim17ROCPRIM_400000_NS6detail17trampoline_kernelINS0_14default_configENS1_25partition_config_selectorILNS1_17partition_subalgoE8ElNS0_10empty_typeEbEEZZNS1_14partition_implILS5_8ELb0ES3_jPlPS6_PKS6_NS0_5tupleIJS9_S6_EEENSD_IJSA_SA_EEENS0_18inequality_wrapperIZN2at6native12_GLOBAL__N_124unique_dim_cuda_templateIiEESt5tupleIJNSH_6TensorESM_SM_EERKSM_lbbbEUlllE0_EEPmJS6_EEE10hipError_tPvRmT3_T4_T5_T6_T7_T9_mT8_P12ihipStream_tbDpT10_ENKUlT_T0_E_clISt17integral_constantIbLb0EES1B_IbLb1EEEEDaS17_S18_EUlS17_E_NS1_11comp_targetILNS1_3genE0ELNS1_11target_archE4294967295ELNS1_3gpuE0ELNS1_3repE0EEENS1_30default_config_static_selectorELNS0_4arch9wavefront6targetE0EEEvT1_.numbered_sgpr, 36
	.set _ZN7rocprim17ROCPRIM_400000_NS6detail17trampoline_kernelINS0_14default_configENS1_25partition_config_selectorILNS1_17partition_subalgoE8ElNS0_10empty_typeEbEEZZNS1_14partition_implILS5_8ELb0ES3_jPlPS6_PKS6_NS0_5tupleIJS9_S6_EEENSD_IJSA_SA_EEENS0_18inequality_wrapperIZN2at6native12_GLOBAL__N_124unique_dim_cuda_templateIiEESt5tupleIJNSH_6TensorESM_SM_EERKSM_lbbbEUlllE0_EEPmJS6_EEE10hipError_tPvRmT3_T4_T5_T6_T7_T9_mT8_P12ihipStream_tbDpT10_ENKUlT_T0_E_clISt17integral_constantIbLb0EES1B_IbLb1EEEEDaS17_S18_EUlS17_E_NS1_11comp_targetILNS1_3genE0ELNS1_11target_archE4294967295ELNS1_3gpuE0ELNS1_3repE0EEENS1_30default_config_static_selectorELNS0_4arch9wavefront6targetE0EEEvT1_.num_named_barrier, 0
	.set _ZN7rocprim17ROCPRIM_400000_NS6detail17trampoline_kernelINS0_14default_configENS1_25partition_config_selectorILNS1_17partition_subalgoE8ElNS0_10empty_typeEbEEZZNS1_14partition_implILS5_8ELb0ES3_jPlPS6_PKS6_NS0_5tupleIJS9_S6_EEENSD_IJSA_SA_EEENS0_18inequality_wrapperIZN2at6native12_GLOBAL__N_124unique_dim_cuda_templateIiEESt5tupleIJNSH_6TensorESM_SM_EERKSM_lbbbEUlllE0_EEPmJS6_EEE10hipError_tPvRmT3_T4_T5_T6_T7_T9_mT8_P12ihipStream_tbDpT10_ENKUlT_T0_E_clISt17integral_constantIbLb0EES1B_IbLb1EEEEDaS17_S18_EUlS17_E_NS1_11comp_targetILNS1_3genE0ELNS1_11target_archE4294967295ELNS1_3gpuE0ELNS1_3repE0EEENS1_30default_config_static_selectorELNS0_4arch9wavefront6targetE0EEEvT1_.private_seg_size, 0
	.set _ZN7rocprim17ROCPRIM_400000_NS6detail17trampoline_kernelINS0_14default_configENS1_25partition_config_selectorILNS1_17partition_subalgoE8ElNS0_10empty_typeEbEEZZNS1_14partition_implILS5_8ELb0ES3_jPlPS6_PKS6_NS0_5tupleIJS9_S6_EEENSD_IJSA_SA_EEENS0_18inequality_wrapperIZN2at6native12_GLOBAL__N_124unique_dim_cuda_templateIiEESt5tupleIJNSH_6TensorESM_SM_EERKSM_lbbbEUlllE0_EEPmJS6_EEE10hipError_tPvRmT3_T4_T5_T6_T7_T9_mT8_P12ihipStream_tbDpT10_ENKUlT_T0_E_clISt17integral_constantIbLb0EES1B_IbLb1EEEEDaS17_S18_EUlS17_E_NS1_11comp_targetILNS1_3genE0ELNS1_11target_archE4294967295ELNS1_3gpuE0ELNS1_3repE0EEENS1_30default_config_static_selectorELNS0_4arch9wavefront6targetE0EEEvT1_.uses_vcc, 1
	.set _ZN7rocprim17ROCPRIM_400000_NS6detail17trampoline_kernelINS0_14default_configENS1_25partition_config_selectorILNS1_17partition_subalgoE8ElNS0_10empty_typeEbEEZZNS1_14partition_implILS5_8ELb0ES3_jPlPS6_PKS6_NS0_5tupleIJS9_S6_EEENSD_IJSA_SA_EEENS0_18inequality_wrapperIZN2at6native12_GLOBAL__N_124unique_dim_cuda_templateIiEESt5tupleIJNSH_6TensorESM_SM_EERKSM_lbbbEUlllE0_EEPmJS6_EEE10hipError_tPvRmT3_T4_T5_T6_T7_T9_mT8_P12ihipStream_tbDpT10_ENKUlT_T0_E_clISt17integral_constantIbLb0EES1B_IbLb1EEEEDaS17_S18_EUlS17_E_NS1_11comp_targetILNS1_3genE0ELNS1_11target_archE4294967295ELNS1_3gpuE0ELNS1_3repE0EEENS1_30default_config_static_selectorELNS0_4arch9wavefront6targetE0EEEvT1_.uses_flat_scratch, 0
	.set _ZN7rocprim17ROCPRIM_400000_NS6detail17trampoline_kernelINS0_14default_configENS1_25partition_config_selectorILNS1_17partition_subalgoE8ElNS0_10empty_typeEbEEZZNS1_14partition_implILS5_8ELb0ES3_jPlPS6_PKS6_NS0_5tupleIJS9_S6_EEENSD_IJSA_SA_EEENS0_18inequality_wrapperIZN2at6native12_GLOBAL__N_124unique_dim_cuda_templateIiEESt5tupleIJNSH_6TensorESM_SM_EERKSM_lbbbEUlllE0_EEPmJS6_EEE10hipError_tPvRmT3_T4_T5_T6_T7_T9_mT8_P12ihipStream_tbDpT10_ENKUlT_T0_E_clISt17integral_constantIbLb0EES1B_IbLb1EEEEDaS17_S18_EUlS17_E_NS1_11comp_targetILNS1_3genE0ELNS1_11target_archE4294967295ELNS1_3gpuE0ELNS1_3repE0EEENS1_30default_config_static_selectorELNS0_4arch9wavefront6targetE0EEEvT1_.has_dyn_sized_stack, 0
	.set _ZN7rocprim17ROCPRIM_400000_NS6detail17trampoline_kernelINS0_14default_configENS1_25partition_config_selectorILNS1_17partition_subalgoE8ElNS0_10empty_typeEbEEZZNS1_14partition_implILS5_8ELb0ES3_jPlPS6_PKS6_NS0_5tupleIJS9_S6_EEENSD_IJSA_SA_EEENS0_18inequality_wrapperIZN2at6native12_GLOBAL__N_124unique_dim_cuda_templateIiEESt5tupleIJNSH_6TensorESM_SM_EERKSM_lbbbEUlllE0_EEPmJS6_EEE10hipError_tPvRmT3_T4_T5_T6_T7_T9_mT8_P12ihipStream_tbDpT10_ENKUlT_T0_E_clISt17integral_constantIbLb0EES1B_IbLb1EEEEDaS17_S18_EUlS17_E_NS1_11comp_targetILNS1_3genE0ELNS1_11target_archE4294967295ELNS1_3gpuE0ELNS1_3repE0EEENS1_30default_config_static_selectorELNS0_4arch9wavefront6targetE0EEEvT1_.has_recursion, 0
	.set _ZN7rocprim17ROCPRIM_400000_NS6detail17trampoline_kernelINS0_14default_configENS1_25partition_config_selectorILNS1_17partition_subalgoE8ElNS0_10empty_typeEbEEZZNS1_14partition_implILS5_8ELb0ES3_jPlPS6_PKS6_NS0_5tupleIJS9_S6_EEENSD_IJSA_SA_EEENS0_18inequality_wrapperIZN2at6native12_GLOBAL__N_124unique_dim_cuda_templateIiEESt5tupleIJNSH_6TensorESM_SM_EERKSM_lbbbEUlllE0_EEPmJS6_EEE10hipError_tPvRmT3_T4_T5_T6_T7_T9_mT8_P12ihipStream_tbDpT10_ENKUlT_T0_E_clISt17integral_constantIbLb0EES1B_IbLb1EEEEDaS17_S18_EUlS17_E_NS1_11comp_targetILNS1_3genE0ELNS1_11target_archE4294967295ELNS1_3gpuE0ELNS1_3repE0EEENS1_30default_config_static_selectorELNS0_4arch9wavefront6targetE0EEEvT1_.has_indirect_call, 0
	.section	.AMDGPU.csdata,"",@progbits
; Kernel info:
; codeLenInByte = 10604
; TotalNumSgprs: 38
; NumVgprs: 53
; ScratchSize: 0
; MemoryBound: 0
; FloatMode: 240
; IeeeMode: 1
; LDSByteSize: 28680 bytes/workgroup (compile time only)
; SGPRBlocks: 0
; VGPRBlocks: 3
; NumSGPRsForWavesPerEU: 38
; NumVGPRsForWavesPerEU: 53
; NamedBarCnt: 0
; Occupancy: 16
; WaveLimiterHint : 1
; COMPUTE_PGM_RSRC2:SCRATCH_EN: 0
; COMPUTE_PGM_RSRC2:USER_SGPR: 2
; COMPUTE_PGM_RSRC2:TRAP_HANDLER: 0
; COMPUTE_PGM_RSRC2:TGID_X_EN: 1
; COMPUTE_PGM_RSRC2:TGID_Y_EN: 0
; COMPUTE_PGM_RSRC2:TGID_Z_EN: 0
; COMPUTE_PGM_RSRC2:TIDIG_COMP_CNT: 0
	.section	.text._ZN7rocprim17ROCPRIM_400000_NS6detail17trampoline_kernelINS0_14default_configENS1_25partition_config_selectorILNS1_17partition_subalgoE8ElNS0_10empty_typeEbEEZZNS1_14partition_implILS5_8ELb0ES3_jPlPS6_PKS6_NS0_5tupleIJS9_S6_EEENSD_IJSA_SA_EEENS0_18inequality_wrapperIZN2at6native12_GLOBAL__N_124unique_dim_cuda_templateIiEESt5tupleIJNSH_6TensorESM_SM_EERKSM_lbbbEUlllE0_EEPmJS6_EEE10hipError_tPvRmT3_T4_T5_T6_T7_T9_mT8_P12ihipStream_tbDpT10_ENKUlT_T0_E_clISt17integral_constantIbLb0EES1B_IbLb1EEEEDaS17_S18_EUlS17_E_NS1_11comp_targetILNS1_3genE5ELNS1_11target_archE942ELNS1_3gpuE9ELNS1_3repE0EEENS1_30default_config_static_selectorELNS0_4arch9wavefront6targetE0EEEvT1_,"axG",@progbits,_ZN7rocprim17ROCPRIM_400000_NS6detail17trampoline_kernelINS0_14default_configENS1_25partition_config_selectorILNS1_17partition_subalgoE8ElNS0_10empty_typeEbEEZZNS1_14partition_implILS5_8ELb0ES3_jPlPS6_PKS6_NS0_5tupleIJS9_S6_EEENSD_IJSA_SA_EEENS0_18inequality_wrapperIZN2at6native12_GLOBAL__N_124unique_dim_cuda_templateIiEESt5tupleIJNSH_6TensorESM_SM_EERKSM_lbbbEUlllE0_EEPmJS6_EEE10hipError_tPvRmT3_T4_T5_T6_T7_T9_mT8_P12ihipStream_tbDpT10_ENKUlT_T0_E_clISt17integral_constantIbLb0EES1B_IbLb1EEEEDaS17_S18_EUlS17_E_NS1_11comp_targetILNS1_3genE5ELNS1_11target_archE942ELNS1_3gpuE9ELNS1_3repE0EEENS1_30default_config_static_selectorELNS0_4arch9wavefront6targetE0EEEvT1_,comdat
	.globl	_ZN7rocprim17ROCPRIM_400000_NS6detail17trampoline_kernelINS0_14default_configENS1_25partition_config_selectorILNS1_17partition_subalgoE8ElNS0_10empty_typeEbEEZZNS1_14partition_implILS5_8ELb0ES3_jPlPS6_PKS6_NS0_5tupleIJS9_S6_EEENSD_IJSA_SA_EEENS0_18inequality_wrapperIZN2at6native12_GLOBAL__N_124unique_dim_cuda_templateIiEESt5tupleIJNSH_6TensorESM_SM_EERKSM_lbbbEUlllE0_EEPmJS6_EEE10hipError_tPvRmT3_T4_T5_T6_T7_T9_mT8_P12ihipStream_tbDpT10_ENKUlT_T0_E_clISt17integral_constantIbLb0EES1B_IbLb1EEEEDaS17_S18_EUlS17_E_NS1_11comp_targetILNS1_3genE5ELNS1_11target_archE942ELNS1_3gpuE9ELNS1_3repE0EEENS1_30default_config_static_selectorELNS0_4arch9wavefront6targetE0EEEvT1_ ; -- Begin function _ZN7rocprim17ROCPRIM_400000_NS6detail17trampoline_kernelINS0_14default_configENS1_25partition_config_selectorILNS1_17partition_subalgoE8ElNS0_10empty_typeEbEEZZNS1_14partition_implILS5_8ELb0ES3_jPlPS6_PKS6_NS0_5tupleIJS9_S6_EEENSD_IJSA_SA_EEENS0_18inequality_wrapperIZN2at6native12_GLOBAL__N_124unique_dim_cuda_templateIiEESt5tupleIJNSH_6TensorESM_SM_EERKSM_lbbbEUlllE0_EEPmJS6_EEE10hipError_tPvRmT3_T4_T5_T6_T7_T9_mT8_P12ihipStream_tbDpT10_ENKUlT_T0_E_clISt17integral_constantIbLb0EES1B_IbLb1EEEEDaS17_S18_EUlS17_E_NS1_11comp_targetILNS1_3genE5ELNS1_11target_archE942ELNS1_3gpuE9ELNS1_3repE0EEENS1_30default_config_static_selectorELNS0_4arch9wavefront6targetE0EEEvT1_
	.p2align	8
	.type	_ZN7rocprim17ROCPRIM_400000_NS6detail17trampoline_kernelINS0_14default_configENS1_25partition_config_selectorILNS1_17partition_subalgoE8ElNS0_10empty_typeEbEEZZNS1_14partition_implILS5_8ELb0ES3_jPlPS6_PKS6_NS0_5tupleIJS9_S6_EEENSD_IJSA_SA_EEENS0_18inequality_wrapperIZN2at6native12_GLOBAL__N_124unique_dim_cuda_templateIiEESt5tupleIJNSH_6TensorESM_SM_EERKSM_lbbbEUlllE0_EEPmJS6_EEE10hipError_tPvRmT3_T4_T5_T6_T7_T9_mT8_P12ihipStream_tbDpT10_ENKUlT_T0_E_clISt17integral_constantIbLb0EES1B_IbLb1EEEEDaS17_S18_EUlS17_E_NS1_11comp_targetILNS1_3genE5ELNS1_11target_archE942ELNS1_3gpuE9ELNS1_3repE0EEENS1_30default_config_static_selectorELNS0_4arch9wavefront6targetE0EEEvT1_,@function
_ZN7rocprim17ROCPRIM_400000_NS6detail17trampoline_kernelINS0_14default_configENS1_25partition_config_selectorILNS1_17partition_subalgoE8ElNS0_10empty_typeEbEEZZNS1_14partition_implILS5_8ELb0ES3_jPlPS6_PKS6_NS0_5tupleIJS9_S6_EEENSD_IJSA_SA_EEENS0_18inequality_wrapperIZN2at6native12_GLOBAL__N_124unique_dim_cuda_templateIiEESt5tupleIJNSH_6TensorESM_SM_EERKSM_lbbbEUlllE0_EEPmJS6_EEE10hipError_tPvRmT3_T4_T5_T6_T7_T9_mT8_P12ihipStream_tbDpT10_ENKUlT_T0_E_clISt17integral_constantIbLb0EES1B_IbLb1EEEEDaS17_S18_EUlS17_E_NS1_11comp_targetILNS1_3genE5ELNS1_11target_archE942ELNS1_3gpuE9ELNS1_3repE0EEENS1_30default_config_static_selectorELNS0_4arch9wavefront6targetE0EEEvT1_: ; @_ZN7rocprim17ROCPRIM_400000_NS6detail17trampoline_kernelINS0_14default_configENS1_25partition_config_selectorILNS1_17partition_subalgoE8ElNS0_10empty_typeEbEEZZNS1_14partition_implILS5_8ELb0ES3_jPlPS6_PKS6_NS0_5tupleIJS9_S6_EEENSD_IJSA_SA_EEENS0_18inequality_wrapperIZN2at6native12_GLOBAL__N_124unique_dim_cuda_templateIiEESt5tupleIJNSH_6TensorESM_SM_EERKSM_lbbbEUlllE0_EEPmJS6_EEE10hipError_tPvRmT3_T4_T5_T6_T7_T9_mT8_P12ihipStream_tbDpT10_ENKUlT_T0_E_clISt17integral_constantIbLb0EES1B_IbLb1EEEEDaS17_S18_EUlS17_E_NS1_11comp_targetILNS1_3genE5ELNS1_11target_archE942ELNS1_3gpuE9ELNS1_3repE0EEENS1_30default_config_static_selectorELNS0_4arch9wavefront6targetE0EEEvT1_
; %bb.0:
	.section	.rodata,"a",@progbits
	.p2align	6, 0x0
	.amdhsa_kernel _ZN7rocprim17ROCPRIM_400000_NS6detail17trampoline_kernelINS0_14default_configENS1_25partition_config_selectorILNS1_17partition_subalgoE8ElNS0_10empty_typeEbEEZZNS1_14partition_implILS5_8ELb0ES3_jPlPS6_PKS6_NS0_5tupleIJS9_S6_EEENSD_IJSA_SA_EEENS0_18inequality_wrapperIZN2at6native12_GLOBAL__N_124unique_dim_cuda_templateIiEESt5tupleIJNSH_6TensorESM_SM_EERKSM_lbbbEUlllE0_EEPmJS6_EEE10hipError_tPvRmT3_T4_T5_T6_T7_T9_mT8_P12ihipStream_tbDpT10_ENKUlT_T0_E_clISt17integral_constantIbLb0EES1B_IbLb1EEEEDaS17_S18_EUlS17_E_NS1_11comp_targetILNS1_3genE5ELNS1_11target_archE942ELNS1_3gpuE9ELNS1_3repE0EEENS1_30default_config_static_selectorELNS0_4arch9wavefront6targetE0EEEvT1_
		.amdhsa_group_segment_fixed_size 0
		.amdhsa_private_segment_fixed_size 0
		.amdhsa_kernarg_size 136
		.amdhsa_user_sgpr_count 2
		.amdhsa_user_sgpr_dispatch_ptr 0
		.amdhsa_user_sgpr_queue_ptr 0
		.amdhsa_user_sgpr_kernarg_segment_ptr 1
		.amdhsa_user_sgpr_dispatch_id 0
		.amdhsa_user_sgpr_kernarg_preload_length 0
		.amdhsa_user_sgpr_kernarg_preload_offset 0
		.amdhsa_user_sgpr_private_segment_size 0
		.amdhsa_wavefront_size32 1
		.amdhsa_uses_dynamic_stack 0
		.amdhsa_enable_private_segment 0
		.amdhsa_system_sgpr_workgroup_id_x 1
		.amdhsa_system_sgpr_workgroup_id_y 0
		.amdhsa_system_sgpr_workgroup_id_z 0
		.amdhsa_system_sgpr_workgroup_info 0
		.amdhsa_system_vgpr_workitem_id 0
		.amdhsa_next_free_vgpr 1
		.amdhsa_next_free_sgpr 1
		.amdhsa_named_barrier_count 0
		.amdhsa_reserve_vcc 0
		.amdhsa_float_round_mode_32 0
		.amdhsa_float_round_mode_16_64 0
		.amdhsa_float_denorm_mode_32 3
		.amdhsa_float_denorm_mode_16_64 3
		.amdhsa_fp16_overflow 0
		.amdhsa_memory_ordered 1
		.amdhsa_forward_progress 1
		.amdhsa_inst_pref_size 0
		.amdhsa_round_robin_scheduling 0
		.amdhsa_exception_fp_ieee_invalid_op 0
		.amdhsa_exception_fp_denorm_src 0
		.amdhsa_exception_fp_ieee_div_zero 0
		.amdhsa_exception_fp_ieee_overflow 0
		.amdhsa_exception_fp_ieee_underflow 0
		.amdhsa_exception_fp_ieee_inexact 0
		.amdhsa_exception_int_div_zero 0
	.end_amdhsa_kernel
	.section	.text._ZN7rocprim17ROCPRIM_400000_NS6detail17trampoline_kernelINS0_14default_configENS1_25partition_config_selectorILNS1_17partition_subalgoE8ElNS0_10empty_typeEbEEZZNS1_14partition_implILS5_8ELb0ES3_jPlPS6_PKS6_NS0_5tupleIJS9_S6_EEENSD_IJSA_SA_EEENS0_18inequality_wrapperIZN2at6native12_GLOBAL__N_124unique_dim_cuda_templateIiEESt5tupleIJNSH_6TensorESM_SM_EERKSM_lbbbEUlllE0_EEPmJS6_EEE10hipError_tPvRmT3_T4_T5_T6_T7_T9_mT8_P12ihipStream_tbDpT10_ENKUlT_T0_E_clISt17integral_constantIbLb0EES1B_IbLb1EEEEDaS17_S18_EUlS17_E_NS1_11comp_targetILNS1_3genE5ELNS1_11target_archE942ELNS1_3gpuE9ELNS1_3repE0EEENS1_30default_config_static_selectorELNS0_4arch9wavefront6targetE0EEEvT1_,"axG",@progbits,_ZN7rocprim17ROCPRIM_400000_NS6detail17trampoline_kernelINS0_14default_configENS1_25partition_config_selectorILNS1_17partition_subalgoE8ElNS0_10empty_typeEbEEZZNS1_14partition_implILS5_8ELb0ES3_jPlPS6_PKS6_NS0_5tupleIJS9_S6_EEENSD_IJSA_SA_EEENS0_18inequality_wrapperIZN2at6native12_GLOBAL__N_124unique_dim_cuda_templateIiEESt5tupleIJNSH_6TensorESM_SM_EERKSM_lbbbEUlllE0_EEPmJS6_EEE10hipError_tPvRmT3_T4_T5_T6_T7_T9_mT8_P12ihipStream_tbDpT10_ENKUlT_T0_E_clISt17integral_constantIbLb0EES1B_IbLb1EEEEDaS17_S18_EUlS17_E_NS1_11comp_targetILNS1_3genE5ELNS1_11target_archE942ELNS1_3gpuE9ELNS1_3repE0EEENS1_30default_config_static_selectorELNS0_4arch9wavefront6targetE0EEEvT1_,comdat
.Lfunc_end466:
	.size	_ZN7rocprim17ROCPRIM_400000_NS6detail17trampoline_kernelINS0_14default_configENS1_25partition_config_selectorILNS1_17partition_subalgoE8ElNS0_10empty_typeEbEEZZNS1_14partition_implILS5_8ELb0ES3_jPlPS6_PKS6_NS0_5tupleIJS9_S6_EEENSD_IJSA_SA_EEENS0_18inequality_wrapperIZN2at6native12_GLOBAL__N_124unique_dim_cuda_templateIiEESt5tupleIJNSH_6TensorESM_SM_EERKSM_lbbbEUlllE0_EEPmJS6_EEE10hipError_tPvRmT3_T4_T5_T6_T7_T9_mT8_P12ihipStream_tbDpT10_ENKUlT_T0_E_clISt17integral_constantIbLb0EES1B_IbLb1EEEEDaS17_S18_EUlS17_E_NS1_11comp_targetILNS1_3genE5ELNS1_11target_archE942ELNS1_3gpuE9ELNS1_3repE0EEENS1_30default_config_static_selectorELNS0_4arch9wavefront6targetE0EEEvT1_, .Lfunc_end466-_ZN7rocprim17ROCPRIM_400000_NS6detail17trampoline_kernelINS0_14default_configENS1_25partition_config_selectorILNS1_17partition_subalgoE8ElNS0_10empty_typeEbEEZZNS1_14partition_implILS5_8ELb0ES3_jPlPS6_PKS6_NS0_5tupleIJS9_S6_EEENSD_IJSA_SA_EEENS0_18inequality_wrapperIZN2at6native12_GLOBAL__N_124unique_dim_cuda_templateIiEESt5tupleIJNSH_6TensorESM_SM_EERKSM_lbbbEUlllE0_EEPmJS6_EEE10hipError_tPvRmT3_T4_T5_T6_T7_T9_mT8_P12ihipStream_tbDpT10_ENKUlT_T0_E_clISt17integral_constantIbLb0EES1B_IbLb1EEEEDaS17_S18_EUlS17_E_NS1_11comp_targetILNS1_3genE5ELNS1_11target_archE942ELNS1_3gpuE9ELNS1_3repE0EEENS1_30default_config_static_selectorELNS0_4arch9wavefront6targetE0EEEvT1_
                                        ; -- End function
	.set _ZN7rocprim17ROCPRIM_400000_NS6detail17trampoline_kernelINS0_14default_configENS1_25partition_config_selectorILNS1_17partition_subalgoE8ElNS0_10empty_typeEbEEZZNS1_14partition_implILS5_8ELb0ES3_jPlPS6_PKS6_NS0_5tupleIJS9_S6_EEENSD_IJSA_SA_EEENS0_18inequality_wrapperIZN2at6native12_GLOBAL__N_124unique_dim_cuda_templateIiEESt5tupleIJNSH_6TensorESM_SM_EERKSM_lbbbEUlllE0_EEPmJS6_EEE10hipError_tPvRmT3_T4_T5_T6_T7_T9_mT8_P12ihipStream_tbDpT10_ENKUlT_T0_E_clISt17integral_constantIbLb0EES1B_IbLb1EEEEDaS17_S18_EUlS17_E_NS1_11comp_targetILNS1_3genE5ELNS1_11target_archE942ELNS1_3gpuE9ELNS1_3repE0EEENS1_30default_config_static_selectorELNS0_4arch9wavefront6targetE0EEEvT1_.num_vgpr, 0
	.set _ZN7rocprim17ROCPRIM_400000_NS6detail17trampoline_kernelINS0_14default_configENS1_25partition_config_selectorILNS1_17partition_subalgoE8ElNS0_10empty_typeEbEEZZNS1_14partition_implILS5_8ELb0ES3_jPlPS6_PKS6_NS0_5tupleIJS9_S6_EEENSD_IJSA_SA_EEENS0_18inequality_wrapperIZN2at6native12_GLOBAL__N_124unique_dim_cuda_templateIiEESt5tupleIJNSH_6TensorESM_SM_EERKSM_lbbbEUlllE0_EEPmJS6_EEE10hipError_tPvRmT3_T4_T5_T6_T7_T9_mT8_P12ihipStream_tbDpT10_ENKUlT_T0_E_clISt17integral_constantIbLb0EES1B_IbLb1EEEEDaS17_S18_EUlS17_E_NS1_11comp_targetILNS1_3genE5ELNS1_11target_archE942ELNS1_3gpuE9ELNS1_3repE0EEENS1_30default_config_static_selectorELNS0_4arch9wavefront6targetE0EEEvT1_.num_agpr, 0
	.set _ZN7rocprim17ROCPRIM_400000_NS6detail17trampoline_kernelINS0_14default_configENS1_25partition_config_selectorILNS1_17partition_subalgoE8ElNS0_10empty_typeEbEEZZNS1_14partition_implILS5_8ELb0ES3_jPlPS6_PKS6_NS0_5tupleIJS9_S6_EEENSD_IJSA_SA_EEENS0_18inequality_wrapperIZN2at6native12_GLOBAL__N_124unique_dim_cuda_templateIiEESt5tupleIJNSH_6TensorESM_SM_EERKSM_lbbbEUlllE0_EEPmJS6_EEE10hipError_tPvRmT3_T4_T5_T6_T7_T9_mT8_P12ihipStream_tbDpT10_ENKUlT_T0_E_clISt17integral_constantIbLb0EES1B_IbLb1EEEEDaS17_S18_EUlS17_E_NS1_11comp_targetILNS1_3genE5ELNS1_11target_archE942ELNS1_3gpuE9ELNS1_3repE0EEENS1_30default_config_static_selectorELNS0_4arch9wavefront6targetE0EEEvT1_.numbered_sgpr, 0
	.set _ZN7rocprim17ROCPRIM_400000_NS6detail17trampoline_kernelINS0_14default_configENS1_25partition_config_selectorILNS1_17partition_subalgoE8ElNS0_10empty_typeEbEEZZNS1_14partition_implILS5_8ELb0ES3_jPlPS6_PKS6_NS0_5tupleIJS9_S6_EEENSD_IJSA_SA_EEENS0_18inequality_wrapperIZN2at6native12_GLOBAL__N_124unique_dim_cuda_templateIiEESt5tupleIJNSH_6TensorESM_SM_EERKSM_lbbbEUlllE0_EEPmJS6_EEE10hipError_tPvRmT3_T4_T5_T6_T7_T9_mT8_P12ihipStream_tbDpT10_ENKUlT_T0_E_clISt17integral_constantIbLb0EES1B_IbLb1EEEEDaS17_S18_EUlS17_E_NS1_11comp_targetILNS1_3genE5ELNS1_11target_archE942ELNS1_3gpuE9ELNS1_3repE0EEENS1_30default_config_static_selectorELNS0_4arch9wavefront6targetE0EEEvT1_.num_named_barrier, 0
	.set _ZN7rocprim17ROCPRIM_400000_NS6detail17trampoline_kernelINS0_14default_configENS1_25partition_config_selectorILNS1_17partition_subalgoE8ElNS0_10empty_typeEbEEZZNS1_14partition_implILS5_8ELb0ES3_jPlPS6_PKS6_NS0_5tupleIJS9_S6_EEENSD_IJSA_SA_EEENS0_18inequality_wrapperIZN2at6native12_GLOBAL__N_124unique_dim_cuda_templateIiEESt5tupleIJNSH_6TensorESM_SM_EERKSM_lbbbEUlllE0_EEPmJS6_EEE10hipError_tPvRmT3_T4_T5_T6_T7_T9_mT8_P12ihipStream_tbDpT10_ENKUlT_T0_E_clISt17integral_constantIbLb0EES1B_IbLb1EEEEDaS17_S18_EUlS17_E_NS1_11comp_targetILNS1_3genE5ELNS1_11target_archE942ELNS1_3gpuE9ELNS1_3repE0EEENS1_30default_config_static_selectorELNS0_4arch9wavefront6targetE0EEEvT1_.private_seg_size, 0
	.set _ZN7rocprim17ROCPRIM_400000_NS6detail17trampoline_kernelINS0_14default_configENS1_25partition_config_selectorILNS1_17partition_subalgoE8ElNS0_10empty_typeEbEEZZNS1_14partition_implILS5_8ELb0ES3_jPlPS6_PKS6_NS0_5tupleIJS9_S6_EEENSD_IJSA_SA_EEENS0_18inequality_wrapperIZN2at6native12_GLOBAL__N_124unique_dim_cuda_templateIiEESt5tupleIJNSH_6TensorESM_SM_EERKSM_lbbbEUlllE0_EEPmJS6_EEE10hipError_tPvRmT3_T4_T5_T6_T7_T9_mT8_P12ihipStream_tbDpT10_ENKUlT_T0_E_clISt17integral_constantIbLb0EES1B_IbLb1EEEEDaS17_S18_EUlS17_E_NS1_11comp_targetILNS1_3genE5ELNS1_11target_archE942ELNS1_3gpuE9ELNS1_3repE0EEENS1_30default_config_static_selectorELNS0_4arch9wavefront6targetE0EEEvT1_.uses_vcc, 0
	.set _ZN7rocprim17ROCPRIM_400000_NS6detail17trampoline_kernelINS0_14default_configENS1_25partition_config_selectorILNS1_17partition_subalgoE8ElNS0_10empty_typeEbEEZZNS1_14partition_implILS5_8ELb0ES3_jPlPS6_PKS6_NS0_5tupleIJS9_S6_EEENSD_IJSA_SA_EEENS0_18inequality_wrapperIZN2at6native12_GLOBAL__N_124unique_dim_cuda_templateIiEESt5tupleIJNSH_6TensorESM_SM_EERKSM_lbbbEUlllE0_EEPmJS6_EEE10hipError_tPvRmT3_T4_T5_T6_T7_T9_mT8_P12ihipStream_tbDpT10_ENKUlT_T0_E_clISt17integral_constantIbLb0EES1B_IbLb1EEEEDaS17_S18_EUlS17_E_NS1_11comp_targetILNS1_3genE5ELNS1_11target_archE942ELNS1_3gpuE9ELNS1_3repE0EEENS1_30default_config_static_selectorELNS0_4arch9wavefront6targetE0EEEvT1_.uses_flat_scratch, 0
	.set _ZN7rocprim17ROCPRIM_400000_NS6detail17trampoline_kernelINS0_14default_configENS1_25partition_config_selectorILNS1_17partition_subalgoE8ElNS0_10empty_typeEbEEZZNS1_14partition_implILS5_8ELb0ES3_jPlPS6_PKS6_NS0_5tupleIJS9_S6_EEENSD_IJSA_SA_EEENS0_18inequality_wrapperIZN2at6native12_GLOBAL__N_124unique_dim_cuda_templateIiEESt5tupleIJNSH_6TensorESM_SM_EERKSM_lbbbEUlllE0_EEPmJS6_EEE10hipError_tPvRmT3_T4_T5_T6_T7_T9_mT8_P12ihipStream_tbDpT10_ENKUlT_T0_E_clISt17integral_constantIbLb0EES1B_IbLb1EEEEDaS17_S18_EUlS17_E_NS1_11comp_targetILNS1_3genE5ELNS1_11target_archE942ELNS1_3gpuE9ELNS1_3repE0EEENS1_30default_config_static_selectorELNS0_4arch9wavefront6targetE0EEEvT1_.has_dyn_sized_stack, 0
	.set _ZN7rocprim17ROCPRIM_400000_NS6detail17trampoline_kernelINS0_14default_configENS1_25partition_config_selectorILNS1_17partition_subalgoE8ElNS0_10empty_typeEbEEZZNS1_14partition_implILS5_8ELb0ES3_jPlPS6_PKS6_NS0_5tupleIJS9_S6_EEENSD_IJSA_SA_EEENS0_18inequality_wrapperIZN2at6native12_GLOBAL__N_124unique_dim_cuda_templateIiEESt5tupleIJNSH_6TensorESM_SM_EERKSM_lbbbEUlllE0_EEPmJS6_EEE10hipError_tPvRmT3_T4_T5_T6_T7_T9_mT8_P12ihipStream_tbDpT10_ENKUlT_T0_E_clISt17integral_constantIbLb0EES1B_IbLb1EEEEDaS17_S18_EUlS17_E_NS1_11comp_targetILNS1_3genE5ELNS1_11target_archE942ELNS1_3gpuE9ELNS1_3repE0EEENS1_30default_config_static_selectorELNS0_4arch9wavefront6targetE0EEEvT1_.has_recursion, 0
	.set _ZN7rocprim17ROCPRIM_400000_NS6detail17trampoline_kernelINS0_14default_configENS1_25partition_config_selectorILNS1_17partition_subalgoE8ElNS0_10empty_typeEbEEZZNS1_14partition_implILS5_8ELb0ES3_jPlPS6_PKS6_NS0_5tupleIJS9_S6_EEENSD_IJSA_SA_EEENS0_18inequality_wrapperIZN2at6native12_GLOBAL__N_124unique_dim_cuda_templateIiEESt5tupleIJNSH_6TensorESM_SM_EERKSM_lbbbEUlllE0_EEPmJS6_EEE10hipError_tPvRmT3_T4_T5_T6_T7_T9_mT8_P12ihipStream_tbDpT10_ENKUlT_T0_E_clISt17integral_constantIbLb0EES1B_IbLb1EEEEDaS17_S18_EUlS17_E_NS1_11comp_targetILNS1_3genE5ELNS1_11target_archE942ELNS1_3gpuE9ELNS1_3repE0EEENS1_30default_config_static_selectorELNS0_4arch9wavefront6targetE0EEEvT1_.has_indirect_call, 0
	.section	.AMDGPU.csdata,"",@progbits
; Kernel info:
; codeLenInByte = 0
; TotalNumSgprs: 0
; NumVgprs: 0
; ScratchSize: 0
; MemoryBound: 0
; FloatMode: 240
; IeeeMode: 1
; LDSByteSize: 0 bytes/workgroup (compile time only)
; SGPRBlocks: 0
; VGPRBlocks: 0
; NumSGPRsForWavesPerEU: 1
; NumVGPRsForWavesPerEU: 1
; NamedBarCnt: 0
; Occupancy: 16
; WaveLimiterHint : 0
; COMPUTE_PGM_RSRC2:SCRATCH_EN: 0
; COMPUTE_PGM_RSRC2:USER_SGPR: 2
; COMPUTE_PGM_RSRC2:TRAP_HANDLER: 0
; COMPUTE_PGM_RSRC2:TGID_X_EN: 1
; COMPUTE_PGM_RSRC2:TGID_Y_EN: 0
; COMPUTE_PGM_RSRC2:TGID_Z_EN: 0
; COMPUTE_PGM_RSRC2:TIDIG_COMP_CNT: 0
	.section	.text._ZN7rocprim17ROCPRIM_400000_NS6detail17trampoline_kernelINS0_14default_configENS1_25partition_config_selectorILNS1_17partition_subalgoE8ElNS0_10empty_typeEbEEZZNS1_14partition_implILS5_8ELb0ES3_jPlPS6_PKS6_NS0_5tupleIJS9_S6_EEENSD_IJSA_SA_EEENS0_18inequality_wrapperIZN2at6native12_GLOBAL__N_124unique_dim_cuda_templateIiEESt5tupleIJNSH_6TensorESM_SM_EERKSM_lbbbEUlllE0_EEPmJS6_EEE10hipError_tPvRmT3_T4_T5_T6_T7_T9_mT8_P12ihipStream_tbDpT10_ENKUlT_T0_E_clISt17integral_constantIbLb0EES1B_IbLb1EEEEDaS17_S18_EUlS17_E_NS1_11comp_targetILNS1_3genE4ELNS1_11target_archE910ELNS1_3gpuE8ELNS1_3repE0EEENS1_30default_config_static_selectorELNS0_4arch9wavefront6targetE0EEEvT1_,"axG",@progbits,_ZN7rocprim17ROCPRIM_400000_NS6detail17trampoline_kernelINS0_14default_configENS1_25partition_config_selectorILNS1_17partition_subalgoE8ElNS0_10empty_typeEbEEZZNS1_14partition_implILS5_8ELb0ES3_jPlPS6_PKS6_NS0_5tupleIJS9_S6_EEENSD_IJSA_SA_EEENS0_18inequality_wrapperIZN2at6native12_GLOBAL__N_124unique_dim_cuda_templateIiEESt5tupleIJNSH_6TensorESM_SM_EERKSM_lbbbEUlllE0_EEPmJS6_EEE10hipError_tPvRmT3_T4_T5_T6_T7_T9_mT8_P12ihipStream_tbDpT10_ENKUlT_T0_E_clISt17integral_constantIbLb0EES1B_IbLb1EEEEDaS17_S18_EUlS17_E_NS1_11comp_targetILNS1_3genE4ELNS1_11target_archE910ELNS1_3gpuE8ELNS1_3repE0EEENS1_30default_config_static_selectorELNS0_4arch9wavefront6targetE0EEEvT1_,comdat
	.globl	_ZN7rocprim17ROCPRIM_400000_NS6detail17trampoline_kernelINS0_14default_configENS1_25partition_config_selectorILNS1_17partition_subalgoE8ElNS0_10empty_typeEbEEZZNS1_14partition_implILS5_8ELb0ES3_jPlPS6_PKS6_NS0_5tupleIJS9_S6_EEENSD_IJSA_SA_EEENS0_18inequality_wrapperIZN2at6native12_GLOBAL__N_124unique_dim_cuda_templateIiEESt5tupleIJNSH_6TensorESM_SM_EERKSM_lbbbEUlllE0_EEPmJS6_EEE10hipError_tPvRmT3_T4_T5_T6_T7_T9_mT8_P12ihipStream_tbDpT10_ENKUlT_T0_E_clISt17integral_constantIbLb0EES1B_IbLb1EEEEDaS17_S18_EUlS17_E_NS1_11comp_targetILNS1_3genE4ELNS1_11target_archE910ELNS1_3gpuE8ELNS1_3repE0EEENS1_30default_config_static_selectorELNS0_4arch9wavefront6targetE0EEEvT1_ ; -- Begin function _ZN7rocprim17ROCPRIM_400000_NS6detail17trampoline_kernelINS0_14default_configENS1_25partition_config_selectorILNS1_17partition_subalgoE8ElNS0_10empty_typeEbEEZZNS1_14partition_implILS5_8ELb0ES3_jPlPS6_PKS6_NS0_5tupleIJS9_S6_EEENSD_IJSA_SA_EEENS0_18inequality_wrapperIZN2at6native12_GLOBAL__N_124unique_dim_cuda_templateIiEESt5tupleIJNSH_6TensorESM_SM_EERKSM_lbbbEUlllE0_EEPmJS6_EEE10hipError_tPvRmT3_T4_T5_T6_T7_T9_mT8_P12ihipStream_tbDpT10_ENKUlT_T0_E_clISt17integral_constantIbLb0EES1B_IbLb1EEEEDaS17_S18_EUlS17_E_NS1_11comp_targetILNS1_3genE4ELNS1_11target_archE910ELNS1_3gpuE8ELNS1_3repE0EEENS1_30default_config_static_selectorELNS0_4arch9wavefront6targetE0EEEvT1_
	.p2align	8
	.type	_ZN7rocprim17ROCPRIM_400000_NS6detail17trampoline_kernelINS0_14default_configENS1_25partition_config_selectorILNS1_17partition_subalgoE8ElNS0_10empty_typeEbEEZZNS1_14partition_implILS5_8ELb0ES3_jPlPS6_PKS6_NS0_5tupleIJS9_S6_EEENSD_IJSA_SA_EEENS0_18inequality_wrapperIZN2at6native12_GLOBAL__N_124unique_dim_cuda_templateIiEESt5tupleIJNSH_6TensorESM_SM_EERKSM_lbbbEUlllE0_EEPmJS6_EEE10hipError_tPvRmT3_T4_T5_T6_T7_T9_mT8_P12ihipStream_tbDpT10_ENKUlT_T0_E_clISt17integral_constantIbLb0EES1B_IbLb1EEEEDaS17_S18_EUlS17_E_NS1_11comp_targetILNS1_3genE4ELNS1_11target_archE910ELNS1_3gpuE8ELNS1_3repE0EEENS1_30default_config_static_selectorELNS0_4arch9wavefront6targetE0EEEvT1_,@function
_ZN7rocprim17ROCPRIM_400000_NS6detail17trampoline_kernelINS0_14default_configENS1_25partition_config_selectorILNS1_17partition_subalgoE8ElNS0_10empty_typeEbEEZZNS1_14partition_implILS5_8ELb0ES3_jPlPS6_PKS6_NS0_5tupleIJS9_S6_EEENSD_IJSA_SA_EEENS0_18inequality_wrapperIZN2at6native12_GLOBAL__N_124unique_dim_cuda_templateIiEESt5tupleIJNSH_6TensorESM_SM_EERKSM_lbbbEUlllE0_EEPmJS6_EEE10hipError_tPvRmT3_T4_T5_T6_T7_T9_mT8_P12ihipStream_tbDpT10_ENKUlT_T0_E_clISt17integral_constantIbLb0EES1B_IbLb1EEEEDaS17_S18_EUlS17_E_NS1_11comp_targetILNS1_3genE4ELNS1_11target_archE910ELNS1_3gpuE8ELNS1_3repE0EEENS1_30default_config_static_selectorELNS0_4arch9wavefront6targetE0EEEvT1_: ; @_ZN7rocprim17ROCPRIM_400000_NS6detail17trampoline_kernelINS0_14default_configENS1_25partition_config_selectorILNS1_17partition_subalgoE8ElNS0_10empty_typeEbEEZZNS1_14partition_implILS5_8ELb0ES3_jPlPS6_PKS6_NS0_5tupleIJS9_S6_EEENSD_IJSA_SA_EEENS0_18inequality_wrapperIZN2at6native12_GLOBAL__N_124unique_dim_cuda_templateIiEESt5tupleIJNSH_6TensorESM_SM_EERKSM_lbbbEUlllE0_EEPmJS6_EEE10hipError_tPvRmT3_T4_T5_T6_T7_T9_mT8_P12ihipStream_tbDpT10_ENKUlT_T0_E_clISt17integral_constantIbLb0EES1B_IbLb1EEEEDaS17_S18_EUlS17_E_NS1_11comp_targetILNS1_3genE4ELNS1_11target_archE910ELNS1_3gpuE8ELNS1_3repE0EEENS1_30default_config_static_selectorELNS0_4arch9wavefront6targetE0EEEvT1_
; %bb.0:
	.section	.rodata,"a",@progbits
	.p2align	6, 0x0
	.amdhsa_kernel _ZN7rocprim17ROCPRIM_400000_NS6detail17trampoline_kernelINS0_14default_configENS1_25partition_config_selectorILNS1_17partition_subalgoE8ElNS0_10empty_typeEbEEZZNS1_14partition_implILS5_8ELb0ES3_jPlPS6_PKS6_NS0_5tupleIJS9_S6_EEENSD_IJSA_SA_EEENS0_18inequality_wrapperIZN2at6native12_GLOBAL__N_124unique_dim_cuda_templateIiEESt5tupleIJNSH_6TensorESM_SM_EERKSM_lbbbEUlllE0_EEPmJS6_EEE10hipError_tPvRmT3_T4_T5_T6_T7_T9_mT8_P12ihipStream_tbDpT10_ENKUlT_T0_E_clISt17integral_constantIbLb0EES1B_IbLb1EEEEDaS17_S18_EUlS17_E_NS1_11comp_targetILNS1_3genE4ELNS1_11target_archE910ELNS1_3gpuE8ELNS1_3repE0EEENS1_30default_config_static_selectorELNS0_4arch9wavefront6targetE0EEEvT1_
		.amdhsa_group_segment_fixed_size 0
		.amdhsa_private_segment_fixed_size 0
		.amdhsa_kernarg_size 136
		.amdhsa_user_sgpr_count 2
		.amdhsa_user_sgpr_dispatch_ptr 0
		.amdhsa_user_sgpr_queue_ptr 0
		.amdhsa_user_sgpr_kernarg_segment_ptr 1
		.amdhsa_user_sgpr_dispatch_id 0
		.amdhsa_user_sgpr_kernarg_preload_length 0
		.amdhsa_user_sgpr_kernarg_preload_offset 0
		.amdhsa_user_sgpr_private_segment_size 0
		.amdhsa_wavefront_size32 1
		.amdhsa_uses_dynamic_stack 0
		.amdhsa_enable_private_segment 0
		.amdhsa_system_sgpr_workgroup_id_x 1
		.amdhsa_system_sgpr_workgroup_id_y 0
		.amdhsa_system_sgpr_workgroup_id_z 0
		.amdhsa_system_sgpr_workgroup_info 0
		.amdhsa_system_vgpr_workitem_id 0
		.amdhsa_next_free_vgpr 1
		.amdhsa_next_free_sgpr 1
		.amdhsa_named_barrier_count 0
		.amdhsa_reserve_vcc 0
		.amdhsa_float_round_mode_32 0
		.amdhsa_float_round_mode_16_64 0
		.amdhsa_float_denorm_mode_32 3
		.amdhsa_float_denorm_mode_16_64 3
		.amdhsa_fp16_overflow 0
		.amdhsa_memory_ordered 1
		.amdhsa_forward_progress 1
		.amdhsa_inst_pref_size 0
		.amdhsa_round_robin_scheduling 0
		.amdhsa_exception_fp_ieee_invalid_op 0
		.amdhsa_exception_fp_denorm_src 0
		.amdhsa_exception_fp_ieee_div_zero 0
		.amdhsa_exception_fp_ieee_overflow 0
		.amdhsa_exception_fp_ieee_underflow 0
		.amdhsa_exception_fp_ieee_inexact 0
		.amdhsa_exception_int_div_zero 0
	.end_amdhsa_kernel
	.section	.text._ZN7rocprim17ROCPRIM_400000_NS6detail17trampoline_kernelINS0_14default_configENS1_25partition_config_selectorILNS1_17partition_subalgoE8ElNS0_10empty_typeEbEEZZNS1_14partition_implILS5_8ELb0ES3_jPlPS6_PKS6_NS0_5tupleIJS9_S6_EEENSD_IJSA_SA_EEENS0_18inequality_wrapperIZN2at6native12_GLOBAL__N_124unique_dim_cuda_templateIiEESt5tupleIJNSH_6TensorESM_SM_EERKSM_lbbbEUlllE0_EEPmJS6_EEE10hipError_tPvRmT3_T4_T5_T6_T7_T9_mT8_P12ihipStream_tbDpT10_ENKUlT_T0_E_clISt17integral_constantIbLb0EES1B_IbLb1EEEEDaS17_S18_EUlS17_E_NS1_11comp_targetILNS1_3genE4ELNS1_11target_archE910ELNS1_3gpuE8ELNS1_3repE0EEENS1_30default_config_static_selectorELNS0_4arch9wavefront6targetE0EEEvT1_,"axG",@progbits,_ZN7rocprim17ROCPRIM_400000_NS6detail17trampoline_kernelINS0_14default_configENS1_25partition_config_selectorILNS1_17partition_subalgoE8ElNS0_10empty_typeEbEEZZNS1_14partition_implILS5_8ELb0ES3_jPlPS6_PKS6_NS0_5tupleIJS9_S6_EEENSD_IJSA_SA_EEENS0_18inequality_wrapperIZN2at6native12_GLOBAL__N_124unique_dim_cuda_templateIiEESt5tupleIJNSH_6TensorESM_SM_EERKSM_lbbbEUlllE0_EEPmJS6_EEE10hipError_tPvRmT3_T4_T5_T6_T7_T9_mT8_P12ihipStream_tbDpT10_ENKUlT_T0_E_clISt17integral_constantIbLb0EES1B_IbLb1EEEEDaS17_S18_EUlS17_E_NS1_11comp_targetILNS1_3genE4ELNS1_11target_archE910ELNS1_3gpuE8ELNS1_3repE0EEENS1_30default_config_static_selectorELNS0_4arch9wavefront6targetE0EEEvT1_,comdat
.Lfunc_end467:
	.size	_ZN7rocprim17ROCPRIM_400000_NS6detail17trampoline_kernelINS0_14default_configENS1_25partition_config_selectorILNS1_17partition_subalgoE8ElNS0_10empty_typeEbEEZZNS1_14partition_implILS5_8ELb0ES3_jPlPS6_PKS6_NS0_5tupleIJS9_S6_EEENSD_IJSA_SA_EEENS0_18inequality_wrapperIZN2at6native12_GLOBAL__N_124unique_dim_cuda_templateIiEESt5tupleIJNSH_6TensorESM_SM_EERKSM_lbbbEUlllE0_EEPmJS6_EEE10hipError_tPvRmT3_T4_T5_T6_T7_T9_mT8_P12ihipStream_tbDpT10_ENKUlT_T0_E_clISt17integral_constantIbLb0EES1B_IbLb1EEEEDaS17_S18_EUlS17_E_NS1_11comp_targetILNS1_3genE4ELNS1_11target_archE910ELNS1_3gpuE8ELNS1_3repE0EEENS1_30default_config_static_selectorELNS0_4arch9wavefront6targetE0EEEvT1_, .Lfunc_end467-_ZN7rocprim17ROCPRIM_400000_NS6detail17trampoline_kernelINS0_14default_configENS1_25partition_config_selectorILNS1_17partition_subalgoE8ElNS0_10empty_typeEbEEZZNS1_14partition_implILS5_8ELb0ES3_jPlPS6_PKS6_NS0_5tupleIJS9_S6_EEENSD_IJSA_SA_EEENS0_18inequality_wrapperIZN2at6native12_GLOBAL__N_124unique_dim_cuda_templateIiEESt5tupleIJNSH_6TensorESM_SM_EERKSM_lbbbEUlllE0_EEPmJS6_EEE10hipError_tPvRmT3_T4_T5_T6_T7_T9_mT8_P12ihipStream_tbDpT10_ENKUlT_T0_E_clISt17integral_constantIbLb0EES1B_IbLb1EEEEDaS17_S18_EUlS17_E_NS1_11comp_targetILNS1_3genE4ELNS1_11target_archE910ELNS1_3gpuE8ELNS1_3repE0EEENS1_30default_config_static_selectorELNS0_4arch9wavefront6targetE0EEEvT1_
                                        ; -- End function
	.set _ZN7rocprim17ROCPRIM_400000_NS6detail17trampoline_kernelINS0_14default_configENS1_25partition_config_selectorILNS1_17partition_subalgoE8ElNS0_10empty_typeEbEEZZNS1_14partition_implILS5_8ELb0ES3_jPlPS6_PKS6_NS0_5tupleIJS9_S6_EEENSD_IJSA_SA_EEENS0_18inequality_wrapperIZN2at6native12_GLOBAL__N_124unique_dim_cuda_templateIiEESt5tupleIJNSH_6TensorESM_SM_EERKSM_lbbbEUlllE0_EEPmJS6_EEE10hipError_tPvRmT3_T4_T5_T6_T7_T9_mT8_P12ihipStream_tbDpT10_ENKUlT_T0_E_clISt17integral_constantIbLb0EES1B_IbLb1EEEEDaS17_S18_EUlS17_E_NS1_11comp_targetILNS1_3genE4ELNS1_11target_archE910ELNS1_3gpuE8ELNS1_3repE0EEENS1_30default_config_static_selectorELNS0_4arch9wavefront6targetE0EEEvT1_.num_vgpr, 0
	.set _ZN7rocprim17ROCPRIM_400000_NS6detail17trampoline_kernelINS0_14default_configENS1_25partition_config_selectorILNS1_17partition_subalgoE8ElNS0_10empty_typeEbEEZZNS1_14partition_implILS5_8ELb0ES3_jPlPS6_PKS6_NS0_5tupleIJS9_S6_EEENSD_IJSA_SA_EEENS0_18inequality_wrapperIZN2at6native12_GLOBAL__N_124unique_dim_cuda_templateIiEESt5tupleIJNSH_6TensorESM_SM_EERKSM_lbbbEUlllE0_EEPmJS6_EEE10hipError_tPvRmT3_T4_T5_T6_T7_T9_mT8_P12ihipStream_tbDpT10_ENKUlT_T0_E_clISt17integral_constantIbLb0EES1B_IbLb1EEEEDaS17_S18_EUlS17_E_NS1_11comp_targetILNS1_3genE4ELNS1_11target_archE910ELNS1_3gpuE8ELNS1_3repE0EEENS1_30default_config_static_selectorELNS0_4arch9wavefront6targetE0EEEvT1_.num_agpr, 0
	.set _ZN7rocprim17ROCPRIM_400000_NS6detail17trampoline_kernelINS0_14default_configENS1_25partition_config_selectorILNS1_17partition_subalgoE8ElNS0_10empty_typeEbEEZZNS1_14partition_implILS5_8ELb0ES3_jPlPS6_PKS6_NS0_5tupleIJS9_S6_EEENSD_IJSA_SA_EEENS0_18inequality_wrapperIZN2at6native12_GLOBAL__N_124unique_dim_cuda_templateIiEESt5tupleIJNSH_6TensorESM_SM_EERKSM_lbbbEUlllE0_EEPmJS6_EEE10hipError_tPvRmT3_T4_T5_T6_T7_T9_mT8_P12ihipStream_tbDpT10_ENKUlT_T0_E_clISt17integral_constantIbLb0EES1B_IbLb1EEEEDaS17_S18_EUlS17_E_NS1_11comp_targetILNS1_3genE4ELNS1_11target_archE910ELNS1_3gpuE8ELNS1_3repE0EEENS1_30default_config_static_selectorELNS0_4arch9wavefront6targetE0EEEvT1_.numbered_sgpr, 0
	.set _ZN7rocprim17ROCPRIM_400000_NS6detail17trampoline_kernelINS0_14default_configENS1_25partition_config_selectorILNS1_17partition_subalgoE8ElNS0_10empty_typeEbEEZZNS1_14partition_implILS5_8ELb0ES3_jPlPS6_PKS6_NS0_5tupleIJS9_S6_EEENSD_IJSA_SA_EEENS0_18inequality_wrapperIZN2at6native12_GLOBAL__N_124unique_dim_cuda_templateIiEESt5tupleIJNSH_6TensorESM_SM_EERKSM_lbbbEUlllE0_EEPmJS6_EEE10hipError_tPvRmT3_T4_T5_T6_T7_T9_mT8_P12ihipStream_tbDpT10_ENKUlT_T0_E_clISt17integral_constantIbLb0EES1B_IbLb1EEEEDaS17_S18_EUlS17_E_NS1_11comp_targetILNS1_3genE4ELNS1_11target_archE910ELNS1_3gpuE8ELNS1_3repE0EEENS1_30default_config_static_selectorELNS0_4arch9wavefront6targetE0EEEvT1_.num_named_barrier, 0
	.set _ZN7rocprim17ROCPRIM_400000_NS6detail17trampoline_kernelINS0_14default_configENS1_25partition_config_selectorILNS1_17partition_subalgoE8ElNS0_10empty_typeEbEEZZNS1_14partition_implILS5_8ELb0ES3_jPlPS6_PKS6_NS0_5tupleIJS9_S6_EEENSD_IJSA_SA_EEENS0_18inequality_wrapperIZN2at6native12_GLOBAL__N_124unique_dim_cuda_templateIiEESt5tupleIJNSH_6TensorESM_SM_EERKSM_lbbbEUlllE0_EEPmJS6_EEE10hipError_tPvRmT3_T4_T5_T6_T7_T9_mT8_P12ihipStream_tbDpT10_ENKUlT_T0_E_clISt17integral_constantIbLb0EES1B_IbLb1EEEEDaS17_S18_EUlS17_E_NS1_11comp_targetILNS1_3genE4ELNS1_11target_archE910ELNS1_3gpuE8ELNS1_3repE0EEENS1_30default_config_static_selectorELNS0_4arch9wavefront6targetE0EEEvT1_.private_seg_size, 0
	.set _ZN7rocprim17ROCPRIM_400000_NS6detail17trampoline_kernelINS0_14default_configENS1_25partition_config_selectorILNS1_17partition_subalgoE8ElNS0_10empty_typeEbEEZZNS1_14partition_implILS5_8ELb0ES3_jPlPS6_PKS6_NS0_5tupleIJS9_S6_EEENSD_IJSA_SA_EEENS0_18inequality_wrapperIZN2at6native12_GLOBAL__N_124unique_dim_cuda_templateIiEESt5tupleIJNSH_6TensorESM_SM_EERKSM_lbbbEUlllE0_EEPmJS6_EEE10hipError_tPvRmT3_T4_T5_T6_T7_T9_mT8_P12ihipStream_tbDpT10_ENKUlT_T0_E_clISt17integral_constantIbLb0EES1B_IbLb1EEEEDaS17_S18_EUlS17_E_NS1_11comp_targetILNS1_3genE4ELNS1_11target_archE910ELNS1_3gpuE8ELNS1_3repE0EEENS1_30default_config_static_selectorELNS0_4arch9wavefront6targetE0EEEvT1_.uses_vcc, 0
	.set _ZN7rocprim17ROCPRIM_400000_NS6detail17trampoline_kernelINS0_14default_configENS1_25partition_config_selectorILNS1_17partition_subalgoE8ElNS0_10empty_typeEbEEZZNS1_14partition_implILS5_8ELb0ES3_jPlPS6_PKS6_NS0_5tupleIJS9_S6_EEENSD_IJSA_SA_EEENS0_18inequality_wrapperIZN2at6native12_GLOBAL__N_124unique_dim_cuda_templateIiEESt5tupleIJNSH_6TensorESM_SM_EERKSM_lbbbEUlllE0_EEPmJS6_EEE10hipError_tPvRmT3_T4_T5_T6_T7_T9_mT8_P12ihipStream_tbDpT10_ENKUlT_T0_E_clISt17integral_constantIbLb0EES1B_IbLb1EEEEDaS17_S18_EUlS17_E_NS1_11comp_targetILNS1_3genE4ELNS1_11target_archE910ELNS1_3gpuE8ELNS1_3repE0EEENS1_30default_config_static_selectorELNS0_4arch9wavefront6targetE0EEEvT1_.uses_flat_scratch, 0
	.set _ZN7rocprim17ROCPRIM_400000_NS6detail17trampoline_kernelINS0_14default_configENS1_25partition_config_selectorILNS1_17partition_subalgoE8ElNS0_10empty_typeEbEEZZNS1_14partition_implILS5_8ELb0ES3_jPlPS6_PKS6_NS0_5tupleIJS9_S6_EEENSD_IJSA_SA_EEENS0_18inequality_wrapperIZN2at6native12_GLOBAL__N_124unique_dim_cuda_templateIiEESt5tupleIJNSH_6TensorESM_SM_EERKSM_lbbbEUlllE0_EEPmJS6_EEE10hipError_tPvRmT3_T4_T5_T6_T7_T9_mT8_P12ihipStream_tbDpT10_ENKUlT_T0_E_clISt17integral_constantIbLb0EES1B_IbLb1EEEEDaS17_S18_EUlS17_E_NS1_11comp_targetILNS1_3genE4ELNS1_11target_archE910ELNS1_3gpuE8ELNS1_3repE0EEENS1_30default_config_static_selectorELNS0_4arch9wavefront6targetE0EEEvT1_.has_dyn_sized_stack, 0
	.set _ZN7rocprim17ROCPRIM_400000_NS6detail17trampoline_kernelINS0_14default_configENS1_25partition_config_selectorILNS1_17partition_subalgoE8ElNS0_10empty_typeEbEEZZNS1_14partition_implILS5_8ELb0ES3_jPlPS6_PKS6_NS0_5tupleIJS9_S6_EEENSD_IJSA_SA_EEENS0_18inequality_wrapperIZN2at6native12_GLOBAL__N_124unique_dim_cuda_templateIiEESt5tupleIJNSH_6TensorESM_SM_EERKSM_lbbbEUlllE0_EEPmJS6_EEE10hipError_tPvRmT3_T4_T5_T6_T7_T9_mT8_P12ihipStream_tbDpT10_ENKUlT_T0_E_clISt17integral_constantIbLb0EES1B_IbLb1EEEEDaS17_S18_EUlS17_E_NS1_11comp_targetILNS1_3genE4ELNS1_11target_archE910ELNS1_3gpuE8ELNS1_3repE0EEENS1_30default_config_static_selectorELNS0_4arch9wavefront6targetE0EEEvT1_.has_recursion, 0
	.set _ZN7rocprim17ROCPRIM_400000_NS6detail17trampoline_kernelINS0_14default_configENS1_25partition_config_selectorILNS1_17partition_subalgoE8ElNS0_10empty_typeEbEEZZNS1_14partition_implILS5_8ELb0ES3_jPlPS6_PKS6_NS0_5tupleIJS9_S6_EEENSD_IJSA_SA_EEENS0_18inequality_wrapperIZN2at6native12_GLOBAL__N_124unique_dim_cuda_templateIiEESt5tupleIJNSH_6TensorESM_SM_EERKSM_lbbbEUlllE0_EEPmJS6_EEE10hipError_tPvRmT3_T4_T5_T6_T7_T9_mT8_P12ihipStream_tbDpT10_ENKUlT_T0_E_clISt17integral_constantIbLb0EES1B_IbLb1EEEEDaS17_S18_EUlS17_E_NS1_11comp_targetILNS1_3genE4ELNS1_11target_archE910ELNS1_3gpuE8ELNS1_3repE0EEENS1_30default_config_static_selectorELNS0_4arch9wavefront6targetE0EEEvT1_.has_indirect_call, 0
	.section	.AMDGPU.csdata,"",@progbits
; Kernel info:
; codeLenInByte = 0
; TotalNumSgprs: 0
; NumVgprs: 0
; ScratchSize: 0
; MemoryBound: 0
; FloatMode: 240
; IeeeMode: 1
; LDSByteSize: 0 bytes/workgroup (compile time only)
; SGPRBlocks: 0
; VGPRBlocks: 0
; NumSGPRsForWavesPerEU: 1
; NumVGPRsForWavesPerEU: 1
; NamedBarCnt: 0
; Occupancy: 16
; WaveLimiterHint : 0
; COMPUTE_PGM_RSRC2:SCRATCH_EN: 0
; COMPUTE_PGM_RSRC2:USER_SGPR: 2
; COMPUTE_PGM_RSRC2:TRAP_HANDLER: 0
; COMPUTE_PGM_RSRC2:TGID_X_EN: 1
; COMPUTE_PGM_RSRC2:TGID_Y_EN: 0
; COMPUTE_PGM_RSRC2:TGID_Z_EN: 0
; COMPUTE_PGM_RSRC2:TIDIG_COMP_CNT: 0
	.section	.text._ZN7rocprim17ROCPRIM_400000_NS6detail17trampoline_kernelINS0_14default_configENS1_25partition_config_selectorILNS1_17partition_subalgoE8ElNS0_10empty_typeEbEEZZNS1_14partition_implILS5_8ELb0ES3_jPlPS6_PKS6_NS0_5tupleIJS9_S6_EEENSD_IJSA_SA_EEENS0_18inequality_wrapperIZN2at6native12_GLOBAL__N_124unique_dim_cuda_templateIiEESt5tupleIJNSH_6TensorESM_SM_EERKSM_lbbbEUlllE0_EEPmJS6_EEE10hipError_tPvRmT3_T4_T5_T6_T7_T9_mT8_P12ihipStream_tbDpT10_ENKUlT_T0_E_clISt17integral_constantIbLb0EES1B_IbLb1EEEEDaS17_S18_EUlS17_E_NS1_11comp_targetILNS1_3genE3ELNS1_11target_archE908ELNS1_3gpuE7ELNS1_3repE0EEENS1_30default_config_static_selectorELNS0_4arch9wavefront6targetE0EEEvT1_,"axG",@progbits,_ZN7rocprim17ROCPRIM_400000_NS6detail17trampoline_kernelINS0_14default_configENS1_25partition_config_selectorILNS1_17partition_subalgoE8ElNS0_10empty_typeEbEEZZNS1_14partition_implILS5_8ELb0ES3_jPlPS6_PKS6_NS0_5tupleIJS9_S6_EEENSD_IJSA_SA_EEENS0_18inequality_wrapperIZN2at6native12_GLOBAL__N_124unique_dim_cuda_templateIiEESt5tupleIJNSH_6TensorESM_SM_EERKSM_lbbbEUlllE0_EEPmJS6_EEE10hipError_tPvRmT3_T4_T5_T6_T7_T9_mT8_P12ihipStream_tbDpT10_ENKUlT_T0_E_clISt17integral_constantIbLb0EES1B_IbLb1EEEEDaS17_S18_EUlS17_E_NS1_11comp_targetILNS1_3genE3ELNS1_11target_archE908ELNS1_3gpuE7ELNS1_3repE0EEENS1_30default_config_static_selectorELNS0_4arch9wavefront6targetE0EEEvT1_,comdat
	.globl	_ZN7rocprim17ROCPRIM_400000_NS6detail17trampoline_kernelINS0_14default_configENS1_25partition_config_selectorILNS1_17partition_subalgoE8ElNS0_10empty_typeEbEEZZNS1_14partition_implILS5_8ELb0ES3_jPlPS6_PKS6_NS0_5tupleIJS9_S6_EEENSD_IJSA_SA_EEENS0_18inequality_wrapperIZN2at6native12_GLOBAL__N_124unique_dim_cuda_templateIiEESt5tupleIJNSH_6TensorESM_SM_EERKSM_lbbbEUlllE0_EEPmJS6_EEE10hipError_tPvRmT3_T4_T5_T6_T7_T9_mT8_P12ihipStream_tbDpT10_ENKUlT_T0_E_clISt17integral_constantIbLb0EES1B_IbLb1EEEEDaS17_S18_EUlS17_E_NS1_11comp_targetILNS1_3genE3ELNS1_11target_archE908ELNS1_3gpuE7ELNS1_3repE0EEENS1_30default_config_static_selectorELNS0_4arch9wavefront6targetE0EEEvT1_ ; -- Begin function _ZN7rocprim17ROCPRIM_400000_NS6detail17trampoline_kernelINS0_14default_configENS1_25partition_config_selectorILNS1_17partition_subalgoE8ElNS0_10empty_typeEbEEZZNS1_14partition_implILS5_8ELb0ES3_jPlPS6_PKS6_NS0_5tupleIJS9_S6_EEENSD_IJSA_SA_EEENS0_18inequality_wrapperIZN2at6native12_GLOBAL__N_124unique_dim_cuda_templateIiEESt5tupleIJNSH_6TensorESM_SM_EERKSM_lbbbEUlllE0_EEPmJS6_EEE10hipError_tPvRmT3_T4_T5_T6_T7_T9_mT8_P12ihipStream_tbDpT10_ENKUlT_T0_E_clISt17integral_constantIbLb0EES1B_IbLb1EEEEDaS17_S18_EUlS17_E_NS1_11comp_targetILNS1_3genE3ELNS1_11target_archE908ELNS1_3gpuE7ELNS1_3repE0EEENS1_30default_config_static_selectorELNS0_4arch9wavefront6targetE0EEEvT1_
	.p2align	8
	.type	_ZN7rocprim17ROCPRIM_400000_NS6detail17trampoline_kernelINS0_14default_configENS1_25partition_config_selectorILNS1_17partition_subalgoE8ElNS0_10empty_typeEbEEZZNS1_14partition_implILS5_8ELb0ES3_jPlPS6_PKS6_NS0_5tupleIJS9_S6_EEENSD_IJSA_SA_EEENS0_18inequality_wrapperIZN2at6native12_GLOBAL__N_124unique_dim_cuda_templateIiEESt5tupleIJNSH_6TensorESM_SM_EERKSM_lbbbEUlllE0_EEPmJS6_EEE10hipError_tPvRmT3_T4_T5_T6_T7_T9_mT8_P12ihipStream_tbDpT10_ENKUlT_T0_E_clISt17integral_constantIbLb0EES1B_IbLb1EEEEDaS17_S18_EUlS17_E_NS1_11comp_targetILNS1_3genE3ELNS1_11target_archE908ELNS1_3gpuE7ELNS1_3repE0EEENS1_30default_config_static_selectorELNS0_4arch9wavefront6targetE0EEEvT1_,@function
_ZN7rocprim17ROCPRIM_400000_NS6detail17trampoline_kernelINS0_14default_configENS1_25partition_config_selectorILNS1_17partition_subalgoE8ElNS0_10empty_typeEbEEZZNS1_14partition_implILS5_8ELb0ES3_jPlPS6_PKS6_NS0_5tupleIJS9_S6_EEENSD_IJSA_SA_EEENS0_18inequality_wrapperIZN2at6native12_GLOBAL__N_124unique_dim_cuda_templateIiEESt5tupleIJNSH_6TensorESM_SM_EERKSM_lbbbEUlllE0_EEPmJS6_EEE10hipError_tPvRmT3_T4_T5_T6_T7_T9_mT8_P12ihipStream_tbDpT10_ENKUlT_T0_E_clISt17integral_constantIbLb0EES1B_IbLb1EEEEDaS17_S18_EUlS17_E_NS1_11comp_targetILNS1_3genE3ELNS1_11target_archE908ELNS1_3gpuE7ELNS1_3repE0EEENS1_30default_config_static_selectorELNS0_4arch9wavefront6targetE0EEEvT1_: ; @_ZN7rocprim17ROCPRIM_400000_NS6detail17trampoline_kernelINS0_14default_configENS1_25partition_config_selectorILNS1_17partition_subalgoE8ElNS0_10empty_typeEbEEZZNS1_14partition_implILS5_8ELb0ES3_jPlPS6_PKS6_NS0_5tupleIJS9_S6_EEENSD_IJSA_SA_EEENS0_18inequality_wrapperIZN2at6native12_GLOBAL__N_124unique_dim_cuda_templateIiEESt5tupleIJNSH_6TensorESM_SM_EERKSM_lbbbEUlllE0_EEPmJS6_EEE10hipError_tPvRmT3_T4_T5_T6_T7_T9_mT8_P12ihipStream_tbDpT10_ENKUlT_T0_E_clISt17integral_constantIbLb0EES1B_IbLb1EEEEDaS17_S18_EUlS17_E_NS1_11comp_targetILNS1_3genE3ELNS1_11target_archE908ELNS1_3gpuE7ELNS1_3repE0EEENS1_30default_config_static_selectorELNS0_4arch9wavefront6targetE0EEEvT1_
; %bb.0:
	.section	.rodata,"a",@progbits
	.p2align	6, 0x0
	.amdhsa_kernel _ZN7rocprim17ROCPRIM_400000_NS6detail17trampoline_kernelINS0_14default_configENS1_25partition_config_selectorILNS1_17partition_subalgoE8ElNS0_10empty_typeEbEEZZNS1_14partition_implILS5_8ELb0ES3_jPlPS6_PKS6_NS0_5tupleIJS9_S6_EEENSD_IJSA_SA_EEENS0_18inequality_wrapperIZN2at6native12_GLOBAL__N_124unique_dim_cuda_templateIiEESt5tupleIJNSH_6TensorESM_SM_EERKSM_lbbbEUlllE0_EEPmJS6_EEE10hipError_tPvRmT3_T4_T5_T6_T7_T9_mT8_P12ihipStream_tbDpT10_ENKUlT_T0_E_clISt17integral_constantIbLb0EES1B_IbLb1EEEEDaS17_S18_EUlS17_E_NS1_11comp_targetILNS1_3genE3ELNS1_11target_archE908ELNS1_3gpuE7ELNS1_3repE0EEENS1_30default_config_static_selectorELNS0_4arch9wavefront6targetE0EEEvT1_
		.amdhsa_group_segment_fixed_size 0
		.amdhsa_private_segment_fixed_size 0
		.amdhsa_kernarg_size 136
		.amdhsa_user_sgpr_count 2
		.amdhsa_user_sgpr_dispatch_ptr 0
		.amdhsa_user_sgpr_queue_ptr 0
		.amdhsa_user_sgpr_kernarg_segment_ptr 1
		.amdhsa_user_sgpr_dispatch_id 0
		.amdhsa_user_sgpr_kernarg_preload_length 0
		.amdhsa_user_sgpr_kernarg_preload_offset 0
		.amdhsa_user_sgpr_private_segment_size 0
		.amdhsa_wavefront_size32 1
		.amdhsa_uses_dynamic_stack 0
		.amdhsa_enable_private_segment 0
		.amdhsa_system_sgpr_workgroup_id_x 1
		.amdhsa_system_sgpr_workgroup_id_y 0
		.amdhsa_system_sgpr_workgroup_id_z 0
		.amdhsa_system_sgpr_workgroup_info 0
		.amdhsa_system_vgpr_workitem_id 0
		.amdhsa_next_free_vgpr 1
		.amdhsa_next_free_sgpr 1
		.amdhsa_named_barrier_count 0
		.amdhsa_reserve_vcc 0
		.amdhsa_float_round_mode_32 0
		.amdhsa_float_round_mode_16_64 0
		.amdhsa_float_denorm_mode_32 3
		.amdhsa_float_denorm_mode_16_64 3
		.amdhsa_fp16_overflow 0
		.amdhsa_memory_ordered 1
		.amdhsa_forward_progress 1
		.amdhsa_inst_pref_size 0
		.amdhsa_round_robin_scheduling 0
		.amdhsa_exception_fp_ieee_invalid_op 0
		.amdhsa_exception_fp_denorm_src 0
		.amdhsa_exception_fp_ieee_div_zero 0
		.amdhsa_exception_fp_ieee_overflow 0
		.amdhsa_exception_fp_ieee_underflow 0
		.amdhsa_exception_fp_ieee_inexact 0
		.amdhsa_exception_int_div_zero 0
	.end_amdhsa_kernel
	.section	.text._ZN7rocprim17ROCPRIM_400000_NS6detail17trampoline_kernelINS0_14default_configENS1_25partition_config_selectorILNS1_17partition_subalgoE8ElNS0_10empty_typeEbEEZZNS1_14partition_implILS5_8ELb0ES3_jPlPS6_PKS6_NS0_5tupleIJS9_S6_EEENSD_IJSA_SA_EEENS0_18inequality_wrapperIZN2at6native12_GLOBAL__N_124unique_dim_cuda_templateIiEESt5tupleIJNSH_6TensorESM_SM_EERKSM_lbbbEUlllE0_EEPmJS6_EEE10hipError_tPvRmT3_T4_T5_T6_T7_T9_mT8_P12ihipStream_tbDpT10_ENKUlT_T0_E_clISt17integral_constantIbLb0EES1B_IbLb1EEEEDaS17_S18_EUlS17_E_NS1_11comp_targetILNS1_3genE3ELNS1_11target_archE908ELNS1_3gpuE7ELNS1_3repE0EEENS1_30default_config_static_selectorELNS0_4arch9wavefront6targetE0EEEvT1_,"axG",@progbits,_ZN7rocprim17ROCPRIM_400000_NS6detail17trampoline_kernelINS0_14default_configENS1_25partition_config_selectorILNS1_17partition_subalgoE8ElNS0_10empty_typeEbEEZZNS1_14partition_implILS5_8ELb0ES3_jPlPS6_PKS6_NS0_5tupleIJS9_S6_EEENSD_IJSA_SA_EEENS0_18inequality_wrapperIZN2at6native12_GLOBAL__N_124unique_dim_cuda_templateIiEESt5tupleIJNSH_6TensorESM_SM_EERKSM_lbbbEUlllE0_EEPmJS6_EEE10hipError_tPvRmT3_T4_T5_T6_T7_T9_mT8_P12ihipStream_tbDpT10_ENKUlT_T0_E_clISt17integral_constantIbLb0EES1B_IbLb1EEEEDaS17_S18_EUlS17_E_NS1_11comp_targetILNS1_3genE3ELNS1_11target_archE908ELNS1_3gpuE7ELNS1_3repE0EEENS1_30default_config_static_selectorELNS0_4arch9wavefront6targetE0EEEvT1_,comdat
.Lfunc_end468:
	.size	_ZN7rocprim17ROCPRIM_400000_NS6detail17trampoline_kernelINS0_14default_configENS1_25partition_config_selectorILNS1_17partition_subalgoE8ElNS0_10empty_typeEbEEZZNS1_14partition_implILS5_8ELb0ES3_jPlPS6_PKS6_NS0_5tupleIJS9_S6_EEENSD_IJSA_SA_EEENS0_18inequality_wrapperIZN2at6native12_GLOBAL__N_124unique_dim_cuda_templateIiEESt5tupleIJNSH_6TensorESM_SM_EERKSM_lbbbEUlllE0_EEPmJS6_EEE10hipError_tPvRmT3_T4_T5_T6_T7_T9_mT8_P12ihipStream_tbDpT10_ENKUlT_T0_E_clISt17integral_constantIbLb0EES1B_IbLb1EEEEDaS17_S18_EUlS17_E_NS1_11comp_targetILNS1_3genE3ELNS1_11target_archE908ELNS1_3gpuE7ELNS1_3repE0EEENS1_30default_config_static_selectorELNS0_4arch9wavefront6targetE0EEEvT1_, .Lfunc_end468-_ZN7rocprim17ROCPRIM_400000_NS6detail17trampoline_kernelINS0_14default_configENS1_25partition_config_selectorILNS1_17partition_subalgoE8ElNS0_10empty_typeEbEEZZNS1_14partition_implILS5_8ELb0ES3_jPlPS6_PKS6_NS0_5tupleIJS9_S6_EEENSD_IJSA_SA_EEENS0_18inequality_wrapperIZN2at6native12_GLOBAL__N_124unique_dim_cuda_templateIiEESt5tupleIJNSH_6TensorESM_SM_EERKSM_lbbbEUlllE0_EEPmJS6_EEE10hipError_tPvRmT3_T4_T5_T6_T7_T9_mT8_P12ihipStream_tbDpT10_ENKUlT_T0_E_clISt17integral_constantIbLb0EES1B_IbLb1EEEEDaS17_S18_EUlS17_E_NS1_11comp_targetILNS1_3genE3ELNS1_11target_archE908ELNS1_3gpuE7ELNS1_3repE0EEENS1_30default_config_static_selectorELNS0_4arch9wavefront6targetE0EEEvT1_
                                        ; -- End function
	.set _ZN7rocprim17ROCPRIM_400000_NS6detail17trampoline_kernelINS0_14default_configENS1_25partition_config_selectorILNS1_17partition_subalgoE8ElNS0_10empty_typeEbEEZZNS1_14partition_implILS5_8ELb0ES3_jPlPS6_PKS6_NS0_5tupleIJS9_S6_EEENSD_IJSA_SA_EEENS0_18inequality_wrapperIZN2at6native12_GLOBAL__N_124unique_dim_cuda_templateIiEESt5tupleIJNSH_6TensorESM_SM_EERKSM_lbbbEUlllE0_EEPmJS6_EEE10hipError_tPvRmT3_T4_T5_T6_T7_T9_mT8_P12ihipStream_tbDpT10_ENKUlT_T0_E_clISt17integral_constantIbLb0EES1B_IbLb1EEEEDaS17_S18_EUlS17_E_NS1_11comp_targetILNS1_3genE3ELNS1_11target_archE908ELNS1_3gpuE7ELNS1_3repE0EEENS1_30default_config_static_selectorELNS0_4arch9wavefront6targetE0EEEvT1_.num_vgpr, 0
	.set _ZN7rocprim17ROCPRIM_400000_NS6detail17trampoline_kernelINS0_14default_configENS1_25partition_config_selectorILNS1_17partition_subalgoE8ElNS0_10empty_typeEbEEZZNS1_14partition_implILS5_8ELb0ES3_jPlPS6_PKS6_NS0_5tupleIJS9_S6_EEENSD_IJSA_SA_EEENS0_18inequality_wrapperIZN2at6native12_GLOBAL__N_124unique_dim_cuda_templateIiEESt5tupleIJNSH_6TensorESM_SM_EERKSM_lbbbEUlllE0_EEPmJS6_EEE10hipError_tPvRmT3_T4_T5_T6_T7_T9_mT8_P12ihipStream_tbDpT10_ENKUlT_T0_E_clISt17integral_constantIbLb0EES1B_IbLb1EEEEDaS17_S18_EUlS17_E_NS1_11comp_targetILNS1_3genE3ELNS1_11target_archE908ELNS1_3gpuE7ELNS1_3repE0EEENS1_30default_config_static_selectorELNS0_4arch9wavefront6targetE0EEEvT1_.num_agpr, 0
	.set _ZN7rocprim17ROCPRIM_400000_NS6detail17trampoline_kernelINS0_14default_configENS1_25partition_config_selectorILNS1_17partition_subalgoE8ElNS0_10empty_typeEbEEZZNS1_14partition_implILS5_8ELb0ES3_jPlPS6_PKS6_NS0_5tupleIJS9_S6_EEENSD_IJSA_SA_EEENS0_18inequality_wrapperIZN2at6native12_GLOBAL__N_124unique_dim_cuda_templateIiEESt5tupleIJNSH_6TensorESM_SM_EERKSM_lbbbEUlllE0_EEPmJS6_EEE10hipError_tPvRmT3_T4_T5_T6_T7_T9_mT8_P12ihipStream_tbDpT10_ENKUlT_T0_E_clISt17integral_constantIbLb0EES1B_IbLb1EEEEDaS17_S18_EUlS17_E_NS1_11comp_targetILNS1_3genE3ELNS1_11target_archE908ELNS1_3gpuE7ELNS1_3repE0EEENS1_30default_config_static_selectorELNS0_4arch9wavefront6targetE0EEEvT1_.numbered_sgpr, 0
	.set _ZN7rocprim17ROCPRIM_400000_NS6detail17trampoline_kernelINS0_14default_configENS1_25partition_config_selectorILNS1_17partition_subalgoE8ElNS0_10empty_typeEbEEZZNS1_14partition_implILS5_8ELb0ES3_jPlPS6_PKS6_NS0_5tupleIJS9_S6_EEENSD_IJSA_SA_EEENS0_18inequality_wrapperIZN2at6native12_GLOBAL__N_124unique_dim_cuda_templateIiEESt5tupleIJNSH_6TensorESM_SM_EERKSM_lbbbEUlllE0_EEPmJS6_EEE10hipError_tPvRmT3_T4_T5_T6_T7_T9_mT8_P12ihipStream_tbDpT10_ENKUlT_T0_E_clISt17integral_constantIbLb0EES1B_IbLb1EEEEDaS17_S18_EUlS17_E_NS1_11comp_targetILNS1_3genE3ELNS1_11target_archE908ELNS1_3gpuE7ELNS1_3repE0EEENS1_30default_config_static_selectorELNS0_4arch9wavefront6targetE0EEEvT1_.num_named_barrier, 0
	.set _ZN7rocprim17ROCPRIM_400000_NS6detail17trampoline_kernelINS0_14default_configENS1_25partition_config_selectorILNS1_17partition_subalgoE8ElNS0_10empty_typeEbEEZZNS1_14partition_implILS5_8ELb0ES3_jPlPS6_PKS6_NS0_5tupleIJS9_S6_EEENSD_IJSA_SA_EEENS0_18inequality_wrapperIZN2at6native12_GLOBAL__N_124unique_dim_cuda_templateIiEESt5tupleIJNSH_6TensorESM_SM_EERKSM_lbbbEUlllE0_EEPmJS6_EEE10hipError_tPvRmT3_T4_T5_T6_T7_T9_mT8_P12ihipStream_tbDpT10_ENKUlT_T0_E_clISt17integral_constantIbLb0EES1B_IbLb1EEEEDaS17_S18_EUlS17_E_NS1_11comp_targetILNS1_3genE3ELNS1_11target_archE908ELNS1_3gpuE7ELNS1_3repE0EEENS1_30default_config_static_selectorELNS0_4arch9wavefront6targetE0EEEvT1_.private_seg_size, 0
	.set _ZN7rocprim17ROCPRIM_400000_NS6detail17trampoline_kernelINS0_14default_configENS1_25partition_config_selectorILNS1_17partition_subalgoE8ElNS0_10empty_typeEbEEZZNS1_14partition_implILS5_8ELb0ES3_jPlPS6_PKS6_NS0_5tupleIJS9_S6_EEENSD_IJSA_SA_EEENS0_18inequality_wrapperIZN2at6native12_GLOBAL__N_124unique_dim_cuda_templateIiEESt5tupleIJNSH_6TensorESM_SM_EERKSM_lbbbEUlllE0_EEPmJS6_EEE10hipError_tPvRmT3_T4_T5_T6_T7_T9_mT8_P12ihipStream_tbDpT10_ENKUlT_T0_E_clISt17integral_constantIbLb0EES1B_IbLb1EEEEDaS17_S18_EUlS17_E_NS1_11comp_targetILNS1_3genE3ELNS1_11target_archE908ELNS1_3gpuE7ELNS1_3repE0EEENS1_30default_config_static_selectorELNS0_4arch9wavefront6targetE0EEEvT1_.uses_vcc, 0
	.set _ZN7rocprim17ROCPRIM_400000_NS6detail17trampoline_kernelINS0_14default_configENS1_25partition_config_selectorILNS1_17partition_subalgoE8ElNS0_10empty_typeEbEEZZNS1_14partition_implILS5_8ELb0ES3_jPlPS6_PKS6_NS0_5tupleIJS9_S6_EEENSD_IJSA_SA_EEENS0_18inequality_wrapperIZN2at6native12_GLOBAL__N_124unique_dim_cuda_templateIiEESt5tupleIJNSH_6TensorESM_SM_EERKSM_lbbbEUlllE0_EEPmJS6_EEE10hipError_tPvRmT3_T4_T5_T6_T7_T9_mT8_P12ihipStream_tbDpT10_ENKUlT_T0_E_clISt17integral_constantIbLb0EES1B_IbLb1EEEEDaS17_S18_EUlS17_E_NS1_11comp_targetILNS1_3genE3ELNS1_11target_archE908ELNS1_3gpuE7ELNS1_3repE0EEENS1_30default_config_static_selectorELNS0_4arch9wavefront6targetE0EEEvT1_.uses_flat_scratch, 0
	.set _ZN7rocprim17ROCPRIM_400000_NS6detail17trampoline_kernelINS0_14default_configENS1_25partition_config_selectorILNS1_17partition_subalgoE8ElNS0_10empty_typeEbEEZZNS1_14partition_implILS5_8ELb0ES3_jPlPS6_PKS6_NS0_5tupleIJS9_S6_EEENSD_IJSA_SA_EEENS0_18inequality_wrapperIZN2at6native12_GLOBAL__N_124unique_dim_cuda_templateIiEESt5tupleIJNSH_6TensorESM_SM_EERKSM_lbbbEUlllE0_EEPmJS6_EEE10hipError_tPvRmT3_T4_T5_T6_T7_T9_mT8_P12ihipStream_tbDpT10_ENKUlT_T0_E_clISt17integral_constantIbLb0EES1B_IbLb1EEEEDaS17_S18_EUlS17_E_NS1_11comp_targetILNS1_3genE3ELNS1_11target_archE908ELNS1_3gpuE7ELNS1_3repE0EEENS1_30default_config_static_selectorELNS0_4arch9wavefront6targetE0EEEvT1_.has_dyn_sized_stack, 0
	.set _ZN7rocprim17ROCPRIM_400000_NS6detail17trampoline_kernelINS0_14default_configENS1_25partition_config_selectorILNS1_17partition_subalgoE8ElNS0_10empty_typeEbEEZZNS1_14partition_implILS5_8ELb0ES3_jPlPS6_PKS6_NS0_5tupleIJS9_S6_EEENSD_IJSA_SA_EEENS0_18inequality_wrapperIZN2at6native12_GLOBAL__N_124unique_dim_cuda_templateIiEESt5tupleIJNSH_6TensorESM_SM_EERKSM_lbbbEUlllE0_EEPmJS6_EEE10hipError_tPvRmT3_T4_T5_T6_T7_T9_mT8_P12ihipStream_tbDpT10_ENKUlT_T0_E_clISt17integral_constantIbLb0EES1B_IbLb1EEEEDaS17_S18_EUlS17_E_NS1_11comp_targetILNS1_3genE3ELNS1_11target_archE908ELNS1_3gpuE7ELNS1_3repE0EEENS1_30default_config_static_selectorELNS0_4arch9wavefront6targetE0EEEvT1_.has_recursion, 0
	.set _ZN7rocprim17ROCPRIM_400000_NS6detail17trampoline_kernelINS0_14default_configENS1_25partition_config_selectorILNS1_17partition_subalgoE8ElNS0_10empty_typeEbEEZZNS1_14partition_implILS5_8ELb0ES3_jPlPS6_PKS6_NS0_5tupleIJS9_S6_EEENSD_IJSA_SA_EEENS0_18inequality_wrapperIZN2at6native12_GLOBAL__N_124unique_dim_cuda_templateIiEESt5tupleIJNSH_6TensorESM_SM_EERKSM_lbbbEUlllE0_EEPmJS6_EEE10hipError_tPvRmT3_T4_T5_T6_T7_T9_mT8_P12ihipStream_tbDpT10_ENKUlT_T0_E_clISt17integral_constantIbLb0EES1B_IbLb1EEEEDaS17_S18_EUlS17_E_NS1_11comp_targetILNS1_3genE3ELNS1_11target_archE908ELNS1_3gpuE7ELNS1_3repE0EEENS1_30default_config_static_selectorELNS0_4arch9wavefront6targetE0EEEvT1_.has_indirect_call, 0
	.section	.AMDGPU.csdata,"",@progbits
; Kernel info:
; codeLenInByte = 0
; TotalNumSgprs: 0
; NumVgprs: 0
; ScratchSize: 0
; MemoryBound: 0
; FloatMode: 240
; IeeeMode: 1
; LDSByteSize: 0 bytes/workgroup (compile time only)
; SGPRBlocks: 0
; VGPRBlocks: 0
; NumSGPRsForWavesPerEU: 1
; NumVGPRsForWavesPerEU: 1
; NamedBarCnt: 0
; Occupancy: 16
; WaveLimiterHint : 0
; COMPUTE_PGM_RSRC2:SCRATCH_EN: 0
; COMPUTE_PGM_RSRC2:USER_SGPR: 2
; COMPUTE_PGM_RSRC2:TRAP_HANDLER: 0
; COMPUTE_PGM_RSRC2:TGID_X_EN: 1
; COMPUTE_PGM_RSRC2:TGID_Y_EN: 0
; COMPUTE_PGM_RSRC2:TGID_Z_EN: 0
; COMPUTE_PGM_RSRC2:TIDIG_COMP_CNT: 0
	.section	.text._ZN7rocprim17ROCPRIM_400000_NS6detail17trampoline_kernelINS0_14default_configENS1_25partition_config_selectorILNS1_17partition_subalgoE8ElNS0_10empty_typeEbEEZZNS1_14partition_implILS5_8ELb0ES3_jPlPS6_PKS6_NS0_5tupleIJS9_S6_EEENSD_IJSA_SA_EEENS0_18inequality_wrapperIZN2at6native12_GLOBAL__N_124unique_dim_cuda_templateIiEESt5tupleIJNSH_6TensorESM_SM_EERKSM_lbbbEUlllE0_EEPmJS6_EEE10hipError_tPvRmT3_T4_T5_T6_T7_T9_mT8_P12ihipStream_tbDpT10_ENKUlT_T0_E_clISt17integral_constantIbLb0EES1B_IbLb1EEEEDaS17_S18_EUlS17_E_NS1_11comp_targetILNS1_3genE2ELNS1_11target_archE906ELNS1_3gpuE6ELNS1_3repE0EEENS1_30default_config_static_selectorELNS0_4arch9wavefront6targetE0EEEvT1_,"axG",@progbits,_ZN7rocprim17ROCPRIM_400000_NS6detail17trampoline_kernelINS0_14default_configENS1_25partition_config_selectorILNS1_17partition_subalgoE8ElNS0_10empty_typeEbEEZZNS1_14partition_implILS5_8ELb0ES3_jPlPS6_PKS6_NS0_5tupleIJS9_S6_EEENSD_IJSA_SA_EEENS0_18inequality_wrapperIZN2at6native12_GLOBAL__N_124unique_dim_cuda_templateIiEESt5tupleIJNSH_6TensorESM_SM_EERKSM_lbbbEUlllE0_EEPmJS6_EEE10hipError_tPvRmT3_T4_T5_T6_T7_T9_mT8_P12ihipStream_tbDpT10_ENKUlT_T0_E_clISt17integral_constantIbLb0EES1B_IbLb1EEEEDaS17_S18_EUlS17_E_NS1_11comp_targetILNS1_3genE2ELNS1_11target_archE906ELNS1_3gpuE6ELNS1_3repE0EEENS1_30default_config_static_selectorELNS0_4arch9wavefront6targetE0EEEvT1_,comdat
	.globl	_ZN7rocprim17ROCPRIM_400000_NS6detail17trampoline_kernelINS0_14default_configENS1_25partition_config_selectorILNS1_17partition_subalgoE8ElNS0_10empty_typeEbEEZZNS1_14partition_implILS5_8ELb0ES3_jPlPS6_PKS6_NS0_5tupleIJS9_S6_EEENSD_IJSA_SA_EEENS0_18inequality_wrapperIZN2at6native12_GLOBAL__N_124unique_dim_cuda_templateIiEESt5tupleIJNSH_6TensorESM_SM_EERKSM_lbbbEUlllE0_EEPmJS6_EEE10hipError_tPvRmT3_T4_T5_T6_T7_T9_mT8_P12ihipStream_tbDpT10_ENKUlT_T0_E_clISt17integral_constantIbLb0EES1B_IbLb1EEEEDaS17_S18_EUlS17_E_NS1_11comp_targetILNS1_3genE2ELNS1_11target_archE906ELNS1_3gpuE6ELNS1_3repE0EEENS1_30default_config_static_selectorELNS0_4arch9wavefront6targetE0EEEvT1_ ; -- Begin function _ZN7rocprim17ROCPRIM_400000_NS6detail17trampoline_kernelINS0_14default_configENS1_25partition_config_selectorILNS1_17partition_subalgoE8ElNS0_10empty_typeEbEEZZNS1_14partition_implILS5_8ELb0ES3_jPlPS6_PKS6_NS0_5tupleIJS9_S6_EEENSD_IJSA_SA_EEENS0_18inequality_wrapperIZN2at6native12_GLOBAL__N_124unique_dim_cuda_templateIiEESt5tupleIJNSH_6TensorESM_SM_EERKSM_lbbbEUlllE0_EEPmJS6_EEE10hipError_tPvRmT3_T4_T5_T6_T7_T9_mT8_P12ihipStream_tbDpT10_ENKUlT_T0_E_clISt17integral_constantIbLb0EES1B_IbLb1EEEEDaS17_S18_EUlS17_E_NS1_11comp_targetILNS1_3genE2ELNS1_11target_archE906ELNS1_3gpuE6ELNS1_3repE0EEENS1_30default_config_static_selectorELNS0_4arch9wavefront6targetE0EEEvT1_
	.p2align	8
	.type	_ZN7rocprim17ROCPRIM_400000_NS6detail17trampoline_kernelINS0_14default_configENS1_25partition_config_selectorILNS1_17partition_subalgoE8ElNS0_10empty_typeEbEEZZNS1_14partition_implILS5_8ELb0ES3_jPlPS6_PKS6_NS0_5tupleIJS9_S6_EEENSD_IJSA_SA_EEENS0_18inequality_wrapperIZN2at6native12_GLOBAL__N_124unique_dim_cuda_templateIiEESt5tupleIJNSH_6TensorESM_SM_EERKSM_lbbbEUlllE0_EEPmJS6_EEE10hipError_tPvRmT3_T4_T5_T6_T7_T9_mT8_P12ihipStream_tbDpT10_ENKUlT_T0_E_clISt17integral_constantIbLb0EES1B_IbLb1EEEEDaS17_S18_EUlS17_E_NS1_11comp_targetILNS1_3genE2ELNS1_11target_archE906ELNS1_3gpuE6ELNS1_3repE0EEENS1_30default_config_static_selectorELNS0_4arch9wavefront6targetE0EEEvT1_,@function
_ZN7rocprim17ROCPRIM_400000_NS6detail17trampoline_kernelINS0_14default_configENS1_25partition_config_selectorILNS1_17partition_subalgoE8ElNS0_10empty_typeEbEEZZNS1_14partition_implILS5_8ELb0ES3_jPlPS6_PKS6_NS0_5tupleIJS9_S6_EEENSD_IJSA_SA_EEENS0_18inequality_wrapperIZN2at6native12_GLOBAL__N_124unique_dim_cuda_templateIiEESt5tupleIJNSH_6TensorESM_SM_EERKSM_lbbbEUlllE0_EEPmJS6_EEE10hipError_tPvRmT3_T4_T5_T6_T7_T9_mT8_P12ihipStream_tbDpT10_ENKUlT_T0_E_clISt17integral_constantIbLb0EES1B_IbLb1EEEEDaS17_S18_EUlS17_E_NS1_11comp_targetILNS1_3genE2ELNS1_11target_archE906ELNS1_3gpuE6ELNS1_3repE0EEENS1_30default_config_static_selectorELNS0_4arch9wavefront6targetE0EEEvT1_: ; @_ZN7rocprim17ROCPRIM_400000_NS6detail17trampoline_kernelINS0_14default_configENS1_25partition_config_selectorILNS1_17partition_subalgoE8ElNS0_10empty_typeEbEEZZNS1_14partition_implILS5_8ELb0ES3_jPlPS6_PKS6_NS0_5tupleIJS9_S6_EEENSD_IJSA_SA_EEENS0_18inequality_wrapperIZN2at6native12_GLOBAL__N_124unique_dim_cuda_templateIiEESt5tupleIJNSH_6TensorESM_SM_EERKSM_lbbbEUlllE0_EEPmJS6_EEE10hipError_tPvRmT3_T4_T5_T6_T7_T9_mT8_P12ihipStream_tbDpT10_ENKUlT_T0_E_clISt17integral_constantIbLb0EES1B_IbLb1EEEEDaS17_S18_EUlS17_E_NS1_11comp_targetILNS1_3genE2ELNS1_11target_archE906ELNS1_3gpuE6ELNS1_3repE0EEENS1_30default_config_static_selectorELNS0_4arch9wavefront6targetE0EEEvT1_
; %bb.0:
	.section	.rodata,"a",@progbits
	.p2align	6, 0x0
	.amdhsa_kernel _ZN7rocprim17ROCPRIM_400000_NS6detail17trampoline_kernelINS0_14default_configENS1_25partition_config_selectorILNS1_17partition_subalgoE8ElNS0_10empty_typeEbEEZZNS1_14partition_implILS5_8ELb0ES3_jPlPS6_PKS6_NS0_5tupleIJS9_S6_EEENSD_IJSA_SA_EEENS0_18inequality_wrapperIZN2at6native12_GLOBAL__N_124unique_dim_cuda_templateIiEESt5tupleIJNSH_6TensorESM_SM_EERKSM_lbbbEUlllE0_EEPmJS6_EEE10hipError_tPvRmT3_T4_T5_T6_T7_T9_mT8_P12ihipStream_tbDpT10_ENKUlT_T0_E_clISt17integral_constantIbLb0EES1B_IbLb1EEEEDaS17_S18_EUlS17_E_NS1_11comp_targetILNS1_3genE2ELNS1_11target_archE906ELNS1_3gpuE6ELNS1_3repE0EEENS1_30default_config_static_selectorELNS0_4arch9wavefront6targetE0EEEvT1_
		.amdhsa_group_segment_fixed_size 0
		.amdhsa_private_segment_fixed_size 0
		.amdhsa_kernarg_size 136
		.amdhsa_user_sgpr_count 2
		.amdhsa_user_sgpr_dispatch_ptr 0
		.amdhsa_user_sgpr_queue_ptr 0
		.amdhsa_user_sgpr_kernarg_segment_ptr 1
		.amdhsa_user_sgpr_dispatch_id 0
		.amdhsa_user_sgpr_kernarg_preload_length 0
		.amdhsa_user_sgpr_kernarg_preload_offset 0
		.amdhsa_user_sgpr_private_segment_size 0
		.amdhsa_wavefront_size32 1
		.amdhsa_uses_dynamic_stack 0
		.amdhsa_enable_private_segment 0
		.amdhsa_system_sgpr_workgroup_id_x 1
		.amdhsa_system_sgpr_workgroup_id_y 0
		.amdhsa_system_sgpr_workgroup_id_z 0
		.amdhsa_system_sgpr_workgroup_info 0
		.amdhsa_system_vgpr_workitem_id 0
		.amdhsa_next_free_vgpr 1
		.amdhsa_next_free_sgpr 1
		.amdhsa_named_barrier_count 0
		.amdhsa_reserve_vcc 0
		.amdhsa_float_round_mode_32 0
		.amdhsa_float_round_mode_16_64 0
		.amdhsa_float_denorm_mode_32 3
		.amdhsa_float_denorm_mode_16_64 3
		.amdhsa_fp16_overflow 0
		.amdhsa_memory_ordered 1
		.amdhsa_forward_progress 1
		.amdhsa_inst_pref_size 0
		.amdhsa_round_robin_scheduling 0
		.amdhsa_exception_fp_ieee_invalid_op 0
		.amdhsa_exception_fp_denorm_src 0
		.amdhsa_exception_fp_ieee_div_zero 0
		.amdhsa_exception_fp_ieee_overflow 0
		.amdhsa_exception_fp_ieee_underflow 0
		.amdhsa_exception_fp_ieee_inexact 0
		.amdhsa_exception_int_div_zero 0
	.end_amdhsa_kernel
	.section	.text._ZN7rocprim17ROCPRIM_400000_NS6detail17trampoline_kernelINS0_14default_configENS1_25partition_config_selectorILNS1_17partition_subalgoE8ElNS0_10empty_typeEbEEZZNS1_14partition_implILS5_8ELb0ES3_jPlPS6_PKS6_NS0_5tupleIJS9_S6_EEENSD_IJSA_SA_EEENS0_18inequality_wrapperIZN2at6native12_GLOBAL__N_124unique_dim_cuda_templateIiEESt5tupleIJNSH_6TensorESM_SM_EERKSM_lbbbEUlllE0_EEPmJS6_EEE10hipError_tPvRmT3_T4_T5_T6_T7_T9_mT8_P12ihipStream_tbDpT10_ENKUlT_T0_E_clISt17integral_constantIbLb0EES1B_IbLb1EEEEDaS17_S18_EUlS17_E_NS1_11comp_targetILNS1_3genE2ELNS1_11target_archE906ELNS1_3gpuE6ELNS1_3repE0EEENS1_30default_config_static_selectorELNS0_4arch9wavefront6targetE0EEEvT1_,"axG",@progbits,_ZN7rocprim17ROCPRIM_400000_NS6detail17trampoline_kernelINS0_14default_configENS1_25partition_config_selectorILNS1_17partition_subalgoE8ElNS0_10empty_typeEbEEZZNS1_14partition_implILS5_8ELb0ES3_jPlPS6_PKS6_NS0_5tupleIJS9_S6_EEENSD_IJSA_SA_EEENS0_18inequality_wrapperIZN2at6native12_GLOBAL__N_124unique_dim_cuda_templateIiEESt5tupleIJNSH_6TensorESM_SM_EERKSM_lbbbEUlllE0_EEPmJS6_EEE10hipError_tPvRmT3_T4_T5_T6_T7_T9_mT8_P12ihipStream_tbDpT10_ENKUlT_T0_E_clISt17integral_constantIbLb0EES1B_IbLb1EEEEDaS17_S18_EUlS17_E_NS1_11comp_targetILNS1_3genE2ELNS1_11target_archE906ELNS1_3gpuE6ELNS1_3repE0EEENS1_30default_config_static_selectorELNS0_4arch9wavefront6targetE0EEEvT1_,comdat
.Lfunc_end469:
	.size	_ZN7rocprim17ROCPRIM_400000_NS6detail17trampoline_kernelINS0_14default_configENS1_25partition_config_selectorILNS1_17partition_subalgoE8ElNS0_10empty_typeEbEEZZNS1_14partition_implILS5_8ELb0ES3_jPlPS6_PKS6_NS0_5tupleIJS9_S6_EEENSD_IJSA_SA_EEENS0_18inequality_wrapperIZN2at6native12_GLOBAL__N_124unique_dim_cuda_templateIiEESt5tupleIJNSH_6TensorESM_SM_EERKSM_lbbbEUlllE0_EEPmJS6_EEE10hipError_tPvRmT3_T4_T5_T6_T7_T9_mT8_P12ihipStream_tbDpT10_ENKUlT_T0_E_clISt17integral_constantIbLb0EES1B_IbLb1EEEEDaS17_S18_EUlS17_E_NS1_11comp_targetILNS1_3genE2ELNS1_11target_archE906ELNS1_3gpuE6ELNS1_3repE0EEENS1_30default_config_static_selectorELNS0_4arch9wavefront6targetE0EEEvT1_, .Lfunc_end469-_ZN7rocprim17ROCPRIM_400000_NS6detail17trampoline_kernelINS0_14default_configENS1_25partition_config_selectorILNS1_17partition_subalgoE8ElNS0_10empty_typeEbEEZZNS1_14partition_implILS5_8ELb0ES3_jPlPS6_PKS6_NS0_5tupleIJS9_S6_EEENSD_IJSA_SA_EEENS0_18inequality_wrapperIZN2at6native12_GLOBAL__N_124unique_dim_cuda_templateIiEESt5tupleIJNSH_6TensorESM_SM_EERKSM_lbbbEUlllE0_EEPmJS6_EEE10hipError_tPvRmT3_T4_T5_T6_T7_T9_mT8_P12ihipStream_tbDpT10_ENKUlT_T0_E_clISt17integral_constantIbLb0EES1B_IbLb1EEEEDaS17_S18_EUlS17_E_NS1_11comp_targetILNS1_3genE2ELNS1_11target_archE906ELNS1_3gpuE6ELNS1_3repE0EEENS1_30default_config_static_selectorELNS0_4arch9wavefront6targetE0EEEvT1_
                                        ; -- End function
	.set _ZN7rocprim17ROCPRIM_400000_NS6detail17trampoline_kernelINS0_14default_configENS1_25partition_config_selectorILNS1_17partition_subalgoE8ElNS0_10empty_typeEbEEZZNS1_14partition_implILS5_8ELb0ES3_jPlPS6_PKS6_NS0_5tupleIJS9_S6_EEENSD_IJSA_SA_EEENS0_18inequality_wrapperIZN2at6native12_GLOBAL__N_124unique_dim_cuda_templateIiEESt5tupleIJNSH_6TensorESM_SM_EERKSM_lbbbEUlllE0_EEPmJS6_EEE10hipError_tPvRmT3_T4_T5_T6_T7_T9_mT8_P12ihipStream_tbDpT10_ENKUlT_T0_E_clISt17integral_constantIbLb0EES1B_IbLb1EEEEDaS17_S18_EUlS17_E_NS1_11comp_targetILNS1_3genE2ELNS1_11target_archE906ELNS1_3gpuE6ELNS1_3repE0EEENS1_30default_config_static_selectorELNS0_4arch9wavefront6targetE0EEEvT1_.num_vgpr, 0
	.set _ZN7rocprim17ROCPRIM_400000_NS6detail17trampoline_kernelINS0_14default_configENS1_25partition_config_selectorILNS1_17partition_subalgoE8ElNS0_10empty_typeEbEEZZNS1_14partition_implILS5_8ELb0ES3_jPlPS6_PKS6_NS0_5tupleIJS9_S6_EEENSD_IJSA_SA_EEENS0_18inequality_wrapperIZN2at6native12_GLOBAL__N_124unique_dim_cuda_templateIiEESt5tupleIJNSH_6TensorESM_SM_EERKSM_lbbbEUlllE0_EEPmJS6_EEE10hipError_tPvRmT3_T4_T5_T6_T7_T9_mT8_P12ihipStream_tbDpT10_ENKUlT_T0_E_clISt17integral_constantIbLb0EES1B_IbLb1EEEEDaS17_S18_EUlS17_E_NS1_11comp_targetILNS1_3genE2ELNS1_11target_archE906ELNS1_3gpuE6ELNS1_3repE0EEENS1_30default_config_static_selectorELNS0_4arch9wavefront6targetE0EEEvT1_.num_agpr, 0
	.set _ZN7rocprim17ROCPRIM_400000_NS6detail17trampoline_kernelINS0_14default_configENS1_25partition_config_selectorILNS1_17partition_subalgoE8ElNS0_10empty_typeEbEEZZNS1_14partition_implILS5_8ELb0ES3_jPlPS6_PKS6_NS0_5tupleIJS9_S6_EEENSD_IJSA_SA_EEENS0_18inequality_wrapperIZN2at6native12_GLOBAL__N_124unique_dim_cuda_templateIiEESt5tupleIJNSH_6TensorESM_SM_EERKSM_lbbbEUlllE0_EEPmJS6_EEE10hipError_tPvRmT3_T4_T5_T6_T7_T9_mT8_P12ihipStream_tbDpT10_ENKUlT_T0_E_clISt17integral_constantIbLb0EES1B_IbLb1EEEEDaS17_S18_EUlS17_E_NS1_11comp_targetILNS1_3genE2ELNS1_11target_archE906ELNS1_3gpuE6ELNS1_3repE0EEENS1_30default_config_static_selectorELNS0_4arch9wavefront6targetE0EEEvT1_.numbered_sgpr, 0
	.set _ZN7rocprim17ROCPRIM_400000_NS6detail17trampoline_kernelINS0_14default_configENS1_25partition_config_selectorILNS1_17partition_subalgoE8ElNS0_10empty_typeEbEEZZNS1_14partition_implILS5_8ELb0ES3_jPlPS6_PKS6_NS0_5tupleIJS9_S6_EEENSD_IJSA_SA_EEENS0_18inequality_wrapperIZN2at6native12_GLOBAL__N_124unique_dim_cuda_templateIiEESt5tupleIJNSH_6TensorESM_SM_EERKSM_lbbbEUlllE0_EEPmJS6_EEE10hipError_tPvRmT3_T4_T5_T6_T7_T9_mT8_P12ihipStream_tbDpT10_ENKUlT_T0_E_clISt17integral_constantIbLb0EES1B_IbLb1EEEEDaS17_S18_EUlS17_E_NS1_11comp_targetILNS1_3genE2ELNS1_11target_archE906ELNS1_3gpuE6ELNS1_3repE0EEENS1_30default_config_static_selectorELNS0_4arch9wavefront6targetE0EEEvT1_.num_named_barrier, 0
	.set _ZN7rocprim17ROCPRIM_400000_NS6detail17trampoline_kernelINS0_14default_configENS1_25partition_config_selectorILNS1_17partition_subalgoE8ElNS0_10empty_typeEbEEZZNS1_14partition_implILS5_8ELb0ES3_jPlPS6_PKS6_NS0_5tupleIJS9_S6_EEENSD_IJSA_SA_EEENS0_18inequality_wrapperIZN2at6native12_GLOBAL__N_124unique_dim_cuda_templateIiEESt5tupleIJNSH_6TensorESM_SM_EERKSM_lbbbEUlllE0_EEPmJS6_EEE10hipError_tPvRmT3_T4_T5_T6_T7_T9_mT8_P12ihipStream_tbDpT10_ENKUlT_T0_E_clISt17integral_constantIbLb0EES1B_IbLb1EEEEDaS17_S18_EUlS17_E_NS1_11comp_targetILNS1_3genE2ELNS1_11target_archE906ELNS1_3gpuE6ELNS1_3repE0EEENS1_30default_config_static_selectorELNS0_4arch9wavefront6targetE0EEEvT1_.private_seg_size, 0
	.set _ZN7rocprim17ROCPRIM_400000_NS6detail17trampoline_kernelINS0_14default_configENS1_25partition_config_selectorILNS1_17partition_subalgoE8ElNS0_10empty_typeEbEEZZNS1_14partition_implILS5_8ELb0ES3_jPlPS6_PKS6_NS0_5tupleIJS9_S6_EEENSD_IJSA_SA_EEENS0_18inequality_wrapperIZN2at6native12_GLOBAL__N_124unique_dim_cuda_templateIiEESt5tupleIJNSH_6TensorESM_SM_EERKSM_lbbbEUlllE0_EEPmJS6_EEE10hipError_tPvRmT3_T4_T5_T6_T7_T9_mT8_P12ihipStream_tbDpT10_ENKUlT_T0_E_clISt17integral_constantIbLb0EES1B_IbLb1EEEEDaS17_S18_EUlS17_E_NS1_11comp_targetILNS1_3genE2ELNS1_11target_archE906ELNS1_3gpuE6ELNS1_3repE0EEENS1_30default_config_static_selectorELNS0_4arch9wavefront6targetE0EEEvT1_.uses_vcc, 0
	.set _ZN7rocprim17ROCPRIM_400000_NS6detail17trampoline_kernelINS0_14default_configENS1_25partition_config_selectorILNS1_17partition_subalgoE8ElNS0_10empty_typeEbEEZZNS1_14partition_implILS5_8ELb0ES3_jPlPS6_PKS6_NS0_5tupleIJS9_S6_EEENSD_IJSA_SA_EEENS0_18inequality_wrapperIZN2at6native12_GLOBAL__N_124unique_dim_cuda_templateIiEESt5tupleIJNSH_6TensorESM_SM_EERKSM_lbbbEUlllE0_EEPmJS6_EEE10hipError_tPvRmT3_T4_T5_T6_T7_T9_mT8_P12ihipStream_tbDpT10_ENKUlT_T0_E_clISt17integral_constantIbLb0EES1B_IbLb1EEEEDaS17_S18_EUlS17_E_NS1_11comp_targetILNS1_3genE2ELNS1_11target_archE906ELNS1_3gpuE6ELNS1_3repE0EEENS1_30default_config_static_selectorELNS0_4arch9wavefront6targetE0EEEvT1_.uses_flat_scratch, 0
	.set _ZN7rocprim17ROCPRIM_400000_NS6detail17trampoline_kernelINS0_14default_configENS1_25partition_config_selectorILNS1_17partition_subalgoE8ElNS0_10empty_typeEbEEZZNS1_14partition_implILS5_8ELb0ES3_jPlPS6_PKS6_NS0_5tupleIJS9_S6_EEENSD_IJSA_SA_EEENS0_18inequality_wrapperIZN2at6native12_GLOBAL__N_124unique_dim_cuda_templateIiEESt5tupleIJNSH_6TensorESM_SM_EERKSM_lbbbEUlllE0_EEPmJS6_EEE10hipError_tPvRmT3_T4_T5_T6_T7_T9_mT8_P12ihipStream_tbDpT10_ENKUlT_T0_E_clISt17integral_constantIbLb0EES1B_IbLb1EEEEDaS17_S18_EUlS17_E_NS1_11comp_targetILNS1_3genE2ELNS1_11target_archE906ELNS1_3gpuE6ELNS1_3repE0EEENS1_30default_config_static_selectorELNS0_4arch9wavefront6targetE0EEEvT1_.has_dyn_sized_stack, 0
	.set _ZN7rocprim17ROCPRIM_400000_NS6detail17trampoline_kernelINS0_14default_configENS1_25partition_config_selectorILNS1_17partition_subalgoE8ElNS0_10empty_typeEbEEZZNS1_14partition_implILS5_8ELb0ES3_jPlPS6_PKS6_NS0_5tupleIJS9_S6_EEENSD_IJSA_SA_EEENS0_18inequality_wrapperIZN2at6native12_GLOBAL__N_124unique_dim_cuda_templateIiEESt5tupleIJNSH_6TensorESM_SM_EERKSM_lbbbEUlllE0_EEPmJS6_EEE10hipError_tPvRmT3_T4_T5_T6_T7_T9_mT8_P12ihipStream_tbDpT10_ENKUlT_T0_E_clISt17integral_constantIbLb0EES1B_IbLb1EEEEDaS17_S18_EUlS17_E_NS1_11comp_targetILNS1_3genE2ELNS1_11target_archE906ELNS1_3gpuE6ELNS1_3repE0EEENS1_30default_config_static_selectorELNS0_4arch9wavefront6targetE0EEEvT1_.has_recursion, 0
	.set _ZN7rocprim17ROCPRIM_400000_NS6detail17trampoline_kernelINS0_14default_configENS1_25partition_config_selectorILNS1_17partition_subalgoE8ElNS0_10empty_typeEbEEZZNS1_14partition_implILS5_8ELb0ES3_jPlPS6_PKS6_NS0_5tupleIJS9_S6_EEENSD_IJSA_SA_EEENS0_18inequality_wrapperIZN2at6native12_GLOBAL__N_124unique_dim_cuda_templateIiEESt5tupleIJNSH_6TensorESM_SM_EERKSM_lbbbEUlllE0_EEPmJS6_EEE10hipError_tPvRmT3_T4_T5_T6_T7_T9_mT8_P12ihipStream_tbDpT10_ENKUlT_T0_E_clISt17integral_constantIbLb0EES1B_IbLb1EEEEDaS17_S18_EUlS17_E_NS1_11comp_targetILNS1_3genE2ELNS1_11target_archE906ELNS1_3gpuE6ELNS1_3repE0EEENS1_30default_config_static_selectorELNS0_4arch9wavefront6targetE0EEEvT1_.has_indirect_call, 0
	.section	.AMDGPU.csdata,"",@progbits
; Kernel info:
; codeLenInByte = 0
; TotalNumSgprs: 0
; NumVgprs: 0
; ScratchSize: 0
; MemoryBound: 0
; FloatMode: 240
; IeeeMode: 1
; LDSByteSize: 0 bytes/workgroup (compile time only)
; SGPRBlocks: 0
; VGPRBlocks: 0
; NumSGPRsForWavesPerEU: 1
; NumVGPRsForWavesPerEU: 1
; NamedBarCnt: 0
; Occupancy: 16
; WaveLimiterHint : 0
; COMPUTE_PGM_RSRC2:SCRATCH_EN: 0
; COMPUTE_PGM_RSRC2:USER_SGPR: 2
; COMPUTE_PGM_RSRC2:TRAP_HANDLER: 0
; COMPUTE_PGM_RSRC2:TGID_X_EN: 1
; COMPUTE_PGM_RSRC2:TGID_Y_EN: 0
; COMPUTE_PGM_RSRC2:TGID_Z_EN: 0
; COMPUTE_PGM_RSRC2:TIDIG_COMP_CNT: 0
	.section	.text._ZN7rocprim17ROCPRIM_400000_NS6detail17trampoline_kernelINS0_14default_configENS1_25partition_config_selectorILNS1_17partition_subalgoE8ElNS0_10empty_typeEbEEZZNS1_14partition_implILS5_8ELb0ES3_jPlPS6_PKS6_NS0_5tupleIJS9_S6_EEENSD_IJSA_SA_EEENS0_18inequality_wrapperIZN2at6native12_GLOBAL__N_124unique_dim_cuda_templateIiEESt5tupleIJNSH_6TensorESM_SM_EERKSM_lbbbEUlllE0_EEPmJS6_EEE10hipError_tPvRmT3_T4_T5_T6_T7_T9_mT8_P12ihipStream_tbDpT10_ENKUlT_T0_E_clISt17integral_constantIbLb0EES1B_IbLb1EEEEDaS17_S18_EUlS17_E_NS1_11comp_targetILNS1_3genE10ELNS1_11target_archE1200ELNS1_3gpuE4ELNS1_3repE0EEENS1_30default_config_static_selectorELNS0_4arch9wavefront6targetE0EEEvT1_,"axG",@progbits,_ZN7rocprim17ROCPRIM_400000_NS6detail17trampoline_kernelINS0_14default_configENS1_25partition_config_selectorILNS1_17partition_subalgoE8ElNS0_10empty_typeEbEEZZNS1_14partition_implILS5_8ELb0ES3_jPlPS6_PKS6_NS0_5tupleIJS9_S6_EEENSD_IJSA_SA_EEENS0_18inequality_wrapperIZN2at6native12_GLOBAL__N_124unique_dim_cuda_templateIiEESt5tupleIJNSH_6TensorESM_SM_EERKSM_lbbbEUlllE0_EEPmJS6_EEE10hipError_tPvRmT3_T4_T5_T6_T7_T9_mT8_P12ihipStream_tbDpT10_ENKUlT_T0_E_clISt17integral_constantIbLb0EES1B_IbLb1EEEEDaS17_S18_EUlS17_E_NS1_11comp_targetILNS1_3genE10ELNS1_11target_archE1200ELNS1_3gpuE4ELNS1_3repE0EEENS1_30default_config_static_selectorELNS0_4arch9wavefront6targetE0EEEvT1_,comdat
	.globl	_ZN7rocprim17ROCPRIM_400000_NS6detail17trampoline_kernelINS0_14default_configENS1_25partition_config_selectorILNS1_17partition_subalgoE8ElNS0_10empty_typeEbEEZZNS1_14partition_implILS5_8ELb0ES3_jPlPS6_PKS6_NS0_5tupleIJS9_S6_EEENSD_IJSA_SA_EEENS0_18inequality_wrapperIZN2at6native12_GLOBAL__N_124unique_dim_cuda_templateIiEESt5tupleIJNSH_6TensorESM_SM_EERKSM_lbbbEUlllE0_EEPmJS6_EEE10hipError_tPvRmT3_T4_T5_T6_T7_T9_mT8_P12ihipStream_tbDpT10_ENKUlT_T0_E_clISt17integral_constantIbLb0EES1B_IbLb1EEEEDaS17_S18_EUlS17_E_NS1_11comp_targetILNS1_3genE10ELNS1_11target_archE1200ELNS1_3gpuE4ELNS1_3repE0EEENS1_30default_config_static_selectorELNS0_4arch9wavefront6targetE0EEEvT1_ ; -- Begin function _ZN7rocprim17ROCPRIM_400000_NS6detail17trampoline_kernelINS0_14default_configENS1_25partition_config_selectorILNS1_17partition_subalgoE8ElNS0_10empty_typeEbEEZZNS1_14partition_implILS5_8ELb0ES3_jPlPS6_PKS6_NS0_5tupleIJS9_S6_EEENSD_IJSA_SA_EEENS0_18inequality_wrapperIZN2at6native12_GLOBAL__N_124unique_dim_cuda_templateIiEESt5tupleIJNSH_6TensorESM_SM_EERKSM_lbbbEUlllE0_EEPmJS6_EEE10hipError_tPvRmT3_T4_T5_T6_T7_T9_mT8_P12ihipStream_tbDpT10_ENKUlT_T0_E_clISt17integral_constantIbLb0EES1B_IbLb1EEEEDaS17_S18_EUlS17_E_NS1_11comp_targetILNS1_3genE10ELNS1_11target_archE1200ELNS1_3gpuE4ELNS1_3repE0EEENS1_30default_config_static_selectorELNS0_4arch9wavefront6targetE0EEEvT1_
	.p2align	8
	.type	_ZN7rocprim17ROCPRIM_400000_NS6detail17trampoline_kernelINS0_14default_configENS1_25partition_config_selectorILNS1_17partition_subalgoE8ElNS0_10empty_typeEbEEZZNS1_14partition_implILS5_8ELb0ES3_jPlPS6_PKS6_NS0_5tupleIJS9_S6_EEENSD_IJSA_SA_EEENS0_18inequality_wrapperIZN2at6native12_GLOBAL__N_124unique_dim_cuda_templateIiEESt5tupleIJNSH_6TensorESM_SM_EERKSM_lbbbEUlllE0_EEPmJS6_EEE10hipError_tPvRmT3_T4_T5_T6_T7_T9_mT8_P12ihipStream_tbDpT10_ENKUlT_T0_E_clISt17integral_constantIbLb0EES1B_IbLb1EEEEDaS17_S18_EUlS17_E_NS1_11comp_targetILNS1_3genE10ELNS1_11target_archE1200ELNS1_3gpuE4ELNS1_3repE0EEENS1_30default_config_static_selectorELNS0_4arch9wavefront6targetE0EEEvT1_,@function
_ZN7rocprim17ROCPRIM_400000_NS6detail17trampoline_kernelINS0_14default_configENS1_25partition_config_selectorILNS1_17partition_subalgoE8ElNS0_10empty_typeEbEEZZNS1_14partition_implILS5_8ELb0ES3_jPlPS6_PKS6_NS0_5tupleIJS9_S6_EEENSD_IJSA_SA_EEENS0_18inequality_wrapperIZN2at6native12_GLOBAL__N_124unique_dim_cuda_templateIiEESt5tupleIJNSH_6TensorESM_SM_EERKSM_lbbbEUlllE0_EEPmJS6_EEE10hipError_tPvRmT3_T4_T5_T6_T7_T9_mT8_P12ihipStream_tbDpT10_ENKUlT_T0_E_clISt17integral_constantIbLb0EES1B_IbLb1EEEEDaS17_S18_EUlS17_E_NS1_11comp_targetILNS1_3genE10ELNS1_11target_archE1200ELNS1_3gpuE4ELNS1_3repE0EEENS1_30default_config_static_selectorELNS0_4arch9wavefront6targetE0EEEvT1_: ; @_ZN7rocprim17ROCPRIM_400000_NS6detail17trampoline_kernelINS0_14default_configENS1_25partition_config_selectorILNS1_17partition_subalgoE8ElNS0_10empty_typeEbEEZZNS1_14partition_implILS5_8ELb0ES3_jPlPS6_PKS6_NS0_5tupleIJS9_S6_EEENSD_IJSA_SA_EEENS0_18inequality_wrapperIZN2at6native12_GLOBAL__N_124unique_dim_cuda_templateIiEESt5tupleIJNSH_6TensorESM_SM_EERKSM_lbbbEUlllE0_EEPmJS6_EEE10hipError_tPvRmT3_T4_T5_T6_T7_T9_mT8_P12ihipStream_tbDpT10_ENKUlT_T0_E_clISt17integral_constantIbLb0EES1B_IbLb1EEEEDaS17_S18_EUlS17_E_NS1_11comp_targetILNS1_3genE10ELNS1_11target_archE1200ELNS1_3gpuE4ELNS1_3repE0EEENS1_30default_config_static_selectorELNS0_4arch9wavefront6targetE0EEEvT1_
; %bb.0:
	.section	.rodata,"a",@progbits
	.p2align	6, 0x0
	.amdhsa_kernel _ZN7rocprim17ROCPRIM_400000_NS6detail17trampoline_kernelINS0_14default_configENS1_25partition_config_selectorILNS1_17partition_subalgoE8ElNS0_10empty_typeEbEEZZNS1_14partition_implILS5_8ELb0ES3_jPlPS6_PKS6_NS0_5tupleIJS9_S6_EEENSD_IJSA_SA_EEENS0_18inequality_wrapperIZN2at6native12_GLOBAL__N_124unique_dim_cuda_templateIiEESt5tupleIJNSH_6TensorESM_SM_EERKSM_lbbbEUlllE0_EEPmJS6_EEE10hipError_tPvRmT3_T4_T5_T6_T7_T9_mT8_P12ihipStream_tbDpT10_ENKUlT_T0_E_clISt17integral_constantIbLb0EES1B_IbLb1EEEEDaS17_S18_EUlS17_E_NS1_11comp_targetILNS1_3genE10ELNS1_11target_archE1200ELNS1_3gpuE4ELNS1_3repE0EEENS1_30default_config_static_selectorELNS0_4arch9wavefront6targetE0EEEvT1_
		.amdhsa_group_segment_fixed_size 0
		.amdhsa_private_segment_fixed_size 0
		.amdhsa_kernarg_size 136
		.amdhsa_user_sgpr_count 2
		.amdhsa_user_sgpr_dispatch_ptr 0
		.amdhsa_user_sgpr_queue_ptr 0
		.amdhsa_user_sgpr_kernarg_segment_ptr 1
		.amdhsa_user_sgpr_dispatch_id 0
		.amdhsa_user_sgpr_kernarg_preload_length 0
		.amdhsa_user_sgpr_kernarg_preload_offset 0
		.amdhsa_user_sgpr_private_segment_size 0
		.amdhsa_wavefront_size32 1
		.amdhsa_uses_dynamic_stack 0
		.amdhsa_enable_private_segment 0
		.amdhsa_system_sgpr_workgroup_id_x 1
		.amdhsa_system_sgpr_workgroup_id_y 0
		.amdhsa_system_sgpr_workgroup_id_z 0
		.amdhsa_system_sgpr_workgroup_info 0
		.amdhsa_system_vgpr_workitem_id 0
		.amdhsa_next_free_vgpr 1
		.amdhsa_next_free_sgpr 1
		.amdhsa_named_barrier_count 0
		.amdhsa_reserve_vcc 0
		.amdhsa_float_round_mode_32 0
		.amdhsa_float_round_mode_16_64 0
		.amdhsa_float_denorm_mode_32 3
		.amdhsa_float_denorm_mode_16_64 3
		.amdhsa_fp16_overflow 0
		.amdhsa_memory_ordered 1
		.amdhsa_forward_progress 1
		.amdhsa_inst_pref_size 0
		.amdhsa_round_robin_scheduling 0
		.amdhsa_exception_fp_ieee_invalid_op 0
		.amdhsa_exception_fp_denorm_src 0
		.amdhsa_exception_fp_ieee_div_zero 0
		.amdhsa_exception_fp_ieee_overflow 0
		.amdhsa_exception_fp_ieee_underflow 0
		.amdhsa_exception_fp_ieee_inexact 0
		.amdhsa_exception_int_div_zero 0
	.end_amdhsa_kernel
	.section	.text._ZN7rocprim17ROCPRIM_400000_NS6detail17trampoline_kernelINS0_14default_configENS1_25partition_config_selectorILNS1_17partition_subalgoE8ElNS0_10empty_typeEbEEZZNS1_14partition_implILS5_8ELb0ES3_jPlPS6_PKS6_NS0_5tupleIJS9_S6_EEENSD_IJSA_SA_EEENS0_18inequality_wrapperIZN2at6native12_GLOBAL__N_124unique_dim_cuda_templateIiEESt5tupleIJNSH_6TensorESM_SM_EERKSM_lbbbEUlllE0_EEPmJS6_EEE10hipError_tPvRmT3_T4_T5_T6_T7_T9_mT8_P12ihipStream_tbDpT10_ENKUlT_T0_E_clISt17integral_constantIbLb0EES1B_IbLb1EEEEDaS17_S18_EUlS17_E_NS1_11comp_targetILNS1_3genE10ELNS1_11target_archE1200ELNS1_3gpuE4ELNS1_3repE0EEENS1_30default_config_static_selectorELNS0_4arch9wavefront6targetE0EEEvT1_,"axG",@progbits,_ZN7rocprim17ROCPRIM_400000_NS6detail17trampoline_kernelINS0_14default_configENS1_25partition_config_selectorILNS1_17partition_subalgoE8ElNS0_10empty_typeEbEEZZNS1_14partition_implILS5_8ELb0ES3_jPlPS6_PKS6_NS0_5tupleIJS9_S6_EEENSD_IJSA_SA_EEENS0_18inequality_wrapperIZN2at6native12_GLOBAL__N_124unique_dim_cuda_templateIiEESt5tupleIJNSH_6TensorESM_SM_EERKSM_lbbbEUlllE0_EEPmJS6_EEE10hipError_tPvRmT3_T4_T5_T6_T7_T9_mT8_P12ihipStream_tbDpT10_ENKUlT_T0_E_clISt17integral_constantIbLb0EES1B_IbLb1EEEEDaS17_S18_EUlS17_E_NS1_11comp_targetILNS1_3genE10ELNS1_11target_archE1200ELNS1_3gpuE4ELNS1_3repE0EEENS1_30default_config_static_selectorELNS0_4arch9wavefront6targetE0EEEvT1_,comdat
.Lfunc_end470:
	.size	_ZN7rocprim17ROCPRIM_400000_NS6detail17trampoline_kernelINS0_14default_configENS1_25partition_config_selectorILNS1_17partition_subalgoE8ElNS0_10empty_typeEbEEZZNS1_14partition_implILS5_8ELb0ES3_jPlPS6_PKS6_NS0_5tupleIJS9_S6_EEENSD_IJSA_SA_EEENS0_18inequality_wrapperIZN2at6native12_GLOBAL__N_124unique_dim_cuda_templateIiEESt5tupleIJNSH_6TensorESM_SM_EERKSM_lbbbEUlllE0_EEPmJS6_EEE10hipError_tPvRmT3_T4_T5_T6_T7_T9_mT8_P12ihipStream_tbDpT10_ENKUlT_T0_E_clISt17integral_constantIbLb0EES1B_IbLb1EEEEDaS17_S18_EUlS17_E_NS1_11comp_targetILNS1_3genE10ELNS1_11target_archE1200ELNS1_3gpuE4ELNS1_3repE0EEENS1_30default_config_static_selectorELNS0_4arch9wavefront6targetE0EEEvT1_, .Lfunc_end470-_ZN7rocprim17ROCPRIM_400000_NS6detail17trampoline_kernelINS0_14default_configENS1_25partition_config_selectorILNS1_17partition_subalgoE8ElNS0_10empty_typeEbEEZZNS1_14partition_implILS5_8ELb0ES3_jPlPS6_PKS6_NS0_5tupleIJS9_S6_EEENSD_IJSA_SA_EEENS0_18inequality_wrapperIZN2at6native12_GLOBAL__N_124unique_dim_cuda_templateIiEESt5tupleIJNSH_6TensorESM_SM_EERKSM_lbbbEUlllE0_EEPmJS6_EEE10hipError_tPvRmT3_T4_T5_T6_T7_T9_mT8_P12ihipStream_tbDpT10_ENKUlT_T0_E_clISt17integral_constantIbLb0EES1B_IbLb1EEEEDaS17_S18_EUlS17_E_NS1_11comp_targetILNS1_3genE10ELNS1_11target_archE1200ELNS1_3gpuE4ELNS1_3repE0EEENS1_30default_config_static_selectorELNS0_4arch9wavefront6targetE0EEEvT1_
                                        ; -- End function
	.set _ZN7rocprim17ROCPRIM_400000_NS6detail17trampoline_kernelINS0_14default_configENS1_25partition_config_selectorILNS1_17partition_subalgoE8ElNS0_10empty_typeEbEEZZNS1_14partition_implILS5_8ELb0ES3_jPlPS6_PKS6_NS0_5tupleIJS9_S6_EEENSD_IJSA_SA_EEENS0_18inequality_wrapperIZN2at6native12_GLOBAL__N_124unique_dim_cuda_templateIiEESt5tupleIJNSH_6TensorESM_SM_EERKSM_lbbbEUlllE0_EEPmJS6_EEE10hipError_tPvRmT3_T4_T5_T6_T7_T9_mT8_P12ihipStream_tbDpT10_ENKUlT_T0_E_clISt17integral_constantIbLb0EES1B_IbLb1EEEEDaS17_S18_EUlS17_E_NS1_11comp_targetILNS1_3genE10ELNS1_11target_archE1200ELNS1_3gpuE4ELNS1_3repE0EEENS1_30default_config_static_selectorELNS0_4arch9wavefront6targetE0EEEvT1_.num_vgpr, 0
	.set _ZN7rocprim17ROCPRIM_400000_NS6detail17trampoline_kernelINS0_14default_configENS1_25partition_config_selectorILNS1_17partition_subalgoE8ElNS0_10empty_typeEbEEZZNS1_14partition_implILS5_8ELb0ES3_jPlPS6_PKS6_NS0_5tupleIJS9_S6_EEENSD_IJSA_SA_EEENS0_18inequality_wrapperIZN2at6native12_GLOBAL__N_124unique_dim_cuda_templateIiEESt5tupleIJNSH_6TensorESM_SM_EERKSM_lbbbEUlllE0_EEPmJS6_EEE10hipError_tPvRmT3_T4_T5_T6_T7_T9_mT8_P12ihipStream_tbDpT10_ENKUlT_T0_E_clISt17integral_constantIbLb0EES1B_IbLb1EEEEDaS17_S18_EUlS17_E_NS1_11comp_targetILNS1_3genE10ELNS1_11target_archE1200ELNS1_3gpuE4ELNS1_3repE0EEENS1_30default_config_static_selectorELNS0_4arch9wavefront6targetE0EEEvT1_.num_agpr, 0
	.set _ZN7rocprim17ROCPRIM_400000_NS6detail17trampoline_kernelINS0_14default_configENS1_25partition_config_selectorILNS1_17partition_subalgoE8ElNS0_10empty_typeEbEEZZNS1_14partition_implILS5_8ELb0ES3_jPlPS6_PKS6_NS0_5tupleIJS9_S6_EEENSD_IJSA_SA_EEENS0_18inequality_wrapperIZN2at6native12_GLOBAL__N_124unique_dim_cuda_templateIiEESt5tupleIJNSH_6TensorESM_SM_EERKSM_lbbbEUlllE0_EEPmJS6_EEE10hipError_tPvRmT3_T4_T5_T6_T7_T9_mT8_P12ihipStream_tbDpT10_ENKUlT_T0_E_clISt17integral_constantIbLb0EES1B_IbLb1EEEEDaS17_S18_EUlS17_E_NS1_11comp_targetILNS1_3genE10ELNS1_11target_archE1200ELNS1_3gpuE4ELNS1_3repE0EEENS1_30default_config_static_selectorELNS0_4arch9wavefront6targetE0EEEvT1_.numbered_sgpr, 0
	.set _ZN7rocprim17ROCPRIM_400000_NS6detail17trampoline_kernelINS0_14default_configENS1_25partition_config_selectorILNS1_17partition_subalgoE8ElNS0_10empty_typeEbEEZZNS1_14partition_implILS5_8ELb0ES3_jPlPS6_PKS6_NS0_5tupleIJS9_S6_EEENSD_IJSA_SA_EEENS0_18inequality_wrapperIZN2at6native12_GLOBAL__N_124unique_dim_cuda_templateIiEESt5tupleIJNSH_6TensorESM_SM_EERKSM_lbbbEUlllE0_EEPmJS6_EEE10hipError_tPvRmT3_T4_T5_T6_T7_T9_mT8_P12ihipStream_tbDpT10_ENKUlT_T0_E_clISt17integral_constantIbLb0EES1B_IbLb1EEEEDaS17_S18_EUlS17_E_NS1_11comp_targetILNS1_3genE10ELNS1_11target_archE1200ELNS1_3gpuE4ELNS1_3repE0EEENS1_30default_config_static_selectorELNS0_4arch9wavefront6targetE0EEEvT1_.num_named_barrier, 0
	.set _ZN7rocprim17ROCPRIM_400000_NS6detail17trampoline_kernelINS0_14default_configENS1_25partition_config_selectorILNS1_17partition_subalgoE8ElNS0_10empty_typeEbEEZZNS1_14partition_implILS5_8ELb0ES3_jPlPS6_PKS6_NS0_5tupleIJS9_S6_EEENSD_IJSA_SA_EEENS0_18inequality_wrapperIZN2at6native12_GLOBAL__N_124unique_dim_cuda_templateIiEESt5tupleIJNSH_6TensorESM_SM_EERKSM_lbbbEUlllE0_EEPmJS6_EEE10hipError_tPvRmT3_T4_T5_T6_T7_T9_mT8_P12ihipStream_tbDpT10_ENKUlT_T0_E_clISt17integral_constantIbLb0EES1B_IbLb1EEEEDaS17_S18_EUlS17_E_NS1_11comp_targetILNS1_3genE10ELNS1_11target_archE1200ELNS1_3gpuE4ELNS1_3repE0EEENS1_30default_config_static_selectorELNS0_4arch9wavefront6targetE0EEEvT1_.private_seg_size, 0
	.set _ZN7rocprim17ROCPRIM_400000_NS6detail17trampoline_kernelINS0_14default_configENS1_25partition_config_selectorILNS1_17partition_subalgoE8ElNS0_10empty_typeEbEEZZNS1_14partition_implILS5_8ELb0ES3_jPlPS6_PKS6_NS0_5tupleIJS9_S6_EEENSD_IJSA_SA_EEENS0_18inequality_wrapperIZN2at6native12_GLOBAL__N_124unique_dim_cuda_templateIiEESt5tupleIJNSH_6TensorESM_SM_EERKSM_lbbbEUlllE0_EEPmJS6_EEE10hipError_tPvRmT3_T4_T5_T6_T7_T9_mT8_P12ihipStream_tbDpT10_ENKUlT_T0_E_clISt17integral_constantIbLb0EES1B_IbLb1EEEEDaS17_S18_EUlS17_E_NS1_11comp_targetILNS1_3genE10ELNS1_11target_archE1200ELNS1_3gpuE4ELNS1_3repE0EEENS1_30default_config_static_selectorELNS0_4arch9wavefront6targetE0EEEvT1_.uses_vcc, 0
	.set _ZN7rocprim17ROCPRIM_400000_NS6detail17trampoline_kernelINS0_14default_configENS1_25partition_config_selectorILNS1_17partition_subalgoE8ElNS0_10empty_typeEbEEZZNS1_14partition_implILS5_8ELb0ES3_jPlPS6_PKS6_NS0_5tupleIJS9_S6_EEENSD_IJSA_SA_EEENS0_18inequality_wrapperIZN2at6native12_GLOBAL__N_124unique_dim_cuda_templateIiEESt5tupleIJNSH_6TensorESM_SM_EERKSM_lbbbEUlllE0_EEPmJS6_EEE10hipError_tPvRmT3_T4_T5_T6_T7_T9_mT8_P12ihipStream_tbDpT10_ENKUlT_T0_E_clISt17integral_constantIbLb0EES1B_IbLb1EEEEDaS17_S18_EUlS17_E_NS1_11comp_targetILNS1_3genE10ELNS1_11target_archE1200ELNS1_3gpuE4ELNS1_3repE0EEENS1_30default_config_static_selectorELNS0_4arch9wavefront6targetE0EEEvT1_.uses_flat_scratch, 0
	.set _ZN7rocprim17ROCPRIM_400000_NS6detail17trampoline_kernelINS0_14default_configENS1_25partition_config_selectorILNS1_17partition_subalgoE8ElNS0_10empty_typeEbEEZZNS1_14partition_implILS5_8ELb0ES3_jPlPS6_PKS6_NS0_5tupleIJS9_S6_EEENSD_IJSA_SA_EEENS0_18inequality_wrapperIZN2at6native12_GLOBAL__N_124unique_dim_cuda_templateIiEESt5tupleIJNSH_6TensorESM_SM_EERKSM_lbbbEUlllE0_EEPmJS6_EEE10hipError_tPvRmT3_T4_T5_T6_T7_T9_mT8_P12ihipStream_tbDpT10_ENKUlT_T0_E_clISt17integral_constantIbLb0EES1B_IbLb1EEEEDaS17_S18_EUlS17_E_NS1_11comp_targetILNS1_3genE10ELNS1_11target_archE1200ELNS1_3gpuE4ELNS1_3repE0EEENS1_30default_config_static_selectorELNS0_4arch9wavefront6targetE0EEEvT1_.has_dyn_sized_stack, 0
	.set _ZN7rocprim17ROCPRIM_400000_NS6detail17trampoline_kernelINS0_14default_configENS1_25partition_config_selectorILNS1_17partition_subalgoE8ElNS0_10empty_typeEbEEZZNS1_14partition_implILS5_8ELb0ES3_jPlPS6_PKS6_NS0_5tupleIJS9_S6_EEENSD_IJSA_SA_EEENS0_18inequality_wrapperIZN2at6native12_GLOBAL__N_124unique_dim_cuda_templateIiEESt5tupleIJNSH_6TensorESM_SM_EERKSM_lbbbEUlllE0_EEPmJS6_EEE10hipError_tPvRmT3_T4_T5_T6_T7_T9_mT8_P12ihipStream_tbDpT10_ENKUlT_T0_E_clISt17integral_constantIbLb0EES1B_IbLb1EEEEDaS17_S18_EUlS17_E_NS1_11comp_targetILNS1_3genE10ELNS1_11target_archE1200ELNS1_3gpuE4ELNS1_3repE0EEENS1_30default_config_static_selectorELNS0_4arch9wavefront6targetE0EEEvT1_.has_recursion, 0
	.set _ZN7rocprim17ROCPRIM_400000_NS6detail17trampoline_kernelINS0_14default_configENS1_25partition_config_selectorILNS1_17partition_subalgoE8ElNS0_10empty_typeEbEEZZNS1_14partition_implILS5_8ELb0ES3_jPlPS6_PKS6_NS0_5tupleIJS9_S6_EEENSD_IJSA_SA_EEENS0_18inequality_wrapperIZN2at6native12_GLOBAL__N_124unique_dim_cuda_templateIiEESt5tupleIJNSH_6TensorESM_SM_EERKSM_lbbbEUlllE0_EEPmJS6_EEE10hipError_tPvRmT3_T4_T5_T6_T7_T9_mT8_P12ihipStream_tbDpT10_ENKUlT_T0_E_clISt17integral_constantIbLb0EES1B_IbLb1EEEEDaS17_S18_EUlS17_E_NS1_11comp_targetILNS1_3genE10ELNS1_11target_archE1200ELNS1_3gpuE4ELNS1_3repE0EEENS1_30default_config_static_selectorELNS0_4arch9wavefront6targetE0EEEvT1_.has_indirect_call, 0
	.section	.AMDGPU.csdata,"",@progbits
; Kernel info:
; codeLenInByte = 0
; TotalNumSgprs: 0
; NumVgprs: 0
; ScratchSize: 0
; MemoryBound: 0
; FloatMode: 240
; IeeeMode: 1
; LDSByteSize: 0 bytes/workgroup (compile time only)
; SGPRBlocks: 0
; VGPRBlocks: 0
; NumSGPRsForWavesPerEU: 1
; NumVGPRsForWavesPerEU: 1
; NamedBarCnt: 0
; Occupancy: 16
; WaveLimiterHint : 0
; COMPUTE_PGM_RSRC2:SCRATCH_EN: 0
; COMPUTE_PGM_RSRC2:USER_SGPR: 2
; COMPUTE_PGM_RSRC2:TRAP_HANDLER: 0
; COMPUTE_PGM_RSRC2:TGID_X_EN: 1
; COMPUTE_PGM_RSRC2:TGID_Y_EN: 0
; COMPUTE_PGM_RSRC2:TGID_Z_EN: 0
; COMPUTE_PGM_RSRC2:TIDIG_COMP_CNT: 0
	.section	.text._ZN7rocprim17ROCPRIM_400000_NS6detail17trampoline_kernelINS0_14default_configENS1_25partition_config_selectorILNS1_17partition_subalgoE8ElNS0_10empty_typeEbEEZZNS1_14partition_implILS5_8ELb0ES3_jPlPS6_PKS6_NS0_5tupleIJS9_S6_EEENSD_IJSA_SA_EEENS0_18inequality_wrapperIZN2at6native12_GLOBAL__N_124unique_dim_cuda_templateIiEESt5tupleIJNSH_6TensorESM_SM_EERKSM_lbbbEUlllE0_EEPmJS6_EEE10hipError_tPvRmT3_T4_T5_T6_T7_T9_mT8_P12ihipStream_tbDpT10_ENKUlT_T0_E_clISt17integral_constantIbLb0EES1B_IbLb1EEEEDaS17_S18_EUlS17_E_NS1_11comp_targetILNS1_3genE9ELNS1_11target_archE1100ELNS1_3gpuE3ELNS1_3repE0EEENS1_30default_config_static_selectorELNS0_4arch9wavefront6targetE0EEEvT1_,"axG",@progbits,_ZN7rocprim17ROCPRIM_400000_NS6detail17trampoline_kernelINS0_14default_configENS1_25partition_config_selectorILNS1_17partition_subalgoE8ElNS0_10empty_typeEbEEZZNS1_14partition_implILS5_8ELb0ES3_jPlPS6_PKS6_NS0_5tupleIJS9_S6_EEENSD_IJSA_SA_EEENS0_18inequality_wrapperIZN2at6native12_GLOBAL__N_124unique_dim_cuda_templateIiEESt5tupleIJNSH_6TensorESM_SM_EERKSM_lbbbEUlllE0_EEPmJS6_EEE10hipError_tPvRmT3_T4_T5_T6_T7_T9_mT8_P12ihipStream_tbDpT10_ENKUlT_T0_E_clISt17integral_constantIbLb0EES1B_IbLb1EEEEDaS17_S18_EUlS17_E_NS1_11comp_targetILNS1_3genE9ELNS1_11target_archE1100ELNS1_3gpuE3ELNS1_3repE0EEENS1_30default_config_static_selectorELNS0_4arch9wavefront6targetE0EEEvT1_,comdat
	.globl	_ZN7rocprim17ROCPRIM_400000_NS6detail17trampoline_kernelINS0_14default_configENS1_25partition_config_selectorILNS1_17partition_subalgoE8ElNS0_10empty_typeEbEEZZNS1_14partition_implILS5_8ELb0ES3_jPlPS6_PKS6_NS0_5tupleIJS9_S6_EEENSD_IJSA_SA_EEENS0_18inequality_wrapperIZN2at6native12_GLOBAL__N_124unique_dim_cuda_templateIiEESt5tupleIJNSH_6TensorESM_SM_EERKSM_lbbbEUlllE0_EEPmJS6_EEE10hipError_tPvRmT3_T4_T5_T6_T7_T9_mT8_P12ihipStream_tbDpT10_ENKUlT_T0_E_clISt17integral_constantIbLb0EES1B_IbLb1EEEEDaS17_S18_EUlS17_E_NS1_11comp_targetILNS1_3genE9ELNS1_11target_archE1100ELNS1_3gpuE3ELNS1_3repE0EEENS1_30default_config_static_selectorELNS0_4arch9wavefront6targetE0EEEvT1_ ; -- Begin function _ZN7rocprim17ROCPRIM_400000_NS6detail17trampoline_kernelINS0_14default_configENS1_25partition_config_selectorILNS1_17partition_subalgoE8ElNS0_10empty_typeEbEEZZNS1_14partition_implILS5_8ELb0ES3_jPlPS6_PKS6_NS0_5tupleIJS9_S6_EEENSD_IJSA_SA_EEENS0_18inequality_wrapperIZN2at6native12_GLOBAL__N_124unique_dim_cuda_templateIiEESt5tupleIJNSH_6TensorESM_SM_EERKSM_lbbbEUlllE0_EEPmJS6_EEE10hipError_tPvRmT3_T4_T5_T6_T7_T9_mT8_P12ihipStream_tbDpT10_ENKUlT_T0_E_clISt17integral_constantIbLb0EES1B_IbLb1EEEEDaS17_S18_EUlS17_E_NS1_11comp_targetILNS1_3genE9ELNS1_11target_archE1100ELNS1_3gpuE3ELNS1_3repE0EEENS1_30default_config_static_selectorELNS0_4arch9wavefront6targetE0EEEvT1_
	.p2align	8
	.type	_ZN7rocprim17ROCPRIM_400000_NS6detail17trampoline_kernelINS0_14default_configENS1_25partition_config_selectorILNS1_17partition_subalgoE8ElNS0_10empty_typeEbEEZZNS1_14partition_implILS5_8ELb0ES3_jPlPS6_PKS6_NS0_5tupleIJS9_S6_EEENSD_IJSA_SA_EEENS0_18inequality_wrapperIZN2at6native12_GLOBAL__N_124unique_dim_cuda_templateIiEESt5tupleIJNSH_6TensorESM_SM_EERKSM_lbbbEUlllE0_EEPmJS6_EEE10hipError_tPvRmT3_T4_T5_T6_T7_T9_mT8_P12ihipStream_tbDpT10_ENKUlT_T0_E_clISt17integral_constantIbLb0EES1B_IbLb1EEEEDaS17_S18_EUlS17_E_NS1_11comp_targetILNS1_3genE9ELNS1_11target_archE1100ELNS1_3gpuE3ELNS1_3repE0EEENS1_30default_config_static_selectorELNS0_4arch9wavefront6targetE0EEEvT1_,@function
_ZN7rocprim17ROCPRIM_400000_NS6detail17trampoline_kernelINS0_14default_configENS1_25partition_config_selectorILNS1_17partition_subalgoE8ElNS0_10empty_typeEbEEZZNS1_14partition_implILS5_8ELb0ES3_jPlPS6_PKS6_NS0_5tupleIJS9_S6_EEENSD_IJSA_SA_EEENS0_18inequality_wrapperIZN2at6native12_GLOBAL__N_124unique_dim_cuda_templateIiEESt5tupleIJNSH_6TensorESM_SM_EERKSM_lbbbEUlllE0_EEPmJS6_EEE10hipError_tPvRmT3_T4_T5_T6_T7_T9_mT8_P12ihipStream_tbDpT10_ENKUlT_T0_E_clISt17integral_constantIbLb0EES1B_IbLb1EEEEDaS17_S18_EUlS17_E_NS1_11comp_targetILNS1_3genE9ELNS1_11target_archE1100ELNS1_3gpuE3ELNS1_3repE0EEENS1_30default_config_static_selectorELNS0_4arch9wavefront6targetE0EEEvT1_: ; @_ZN7rocprim17ROCPRIM_400000_NS6detail17trampoline_kernelINS0_14default_configENS1_25partition_config_selectorILNS1_17partition_subalgoE8ElNS0_10empty_typeEbEEZZNS1_14partition_implILS5_8ELb0ES3_jPlPS6_PKS6_NS0_5tupleIJS9_S6_EEENSD_IJSA_SA_EEENS0_18inequality_wrapperIZN2at6native12_GLOBAL__N_124unique_dim_cuda_templateIiEESt5tupleIJNSH_6TensorESM_SM_EERKSM_lbbbEUlllE0_EEPmJS6_EEE10hipError_tPvRmT3_T4_T5_T6_T7_T9_mT8_P12ihipStream_tbDpT10_ENKUlT_T0_E_clISt17integral_constantIbLb0EES1B_IbLb1EEEEDaS17_S18_EUlS17_E_NS1_11comp_targetILNS1_3genE9ELNS1_11target_archE1100ELNS1_3gpuE3ELNS1_3repE0EEENS1_30default_config_static_selectorELNS0_4arch9wavefront6targetE0EEEvT1_
; %bb.0:
	.section	.rodata,"a",@progbits
	.p2align	6, 0x0
	.amdhsa_kernel _ZN7rocprim17ROCPRIM_400000_NS6detail17trampoline_kernelINS0_14default_configENS1_25partition_config_selectorILNS1_17partition_subalgoE8ElNS0_10empty_typeEbEEZZNS1_14partition_implILS5_8ELb0ES3_jPlPS6_PKS6_NS0_5tupleIJS9_S6_EEENSD_IJSA_SA_EEENS0_18inequality_wrapperIZN2at6native12_GLOBAL__N_124unique_dim_cuda_templateIiEESt5tupleIJNSH_6TensorESM_SM_EERKSM_lbbbEUlllE0_EEPmJS6_EEE10hipError_tPvRmT3_T4_T5_T6_T7_T9_mT8_P12ihipStream_tbDpT10_ENKUlT_T0_E_clISt17integral_constantIbLb0EES1B_IbLb1EEEEDaS17_S18_EUlS17_E_NS1_11comp_targetILNS1_3genE9ELNS1_11target_archE1100ELNS1_3gpuE3ELNS1_3repE0EEENS1_30default_config_static_selectorELNS0_4arch9wavefront6targetE0EEEvT1_
		.amdhsa_group_segment_fixed_size 0
		.amdhsa_private_segment_fixed_size 0
		.amdhsa_kernarg_size 136
		.amdhsa_user_sgpr_count 2
		.amdhsa_user_sgpr_dispatch_ptr 0
		.amdhsa_user_sgpr_queue_ptr 0
		.amdhsa_user_sgpr_kernarg_segment_ptr 1
		.amdhsa_user_sgpr_dispatch_id 0
		.amdhsa_user_sgpr_kernarg_preload_length 0
		.amdhsa_user_sgpr_kernarg_preload_offset 0
		.amdhsa_user_sgpr_private_segment_size 0
		.amdhsa_wavefront_size32 1
		.amdhsa_uses_dynamic_stack 0
		.amdhsa_enable_private_segment 0
		.amdhsa_system_sgpr_workgroup_id_x 1
		.amdhsa_system_sgpr_workgroup_id_y 0
		.amdhsa_system_sgpr_workgroup_id_z 0
		.amdhsa_system_sgpr_workgroup_info 0
		.amdhsa_system_vgpr_workitem_id 0
		.amdhsa_next_free_vgpr 1
		.amdhsa_next_free_sgpr 1
		.amdhsa_named_barrier_count 0
		.amdhsa_reserve_vcc 0
		.amdhsa_float_round_mode_32 0
		.amdhsa_float_round_mode_16_64 0
		.amdhsa_float_denorm_mode_32 3
		.amdhsa_float_denorm_mode_16_64 3
		.amdhsa_fp16_overflow 0
		.amdhsa_memory_ordered 1
		.amdhsa_forward_progress 1
		.amdhsa_inst_pref_size 0
		.amdhsa_round_robin_scheduling 0
		.amdhsa_exception_fp_ieee_invalid_op 0
		.amdhsa_exception_fp_denorm_src 0
		.amdhsa_exception_fp_ieee_div_zero 0
		.amdhsa_exception_fp_ieee_overflow 0
		.amdhsa_exception_fp_ieee_underflow 0
		.amdhsa_exception_fp_ieee_inexact 0
		.amdhsa_exception_int_div_zero 0
	.end_amdhsa_kernel
	.section	.text._ZN7rocprim17ROCPRIM_400000_NS6detail17trampoline_kernelINS0_14default_configENS1_25partition_config_selectorILNS1_17partition_subalgoE8ElNS0_10empty_typeEbEEZZNS1_14partition_implILS5_8ELb0ES3_jPlPS6_PKS6_NS0_5tupleIJS9_S6_EEENSD_IJSA_SA_EEENS0_18inequality_wrapperIZN2at6native12_GLOBAL__N_124unique_dim_cuda_templateIiEESt5tupleIJNSH_6TensorESM_SM_EERKSM_lbbbEUlllE0_EEPmJS6_EEE10hipError_tPvRmT3_T4_T5_T6_T7_T9_mT8_P12ihipStream_tbDpT10_ENKUlT_T0_E_clISt17integral_constantIbLb0EES1B_IbLb1EEEEDaS17_S18_EUlS17_E_NS1_11comp_targetILNS1_3genE9ELNS1_11target_archE1100ELNS1_3gpuE3ELNS1_3repE0EEENS1_30default_config_static_selectorELNS0_4arch9wavefront6targetE0EEEvT1_,"axG",@progbits,_ZN7rocprim17ROCPRIM_400000_NS6detail17trampoline_kernelINS0_14default_configENS1_25partition_config_selectorILNS1_17partition_subalgoE8ElNS0_10empty_typeEbEEZZNS1_14partition_implILS5_8ELb0ES3_jPlPS6_PKS6_NS0_5tupleIJS9_S6_EEENSD_IJSA_SA_EEENS0_18inequality_wrapperIZN2at6native12_GLOBAL__N_124unique_dim_cuda_templateIiEESt5tupleIJNSH_6TensorESM_SM_EERKSM_lbbbEUlllE0_EEPmJS6_EEE10hipError_tPvRmT3_T4_T5_T6_T7_T9_mT8_P12ihipStream_tbDpT10_ENKUlT_T0_E_clISt17integral_constantIbLb0EES1B_IbLb1EEEEDaS17_S18_EUlS17_E_NS1_11comp_targetILNS1_3genE9ELNS1_11target_archE1100ELNS1_3gpuE3ELNS1_3repE0EEENS1_30default_config_static_selectorELNS0_4arch9wavefront6targetE0EEEvT1_,comdat
.Lfunc_end471:
	.size	_ZN7rocprim17ROCPRIM_400000_NS6detail17trampoline_kernelINS0_14default_configENS1_25partition_config_selectorILNS1_17partition_subalgoE8ElNS0_10empty_typeEbEEZZNS1_14partition_implILS5_8ELb0ES3_jPlPS6_PKS6_NS0_5tupleIJS9_S6_EEENSD_IJSA_SA_EEENS0_18inequality_wrapperIZN2at6native12_GLOBAL__N_124unique_dim_cuda_templateIiEESt5tupleIJNSH_6TensorESM_SM_EERKSM_lbbbEUlllE0_EEPmJS6_EEE10hipError_tPvRmT3_T4_T5_T6_T7_T9_mT8_P12ihipStream_tbDpT10_ENKUlT_T0_E_clISt17integral_constantIbLb0EES1B_IbLb1EEEEDaS17_S18_EUlS17_E_NS1_11comp_targetILNS1_3genE9ELNS1_11target_archE1100ELNS1_3gpuE3ELNS1_3repE0EEENS1_30default_config_static_selectorELNS0_4arch9wavefront6targetE0EEEvT1_, .Lfunc_end471-_ZN7rocprim17ROCPRIM_400000_NS6detail17trampoline_kernelINS0_14default_configENS1_25partition_config_selectorILNS1_17partition_subalgoE8ElNS0_10empty_typeEbEEZZNS1_14partition_implILS5_8ELb0ES3_jPlPS6_PKS6_NS0_5tupleIJS9_S6_EEENSD_IJSA_SA_EEENS0_18inequality_wrapperIZN2at6native12_GLOBAL__N_124unique_dim_cuda_templateIiEESt5tupleIJNSH_6TensorESM_SM_EERKSM_lbbbEUlllE0_EEPmJS6_EEE10hipError_tPvRmT3_T4_T5_T6_T7_T9_mT8_P12ihipStream_tbDpT10_ENKUlT_T0_E_clISt17integral_constantIbLb0EES1B_IbLb1EEEEDaS17_S18_EUlS17_E_NS1_11comp_targetILNS1_3genE9ELNS1_11target_archE1100ELNS1_3gpuE3ELNS1_3repE0EEENS1_30default_config_static_selectorELNS0_4arch9wavefront6targetE0EEEvT1_
                                        ; -- End function
	.set _ZN7rocprim17ROCPRIM_400000_NS6detail17trampoline_kernelINS0_14default_configENS1_25partition_config_selectorILNS1_17partition_subalgoE8ElNS0_10empty_typeEbEEZZNS1_14partition_implILS5_8ELb0ES3_jPlPS6_PKS6_NS0_5tupleIJS9_S6_EEENSD_IJSA_SA_EEENS0_18inequality_wrapperIZN2at6native12_GLOBAL__N_124unique_dim_cuda_templateIiEESt5tupleIJNSH_6TensorESM_SM_EERKSM_lbbbEUlllE0_EEPmJS6_EEE10hipError_tPvRmT3_T4_T5_T6_T7_T9_mT8_P12ihipStream_tbDpT10_ENKUlT_T0_E_clISt17integral_constantIbLb0EES1B_IbLb1EEEEDaS17_S18_EUlS17_E_NS1_11comp_targetILNS1_3genE9ELNS1_11target_archE1100ELNS1_3gpuE3ELNS1_3repE0EEENS1_30default_config_static_selectorELNS0_4arch9wavefront6targetE0EEEvT1_.num_vgpr, 0
	.set _ZN7rocprim17ROCPRIM_400000_NS6detail17trampoline_kernelINS0_14default_configENS1_25partition_config_selectorILNS1_17partition_subalgoE8ElNS0_10empty_typeEbEEZZNS1_14partition_implILS5_8ELb0ES3_jPlPS6_PKS6_NS0_5tupleIJS9_S6_EEENSD_IJSA_SA_EEENS0_18inequality_wrapperIZN2at6native12_GLOBAL__N_124unique_dim_cuda_templateIiEESt5tupleIJNSH_6TensorESM_SM_EERKSM_lbbbEUlllE0_EEPmJS6_EEE10hipError_tPvRmT3_T4_T5_T6_T7_T9_mT8_P12ihipStream_tbDpT10_ENKUlT_T0_E_clISt17integral_constantIbLb0EES1B_IbLb1EEEEDaS17_S18_EUlS17_E_NS1_11comp_targetILNS1_3genE9ELNS1_11target_archE1100ELNS1_3gpuE3ELNS1_3repE0EEENS1_30default_config_static_selectorELNS0_4arch9wavefront6targetE0EEEvT1_.num_agpr, 0
	.set _ZN7rocprim17ROCPRIM_400000_NS6detail17trampoline_kernelINS0_14default_configENS1_25partition_config_selectorILNS1_17partition_subalgoE8ElNS0_10empty_typeEbEEZZNS1_14partition_implILS5_8ELb0ES3_jPlPS6_PKS6_NS0_5tupleIJS9_S6_EEENSD_IJSA_SA_EEENS0_18inequality_wrapperIZN2at6native12_GLOBAL__N_124unique_dim_cuda_templateIiEESt5tupleIJNSH_6TensorESM_SM_EERKSM_lbbbEUlllE0_EEPmJS6_EEE10hipError_tPvRmT3_T4_T5_T6_T7_T9_mT8_P12ihipStream_tbDpT10_ENKUlT_T0_E_clISt17integral_constantIbLb0EES1B_IbLb1EEEEDaS17_S18_EUlS17_E_NS1_11comp_targetILNS1_3genE9ELNS1_11target_archE1100ELNS1_3gpuE3ELNS1_3repE0EEENS1_30default_config_static_selectorELNS0_4arch9wavefront6targetE0EEEvT1_.numbered_sgpr, 0
	.set _ZN7rocprim17ROCPRIM_400000_NS6detail17trampoline_kernelINS0_14default_configENS1_25partition_config_selectorILNS1_17partition_subalgoE8ElNS0_10empty_typeEbEEZZNS1_14partition_implILS5_8ELb0ES3_jPlPS6_PKS6_NS0_5tupleIJS9_S6_EEENSD_IJSA_SA_EEENS0_18inequality_wrapperIZN2at6native12_GLOBAL__N_124unique_dim_cuda_templateIiEESt5tupleIJNSH_6TensorESM_SM_EERKSM_lbbbEUlllE0_EEPmJS6_EEE10hipError_tPvRmT3_T4_T5_T6_T7_T9_mT8_P12ihipStream_tbDpT10_ENKUlT_T0_E_clISt17integral_constantIbLb0EES1B_IbLb1EEEEDaS17_S18_EUlS17_E_NS1_11comp_targetILNS1_3genE9ELNS1_11target_archE1100ELNS1_3gpuE3ELNS1_3repE0EEENS1_30default_config_static_selectorELNS0_4arch9wavefront6targetE0EEEvT1_.num_named_barrier, 0
	.set _ZN7rocprim17ROCPRIM_400000_NS6detail17trampoline_kernelINS0_14default_configENS1_25partition_config_selectorILNS1_17partition_subalgoE8ElNS0_10empty_typeEbEEZZNS1_14partition_implILS5_8ELb0ES3_jPlPS6_PKS6_NS0_5tupleIJS9_S6_EEENSD_IJSA_SA_EEENS0_18inequality_wrapperIZN2at6native12_GLOBAL__N_124unique_dim_cuda_templateIiEESt5tupleIJNSH_6TensorESM_SM_EERKSM_lbbbEUlllE0_EEPmJS6_EEE10hipError_tPvRmT3_T4_T5_T6_T7_T9_mT8_P12ihipStream_tbDpT10_ENKUlT_T0_E_clISt17integral_constantIbLb0EES1B_IbLb1EEEEDaS17_S18_EUlS17_E_NS1_11comp_targetILNS1_3genE9ELNS1_11target_archE1100ELNS1_3gpuE3ELNS1_3repE0EEENS1_30default_config_static_selectorELNS0_4arch9wavefront6targetE0EEEvT1_.private_seg_size, 0
	.set _ZN7rocprim17ROCPRIM_400000_NS6detail17trampoline_kernelINS0_14default_configENS1_25partition_config_selectorILNS1_17partition_subalgoE8ElNS0_10empty_typeEbEEZZNS1_14partition_implILS5_8ELb0ES3_jPlPS6_PKS6_NS0_5tupleIJS9_S6_EEENSD_IJSA_SA_EEENS0_18inequality_wrapperIZN2at6native12_GLOBAL__N_124unique_dim_cuda_templateIiEESt5tupleIJNSH_6TensorESM_SM_EERKSM_lbbbEUlllE0_EEPmJS6_EEE10hipError_tPvRmT3_T4_T5_T6_T7_T9_mT8_P12ihipStream_tbDpT10_ENKUlT_T0_E_clISt17integral_constantIbLb0EES1B_IbLb1EEEEDaS17_S18_EUlS17_E_NS1_11comp_targetILNS1_3genE9ELNS1_11target_archE1100ELNS1_3gpuE3ELNS1_3repE0EEENS1_30default_config_static_selectorELNS0_4arch9wavefront6targetE0EEEvT1_.uses_vcc, 0
	.set _ZN7rocprim17ROCPRIM_400000_NS6detail17trampoline_kernelINS0_14default_configENS1_25partition_config_selectorILNS1_17partition_subalgoE8ElNS0_10empty_typeEbEEZZNS1_14partition_implILS5_8ELb0ES3_jPlPS6_PKS6_NS0_5tupleIJS9_S6_EEENSD_IJSA_SA_EEENS0_18inequality_wrapperIZN2at6native12_GLOBAL__N_124unique_dim_cuda_templateIiEESt5tupleIJNSH_6TensorESM_SM_EERKSM_lbbbEUlllE0_EEPmJS6_EEE10hipError_tPvRmT3_T4_T5_T6_T7_T9_mT8_P12ihipStream_tbDpT10_ENKUlT_T0_E_clISt17integral_constantIbLb0EES1B_IbLb1EEEEDaS17_S18_EUlS17_E_NS1_11comp_targetILNS1_3genE9ELNS1_11target_archE1100ELNS1_3gpuE3ELNS1_3repE0EEENS1_30default_config_static_selectorELNS0_4arch9wavefront6targetE0EEEvT1_.uses_flat_scratch, 0
	.set _ZN7rocprim17ROCPRIM_400000_NS6detail17trampoline_kernelINS0_14default_configENS1_25partition_config_selectorILNS1_17partition_subalgoE8ElNS0_10empty_typeEbEEZZNS1_14partition_implILS5_8ELb0ES3_jPlPS6_PKS6_NS0_5tupleIJS9_S6_EEENSD_IJSA_SA_EEENS0_18inequality_wrapperIZN2at6native12_GLOBAL__N_124unique_dim_cuda_templateIiEESt5tupleIJNSH_6TensorESM_SM_EERKSM_lbbbEUlllE0_EEPmJS6_EEE10hipError_tPvRmT3_T4_T5_T6_T7_T9_mT8_P12ihipStream_tbDpT10_ENKUlT_T0_E_clISt17integral_constantIbLb0EES1B_IbLb1EEEEDaS17_S18_EUlS17_E_NS1_11comp_targetILNS1_3genE9ELNS1_11target_archE1100ELNS1_3gpuE3ELNS1_3repE0EEENS1_30default_config_static_selectorELNS0_4arch9wavefront6targetE0EEEvT1_.has_dyn_sized_stack, 0
	.set _ZN7rocprim17ROCPRIM_400000_NS6detail17trampoline_kernelINS0_14default_configENS1_25partition_config_selectorILNS1_17partition_subalgoE8ElNS0_10empty_typeEbEEZZNS1_14partition_implILS5_8ELb0ES3_jPlPS6_PKS6_NS0_5tupleIJS9_S6_EEENSD_IJSA_SA_EEENS0_18inequality_wrapperIZN2at6native12_GLOBAL__N_124unique_dim_cuda_templateIiEESt5tupleIJNSH_6TensorESM_SM_EERKSM_lbbbEUlllE0_EEPmJS6_EEE10hipError_tPvRmT3_T4_T5_T6_T7_T9_mT8_P12ihipStream_tbDpT10_ENKUlT_T0_E_clISt17integral_constantIbLb0EES1B_IbLb1EEEEDaS17_S18_EUlS17_E_NS1_11comp_targetILNS1_3genE9ELNS1_11target_archE1100ELNS1_3gpuE3ELNS1_3repE0EEENS1_30default_config_static_selectorELNS0_4arch9wavefront6targetE0EEEvT1_.has_recursion, 0
	.set _ZN7rocprim17ROCPRIM_400000_NS6detail17trampoline_kernelINS0_14default_configENS1_25partition_config_selectorILNS1_17partition_subalgoE8ElNS0_10empty_typeEbEEZZNS1_14partition_implILS5_8ELb0ES3_jPlPS6_PKS6_NS0_5tupleIJS9_S6_EEENSD_IJSA_SA_EEENS0_18inequality_wrapperIZN2at6native12_GLOBAL__N_124unique_dim_cuda_templateIiEESt5tupleIJNSH_6TensorESM_SM_EERKSM_lbbbEUlllE0_EEPmJS6_EEE10hipError_tPvRmT3_T4_T5_T6_T7_T9_mT8_P12ihipStream_tbDpT10_ENKUlT_T0_E_clISt17integral_constantIbLb0EES1B_IbLb1EEEEDaS17_S18_EUlS17_E_NS1_11comp_targetILNS1_3genE9ELNS1_11target_archE1100ELNS1_3gpuE3ELNS1_3repE0EEENS1_30default_config_static_selectorELNS0_4arch9wavefront6targetE0EEEvT1_.has_indirect_call, 0
	.section	.AMDGPU.csdata,"",@progbits
; Kernel info:
; codeLenInByte = 0
; TotalNumSgprs: 0
; NumVgprs: 0
; ScratchSize: 0
; MemoryBound: 0
; FloatMode: 240
; IeeeMode: 1
; LDSByteSize: 0 bytes/workgroup (compile time only)
; SGPRBlocks: 0
; VGPRBlocks: 0
; NumSGPRsForWavesPerEU: 1
; NumVGPRsForWavesPerEU: 1
; NamedBarCnt: 0
; Occupancy: 16
; WaveLimiterHint : 0
; COMPUTE_PGM_RSRC2:SCRATCH_EN: 0
; COMPUTE_PGM_RSRC2:USER_SGPR: 2
; COMPUTE_PGM_RSRC2:TRAP_HANDLER: 0
; COMPUTE_PGM_RSRC2:TGID_X_EN: 1
; COMPUTE_PGM_RSRC2:TGID_Y_EN: 0
; COMPUTE_PGM_RSRC2:TGID_Z_EN: 0
; COMPUTE_PGM_RSRC2:TIDIG_COMP_CNT: 0
	.section	.text._ZN7rocprim17ROCPRIM_400000_NS6detail17trampoline_kernelINS0_14default_configENS1_25partition_config_selectorILNS1_17partition_subalgoE8ElNS0_10empty_typeEbEEZZNS1_14partition_implILS5_8ELb0ES3_jPlPS6_PKS6_NS0_5tupleIJS9_S6_EEENSD_IJSA_SA_EEENS0_18inequality_wrapperIZN2at6native12_GLOBAL__N_124unique_dim_cuda_templateIiEESt5tupleIJNSH_6TensorESM_SM_EERKSM_lbbbEUlllE0_EEPmJS6_EEE10hipError_tPvRmT3_T4_T5_T6_T7_T9_mT8_P12ihipStream_tbDpT10_ENKUlT_T0_E_clISt17integral_constantIbLb0EES1B_IbLb1EEEEDaS17_S18_EUlS17_E_NS1_11comp_targetILNS1_3genE8ELNS1_11target_archE1030ELNS1_3gpuE2ELNS1_3repE0EEENS1_30default_config_static_selectorELNS0_4arch9wavefront6targetE0EEEvT1_,"axG",@progbits,_ZN7rocprim17ROCPRIM_400000_NS6detail17trampoline_kernelINS0_14default_configENS1_25partition_config_selectorILNS1_17partition_subalgoE8ElNS0_10empty_typeEbEEZZNS1_14partition_implILS5_8ELb0ES3_jPlPS6_PKS6_NS0_5tupleIJS9_S6_EEENSD_IJSA_SA_EEENS0_18inequality_wrapperIZN2at6native12_GLOBAL__N_124unique_dim_cuda_templateIiEESt5tupleIJNSH_6TensorESM_SM_EERKSM_lbbbEUlllE0_EEPmJS6_EEE10hipError_tPvRmT3_T4_T5_T6_T7_T9_mT8_P12ihipStream_tbDpT10_ENKUlT_T0_E_clISt17integral_constantIbLb0EES1B_IbLb1EEEEDaS17_S18_EUlS17_E_NS1_11comp_targetILNS1_3genE8ELNS1_11target_archE1030ELNS1_3gpuE2ELNS1_3repE0EEENS1_30default_config_static_selectorELNS0_4arch9wavefront6targetE0EEEvT1_,comdat
	.globl	_ZN7rocprim17ROCPRIM_400000_NS6detail17trampoline_kernelINS0_14default_configENS1_25partition_config_selectorILNS1_17partition_subalgoE8ElNS0_10empty_typeEbEEZZNS1_14partition_implILS5_8ELb0ES3_jPlPS6_PKS6_NS0_5tupleIJS9_S6_EEENSD_IJSA_SA_EEENS0_18inequality_wrapperIZN2at6native12_GLOBAL__N_124unique_dim_cuda_templateIiEESt5tupleIJNSH_6TensorESM_SM_EERKSM_lbbbEUlllE0_EEPmJS6_EEE10hipError_tPvRmT3_T4_T5_T6_T7_T9_mT8_P12ihipStream_tbDpT10_ENKUlT_T0_E_clISt17integral_constantIbLb0EES1B_IbLb1EEEEDaS17_S18_EUlS17_E_NS1_11comp_targetILNS1_3genE8ELNS1_11target_archE1030ELNS1_3gpuE2ELNS1_3repE0EEENS1_30default_config_static_selectorELNS0_4arch9wavefront6targetE0EEEvT1_ ; -- Begin function _ZN7rocprim17ROCPRIM_400000_NS6detail17trampoline_kernelINS0_14default_configENS1_25partition_config_selectorILNS1_17partition_subalgoE8ElNS0_10empty_typeEbEEZZNS1_14partition_implILS5_8ELb0ES3_jPlPS6_PKS6_NS0_5tupleIJS9_S6_EEENSD_IJSA_SA_EEENS0_18inequality_wrapperIZN2at6native12_GLOBAL__N_124unique_dim_cuda_templateIiEESt5tupleIJNSH_6TensorESM_SM_EERKSM_lbbbEUlllE0_EEPmJS6_EEE10hipError_tPvRmT3_T4_T5_T6_T7_T9_mT8_P12ihipStream_tbDpT10_ENKUlT_T0_E_clISt17integral_constantIbLb0EES1B_IbLb1EEEEDaS17_S18_EUlS17_E_NS1_11comp_targetILNS1_3genE8ELNS1_11target_archE1030ELNS1_3gpuE2ELNS1_3repE0EEENS1_30default_config_static_selectorELNS0_4arch9wavefront6targetE0EEEvT1_
	.p2align	8
	.type	_ZN7rocprim17ROCPRIM_400000_NS6detail17trampoline_kernelINS0_14default_configENS1_25partition_config_selectorILNS1_17partition_subalgoE8ElNS0_10empty_typeEbEEZZNS1_14partition_implILS5_8ELb0ES3_jPlPS6_PKS6_NS0_5tupleIJS9_S6_EEENSD_IJSA_SA_EEENS0_18inequality_wrapperIZN2at6native12_GLOBAL__N_124unique_dim_cuda_templateIiEESt5tupleIJNSH_6TensorESM_SM_EERKSM_lbbbEUlllE0_EEPmJS6_EEE10hipError_tPvRmT3_T4_T5_T6_T7_T9_mT8_P12ihipStream_tbDpT10_ENKUlT_T0_E_clISt17integral_constantIbLb0EES1B_IbLb1EEEEDaS17_S18_EUlS17_E_NS1_11comp_targetILNS1_3genE8ELNS1_11target_archE1030ELNS1_3gpuE2ELNS1_3repE0EEENS1_30default_config_static_selectorELNS0_4arch9wavefront6targetE0EEEvT1_,@function
_ZN7rocprim17ROCPRIM_400000_NS6detail17trampoline_kernelINS0_14default_configENS1_25partition_config_selectorILNS1_17partition_subalgoE8ElNS0_10empty_typeEbEEZZNS1_14partition_implILS5_8ELb0ES3_jPlPS6_PKS6_NS0_5tupleIJS9_S6_EEENSD_IJSA_SA_EEENS0_18inequality_wrapperIZN2at6native12_GLOBAL__N_124unique_dim_cuda_templateIiEESt5tupleIJNSH_6TensorESM_SM_EERKSM_lbbbEUlllE0_EEPmJS6_EEE10hipError_tPvRmT3_T4_T5_T6_T7_T9_mT8_P12ihipStream_tbDpT10_ENKUlT_T0_E_clISt17integral_constantIbLb0EES1B_IbLb1EEEEDaS17_S18_EUlS17_E_NS1_11comp_targetILNS1_3genE8ELNS1_11target_archE1030ELNS1_3gpuE2ELNS1_3repE0EEENS1_30default_config_static_selectorELNS0_4arch9wavefront6targetE0EEEvT1_: ; @_ZN7rocprim17ROCPRIM_400000_NS6detail17trampoline_kernelINS0_14default_configENS1_25partition_config_selectorILNS1_17partition_subalgoE8ElNS0_10empty_typeEbEEZZNS1_14partition_implILS5_8ELb0ES3_jPlPS6_PKS6_NS0_5tupleIJS9_S6_EEENSD_IJSA_SA_EEENS0_18inequality_wrapperIZN2at6native12_GLOBAL__N_124unique_dim_cuda_templateIiEESt5tupleIJNSH_6TensorESM_SM_EERKSM_lbbbEUlllE0_EEPmJS6_EEE10hipError_tPvRmT3_T4_T5_T6_T7_T9_mT8_P12ihipStream_tbDpT10_ENKUlT_T0_E_clISt17integral_constantIbLb0EES1B_IbLb1EEEEDaS17_S18_EUlS17_E_NS1_11comp_targetILNS1_3genE8ELNS1_11target_archE1030ELNS1_3gpuE2ELNS1_3repE0EEENS1_30default_config_static_selectorELNS0_4arch9wavefront6targetE0EEEvT1_
; %bb.0:
	.section	.rodata,"a",@progbits
	.p2align	6, 0x0
	.amdhsa_kernel _ZN7rocprim17ROCPRIM_400000_NS6detail17trampoline_kernelINS0_14default_configENS1_25partition_config_selectorILNS1_17partition_subalgoE8ElNS0_10empty_typeEbEEZZNS1_14partition_implILS5_8ELb0ES3_jPlPS6_PKS6_NS0_5tupleIJS9_S6_EEENSD_IJSA_SA_EEENS0_18inequality_wrapperIZN2at6native12_GLOBAL__N_124unique_dim_cuda_templateIiEESt5tupleIJNSH_6TensorESM_SM_EERKSM_lbbbEUlllE0_EEPmJS6_EEE10hipError_tPvRmT3_T4_T5_T6_T7_T9_mT8_P12ihipStream_tbDpT10_ENKUlT_T0_E_clISt17integral_constantIbLb0EES1B_IbLb1EEEEDaS17_S18_EUlS17_E_NS1_11comp_targetILNS1_3genE8ELNS1_11target_archE1030ELNS1_3gpuE2ELNS1_3repE0EEENS1_30default_config_static_selectorELNS0_4arch9wavefront6targetE0EEEvT1_
		.amdhsa_group_segment_fixed_size 0
		.amdhsa_private_segment_fixed_size 0
		.amdhsa_kernarg_size 136
		.amdhsa_user_sgpr_count 2
		.amdhsa_user_sgpr_dispatch_ptr 0
		.amdhsa_user_sgpr_queue_ptr 0
		.amdhsa_user_sgpr_kernarg_segment_ptr 1
		.amdhsa_user_sgpr_dispatch_id 0
		.amdhsa_user_sgpr_kernarg_preload_length 0
		.amdhsa_user_sgpr_kernarg_preload_offset 0
		.amdhsa_user_sgpr_private_segment_size 0
		.amdhsa_wavefront_size32 1
		.amdhsa_uses_dynamic_stack 0
		.amdhsa_enable_private_segment 0
		.amdhsa_system_sgpr_workgroup_id_x 1
		.amdhsa_system_sgpr_workgroup_id_y 0
		.amdhsa_system_sgpr_workgroup_id_z 0
		.amdhsa_system_sgpr_workgroup_info 0
		.amdhsa_system_vgpr_workitem_id 0
		.amdhsa_next_free_vgpr 1
		.amdhsa_next_free_sgpr 1
		.amdhsa_named_barrier_count 0
		.amdhsa_reserve_vcc 0
		.amdhsa_float_round_mode_32 0
		.amdhsa_float_round_mode_16_64 0
		.amdhsa_float_denorm_mode_32 3
		.amdhsa_float_denorm_mode_16_64 3
		.amdhsa_fp16_overflow 0
		.amdhsa_memory_ordered 1
		.amdhsa_forward_progress 1
		.amdhsa_inst_pref_size 0
		.amdhsa_round_robin_scheduling 0
		.amdhsa_exception_fp_ieee_invalid_op 0
		.amdhsa_exception_fp_denorm_src 0
		.amdhsa_exception_fp_ieee_div_zero 0
		.amdhsa_exception_fp_ieee_overflow 0
		.amdhsa_exception_fp_ieee_underflow 0
		.amdhsa_exception_fp_ieee_inexact 0
		.amdhsa_exception_int_div_zero 0
	.end_amdhsa_kernel
	.section	.text._ZN7rocprim17ROCPRIM_400000_NS6detail17trampoline_kernelINS0_14default_configENS1_25partition_config_selectorILNS1_17partition_subalgoE8ElNS0_10empty_typeEbEEZZNS1_14partition_implILS5_8ELb0ES3_jPlPS6_PKS6_NS0_5tupleIJS9_S6_EEENSD_IJSA_SA_EEENS0_18inequality_wrapperIZN2at6native12_GLOBAL__N_124unique_dim_cuda_templateIiEESt5tupleIJNSH_6TensorESM_SM_EERKSM_lbbbEUlllE0_EEPmJS6_EEE10hipError_tPvRmT3_T4_T5_T6_T7_T9_mT8_P12ihipStream_tbDpT10_ENKUlT_T0_E_clISt17integral_constantIbLb0EES1B_IbLb1EEEEDaS17_S18_EUlS17_E_NS1_11comp_targetILNS1_3genE8ELNS1_11target_archE1030ELNS1_3gpuE2ELNS1_3repE0EEENS1_30default_config_static_selectorELNS0_4arch9wavefront6targetE0EEEvT1_,"axG",@progbits,_ZN7rocprim17ROCPRIM_400000_NS6detail17trampoline_kernelINS0_14default_configENS1_25partition_config_selectorILNS1_17partition_subalgoE8ElNS0_10empty_typeEbEEZZNS1_14partition_implILS5_8ELb0ES3_jPlPS6_PKS6_NS0_5tupleIJS9_S6_EEENSD_IJSA_SA_EEENS0_18inequality_wrapperIZN2at6native12_GLOBAL__N_124unique_dim_cuda_templateIiEESt5tupleIJNSH_6TensorESM_SM_EERKSM_lbbbEUlllE0_EEPmJS6_EEE10hipError_tPvRmT3_T4_T5_T6_T7_T9_mT8_P12ihipStream_tbDpT10_ENKUlT_T0_E_clISt17integral_constantIbLb0EES1B_IbLb1EEEEDaS17_S18_EUlS17_E_NS1_11comp_targetILNS1_3genE8ELNS1_11target_archE1030ELNS1_3gpuE2ELNS1_3repE0EEENS1_30default_config_static_selectorELNS0_4arch9wavefront6targetE0EEEvT1_,comdat
.Lfunc_end472:
	.size	_ZN7rocprim17ROCPRIM_400000_NS6detail17trampoline_kernelINS0_14default_configENS1_25partition_config_selectorILNS1_17partition_subalgoE8ElNS0_10empty_typeEbEEZZNS1_14partition_implILS5_8ELb0ES3_jPlPS6_PKS6_NS0_5tupleIJS9_S6_EEENSD_IJSA_SA_EEENS0_18inequality_wrapperIZN2at6native12_GLOBAL__N_124unique_dim_cuda_templateIiEESt5tupleIJNSH_6TensorESM_SM_EERKSM_lbbbEUlllE0_EEPmJS6_EEE10hipError_tPvRmT3_T4_T5_T6_T7_T9_mT8_P12ihipStream_tbDpT10_ENKUlT_T0_E_clISt17integral_constantIbLb0EES1B_IbLb1EEEEDaS17_S18_EUlS17_E_NS1_11comp_targetILNS1_3genE8ELNS1_11target_archE1030ELNS1_3gpuE2ELNS1_3repE0EEENS1_30default_config_static_selectorELNS0_4arch9wavefront6targetE0EEEvT1_, .Lfunc_end472-_ZN7rocprim17ROCPRIM_400000_NS6detail17trampoline_kernelINS0_14default_configENS1_25partition_config_selectorILNS1_17partition_subalgoE8ElNS0_10empty_typeEbEEZZNS1_14partition_implILS5_8ELb0ES3_jPlPS6_PKS6_NS0_5tupleIJS9_S6_EEENSD_IJSA_SA_EEENS0_18inequality_wrapperIZN2at6native12_GLOBAL__N_124unique_dim_cuda_templateIiEESt5tupleIJNSH_6TensorESM_SM_EERKSM_lbbbEUlllE0_EEPmJS6_EEE10hipError_tPvRmT3_T4_T5_T6_T7_T9_mT8_P12ihipStream_tbDpT10_ENKUlT_T0_E_clISt17integral_constantIbLb0EES1B_IbLb1EEEEDaS17_S18_EUlS17_E_NS1_11comp_targetILNS1_3genE8ELNS1_11target_archE1030ELNS1_3gpuE2ELNS1_3repE0EEENS1_30default_config_static_selectorELNS0_4arch9wavefront6targetE0EEEvT1_
                                        ; -- End function
	.set _ZN7rocprim17ROCPRIM_400000_NS6detail17trampoline_kernelINS0_14default_configENS1_25partition_config_selectorILNS1_17partition_subalgoE8ElNS0_10empty_typeEbEEZZNS1_14partition_implILS5_8ELb0ES3_jPlPS6_PKS6_NS0_5tupleIJS9_S6_EEENSD_IJSA_SA_EEENS0_18inequality_wrapperIZN2at6native12_GLOBAL__N_124unique_dim_cuda_templateIiEESt5tupleIJNSH_6TensorESM_SM_EERKSM_lbbbEUlllE0_EEPmJS6_EEE10hipError_tPvRmT3_T4_T5_T6_T7_T9_mT8_P12ihipStream_tbDpT10_ENKUlT_T0_E_clISt17integral_constantIbLb0EES1B_IbLb1EEEEDaS17_S18_EUlS17_E_NS1_11comp_targetILNS1_3genE8ELNS1_11target_archE1030ELNS1_3gpuE2ELNS1_3repE0EEENS1_30default_config_static_selectorELNS0_4arch9wavefront6targetE0EEEvT1_.num_vgpr, 0
	.set _ZN7rocprim17ROCPRIM_400000_NS6detail17trampoline_kernelINS0_14default_configENS1_25partition_config_selectorILNS1_17partition_subalgoE8ElNS0_10empty_typeEbEEZZNS1_14partition_implILS5_8ELb0ES3_jPlPS6_PKS6_NS0_5tupleIJS9_S6_EEENSD_IJSA_SA_EEENS0_18inequality_wrapperIZN2at6native12_GLOBAL__N_124unique_dim_cuda_templateIiEESt5tupleIJNSH_6TensorESM_SM_EERKSM_lbbbEUlllE0_EEPmJS6_EEE10hipError_tPvRmT3_T4_T5_T6_T7_T9_mT8_P12ihipStream_tbDpT10_ENKUlT_T0_E_clISt17integral_constantIbLb0EES1B_IbLb1EEEEDaS17_S18_EUlS17_E_NS1_11comp_targetILNS1_3genE8ELNS1_11target_archE1030ELNS1_3gpuE2ELNS1_3repE0EEENS1_30default_config_static_selectorELNS0_4arch9wavefront6targetE0EEEvT1_.num_agpr, 0
	.set _ZN7rocprim17ROCPRIM_400000_NS6detail17trampoline_kernelINS0_14default_configENS1_25partition_config_selectorILNS1_17partition_subalgoE8ElNS0_10empty_typeEbEEZZNS1_14partition_implILS5_8ELb0ES3_jPlPS6_PKS6_NS0_5tupleIJS9_S6_EEENSD_IJSA_SA_EEENS0_18inequality_wrapperIZN2at6native12_GLOBAL__N_124unique_dim_cuda_templateIiEESt5tupleIJNSH_6TensorESM_SM_EERKSM_lbbbEUlllE0_EEPmJS6_EEE10hipError_tPvRmT3_T4_T5_T6_T7_T9_mT8_P12ihipStream_tbDpT10_ENKUlT_T0_E_clISt17integral_constantIbLb0EES1B_IbLb1EEEEDaS17_S18_EUlS17_E_NS1_11comp_targetILNS1_3genE8ELNS1_11target_archE1030ELNS1_3gpuE2ELNS1_3repE0EEENS1_30default_config_static_selectorELNS0_4arch9wavefront6targetE0EEEvT1_.numbered_sgpr, 0
	.set _ZN7rocprim17ROCPRIM_400000_NS6detail17trampoline_kernelINS0_14default_configENS1_25partition_config_selectorILNS1_17partition_subalgoE8ElNS0_10empty_typeEbEEZZNS1_14partition_implILS5_8ELb0ES3_jPlPS6_PKS6_NS0_5tupleIJS9_S6_EEENSD_IJSA_SA_EEENS0_18inequality_wrapperIZN2at6native12_GLOBAL__N_124unique_dim_cuda_templateIiEESt5tupleIJNSH_6TensorESM_SM_EERKSM_lbbbEUlllE0_EEPmJS6_EEE10hipError_tPvRmT3_T4_T5_T6_T7_T9_mT8_P12ihipStream_tbDpT10_ENKUlT_T0_E_clISt17integral_constantIbLb0EES1B_IbLb1EEEEDaS17_S18_EUlS17_E_NS1_11comp_targetILNS1_3genE8ELNS1_11target_archE1030ELNS1_3gpuE2ELNS1_3repE0EEENS1_30default_config_static_selectorELNS0_4arch9wavefront6targetE0EEEvT1_.num_named_barrier, 0
	.set _ZN7rocprim17ROCPRIM_400000_NS6detail17trampoline_kernelINS0_14default_configENS1_25partition_config_selectorILNS1_17partition_subalgoE8ElNS0_10empty_typeEbEEZZNS1_14partition_implILS5_8ELb0ES3_jPlPS6_PKS6_NS0_5tupleIJS9_S6_EEENSD_IJSA_SA_EEENS0_18inequality_wrapperIZN2at6native12_GLOBAL__N_124unique_dim_cuda_templateIiEESt5tupleIJNSH_6TensorESM_SM_EERKSM_lbbbEUlllE0_EEPmJS6_EEE10hipError_tPvRmT3_T4_T5_T6_T7_T9_mT8_P12ihipStream_tbDpT10_ENKUlT_T0_E_clISt17integral_constantIbLb0EES1B_IbLb1EEEEDaS17_S18_EUlS17_E_NS1_11comp_targetILNS1_3genE8ELNS1_11target_archE1030ELNS1_3gpuE2ELNS1_3repE0EEENS1_30default_config_static_selectorELNS0_4arch9wavefront6targetE0EEEvT1_.private_seg_size, 0
	.set _ZN7rocprim17ROCPRIM_400000_NS6detail17trampoline_kernelINS0_14default_configENS1_25partition_config_selectorILNS1_17partition_subalgoE8ElNS0_10empty_typeEbEEZZNS1_14partition_implILS5_8ELb0ES3_jPlPS6_PKS6_NS0_5tupleIJS9_S6_EEENSD_IJSA_SA_EEENS0_18inequality_wrapperIZN2at6native12_GLOBAL__N_124unique_dim_cuda_templateIiEESt5tupleIJNSH_6TensorESM_SM_EERKSM_lbbbEUlllE0_EEPmJS6_EEE10hipError_tPvRmT3_T4_T5_T6_T7_T9_mT8_P12ihipStream_tbDpT10_ENKUlT_T0_E_clISt17integral_constantIbLb0EES1B_IbLb1EEEEDaS17_S18_EUlS17_E_NS1_11comp_targetILNS1_3genE8ELNS1_11target_archE1030ELNS1_3gpuE2ELNS1_3repE0EEENS1_30default_config_static_selectorELNS0_4arch9wavefront6targetE0EEEvT1_.uses_vcc, 0
	.set _ZN7rocprim17ROCPRIM_400000_NS6detail17trampoline_kernelINS0_14default_configENS1_25partition_config_selectorILNS1_17partition_subalgoE8ElNS0_10empty_typeEbEEZZNS1_14partition_implILS5_8ELb0ES3_jPlPS6_PKS6_NS0_5tupleIJS9_S6_EEENSD_IJSA_SA_EEENS0_18inequality_wrapperIZN2at6native12_GLOBAL__N_124unique_dim_cuda_templateIiEESt5tupleIJNSH_6TensorESM_SM_EERKSM_lbbbEUlllE0_EEPmJS6_EEE10hipError_tPvRmT3_T4_T5_T6_T7_T9_mT8_P12ihipStream_tbDpT10_ENKUlT_T0_E_clISt17integral_constantIbLb0EES1B_IbLb1EEEEDaS17_S18_EUlS17_E_NS1_11comp_targetILNS1_3genE8ELNS1_11target_archE1030ELNS1_3gpuE2ELNS1_3repE0EEENS1_30default_config_static_selectorELNS0_4arch9wavefront6targetE0EEEvT1_.uses_flat_scratch, 0
	.set _ZN7rocprim17ROCPRIM_400000_NS6detail17trampoline_kernelINS0_14default_configENS1_25partition_config_selectorILNS1_17partition_subalgoE8ElNS0_10empty_typeEbEEZZNS1_14partition_implILS5_8ELb0ES3_jPlPS6_PKS6_NS0_5tupleIJS9_S6_EEENSD_IJSA_SA_EEENS0_18inequality_wrapperIZN2at6native12_GLOBAL__N_124unique_dim_cuda_templateIiEESt5tupleIJNSH_6TensorESM_SM_EERKSM_lbbbEUlllE0_EEPmJS6_EEE10hipError_tPvRmT3_T4_T5_T6_T7_T9_mT8_P12ihipStream_tbDpT10_ENKUlT_T0_E_clISt17integral_constantIbLb0EES1B_IbLb1EEEEDaS17_S18_EUlS17_E_NS1_11comp_targetILNS1_3genE8ELNS1_11target_archE1030ELNS1_3gpuE2ELNS1_3repE0EEENS1_30default_config_static_selectorELNS0_4arch9wavefront6targetE0EEEvT1_.has_dyn_sized_stack, 0
	.set _ZN7rocprim17ROCPRIM_400000_NS6detail17trampoline_kernelINS0_14default_configENS1_25partition_config_selectorILNS1_17partition_subalgoE8ElNS0_10empty_typeEbEEZZNS1_14partition_implILS5_8ELb0ES3_jPlPS6_PKS6_NS0_5tupleIJS9_S6_EEENSD_IJSA_SA_EEENS0_18inequality_wrapperIZN2at6native12_GLOBAL__N_124unique_dim_cuda_templateIiEESt5tupleIJNSH_6TensorESM_SM_EERKSM_lbbbEUlllE0_EEPmJS6_EEE10hipError_tPvRmT3_T4_T5_T6_T7_T9_mT8_P12ihipStream_tbDpT10_ENKUlT_T0_E_clISt17integral_constantIbLb0EES1B_IbLb1EEEEDaS17_S18_EUlS17_E_NS1_11comp_targetILNS1_3genE8ELNS1_11target_archE1030ELNS1_3gpuE2ELNS1_3repE0EEENS1_30default_config_static_selectorELNS0_4arch9wavefront6targetE0EEEvT1_.has_recursion, 0
	.set _ZN7rocprim17ROCPRIM_400000_NS6detail17trampoline_kernelINS0_14default_configENS1_25partition_config_selectorILNS1_17partition_subalgoE8ElNS0_10empty_typeEbEEZZNS1_14partition_implILS5_8ELb0ES3_jPlPS6_PKS6_NS0_5tupleIJS9_S6_EEENSD_IJSA_SA_EEENS0_18inequality_wrapperIZN2at6native12_GLOBAL__N_124unique_dim_cuda_templateIiEESt5tupleIJNSH_6TensorESM_SM_EERKSM_lbbbEUlllE0_EEPmJS6_EEE10hipError_tPvRmT3_T4_T5_T6_T7_T9_mT8_P12ihipStream_tbDpT10_ENKUlT_T0_E_clISt17integral_constantIbLb0EES1B_IbLb1EEEEDaS17_S18_EUlS17_E_NS1_11comp_targetILNS1_3genE8ELNS1_11target_archE1030ELNS1_3gpuE2ELNS1_3repE0EEENS1_30default_config_static_selectorELNS0_4arch9wavefront6targetE0EEEvT1_.has_indirect_call, 0
	.section	.AMDGPU.csdata,"",@progbits
; Kernel info:
; codeLenInByte = 0
; TotalNumSgprs: 0
; NumVgprs: 0
; ScratchSize: 0
; MemoryBound: 0
; FloatMode: 240
; IeeeMode: 1
; LDSByteSize: 0 bytes/workgroup (compile time only)
; SGPRBlocks: 0
; VGPRBlocks: 0
; NumSGPRsForWavesPerEU: 1
; NumVGPRsForWavesPerEU: 1
; NamedBarCnt: 0
; Occupancy: 16
; WaveLimiterHint : 0
; COMPUTE_PGM_RSRC2:SCRATCH_EN: 0
; COMPUTE_PGM_RSRC2:USER_SGPR: 2
; COMPUTE_PGM_RSRC2:TRAP_HANDLER: 0
; COMPUTE_PGM_RSRC2:TGID_X_EN: 1
; COMPUTE_PGM_RSRC2:TGID_Y_EN: 0
; COMPUTE_PGM_RSRC2:TGID_Z_EN: 0
; COMPUTE_PGM_RSRC2:TIDIG_COMP_CNT: 0
	.section	.text._ZN7rocprim17ROCPRIM_400000_NS6detail17trampoline_kernelINS0_14default_configENS1_25partition_config_selectorILNS1_17partition_subalgoE9EllbEEZZNS1_14partition_implILS5_9ELb0ES3_jPlS8_PNS0_10empty_typeENS0_5tupleIJS8_S9_EEENSB_IJS8_SA_EEENS0_18inequality_wrapperIZN2at6native12_GLOBAL__N_124unique_dim_cuda_templateIiEESt5tupleIJNSF_6TensorESK_SK_EERKSK_lbbbEUlllE0_EEPmJS9_EEE10hipError_tPvRmT3_T4_T5_T6_T7_T9_mT8_P12ihipStream_tbDpT10_ENKUlT_T0_E_clISt17integral_constantIbLb0EES1A_EEDaS15_S16_EUlS15_E_NS1_11comp_targetILNS1_3genE0ELNS1_11target_archE4294967295ELNS1_3gpuE0ELNS1_3repE0EEENS1_30default_config_static_selectorELNS0_4arch9wavefront6targetE0EEEvT1_,"axG",@progbits,_ZN7rocprim17ROCPRIM_400000_NS6detail17trampoline_kernelINS0_14default_configENS1_25partition_config_selectorILNS1_17partition_subalgoE9EllbEEZZNS1_14partition_implILS5_9ELb0ES3_jPlS8_PNS0_10empty_typeENS0_5tupleIJS8_S9_EEENSB_IJS8_SA_EEENS0_18inequality_wrapperIZN2at6native12_GLOBAL__N_124unique_dim_cuda_templateIiEESt5tupleIJNSF_6TensorESK_SK_EERKSK_lbbbEUlllE0_EEPmJS9_EEE10hipError_tPvRmT3_T4_T5_T6_T7_T9_mT8_P12ihipStream_tbDpT10_ENKUlT_T0_E_clISt17integral_constantIbLb0EES1A_EEDaS15_S16_EUlS15_E_NS1_11comp_targetILNS1_3genE0ELNS1_11target_archE4294967295ELNS1_3gpuE0ELNS1_3repE0EEENS1_30default_config_static_selectorELNS0_4arch9wavefront6targetE0EEEvT1_,comdat
	.globl	_ZN7rocprim17ROCPRIM_400000_NS6detail17trampoline_kernelINS0_14default_configENS1_25partition_config_selectorILNS1_17partition_subalgoE9EllbEEZZNS1_14partition_implILS5_9ELb0ES3_jPlS8_PNS0_10empty_typeENS0_5tupleIJS8_S9_EEENSB_IJS8_SA_EEENS0_18inequality_wrapperIZN2at6native12_GLOBAL__N_124unique_dim_cuda_templateIiEESt5tupleIJNSF_6TensorESK_SK_EERKSK_lbbbEUlllE0_EEPmJS9_EEE10hipError_tPvRmT3_T4_T5_T6_T7_T9_mT8_P12ihipStream_tbDpT10_ENKUlT_T0_E_clISt17integral_constantIbLb0EES1A_EEDaS15_S16_EUlS15_E_NS1_11comp_targetILNS1_3genE0ELNS1_11target_archE4294967295ELNS1_3gpuE0ELNS1_3repE0EEENS1_30default_config_static_selectorELNS0_4arch9wavefront6targetE0EEEvT1_ ; -- Begin function _ZN7rocprim17ROCPRIM_400000_NS6detail17trampoline_kernelINS0_14default_configENS1_25partition_config_selectorILNS1_17partition_subalgoE9EllbEEZZNS1_14partition_implILS5_9ELb0ES3_jPlS8_PNS0_10empty_typeENS0_5tupleIJS8_S9_EEENSB_IJS8_SA_EEENS0_18inequality_wrapperIZN2at6native12_GLOBAL__N_124unique_dim_cuda_templateIiEESt5tupleIJNSF_6TensorESK_SK_EERKSK_lbbbEUlllE0_EEPmJS9_EEE10hipError_tPvRmT3_T4_T5_T6_T7_T9_mT8_P12ihipStream_tbDpT10_ENKUlT_T0_E_clISt17integral_constantIbLb0EES1A_EEDaS15_S16_EUlS15_E_NS1_11comp_targetILNS1_3genE0ELNS1_11target_archE4294967295ELNS1_3gpuE0ELNS1_3repE0EEENS1_30default_config_static_selectorELNS0_4arch9wavefront6targetE0EEEvT1_
	.p2align	8
	.type	_ZN7rocprim17ROCPRIM_400000_NS6detail17trampoline_kernelINS0_14default_configENS1_25partition_config_selectorILNS1_17partition_subalgoE9EllbEEZZNS1_14partition_implILS5_9ELb0ES3_jPlS8_PNS0_10empty_typeENS0_5tupleIJS8_S9_EEENSB_IJS8_SA_EEENS0_18inequality_wrapperIZN2at6native12_GLOBAL__N_124unique_dim_cuda_templateIiEESt5tupleIJNSF_6TensorESK_SK_EERKSK_lbbbEUlllE0_EEPmJS9_EEE10hipError_tPvRmT3_T4_T5_T6_T7_T9_mT8_P12ihipStream_tbDpT10_ENKUlT_T0_E_clISt17integral_constantIbLb0EES1A_EEDaS15_S16_EUlS15_E_NS1_11comp_targetILNS1_3genE0ELNS1_11target_archE4294967295ELNS1_3gpuE0ELNS1_3repE0EEENS1_30default_config_static_selectorELNS0_4arch9wavefront6targetE0EEEvT1_,@function
_ZN7rocprim17ROCPRIM_400000_NS6detail17trampoline_kernelINS0_14default_configENS1_25partition_config_selectorILNS1_17partition_subalgoE9EllbEEZZNS1_14partition_implILS5_9ELb0ES3_jPlS8_PNS0_10empty_typeENS0_5tupleIJS8_S9_EEENSB_IJS8_SA_EEENS0_18inequality_wrapperIZN2at6native12_GLOBAL__N_124unique_dim_cuda_templateIiEESt5tupleIJNSF_6TensorESK_SK_EERKSK_lbbbEUlllE0_EEPmJS9_EEE10hipError_tPvRmT3_T4_T5_T6_T7_T9_mT8_P12ihipStream_tbDpT10_ENKUlT_T0_E_clISt17integral_constantIbLb0EES1A_EEDaS15_S16_EUlS15_E_NS1_11comp_targetILNS1_3genE0ELNS1_11target_archE4294967295ELNS1_3gpuE0ELNS1_3repE0EEENS1_30default_config_static_selectorELNS0_4arch9wavefront6targetE0EEEvT1_: ; @_ZN7rocprim17ROCPRIM_400000_NS6detail17trampoline_kernelINS0_14default_configENS1_25partition_config_selectorILNS1_17partition_subalgoE9EllbEEZZNS1_14partition_implILS5_9ELb0ES3_jPlS8_PNS0_10empty_typeENS0_5tupleIJS8_S9_EEENSB_IJS8_SA_EEENS0_18inequality_wrapperIZN2at6native12_GLOBAL__N_124unique_dim_cuda_templateIiEESt5tupleIJNSF_6TensorESK_SK_EERKSK_lbbbEUlllE0_EEPmJS9_EEE10hipError_tPvRmT3_T4_T5_T6_T7_T9_mT8_P12ihipStream_tbDpT10_ENKUlT_T0_E_clISt17integral_constantIbLb0EES1A_EEDaS15_S16_EUlS15_E_NS1_11comp_targetILNS1_3genE0ELNS1_11target_archE4294967295ELNS1_3gpuE0ELNS1_3repE0EEENS1_30default_config_static_selectorELNS0_4arch9wavefront6targetE0EEEvT1_
; %bb.0:
	s_clause 0x2
	s_load_b128 s[4:7], s[0:1], 0x8
	s_load_b256 s[12:19], s[0:1], 0x40
	s_load_b32 s2, s[0:1], 0x70
	s_bfe_u32 s10, ttmp6, 0x4000c
	s_and_b32 s8, ttmp6, 15
	s_add_co_i32 s10, s10, 1
	s_load_b64 s[20:21], s[0:1], 0x18
	s_mul_i32 s10, ttmp9, s10
	s_getreg_b32 s24, hwreg(HW_REG_IB_STS2, 6, 4)
	s_add_co_i32 s10, s8, s10
	s_mov_b32 s9, 0
	v_dual_mov_b32 v1, v0 :: v_dual_lshlrev_b32 v34, 3, v0
	s_mov_b32 s11, s9
	s_mov_b32 s3, -1
	s_wait_kmcnt 0x0
	s_lshl_b64 s[22:23], s[6:7], 3
	s_load_b64 s[14:15], s[14:15], 0x0
	s_mul_i32 s8, s2, 0x280
	s_cmp_eq_u32 s24, 0
	s_add_nc_u64 s[24:25], s[6:7], s[8:9]
	s_cselect_b32 s26, ttmp9, s10
	s_add_co_i32 s8, s8, s6
	v_cmp_le_u64_e64 s9, s[16:17], s[24:25]
	s_sub_co_i32 s27, s16, s8
	s_add_co_i32 s2, s2, -1
	s_addk_co_i32 s27, 0x280
	s_cmp_eq_u32 s26, s2
	s_mul_i32 s10, s26, 0x280
	s_cselect_b32 s24, -1, 0
	s_add_nc_u64 s[4:5], s[4:5], s[22:23]
	s_and_b32 s28, s24, s9
	s_lshl_b64 s[16:17], s[10:11], 3
	s_xor_b32 s25, s28, -1
	s_add_nc_u64 s[4:5], s[4:5], s[16:17]
	s_and_b32 vcc_lo, exec_lo, s25
	s_cbranch_vccz .LBB473_2
; %bb.1:
	s_clause 0x4
	global_load_b64 v[2:3], v0, s[4:5] scale_offset
	global_load_b64 v[4:5], v0, s[4:5] offset:1024 scale_offset
	global_load_b64 v[6:7], v0, s[4:5] offset:2048 scale_offset
	;; [unrolled: 1-line block ×4, first 2 shown]
	v_lshlrev_b32_e32 v12, 3, v0
	s_mov_b32 s3, 0
	s_wait_loadcnt 0x3
	ds_store_2addr_stride64_b64 v12, v[2:3], v[4:5] offset1:2
	s_wait_loadcnt 0x1
	ds_store_2addr_stride64_b64 v12, v[6:7], v[8:9] offset0:4 offset1:6
	s_wait_loadcnt 0x0
	ds_store_b64 v12, v[10:11] offset:4096
	s_wait_dscnt 0x0
	s_barrier_signal -1
	s_barrier_wait -1
.LBB473_2:
	s_load_b128 s[8:11], s[0:1], 0x60
	v_cmp_gt_u32_e64 s2, s27, v0
	s_and_not1_b32 vcc_lo, exec_lo, s3
	s_cbranch_vccnz .LBB473_14
; %bb.3:
	v_mov_b32_e32 v2, 0
	s_delay_alu instid0(VALU_DEP_1)
	v_dual_mov_b32 v3, v2 :: v_dual_mov_b32 v4, v2
	v_dual_mov_b32 v5, v2 :: v_dual_mov_b32 v6, v2
	;; [unrolled: 1-line block ×4, first 2 shown]
	v_mov_b32_e32 v11, v2
	s_and_saveexec_b32 s3, s2
	s_cbranch_execz .LBB473_5
; %bb.4:
	global_load_b64 v[4:5], v0, s[4:5] scale_offset
	v_dual_mov_b32 v6, v2 :: v_dual_mov_b32 v7, v2
	v_dual_mov_b32 v8, v2 :: v_dual_mov_b32 v9, v2
	;; [unrolled: 1-line block ×4, first 2 shown]
	s_wait_loadcnt 0x0
	v_mov_b64_e32 v[2:3], v[4:5]
	v_mov_b64_e32 v[4:5], v[6:7]
	;; [unrolled: 1-line block ×8, first 2 shown]
.LBB473_5:
	s_or_b32 exec_lo, exec_lo, s3
	v_or_b32_e32 v12, 0x80, v0
	s_mov_b32 s2, exec_lo
	s_delay_alu instid0(VALU_DEP_1)
	v_cmpx_gt_u32_e64 s27, v12
	s_cbranch_execz .LBB473_7
; %bb.6:
	global_load_b64 v[4:5], v0, s[4:5] offset:1024 scale_offset
.LBB473_7:
	s_wait_xcnt 0x0
	s_or_b32 exec_lo, exec_lo, s2
	v_or_b32_e32 v12, 0x100, v0
	s_mov_b32 s2, exec_lo
	s_delay_alu instid0(VALU_DEP_1)
	v_cmpx_gt_u32_e64 s27, v12
	s_cbranch_execz .LBB473_9
; %bb.8:
	global_load_b64 v[6:7], v0, s[4:5] offset:2048 scale_offset
.LBB473_9:
	s_wait_xcnt 0x0
	;; [unrolled: 10-line block ×4, first 2 shown]
	s_or_b32 exec_lo, exec_lo, s2
	v_lshlrev_b32_e32 v12, 3, v0
	s_wait_loadcnt 0x0
	ds_store_2addr_stride64_b64 v12, v[2:3], v[4:5] offset1:2
	ds_store_2addr_stride64_b64 v12, v[6:7], v[8:9] offset0:4 offset1:6
	ds_store_b64 v12, v[10:11] offset:4096
	s_wait_dscnt 0x0
	s_barrier_signal -1
	s_barrier_wait -1
.LBB473_14:
	v_mul_u32_u24_e32 v30, 5, v0
	s_add_nc_u64 s[2:3], s[20:21], s[22:23]
	s_and_b32 vcc_lo, exec_lo, s25
	s_add_nc_u64 s[2:3], s[2:3], s[16:17]
	s_delay_alu instid0(VALU_DEP_1)
	v_lshlrev_b32_e32 v28, 3, v30
	s_mov_b32 s16, -1
	ds_load_2addr_b64 v[14:17], v28 offset1:1
	ds_load_2addr_b64 v[10:13], v28 offset0:2 offset1:3
	ds_load_b64 v[20:21], v28 offset:32
	s_wait_dscnt 0x0
	s_barrier_signal -1
	s_barrier_wait -1
	s_cbranch_vccz .LBB473_16
; %bb.15:
	s_clause 0x4
	global_load_b64 v[2:3], v0, s[2:3] scale_offset
	global_load_b64 v[4:5], v0, s[2:3] offset:1024 scale_offset
	global_load_b64 v[6:7], v0, s[2:3] offset:2048 scale_offset
	;; [unrolled: 1-line block ×4, first 2 shown]
	v_lshlrev_b32_e32 v22, 3, v0
	s_mov_b32 s16, 0
	s_wait_loadcnt 0x3
	ds_store_2addr_stride64_b64 v22, v[2:3], v[4:5] offset1:2
	s_wait_loadcnt 0x1
	ds_store_2addr_stride64_b64 v22, v[6:7], v[8:9] offset0:4 offset1:6
	s_wait_loadcnt 0x0
	ds_store_b64 v22, v[18:19] offset:4096
	s_wait_dscnt 0x0
	s_barrier_signal -1
	s_barrier_wait -1
.LBB473_16:
	s_and_not1_b32 vcc_lo, exec_lo, s16
	s_cbranch_vccnz .LBB473_28
; %bb.17:
	s_mov_b32 s16, exec_lo
                                        ; implicit-def: $vgpr2_vgpr3
	v_cmpx_gt_u32_e64 s27, v0
	s_cbranch_execz .LBB473_19
; %bb.18:
	global_load_b64 v[2:3], v0, s[2:3] scale_offset
.LBB473_19:
	s_wait_xcnt 0x0
	s_or_b32 exec_lo, exec_lo, s16
	v_or_b32_e32 v4, 0x80, v0
	s_delay_alu instid0(VALU_DEP_1)
	v_cmp_gt_u32_e32 vcc_lo, s27, v4
                                        ; implicit-def: $vgpr4_vgpr5
	s_and_saveexec_b32 s16, vcc_lo
	s_cbranch_execz .LBB473_21
; %bb.20:
	global_load_b64 v[4:5], v0, s[2:3] offset:1024 scale_offset
.LBB473_21:
	s_wait_xcnt 0x0
	s_or_b32 exec_lo, exec_lo, s16
	v_or_b32_e32 v6, 0x100, v0
	s_delay_alu instid0(VALU_DEP_1)
	v_cmp_gt_u32_e32 vcc_lo, s27, v6
                                        ; implicit-def: $vgpr6_vgpr7
	s_and_saveexec_b32 s16, vcc_lo
	s_cbranch_execz .LBB473_23
; %bb.22:
	global_load_b64 v[6:7], v0, s[2:3] offset:2048 scale_offset
.LBB473_23:
	s_wait_xcnt 0x0
	s_or_b32 exec_lo, exec_lo, s16
	v_or_b32_e32 v8, 0x180, v0
	s_delay_alu instid0(VALU_DEP_1)
	v_cmp_gt_u32_e32 vcc_lo, s27, v8
                                        ; implicit-def: $vgpr8_vgpr9
	s_and_saveexec_b32 s16, vcc_lo
	s_cbranch_execz .LBB473_25
; %bb.24:
	global_load_b64 v[8:9], v0, s[2:3] offset:3072 scale_offset
.LBB473_25:
	s_wait_xcnt 0x0
	s_or_b32 exec_lo, exec_lo, s16
	v_or_b32_e32 v18, 0x200, v0
	s_delay_alu instid0(VALU_DEP_1)
	v_cmp_gt_u32_e32 vcc_lo, s27, v18
                                        ; implicit-def: $vgpr18_vgpr19
	s_and_saveexec_b32 s16, vcc_lo
	s_cbranch_execz .LBB473_27
; %bb.26:
	global_load_b64 v[18:19], v0, s[2:3] offset:4096 scale_offset
.LBB473_27:
	s_wait_xcnt 0x0
	s_or_b32 exec_lo, exec_lo, s16
	v_lshlrev_b32_e32 v22, 5, v0
	s_delay_alu instid0(VALU_DEP_1)
	v_sub_nc_u32_e32 v22, v28, v22
	s_wait_loadcnt 0x0
	ds_store_2addr_stride64_b64 v22, v[2:3], v[4:5] offset1:2
	ds_store_2addr_stride64_b64 v22, v[6:7], v[8:9] offset0:4 offset1:6
	ds_store_b64 v22, v[18:19] offset:4096
	s_wait_dscnt 0x0
	s_barrier_signal -1
	s_barrier_wait -1
.LBB473_28:
	ds_load_b64 v[18:19], v28 offset:32
	ds_load_2addr_b64 v[2:5], v28 offset0:2 offset1:3
	ds_load_2addr_b64 v[6:9], v28 offset1:1
	s_cmp_lg_u32 s26, 0
	v_cmp_gt_i64_e64 s17, s[18:19], 0
	s_cselect_b32 s16, -1, 0
	s_cmp_lg_u64 s[6:7], 0
	s_mov_b32 s6, 0
	s_cselect_b32 s2, -1, 0
	s_wait_dscnt 0x0
	s_or_b32 s2, s16, s2
	s_barrier_signal -1
	s_and_b32 vcc_lo, exec_lo, s2
	s_barrier_wait -1
	s_cbranch_vccz .LBB473_40
; %bb.29:
	s_add_nc_u64 s[2:3], s[4:5], -8
	v_cndmask_b32_e64 v29, 0, 1, s17
	s_load_b64 s[4:5], s[2:3], 0x0
	v_lshlrev_b32_e32 v31, 3, v0
	s_and_b32 vcc_lo, exec_lo, s25
	s_wait_xcnt 0x0
	v_cmp_ne_u32_e64 s2, 1, v29
	ds_store_b64 v31, v[20:21]
	s_cbranch_vccz .LBB473_42
; %bb.30:
	s_and_b32 vcc_lo, exec_lo, s2
	s_cbranch_vccnz .LBB473_43
; %bb.31:
	v_mul_u64_e32 v[22:23], s[18:19], v[12:13]
	v_mul_u64_e32 v[24:25], s[18:19], v[20:21]
	s_add_nc_u64 s[6:7], s[18:19], -1
	s_mov_b32 s21, 0
	s_mov_b64 s[2:3], s[6:7]
                                        ; implicit-def: $sgpr20
	s_wait_kmcnt 0x0
	s_delay_alu instid0(VALU_DEP_2) | instskip(NEXT) | instid1(VALU_DEP_2)
	v_lshl_add_u64 v[22:23], v[22:23], 2, s[8:9]
	v_lshl_add_u64 v[24:25], v[24:25], 2, s[8:9]
	s_delay_alu instid0(VALU_DEP_2)
	v_mov_b64_e32 v[26:27], v[22:23]
.LBB473_32:                             ; =>This Inner Loop Header: Depth=1
	global_load_b32 v32, v[26:27], off
	global_load_b32 v33, v[24:25], off
	s_cmp_eq_u64 s[2:3], 0
	s_add_nc_u64 s[22:23], s[2:3], -1
	s_cselect_b32 s3, -1, 0
	s_wait_xcnt 0x1
	v_add_nc_u64_e32 v[26:27], 4, v[26:27]
	s_wait_xcnt 0x0
	v_add_nc_u64_e32 v[24:25], 4, v[24:25]
	s_wait_loadcnt 0x0
	v_cmp_ne_u32_e32 vcc_lo, v32, v33
	v_cmp_eq_u32_e64 s2, v32, v33
	s_or_b32 s3, vcc_lo, s3
	s_delay_alu instid0(SALU_CYCLE_1) | instskip(NEXT) | instid1(SALU_CYCLE_1)
	s_and_b32 s3, exec_lo, s3
	s_or_b32 s21, s3, s21
	s_and_not1_b32 s20, s20, exec_lo
	s_and_b32 s29, s2, exec_lo
	s_mov_b64 s[2:3], s[22:23]
	s_or_b32 s20, s20, s29
	s_and_not1_b32 exec_lo, exec_lo, s21
	s_cbranch_execnz .LBB473_32
; %bb.33:
	s_or_b32 exec_lo, exec_lo, s21
	v_mul_u64_e32 v[24:25], s[18:19], v[10:11]
	s_mov_b32 s22, 0
	s_mov_b64 s[2:3], s[6:7]
                                        ; implicit-def: $sgpr21
	s_delay_alu instid0(VALU_DEP_1) | instskip(NEXT) | instid1(VALU_DEP_1)
	v_lshl_add_u64 v[24:25], v[24:25], 2, s[8:9]
	v_mov_b64_e32 v[26:27], v[24:25]
.LBB473_34:                             ; =>This Inner Loop Header: Depth=1
	global_load_b32 v32, v[26:27], off
	global_load_b32 v33, v[22:23], off
	s_cmp_eq_u64 s[2:3], 0
	s_add_nc_u64 s[30:31], s[2:3], -1
	s_cselect_b32 s3, -1, 0
	s_wait_xcnt 0x1
	v_add_nc_u64_e32 v[26:27], 4, v[26:27]
	s_wait_xcnt 0x0
	v_add_nc_u64_e32 v[22:23], 4, v[22:23]
	s_wait_loadcnt 0x0
	v_cmp_ne_u32_e32 vcc_lo, v32, v33
	v_cmp_eq_u32_e64 s2, v32, v33
	s_or_b32 s3, vcc_lo, s3
	s_delay_alu instid0(SALU_CYCLE_1) | instskip(NEXT) | instid1(SALU_CYCLE_1)
	s_and_b32 s3, exec_lo, s3
	s_or_b32 s22, s3, s22
	s_and_not1_b32 s21, s21, exec_lo
	s_and_b32 s23, s2, exec_lo
	s_mov_b64 s[2:3], s[30:31]
	s_or_b32 s21, s21, s23
	s_and_not1_b32 exec_lo, exec_lo, s22
	s_cbranch_execnz .LBB473_34
; %bb.35:
	s_or_b32 exec_lo, exec_lo, s22
	v_mul_u64_e32 v[22:23], s[18:19], v[16:17]
	s_mov_b32 s23, 0
	s_mov_b64 s[2:3], s[6:7]
                                        ; implicit-def: $sgpr22
	s_delay_alu instid0(VALU_DEP_1) | instskip(NEXT) | instid1(VALU_DEP_1)
	v_lshl_add_u64 v[22:23], v[22:23], 2, s[8:9]
	v_mov_b64_e32 v[26:27], v[22:23]
.LBB473_36:                             ; =>This Inner Loop Header: Depth=1
	global_load_b32 v32, v[26:27], off
	global_load_b32 v33, v[24:25], off
	s_cmp_eq_u64 s[2:3], 0
	s_add_nc_u64 s[30:31], s[2:3], -1
	s_cselect_b32 s3, -1, 0
	s_wait_xcnt 0x1
	v_add_nc_u64_e32 v[26:27], 4, v[26:27]
	s_wait_xcnt 0x0
	v_add_nc_u64_e32 v[24:25], 4, v[24:25]
	s_wait_loadcnt 0x0
	v_cmp_ne_u32_e32 vcc_lo, v32, v33
	v_cmp_eq_u32_e64 s2, v32, v33
	s_or_b32 s3, vcc_lo, s3
	s_delay_alu instid0(SALU_CYCLE_1) | instskip(NEXT) | instid1(SALU_CYCLE_1)
	s_and_b32 s3, exec_lo, s3
	s_or_b32 s23, s3, s23
	s_and_not1_b32 s22, s22, exec_lo
	s_and_b32 s29, s2, exec_lo
	s_mov_b64 s[2:3], s[30:31]
	s_or_b32 s22, s22, s29
	s_and_not1_b32 exec_lo, exec_lo, s23
	s_cbranch_execnz .LBB473_36
; %bb.37:
	s_or_b32 exec_lo, exec_lo, s23
	v_mul_u64_e32 v[24:25], s[18:19], v[14:15]
	s_mov_b32 s23, 0
                                        ; implicit-def: $sgpr3
	s_delay_alu instid0(VALU_DEP_1)
	v_lshl_add_u64 v[24:25], v[24:25], 2, s[8:9]
.LBB473_38:                             ; =>This Inner Loop Header: Depth=1
	global_load_b32 v26, v[24:25], off
	global_load_b32 v27, v[22:23], off
	s_cmp_eq_u64 s[6:7], 0
	s_add_nc_u64 s[30:31], s[6:7], -1
	s_cselect_b32 s6, -1, 0
	s_wait_xcnt 0x1
	v_add_nc_u64_e32 v[24:25], 4, v[24:25]
	s_wait_xcnt 0x0
	v_add_nc_u64_e32 v[22:23], 4, v[22:23]
	s_wait_loadcnt 0x0
	v_cmp_ne_u32_e32 vcc_lo, v26, v27
	v_cmp_eq_u32_e64 s2, v26, v27
	s_or_b32 s6, vcc_lo, s6
	s_delay_alu instid0(SALU_CYCLE_1) | instskip(NEXT) | instid1(SALU_CYCLE_1)
	s_and_b32 s6, exec_lo, s6
	s_or_b32 s23, s6, s23
	s_and_not1_b32 s3, s3, exec_lo
	s_and_b32 s2, s2, exec_lo
	s_mov_b64 s[6:7], s[30:31]
	s_or_b32 s3, s3, s2
	s_and_not1_b32 exec_lo, exec_lo, s23
	s_cbranch_execnz .LBB473_38
; %bb.39:
	s_or_b32 exec_lo, exec_lo, s23
	s_xor_b32 s2, s21, -1
	s_xor_b32 s3, s3, -1
	v_cndmask_b32_e64 v22, 0, 1, s2
	s_xor_b32 s2, s22, -1
	s_delay_alu instid0(SALU_CYCLE_1) | instskip(SKIP_1) | instid1(VALU_DEP_2)
	v_cndmask_b32_e64 v23, 0, 1, s2
	s_xor_b32 s2, s20, -1
	v_lshlrev_b16 v22, 8, v22
	v_cndmask_b32_e64 v35, 0, 1, s2
	s_delay_alu instid0(VALU_DEP_2) | instskip(NEXT) | instid1(VALU_DEP_1)
	v_lshrrev_b32_e32 v22, 8, v22
	v_lshlrev_b16 v22, 8, v22
	s_delay_alu instid0(VALU_DEP_1) | instskip(NEXT) | instid1(VALU_DEP_1)
	v_or_b32_e32 v22, v23, v22
	v_lshlrev_b32_e32 v24, 16, v22
	s_branch .LBB473_44
.LBB473_40:
                                        ; implicit-def: $sgpr2
                                        ; implicit-def: $vgpr35
                                        ; implicit-def: $vgpr25
	s_branch .LBB473_85
.LBB473_41:
                                        ; implicit-def: $vgpr24
                                        ; implicit-def: $vgpr23
                                        ; implicit-def: $vgpr36
                                        ; implicit-def: $vgpr22
	s_branch .LBB473_138
.LBB473_42:
                                        ; implicit-def: $sgpr2
                                        ; implicit-def: $vgpr35
                                        ; implicit-def: $vgpr25
	s_cbranch_execnz .LBB473_51
	s_branch .LBB473_84
.LBB473_43:
	v_dual_mov_b32 v24, 0 :: v_dual_mov_b32 v35, 0
	s_mov_b32 s3, 0
.LBB473_44:
	s_wait_kmcnt 0x0
	v_mov_b64_e32 v[22:23], s[4:5]
	s_mov_b32 s2, 0
	s_mov_b32 s6, exec_lo
	s_wait_dscnt 0x0
	s_barrier_signal -1
	s_barrier_wait -1
	v_cmpx_ne_u32_e32 0, v0
; %bb.45:
	v_add_nc_u32_e32 v22, -8, v31
	ds_load_b64 v[22:23], v22
; %bb.46:
	s_or_b32 exec_lo, exec_lo, s6
	v_cndmask_b32_e64 v25, 0, 1, s3
	v_lshrrev_b32_e32 v26, 16, v24
	s_and_not1_b32 vcc_lo, exec_lo, s17
	s_delay_alu instid0(VALU_DEP_2) | instskip(NEXT) | instid1(VALU_DEP_2)
	v_lshlrev_b16 v25, 8, v25
	v_perm_b32 v26, v26, v24, 0xc0c0304
	s_delay_alu instid0(VALU_DEP_2) | instskip(NEXT) | instid1(VALU_DEP_1)
	v_bitop3_b16 v25, v24, v25, 0xff bitop3:0xec
	v_and_b32_e32 v27, 0xffff, v25
	s_cbranch_vccnz .LBB473_50
; %bb.47:
	s_wait_dscnt 0x0
	v_mul_u64_e32 v[22:23], s[18:19], v[22:23]
	v_mul_u64_e32 v[24:25], s[18:19], v[14:15]
	s_add_nc_u64 s[2:3], s[18:19], -1
	s_mov_b32 s6, 0
                                        ; implicit-def: $sgpr7
	s_delay_alu instid0(VALU_DEP_2) | instskip(NEXT) | instid1(VALU_DEP_2)
	v_lshl_add_u64 v[22:23], v[22:23], 2, s[8:9]
	v_lshl_add_u64 v[24:25], v[24:25], 2, s[8:9]
.LBB473_48:                             ; =>This Inner Loop Header: Depth=1
	global_load_b32 v32, v[22:23], off
	global_load_b32 v33, v[24:25], off
	s_cmp_eq_u64 s[2:3], 0
	s_add_nc_u64 s[20:21], s[2:3], -1
	s_cselect_b32 s3, -1, 0
	s_wait_xcnt 0x1
	v_add_nc_u64_e32 v[22:23], 4, v[22:23]
	s_wait_xcnt 0x0
	v_add_nc_u64_e32 v[24:25], 4, v[24:25]
	s_wait_loadcnt 0x0
	v_cmp_ne_u32_e32 vcc_lo, v32, v33
	v_cmp_eq_u32_e64 s2, v32, v33
	s_or_b32 s3, vcc_lo, s3
	s_delay_alu instid0(SALU_CYCLE_1) | instskip(NEXT) | instid1(SALU_CYCLE_1)
	s_and_b32 s3, exec_lo, s3
	s_or_b32 s6, s3, s6
	s_and_not1_b32 s7, s7, exec_lo
	s_and_b32 s22, s2, exec_lo
	s_mov_b64 s[2:3], s[20:21]
	s_or_b32 s7, s7, s22
	s_and_not1_b32 exec_lo, exec_lo, s6
	s_cbranch_execnz .LBB473_48
; %bb.49:
	s_or_b32 exec_lo, exec_lo, s6
	s_xor_b32 s2, s7, -1
.LBB473_50:
	s_delay_alu instid0(VALU_DEP_1)
	v_lshl_or_b32 v25, v26, 16, v27
	s_branch .LBB473_84
.LBB473_51:
	s_wait_dscnt 0x0
	v_add_nc_u32_e32 v22, 4, v30
	s_mov_b32 s7, 0
	s_mov_b32 s6, 0
	s_mov_b32 s20, exec_lo
	s_delay_alu instid0(VALU_DEP_1)
	v_cmpx_gt_u32_e64 s27, v22
	s_cbranch_execz .LBB473_57
; %bb.52:
	s_and_not1_b32 vcc_lo, exec_lo, s17
	s_mov_b32 s2, 0
	s_cbranch_vccnz .LBB473_56
; %bb.53:
	v_mul_u64_e32 v[22:23], s[18:19], v[12:13]
	v_mul_u64_e32 v[24:25], s[18:19], v[20:21]
	s_add_nc_u64 s[2:3], s[18:19], -1
                                        ; implicit-def: $sgpr17
	s_wait_kmcnt 0x0
	s_delay_alu instid0(VALU_DEP_2) | instskip(NEXT) | instid1(VALU_DEP_2)
	v_lshl_add_u64 v[22:23], v[22:23], 2, s[8:9]
	v_lshl_add_u64 v[24:25], v[24:25], 2, s[8:9]
.LBB473_54:                             ; =>This Inner Loop Header: Depth=1
	global_load_b32 v26, v[22:23], off
	global_load_b32 v27, v[24:25], off
	s_cmp_eq_u64 s[2:3], 0
	s_add_nc_u64 s[22:23], s[2:3], -1
	s_cselect_b32 s3, -1, 0
	s_wait_xcnt 0x1
	v_add_nc_u64_e32 v[22:23], 4, v[22:23]
	s_wait_xcnt 0x0
	v_add_nc_u64_e32 v[24:25], 4, v[24:25]
	s_wait_loadcnt 0x0
	v_cmp_ne_u32_e32 vcc_lo, v26, v27
	v_cmp_eq_u32_e64 s2, v26, v27
	s_or_b32 s3, vcc_lo, s3
	s_delay_alu instid0(SALU_CYCLE_1) | instskip(NEXT) | instid1(SALU_CYCLE_1)
	s_and_b32 s3, exec_lo, s3
	s_or_b32 s6, s3, s6
	s_and_not1_b32 s17, s17, exec_lo
	s_and_b32 s21, s2, exec_lo
	s_mov_b64 s[2:3], s[22:23]
	s_or_b32 s17, s17, s21
	s_and_not1_b32 exec_lo, exec_lo, s6
	s_cbranch_execnz .LBB473_54
; %bb.55:
	s_or_b32 exec_lo, exec_lo, s6
	s_xor_b32 s2, s17, -1
.LBB473_56:
	s_delay_alu instid0(SALU_CYCLE_1)
	s_and_b32 s6, s2, exec_lo
.LBB473_57:
	s_or_b32 exec_lo, exec_lo, s20
	v_add_nc_u32_e32 v22, 3, v30
	s_mov_b32 s17, exec_lo
	s_delay_alu instid0(VALU_DEP_1)
	v_cmpx_gt_u32_e64 s27, v22
	s_cbranch_execz .LBB473_63
; %bb.58:
	v_cmp_ne_u32_e32 vcc_lo, 1, v29
	s_mov_b32 s2, 0
	s_cbranch_vccnz .LBB473_62
; %bb.59:
	v_mul_u64_e32 v[22:23], s[18:19], v[10:11]
	v_mul_u64_e32 v[24:25], s[18:19], v[12:13]
	s_add_nc_u64 s[2:3], s[18:19], -1
	s_mov_b32 s7, 0
                                        ; implicit-def: $sgpr20
	s_wait_kmcnt 0x0
	s_delay_alu instid0(VALU_DEP_2) | instskip(NEXT) | instid1(VALU_DEP_2)
	v_lshl_add_u64 v[22:23], v[22:23], 2, s[8:9]
	v_lshl_add_u64 v[24:25], v[24:25], 2, s[8:9]
.LBB473_60:                             ; =>This Inner Loop Header: Depth=1
	global_load_b32 v26, v[22:23], off
	global_load_b32 v27, v[24:25], off
	s_cmp_eq_u64 s[2:3], 0
	s_add_nc_u64 s[22:23], s[2:3], -1
	s_cselect_b32 s3, -1, 0
	s_wait_xcnt 0x1
	v_add_nc_u64_e32 v[22:23], 4, v[22:23]
	s_wait_xcnt 0x0
	v_add_nc_u64_e32 v[24:25], 4, v[24:25]
	s_wait_loadcnt 0x0
	v_cmp_ne_u32_e32 vcc_lo, v26, v27
	v_cmp_eq_u32_e64 s2, v26, v27
	s_or_b32 s3, vcc_lo, s3
	s_delay_alu instid0(SALU_CYCLE_1) | instskip(NEXT) | instid1(SALU_CYCLE_1)
	s_and_b32 s3, exec_lo, s3
	s_or_b32 s7, s3, s7
	s_and_not1_b32 s20, s20, exec_lo
	s_and_b32 s21, s2, exec_lo
	s_mov_b64 s[2:3], s[22:23]
	s_or_b32 s20, s20, s21
	s_and_not1_b32 exec_lo, exec_lo, s7
	s_cbranch_execnz .LBB473_60
; %bb.61:
	s_or_b32 exec_lo, exec_lo, s7
	s_xor_b32 s2, s20, -1
.LBB473_62:
	s_delay_alu instid0(SALU_CYCLE_1)
	s_and_b32 s7, s2, exec_lo
.LBB473_63:
	s_or_b32 exec_lo, exec_lo, s17
	v_add_nc_u32_e32 v22, 2, v30
	s_mov_b32 s17, 0
	s_mov_b32 s20, 0
	s_mov_b32 s21, exec_lo
	s_delay_alu instid0(VALU_DEP_1)
	v_cmpx_gt_u32_e64 s27, v22
	s_cbranch_execz .LBB473_69
; %bb.64:
	v_cmp_ne_u32_e32 vcc_lo, 1, v29
	s_mov_b32 s2, 0
	s_cbranch_vccnz .LBB473_68
; %bb.65:
	v_mul_u64_e32 v[22:23], s[18:19], v[16:17]
	v_mul_u64_e32 v[24:25], s[18:19], v[10:11]
	s_add_nc_u64 s[2:3], s[18:19], -1
                                        ; implicit-def: $sgpr22
	s_wait_kmcnt 0x0
	s_delay_alu instid0(VALU_DEP_2) | instskip(NEXT) | instid1(VALU_DEP_2)
	v_lshl_add_u64 v[22:23], v[22:23], 2, s[8:9]
	v_lshl_add_u64 v[24:25], v[24:25], 2, s[8:9]
.LBB473_66:                             ; =>This Inner Loop Header: Depth=1
	global_load_b32 v26, v[22:23], off
	global_load_b32 v27, v[24:25], off
	s_cmp_eq_u64 s[2:3], 0
	s_add_nc_u64 s[30:31], s[2:3], -1
	s_cselect_b32 s3, -1, 0
	s_wait_xcnt 0x1
	v_add_nc_u64_e32 v[22:23], 4, v[22:23]
	s_wait_xcnt 0x0
	v_add_nc_u64_e32 v[24:25], 4, v[24:25]
	s_wait_loadcnt 0x0
	v_cmp_ne_u32_e32 vcc_lo, v26, v27
	v_cmp_eq_u32_e64 s2, v26, v27
	s_or_b32 s3, vcc_lo, s3
	s_delay_alu instid0(SALU_CYCLE_1) | instskip(NEXT) | instid1(SALU_CYCLE_1)
	s_and_b32 s3, exec_lo, s3
	s_or_b32 s20, s3, s20
	s_and_not1_b32 s22, s22, exec_lo
	s_and_b32 s23, s2, exec_lo
	s_mov_b64 s[2:3], s[30:31]
	s_or_b32 s22, s22, s23
	s_and_not1_b32 exec_lo, exec_lo, s20
	s_cbranch_execnz .LBB473_66
; %bb.67:
	s_or_b32 exec_lo, exec_lo, s20
	s_xor_b32 s2, s22, -1
.LBB473_68:
	s_delay_alu instid0(SALU_CYCLE_1)
	s_and_b32 s20, s2, exec_lo
.LBB473_69:
	s_or_b32 exec_lo, exec_lo, s21
	v_add_nc_u32_e32 v22, 1, v30
	s_mov_b32 s21, exec_lo
	s_delay_alu instid0(VALU_DEP_1)
	v_cmpx_gt_u32_e64 s27, v22
	s_cbranch_execz .LBB473_75
; %bb.70:
	v_cmp_ne_u32_e32 vcc_lo, 1, v29
	s_mov_b32 s2, 0
	s_cbranch_vccnz .LBB473_74
; %bb.71:
	v_mul_u64_e32 v[22:23], s[18:19], v[14:15]
	v_mul_u64_e32 v[24:25], s[18:19], v[16:17]
	s_add_nc_u64 s[2:3], s[18:19], -1
	s_mov_b32 s17, 0
                                        ; implicit-def: $sgpr22
	s_wait_kmcnt 0x0
	s_delay_alu instid0(VALU_DEP_2) | instskip(NEXT) | instid1(VALU_DEP_2)
	v_lshl_add_u64 v[22:23], v[22:23], 2, s[8:9]
	v_lshl_add_u64 v[24:25], v[24:25], 2, s[8:9]
.LBB473_72:                             ; =>This Inner Loop Header: Depth=1
	global_load_b32 v26, v[22:23], off
	global_load_b32 v27, v[24:25], off
	s_cmp_eq_u64 s[2:3], 0
	s_add_nc_u64 s[30:31], s[2:3], -1
	s_cselect_b32 s3, -1, 0
	s_wait_xcnt 0x1
	v_add_nc_u64_e32 v[22:23], 4, v[22:23]
	s_wait_xcnt 0x0
	v_add_nc_u64_e32 v[24:25], 4, v[24:25]
	s_wait_loadcnt 0x0
	v_cmp_ne_u32_e32 vcc_lo, v26, v27
	v_cmp_eq_u32_e64 s2, v26, v27
	s_or_b32 s3, vcc_lo, s3
	s_delay_alu instid0(SALU_CYCLE_1) | instskip(NEXT) | instid1(SALU_CYCLE_1)
	s_and_b32 s3, exec_lo, s3
	s_or_b32 s17, s3, s17
	s_and_not1_b32 s22, s22, exec_lo
	s_and_b32 s23, s2, exec_lo
	s_mov_b64 s[2:3], s[30:31]
	s_or_b32 s22, s22, s23
	s_and_not1_b32 exec_lo, exec_lo, s17
	s_cbranch_execnz .LBB473_72
; %bb.73:
	s_or_b32 exec_lo, exec_lo, s17
	s_xor_b32 s2, s22, -1
.LBB473_74:
	s_delay_alu instid0(SALU_CYCLE_1)
	s_and_b32 s17, s2, exec_lo
.LBB473_75:
	s_or_b32 exec_lo, exec_lo, s21
	s_wait_kmcnt 0x0
	v_mov_b64_e32 v[22:23], s[4:5]
	s_mov_b32 s2, 0
	s_mov_b32 s3, exec_lo
	s_barrier_signal -1
	s_barrier_wait -1
	v_cmpx_ne_u32_e32 0, v0
; %bb.76:
	v_add_nc_u32_e32 v22, -8, v31
	ds_load_b64 v[22:23], v22
; %bb.77:
	s_or_b32 exec_lo, exec_lo, s3
	v_cndmask_b32_e64 v24, 0, 1, s7
	v_cndmask_b32_e64 v25, 0, 1, s20
	v_cndmask_b32_e64 v26, 0, 1, s17
	s_mov_b32 s4, exec_lo
	s_delay_alu instid0(VALU_DEP_3) | instskip(NEXT) | instid1(VALU_DEP_2)
	v_lshlrev_b16 v24, 8, v24
	v_lshlrev_b16 v26, 8, v26
	s_delay_alu instid0(VALU_DEP_2) | instskip(NEXT) | instid1(VALU_DEP_2)
	v_or_b32_e32 v24, v25, v24
	v_and_b32_e32 v26, 0xffff, v26
	s_delay_alu instid0(VALU_DEP_2)
	v_lshlrev_b32_e32 v27, 16, v24
	v_cmpx_gt_u32_e64 s27, v30
	s_cbranch_execz .LBB473_83
; %bb.78:
	v_cmp_ne_u32_e32 vcc_lo, 1, v29
	s_cbranch_vccnz .LBB473_82
; %bb.79:
	s_wait_dscnt 0x0
	v_mul_u64_e32 v[22:23], s[18:19], v[22:23]
	v_mul_u64_e32 v[24:25], s[18:19], v[14:15]
	s_add_nc_u64 s[2:3], s[18:19], -1
	s_mov_b32 s5, 0
                                        ; implicit-def: $sgpr7
	s_delay_alu instid0(VALU_DEP_2) | instskip(NEXT) | instid1(VALU_DEP_2)
	v_lshl_add_u64 v[22:23], v[22:23], 2, s[8:9]
	v_lshl_add_u64 v[24:25], v[24:25], 2, s[8:9]
.LBB473_80:                             ; =>This Inner Loop Header: Depth=1
	global_load_b32 v29, v[22:23], off
	global_load_b32 v31, v[24:25], off
	s_cmp_eq_u64 s[2:3], 0
	s_add_nc_u64 s[20:21], s[2:3], -1
	s_cselect_b32 s3, -1, 0
	s_wait_xcnt 0x1
	v_add_nc_u64_e32 v[22:23], 4, v[22:23]
	s_wait_xcnt 0x0
	v_add_nc_u64_e32 v[24:25], 4, v[24:25]
	s_wait_loadcnt 0x0
	v_cmp_ne_u32_e32 vcc_lo, v29, v31
	v_cmp_eq_u32_e64 s2, v29, v31
	s_or_b32 s3, vcc_lo, s3
	s_delay_alu instid0(SALU_CYCLE_1) | instskip(NEXT) | instid1(SALU_CYCLE_1)
	s_and_b32 s3, exec_lo, s3
	s_or_b32 s5, s3, s5
	s_and_not1_b32 s7, s7, exec_lo
	s_and_b32 s17, s2, exec_lo
	s_mov_b64 s[2:3], s[20:21]
	s_or_b32 s7, s7, s17
	s_and_not1_b32 exec_lo, exec_lo, s5
	s_cbranch_execnz .LBB473_80
; %bb.81:
	s_or_b32 exec_lo, exec_lo, s5
	s_xor_b32 s2, s7, -1
.LBB473_82:
	s_delay_alu instid0(SALU_CYCLE_1)
	s_and_b32 s2, s2, exec_lo
.LBB473_83:
	s_or_b32 exec_lo, exec_lo, s4
	v_cndmask_b32_e64 v35, 0, 1, s6
	v_or_b32_e32 v25, v26, v27
.LBB473_84:
	s_mov_b32 s6, -1
	s_cbranch_execnz .LBB473_41
.LBB473_85:
	s_wait_dscnt 0x0
	v_lshlrev_b32_e32 v22, 5, v0
	v_cmp_gt_i64_e64 s7, s[18:19], 0
	s_and_b32 vcc_lo, exec_lo, s25
	v_sub_nc_u32_e32 v31, v28, v22
	ds_store_b64 v31, v[20:21]
	s_cbranch_vccz .LBB473_96
; %bb.86:
	s_and_not1_b32 vcc_lo, exec_lo, s7
	s_cbranch_vccnz .LBB473_97
; %bb.87:
	v_mul_u64_e32 v[22:23], s[18:19], v[12:13]
	v_mul_u64_e32 v[24:25], s[18:19], v[20:21]
	s_wait_kmcnt 0x0
	s_add_nc_u64 s[4:5], s[18:19], -1
	s_mov_b32 s20, 0
	s_mov_b64 s[2:3], s[4:5]
                                        ; implicit-def: $sgpr17
	s_delay_alu instid0(VALU_DEP_2) | instskip(NEXT) | instid1(VALU_DEP_2)
	v_lshl_add_u64 v[22:23], v[22:23], 2, s[8:9]
	v_lshl_add_u64 v[24:25], v[24:25], 2, s[8:9]
	s_delay_alu instid0(VALU_DEP_2)
	v_mov_b64_e32 v[26:27], v[22:23]
.LBB473_88:                             ; =>This Inner Loop Header: Depth=1
	global_load_b32 v28, v[26:27], off
	global_load_b32 v29, v[24:25], off
	s_cmp_eq_u64 s[2:3], 0
	s_add_nc_u64 s[22:23], s[2:3], -1
	s_cselect_b32 s3, -1, 0
	s_wait_xcnt 0x1
	v_add_nc_u64_e32 v[26:27], 4, v[26:27]
	s_wait_xcnt 0x0
	v_add_nc_u64_e32 v[24:25], 4, v[24:25]
	s_wait_loadcnt 0x0
	v_cmp_ne_u32_e32 vcc_lo, v28, v29
	v_cmp_eq_u32_e64 s2, v28, v29
	s_or_b32 s3, vcc_lo, s3
	s_delay_alu instid0(SALU_CYCLE_1) | instskip(NEXT) | instid1(SALU_CYCLE_1)
	s_and_b32 s3, exec_lo, s3
	s_or_b32 s20, s3, s20
	s_and_not1_b32 s17, s17, exec_lo
	s_and_b32 s21, s2, exec_lo
	s_mov_b64 s[2:3], s[22:23]
	s_or_b32 s17, s17, s21
	s_and_not1_b32 exec_lo, exec_lo, s20
	s_cbranch_execnz .LBB473_88
; %bb.89:
	s_or_b32 exec_lo, exec_lo, s20
	v_mul_u64_e32 v[24:25], s[18:19], v[10:11]
	s_mov_b32 s21, 0
	s_mov_b64 s[2:3], s[4:5]
                                        ; implicit-def: $sgpr20
	s_delay_alu instid0(VALU_DEP_1) | instskip(NEXT) | instid1(VALU_DEP_1)
	v_lshl_add_u64 v[24:25], v[24:25], 2, s[8:9]
	v_mov_b64_e32 v[26:27], v[24:25]
.LBB473_90:                             ; =>This Inner Loop Header: Depth=1
	global_load_b32 v28, v[26:27], off
	global_load_b32 v29, v[22:23], off
	s_cmp_eq_u64 s[2:3], 0
	s_add_nc_u64 s[22:23], s[2:3], -1
	s_cselect_b32 s3, -1, 0
	s_wait_xcnt 0x1
	v_add_nc_u64_e32 v[26:27], 4, v[26:27]
	s_wait_xcnt 0x0
	v_add_nc_u64_e32 v[22:23], 4, v[22:23]
	s_wait_loadcnt 0x0
	v_cmp_ne_u32_e32 vcc_lo, v28, v29
	v_cmp_eq_u32_e64 s2, v28, v29
	s_or_b32 s3, vcc_lo, s3
	s_delay_alu instid0(SALU_CYCLE_1) | instskip(NEXT) | instid1(SALU_CYCLE_1)
	s_and_b32 s3, exec_lo, s3
	s_or_b32 s21, s3, s21
	s_and_not1_b32 s20, s20, exec_lo
	s_and_b32 s29, s2, exec_lo
	s_mov_b64 s[2:3], s[22:23]
	s_or_b32 s20, s20, s29
	s_and_not1_b32 exec_lo, exec_lo, s21
	s_cbranch_execnz .LBB473_90
; %bb.91:
	s_or_b32 exec_lo, exec_lo, s21
	v_mul_u64_e32 v[22:23], s[18:19], v[16:17]
	s_mov_b32 s22, 0
	s_mov_b64 s[2:3], s[4:5]
                                        ; implicit-def: $sgpr21
	s_delay_alu instid0(VALU_DEP_1) | instskip(NEXT) | instid1(VALU_DEP_1)
	v_lshl_add_u64 v[22:23], v[22:23], 2, s[8:9]
	v_mov_b64_e32 v[26:27], v[22:23]
.LBB473_92:                             ; =>This Inner Loop Header: Depth=1
	global_load_b32 v28, v[26:27], off
	global_load_b32 v29, v[24:25], off
	s_cmp_eq_u64 s[2:3], 0
	s_add_nc_u64 s[30:31], s[2:3], -1
	s_cselect_b32 s3, -1, 0
	s_wait_xcnt 0x1
	v_add_nc_u64_e32 v[26:27], 4, v[26:27]
	s_wait_xcnt 0x0
	v_add_nc_u64_e32 v[24:25], 4, v[24:25]
	s_wait_loadcnt 0x0
	v_cmp_ne_u32_e32 vcc_lo, v28, v29
	v_cmp_eq_u32_e64 s2, v28, v29
	s_or_b32 s3, vcc_lo, s3
	s_delay_alu instid0(SALU_CYCLE_1) | instskip(NEXT) | instid1(SALU_CYCLE_1)
	s_and_b32 s3, exec_lo, s3
	s_or_b32 s22, s3, s22
	s_and_not1_b32 s21, s21, exec_lo
	s_and_b32 s23, s2, exec_lo
	s_mov_b64 s[2:3], s[30:31]
	s_or_b32 s21, s21, s23
	s_and_not1_b32 exec_lo, exec_lo, s22
	s_cbranch_execnz .LBB473_92
; %bb.93:
	s_or_b32 exec_lo, exec_lo, s22
	v_mul_u64_e32 v[24:25], s[18:19], v[14:15]
	s_mov_b32 s22, 0
                                        ; implicit-def: $sgpr3
	s_delay_alu instid0(VALU_DEP_1)
	v_lshl_add_u64 v[24:25], v[24:25], 2, s[8:9]
.LBB473_94:                             ; =>This Inner Loop Header: Depth=1
	global_load_b32 v26, v[24:25], off
	global_load_b32 v27, v[22:23], off
	s_cmp_eq_u64 s[4:5], 0
	s_add_nc_u64 s[30:31], s[4:5], -1
	s_cselect_b32 s4, -1, 0
	s_wait_xcnt 0x1
	v_add_nc_u64_e32 v[24:25], 4, v[24:25]
	s_wait_xcnt 0x0
	v_add_nc_u64_e32 v[22:23], 4, v[22:23]
	s_wait_loadcnt 0x0
	v_cmp_ne_u32_e32 vcc_lo, v26, v27
	v_cmp_eq_u32_e64 s2, v26, v27
	s_or_b32 s4, vcc_lo, s4
	s_delay_alu instid0(SALU_CYCLE_1) | instskip(NEXT) | instid1(SALU_CYCLE_1)
	s_and_b32 s4, exec_lo, s4
	s_or_b32 s22, s4, s22
	s_and_not1_b32 s3, s3, exec_lo
	s_and_b32 s2, s2, exec_lo
	s_mov_b64 s[4:5], s[30:31]
	s_or_b32 s3, s3, s2
	s_and_not1_b32 exec_lo, exec_lo, s22
	s_cbranch_execnz .LBB473_94
; %bb.95:
	s_or_b32 exec_lo, exec_lo, s22
	s_xor_b32 s2, s20, -1
	s_delay_alu instid0(SALU_CYCLE_1) | instskip(SKIP_1) | instid1(SALU_CYCLE_1)
	v_cndmask_b32_e64 v22, 0, 1, s2
	s_xor_b32 s2, s21, -1
	v_cndmask_b32_e64 v23, 0, 1, s2
	s_xor_b32 s2, s17, -1
	s_delay_alu instid0(VALU_DEP_2) | instskip(SKIP_2) | instid1(VALU_DEP_2)
	v_lshlrev_b16 v22, 8, v22
	v_cndmask_b32_e64 v35, 0, 1, s2
	s_xor_b32 s2, s3, -1
	v_lshrrev_b32_e32 v22, 8, v22
	s_delay_alu instid0(VALU_DEP_1) | instskip(NEXT) | instid1(VALU_DEP_1)
	v_lshlrev_b16 v22, 8, v22
	v_or_b32_e32 v22, v23, v22
	s_delay_alu instid0(VALU_DEP_1)
	v_lshlrev_b32_e32 v22, 16, v22
	s_branch .LBB473_98
.LBB473_96:
	s_wait_kmcnt 0x0
                                        ; implicit-def: $sgpr2
                                        ; implicit-def: $vgpr35
                                        ; implicit-def: $vgpr25
                                        ; implicit-def: $vgpr24
                                        ; implicit-def: $vgpr23
                                        ; implicit-def: $vgpr36
                                        ; implicit-def: $vgpr22
	s_cbranch_execnz .LBB473_105
	s_branch .LBB473_138
.LBB473_97:
	v_dual_mov_b32 v22, 0 :: v_dual_mov_b32 v35, 0
	s_mov_b32 s2, 0
.LBB473_98:
	s_delay_alu instid0(VALU_DEP_1)
	v_dual_lshrrev_b32 v36, 16, v22 :: v_dual_lshrrev_b32 v22, 24, v22
	v_cndmask_b32_e64 v23, 0, 1, s2
	v_mov_b32_e32 v24, 1
	s_wait_kmcnt 0x0
	s_mov_b32 s4, 0
	s_wait_dscnt 0x0
	s_barrier_signal -1
	s_barrier_wait -1
                                        ; implicit-def: $sgpr2
                                        ; implicit-def: $vgpr25
	s_mov_b32 s3, exec_lo
	v_cmpx_ne_u32_e32 0, v0
	s_xor_b32 s5, exec_lo, s3
	s_cbranch_execz .LBB473_104
; %bb.99:
	v_lshlrev_b16 v25, 8, v22
	v_lshlrev_b16 v26, 8, v23
	s_and_not1_b32 vcc_lo, exec_lo, s7
	s_mov_b32 s2, 0
	s_delay_alu instid0(VALU_DEP_2) | instskip(NEXT) | instid1(VALU_DEP_1)
	v_bitop3_b16 v25, v36, v25, 0xff bitop3:0xec
	v_dual_lshlrev_b32 v25, 16, v25 :: v_dual_bitop2_b32 v26, 1, v26 bitop3:0x54
	s_delay_alu instid0(VALU_DEP_1) | instskip(NEXT) | instid1(VALU_DEP_1)
	v_and_b32_e32 v26, 0xffff, v26
	v_or_b32_e32 v25, v26, v25
	s_cbranch_vccnz .LBB473_103
; %bb.100:
	v_add_nc_u32_e32 v26, -8, v31
	v_mul_u64_e32 v[28:29], s[18:19], v[14:15]
	s_add_nc_u64 s[2:3], s[18:19], -1
	s_mov_b32 s17, 0
                                        ; implicit-def: $sgpr20
	ds_load_b64 v[26:27], v26
	s_wait_dscnt 0x0
	v_mul_u64_e32 v[26:27], s[18:19], v[26:27]
	v_lshl_add_u64 v[28:29], v[28:29], 2, s[8:9]
	s_delay_alu instid0(VALU_DEP_2)
	v_lshl_add_u64 v[26:27], v[26:27], 2, s[8:9]
.LBB473_101:                            ; =>This Inner Loop Header: Depth=1
	global_load_b32 v32, v[26:27], off
	global_load_b32 v33, v[28:29], off
	s_cmp_eq_u64 s[2:3], 0
	s_add_nc_u64 s[22:23], s[2:3], -1
	s_cselect_b32 s3, -1, 0
	s_wait_xcnt 0x1
	v_add_nc_u64_e32 v[26:27], 4, v[26:27]
	s_wait_xcnt 0x0
	v_add_nc_u64_e32 v[28:29], 4, v[28:29]
	s_wait_loadcnt 0x0
	v_cmp_ne_u32_e32 vcc_lo, v32, v33
	v_cmp_eq_u32_e64 s2, v32, v33
	s_or_b32 s3, vcc_lo, s3
	s_delay_alu instid0(SALU_CYCLE_1) | instskip(NEXT) | instid1(SALU_CYCLE_1)
	s_and_b32 s3, exec_lo, s3
	s_or_b32 s17, s3, s17
	s_and_not1_b32 s20, s20, exec_lo
	s_and_b32 s21, s2, exec_lo
	s_mov_b64 s[2:3], s[22:23]
	s_or_b32 s20, s20, s21
	s_and_not1_b32 exec_lo, exec_lo, s17
	s_cbranch_execnz .LBB473_101
; %bb.102:
	s_or_b32 exec_lo, exec_lo, s17
	s_xor_b32 s2, s20, -1
.LBB473_103:
	s_delay_alu instid0(VALU_DEP_1)
	v_perm_b32 v25, v25, v25, 0x3020104
	s_or_b32 s6, s6, exec_lo
.LBB473_104:
	s_or_b32 exec_lo, exec_lo, s5
	s_delay_alu instid0(SALU_CYCLE_1)
	s_and_b32 vcc_lo, exec_lo, s4
	s_cbranch_vccz .LBB473_138
.LBB473_105:
	v_add_nc_u32_e32 v22, 4, v30
	s_mov_b32 s4, 0
	s_mov_b32 s5, 0
	s_mov_b32 s17, exec_lo
	s_delay_alu instid0(VALU_DEP_1)
	v_cmpx_gt_u32_e64 s27, v22
	s_cbranch_execz .LBB473_111
; %bb.106:
	s_and_not1_b32 vcc_lo, exec_lo, s7
	s_mov_b32 s2, 0
	s_cbranch_vccnz .LBB473_110
; %bb.107:
	v_mul_u64_e32 v[22:23], s[18:19], v[12:13]
	v_mul_u64_e32 v[24:25], s[18:19], v[20:21]
	s_add_nc_u64 s[2:3], s[18:19], -1
                                        ; implicit-def: $sgpr20
	s_delay_alu instid0(VALU_DEP_2) | instskip(NEXT) | instid1(VALU_DEP_2)
	v_lshl_add_u64 v[22:23], v[22:23], 2, s[8:9]
	v_lshl_add_u64 v[24:25], v[24:25], 2, s[8:9]
.LBB473_108:                            ; =>This Inner Loop Header: Depth=1
	global_load_b32 v26, v[22:23], off
	global_load_b32 v27, v[24:25], off
	s_cmp_eq_u64 s[2:3], 0
	s_add_nc_u64 s[22:23], s[2:3], -1
	s_cselect_b32 s3, -1, 0
	s_wait_xcnt 0x1
	v_add_nc_u64_e32 v[22:23], 4, v[22:23]
	s_wait_xcnt 0x0
	v_add_nc_u64_e32 v[24:25], 4, v[24:25]
	s_wait_loadcnt 0x0
	v_cmp_ne_u32_e32 vcc_lo, v26, v27
	v_cmp_eq_u32_e64 s2, v26, v27
	s_or_b32 s3, vcc_lo, s3
	s_delay_alu instid0(SALU_CYCLE_1) | instskip(NEXT) | instid1(SALU_CYCLE_1)
	s_and_b32 s3, exec_lo, s3
	s_or_b32 s5, s3, s5
	s_and_not1_b32 s20, s20, exec_lo
	s_and_b32 s21, s2, exec_lo
	s_mov_b64 s[2:3], s[22:23]
	s_or_b32 s20, s20, s21
	s_and_not1_b32 exec_lo, exec_lo, s5
	s_cbranch_execnz .LBB473_108
; %bb.109:
	s_or_b32 exec_lo, exec_lo, s5
	s_xor_b32 s2, s20, -1
.LBB473_110:
	s_delay_alu instid0(SALU_CYCLE_1)
	s_and_b32 s5, s2, exec_lo
.LBB473_111:
	s_or_b32 exec_lo, exec_lo, s17
	v_add_nc_u32_e32 v22, 3, v30
	s_mov_b32 s17, exec_lo
	s_delay_alu instid0(VALU_DEP_1)
	v_cmpx_gt_u32_e64 s27, v22
	s_cbranch_execz .LBB473_117
; %bb.112:
	s_and_not1_b32 vcc_lo, exec_lo, s7
	s_mov_b32 s2, 0
	s_cbranch_vccnz .LBB473_116
; %bb.113:
	v_mul_u64_e32 v[22:23], s[18:19], v[10:11]
	v_mul_u64_e32 v[24:25], s[18:19], v[12:13]
	s_add_nc_u64 s[2:3], s[18:19], -1
	s_mov_b32 s4, 0
                                        ; implicit-def: $sgpr20
	s_delay_alu instid0(VALU_DEP_2) | instskip(NEXT) | instid1(VALU_DEP_2)
	v_lshl_add_u64 v[22:23], v[22:23], 2, s[8:9]
	v_lshl_add_u64 v[24:25], v[24:25], 2, s[8:9]
.LBB473_114:                            ; =>This Inner Loop Header: Depth=1
	global_load_b32 v26, v[22:23], off
	global_load_b32 v27, v[24:25], off
	s_cmp_eq_u64 s[2:3], 0
	s_add_nc_u64 s[22:23], s[2:3], -1
	s_cselect_b32 s3, -1, 0
	s_wait_xcnt 0x1
	v_add_nc_u64_e32 v[22:23], 4, v[22:23]
	s_wait_xcnt 0x0
	v_add_nc_u64_e32 v[24:25], 4, v[24:25]
	s_wait_loadcnt 0x0
	v_cmp_ne_u32_e32 vcc_lo, v26, v27
	v_cmp_eq_u32_e64 s2, v26, v27
	s_or_b32 s3, vcc_lo, s3
	s_delay_alu instid0(SALU_CYCLE_1) | instskip(NEXT) | instid1(SALU_CYCLE_1)
	s_and_b32 s3, exec_lo, s3
	s_or_b32 s4, s3, s4
	s_and_not1_b32 s20, s20, exec_lo
	s_and_b32 s21, s2, exec_lo
	s_mov_b64 s[2:3], s[22:23]
	s_or_b32 s20, s20, s21
	s_and_not1_b32 exec_lo, exec_lo, s4
	s_cbranch_execnz .LBB473_114
; %bb.115:
	s_or_b32 exec_lo, exec_lo, s4
	s_xor_b32 s2, s20, -1
.LBB473_116:
	s_delay_alu instid0(SALU_CYCLE_1)
	s_and_b32 s4, s2, exec_lo
.LBB473_117:
	s_or_b32 exec_lo, exec_lo, s17
	v_add_nc_u32_e32 v22, 2, v30
	s_mov_b32 s17, 0
	s_mov_b32 s20, 0
	s_mov_b32 s21, exec_lo
	s_delay_alu instid0(VALU_DEP_1)
	v_cmpx_gt_u32_e64 s27, v22
	s_cbranch_execz .LBB473_123
; %bb.118:
	s_and_not1_b32 vcc_lo, exec_lo, s7
	s_mov_b32 s2, 0
	s_cbranch_vccnz .LBB473_122
; %bb.119:
	v_mul_u64_e32 v[22:23], s[18:19], v[16:17]
	v_mul_u64_e32 v[24:25], s[18:19], v[10:11]
	s_add_nc_u64 s[2:3], s[18:19], -1
                                        ; implicit-def: $sgpr22
	s_delay_alu instid0(VALU_DEP_2) | instskip(NEXT) | instid1(VALU_DEP_2)
	v_lshl_add_u64 v[22:23], v[22:23], 2, s[8:9]
	v_lshl_add_u64 v[24:25], v[24:25], 2, s[8:9]
.LBB473_120:                            ; =>This Inner Loop Header: Depth=1
	global_load_b32 v26, v[22:23], off
	global_load_b32 v27, v[24:25], off
	s_cmp_eq_u64 s[2:3], 0
	s_add_nc_u64 s[30:31], s[2:3], -1
	s_cselect_b32 s3, -1, 0
	s_wait_xcnt 0x1
	v_add_nc_u64_e32 v[22:23], 4, v[22:23]
	s_wait_xcnt 0x0
	v_add_nc_u64_e32 v[24:25], 4, v[24:25]
	s_wait_loadcnt 0x0
	v_cmp_ne_u32_e32 vcc_lo, v26, v27
	v_cmp_eq_u32_e64 s2, v26, v27
	s_or_b32 s3, vcc_lo, s3
	s_delay_alu instid0(SALU_CYCLE_1) | instskip(NEXT) | instid1(SALU_CYCLE_1)
	s_and_b32 s3, exec_lo, s3
	s_or_b32 s20, s3, s20
	s_and_not1_b32 s22, s22, exec_lo
	s_and_b32 s23, s2, exec_lo
	s_mov_b64 s[2:3], s[30:31]
	s_or_b32 s22, s22, s23
	s_and_not1_b32 exec_lo, exec_lo, s20
	s_cbranch_execnz .LBB473_120
; %bb.121:
	s_or_b32 exec_lo, exec_lo, s20
	s_xor_b32 s2, s22, -1
.LBB473_122:
	s_delay_alu instid0(SALU_CYCLE_1)
	s_and_b32 s20, s2, exec_lo
.LBB473_123:
	s_or_b32 exec_lo, exec_lo, s21
	v_add_nc_u32_e32 v22, 1, v30
	s_mov_b32 s21, exec_lo
	s_delay_alu instid0(VALU_DEP_1)
	v_cmpx_gt_u32_e64 s27, v22
	s_cbranch_execz .LBB473_129
; %bb.124:
	s_and_not1_b32 vcc_lo, exec_lo, s7
	s_mov_b32 s2, 0
	s_cbranch_vccnz .LBB473_128
; %bb.125:
	v_mul_u64_e32 v[22:23], s[18:19], v[14:15]
	v_mul_u64_e32 v[24:25], s[18:19], v[16:17]
	s_add_nc_u64 s[2:3], s[18:19], -1
	s_mov_b32 s17, 0
                                        ; implicit-def: $sgpr22
	s_delay_alu instid0(VALU_DEP_2) | instskip(NEXT) | instid1(VALU_DEP_2)
	v_lshl_add_u64 v[22:23], v[22:23], 2, s[8:9]
	v_lshl_add_u64 v[24:25], v[24:25], 2, s[8:9]
.LBB473_126:                            ; =>This Inner Loop Header: Depth=1
	global_load_b32 v26, v[22:23], off
	global_load_b32 v27, v[24:25], off
	s_cmp_eq_u64 s[2:3], 0
	s_add_nc_u64 s[30:31], s[2:3], -1
	s_cselect_b32 s3, -1, 0
	s_wait_xcnt 0x1
	v_add_nc_u64_e32 v[22:23], 4, v[22:23]
	s_wait_xcnt 0x0
	v_add_nc_u64_e32 v[24:25], 4, v[24:25]
	s_wait_loadcnt 0x0
	v_cmp_ne_u32_e32 vcc_lo, v26, v27
	v_cmp_eq_u32_e64 s2, v26, v27
	s_or_b32 s3, vcc_lo, s3
	s_delay_alu instid0(SALU_CYCLE_1) | instskip(NEXT) | instid1(SALU_CYCLE_1)
	s_and_b32 s3, exec_lo, s3
	s_or_b32 s17, s3, s17
	s_and_not1_b32 s22, s22, exec_lo
	s_and_b32 s23, s2, exec_lo
	s_mov_b64 s[2:3], s[30:31]
	s_or_b32 s22, s22, s23
	s_and_not1_b32 exec_lo, exec_lo, s17
	s_cbranch_execnz .LBB473_126
; %bb.127:
	s_or_b32 exec_lo, exec_lo, s17
	s_xor_b32 s2, s22, -1
.LBB473_128:
	s_delay_alu instid0(SALU_CYCLE_1)
	s_and_b32 s17, s2, exec_lo
.LBB473_129:
	s_or_b32 exec_lo, exec_lo, s21
	v_cndmask_b32_e64 v35, 0, 1, s5
	v_cndmask_b32_e64 v36, 0, 1, s20
	;; [unrolled: 1-line block ×4, first 2 shown]
	v_mov_b32_e32 v24, 1
	s_mov_b32 s2, 0
	s_mov_b32 s4, exec_lo
	s_wait_dscnt 0x0
	s_barrier_signal -1
	s_barrier_wait -1
                                        ; implicit-def: $vgpr25
	v_cmpx_ne_u32_e32 0, v0
	s_cbranch_execz .LBB473_137
; %bb.130:
	v_lshlrev_b16 v25, 8, v23
	v_lshlrev_b16 v26, 8, v22
	s_mov_b32 s5, exec_lo
	s_delay_alu instid0(VALU_DEP_1) | instskip(NEXT) | instid1(VALU_DEP_1)
	v_or_b32_e32 v26, v36, v26
	v_dual_lshlrev_b32 v26, 16, v26 :: v_dual_bitop2_b32 v25, 1, v25 bitop3:0x54
	s_delay_alu instid0(VALU_DEP_1) | instskip(NEXT) | instid1(VALU_DEP_1)
	v_and_b32_e32 v25, 0xffff, v25
	v_or_b32_e32 v25, v25, v26
	v_cmpx_gt_u32_e64 s27, v30
	s_cbranch_execz .LBB473_136
; %bb.131:
	s_and_not1_b32 vcc_lo, exec_lo, s7
	s_cbranch_vccnz .LBB473_135
; %bb.132:
	v_add_nc_u32_e32 v26, -8, v31
	v_mul_u64_e32 v[28:29], s[18:19], v[14:15]
	s_add_nc_u64 s[2:3], s[18:19], -1
	s_mov_b32 s7, 0
	ds_load_b64 v[26:27], v26
	s_wait_dscnt 0x0
	v_mul_u64_e32 v[26:27], s[18:19], v[26:27]
	v_lshl_add_u64 v[28:29], v[28:29], 2, s[8:9]
	s_delay_alu instid0(VALU_DEP_2)
	v_lshl_add_u64 v[26:27], v[26:27], 2, s[8:9]
                                        ; implicit-def: $sgpr8
.LBB473_133:                            ; =>This Inner Loop Header: Depth=1
	global_load_b32 v31, v[26:27], off
	global_load_b32 v32, v[28:29], off
	s_cmp_eq_u64 s[2:3], 0
	s_add_nc_u64 s[18:19], s[2:3], -1
	s_cselect_b32 s3, -1, 0
	s_wait_xcnt 0x1
	v_add_nc_u64_e32 v[26:27], 4, v[26:27]
	s_wait_xcnt 0x0
	v_add_nc_u64_e32 v[28:29], 4, v[28:29]
	s_wait_loadcnt 0x0
	v_cmp_ne_u32_e32 vcc_lo, v31, v32
	v_cmp_eq_u32_e64 s2, v31, v32
	s_or_b32 s3, vcc_lo, s3
	s_delay_alu instid0(SALU_CYCLE_1) | instskip(NEXT) | instid1(SALU_CYCLE_1)
	s_and_b32 s3, exec_lo, s3
	s_or_b32 s7, s3, s7
	s_and_not1_b32 s8, s8, exec_lo
	s_and_b32 s9, s2, exec_lo
	s_mov_b64 s[2:3], s[18:19]
	s_or_b32 s8, s8, s9
	s_and_not1_b32 exec_lo, exec_lo, s7
	s_cbranch_execnz .LBB473_133
; %bb.134:
	s_or_b32 exec_lo, exec_lo, s7
	s_xor_b32 s2, s8, -1
.LBB473_135:
	s_delay_alu instid0(SALU_CYCLE_1)
	s_and_b32 s2, s2, exec_lo
.LBB473_136:
	s_or_b32 exec_lo, exec_lo, s5
	s_delay_alu instid0(VALU_DEP_2)
	v_perm_b32 v25, v25, v25, 0x3020104
	s_or_b32 s6, s6, exec_lo
.LBB473_137:
	s_or_b32 exec_lo, exec_lo, s4
.LBB473_138:
	s_and_saveexec_b32 s3, s6
	s_cbranch_execz .LBB473_140
; %bb.139:
	s_wait_dscnt 0x0
	v_dual_lshrrev_b32 v22, 24, v25 :: v_dual_lshrrev_b32 v36, 16, v25
	v_lshrrev_b32_e32 v23, 8, v25
	v_cndmask_b32_e64 v24, 0, 1, s2
.LBB473_140:
	s_or_b32 exec_lo, exec_lo, s3
	s_delay_alu instid0(SALU_CYCLE_1)
	s_and_not1_b32 vcc_lo, exec_lo, s28
	s_cbranch_vccnz .LBB473_144
; %bb.141:
	s_wait_dscnt 0x0
	v_perm_b32 v23, v24, v23, 0xc0c0004
	v_perm_b32 v22, v36, v22, 0xc0c0004
	v_cmp_gt_u32_e32 vcc_lo, s27, v30
	v_dual_add_nc_u32 v24, 1, v30 :: v_dual_add_nc_u32 v26, 4, v30
	v_and_b32_e32 v35, 0xff, v35
	s_delay_alu instid0(VALU_DEP_4) | instskip(SKIP_1) | instid1(VALU_DEP_2)
	v_lshl_or_b32 v22, v22, 16, v23
	s_mov_b32 s2, exec_lo
	v_and_b32_e32 v25, 0xffff, v35
	s_delay_alu instid0(VALU_DEP_2) | instskip(SKIP_2) | instid1(VALU_DEP_3)
	v_cndmask_b32_e32 v23, 0, v22, vcc_lo
	v_cmp_gt_u32_e32 vcc_lo, s27, v24
	v_add_nc_u32_e32 v24, 2, v30
	v_and_b32_e32 v23, 0xff, v23
	s_delay_alu instid0(VALU_DEP_1) | instskip(NEXT) | instid1(VALU_DEP_3)
	v_cndmask_b32_e32 v23, v23, v22, vcc_lo
	v_cmp_gt_u32_e32 vcc_lo, s27, v24
	v_add_nc_u32_e32 v24, 3, v30
	s_delay_alu instid0(VALU_DEP_3) | instskip(NEXT) | instid1(VALU_DEP_1)
	v_and_b32_e32 v23, 0xffff, v23
	v_cndmask_b32_e32 v23, v23, v22, vcc_lo
	s_delay_alu instid0(VALU_DEP_3) | instskip(NEXT) | instid1(VALU_DEP_2)
	v_cmp_gt_u32_e32 vcc_lo, s27, v24
	v_and_b32_e32 v23, 0xffffff, v23
	s_delay_alu instid0(VALU_DEP_1) | instskip(NEXT) | instid1(VALU_DEP_1)
	v_cndmask_b32_e32 v24, v23, v22, vcc_lo
	v_lshrrev_b64 v[22:23], 24, v[24:25]
	v_dual_lshrrev_b32 v36, 16, v24 :: v_dual_lshrrev_b32 v23, 8, v24
	v_cmpx_le_u32_e64 s27, v26
; %bb.142:
	v_mov_b32_e32 v35, 0
; %bb.143:
	s_or_b32 exec_lo, exec_lo, s2
.LBB473_144:
	s_delay_alu instid0(VALU_DEP_1)
	v_and_b32_e32 v25, 0xff, v24
	s_wait_dscnt 0x0
	v_and_b32_e32 v37, 0xff, v23
	v_and_b32_e32 v38, 0xff, v36
	v_mbcnt_lo_u32_b32 v40, -1, 0
	v_and_b32_e32 v39, 0xff, v22
	v_and_b32_e32 v26, 0xff, v35
	s_wait_kmcnt 0x0
	v_readfirstlane_b32 s8, v0
	v_add3_u32 v27, v37, v25, v38
	v_and_b32_e32 v28, 15, v40
	s_and_b32 vcc_lo, exec_lo, s16
	v_lshrrev_b32_e32 v41, 5, v0
	s_mov_b32 s9, -1
	v_add3_u32 v42, v27, v39, v26
	v_and_b32_e32 v26, 16, v40
	v_or_b32_e32 v27, 31, v0
	v_cmp_eq_u32_e64 s4, 0, v28
	v_cmp_lt_u32_e64 s6, 1, v28
	v_cmp_lt_u32_e64 s7, 3, v28
	;; [unrolled: 1-line block ×3, first 2 shown]
	v_cmp_eq_u32_e64 s3, 0, v26
	v_cmp_eq_u32_e64 s2, v0, v27
	s_barrier_signal -1
	s_barrier_wait -1
                                        ; implicit-def: $vgpr28
                                        ; implicit-def: $vgpr29
                                        ; implicit-def: $vgpr30
                                        ; implicit-def: $vgpr31
                                        ; implicit-def: $vgpr32
                                        ; implicit-def: $vgpr26
	s_cbranch_vccz .LBB473_171
; %bb.145:
	v_mov_b32_dpp v26, v42 row_shr:1 row_mask:0xf bank_mask:0xf
	s_delay_alu instid0(VALU_DEP_1) | instskip(NEXT) | instid1(VALU_DEP_1)
	v_cndmask_b32_e64 v26, v26, 0, s4
	v_add_nc_u32_e32 v26, v26, v42
	s_delay_alu instid0(VALU_DEP_1) | instskip(NEXT) | instid1(VALU_DEP_1)
	v_mov_b32_dpp v27, v26 row_shr:2 row_mask:0xf bank_mask:0xf
	v_cndmask_b32_e64 v27, 0, v27, s6
	s_delay_alu instid0(VALU_DEP_1) | instskip(NEXT) | instid1(VALU_DEP_1)
	v_add_nc_u32_e32 v26, v26, v27
	v_mov_b32_dpp v27, v26 row_shr:4 row_mask:0xf bank_mask:0xf
	s_delay_alu instid0(VALU_DEP_1) | instskip(NEXT) | instid1(VALU_DEP_1)
	v_cndmask_b32_e64 v27, 0, v27, s7
	v_add_nc_u32_e32 v26, v26, v27
	s_delay_alu instid0(VALU_DEP_1) | instskip(NEXT) | instid1(VALU_DEP_1)
	v_mov_b32_dpp v27, v26 row_shr:8 row_mask:0xf bank_mask:0xf
	v_cndmask_b32_e64 v27, 0, v27, s5
	s_delay_alu instid0(VALU_DEP_1) | instskip(SKIP_3) | instid1(VALU_DEP_1)
	v_add_nc_u32_e32 v26, v26, v27
	ds_swizzle_b32 v27, v26 offset:swizzle(BROADCAST,32,15)
	s_wait_dscnt 0x0
	v_cndmask_b32_e64 v27, v27, 0, s3
	v_add_nc_u32_e32 v26, v26, v27
	s_and_saveexec_b32 s8, s2
; %bb.146:
	v_lshlrev_b32_e32 v27, 2, v41
	ds_store_b32 v27, v26
; %bb.147:
	s_or_b32 exec_lo, exec_lo, s8
	s_delay_alu instid0(SALU_CYCLE_1)
	s_mov_b32 s8, exec_lo
	s_wait_dscnt 0x0
	s_barrier_signal -1
	s_barrier_wait -1
	v_cmpx_gt_u32_e32 4, v0
	s_cbranch_execz .LBB473_149
; %bb.148:
	v_and_b32_e32 v29, 3, v40
	s_delay_alu instid0(VALU_DEP_1) | instskip(SKIP_4) | instid1(VALU_DEP_1)
	v_cmp_ne_u32_e32 vcc_lo, 0, v29
	v_lshlrev_b32_e32 v27, 2, v0
	ds_load_b32 v28, v27
	s_wait_dscnt 0x0
	v_mov_b32_dpp v30, v28 row_shr:1 row_mask:0xf bank_mask:0xf
	v_cndmask_b32_e32 v30, 0, v30, vcc_lo
	v_cmp_lt_u32_e32 vcc_lo, 1, v29
	s_delay_alu instid0(VALU_DEP_2) | instskip(NEXT) | instid1(VALU_DEP_1)
	v_add_nc_u32_e32 v28, v30, v28
	v_mov_b32_dpp v30, v28 row_shr:2 row_mask:0xf bank_mask:0xf
	s_delay_alu instid0(VALU_DEP_1) | instskip(NEXT) | instid1(VALU_DEP_1)
	v_cndmask_b32_e32 v29, 0, v30, vcc_lo
	v_add_nc_u32_e32 v28, v28, v29
	ds_store_b32 v27, v28
.LBB473_149:
	s_or_b32 exec_lo, exec_lo, s8
	s_delay_alu instid0(SALU_CYCLE_1)
	s_mov_b32 s9, exec_lo
	v_cmp_gt_u32_e32 vcc_lo, 32, v0
	s_wait_dscnt 0x0
	s_barrier_signal -1
	s_barrier_wait -1
                                        ; implicit-def: $vgpr43
	v_cmpx_lt_u32_e32 31, v0
	s_cbranch_execz .LBB473_151
; %bb.150:
	v_lshl_add_u32 v27, v41, 2, -4
	ds_load_b32 v43, v27
	s_wait_dscnt 0x0
	v_add_nc_u32_e32 v26, v43, v26
.LBB473_151:
	s_or_b32 exec_lo, exec_lo, s9
	v_sub_co_u32 v27, s8, v40, 1
	s_delay_alu instid0(VALU_DEP_1) | instskip(NEXT) | instid1(VALU_DEP_1)
	v_cmp_gt_i32_e64 s9, 0, v27
	v_cndmask_b32_e64 v27, v27, v40, s9
	s_delay_alu instid0(VALU_DEP_1)
	v_lshlrev_b32_e32 v27, 2, v27
	ds_bpermute_b32 v44, v27, v26
	s_and_saveexec_b32 s9, vcc_lo
	s_cbranch_execz .LBB473_170
; %bb.152:
	v_mov_b32_e32 v33, 0
	ds_load_b32 v26, v33 offset:12
	s_and_saveexec_b32 s16, s8
	s_cbranch_execz .LBB473_154
; %bb.153:
	s_add_co_i32 s17, s26, 32
	s_delay_alu instid0(SALU_CYCLE_1)
	v_dual_mov_b32 v27, 1 :: v_dual_mov_b32 v28, s17
	s_wait_dscnt 0x0
	global_store_b64 v28, v[26:27], s[10:11] scale_offset scope:SCOPE_DEV
.LBB473_154:
	s_wait_xcnt 0x0
	s_or_b32 exec_lo, exec_lo, s16
	v_xad_u32 v28, v40, -1, s26
	s_mov_b32 s17, 0
	s_mov_b32 s16, exec_lo
	s_delay_alu instid0(VALU_DEP_1) | instskip(SKIP_4) | instid1(VALU_DEP_1)
	v_add_nc_u32_e32 v32, 32, v28
	global_load_b64 v[30:31], v32, s[10:11] scale_offset scope:SCOPE_DEV
	s_wait_loadcnt 0x0
	v_and_b32_e32 v27, 0xff, v31
	s_wait_xcnt 0x0
	v_cmpx_eq_u16_e32 0, v27
	s_cbranch_execz .LBB473_158
; %bb.155:
	v_lshl_add_u64 v[32:33], v[32:33], 3, s[10:11]
.LBB473_156:                            ; =>This Inner Loop Header: Depth=1
	global_load_b64 v[30:31], v[32:33], off scope:SCOPE_DEV
	s_wait_loadcnt 0x0
	v_and_b32_e32 v27, 0xff, v31
	s_delay_alu instid0(VALU_DEP_1)
	v_cmp_ne_u16_e32 vcc_lo, 0, v27
	s_or_b32 s17, vcc_lo, s17
	s_wait_xcnt 0x0
	s_and_not1_b32 exec_lo, exec_lo, s17
	s_cbranch_execnz .LBB473_156
; %bb.157:
	s_or_b32 exec_lo, exec_lo, s17
.LBB473_158:
	s_delay_alu instid0(SALU_CYCLE_1)
	s_or_b32 exec_lo, exec_lo, s16
	v_cmp_ne_u32_e32 vcc_lo, 31, v40
	v_lshlrev_b32_e64 v46, v40, -1
	v_lshl_or_b32 v53, v40, 2, 64
	v_dual_add_nc_u32 v48, 2, v40 :: v_dual_add_nc_u32 v50, 4, v40
	v_add_co_ci_u32_e64 v27, null, 0, v40, vcc_lo
	v_dual_add_nc_u32 v52, 8, v40 :: v_dual_add_nc_u32 v54, 16, v40
	s_delay_alu instid0(VALU_DEP_2)
	v_lshlrev_b32_e32 v45, 2, v27
	v_and_b32_e32 v27, 0xff, v31
	ds_bpermute_b32 v29, v45, v30
	v_cmp_eq_u16_e32 vcc_lo, 2, v27
	v_and_or_b32 v27, vcc_lo, v46, 0x80000000
	v_cmp_gt_u32_e32 vcc_lo, 30, v40
	s_delay_alu instid0(VALU_DEP_2) | instskip(SKIP_1) | instid1(VALU_DEP_2)
	v_ctz_i32_b32_e32 v27, v27
	v_cndmask_b32_e64 v32, 0, 2, vcc_lo
	v_cmp_lt_u32_e32 vcc_lo, v40, v27
	s_delay_alu instid0(VALU_DEP_2) | instskip(SKIP_3) | instid1(VALU_DEP_2)
	v_add_lshl_u32 v47, v32, v40, 2
	s_wait_dscnt 0x0
	v_cndmask_b32_e32 v29, 0, v29, vcc_lo
	v_cmp_gt_u32_e32 vcc_lo, 28, v40
	v_add_nc_u32_e32 v29, v29, v30
	v_cndmask_b32_e64 v32, 0, 4, vcc_lo
	v_cmp_le_u32_e32 vcc_lo, v48, v27
	ds_bpermute_b32 v30, v47, v29
	v_add_lshl_u32 v49, v32, v40, 2
	s_wait_dscnt 0x0
	v_cndmask_b32_e32 v30, 0, v30, vcc_lo
	v_cmp_gt_u32_e32 vcc_lo, 24, v40
	v_cndmask_b32_e64 v32, 0, 8, vcc_lo
	v_cmp_le_u32_e32 vcc_lo, v50, v27
	s_delay_alu instid0(VALU_DEP_4) | instskip(NEXT) | instid1(VALU_DEP_3)
	v_add_nc_u32_e32 v29, v29, v30
	v_add_lshl_u32 v51, v32, v40, 2
	ds_bpermute_b32 v30, v49, v29
	s_wait_dscnt 0x0
	v_cndmask_b32_e32 v30, 0, v30, vcc_lo
	v_cmp_le_u32_e32 vcc_lo, v52, v27
	s_delay_alu instid0(VALU_DEP_2) | instskip(SKIP_4) | instid1(VALU_DEP_2)
	v_add_nc_u32_e32 v29, v29, v30
	ds_bpermute_b32 v30, v51, v29
	s_wait_dscnt 0x0
	v_cndmask_b32_e32 v30, 0, v30, vcc_lo
	v_cmp_le_u32_e32 vcc_lo, v54, v27
	v_add_nc_u32_e32 v29, v29, v30
	ds_bpermute_b32 v30, v53, v29
	s_wait_dscnt 0x0
	v_cndmask_b32_e32 v27, 0, v30, vcc_lo
	s_delay_alu instid0(VALU_DEP_1)
	v_dual_mov_b32 v29, 0 :: v_dual_add_nc_u32 v30, v29, v27
	s_branch .LBB473_161
.LBB473_159:                            ;   in Loop: Header=BB473_161 Depth=1
	s_or_b32 exec_lo, exec_lo, s16
	v_and_b32_e32 v32, 0xff, v31
	ds_bpermute_b32 v33, v45, v30
	v_subrev_nc_u32_e32 v28, 32, v28
	s_mov_b32 s16, 0
	v_cmp_eq_u16_e32 vcc_lo, 2, v32
	v_and_or_b32 v32, vcc_lo, v46, 0x80000000
	s_delay_alu instid0(VALU_DEP_1) | instskip(NEXT) | instid1(VALU_DEP_1)
	v_ctz_i32_b32_e32 v32, v32
	v_cmp_lt_u32_e32 vcc_lo, v40, v32
	s_wait_dscnt 0x0
	v_cndmask_b32_e32 v33, 0, v33, vcc_lo
	v_cmp_le_u32_e32 vcc_lo, v48, v32
	s_delay_alu instid0(VALU_DEP_2) | instskip(SKIP_4) | instid1(VALU_DEP_2)
	v_add_nc_u32_e32 v30, v33, v30
	ds_bpermute_b32 v33, v47, v30
	s_wait_dscnt 0x0
	v_cndmask_b32_e32 v33, 0, v33, vcc_lo
	v_cmp_le_u32_e32 vcc_lo, v50, v32
	v_add_nc_u32_e32 v30, v30, v33
	ds_bpermute_b32 v33, v49, v30
	s_wait_dscnt 0x0
	v_cndmask_b32_e32 v33, 0, v33, vcc_lo
	v_cmp_le_u32_e32 vcc_lo, v52, v32
	s_delay_alu instid0(VALU_DEP_2) | instskip(SKIP_4) | instid1(VALU_DEP_2)
	v_add_nc_u32_e32 v30, v30, v33
	ds_bpermute_b32 v33, v51, v30
	s_wait_dscnt 0x0
	v_cndmask_b32_e32 v33, 0, v33, vcc_lo
	v_cmp_le_u32_e32 vcc_lo, v54, v32
	v_add_nc_u32_e32 v30, v30, v33
	ds_bpermute_b32 v33, v53, v30
	s_wait_dscnt 0x0
	v_cndmask_b32_e32 v32, 0, v33, vcc_lo
	s_delay_alu instid0(VALU_DEP_1)
	v_add3_u32 v30, v32, v27, v30
.LBB473_160:                            ;   in Loop: Header=BB473_161 Depth=1
	s_and_b32 vcc_lo, exec_lo, s16
	s_cbranch_vccnz .LBB473_166
.LBB473_161:                            ; =>This Loop Header: Depth=1
                                        ;     Child Loop BB473_164 Depth 2
	v_and_b32_e32 v27, 0xff, v31
	s_mov_b32 s16, -1
                                        ; implicit-def: $vgpr31
	s_delay_alu instid0(VALU_DEP_1)
	v_cmp_ne_u16_e32 vcc_lo, 2, v27
	v_mov_b32_e32 v27, v30
                                        ; implicit-def: $vgpr30
	s_cmp_lg_u32 vcc_lo, exec_lo
	s_cbranch_scc1 .LBB473_160
; %bb.162:                              ;   in Loop: Header=BB473_161 Depth=1
	global_load_b64 v[30:31], v28, s[10:11] scale_offset scope:SCOPE_DEV
	s_mov_b32 s16, exec_lo
	s_wait_loadcnt 0x0
	v_and_b32_e32 v32, 0xff, v31
	s_wait_xcnt 0x0
	s_delay_alu instid0(VALU_DEP_1)
	v_cmpx_eq_u16_e32 0, v32
	s_cbranch_execz .LBB473_159
; %bb.163:                              ;   in Loop: Header=BB473_161 Depth=1
	v_lshl_add_u64 v[32:33], v[28:29], 3, s[10:11]
	s_mov_b32 s17, 0
.LBB473_164:                            ;   Parent Loop BB473_161 Depth=1
                                        ; =>  This Inner Loop Header: Depth=2
	global_load_b64 v[30:31], v[32:33], off scope:SCOPE_DEV
	s_wait_loadcnt 0x0
	v_and_b32_e32 v55, 0xff, v31
	s_delay_alu instid0(VALU_DEP_1)
	v_cmp_ne_u16_e32 vcc_lo, 0, v55
	s_or_b32 s17, vcc_lo, s17
	s_wait_xcnt 0x0
	s_and_not1_b32 exec_lo, exec_lo, s17
	s_cbranch_execnz .LBB473_164
; %bb.165:                              ;   in Loop: Header=BB473_161 Depth=1
	s_or_b32 exec_lo, exec_lo, s17
	s_branch .LBB473_159
.LBB473_166:
	s_and_saveexec_b32 s16, s8
	s_cbranch_execz .LBB473_168
; %bb.167:
	s_add_co_i32 s17, s26, 32
	v_dual_mov_b32 v29, 2 :: v_dual_add_nc_u32 v28, v27, v26
	v_dual_mov_b32 v30, s17 :: v_dual_mov_b32 v31, 0
	global_store_b64 v30, v[28:29], s[10:11] scale_offset scope:SCOPE_DEV
	ds_store_b64 v31, v[26:27] offset:5120
.LBB473_168:
	s_wait_xcnt 0x0
	s_or_b32 exec_lo, exec_lo, s16
	v_cmp_eq_u32_e32 vcc_lo, 0, v0
	s_and_b32 exec_lo, exec_lo, vcc_lo
; %bb.169:
	v_mov_b32_e32 v26, 0
	ds_store_b32 v26, v27 offset:12
.LBB473_170:
	s_or_b32 exec_lo, exec_lo, s9
	s_wait_dscnt 0x0
	v_dual_mov_b32 v26, 0 :: v_dual_cndmask_b32 v28, v44, v43, s8
	s_wait_storecnt 0x0
	s_barrier_signal -1
	s_barrier_wait -1
	ds_load_b32 v27, v26 offset:12
	v_cmp_ne_u32_e32 vcc_lo, 0, v0
	s_wait_dscnt 0x0
	s_barrier_signal -1
	s_barrier_wait -1
	v_cndmask_b32_e32 v28, 0, v28, vcc_lo
	s_mov_b32 s9, 0
	s_delay_alu instid0(VALU_DEP_1) | instskip(SKIP_2) | instid1(VALU_DEP_1)
	v_add_nc_u32_e32 v32, v27, v28
	ds_load_b64 v[26:27], v26 offset:5120
	v_add_nc_u32_e32 v31, v32, v25
	v_add_nc_u32_e32 v30, v31, v37
	s_delay_alu instid0(VALU_DEP_1) | instskip(NEXT) | instid1(VALU_DEP_1)
	v_add_nc_u32_e32 v29, v30, v38
	v_add_nc_u32_e32 v28, v29, v39
	s_wait_dscnt 0x0
	v_readfirstlane_b32 s8, v27
.LBB473_171:
	s_and_b32 vcc_lo, exec_lo, s9
	s_cbranch_vccz .LBB473_181
; %bb.172:
	v_mov_b32_dpp v26, v42 row_shr:1 row_mask:0xf bank_mask:0xf
	s_delay_alu instid0(VALU_DEP_1) | instskip(NEXT) | instid1(VALU_DEP_1)
	v_cndmask_b32_e64 v26, v26, 0, s4
	v_add_nc_u32_e32 v26, v26, v42
	s_delay_alu instid0(VALU_DEP_1) | instskip(NEXT) | instid1(VALU_DEP_1)
	v_mov_b32_dpp v27, v26 row_shr:2 row_mask:0xf bank_mask:0xf
	v_cndmask_b32_e64 v27, 0, v27, s6
	s_delay_alu instid0(VALU_DEP_1) | instskip(NEXT) | instid1(VALU_DEP_1)
	v_add_nc_u32_e32 v26, v26, v27
	v_mov_b32_dpp v27, v26 row_shr:4 row_mask:0xf bank_mask:0xf
	s_delay_alu instid0(VALU_DEP_1) | instskip(NEXT) | instid1(VALU_DEP_1)
	v_cndmask_b32_e64 v27, 0, v27, s7
	v_add_nc_u32_e32 v26, v26, v27
	s_delay_alu instid0(VALU_DEP_1) | instskip(NEXT) | instid1(VALU_DEP_1)
	v_mov_b32_dpp v27, v26 row_shr:8 row_mask:0xf bank_mask:0xf
	v_cndmask_b32_e64 v27, 0, v27, s5
	s_delay_alu instid0(VALU_DEP_1) | instskip(SKIP_3) | instid1(VALU_DEP_1)
	v_add_nc_u32_e32 v26, v26, v27
	ds_swizzle_b32 v27, v26 offset:swizzle(BROADCAST,32,15)
	s_wait_dscnt 0x0
	v_cndmask_b32_e64 v27, v27, 0, s3
	v_add_nc_u32_e32 v26, v26, v27
	s_and_saveexec_b32 s3, s2
; %bb.173:
	v_lshlrev_b32_e32 v27, 2, v41
	ds_store_b32 v27, v26
; %bb.174:
	s_or_b32 exec_lo, exec_lo, s3
	s_delay_alu instid0(SALU_CYCLE_1)
	s_mov_b32 s2, exec_lo
	s_wait_dscnt 0x0
	s_barrier_signal -1
	s_barrier_wait -1
	v_cmpx_gt_u32_e32 4, v0
	s_cbranch_execz .LBB473_176
; %bb.175:
	v_and_b32_e32 v29, 3, v40
	s_delay_alu instid0(VALU_DEP_1) | instskip(SKIP_4) | instid1(VALU_DEP_1)
	v_cmp_ne_u32_e32 vcc_lo, 0, v29
	v_lshlrev_b32_e32 v27, 2, v0
	ds_load_b32 v28, v27
	s_wait_dscnt 0x0
	v_mov_b32_dpp v30, v28 row_shr:1 row_mask:0xf bank_mask:0xf
	v_cndmask_b32_e32 v30, 0, v30, vcc_lo
	v_cmp_lt_u32_e32 vcc_lo, 1, v29
	s_delay_alu instid0(VALU_DEP_2) | instskip(NEXT) | instid1(VALU_DEP_1)
	v_add_nc_u32_e32 v28, v30, v28
	v_mov_b32_dpp v30, v28 row_shr:2 row_mask:0xf bank_mask:0xf
	s_delay_alu instid0(VALU_DEP_1) | instskip(NEXT) | instid1(VALU_DEP_1)
	v_cndmask_b32_e32 v29, 0, v30, vcc_lo
	v_add_nc_u32_e32 v28, v28, v29
	ds_store_b32 v27, v28
.LBB473_176:
	s_or_b32 exec_lo, exec_lo, s2
	v_dual_mov_b32 v27, 0 :: v_dual_mov_b32 v28, 0
	s_mov_b32 s2, exec_lo
	s_wait_dscnt 0x0
	s_barrier_signal -1
	s_barrier_wait -1
	v_cmpx_lt_u32_e32 31, v0
; %bb.177:
	v_lshl_add_u32 v28, v41, 2, -4
	ds_load_b32 v28, v28
; %bb.178:
	s_or_b32 exec_lo, exec_lo, s2
	v_sub_co_u32 v29, vcc_lo, v40, 1
	s_mov_b32 s8, 0
	s_wait_dscnt 0x0
	v_add_nc_u32_e32 v26, v28, v26
	v_cmp_gt_i32_e64 s2, 0, v29
	s_delay_alu instid0(VALU_DEP_1) | instskip(SKIP_1) | instid1(VALU_DEP_2)
	v_cndmask_b32_e64 v29, v29, v40, s2
	v_cmp_eq_u32_e64 s2, 0, v0
	v_lshlrev_b32_e32 v29, 2, v29
	ds_bpermute_b32 v29, v29, v26
	ds_load_b32 v26, v27 offset:12
	s_and_saveexec_b32 s3, s2
	s_cbranch_execz .LBB473_180
; %bb.179:
	v_dual_mov_b32 v30, 0 :: v_dual_mov_b32 v27, 2
	s_wait_dscnt 0x0
	global_store_b64 v30, v[26:27], s[10:11] offset:256 scope:SCOPE_DEV
.LBB473_180:
	s_wait_xcnt 0x0
	s_or_b32 exec_lo, exec_lo, s3
	s_wait_dscnt 0x1
	v_cndmask_b32_e32 v27, v29, v28, vcc_lo
	s_wait_storecnt_dscnt 0x0
	s_barrier_signal -1
	s_barrier_wait -1
	s_delay_alu instid0(VALU_DEP_1) | instskip(NEXT) | instid1(VALU_DEP_1)
	v_cndmask_b32_e64 v32, v27, 0, s2
	v_add_nc_u32_e32 v31, v32, v25
	s_delay_alu instid0(VALU_DEP_1) | instskip(NEXT) | instid1(VALU_DEP_1)
	v_add_nc_u32_e32 v30, v31, v37
	v_add_nc_u32_e32 v29, v30, v38
	s_delay_alu instid0(VALU_DEP_1)
	v_add_nc_u32_e32 v28, v29, v39
.LBB473_181:
	s_load_b128 s[4:7], s[0:1], 0x28
	s_delay_alu instid0(VALU_DEP_1)
	v_dual_add_nc_u32 v25, s8, v26 :: v_dual_bitop2_b32 v24, 1, v24 bitop3:0x40
	s_wait_xcnt 0x0
	v_cmp_gt_u32_e64 s0, 0x81, v26
	s_mov_b32 s3, -1
	v_cmp_lt_u32_e64 s1, v32, v25
	v_cmp_eq_u32_e64 s2, 1, v24
	s_and_b32 vcc_lo, exec_lo, s0
	s_cbranch_vccz .LBB473_193
; %bb.182:
	s_or_b32 s1, s25, s1
	s_delay_alu instid0(SALU_CYCLE_1) | instskip(NEXT) | instid1(SALU_CYCLE_1)
	s_and_b32 s2, s1, s2
	s_and_saveexec_b32 s1, s2
	s_cbranch_execz .LBB473_184
; %bb.183:
	s_lshl_b64 s[2:3], s[14:15], 3
	s_wait_kmcnt 0x0
	s_add_nc_u64 s[2:3], s[4:5], s[2:3]
	global_store_b64 v32, v[14:15], s[2:3] scale_offset
.LBB473_184:
	s_wait_xcnt 0x0
	s_or_b32 exec_lo, exec_lo, s1
	v_and_b32_e32 v27, 1, v23
	v_cmp_lt_u32_e32 vcc_lo, v31, v25
	s_delay_alu instid0(VALU_DEP_2) | instskip(SKIP_1) | instid1(SALU_CYCLE_1)
	v_cmp_eq_u32_e64 s1, 1, v27
	s_or_b32 s2, s25, vcc_lo
	s_and_b32 s2, s2, s1
	s_delay_alu instid0(SALU_CYCLE_1)
	s_and_saveexec_b32 s1, s2
	s_cbranch_execz .LBB473_186
; %bb.185:
	s_lshl_b64 s[2:3], s[14:15], 3
	s_wait_kmcnt 0x0
	s_add_nc_u64 s[2:3], s[4:5], s[2:3]
	global_store_b64 v31, v[16:17], s[2:3] scale_offset
.LBB473_186:
	s_wait_xcnt 0x0
	s_or_b32 exec_lo, exec_lo, s1
	v_and_b32_e32 v27, 1, v36
	v_cmp_lt_u32_e32 vcc_lo, v30, v25
	s_delay_alu instid0(VALU_DEP_2) | instskip(SKIP_1) | instid1(SALU_CYCLE_1)
	v_cmp_eq_u32_e64 s1, 1, v27
	s_or_b32 s2, s25, vcc_lo
	s_and_b32 s2, s2, s1
	s_delay_alu instid0(SALU_CYCLE_1)
	;; [unrolled: 17-line block ×4, first 2 shown]
	s_and_saveexec_b32 s1, s2
	s_cbranch_execz .LBB473_192
; %bb.191:
	s_lshl_b64 s[2:3], s[14:15], 3
	s_wait_kmcnt 0x0
	s_add_nc_u64 s[2:3], s[4:5], s[2:3]
	global_store_b64 v28, v[20:21], s[2:3] scale_offset
.LBB473_192:
	s_wait_xcnt 0x0
	s_or_b32 exec_lo, exec_lo, s1
	s_mov_b32 s3, 0
.LBB473_193:
	s_delay_alu instid0(SALU_CYCLE_1)
	s_and_b32 vcc_lo, exec_lo, s3
	s_cbranch_vccz .LBB473_207
; %bb.194:
	s_mov_b32 s1, exec_lo
	v_cmpx_eq_u32_e32 1, v24
; %bb.195:
	v_subrev_nc_u32_e32 v27, s8, v32
	s_delay_alu instid0(VALU_DEP_1)
	v_lshlrev_b32_e32 v27, 3, v27
	ds_store_b64 v27, v[14:15]
; %bb.196:
	s_or_b32 exec_lo, exec_lo, s1
	v_and_b32_e32 v14, 1, v23
	s_mov_b32 s1, exec_lo
	s_delay_alu instid0(VALU_DEP_1)
	v_cmpx_eq_u32_e32 1, v14
; %bb.197:
	v_subrev_nc_u32_e32 v14, s8, v31
	s_delay_alu instid0(VALU_DEP_1)
	v_lshlrev_b32_e32 v14, 3, v14
	ds_store_b64 v14, v[16:17]
; %bb.198:
	s_or_b32 exec_lo, exec_lo, s1
	v_and_b32_e32 v14, 1, v36
	s_mov_b32 s1, exec_lo
	s_delay_alu instid0(VALU_DEP_1)
	;; [unrolled: 11-line block ×4, first 2 shown]
	v_cmpx_eq_u32_e32 1, v10
; %bb.203:
	v_subrev_nc_u32_e32 v10, s8, v28
	s_delay_alu instid0(VALU_DEP_1)
	v_lshlrev_b32_e32 v10, 3, v10
	ds_store_b64 v10, v[20:21]
; %bb.204:
	s_or_b32 exec_lo, exec_lo, s1
	s_mov_b32 s9, 0
	v_dual_mov_b32 v11, v1 :: v_dual_lshlrev_b32 v10, 3, v0
	s_lshl_b64 s[2:3], s[8:9], 3
	s_wait_storecnt_dscnt 0x0
	s_wait_kmcnt 0x0
	s_add_nc_u64 s[2:3], s[4:5], s[2:3]
	s_lshl_b64 s[4:5], s[14:15], 3
	s_barrier_signal -1
	s_add_nc_u64 s[2:3], s[2:3], s[4:5]
	s_barrier_wait -1
.LBB473_205:                            ; =>This Inner Loop Header: Depth=1
	ds_load_b64 v[12:13], v10
	v_add_nc_u32_e32 v10, 0x400, v10
	s_wait_dscnt 0x0
	global_store_b64 v11, v[12:13], s[2:3] scale_offset
	s_wait_xcnt 0x0
	v_add_nc_u32_e32 v11, 0x80, v11
	s_delay_alu instid0(VALU_DEP_1) | instskip(SKIP_1) | instid1(SALU_CYCLE_1)
	v_cmp_ge_u32_e32 vcc_lo, v11, v26
	s_or_b32 s9, vcc_lo, s9
	s_and_not1_b32 exec_lo, exec_lo, s9
	s_cbranch_execnz .LBB473_205
; %bb.206:
	s_or_b32 exec_lo, exec_lo, s9
.LBB473_207:
	s_delay_alu instid0(SALU_CYCLE_1)
	s_and_b32 vcc_lo, exec_lo, s0
	s_mov_b32 s0, -1
	s_wait_storecnt 0x0
	s_barrier_signal -1
	s_barrier_wait -1
	s_cbranch_vccz .LBB473_219
; %bb.208:
	v_cmp_lt_u32_e32 vcc_lo, v32, v25
	v_cmp_eq_u32_e64 s0, 1, v24
	s_or_b32 s1, s25, vcc_lo
	s_delay_alu instid0(SALU_CYCLE_1) | instskip(NEXT) | instid1(SALU_CYCLE_1)
	s_and_b32 s1, s1, s0
	s_and_saveexec_b32 s0, s1
	s_cbranch_execz .LBB473_210
; %bb.209:
	s_lshl_b64 s[2:3], s[14:15], 3
	s_wait_kmcnt 0x0
	s_add_nc_u64 s[2:3], s[6:7], s[2:3]
	global_store_b64 v32, v[6:7], s[2:3] scale_offset
.LBB473_210:
	s_wait_xcnt 0x0
	s_or_b32 exec_lo, exec_lo, s0
	v_and_b32_e32 v10, 1, v23
	v_cmp_lt_u32_e32 vcc_lo, v31, v25
	s_delay_alu instid0(VALU_DEP_2) | instskip(SKIP_1) | instid1(SALU_CYCLE_1)
	v_cmp_eq_u32_e64 s0, 1, v10
	s_or_b32 s1, s25, vcc_lo
	s_and_b32 s1, s1, s0
	s_delay_alu instid0(SALU_CYCLE_1)
	s_and_saveexec_b32 s0, s1
	s_cbranch_execz .LBB473_212
; %bb.211:
	s_lshl_b64 s[2:3], s[14:15], 3
	s_wait_kmcnt 0x0
	s_add_nc_u64 s[2:3], s[6:7], s[2:3]
	global_store_b64 v31, v[8:9], s[2:3] scale_offset
.LBB473_212:
	s_wait_xcnt 0x0
	s_or_b32 exec_lo, exec_lo, s0
	v_and_b32_e32 v10, 1, v36
	v_cmp_lt_u32_e32 vcc_lo, v30, v25
	s_delay_alu instid0(VALU_DEP_2) | instskip(SKIP_1) | instid1(SALU_CYCLE_1)
	v_cmp_eq_u32_e64 s0, 1, v10
	s_or_b32 s1, s25, vcc_lo
	s_and_b32 s1, s1, s0
	s_delay_alu instid0(SALU_CYCLE_1)
	;; [unrolled: 17-line block ×4, first 2 shown]
	s_and_saveexec_b32 s0, s1
	s_cbranch_execz .LBB473_218
; %bb.217:
	s_lshl_b64 s[2:3], s[14:15], 3
	s_wait_kmcnt 0x0
	s_add_nc_u64 s[2:3], s[6:7], s[2:3]
	global_store_b64 v28, v[18:19], s[2:3] scale_offset
.LBB473_218:
	s_wait_xcnt 0x0
	s_or_b32 exec_lo, exec_lo, s0
	s_mov_b32 s0, 0
.LBB473_219:
	s_delay_alu instid0(SALU_CYCLE_1)
	s_and_b32 vcc_lo, exec_lo, s0
	s_cbranch_vccz .LBB473_233
; %bb.220:
	s_mov_b32 s0, exec_lo
	v_cmpx_eq_u32_e32 1, v24
; %bb.221:
	v_subrev_nc_u32_e32 v10, s8, v32
	s_delay_alu instid0(VALU_DEP_1)
	v_lshlrev_b32_e32 v10, 3, v10
	ds_store_b64 v10, v[6:7]
; %bb.222:
	s_or_b32 exec_lo, exec_lo, s0
	v_and_b32_e32 v6, 1, v23
	s_mov_b32 s0, exec_lo
	s_delay_alu instid0(VALU_DEP_1)
	v_cmpx_eq_u32_e32 1, v6
; %bb.223:
	v_subrev_nc_u32_e32 v6, s8, v31
	s_delay_alu instid0(VALU_DEP_1)
	v_lshlrev_b32_e32 v6, 3, v6
	ds_store_b64 v6, v[8:9]
; %bb.224:
	s_or_b32 exec_lo, exec_lo, s0
	v_and_b32_e32 v6, 1, v36
	s_mov_b32 s0, exec_lo
	s_delay_alu instid0(VALU_DEP_1)
	;; [unrolled: 11-line block ×4, first 2 shown]
	v_cmpx_eq_u32_e32 1, v2
; %bb.229:
	v_subrev_nc_u32_e32 v2, s8, v28
	s_delay_alu instid0(VALU_DEP_1)
	v_lshlrev_b32_e32 v2, 3, v2
	ds_store_b64 v2, v[18:19]
; %bb.230:
	s_or_b32 exec_lo, exec_lo, s0
	s_mov_b32 s9, 0
	s_lshl_b64 s[2:3], s[14:15], 3
	s_lshl_b64 s[0:1], s[8:9], 3
	s_wait_storecnt_dscnt 0x0
	s_wait_kmcnt 0x0
	s_add_nc_u64 s[0:1], s[6:7], s[0:1]
	s_barrier_signal -1
	s_add_nc_u64 s[0:1], s[0:1], s[2:3]
	s_barrier_wait -1
.LBB473_231:                            ; =>This Inner Loop Header: Depth=1
	ds_load_b64 v[2:3], v34
	v_add_nc_u32_e32 v34, 0x400, v34
	s_wait_dscnt 0x0
	global_store_b64 v1, v[2:3], s[0:1] scale_offset
	s_wait_xcnt 0x0
	v_add_nc_u32_e32 v1, 0x80, v1
	s_delay_alu instid0(VALU_DEP_1) | instskip(SKIP_1) | instid1(SALU_CYCLE_1)
	v_cmp_ge_u32_e32 vcc_lo, v1, v26
	s_or_b32 s9, vcc_lo, s9
	s_and_not1_b32 exec_lo, exec_lo, s9
	s_cbranch_execnz .LBB473_231
; %bb.232:
	s_or_b32 exec_lo, exec_lo, s9
.LBB473_233:
	v_cmp_eq_u32_e32 vcc_lo, 0, v0
	s_mov_b32 s9, 0
	s_and_b32 s0, vcc_lo, s24
	s_delay_alu instid0(SALU_CYCLE_1)
	s_and_saveexec_b32 s1, s0
	s_cbranch_execz .LBB473_235
; %bb.234:
	v_mov_b32_e32 v27, 0
	s_delay_alu instid0(VALU_DEP_1) | instskip(NEXT) | instid1(VALU_DEP_1)
	v_add_nc_u64_e32 v[0:1], s[14:15], v[26:27]
	v_add_nc_u64_e32 v[0:1], s[8:9], v[0:1]
	global_store_b64 v27, v[0:1], s[12:13]
.LBB473_235:
	s_endpgm
	.section	.rodata,"a",@progbits
	.p2align	6, 0x0
	.amdhsa_kernel _ZN7rocprim17ROCPRIM_400000_NS6detail17trampoline_kernelINS0_14default_configENS1_25partition_config_selectorILNS1_17partition_subalgoE9EllbEEZZNS1_14partition_implILS5_9ELb0ES3_jPlS8_PNS0_10empty_typeENS0_5tupleIJS8_S9_EEENSB_IJS8_SA_EEENS0_18inequality_wrapperIZN2at6native12_GLOBAL__N_124unique_dim_cuda_templateIiEESt5tupleIJNSF_6TensorESK_SK_EERKSK_lbbbEUlllE0_EEPmJS9_EEE10hipError_tPvRmT3_T4_T5_T6_T7_T9_mT8_P12ihipStream_tbDpT10_ENKUlT_T0_E_clISt17integral_constantIbLb0EES1A_EEDaS15_S16_EUlS15_E_NS1_11comp_targetILNS1_3genE0ELNS1_11target_archE4294967295ELNS1_3gpuE0ELNS1_3repE0EEENS1_30default_config_static_selectorELNS0_4arch9wavefront6targetE0EEEvT1_
		.amdhsa_group_segment_fixed_size 5128
		.amdhsa_private_segment_fixed_size 0
		.amdhsa_kernarg_size 120
		.amdhsa_user_sgpr_count 2
		.amdhsa_user_sgpr_dispatch_ptr 0
		.amdhsa_user_sgpr_queue_ptr 0
		.amdhsa_user_sgpr_kernarg_segment_ptr 1
		.amdhsa_user_sgpr_dispatch_id 0
		.amdhsa_user_sgpr_kernarg_preload_length 0
		.amdhsa_user_sgpr_kernarg_preload_offset 0
		.amdhsa_user_sgpr_private_segment_size 0
		.amdhsa_wavefront_size32 1
		.amdhsa_uses_dynamic_stack 0
		.amdhsa_enable_private_segment 0
		.amdhsa_system_sgpr_workgroup_id_x 1
		.amdhsa_system_sgpr_workgroup_id_y 0
		.amdhsa_system_sgpr_workgroup_id_z 0
		.amdhsa_system_sgpr_workgroup_info 0
		.amdhsa_system_vgpr_workitem_id 0
		.amdhsa_next_free_vgpr 56
		.amdhsa_next_free_sgpr 32
		.amdhsa_named_barrier_count 0
		.amdhsa_reserve_vcc 1
		.amdhsa_float_round_mode_32 0
		.amdhsa_float_round_mode_16_64 0
		.amdhsa_float_denorm_mode_32 3
		.amdhsa_float_denorm_mode_16_64 3
		.amdhsa_fp16_overflow 0
		.amdhsa_memory_ordered 1
		.amdhsa_forward_progress 1
		.amdhsa_inst_pref_size 74
		.amdhsa_round_robin_scheduling 0
		.amdhsa_exception_fp_ieee_invalid_op 0
		.amdhsa_exception_fp_denorm_src 0
		.amdhsa_exception_fp_ieee_div_zero 0
		.amdhsa_exception_fp_ieee_overflow 0
		.amdhsa_exception_fp_ieee_underflow 0
		.amdhsa_exception_fp_ieee_inexact 0
		.amdhsa_exception_int_div_zero 0
	.end_amdhsa_kernel
	.section	.text._ZN7rocprim17ROCPRIM_400000_NS6detail17trampoline_kernelINS0_14default_configENS1_25partition_config_selectorILNS1_17partition_subalgoE9EllbEEZZNS1_14partition_implILS5_9ELb0ES3_jPlS8_PNS0_10empty_typeENS0_5tupleIJS8_S9_EEENSB_IJS8_SA_EEENS0_18inequality_wrapperIZN2at6native12_GLOBAL__N_124unique_dim_cuda_templateIiEESt5tupleIJNSF_6TensorESK_SK_EERKSK_lbbbEUlllE0_EEPmJS9_EEE10hipError_tPvRmT3_T4_T5_T6_T7_T9_mT8_P12ihipStream_tbDpT10_ENKUlT_T0_E_clISt17integral_constantIbLb0EES1A_EEDaS15_S16_EUlS15_E_NS1_11comp_targetILNS1_3genE0ELNS1_11target_archE4294967295ELNS1_3gpuE0ELNS1_3repE0EEENS1_30default_config_static_selectorELNS0_4arch9wavefront6targetE0EEEvT1_,"axG",@progbits,_ZN7rocprim17ROCPRIM_400000_NS6detail17trampoline_kernelINS0_14default_configENS1_25partition_config_selectorILNS1_17partition_subalgoE9EllbEEZZNS1_14partition_implILS5_9ELb0ES3_jPlS8_PNS0_10empty_typeENS0_5tupleIJS8_S9_EEENSB_IJS8_SA_EEENS0_18inequality_wrapperIZN2at6native12_GLOBAL__N_124unique_dim_cuda_templateIiEESt5tupleIJNSF_6TensorESK_SK_EERKSK_lbbbEUlllE0_EEPmJS9_EEE10hipError_tPvRmT3_T4_T5_T6_T7_T9_mT8_P12ihipStream_tbDpT10_ENKUlT_T0_E_clISt17integral_constantIbLb0EES1A_EEDaS15_S16_EUlS15_E_NS1_11comp_targetILNS1_3genE0ELNS1_11target_archE4294967295ELNS1_3gpuE0ELNS1_3repE0EEENS1_30default_config_static_selectorELNS0_4arch9wavefront6targetE0EEEvT1_,comdat
.Lfunc_end473:
	.size	_ZN7rocprim17ROCPRIM_400000_NS6detail17trampoline_kernelINS0_14default_configENS1_25partition_config_selectorILNS1_17partition_subalgoE9EllbEEZZNS1_14partition_implILS5_9ELb0ES3_jPlS8_PNS0_10empty_typeENS0_5tupleIJS8_S9_EEENSB_IJS8_SA_EEENS0_18inequality_wrapperIZN2at6native12_GLOBAL__N_124unique_dim_cuda_templateIiEESt5tupleIJNSF_6TensorESK_SK_EERKSK_lbbbEUlllE0_EEPmJS9_EEE10hipError_tPvRmT3_T4_T5_T6_T7_T9_mT8_P12ihipStream_tbDpT10_ENKUlT_T0_E_clISt17integral_constantIbLb0EES1A_EEDaS15_S16_EUlS15_E_NS1_11comp_targetILNS1_3genE0ELNS1_11target_archE4294967295ELNS1_3gpuE0ELNS1_3repE0EEENS1_30default_config_static_selectorELNS0_4arch9wavefront6targetE0EEEvT1_, .Lfunc_end473-_ZN7rocprim17ROCPRIM_400000_NS6detail17trampoline_kernelINS0_14default_configENS1_25partition_config_selectorILNS1_17partition_subalgoE9EllbEEZZNS1_14partition_implILS5_9ELb0ES3_jPlS8_PNS0_10empty_typeENS0_5tupleIJS8_S9_EEENSB_IJS8_SA_EEENS0_18inequality_wrapperIZN2at6native12_GLOBAL__N_124unique_dim_cuda_templateIiEESt5tupleIJNSF_6TensorESK_SK_EERKSK_lbbbEUlllE0_EEPmJS9_EEE10hipError_tPvRmT3_T4_T5_T6_T7_T9_mT8_P12ihipStream_tbDpT10_ENKUlT_T0_E_clISt17integral_constantIbLb0EES1A_EEDaS15_S16_EUlS15_E_NS1_11comp_targetILNS1_3genE0ELNS1_11target_archE4294967295ELNS1_3gpuE0ELNS1_3repE0EEENS1_30default_config_static_selectorELNS0_4arch9wavefront6targetE0EEEvT1_
                                        ; -- End function
	.set _ZN7rocprim17ROCPRIM_400000_NS6detail17trampoline_kernelINS0_14default_configENS1_25partition_config_selectorILNS1_17partition_subalgoE9EllbEEZZNS1_14partition_implILS5_9ELb0ES3_jPlS8_PNS0_10empty_typeENS0_5tupleIJS8_S9_EEENSB_IJS8_SA_EEENS0_18inequality_wrapperIZN2at6native12_GLOBAL__N_124unique_dim_cuda_templateIiEESt5tupleIJNSF_6TensorESK_SK_EERKSK_lbbbEUlllE0_EEPmJS9_EEE10hipError_tPvRmT3_T4_T5_T6_T7_T9_mT8_P12ihipStream_tbDpT10_ENKUlT_T0_E_clISt17integral_constantIbLb0EES1A_EEDaS15_S16_EUlS15_E_NS1_11comp_targetILNS1_3genE0ELNS1_11target_archE4294967295ELNS1_3gpuE0ELNS1_3repE0EEENS1_30default_config_static_selectorELNS0_4arch9wavefront6targetE0EEEvT1_.num_vgpr, 56
	.set _ZN7rocprim17ROCPRIM_400000_NS6detail17trampoline_kernelINS0_14default_configENS1_25partition_config_selectorILNS1_17partition_subalgoE9EllbEEZZNS1_14partition_implILS5_9ELb0ES3_jPlS8_PNS0_10empty_typeENS0_5tupleIJS8_S9_EEENSB_IJS8_SA_EEENS0_18inequality_wrapperIZN2at6native12_GLOBAL__N_124unique_dim_cuda_templateIiEESt5tupleIJNSF_6TensorESK_SK_EERKSK_lbbbEUlllE0_EEPmJS9_EEE10hipError_tPvRmT3_T4_T5_T6_T7_T9_mT8_P12ihipStream_tbDpT10_ENKUlT_T0_E_clISt17integral_constantIbLb0EES1A_EEDaS15_S16_EUlS15_E_NS1_11comp_targetILNS1_3genE0ELNS1_11target_archE4294967295ELNS1_3gpuE0ELNS1_3repE0EEENS1_30default_config_static_selectorELNS0_4arch9wavefront6targetE0EEEvT1_.num_agpr, 0
	.set _ZN7rocprim17ROCPRIM_400000_NS6detail17trampoline_kernelINS0_14default_configENS1_25partition_config_selectorILNS1_17partition_subalgoE9EllbEEZZNS1_14partition_implILS5_9ELb0ES3_jPlS8_PNS0_10empty_typeENS0_5tupleIJS8_S9_EEENSB_IJS8_SA_EEENS0_18inequality_wrapperIZN2at6native12_GLOBAL__N_124unique_dim_cuda_templateIiEESt5tupleIJNSF_6TensorESK_SK_EERKSK_lbbbEUlllE0_EEPmJS9_EEE10hipError_tPvRmT3_T4_T5_T6_T7_T9_mT8_P12ihipStream_tbDpT10_ENKUlT_T0_E_clISt17integral_constantIbLb0EES1A_EEDaS15_S16_EUlS15_E_NS1_11comp_targetILNS1_3genE0ELNS1_11target_archE4294967295ELNS1_3gpuE0ELNS1_3repE0EEENS1_30default_config_static_selectorELNS0_4arch9wavefront6targetE0EEEvT1_.numbered_sgpr, 32
	.set _ZN7rocprim17ROCPRIM_400000_NS6detail17trampoline_kernelINS0_14default_configENS1_25partition_config_selectorILNS1_17partition_subalgoE9EllbEEZZNS1_14partition_implILS5_9ELb0ES3_jPlS8_PNS0_10empty_typeENS0_5tupleIJS8_S9_EEENSB_IJS8_SA_EEENS0_18inequality_wrapperIZN2at6native12_GLOBAL__N_124unique_dim_cuda_templateIiEESt5tupleIJNSF_6TensorESK_SK_EERKSK_lbbbEUlllE0_EEPmJS9_EEE10hipError_tPvRmT3_T4_T5_T6_T7_T9_mT8_P12ihipStream_tbDpT10_ENKUlT_T0_E_clISt17integral_constantIbLb0EES1A_EEDaS15_S16_EUlS15_E_NS1_11comp_targetILNS1_3genE0ELNS1_11target_archE4294967295ELNS1_3gpuE0ELNS1_3repE0EEENS1_30default_config_static_selectorELNS0_4arch9wavefront6targetE0EEEvT1_.num_named_barrier, 0
	.set _ZN7rocprim17ROCPRIM_400000_NS6detail17trampoline_kernelINS0_14default_configENS1_25partition_config_selectorILNS1_17partition_subalgoE9EllbEEZZNS1_14partition_implILS5_9ELb0ES3_jPlS8_PNS0_10empty_typeENS0_5tupleIJS8_S9_EEENSB_IJS8_SA_EEENS0_18inequality_wrapperIZN2at6native12_GLOBAL__N_124unique_dim_cuda_templateIiEESt5tupleIJNSF_6TensorESK_SK_EERKSK_lbbbEUlllE0_EEPmJS9_EEE10hipError_tPvRmT3_T4_T5_T6_T7_T9_mT8_P12ihipStream_tbDpT10_ENKUlT_T0_E_clISt17integral_constantIbLb0EES1A_EEDaS15_S16_EUlS15_E_NS1_11comp_targetILNS1_3genE0ELNS1_11target_archE4294967295ELNS1_3gpuE0ELNS1_3repE0EEENS1_30default_config_static_selectorELNS0_4arch9wavefront6targetE0EEEvT1_.private_seg_size, 0
	.set _ZN7rocprim17ROCPRIM_400000_NS6detail17trampoline_kernelINS0_14default_configENS1_25partition_config_selectorILNS1_17partition_subalgoE9EllbEEZZNS1_14partition_implILS5_9ELb0ES3_jPlS8_PNS0_10empty_typeENS0_5tupleIJS8_S9_EEENSB_IJS8_SA_EEENS0_18inequality_wrapperIZN2at6native12_GLOBAL__N_124unique_dim_cuda_templateIiEESt5tupleIJNSF_6TensorESK_SK_EERKSK_lbbbEUlllE0_EEPmJS9_EEE10hipError_tPvRmT3_T4_T5_T6_T7_T9_mT8_P12ihipStream_tbDpT10_ENKUlT_T0_E_clISt17integral_constantIbLb0EES1A_EEDaS15_S16_EUlS15_E_NS1_11comp_targetILNS1_3genE0ELNS1_11target_archE4294967295ELNS1_3gpuE0ELNS1_3repE0EEENS1_30default_config_static_selectorELNS0_4arch9wavefront6targetE0EEEvT1_.uses_vcc, 1
	.set _ZN7rocprim17ROCPRIM_400000_NS6detail17trampoline_kernelINS0_14default_configENS1_25partition_config_selectorILNS1_17partition_subalgoE9EllbEEZZNS1_14partition_implILS5_9ELb0ES3_jPlS8_PNS0_10empty_typeENS0_5tupleIJS8_S9_EEENSB_IJS8_SA_EEENS0_18inequality_wrapperIZN2at6native12_GLOBAL__N_124unique_dim_cuda_templateIiEESt5tupleIJNSF_6TensorESK_SK_EERKSK_lbbbEUlllE0_EEPmJS9_EEE10hipError_tPvRmT3_T4_T5_T6_T7_T9_mT8_P12ihipStream_tbDpT10_ENKUlT_T0_E_clISt17integral_constantIbLb0EES1A_EEDaS15_S16_EUlS15_E_NS1_11comp_targetILNS1_3genE0ELNS1_11target_archE4294967295ELNS1_3gpuE0ELNS1_3repE0EEENS1_30default_config_static_selectorELNS0_4arch9wavefront6targetE0EEEvT1_.uses_flat_scratch, 0
	.set _ZN7rocprim17ROCPRIM_400000_NS6detail17trampoline_kernelINS0_14default_configENS1_25partition_config_selectorILNS1_17partition_subalgoE9EllbEEZZNS1_14partition_implILS5_9ELb0ES3_jPlS8_PNS0_10empty_typeENS0_5tupleIJS8_S9_EEENSB_IJS8_SA_EEENS0_18inequality_wrapperIZN2at6native12_GLOBAL__N_124unique_dim_cuda_templateIiEESt5tupleIJNSF_6TensorESK_SK_EERKSK_lbbbEUlllE0_EEPmJS9_EEE10hipError_tPvRmT3_T4_T5_T6_T7_T9_mT8_P12ihipStream_tbDpT10_ENKUlT_T0_E_clISt17integral_constantIbLb0EES1A_EEDaS15_S16_EUlS15_E_NS1_11comp_targetILNS1_3genE0ELNS1_11target_archE4294967295ELNS1_3gpuE0ELNS1_3repE0EEENS1_30default_config_static_selectorELNS0_4arch9wavefront6targetE0EEEvT1_.has_dyn_sized_stack, 0
	.set _ZN7rocprim17ROCPRIM_400000_NS6detail17trampoline_kernelINS0_14default_configENS1_25partition_config_selectorILNS1_17partition_subalgoE9EllbEEZZNS1_14partition_implILS5_9ELb0ES3_jPlS8_PNS0_10empty_typeENS0_5tupleIJS8_S9_EEENSB_IJS8_SA_EEENS0_18inequality_wrapperIZN2at6native12_GLOBAL__N_124unique_dim_cuda_templateIiEESt5tupleIJNSF_6TensorESK_SK_EERKSK_lbbbEUlllE0_EEPmJS9_EEE10hipError_tPvRmT3_T4_T5_T6_T7_T9_mT8_P12ihipStream_tbDpT10_ENKUlT_T0_E_clISt17integral_constantIbLb0EES1A_EEDaS15_S16_EUlS15_E_NS1_11comp_targetILNS1_3genE0ELNS1_11target_archE4294967295ELNS1_3gpuE0ELNS1_3repE0EEENS1_30default_config_static_selectorELNS0_4arch9wavefront6targetE0EEEvT1_.has_recursion, 0
	.set _ZN7rocprim17ROCPRIM_400000_NS6detail17trampoline_kernelINS0_14default_configENS1_25partition_config_selectorILNS1_17partition_subalgoE9EllbEEZZNS1_14partition_implILS5_9ELb0ES3_jPlS8_PNS0_10empty_typeENS0_5tupleIJS8_S9_EEENSB_IJS8_SA_EEENS0_18inequality_wrapperIZN2at6native12_GLOBAL__N_124unique_dim_cuda_templateIiEESt5tupleIJNSF_6TensorESK_SK_EERKSK_lbbbEUlllE0_EEPmJS9_EEE10hipError_tPvRmT3_T4_T5_T6_T7_T9_mT8_P12ihipStream_tbDpT10_ENKUlT_T0_E_clISt17integral_constantIbLb0EES1A_EEDaS15_S16_EUlS15_E_NS1_11comp_targetILNS1_3genE0ELNS1_11target_archE4294967295ELNS1_3gpuE0ELNS1_3repE0EEENS1_30default_config_static_selectorELNS0_4arch9wavefront6targetE0EEEvT1_.has_indirect_call, 0
	.section	.AMDGPU.csdata,"",@progbits
; Kernel info:
; codeLenInByte = 9388
; TotalNumSgprs: 34
; NumVgprs: 56
; ScratchSize: 0
; MemoryBound: 0
; FloatMode: 240
; IeeeMode: 1
; LDSByteSize: 5128 bytes/workgroup (compile time only)
; SGPRBlocks: 0
; VGPRBlocks: 3
; NumSGPRsForWavesPerEU: 34
; NumVGPRsForWavesPerEU: 56
; NamedBarCnt: 0
; Occupancy: 16
; WaveLimiterHint : 1
; COMPUTE_PGM_RSRC2:SCRATCH_EN: 0
; COMPUTE_PGM_RSRC2:USER_SGPR: 2
; COMPUTE_PGM_RSRC2:TRAP_HANDLER: 0
; COMPUTE_PGM_RSRC2:TGID_X_EN: 1
; COMPUTE_PGM_RSRC2:TGID_Y_EN: 0
; COMPUTE_PGM_RSRC2:TGID_Z_EN: 0
; COMPUTE_PGM_RSRC2:TIDIG_COMP_CNT: 0
	.section	.text._ZN7rocprim17ROCPRIM_400000_NS6detail17trampoline_kernelINS0_14default_configENS1_25partition_config_selectorILNS1_17partition_subalgoE9EllbEEZZNS1_14partition_implILS5_9ELb0ES3_jPlS8_PNS0_10empty_typeENS0_5tupleIJS8_S9_EEENSB_IJS8_SA_EEENS0_18inequality_wrapperIZN2at6native12_GLOBAL__N_124unique_dim_cuda_templateIiEESt5tupleIJNSF_6TensorESK_SK_EERKSK_lbbbEUlllE0_EEPmJS9_EEE10hipError_tPvRmT3_T4_T5_T6_T7_T9_mT8_P12ihipStream_tbDpT10_ENKUlT_T0_E_clISt17integral_constantIbLb0EES1A_EEDaS15_S16_EUlS15_E_NS1_11comp_targetILNS1_3genE5ELNS1_11target_archE942ELNS1_3gpuE9ELNS1_3repE0EEENS1_30default_config_static_selectorELNS0_4arch9wavefront6targetE0EEEvT1_,"axG",@progbits,_ZN7rocprim17ROCPRIM_400000_NS6detail17trampoline_kernelINS0_14default_configENS1_25partition_config_selectorILNS1_17partition_subalgoE9EllbEEZZNS1_14partition_implILS5_9ELb0ES3_jPlS8_PNS0_10empty_typeENS0_5tupleIJS8_S9_EEENSB_IJS8_SA_EEENS0_18inequality_wrapperIZN2at6native12_GLOBAL__N_124unique_dim_cuda_templateIiEESt5tupleIJNSF_6TensorESK_SK_EERKSK_lbbbEUlllE0_EEPmJS9_EEE10hipError_tPvRmT3_T4_T5_T6_T7_T9_mT8_P12ihipStream_tbDpT10_ENKUlT_T0_E_clISt17integral_constantIbLb0EES1A_EEDaS15_S16_EUlS15_E_NS1_11comp_targetILNS1_3genE5ELNS1_11target_archE942ELNS1_3gpuE9ELNS1_3repE0EEENS1_30default_config_static_selectorELNS0_4arch9wavefront6targetE0EEEvT1_,comdat
	.globl	_ZN7rocprim17ROCPRIM_400000_NS6detail17trampoline_kernelINS0_14default_configENS1_25partition_config_selectorILNS1_17partition_subalgoE9EllbEEZZNS1_14partition_implILS5_9ELb0ES3_jPlS8_PNS0_10empty_typeENS0_5tupleIJS8_S9_EEENSB_IJS8_SA_EEENS0_18inequality_wrapperIZN2at6native12_GLOBAL__N_124unique_dim_cuda_templateIiEESt5tupleIJNSF_6TensorESK_SK_EERKSK_lbbbEUlllE0_EEPmJS9_EEE10hipError_tPvRmT3_T4_T5_T6_T7_T9_mT8_P12ihipStream_tbDpT10_ENKUlT_T0_E_clISt17integral_constantIbLb0EES1A_EEDaS15_S16_EUlS15_E_NS1_11comp_targetILNS1_3genE5ELNS1_11target_archE942ELNS1_3gpuE9ELNS1_3repE0EEENS1_30default_config_static_selectorELNS0_4arch9wavefront6targetE0EEEvT1_ ; -- Begin function _ZN7rocprim17ROCPRIM_400000_NS6detail17trampoline_kernelINS0_14default_configENS1_25partition_config_selectorILNS1_17partition_subalgoE9EllbEEZZNS1_14partition_implILS5_9ELb0ES3_jPlS8_PNS0_10empty_typeENS0_5tupleIJS8_S9_EEENSB_IJS8_SA_EEENS0_18inequality_wrapperIZN2at6native12_GLOBAL__N_124unique_dim_cuda_templateIiEESt5tupleIJNSF_6TensorESK_SK_EERKSK_lbbbEUlllE0_EEPmJS9_EEE10hipError_tPvRmT3_T4_T5_T6_T7_T9_mT8_P12ihipStream_tbDpT10_ENKUlT_T0_E_clISt17integral_constantIbLb0EES1A_EEDaS15_S16_EUlS15_E_NS1_11comp_targetILNS1_3genE5ELNS1_11target_archE942ELNS1_3gpuE9ELNS1_3repE0EEENS1_30default_config_static_selectorELNS0_4arch9wavefront6targetE0EEEvT1_
	.p2align	8
	.type	_ZN7rocprim17ROCPRIM_400000_NS6detail17trampoline_kernelINS0_14default_configENS1_25partition_config_selectorILNS1_17partition_subalgoE9EllbEEZZNS1_14partition_implILS5_9ELb0ES3_jPlS8_PNS0_10empty_typeENS0_5tupleIJS8_S9_EEENSB_IJS8_SA_EEENS0_18inequality_wrapperIZN2at6native12_GLOBAL__N_124unique_dim_cuda_templateIiEESt5tupleIJNSF_6TensorESK_SK_EERKSK_lbbbEUlllE0_EEPmJS9_EEE10hipError_tPvRmT3_T4_T5_T6_T7_T9_mT8_P12ihipStream_tbDpT10_ENKUlT_T0_E_clISt17integral_constantIbLb0EES1A_EEDaS15_S16_EUlS15_E_NS1_11comp_targetILNS1_3genE5ELNS1_11target_archE942ELNS1_3gpuE9ELNS1_3repE0EEENS1_30default_config_static_selectorELNS0_4arch9wavefront6targetE0EEEvT1_,@function
_ZN7rocprim17ROCPRIM_400000_NS6detail17trampoline_kernelINS0_14default_configENS1_25partition_config_selectorILNS1_17partition_subalgoE9EllbEEZZNS1_14partition_implILS5_9ELb0ES3_jPlS8_PNS0_10empty_typeENS0_5tupleIJS8_S9_EEENSB_IJS8_SA_EEENS0_18inequality_wrapperIZN2at6native12_GLOBAL__N_124unique_dim_cuda_templateIiEESt5tupleIJNSF_6TensorESK_SK_EERKSK_lbbbEUlllE0_EEPmJS9_EEE10hipError_tPvRmT3_T4_T5_T6_T7_T9_mT8_P12ihipStream_tbDpT10_ENKUlT_T0_E_clISt17integral_constantIbLb0EES1A_EEDaS15_S16_EUlS15_E_NS1_11comp_targetILNS1_3genE5ELNS1_11target_archE942ELNS1_3gpuE9ELNS1_3repE0EEENS1_30default_config_static_selectorELNS0_4arch9wavefront6targetE0EEEvT1_: ; @_ZN7rocprim17ROCPRIM_400000_NS6detail17trampoline_kernelINS0_14default_configENS1_25partition_config_selectorILNS1_17partition_subalgoE9EllbEEZZNS1_14partition_implILS5_9ELb0ES3_jPlS8_PNS0_10empty_typeENS0_5tupleIJS8_S9_EEENSB_IJS8_SA_EEENS0_18inequality_wrapperIZN2at6native12_GLOBAL__N_124unique_dim_cuda_templateIiEESt5tupleIJNSF_6TensorESK_SK_EERKSK_lbbbEUlllE0_EEPmJS9_EEE10hipError_tPvRmT3_T4_T5_T6_T7_T9_mT8_P12ihipStream_tbDpT10_ENKUlT_T0_E_clISt17integral_constantIbLb0EES1A_EEDaS15_S16_EUlS15_E_NS1_11comp_targetILNS1_3genE5ELNS1_11target_archE942ELNS1_3gpuE9ELNS1_3repE0EEENS1_30default_config_static_selectorELNS0_4arch9wavefront6targetE0EEEvT1_
; %bb.0:
	.section	.rodata,"a",@progbits
	.p2align	6, 0x0
	.amdhsa_kernel _ZN7rocprim17ROCPRIM_400000_NS6detail17trampoline_kernelINS0_14default_configENS1_25partition_config_selectorILNS1_17partition_subalgoE9EllbEEZZNS1_14partition_implILS5_9ELb0ES3_jPlS8_PNS0_10empty_typeENS0_5tupleIJS8_S9_EEENSB_IJS8_SA_EEENS0_18inequality_wrapperIZN2at6native12_GLOBAL__N_124unique_dim_cuda_templateIiEESt5tupleIJNSF_6TensorESK_SK_EERKSK_lbbbEUlllE0_EEPmJS9_EEE10hipError_tPvRmT3_T4_T5_T6_T7_T9_mT8_P12ihipStream_tbDpT10_ENKUlT_T0_E_clISt17integral_constantIbLb0EES1A_EEDaS15_S16_EUlS15_E_NS1_11comp_targetILNS1_3genE5ELNS1_11target_archE942ELNS1_3gpuE9ELNS1_3repE0EEENS1_30default_config_static_selectorELNS0_4arch9wavefront6targetE0EEEvT1_
		.amdhsa_group_segment_fixed_size 0
		.amdhsa_private_segment_fixed_size 0
		.amdhsa_kernarg_size 120
		.amdhsa_user_sgpr_count 2
		.amdhsa_user_sgpr_dispatch_ptr 0
		.amdhsa_user_sgpr_queue_ptr 0
		.amdhsa_user_sgpr_kernarg_segment_ptr 1
		.amdhsa_user_sgpr_dispatch_id 0
		.amdhsa_user_sgpr_kernarg_preload_length 0
		.amdhsa_user_sgpr_kernarg_preload_offset 0
		.amdhsa_user_sgpr_private_segment_size 0
		.amdhsa_wavefront_size32 1
		.amdhsa_uses_dynamic_stack 0
		.amdhsa_enable_private_segment 0
		.amdhsa_system_sgpr_workgroup_id_x 1
		.amdhsa_system_sgpr_workgroup_id_y 0
		.amdhsa_system_sgpr_workgroup_id_z 0
		.amdhsa_system_sgpr_workgroup_info 0
		.amdhsa_system_vgpr_workitem_id 0
		.amdhsa_next_free_vgpr 1
		.amdhsa_next_free_sgpr 1
		.amdhsa_named_barrier_count 0
		.amdhsa_reserve_vcc 0
		.amdhsa_float_round_mode_32 0
		.amdhsa_float_round_mode_16_64 0
		.amdhsa_float_denorm_mode_32 3
		.amdhsa_float_denorm_mode_16_64 3
		.amdhsa_fp16_overflow 0
		.amdhsa_memory_ordered 1
		.amdhsa_forward_progress 1
		.amdhsa_inst_pref_size 0
		.amdhsa_round_robin_scheduling 0
		.amdhsa_exception_fp_ieee_invalid_op 0
		.amdhsa_exception_fp_denorm_src 0
		.amdhsa_exception_fp_ieee_div_zero 0
		.amdhsa_exception_fp_ieee_overflow 0
		.amdhsa_exception_fp_ieee_underflow 0
		.amdhsa_exception_fp_ieee_inexact 0
		.amdhsa_exception_int_div_zero 0
	.end_amdhsa_kernel
	.section	.text._ZN7rocprim17ROCPRIM_400000_NS6detail17trampoline_kernelINS0_14default_configENS1_25partition_config_selectorILNS1_17partition_subalgoE9EllbEEZZNS1_14partition_implILS5_9ELb0ES3_jPlS8_PNS0_10empty_typeENS0_5tupleIJS8_S9_EEENSB_IJS8_SA_EEENS0_18inequality_wrapperIZN2at6native12_GLOBAL__N_124unique_dim_cuda_templateIiEESt5tupleIJNSF_6TensorESK_SK_EERKSK_lbbbEUlllE0_EEPmJS9_EEE10hipError_tPvRmT3_T4_T5_T6_T7_T9_mT8_P12ihipStream_tbDpT10_ENKUlT_T0_E_clISt17integral_constantIbLb0EES1A_EEDaS15_S16_EUlS15_E_NS1_11comp_targetILNS1_3genE5ELNS1_11target_archE942ELNS1_3gpuE9ELNS1_3repE0EEENS1_30default_config_static_selectorELNS0_4arch9wavefront6targetE0EEEvT1_,"axG",@progbits,_ZN7rocprim17ROCPRIM_400000_NS6detail17trampoline_kernelINS0_14default_configENS1_25partition_config_selectorILNS1_17partition_subalgoE9EllbEEZZNS1_14partition_implILS5_9ELb0ES3_jPlS8_PNS0_10empty_typeENS0_5tupleIJS8_S9_EEENSB_IJS8_SA_EEENS0_18inequality_wrapperIZN2at6native12_GLOBAL__N_124unique_dim_cuda_templateIiEESt5tupleIJNSF_6TensorESK_SK_EERKSK_lbbbEUlllE0_EEPmJS9_EEE10hipError_tPvRmT3_T4_T5_T6_T7_T9_mT8_P12ihipStream_tbDpT10_ENKUlT_T0_E_clISt17integral_constantIbLb0EES1A_EEDaS15_S16_EUlS15_E_NS1_11comp_targetILNS1_3genE5ELNS1_11target_archE942ELNS1_3gpuE9ELNS1_3repE0EEENS1_30default_config_static_selectorELNS0_4arch9wavefront6targetE0EEEvT1_,comdat
.Lfunc_end474:
	.size	_ZN7rocprim17ROCPRIM_400000_NS6detail17trampoline_kernelINS0_14default_configENS1_25partition_config_selectorILNS1_17partition_subalgoE9EllbEEZZNS1_14partition_implILS5_9ELb0ES3_jPlS8_PNS0_10empty_typeENS0_5tupleIJS8_S9_EEENSB_IJS8_SA_EEENS0_18inequality_wrapperIZN2at6native12_GLOBAL__N_124unique_dim_cuda_templateIiEESt5tupleIJNSF_6TensorESK_SK_EERKSK_lbbbEUlllE0_EEPmJS9_EEE10hipError_tPvRmT3_T4_T5_T6_T7_T9_mT8_P12ihipStream_tbDpT10_ENKUlT_T0_E_clISt17integral_constantIbLb0EES1A_EEDaS15_S16_EUlS15_E_NS1_11comp_targetILNS1_3genE5ELNS1_11target_archE942ELNS1_3gpuE9ELNS1_3repE0EEENS1_30default_config_static_selectorELNS0_4arch9wavefront6targetE0EEEvT1_, .Lfunc_end474-_ZN7rocprim17ROCPRIM_400000_NS6detail17trampoline_kernelINS0_14default_configENS1_25partition_config_selectorILNS1_17partition_subalgoE9EllbEEZZNS1_14partition_implILS5_9ELb0ES3_jPlS8_PNS0_10empty_typeENS0_5tupleIJS8_S9_EEENSB_IJS8_SA_EEENS0_18inequality_wrapperIZN2at6native12_GLOBAL__N_124unique_dim_cuda_templateIiEESt5tupleIJNSF_6TensorESK_SK_EERKSK_lbbbEUlllE0_EEPmJS9_EEE10hipError_tPvRmT3_T4_T5_T6_T7_T9_mT8_P12ihipStream_tbDpT10_ENKUlT_T0_E_clISt17integral_constantIbLb0EES1A_EEDaS15_S16_EUlS15_E_NS1_11comp_targetILNS1_3genE5ELNS1_11target_archE942ELNS1_3gpuE9ELNS1_3repE0EEENS1_30default_config_static_selectorELNS0_4arch9wavefront6targetE0EEEvT1_
                                        ; -- End function
	.set _ZN7rocprim17ROCPRIM_400000_NS6detail17trampoline_kernelINS0_14default_configENS1_25partition_config_selectorILNS1_17partition_subalgoE9EllbEEZZNS1_14partition_implILS5_9ELb0ES3_jPlS8_PNS0_10empty_typeENS0_5tupleIJS8_S9_EEENSB_IJS8_SA_EEENS0_18inequality_wrapperIZN2at6native12_GLOBAL__N_124unique_dim_cuda_templateIiEESt5tupleIJNSF_6TensorESK_SK_EERKSK_lbbbEUlllE0_EEPmJS9_EEE10hipError_tPvRmT3_T4_T5_T6_T7_T9_mT8_P12ihipStream_tbDpT10_ENKUlT_T0_E_clISt17integral_constantIbLb0EES1A_EEDaS15_S16_EUlS15_E_NS1_11comp_targetILNS1_3genE5ELNS1_11target_archE942ELNS1_3gpuE9ELNS1_3repE0EEENS1_30default_config_static_selectorELNS0_4arch9wavefront6targetE0EEEvT1_.num_vgpr, 0
	.set _ZN7rocprim17ROCPRIM_400000_NS6detail17trampoline_kernelINS0_14default_configENS1_25partition_config_selectorILNS1_17partition_subalgoE9EllbEEZZNS1_14partition_implILS5_9ELb0ES3_jPlS8_PNS0_10empty_typeENS0_5tupleIJS8_S9_EEENSB_IJS8_SA_EEENS0_18inequality_wrapperIZN2at6native12_GLOBAL__N_124unique_dim_cuda_templateIiEESt5tupleIJNSF_6TensorESK_SK_EERKSK_lbbbEUlllE0_EEPmJS9_EEE10hipError_tPvRmT3_T4_T5_T6_T7_T9_mT8_P12ihipStream_tbDpT10_ENKUlT_T0_E_clISt17integral_constantIbLb0EES1A_EEDaS15_S16_EUlS15_E_NS1_11comp_targetILNS1_3genE5ELNS1_11target_archE942ELNS1_3gpuE9ELNS1_3repE0EEENS1_30default_config_static_selectorELNS0_4arch9wavefront6targetE0EEEvT1_.num_agpr, 0
	.set _ZN7rocprim17ROCPRIM_400000_NS6detail17trampoline_kernelINS0_14default_configENS1_25partition_config_selectorILNS1_17partition_subalgoE9EllbEEZZNS1_14partition_implILS5_9ELb0ES3_jPlS8_PNS0_10empty_typeENS0_5tupleIJS8_S9_EEENSB_IJS8_SA_EEENS0_18inequality_wrapperIZN2at6native12_GLOBAL__N_124unique_dim_cuda_templateIiEESt5tupleIJNSF_6TensorESK_SK_EERKSK_lbbbEUlllE0_EEPmJS9_EEE10hipError_tPvRmT3_T4_T5_T6_T7_T9_mT8_P12ihipStream_tbDpT10_ENKUlT_T0_E_clISt17integral_constantIbLb0EES1A_EEDaS15_S16_EUlS15_E_NS1_11comp_targetILNS1_3genE5ELNS1_11target_archE942ELNS1_3gpuE9ELNS1_3repE0EEENS1_30default_config_static_selectorELNS0_4arch9wavefront6targetE0EEEvT1_.numbered_sgpr, 0
	.set _ZN7rocprim17ROCPRIM_400000_NS6detail17trampoline_kernelINS0_14default_configENS1_25partition_config_selectorILNS1_17partition_subalgoE9EllbEEZZNS1_14partition_implILS5_9ELb0ES3_jPlS8_PNS0_10empty_typeENS0_5tupleIJS8_S9_EEENSB_IJS8_SA_EEENS0_18inequality_wrapperIZN2at6native12_GLOBAL__N_124unique_dim_cuda_templateIiEESt5tupleIJNSF_6TensorESK_SK_EERKSK_lbbbEUlllE0_EEPmJS9_EEE10hipError_tPvRmT3_T4_T5_T6_T7_T9_mT8_P12ihipStream_tbDpT10_ENKUlT_T0_E_clISt17integral_constantIbLb0EES1A_EEDaS15_S16_EUlS15_E_NS1_11comp_targetILNS1_3genE5ELNS1_11target_archE942ELNS1_3gpuE9ELNS1_3repE0EEENS1_30default_config_static_selectorELNS0_4arch9wavefront6targetE0EEEvT1_.num_named_barrier, 0
	.set _ZN7rocprim17ROCPRIM_400000_NS6detail17trampoline_kernelINS0_14default_configENS1_25partition_config_selectorILNS1_17partition_subalgoE9EllbEEZZNS1_14partition_implILS5_9ELb0ES3_jPlS8_PNS0_10empty_typeENS0_5tupleIJS8_S9_EEENSB_IJS8_SA_EEENS0_18inequality_wrapperIZN2at6native12_GLOBAL__N_124unique_dim_cuda_templateIiEESt5tupleIJNSF_6TensorESK_SK_EERKSK_lbbbEUlllE0_EEPmJS9_EEE10hipError_tPvRmT3_T4_T5_T6_T7_T9_mT8_P12ihipStream_tbDpT10_ENKUlT_T0_E_clISt17integral_constantIbLb0EES1A_EEDaS15_S16_EUlS15_E_NS1_11comp_targetILNS1_3genE5ELNS1_11target_archE942ELNS1_3gpuE9ELNS1_3repE0EEENS1_30default_config_static_selectorELNS0_4arch9wavefront6targetE0EEEvT1_.private_seg_size, 0
	.set _ZN7rocprim17ROCPRIM_400000_NS6detail17trampoline_kernelINS0_14default_configENS1_25partition_config_selectorILNS1_17partition_subalgoE9EllbEEZZNS1_14partition_implILS5_9ELb0ES3_jPlS8_PNS0_10empty_typeENS0_5tupleIJS8_S9_EEENSB_IJS8_SA_EEENS0_18inequality_wrapperIZN2at6native12_GLOBAL__N_124unique_dim_cuda_templateIiEESt5tupleIJNSF_6TensorESK_SK_EERKSK_lbbbEUlllE0_EEPmJS9_EEE10hipError_tPvRmT3_T4_T5_T6_T7_T9_mT8_P12ihipStream_tbDpT10_ENKUlT_T0_E_clISt17integral_constantIbLb0EES1A_EEDaS15_S16_EUlS15_E_NS1_11comp_targetILNS1_3genE5ELNS1_11target_archE942ELNS1_3gpuE9ELNS1_3repE0EEENS1_30default_config_static_selectorELNS0_4arch9wavefront6targetE0EEEvT1_.uses_vcc, 0
	.set _ZN7rocprim17ROCPRIM_400000_NS6detail17trampoline_kernelINS0_14default_configENS1_25partition_config_selectorILNS1_17partition_subalgoE9EllbEEZZNS1_14partition_implILS5_9ELb0ES3_jPlS8_PNS0_10empty_typeENS0_5tupleIJS8_S9_EEENSB_IJS8_SA_EEENS0_18inequality_wrapperIZN2at6native12_GLOBAL__N_124unique_dim_cuda_templateIiEESt5tupleIJNSF_6TensorESK_SK_EERKSK_lbbbEUlllE0_EEPmJS9_EEE10hipError_tPvRmT3_T4_T5_T6_T7_T9_mT8_P12ihipStream_tbDpT10_ENKUlT_T0_E_clISt17integral_constantIbLb0EES1A_EEDaS15_S16_EUlS15_E_NS1_11comp_targetILNS1_3genE5ELNS1_11target_archE942ELNS1_3gpuE9ELNS1_3repE0EEENS1_30default_config_static_selectorELNS0_4arch9wavefront6targetE0EEEvT1_.uses_flat_scratch, 0
	.set _ZN7rocprim17ROCPRIM_400000_NS6detail17trampoline_kernelINS0_14default_configENS1_25partition_config_selectorILNS1_17partition_subalgoE9EllbEEZZNS1_14partition_implILS5_9ELb0ES3_jPlS8_PNS0_10empty_typeENS0_5tupleIJS8_S9_EEENSB_IJS8_SA_EEENS0_18inequality_wrapperIZN2at6native12_GLOBAL__N_124unique_dim_cuda_templateIiEESt5tupleIJNSF_6TensorESK_SK_EERKSK_lbbbEUlllE0_EEPmJS9_EEE10hipError_tPvRmT3_T4_T5_T6_T7_T9_mT8_P12ihipStream_tbDpT10_ENKUlT_T0_E_clISt17integral_constantIbLb0EES1A_EEDaS15_S16_EUlS15_E_NS1_11comp_targetILNS1_3genE5ELNS1_11target_archE942ELNS1_3gpuE9ELNS1_3repE0EEENS1_30default_config_static_selectorELNS0_4arch9wavefront6targetE0EEEvT1_.has_dyn_sized_stack, 0
	.set _ZN7rocprim17ROCPRIM_400000_NS6detail17trampoline_kernelINS0_14default_configENS1_25partition_config_selectorILNS1_17partition_subalgoE9EllbEEZZNS1_14partition_implILS5_9ELb0ES3_jPlS8_PNS0_10empty_typeENS0_5tupleIJS8_S9_EEENSB_IJS8_SA_EEENS0_18inequality_wrapperIZN2at6native12_GLOBAL__N_124unique_dim_cuda_templateIiEESt5tupleIJNSF_6TensorESK_SK_EERKSK_lbbbEUlllE0_EEPmJS9_EEE10hipError_tPvRmT3_T4_T5_T6_T7_T9_mT8_P12ihipStream_tbDpT10_ENKUlT_T0_E_clISt17integral_constantIbLb0EES1A_EEDaS15_S16_EUlS15_E_NS1_11comp_targetILNS1_3genE5ELNS1_11target_archE942ELNS1_3gpuE9ELNS1_3repE0EEENS1_30default_config_static_selectorELNS0_4arch9wavefront6targetE0EEEvT1_.has_recursion, 0
	.set _ZN7rocprim17ROCPRIM_400000_NS6detail17trampoline_kernelINS0_14default_configENS1_25partition_config_selectorILNS1_17partition_subalgoE9EllbEEZZNS1_14partition_implILS5_9ELb0ES3_jPlS8_PNS0_10empty_typeENS0_5tupleIJS8_S9_EEENSB_IJS8_SA_EEENS0_18inequality_wrapperIZN2at6native12_GLOBAL__N_124unique_dim_cuda_templateIiEESt5tupleIJNSF_6TensorESK_SK_EERKSK_lbbbEUlllE0_EEPmJS9_EEE10hipError_tPvRmT3_T4_T5_T6_T7_T9_mT8_P12ihipStream_tbDpT10_ENKUlT_T0_E_clISt17integral_constantIbLb0EES1A_EEDaS15_S16_EUlS15_E_NS1_11comp_targetILNS1_3genE5ELNS1_11target_archE942ELNS1_3gpuE9ELNS1_3repE0EEENS1_30default_config_static_selectorELNS0_4arch9wavefront6targetE0EEEvT1_.has_indirect_call, 0
	.section	.AMDGPU.csdata,"",@progbits
; Kernel info:
; codeLenInByte = 0
; TotalNumSgprs: 0
; NumVgprs: 0
; ScratchSize: 0
; MemoryBound: 0
; FloatMode: 240
; IeeeMode: 1
; LDSByteSize: 0 bytes/workgroup (compile time only)
; SGPRBlocks: 0
; VGPRBlocks: 0
; NumSGPRsForWavesPerEU: 1
; NumVGPRsForWavesPerEU: 1
; NamedBarCnt: 0
; Occupancy: 16
; WaveLimiterHint : 0
; COMPUTE_PGM_RSRC2:SCRATCH_EN: 0
; COMPUTE_PGM_RSRC2:USER_SGPR: 2
; COMPUTE_PGM_RSRC2:TRAP_HANDLER: 0
; COMPUTE_PGM_RSRC2:TGID_X_EN: 1
; COMPUTE_PGM_RSRC2:TGID_Y_EN: 0
; COMPUTE_PGM_RSRC2:TGID_Z_EN: 0
; COMPUTE_PGM_RSRC2:TIDIG_COMP_CNT: 0
	.section	.text._ZN7rocprim17ROCPRIM_400000_NS6detail17trampoline_kernelINS0_14default_configENS1_25partition_config_selectorILNS1_17partition_subalgoE9EllbEEZZNS1_14partition_implILS5_9ELb0ES3_jPlS8_PNS0_10empty_typeENS0_5tupleIJS8_S9_EEENSB_IJS8_SA_EEENS0_18inequality_wrapperIZN2at6native12_GLOBAL__N_124unique_dim_cuda_templateIiEESt5tupleIJNSF_6TensorESK_SK_EERKSK_lbbbEUlllE0_EEPmJS9_EEE10hipError_tPvRmT3_T4_T5_T6_T7_T9_mT8_P12ihipStream_tbDpT10_ENKUlT_T0_E_clISt17integral_constantIbLb0EES1A_EEDaS15_S16_EUlS15_E_NS1_11comp_targetILNS1_3genE4ELNS1_11target_archE910ELNS1_3gpuE8ELNS1_3repE0EEENS1_30default_config_static_selectorELNS0_4arch9wavefront6targetE0EEEvT1_,"axG",@progbits,_ZN7rocprim17ROCPRIM_400000_NS6detail17trampoline_kernelINS0_14default_configENS1_25partition_config_selectorILNS1_17partition_subalgoE9EllbEEZZNS1_14partition_implILS5_9ELb0ES3_jPlS8_PNS0_10empty_typeENS0_5tupleIJS8_S9_EEENSB_IJS8_SA_EEENS0_18inequality_wrapperIZN2at6native12_GLOBAL__N_124unique_dim_cuda_templateIiEESt5tupleIJNSF_6TensorESK_SK_EERKSK_lbbbEUlllE0_EEPmJS9_EEE10hipError_tPvRmT3_T4_T5_T6_T7_T9_mT8_P12ihipStream_tbDpT10_ENKUlT_T0_E_clISt17integral_constantIbLb0EES1A_EEDaS15_S16_EUlS15_E_NS1_11comp_targetILNS1_3genE4ELNS1_11target_archE910ELNS1_3gpuE8ELNS1_3repE0EEENS1_30default_config_static_selectorELNS0_4arch9wavefront6targetE0EEEvT1_,comdat
	.globl	_ZN7rocprim17ROCPRIM_400000_NS6detail17trampoline_kernelINS0_14default_configENS1_25partition_config_selectorILNS1_17partition_subalgoE9EllbEEZZNS1_14partition_implILS5_9ELb0ES3_jPlS8_PNS0_10empty_typeENS0_5tupleIJS8_S9_EEENSB_IJS8_SA_EEENS0_18inequality_wrapperIZN2at6native12_GLOBAL__N_124unique_dim_cuda_templateIiEESt5tupleIJNSF_6TensorESK_SK_EERKSK_lbbbEUlllE0_EEPmJS9_EEE10hipError_tPvRmT3_T4_T5_T6_T7_T9_mT8_P12ihipStream_tbDpT10_ENKUlT_T0_E_clISt17integral_constantIbLb0EES1A_EEDaS15_S16_EUlS15_E_NS1_11comp_targetILNS1_3genE4ELNS1_11target_archE910ELNS1_3gpuE8ELNS1_3repE0EEENS1_30default_config_static_selectorELNS0_4arch9wavefront6targetE0EEEvT1_ ; -- Begin function _ZN7rocprim17ROCPRIM_400000_NS6detail17trampoline_kernelINS0_14default_configENS1_25partition_config_selectorILNS1_17partition_subalgoE9EllbEEZZNS1_14partition_implILS5_9ELb0ES3_jPlS8_PNS0_10empty_typeENS0_5tupleIJS8_S9_EEENSB_IJS8_SA_EEENS0_18inequality_wrapperIZN2at6native12_GLOBAL__N_124unique_dim_cuda_templateIiEESt5tupleIJNSF_6TensorESK_SK_EERKSK_lbbbEUlllE0_EEPmJS9_EEE10hipError_tPvRmT3_T4_T5_T6_T7_T9_mT8_P12ihipStream_tbDpT10_ENKUlT_T0_E_clISt17integral_constantIbLb0EES1A_EEDaS15_S16_EUlS15_E_NS1_11comp_targetILNS1_3genE4ELNS1_11target_archE910ELNS1_3gpuE8ELNS1_3repE0EEENS1_30default_config_static_selectorELNS0_4arch9wavefront6targetE0EEEvT1_
	.p2align	8
	.type	_ZN7rocprim17ROCPRIM_400000_NS6detail17trampoline_kernelINS0_14default_configENS1_25partition_config_selectorILNS1_17partition_subalgoE9EllbEEZZNS1_14partition_implILS5_9ELb0ES3_jPlS8_PNS0_10empty_typeENS0_5tupleIJS8_S9_EEENSB_IJS8_SA_EEENS0_18inequality_wrapperIZN2at6native12_GLOBAL__N_124unique_dim_cuda_templateIiEESt5tupleIJNSF_6TensorESK_SK_EERKSK_lbbbEUlllE0_EEPmJS9_EEE10hipError_tPvRmT3_T4_T5_T6_T7_T9_mT8_P12ihipStream_tbDpT10_ENKUlT_T0_E_clISt17integral_constantIbLb0EES1A_EEDaS15_S16_EUlS15_E_NS1_11comp_targetILNS1_3genE4ELNS1_11target_archE910ELNS1_3gpuE8ELNS1_3repE0EEENS1_30default_config_static_selectorELNS0_4arch9wavefront6targetE0EEEvT1_,@function
_ZN7rocprim17ROCPRIM_400000_NS6detail17trampoline_kernelINS0_14default_configENS1_25partition_config_selectorILNS1_17partition_subalgoE9EllbEEZZNS1_14partition_implILS5_9ELb0ES3_jPlS8_PNS0_10empty_typeENS0_5tupleIJS8_S9_EEENSB_IJS8_SA_EEENS0_18inequality_wrapperIZN2at6native12_GLOBAL__N_124unique_dim_cuda_templateIiEESt5tupleIJNSF_6TensorESK_SK_EERKSK_lbbbEUlllE0_EEPmJS9_EEE10hipError_tPvRmT3_T4_T5_T6_T7_T9_mT8_P12ihipStream_tbDpT10_ENKUlT_T0_E_clISt17integral_constantIbLb0EES1A_EEDaS15_S16_EUlS15_E_NS1_11comp_targetILNS1_3genE4ELNS1_11target_archE910ELNS1_3gpuE8ELNS1_3repE0EEENS1_30default_config_static_selectorELNS0_4arch9wavefront6targetE0EEEvT1_: ; @_ZN7rocprim17ROCPRIM_400000_NS6detail17trampoline_kernelINS0_14default_configENS1_25partition_config_selectorILNS1_17partition_subalgoE9EllbEEZZNS1_14partition_implILS5_9ELb0ES3_jPlS8_PNS0_10empty_typeENS0_5tupleIJS8_S9_EEENSB_IJS8_SA_EEENS0_18inequality_wrapperIZN2at6native12_GLOBAL__N_124unique_dim_cuda_templateIiEESt5tupleIJNSF_6TensorESK_SK_EERKSK_lbbbEUlllE0_EEPmJS9_EEE10hipError_tPvRmT3_T4_T5_T6_T7_T9_mT8_P12ihipStream_tbDpT10_ENKUlT_T0_E_clISt17integral_constantIbLb0EES1A_EEDaS15_S16_EUlS15_E_NS1_11comp_targetILNS1_3genE4ELNS1_11target_archE910ELNS1_3gpuE8ELNS1_3repE0EEENS1_30default_config_static_selectorELNS0_4arch9wavefront6targetE0EEEvT1_
; %bb.0:
	.section	.rodata,"a",@progbits
	.p2align	6, 0x0
	.amdhsa_kernel _ZN7rocprim17ROCPRIM_400000_NS6detail17trampoline_kernelINS0_14default_configENS1_25partition_config_selectorILNS1_17partition_subalgoE9EllbEEZZNS1_14partition_implILS5_9ELb0ES3_jPlS8_PNS0_10empty_typeENS0_5tupleIJS8_S9_EEENSB_IJS8_SA_EEENS0_18inequality_wrapperIZN2at6native12_GLOBAL__N_124unique_dim_cuda_templateIiEESt5tupleIJNSF_6TensorESK_SK_EERKSK_lbbbEUlllE0_EEPmJS9_EEE10hipError_tPvRmT3_T4_T5_T6_T7_T9_mT8_P12ihipStream_tbDpT10_ENKUlT_T0_E_clISt17integral_constantIbLb0EES1A_EEDaS15_S16_EUlS15_E_NS1_11comp_targetILNS1_3genE4ELNS1_11target_archE910ELNS1_3gpuE8ELNS1_3repE0EEENS1_30default_config_static_selectorELNS0_4arch9wavefront6targetE0EEEvT1_
		.amdhsa_group_segment_fixed_size 0
		.amdhsa_private_segment_fixed_size 0
		.amdhsa_kernarg_size 120
		.amdhsa_user_sgpr_count 2
		.amdhsa_user_sgpr_dispatch_ptr 0
		.amdhsa_user_sgpr_queue_ptr 0
		.amdhsa_user_sgpr_kernarg_segment_ptr 1
		.amdhsa_user_sgpr_dispatch_id 0
		.amdhsa_user_sgpr_kernarg_preload_length 0
		.amdhsa_user_sgpr_kernarg_preload_offset 0
		.amdhsa_user_sgpr_private_segment_size 0
		.amdhsa_wavefront_size32 1
		.amdhsa_uses_dynamic_stack 0
		.amdhsa_enable_private_segment 0
		.amdhsa_system_sgpr_workgroup_id_x 1
		.amdhsa_system_sgpr_workgroup_id_y 0
		.amdhsa_system_sgpr_workgroup_id_z 0
		.amdhsa_system_sgpr_workgroup_info 0
		.amdhsa_system_vgpr_workitem_id 0
		.amdhsa_next_free_vgpr 1
		.amdhsa_next_free_sgpr 1
		.amdhsa_named_barrier_count 0
		.amdhsa_reserve_vcc 0
		.amdhsa_float_round_mode_32 0
		.amdhsa_float_round_mode_16_64 0
		.amdhsa_float_denorm_mode_32 3
		.amdhsa_float_denorm_mode_16_64 3
		.amdhsa_fp16_overflow 0
		.amdhsa_memory_ordered 1
		.amdhsa_forward_progress 1
		.amdhsa_inst_pref_size 0
		.amdhsa_round_robin_scheduling 0
		.amdhsa_exception_fp_ieee_invalid_op 0
		.amdhsa_exception_fp_denorm_src 0
		.amdhsa_exception_fp_ieee_div_zero 0
		.amdhsa_exception_fp_ieee_overflow 0
		.amdhsa_exception_fp_ieee_underflow 0
		.amdhsa_exception_fp_ieee_inexact 0
		.amdhsa_exception_int_div_zero 0
	.end_amdhsa_kernel
	.section	.text._ZN7rocprim17ROCPRIM_400000_NS6detail17trampoline_kernelINS0_14default_configENS1_25partition_config_selectorILNS1_17partition_subalgoE9EllbEEZZNS1_14partition_implILS5_9ELb0ES3_jPlS8_PNS0_10empty_typeENS0_5tupleIJS8_S9_EEENSB_IJS8_SA_EEENS0_18inequality_wrapperIZN2at6native12_GLOBAL__N_124unique_dim_cuda_templateIiEESt5tupleIJNSF_6TensorESK_SK_EERKSK_lbbbEUlllE0_EEPmJS9_EEE10hipError_tPvRmT3_T4_T5_T6_T7_T9_mT8_P12ihipStream_tbDpT10_ENKUlT_T0_E_clISt17integral_constantIbLb0EES1A_EEDaS15_S16_EUlS15_E_NS1_11comp_targetILNS1_3genE4ELNS1_11target_archE910ELNS1_3gpuE8ELNS1_3repE0EEENS1_30default_config_static_selectorELNS0_4arch9wavefront6targetE0EEEvT1_,"axG",@progbits,_ZN7rocprim17ROCPRIM_400000_NS6detail17trampoline_kernelINS0_14default_configENS1_25partition_config_selectorILNS1_17partition_subalgoE9EllbEEZZNS1_14partition_implILS5_9ELb0ES3_jPlS8_PNS0_10empty_typeENS0_5tupleIJS8_S9_EEENSB_IJS8_SA_EEENS0_18inequality_wrapperIZN2at6native12_GLOBAL__N_124unique_dim_cuda_templateIiEESt5tupleIJNSF_6TensorESK_SK_EERKSK_lbbbEUlllE0_EEPmJS9_EEE10hipError_tPvRmT3_T4_T5_T6_T7_T9_mT8_P12ihipStream_tbDpT10_ENKUlT_T0_E_clISt17integral_constantIbLb0EES1A_EEDaS15_S16_EUlS15_E_NS1_11comp_targetILNS1_3genE4ELNS1_11target_archE910ELNS1_3gpuE8ELNS1_3repE0EEENS1_30default_config_static_selectorELNS0_4arch9wavefront6targetE0EEEvT1_,comdat
.Lfunc_end475:
	.size	_ZN7rocprim17ROCPRIM_400000_NS6detail17trampoline_kernelINS0_14default_configENS1_25partition_config_selectorILNS1_17partition_subalgoE9EllbEEZZNS1_14partition_implILS5_9ELb0ES3_jPlS8_PNS0_10empty_typeENS0_5tupleIJS8_S9_EEENSB_IJS8_SA_EEENS0_18inequality_wrapperIZN2at6native12_GLOBAL__N_124unique_dim_cuda_templateIiEESt5tupleIJNSF_6TensorESK_SK_EERKSK_lbbbEUlllE0_EEPmJS9_EEE10hipError_tPvRmT3_T4_T5_T6_T7_T9_mT8_P12ihipStream_tbDpT10_ENKUlT_T0_E_clISt17integral_constantIbLb0EES1A_EEDaS15_S16_EUlS15_E_NS1_11comp_targetILNS1_3genE4ELNS1_11target_archE910ELNS1_3gpuE8ELNS1_3repE0EEENS1_30default_config_static_selectorELNS0_4arch9wavefront6targetE0EEEvT1_, .Lfunc_end475-_ZN7rocprim17ROCPRIM_400000_NS6detail17trampoline_kernelINS0_14default_configENS1_25partition_config_selectorILNS1_17partition_subalgoE9EllbEEZZNS1_14partition_implILS5_9ELb0ES3_jPlS8_PNS0_10empty_typeENS0_5tupleIJS8_S9_EEENSB_IJS8_SA_EEENS0_18inequality_wrapperIZN2at6native12_GLOBAL__N_124unique_dim_cuda_templateIiEESt5tupleIJNSF_6TensorESK_SK_EERKSK_lbbbEUlllE0_EEPmJS9_EEE10hipError_tPvRmT3_T4_T5_T6_T7_T9_mT8_P12ihipStream_tbDpT10_ENKUlT_T0_E_clISt17integral_constantIbLb0EES1A_EEDaS15_S16_EUlS15_E_NS1_11comp_targetILNS1_3genE4ELNS1_11target_archE910ELNS1_3gpuE8ELNS1_3repE0EEENS1_30default_config_static_selectorELNS0_4arch9wavefront6targetE0EEEvT1_
                                        ; -- End function
	.set _ZN7rocprim17ROCPRIM_400000_NS6detail17trampoline_kernelINS0_14default_configENS1_25partition_config_selectorILNS1_17partition_subalgoE9EllbEEZZNS1_14partition_implILS5_9ELb0ES3_jPlS8_PNS0_10empty_typeENS0_5tupleIJS8_S9_EEENSB_IJS8_SA_EEENS0_18inequality_wrapperIZN2at6native12_GLOBAL__N_124unique_dim_cuda_templateIiEESt5tupleIJNSF_6TensorESK_SK_EERKSK_lbbbEUlllE0_EEPmJS9_EEE10hipError_tPvRmT3_T4_T5_T6_T7_T9_mT8_P12ihipStream_tbDpT10_ENKUlT_T0_E_clISt17integral_constantIbLb0EES1A_EEDaS15_S16_EUlS15_E_NS1_11comp_targetILNS1_3genE4ELNS1_11target_archE910ELNS1_3gpuE8ELNS1_3repE0EEENS1_30default_config_static_selectorELNS0_4arch9wavefront6targetE0EEEvT1_.num_vgpr, 0
	.set _ZN7rocprim17ROCPRIM_400000_NS6detail17trampoline_kernelINS0_14default_configENS1_25partition_config_selectorILNS1_17partition_subalgoE9EllbEEZZNS1_14partition_implILS5_9ELb0ES3_jPlS8_PNS0_10empty_typeENS0_5tupleIJS8_S9_EEENSB_IJS8_SA_EEENS0_18inequality_wrapperIZN2at6native12_GLOBAL__N_124unique_dim_cuda_templateIiEESt5tupleIJNSF_6TensorESK_SK_EERKSK_lbbbEUlllE0_EEPmJS9_EEE10hipError_tPvRmT3_T4_T5_T6_T7_T9_mT8_P12ihipStream_tbDpT10_ENKUlT_T0_E_clISt17integral_constantIbLb0EES1A_EEDaS15_S16_EUlS15_E_NS1_11comp_targetILNS1_3genE4ELNS1_11target_archE910ELNS1_3gpuE8ELNS1_3repE0EEENS1_30default_config_static_selectorELNS0_4arch9wavefront6targetE0EEEvT1_.num_agpr, 0
	.set _ZN7rocprim17ROCPRIM_400000_NS6detail17trampoline_kernelINS0_14default_configENS1_25partition_config_selectorILNS1_17partition_subalgoE9EllbEEZZNS1_14partition_implILS5_9ELb0ES3_jPlS8_PNS0_10empty_typeENS0_5tupleIJS8_S9_EEENSB_IJS8_SA_EEENS0_18inequality_wrapperIZN2at6native12_GLOBAL__N_124unique_dim_cuda_templateIiEESt5tupleIJNSF_6TensorESK_SK_EERKSK_lbbbEUlllE0_EEPmJS9_EEE10hipError_tPvRmT3_T4_T5_T6_T7_T9_mT8_P12ihipStream_tbDpT10_ENKUlT_T0_E_clISt17integral_constantIbLb0EES1A_EEDaS15_S16_EUlS15_E_NS1_11comp_targetILNS1_3genE4ELNS1_11target_archE910ELNS1_3gpuE8ELNS1_3repE0EEENS1_30default_config_static_selectorELNS0_4arch9wavefront6targetE0EEEvT1_.numbered_sgpr, 0
	.set _ZN7rocprim17ROCPRIM_400000_NS6detail17trampoline_kernelINS0_14default_configENS1_25partition_config_selectorILNS1_17partition_subalgoE9EllbEEZZNS1_14partition_implILS5_9ELb0ES3_jPlS8_PNS0_10empty_typeENS0_5tupleIJS8_S9_EEENSB_IJS8_SA_EEENS0_18inequality_wrapperIZN2at6native12_GLOBAL__N_124unique_dim_cuda_templateIiEESt5tupleIJNSF_6TensorESK_SK_EERKSK_lbbbEUlllE0_EEPmJS9_EEE10hipError_tPvRmT3_T4_T5_T6_T7_T9_mT8_P12ihipStream_tbDpT10_ENKUlT_T0_E_clISt17integral_constantIbLb0EES1A_EEDaS15_S16_EUlS15_E_NS1_11comp_targetILNS1_3genE4ELNS1_11target_archE910ELNS1_3gpuE8ELNS1_3repE0EEENS1_30default_config_static_selectorELNS0_4arch9wavefront6targetE0EEEvT1_.num_named_barrier, 0
	.set _ZN7rocprim17ROCPRIM_400000_NS6detail17trampoline_kernelINS0_14default_configENS1_25partition_config_selectorILNS1_17partition_subalgoE9EllbEEZZNS1_14partition_implILS5_9ELb0ES3_jPlS8_PNS0_10empty_typeENS0_5tupleIJS8_S9_EEENSB_IJS8_SA_EEENS0_18inequality_wrapperIZN2at6native12_GLOBAL__N_124unique_dim_cuda_templateIiEESt5tupleIJNSF_6TensorESK_SK_EERKSK_lbbbEUlllE0_EEPmJS9_EEE10hipError_tPvRmT3_T4_T5_T6_T7_T9_mT8_P12ihipStream_tbDpT10_ENKUlT_T0_E_clISt17integral_constantIbLb0EES1A_EEDaS15_S16_EUlS15_E_NS1_11comp_targetILNS1_3genE4ELNS1_11target_archE910ELNS1_3gpuE8ELNS1_3repE0EEENS1_30default_config_static_selectorELNS0_4arch9wavefront6targetE0EEEvT1_.private_seg_size, 0
	.set _ZN7rocprim17ROCPRIM_400000_NS6detail17trampoline_kernelINS0_14default_configENS1_25partition_config_selectorILNS1_17partition_subalgoE9EllbEEZZNS1_14partition_implILS5_9ELb0ES3_jPlS8_PNS0_10empty_typeENS0_5tupleIJS8_S9_EEENSB_IJS8_SA_EEENS0_18inequality_wrapperIZN2at6native12_GLOBAL__N_124unique_dim_cuda_templateIiEESt5tupleIJNSF_6TensorESK_SK_EERKSK_lbbbEUlllE0_EEPmJS9_EEE10hipError_tPvRmT3_T4_T5_T6_T7_T9_mT8_P12ihipStream_tbDpT10_ENKUlT_T0_E_clISt17integral_constantIbLb0EES1A_EEDaS15_S16_EUlS15_E_NS1_11comp_targetILNS1_3genE4ELNS1_11target_archE910ELNS1_3gpuE8ELNS1_3repE0EEENS1_30default_config_static_selectorELNS0_4arch9wavefront6targetE0EEEvT1_.uses_vcc, 0
	.set _ZN7rocprim17ROCPRIM_400000_NS6detail17trampoline_kernelINS0_14default_configENS1_25partition_config_selectorILNS1_17partition_subalgoE9EllbEEZZNS1_14partition_implILS5_9ELb0ES3_jPlS8_PNS0_10empty_typeENS0_5tupleIJS8_S9_EEENSB_IJS8_SA_EEENS0_18inequality_wrapperIZN2at6native12_GLOBAL__N_124unique_dim_cuda_templateIiEESt5tupleIJNSF_6TensorESK_SK_EERKSK_lbbbEUlllE0_EEPmJS9_EEE10hipError_tPvRmT3_T4_T5_T6_T7_T9_mT8_P12ihipStream_tbDpT10_ENKUlT_T0_E_clISt17integral_constantIbLb0EES1A_EEDaS15_S16_EUlS15_E_NS1_11comp_targetILNS1_3genE4ELNS1_11target_archE910ELNS1_3gpuE8ELNS1_3repE0EEENS1_30default_config_static_selectorELNS0_4arch9wavefront6targetE0EEEvT1_.uses_flat_scratch, 0
	.set _ZN7rocprim17ROCPRIM_400000_NS6detail17trampoline_kernelINS0_14default_configENS1_25partition_config_selectorILNS1_17partition_subalgoE9EllbEEZZNS1_14partition_implILS5_9ELb0ES3_jPlS8_PNS0_10empty_typeENS0_5tupleIJS8_S9_EEENSB_IJS8_SA_EEENS0_18inequality_wrapperIZN2at6native12_GLOBAL__N_124unique_dim_cuda_templateIiEESt5tupleIJNSF_6TensorESK_SK_EERKSK_lbbbEUlllE0_EEPmJS9_EEE10hipError_tPvRmT3_T4_T5_T6_T7_T9_mT8_P12ihipStream_tbDpT10_ENKUlT_T0_E_clISt17integral_constantIbLb0EES1A_EEDaS15_S16_EUlS15_E_NS1_11comp_targetILNS1_3genE4ELNS1_11target_archE910ELNS1_3gpuE8ELNS1_3repE0EEENS1_30default_config_static_selectorELNS0_4arch9wavefront6targetE0EEEvT1_.has_dyn_sized_stack, 0
	.set _ZN7rocprim17ROCPRIM_400000_NS6detail17trampoline_kernelINS0_14default_configENS1_25partition_config_selectorILNS1_17partition_subalgoE9EllbEEZZNS1_14partition_implILS5_9ELb0ES3_jPlS8_PNS0_10empty_typeENS0_5tupleIJS8_S9_EEENSB_IJS8_SA_EEENS0_18inequality_wrapperIZN2at6native12_GLOBAL__N_124unique_dim_cuda_templateIiEESt5tupleIJNSF_6TensorESK_SK_EERKSK_lbbbEUlllE0_EEPmJS9_EEE10hipError_tPvRmT3_T4_T5_T6_T7_T9_mT8_P12ihipStream_tbDpT10_ENKUlT_T0_E_clISt17integral_constantIbLb0EES1A_EEDaS15_S16_EUlS15_E_NS1_11comp_targetILNS1_3genE4ELNS1_11target_archE910ELNS1_3gpuE8ELNS1_3repE0EEENS1_30default_config_static_selectorELNS0_4arch9wavefront6targetE0EEEvT1_.has_recursion, 0
	.set _ZN7rocprim17ROCPRIM_400000_NS6detail17trampoline_kernelINS0_14default_configENS1_25partition_config_selectorILNS1_17partition_subalgoE9EllbEEZZNS1_14partition_implILS5_9ELb0ES3_jPlS8_PNS0_10empty_typeENS0_5tupleIJS8_S9_EEENSB_IJS8_SA_EEENS0_18inequality_wrapperIZN2at6native12_GLOBAL__N_124unique_dim_cuda_templateIiEESt5tupleIJNSF_6TensorESK_SK_EERKSK_lbbbEUlllE0_EEPmJS9_EEE10hipError_tPvRmT3_T4_T5_T6_T7_T9_mT8_P12ihipStream_tbDpT10_ENKUlT_T0_E_clISt17integral_constantIbLb0EES1A_EEDaS15_S16_EUlS15_E_NS1_11comp_targetILNS1_3genE4ELNS1_11target_archE910ELNS1_3gpuE8ELNS1_3repE0EEENS1_30default_config_static_selectorELNS0_4arch9wavefront6targetE0EEEvT1_.has_indirect_call, 0
	.section	.AMDGPU.csdata,"",@progbits
; Kernel info:
; codeLenInByte = 0
; TotalNumSgprs: 0
; NumVgprs: 0
; ScratchSize: 0
; MemoryBound: 0
; FloatMode: 240
; IeeeMode: 1
; LDSByteSize: 0 bytes/workgroup (compile time only)
; SGPRBlocks: 0
; VGPRBlocks: 0
; NumSGPRsForWavesPerEU: 1
; NumVGPRsForWavesPerEU: 1
; NamedBarCnt: 0
; Occupancy: 16
; WaveLimiterHint : 0
; COMPUTE_PGM_RSRC2:SCRATCH_EN: 0
; COMPUTE_PGM_RSRC2:USER_SGPR: 2
; COMPUTE_PGM_RSRC2:TRAP_HANDLER: 0
; COMPUTE_PGM_RSRC2:TGID_X_EN: 1
; COMPUTE_PGM_RSRC2:TGID_Y_EN: 0
; COMPUTE_PGM_RSRC2:TGID_Z_EN: 0
; COMPUTE_PGM_RSRC2:TIDIG_COMP_CNT: 0
	.section	.text._ZN7rocprim17ROCPRIM_400000_NS6detail17trampoline_kernelINS0_14default_configENS1_25partition_config_selectorILNS1_17partition_subalgoE9EllbEEZZNS1_14partition_implILS5_9ELb0ES3_jPlS8_PNS0_10empty_typeENS0_5tupleIJS8_S9_EEENSB_IJS8_SA_EEENS0_18inequality_wrapperIZN2at6native12_GLOBAL__N_124unique_dim_cuda_templateIiEESt5tupleIJNSF_6TensorESK_SK_EERKSK_lbbbEUlllE0_EEPmJS9_EEE10hipError_tPvRmT3_T4_T5_T6_T7_T9_mT8_P12ihipStream_tbDpT10_ENKUlT_T0_E_clISt17integral_constantIbLb0EES1A_EEDaS15_S16_EUlS15_E_NS1_11comp_targetILNS1_3genE3ELNS1_11target_archE908ELNS1_3gpuE7ELNS1_3repE0EEENS1_30default_config_static_selectorELNS0_4arch9wavefront6targetE0EEEvT1_,"axG",@progbits,_ZN7rocprim17ROCPRIM_400000_NS6detail17trampoline_kernelINS0_14default_configENS1_25partition_config_selectorILNS1_17partition_subalgoE9EllbEEZZNS1_14partition_implILS5_9ELb0ES3_jPlS8_PNS0_10empty_typeENS0_5tupleIJS8_S9_EEENSB_IJS8_SA_EEENS0_18inequality_wrapperIZN2at6native12_GLOBAL__N_124unique_dim_cuda_templateIiEESt5tupleIJNSF_6TensorESK_SK_EERKSK_lbbbEUlllE0_EEPmJS9_EEE10hipError_tPvRmT3_T4_T5_T6_T7_T9_mT8_P12ihipStream_tbDpT10_ENKUlT_T0_E_clISt17integral_constantIbLb0EES1A_EEDaS15_S16_EUlS15_E_NS1_11comp_targetILNS1_3genE3ELNS1_11target_archE908ELNS1_3gpuE7ELNS1_3repE0EEENS1_30default_config_static_selectorELNS0_4arch9wavefront6targetE0EEEvT1_,comdat
	.globl	_ZN7rocprim17ROCPRIM_400000_NS6detail17trampoline_kernelINS0_14default_configENS1_25partition_config_selectorILNS1_17partition_subalgoE9EllbEEZZNS1_14partition_implILS5_9ELb0ES3_jPlS8_PNS0_10empty_typeENS0_5tupleIJS8_S9_EEENSB_IJS8_SA_EEENS0_18inequality_wrapperIZN2at6native12_GLOBAL__N_124unique_dim_cuda_templateIiEESt5tupleIJNSF_6TensorESK_SK_EERKSK_lbbbEUlllE0_EEPmJS9_EEE10hipError_tPvRmT3_T4_T5_T6_T7_T9_mT8_P12ihipStream_tbDpT10_ENKUlT_T0_E_clISt17integral_constantIbLb0EES1A_EEDaS15_S16_EUlS15_E_NS1_11comp_targetILNS1_3genE3ELNS1_11target_archE908ELNS1_3gpuE7ELNS1_3repE0EEENS1_30default_config_static_selectorELNS0_4arch9wavefront6targetE0EEEvT1_ ; -- Begin function _ZN7rocprim17ROCPRIM_400000_NS6detail17trampoline_kernelINS0_14default_configENS1_25partition_config_selectorILNS1_17partition_subalgoE9EllbEEZZNS1_14partition_implILS5_9ELb0ES3_jPlS8_PNS0_10empty_typeENS0_5tupleIJS8_S9_EEENSB_IJS8_SA_EEENS0_18inequality_wrapperIZN2at6native12_GLOBAL__N_124unique_dim_cuda_templateIiEESt5tupleIJNSF_6TensorESK_SK_EERKSK_lbbbEUlllE0_EEPmJS9_EEE10hipError_tPvRmT3_T4_T5_T6_T7_T9_mT8_P12ihipStream_tbDpT10_ENKUlT_T0_E_clISt17integral_constantIbLb0EES1A_EEDaS15_S16_EUlS15_E_NS1_11comp_targetILNS1_3genE3ELNS1_11target_archE908ELNS1_3gpuE7ELNS1_3repE0EEENS1_30default_config_static_selectorELNS0_4arch9wavefront6targetE0EEEvT1_
	.p2align	8
	.type	_ZN7rocprim17ROCPRIM_400000_NS6detail17trampoline_kernelINS0_14default_configENS1_25partition_config_selectorILNS1_17partition_subalgoE9EllbEEZZNS1_14partition_implILS5_9ELb0ES3_jPlS8_PNS0_10empty_typeENS0_5tupleIJS8_S9_EEENSB_IJS8_SA_EEENS0_18inequality_wrapperIZN2at6native12_GLOBAL__N_124unique_dim_cuda_templateIiEESt5tupleIJNSF_6TensorESK_SK_EERKSK_lbbbEUlllE0_EEPmJS9_EEE10hipError_tPvRmT3_T4_T5_T6_T7_T9_mT8_P12ihipStream_tbDpT10_ENKUlT_T0_E_clISt17integral_constantIbLb0EES1A_EEDaS15_S16_EUlS15_E_NS1_11comp_targetILNS1_3genE3ELNS1_11target_archE908ELNS1_3gpuE7ELNS1_3repE0EEENS1_30default_config_static_selectorELNS0_4arch9wavefront6targetE0EEEvT1_,@function
_ZN7rocprim17ROCPRIM_400000_NS6detail17trampoline_kernelINS0_14default_configENS1_25partition_config_selectorILNS1_17partition_subalgoE9EllbEEZZNS1_14partition_implILS5_9ELb0ES3_jPlS8_PNS0_10empty_typeENS0_5tupleIJS8_S9_EEENSB_IJS8_SA_EEENS0_18inequality_wrapperIZN2at6native12_GLOBAL__N_124unique_dim_cuda_templateIiEESt5tupleIJNSF_6TensorESK_SK_EERKSK_lbbbEUlllE0_EEPmJS9_EEE10hipError_tPvRmT3_T4_T5_T6_T7_T9_mT8_P12ihipStream_tbDpT10_ENKUlT_T0_E_clISt17integral_constantIbLb0EES1A_EEDaS15_S16_EUlS15_E_NS1_11comp_targetILNS1_3genE3ELNS1_11target_archE908ELNS1_3gpuE7ELNS1_3repE0EEENS1_30default_config_static_selectorELNS0_4arch9wavefront6targetE0EEEvT1_: ; @_ZN7rocprim17ROCPRIM_400000_NS6detail17trampoline_kernelINS0_14default_configENS1_25partition_config_selectorILNS1_17partition_subalgoE9EllbEEZZNS1_14partition_implILS5_9ELb0ES3_jPlS8_PNS0_10empty_typeENS0_5tupleIJS8_S9_EEENSB_IJS8_SA_EEENS0_18inequality_wrapperIZN2at6native12_GLOBAL__N_124unique_dim_cuda_templateIiEESt5tupleIJNSF_6TensorESK_SK_EERKSK_lbbbEUlllE0_EEPmJS9_EEE10hipError_tPvRmT3_T4_T5_T6_T7_T9_mT8_P12ihipStream_tbDpT10_ENKUlT_T0_E_clISt17integral_constantIbLb0EES1A_EEDaS15_S16_EUlS15_E_NS1_11comp_targetILNS1_3genE3ELNS1_11target_archE908ELNS1_3gpuE7ELNS1_3repE0EEENS1_30default_config_static_selectorELNS0_4arch9wavefront6targetE0EEEvT1_
; %bb.0:
	.section	.rodata,"a",@progbits
	.p2align	6, 0x0
	.amdhsa_kernel _ZN7rocprim17ROCPRIM_400000_NS6detail17trampoline_kernelINS0_14default_configENS1_25partition_config_selectorILNS1_17partition_subalgoE9EllbEEZZNS1_14partition_implILS5_9ELb0ES3_jPlS8_PNS0_10empty_typeENS0_5tupleIJS8_S9_EEENSB_IJS8_SA_EEENS0_18inequality_wrapperIZN2at6native12_GLOBAL__N_124unique_dim_cuda_templateIiEESt5tupleIJNSF_6TensorESK_SK_EERKSK_lbbbEUlllE0_EEPmJS9_EEE10hipError_tPvRmT3_T4_T5_T6_T7_T9_mT8_P12ihipStream_tbDpT10_ENKUlT_T0_E_clISt17integral_constantIbLb0EES1A_EEDaS15_S16_EUlS15_E_NS1_11comp_targetILNS1_3genE3ELNS1_11target_archE908ELNS1_3gpuE7ELNS1_3repE0EEENS1_30default_config_static_selectorELNS0_4arch9wavefront6targetE0EEEvT1_
		.amdhsa_group_segment_fixed_size 0
		.amdhsa_private_segment_fixed_size 0
		.amdhsa_kernarg_size 120
		.amdhsa_user_sgpr_count 2
		.amdhsa_user_sgpr_dispatch_ptr 0
		.amdhsa_user_sgpr_queue_ptr 0
		.amdhsa_user_sgpr_kernarg_segment_ptr 1
		.amdhsa_user_sgpr_dispatch_id 0
		.amdhsa_user_sgpr_kernarg_preload_length 0
		.amdhsa_user_sgpr_kernarg_preload_offset 0
		.amdhsa_user_sgpr_private_segment_size 0
		.amdhsa_wavefront_size32 1
		.amdhsa_uses_dynamic_stack 0
		.amdhsa_enable_private_segment 0
		.amdhsa_system_sgpr_workgroup_id_x 1
		.amdhsa_system_sgpr_workgroup_id_y 0
		.amdhsa_system_sgpr_workgroup_id_z 0
		.amdhsa_system_sgpr_workgroup_info 0
		.amdhsa_system_vgpr_workitem_id 0
		.amdhsa_next_free_vgpr 1
		.amdhsa_next_free_sgpr 1
		.amdhsa_named_barrier_count 0
		.amdhsa_reserve_vcc 0
		.amdhsa_float_round_mode_32 0
		.amdhsa_float_round_mode_16_64 0
		.amdhsa_float_denorm_mode_32 3
		.amdhsa_float_denorm_mode_16_64 3
		.amdhsa_fp16_overflow 0
		.amdhsa_memory_ordered 1
		.amdhsa_forward_progress 1
		.amdhsa_inst_pref_size 0
		.amdhsa_round_robin_scheduling 0
		.amdhsa_exception_fp_ieee_invalid_op 0
		.amdhsa_exception_fp_denorm_src 0
		.amdhsa_exception_fp_ieee_div_zero 0
		.amdhsa_exception_fp_ieee_overflow 0
		.amdhsa_exception_fp_ieee_underflow 0
		.amdhsa_exception_fp_ieee_inexact 0
		.amdhsa_exception_int_div_zero 0
	.end_amdhsa_kernel
	.section	.text._ZN7rocprim17ROCPRIM_400000_NS6detail17trampoline_kernelINS0_14default_configENS1_25partition_config_selectorILNS1_17partition_subalgoE9EllbEEZZNS1_14partition_implILS5_9ELb0ES3_jPlS8_PNS0_10empty_typeENS0_5tupleIJS8_S9_EEENSB_IJS8_SA_EEENS0_18inequality_wrapperIZN2at6native12_GLOBAL__N_124unique_dim_cuda_templateIiEESt5tupleIJNSF_6TensorESK_SK_EERKSK_lbbbEUlllE0_EEPmJS9_EEE10hipError_tPvRmT3_T4_T5_T6_T7_T9_mT8_P12ihipStream_tbDpT10_ENKUlT_T0_E_clISt17integral_constantIbLb0EES1A_EEDaS15_S16_EUlS15_E_NS1_11comp_targetILNS1_3genE3ELNS1_11target_archE908ELNS1_3gpuE7ELNS1_3repE0EEENS1_30default_config_static_selectorELNS0_4arch9wavefront6targetE0EEEvT1_,"axG",@progbits,_ZN7rocprim17ROCPRIM_400000_NS6detail17trampoline_kernelINS0_14default_configENS1_25partition_config_selectorILNS1_17partition_subalgoE9EllbEEZZNS1_14partition_implILS5_9ELb0ES3_jPlS8_PNS0_10empty_typeENS0_5tupleIJS8_S9_EEENSB_IJS8_SA_EEENS0_18inequality_wrapperIZN2at6native12_GLOBAL__N_124unique_dim_cuda_templateIiEESt5tupleIJNSF_6TensorESK_SK_EERKSK_lbbbEUlllE0_EEPmJS9_EEE10hipError_tPvRmT3_T4_T5_T6_T7_T9_mT8_P12ihipStream_tbDpT10_ENKUlT_T0_E_clISt17integral_constantIbLb0EES1A_EEDaS15_S16_EUlS15_E_NS1_11comp_targetILNS1_3genE3ELNS1_11target_archE908ELNS1_3gpuE7ELNS1_3repE0EEENS1_30default_config_static_selectorELNS0_4arch9wavefront6targetE0EEEvT1_,comdat
.Lfunc_end476:
	.size	_ZN7rocprim17ROCPRIM_400000_NS6detail17trampoline_kernelINS0_14default_configENS1_25partition_config_selectorILNS1_17partition_subalgoE9EllbEEZZNS1_14partition_implILS5_9ELb0ES3_jPlS8_PNS0_10empty_typeENS0_5tupleIJS8_S9_EEENSB_IJS8_SA_EEENS0_18inequality_wrapperIZN2at6native12_GLOBAL__N_124unique_dim_cuda_templateIiEESt5tupleIJNSF_6TensorESK_SK_EERKSK_lbbbEUlllE0_EEPmJS9_EEE10hipError_tPvRmT3_T4_T5_T6_T7_T9_mT8_P12ihipStream_tbDpT10_ENKUlT_T0_E_clISt17integral_constantIbLb0EES1A_EEDaS15_S16_EUlS15_E_NS1_11comp_targetILNS1_3genE3ELNS1_11target_archE908ELNS1_3gpuE7ELNS1_3repE0EEENS1_30default_config_static_selectorELNS0_4arch9wavefront6targetE0EEEvT1_, .Lfunc_end476-_ZN7rocprim17ROCPRIM_400000_NS6detail17trampoline_kernelINS0_14default_configENS1_25partition_config_selectorILNS1_17partition_subalgoE9EllbEEZZNS1_14partition_implILS5_9ELb0ES3_jPlS8_PNS0_10empty_typeENS0_5tupleIJS8_S9_EEENSB_IJS8_SA_EEENS0_18inequality_wrapperIZN2at6native12_GLOBAL__N_124unique_dim_cuda_templateIiEESt5tupleIJNSF_6TensorESK_SK_EERKSK_lbbbEUlllE0_EEPmJS9_EEE10hipError_tPvRmT3_T4_T5_T6_T7_T9_mT8_P12ihipStream_tbDpT10_ENKUlT_T0_E_clISt17integral_constantIbLb0EES1A_EEDaS15_S16_EUlS15_E_NS1_11comp_targetILNS1_3genE3ELNS1_11target_archE908ELNS1_3gpuE7ELNS1_3repE0EEENS1_30default_config_static_selectorELNS0_4arch9wavefront6targetE0EEEvT1_
                                        ; -- End function
	.set _ZN7rocprim17ROCPRIM_400000_NS6detail17trampoline_kernelINS0_14default_configENS1_25partition_config_selectorILNS1_17partition_subalgoE9EllbEEZZNS1_14partition_implILS5_9ELb0ES3_jPlS8_PNS0_10empty_typeENS0_5tupleIJS8_S9_EEENSB_IJS8_SA_EEENS0_18inequality_wrapperIZN2at6native12_GLOBAL__N_124unique_dim_cuda_templateIiEESt5tupleIJNSF_6TensorESK_SK_EERKSK_lbbbEUlllE0_EEPmJS9_EEE10hipError_tPvRmT3_T4_T5_T6_T7_T9_mT8_P12ihipStream_tbDpT10_ENKUlT_T0_E_clISt17integral_constantIbLb0EES1A_EEDaS15_S16_EUlS15_E_NS1_11comp_targetILNS1_3genE3ELNS1_11target_archE908ELNS1_3gpuE7ELNS1_3repE0EEENS1_30default_config_static_selectorELNS0_4arch9wavefront6targetE0EEEvT1_.num_vgpr, 0
	.set _ZN7rocprim17ROCPRIM_400000_NS6detail17trampoline_kernelINS0_14default_configENS1_25partition_config_selectorILNS1_17partition_subalgoE9EllbEEZZNS1_14partition_implILS5_9ELb0ES3_jPlS8_PNS0_10empty_typeENS0_5tupleIJS8_S9_EEENSB_IJS8_SA_EEENS0_18inequality_wrapperIZN2at6native12_GLOBAL__N_124unique_dim_cuda_templateIiEESt5tupleIJNSF_6TensorESK_SK_EERKSK_lbbbEUlllE0_EEPmJS9_EEE10hipError_tPvRmT3_T4_T5_T6_T7_T9_mT8_P12ihipStream_tbDpT10_ENKUlT_T0_E_clISt17integral_constantIbLb0EES1A_EEDaS15_S16_EUlS15_E_NS1_11comp_targetILNS1_3genE3ELNS1_11target_archE908ELNS1_3gpuE7ELNS1_3repE0EEENS1_30default_config_static_selectorELNS0_4arch9wavefront6targetE0EEEvT1_.num_agpr, 0
	.set _ZN7rocprim17ROCPRIM_400000_NS6detail17trampoline_kernelINS0_14default_configENS1_25partition_config_selectorILNS1_17partition_subalgoE9EllbEEZZNS1_14partition_implILS5_9ELb0ES3_jPlS8_PNS0_10empty_typeENS0_5tupleIJS8_S9_EEENSB_IJS8_SA_EEENS0_18inequality_wrapperIZN2at6native12_GLOBAL__N_124unique_dim_cuda_templateIiEESt5tupleIJNSF_6TensorESK_SK_EERKSK_lbbbEUlllE0_EEPmJS9_EEE10hipError_tPvRmT3_T4_T5_T6_T7_T9_mT8_P12ihipStream_tbDpT10_ENKUlT_T0_E_clISt17integral_constantIbLb0EES1A_EEDaS15_S16_EUlS15_E_NS1_11comp_targetILNS1_3genE3ELNS1_11target_archE908ELNS1_3gpuE7ELNS1_3repE0EEENS1_30default_config_static_selectorELNS0_4arch9wavefront6targetE0EEEvT1_.numbered_sgpr, 0
	.set _ZN7rocprim17ROCPRIM_400000_NS6detail17trampoline_kernelINS0_14default_configENS1_25partition_config_selectorILNS1_17partition_subalgoE9EllbEEZZNS1_14partition_implILS5_9ELb0ES3_jPlS8_PNS0_10empty_typeENS0_5tupleIJS8_S9_EEENSB_IJS8_SA_EEENS0_18inequality_wrapperIZN2at6native12_GLOBAL__N_124unique_dim_cuda_templateIiEESt5tupleIJNSF_6TensorESK_SK_EERKSK_lbbbEUlllE0_EEPmJS9_EEE10hipError_tPvRmT3_T4_T5_T6_T7_T9_mT8_P12ihipStream_tbDpT10_ENKUlT_T0_E_clISt17integral_constantIbLb0EES1A_EEDaS15_S16_EUlS15_E_NS1_11comp_targetILNS1_3genE3ELNS1_11target_archE908ELNS1_3gpuE7ELNS1_3repE0EEENS1_30default_config_static_selectorELNS0_4arch9wavefront6targetE0EEEvT1_.num_named_barrier, 0
	.set _ZN7rocprim17ROCPRIM_400000_NS6detail17trampoline_kernelINS0_14default_configENS1_25partition_config_selectorILNS1_17partition_subalgoE9EllbEEZZNS1_14partition_implILS5_9ELb0ES3_jPlS8_PNS0_10empty_typeENS0_5tupleIJS8_S9_EEENSB_IJS8_SA_EEENS0_18inequality_wrapperIZN2at6native12_GLOBAL__N_124unique_dim_cuda_templateIiEESt5tupleIJNSF_6TensorESK_SK_EERKSK_lbbbEUlllE0_EEPmJS9_EEE10hipError_tPvRmT3_T4_T5_T6_T7_T9_mT8_P12ihipStream_tbDpT10_ENKUlT_T0_E_clISt17integral_constantIbLb0EES1A_EEDaS15_S16_EUlS15_E_NS1_11comp_targetILNS1_3genE3ELNS1_11target_archE908ELNS1_3gpuE7ELNS1_3repE0EEENS1_30default_config_static_selectorELNS0_4arch9wavefront6targetE0EEEvT1_.private_seg_size, 0
	.set _ZN7rocprim17ROCPRIM_400000_NS6detail17trampoline_kernelINS0_14default_configENS1_25partition_config_selectorILNS1_17partition_subalgoE9EllbEEZZNS1_14partition_implILS5_9ELb0ES3_jPlS8_PNS0_10empty_typeENS0_5tupleIJS8_S9_EEENSB_IJS8_SA_EEENS0_18inequality_wrapperIZN2at6native12_GLOBAL__N_124unique_dim_cuda_templateIiEESt5tupleIJNSF_6TensorESK_SK_EERKSK_lbbbEUlllE0_EEPmJS9_EEE10hipError_tPvRmT3_T4_T5_T6_T7_T9_mT8_P12ihipStream_tbDpT10_ENKUlT_T0_E_clISt17integral_constantIbLb0EES1A_EEDaS15_S16_EUlS15_E_NS1_11comp_targetILNS1_3genE3ELNS1_11target_archE908ELNS1_3gpuE7ELNS1_3repE0EEENS1_30default_config_static_selectorELNS0_4arch9wavefront6targetE0EEEvT1_.uses_vcc, 0
	.set _ZN7rocprim17ROCPRIM_400000_NS6detail17trampoline_kernelINS0_14default_configENS1_25partition_config_selectorILNS1_17partition_subalgoE9EllbEEZZNS1_14partition_implILS5_9ELb0ES3_jPlS8_PNS0_10empty_typeENS0_5tupleIJS8_S9_EEENSB_IJS8_SA_EEENS0_18inequality_wrapperIZN2at6native12_GLOBAL__N_124unique_dim_cuda_templateIiEESt5tupleIJNSF_6TensorESK_SK_EERKSK_lbbbEUlllE0_EEPmJS9_EEE10hipError_tPvRmT3_T4_T5_T6_T7_T9_mT8_P12ihipStream_tbDpT10_ENKUlT_T0_E_clISt17integral_constantIbLb0EES1A_EEDaS15_S16_EUlS15_E_NS1_11comp_targetILNS1_3genE3ELNS1_11target_archE908ELNS1_3gpuE7ELNS1_3repE0EEENS1_30default_config_static_selectorELNS0_4arch9wavefront6targetE0EEEvT1_.uses_flat_scratch, 0
	.set _ZN7rocprim17ROCPRIM_400000_NS6detail17trampoline_kernelINS0_14default_configENS1_25partition_config_selectorILNS1_17partition_subalgoE9EllbEEZZNS1_14partition_implILS5_9ELb0ES3_jPlS8_PNS0_10empty_typeENS0_5tupleIJS8_S9_EEENSB_IJS8_SA_EEENS0_18inequality_wrapperIZN2at6native12_GLOBAL__N_124unique_dim_cuda_templateIiEESt5tupleIJNSF_6TensorESK_SK_EERKSK_lbbbEUlllE0_EEPmJS9_EEE10hipError_tPvRmT3_T4_T5_T6_T7_T9_mT8_P12ihipStream_tbDpT10_ENKUlT_T0_E_clISt17integral_constantIbLb0EES1A_EEDaS15_S16_EUlS15_E_NS1_11comp_targetILNS1_3genE3ELNS1_11target_archE908ELNS1_3gpuE7ELNS1_3repE0EEENS1_30default_config_static_selectorELNS0_4arch9wavefront6targetE0EEEvT1_.has_dyn_sized_stack, 0
	.set _ZN7rocprim17ROCPRIM_400000_NS6detail17trampoline_kernelINS0_14default_configENS1_25partition_config_selectorILNS1_17partition_subalgoE9EllbEEZZNS1_14partition_implILS5_9ELb0ES3_jPlS8_PNS0_10empty_typeENS0_5tupleIJS8_S9_EEENSB_IJS8_SA_EEENS0_18inequality_wrapperIZN2at6native12_GLOBAL__N_124unique_dim_cuda_templateIiEESt5tupleIJNSF_6TensorESK_SK_EERKSK_lbbbEUlllE0_EEPmJS9_EEE10hipError_tPvRmT3_T4_T5_T6_T7_T9_mT8_P12ihipStream_tbDpT10_ENKUlT_T0_E_clISt17integral_constantIbLb0EES1A_EEDaS15_S16_EUlS15_E_NS1_11comp_targetILNS1_3genE3ELNS1_11target_archE908ELNS1_3gpuE7ELNS1_3repE0EEENS1_30default_config_static_selectorELNS0_4arch9wavefront6targetE0EEEvT1_.has_recursion, 0
	.set _ZN7rocprim17ROCPRIM_400000_NS6detail17trampoline_kernelINS0_14default_configENS1_25partition_config_selectorILNS1_17partition_subalgoE9EllbEEZZNS1_14partition_implILS5_9ELb0ES3_jPlS8_PNS0_10empty_typeENS0_5tupleIJS8_S9_EEENSB_IJS8_SA_EEENS0_18inequality_wrapperIZN2at6native12_GLOBAL__N_124unique_dim_cuda_templateIiEESt5tupleIJNSF_6TensorESK_SK_EERKSK_lbbbEUlllE0_EEPmJS9_EEE10hipError_tPvRmT3_T4_T5_T6_T7_T9_mT8_P12ihipStream_tbDpT10_ENKUlT_T0_E_clISt17integral_constantIbLb0EES1A_EEDaS15_S16_EUlS15_E_NS1_11comp_targetILNS1_3genE3ELNS1_11target_archE908ELNS1_3gpuE7ELNS1_3repE0EEENS1_30default_config_static_selectorELNS0_4arch9wavefront6targetE0EEEvT1_.has_indirect_call, 0
	.section	.AMDGPU.csdata,"",@progbits
; Kernel info:
; codeLenInByte = 0
; TotalNumSgprs: 0
; NumVgprs: 0
; ScratchSize: 0
; MemoryBound: 0
; FloatMode: 240
; IeeeMode: 1
; LDSByteSize: 0 bytes/workgroup (compile time only)
; SGPRBlocks: 0
; VGPRBlocks: 0
; NumSGPRsForWavesPerEU: 1
; NumVGPRsForWavesPerEU: 1
; NamedBarCnt: 0
; Occupancy: 16
; WaveLimiterHint : 0
; COMPUTE_PGM_RSRC2:SCRATCH_EN: 0
; COMPUTE_PGM_RSRC2:USER_SGPR: 2
; COMPUTE_PGM_RSRC2:TRAP_HANDLER: 0
; COMPUTE_PGM_RSRC2:TGID_X_EN: 1
; COMPUTE_PGM_RSRC2:TGID_Y_EN: 0
; COMPUTE_PGM_RSRC2:TGID_Z_EN: 0
; COMPUTE_PGM_RSRC2:TIDIG_COMP_CNT: 0
	.section	.text._ZN7rocprim17ROCPRIM_400000_NS6detail17trampoline_kernelINS0_14default_configENS1_25partition_config_selectorILNS1_17partition_subalgoE9EllbEEZZNS1_14partition_implILS5_9ELb0ES3_jPlS8_PNS0_10empty_typeENS0_5tupleIJS8_S9_EEENSB_IJS8_SA_EEENS0_18inequality_wrapperIZN2at6native12_GLOBAL__N_124unique_dim_cuda_templateIiEESt5tupleIJNSF_6TensorESK_SK_EERKSK_lbbbEUlllE0_EEPmJS9_EEE10hipError_tPvRmT3_T4_T5_T6_T7_T9_mT8_P12ihipStream_tbDpT10_ENKUlT_T0_E_clISt17integral_constantIbLb0EES1A_EEDaS15_S16_EUlS15_E_NS1_11comp_targetILNS1_3genE2ELNS1_11target_archE906ELNS1_3gpuE6ELNS1_3repE0EEENS1_30default_config_static_selectorELNS0_4arch9wavefront6targetE0EEEvT1_,"axG",@progbits,_ZN7rocprim17ROCPRIM_400000_NS6detail17trampoline_kernelINS0_14default_configENS1_25partition_config_selectorILNS1_17partition_subalgoE9EllbEEZZNS1_14partition_implILS5_9ELb0ES3_jPlS8_PNS0_10empty_typeENS0_5tupleIJS8_S9_EEENSB_IJS8_SA_EEENS0_18inequality_wrapperIZN2at6native12_GLOBAL__N_124unique_dim_cuda_templateIiEESt5tupleIJNSF_6TensorESK_SK_EERKSK_lbbbEUlllE0_EEPmJS9_EEE10hipError_tPvRmT3_T4_T5_T6_T7_T9_mT8_P12ihipStream_tbDpT10_ENKUlT_T0_E_clISt17integral_constantIbLb0EES1A_EEDaS15_S16_EUlS15_E_NS1_11comp_targetILNS1_3genE2ELNS1_11target_archE906ELNS1_3gpuE6ELNS1_3repE0EEENS1_30default_config_static_selectorELNS0_4arch9wavefront6targetE0EEEvT1_,comdat
	.globl	_ZN7rocprim17ROCPRIM_400000_NS6detail17trampoline_kernelINS0_14default_configENS1_25partition_config_selectorILNS1_17partition_subalgoE9EllbEEZZNS1_14partition_implILS5_9ELb0ES3_jPlS8_PNS0_10empty_typeENS0_5tupleIJS8_S9_EEENSB_IJS8_SA_EEENS0_18inequality_wrapperIZN2at6native12_GLOBAL__N_124unique_dim_cuda_templateIiEESt5tupleIJNSF_6TensorESK_SK_EERKSK_lbbbEUlllE0_EEPmJS9_EEE10hipError_tPvRmT3_T4_T5_T6_T7_T9_mT8_P12ihipStream_tbDpT10_ENKUlT_T0_E_clISt17integral_constantIbLb0EES1A_EEDaS15_S16_EUlS15_E_NS1_11comp_targetILNS1_3genE2ELNS1_11target_archE906ELNS1_3gpuE6ELNS1_3repE0EEENS1_30default_config_static_selectorELNS0_4arch9wavefront6targetE0EEEvT1_ ; -- Begin function _ZN7rocprim17ROCPRIM_400000_NS6detail17trampoline_kernelINS0_14default_configENS1_25partition_config_selectorILNS1_17partition_subalgoE9EllbEEZZNS1_14partition_implILS5_9ELb0ES3_jPlS8_PNS0_10empty_typeENS0_5tupleIJS8_S9_EEENSB_IJS8_SA_EEENS0_18inequality_wrapperIZN2at6native12_GLOBAL__N_124unique_dim_cuda_templateIiEESt5tupleIJNSF_6TensorESK_SK_EERKSK_lbbbEUlllE0_EEPmJS9_EEE10hipError_tPvRmT3_T4_T5_T6_T7_T9_mT8_P12ihipStream_tbDpT10_ENKUlT_T0_E_clISt17integral_constantIbLb0EES1A_EEDaS15_S16_EUlS15_E_NS1_11comp_targetILNS1_3genE2ELNS1_11target_archE906ELNS1_3gpuE6ELNS1_3repE0EEENS1_30default_config_static_selectorELNS0_4arch9wavefront6targetE0EEEvT1_
	.p2align	8
	.type	_ZN7rocprim17ROCPRIM_400000_NS6detail17trampoline_kernelINS0_14default_configENS1_25partition_config_selectorILNS1_17partition_subalgoE9EllbEEZZNS1_14partition_implILS5_9ELb0ES3_jPlS8_PNS0_10empty_typeENS0_5tupleIJS8_S9_EEENSB_IJS8_SA_EEENS0_18inequality_wrapperIZN2at6native12_GLOBAL__N_124unique_dim_cuda_templateIiEESt5tupleIJNSF_6TensorESK_SK_EERKSK_lbbbEUlllE0_EEPmJS9_EEE10hipError_tPvRmT3_T4_T5_T6_T7_T9_mT8_P12ihipStream_tbDpT10_ENKUlT_T0_E_clISt17integral_constantIbLb0EES1A_EEDaS15_S16_EUlS15_E_NS1_11comp_targetILNS1_3genE2ELNS1_11target_archE906ELNS1_3gpuE6ELNS1_3repE0EEENS1_30default_config_static_selectorELNS0_4arch9wavefront6targetE0EEEvT1_,@function
_ZN7rocprim17ROCPRIM_400000_NS6detail17trampoline_kernelINS0_14default_configENS1_25partition_config_selectorILNS1_17partition_subalgoE9EllbEEZZNS1_14partition_implILS5_9ELb0ES3_jPlS8_PNS0_10empty_typeENS0_5tupleIJS8_S9_EEENSB_IJS8_SA_EEENS0_18inequality_wrapperIZN2at6native12_GLOBAL__N_124unique_dim_cuda_templateIiEESt5tupleIJNSF_6TensorESK_SK_EERKSK_lbbbEUlllE0_EEPmJS9_EEE10hipError_tPvRmT3_T4_T5_T6_T7_T9_mT8_P12ihipStream_tbDpT10_ENKUlT_T0_E_clISt17integral_constantIbLb0EES1A_EEDaS15_S16_EUlS15_E_NS1_11comp_targetILNS1_3genE2ELNS1_11target_archE906ELNS1_3gpuE6ELNS1_3repE0EEENS1_30default_config_static_selectorELNS0_4arch9wavefront6targetE0EEEvT1_: ; @_ZN7rocprim17ROCPRIM_400000_NS6detail17trampoline_kernelINS0_14default_configENS1_25partition_config_selectorILNS1_17partition_subalgoE9EllbEEZZNS1_14partition_implILS5_9ELb0ES3_jPlS8_PNS0_10empty_typeENS0_5tupleIJS8_S9_EEENSB_IJS8_SA_EEENS0_18inequality_wrapperIZN2at6native12_GLOBAL__N_124unique_dim_cuda_templateIiEESt5tupleIJNSF_6TensorESK_SK_EERKSK_lbbbEUlllE0_EEPmJS9_EEE10hipError_tPvRmT3_T4_T5_T6_T7_T9_mT8_P12ihipStream_tbDpT10_ENKUlT_T0_E_clISt17integral_constantIbLb0EES1A_EEDaS15_S16_EUlS15_E_NS1_11comp_targetILNS1_3genE2ELNS1_11target_archE906ELNS1_3gpuE6ELNS1_3repE0EEENS1_30default_config_static_selectorELNS0_4arch9wavefront6targetE0EEEvT1_
; %bb.0:
	.section	.rodata,"a",@progbits
	.p2align	6, 0x0
	.amdhsa_kernel _ZN7rocprim17ROCPRIM_400000_NS6detail17trampoline_kernelINS0_14default_configENS1_25partition_config_selectorILNS1_17partition_subalgoE9EllbEEZZNS1_14partition_implILS5_9ELb0ES3_jPlS8_PNS0_10empty_typeENS0_5tupleIJS8_S9_EEENSB_IJS8_SA_EEENS0_18inequality_wrapperIZN2at6native12_GLOBAL__N_124unique_dim_cuda_templateIiEESt5tupleIJNSF_6TensorESK_SK_EERKSK_lbbbEUlllE0_EEPmJS9_EEE10hipError_tPvRmT3_T4_T5_T6_T7_T9_mT8_P12ihipStream_tbDpT10_ENKUlT_T0_E_clISt17integral_constantIbLb0EES1A_EEDaS15_S16_EUlS15_E_NS1_11comp_targetILNS1_3genE2ELNS1_11target_archE906ELNS1_3gpuE6ELNS1_3repE0EEENS1_30default_config_static_selectorELNS0_4arch9wavefront6targetE0EEEvT1_
		.amdhsa_group_segment_fixed_size 0
		.amdhsa_private_segment_fixed_size 0
		.amdhsa_kernarg_size 120
		.amdhsa_user_sgpr_count 2
		.amdhsa_user_sgpr_dispatch_ptr 0
		.amdhsa_user_sgpr_queue_ptr 0
		.amdhsa_user_sgpr_kernarg_segment_ptr 1
		.amdhsa_user_sgpr_dispatch_id 0
		.amdhsa_user_sgpr_kernarg_preload_length 0
		.amdhsa_user_sgpr_kernarg_preload_offset 0
		.amdhsa_user_sgpr_private_segment_size 0
		.amdhsa_wavefront_size32 1
		.amdhsa_uses_dynamic_stack 0
		.amdhsa_enable_private_segment 0
		.amdhsa_system_sgpr_workgroup_id_x 1
		.amdhsa_system_sgpr_workgroup_id_y 0
		.amdhsa_system_sgpr_workgroup_id_z 0
		.amdhsa_system_sgpr_workgroup_info 0
		.amdhsa_system_vgpr_workitem_id 0
		.amdhsa_next_free_vgpr 1
		.amdhsa_next_free_sgpr 1
		.amdhsa_named_barrier_count 0
		.amdhsa_reserve_vcc 0
		.amdhsa_float_round_mode_32 0
		.amdhsa_float_round_mode_16_64 0
		.amdhsa_float_denorm_mode_32 3
		.amdhsa_float_denorm_mode_16_64 3
		.amdhsa_fp16_overflow 0
		.amdhsa_memory_ordered 1
		.amdhsa_forward_progress 1
		.amdhsa_inst_pref_size 0
		.amdhsa_round_robin_scheduling 0
		.amdhsa_exception_fp_ieee_invalid_op 0
		.amdhsa_exception_fp_denorm_src 0
		.amdhsa_exception_fp_ieee_div_zero 0
		.amdhsa_exception_fp_ieee_overflow 0
		.amdhsa_exception_fp_ieee_underflow 0
		.amdhsa_exception_fp_ieee_inexact 0
		.amdhsa_exception_int_div_zero 0
	.end_amdhsa_kernel
	.section	.text._ZN7rocprim17ROCPRIM_400000_NS6detail17trampoline_kernelINS0_14default_configENS1_25partition_config_selectorILNS1_17partition_subalgoE9EllbEEZZNS1_14partition_implILS5_9ELb0ES3_jPlS8_PNS0_10empty_typeENS0_5tupleIJS8_S9_EEENSB_IJS8_SA_EEENS0_18inequality_wrapperIZN2at6native12_GLOBAL__N_124unique_dim_cuda_templateIiEESt5tupleIJNSF_6TensorESK_SK_EERKSK_lbbbEUlllE0_EEPmJS9_EEE10hipError_tPvRmT3_T4_T5_T6_T7_T9_mT8_P12ihipStream_tbDpT10_ENKUlT_T0_E_clISt17integral_constantIbLb0EES1A_EEDaS15_S16_EUlS15_E_NS1_11comp_targetILNS1_3genE2ELNS1_11target_archE906ELNS1_3gpuE6ELNS1_3repE0EEENS1_30default_config_static_selectorELNS0_4arch9wavefront6targetE0EEEvT1_,"axG",@progbits,_ZN7rocprim17ROCPRIM_400000_NS6detail17trampoline_kernelINS0_14default_configENS1_25partition_config_selectorILNS1_17partition_subalgoE9EllbEEZZNS1_14partition_implILS5_9ELb0ES3_jPlS8_PNS0_10empty_typeENS0_5tupleIJS8_S9_EEENSB_IJS8_SA_EEENS0_18inequality_wrapperIZN2at6native12_GLOBAL__N_124unique_dim_cuda_templateIiEESt5tupleIJNSF_6TensorESK_SK_EERKSK_lbbbEUlllE0_EEPmJS9_EEE10hipError_tPvRmT3_T4_T5_T6_T7_T9_mT8_P12ihipStream_tbDpT10_ENKUlT_T0_E_clISt17integral_constantIbLb0EES1A_EEDaS15_S16_EUlS15_E_NS1_11comp_targetILNS1_3genE2ELNS1_11target_archE906ELNS1_3gpuE6ELNS1_3repE0EEENS1_30default_config_static_selectorELNS0_4arch9wavefront6targetE0EEEvT1_,comdat
.Lfunc_end477:
	.size	_ZN7rocprim17ROCPRIM_400000_NS6detail17trampoline_kernelINS0_14default_configENS1_25partition_config_selectorILNS1_17partition_subalgoE9EllbEEZZNS1_14partition_implILS5_9ELb0ES3_jPlS8_PNS0_10empty_typeENS0_5tupleIJS8_S9_EEENSB_IJS8_SA_EEENS0_18inequality_wrapperIZN2at6native12_GLOBAL__N_124unique_dim_cuda_templateIiEESt5tupleIJNSF_6TensorESK_SK_EERKSK_lbbbEUlllE0_EEPmJS9_EEE10hipError_tPvRmT3_T4_T5_T6_T7_T9_mT8_P12ihipStream_tbDpT10_ENKUlT_T0_E_clISt17integral_constantIbLb0EES1A_EEDaS15_S16_EUlS15_E_NS1_11comp_targetILNS1_3genE2ELNS1_11target_archE906ELNS1_3gpuE6ELNS1_3repE0EEENS1_30default_config_static_selectorELNS0_4arch9wavefront6targetE0EEEvT1_, .Lfunc_end477-_ZN7rocprim17ROCPRIM_400000_NS6detail17trampoline_kernelINS0_14default_configENS1_25partition_config_selectorILNS1_17partition_subalgoE9EllbEEZZNS1_14partition_implILS5_9ELb0ES3_jPlS8_PNS0_10empty_typeENS0_5tupleIJS8_S9_EEENSB_IJS8_SA_EEENS0_18inequality_wrapperIZN2at6native12_GLOBAL__N_124unique_dim_cuda_templateIiEESt5tupleIJNSF_6TensorESK_SK_EERKSK_lbbbEUlllE0_EEPmJS9_EEE10hipError_tPvRmT3_T4_T5_T6_T7_T9_mT8_P12ihipStream_tbDpT10_ENKUlT_T0_E_clISt17integral_constantIbLb0EES1A_EEDaS15_S16_EUlS15_E_NS1_11comp_targetILNS1_3genE2ELNS1_11target_archE906ELNS1_3gpuE6ELNS1_3repE0EEENS1_30default_config_static_selectorELNS0_4arch9wavefront6targetE0EEEvT1_
                                        ; -- End function
	.set _ZN7rocprim17ROCPRIM_400000_NS6detail17trampoline_kernelINS0_14default_configENS1_25partition_config_selectorILNS1_17partition_subalgoE9EllbEEZZNS1_14partition_implILS5_9ELb0ES3_jPlS8_PNS0_10empty_typeENS0_5tupleIJS8_S9_EEENSB_IJS8_SA_EEENS0_18inequality_wrapperIZN2at6native12_GLOBAL__N_124unique_dim_cuda_templateIiEESt5tupleIJNSF_6TensorESK_SK_EERKSK_lbbbEUlllE0_EEPmJS9_EEE10hipError_tPvRmT3_T4_T5_T6_T7_T9_mT8_P12ihipStream_tbDpT10_ENKUlT_T0_E_clISt17integral_constantIbLb0EES1A_EEDaS15_S16_EUlS15_E_NS1_11comp_targetILNS1_3genE2ELNS1_11target_archE906ELNS1_3gpuE6ELNS1_3repE0EEENS1_30default_config_static_selectorELNS0_4arch9wavefront6targetE0EEEvT1_.num_vgpr, 0
	.set _ZN7rocprim17ROCPRIM_400000_NS6detail17trampoline_kernelINS0_14default_configENS1_25partition_config_selectorILNS1_17partition_subalgoE9EllbEEZZNS1_14partition_implILS5_9ELb0ES3_jPlS8_PNS0_10empty_typeENS0_5tupleIJS8_S9_EEENSB_IJS8_SA_EEENS0_18inequality_wrapperIZN2at6native12_GLOBAL__N_124unique_dim_cuda_templateIiEESt5tupleIJNSF_6TensorESK_SK_EERKSK_lbbbEUlllE0_EEPmJS9_EEE10hipError_tPvRmT3_T4_T5_T6_T7_T9_mT8_P12ihipStream_tbDpT10_ENKUlT_T0_E_clISt17integral_constantIbLb0EES1A_EEDaS15_S16_EUlS15_E_NS1_11comp_targetILNS1_3genE2ELNS1_11target_archE906ELNS1_3gpuE6ELNS1_3repE0EEENS1_30default_config_static_selectorELNS0_4arch9wavefront6targetE0EEEvT1_.num_agpr, 0
	.set _ZN7rocprim17ROCPRIM_400000_NS6detail17trampoline_kernelINS0_14default_configENS1_25partition_config_selectorILNS1_17partition_subalgoE9EllbEEZZNS1_14partition_implILS5_9ELb0ES3_jPlS8_PNS0_10empty_typeENS0_5tupleIJS8_S9_EEENSB_IJS8_SA_EEENS0_18inequality_wrapperIZN2at6native12_GLOBAL__N_124unique_dim_cuda_templateIiEESt5tupleIJNSF_6TensorESK_SK_EERKSK_lbbbEUlllE0_EEPmJS9_EEE10hipError_tPvRmT3_T4_T5_T6_T7_T9_mT8_P12ihipStream_tbDpT10_ENKUlT_T0_E_clISt17integral_constantIbLb0EES1A_EEDaS15_S16_EUlS15_E_NS1_11comp_targetILNS1_3genE2ELNS1_11target_archE906ELNS1_3gpuE6ELNS1_3repE0EEENS1_30default_config_static_selectorELNS0_4arch9wavefront6targetE0EEEvT1_.numbered_sgpr, 0
	.set _ZN7rocprim17ROCPRIM_400000_NS6detail17trampoline_kernelINS0_14default_configENS1_25partition_config_selectorILNS1_17partition_subalgoE9EllbEEZZNS1_14partition_implILS5_9ELb0ES3_jPlS8_PNS0_10empty_typeENS0_5tupleIJS8_S9_EEENSB_IJS8_SA_EEENS0_18inequality_wrapperIZN2at6native12_GLOBAL__N_124unique_dim_cuda_templateIiEESt5tupleIJNSF_6TensorESK_SK_EERKSK_lbbbEUlllE0_EEPmJS9_EEE10hipError_tPvRmT3_T4_T5_T6_T7_T9_mT8_P12ihipStream_tbDpT10_ENKUlT_T0_E_clISt17integral_constantIbLb0EES1A_EEDaS15_S16_EUlS15_E_NS1_11comp_targetILNS1_3genE2ELNS1_11target_archE906ELNS1_3gpuE6ELNS1_3repE0EEENS1_30default_config_static_selectorELNS0_4arch9wavefront6targetE0EEEvT1_.num_named_barrier, 0
	.set _ZN7rocprim17ROCPRIM_400000_NS6detail17trampoline_kernelINS0_14default_configENS1_25partition_config_selectorILNS1_17partition_subalgoE9EllbEEZZNS1_14partition_implILS5_9ELb0ES3_jPlS8_PNS0_10empty_typeENS0_5tupleIJS8_S9_EEENSB_IJS8_SA_EEENS0_18inequality_wrapperIZN2at6native12_GLOBAL__N_124unique_dim_cuda_templateIiEESt5tupleIJNSF_6TensorESK_SK_EERKSK_lbbbEUlllE0_EEPmJS9_EEE10hipError_tPvRmT3_T4_T5_T6_T7_T9_mT8_P12ihipStream_tbDpT10_ENKUlT_T0_E_clISt17integral_constantIbLb0EES1A_EEDaS15_S16_EUlS15_E_NS1_11comp_targetILNS1_3genE2ELNS1_11target_archE906ELNS1_3gpuE6ELNS1_3repE0EEENS1_30default_config_static_selectorELNS0_4arch9wavefront6targetE0EEEvT1_.private_seg_size, 0
	.set _ZN7rocprim17ROCPRIM_400000_NS6detail17trampoline_kernelINS0_14default_configENS1_25partition_config_selectorILNS1_17partition_subalgoE9EllbEEZZNS1_14partition_implILS5_9ELb0ES3_jPlS8_PNS0_10empty_typeENS0_5tupleIJS8_S9_EEENSB_IJS8_SA_EEENS0_18inequality_wrapperIZN2at6native12_GLOBAL__N_124unique_dim_cuda_templateIiEESt5tupleIJNSF_6TensorESK_SK_EERKSK_lbbbEUlllE0_EEPmJS9_EEE10hipError_tPvRmT3_T4_T5_T6_T7_T9_mT8_P12ihipStream_tbDpT10_ENKUlT_T0_E_clISt17integral_constantIbLb0EES1A_EEDaS15_S16_EUlS15_E_NS1_11comp_targetILNS1_3genE2ELNS1_11target_archE906ELNS1_3gpuE6ELNS1_3repE0EEENS1_30default_config_static_selectorELNS0_4arch9wavefront6targetE0EEEvT1_.uses_vcc, 0
	.set _ZN7rocprim17ROCPRIM_400000_NS6detail17trampoline_kernelINS0_14default_configENS1_25partition_config_selectorILNS1_17partition_subalgoE9EllbEEZZNS1_14partition_implILS5_9ELb0ES3_jPlS8_PNS0_10empty_typeENS0_5tupleIJS8_S9_EEENSB_IJS8_SA_EEENS0_18inequality_wrapperIZN2at6native12_GLOBAL__N_124unique_dim_cuda_templateIiEESt5tupleIJNSF_6TensorESK_SK_EERKSK_lbbbEUlllE0_EEPmJS9_EEE10hipError_tPvRmT3_T4_T5_T6_T7_T9_mT8_P12ihipStream_tbDpT10_ENKUlT_T0_E_clISt17integral_constantIbLb0EES1A_EEDaS15_S16_EUlS15_E_NS1_11comp_targetILNS1_3genE2ELNS1_11target_archE906ELNS1_3gpuE6ELNS1_3repE0EEENS1_30default_config_static_selectorELNS0_4arch9wavefront6targetE0EEEvT1_.uses_flat_scratch, 0
	.set _ZN7rocprim17ROCPRIM_400000_NS6detail17trampoline_kernelINS0_14default_configENS1_25partition_config_selectorILNS1_17partition_subalgoE9EllbEEZZNS1_14partition_implILS5_9ELb0ES3_jPlS8_PNS0_10empty_typeENS0_5tupleIJS8_S9_EEENSB_IJS8_SA_EEENS0_18inequality_wrapperIZN2at6native12_GLOBAL__N_124unique_dim_cuda_templateIiEESt5tupleIJNSF_6TensorESK_SK_EERKSK_lbbbEUlllE0_EEPmJS9_EEE10hipError_tPvRmT3_T4_T5_T6_T7_T9_mT8_P12ihipStream_tbDpT10_ENKUlT_T0_E_clISt17integral_constantIbLb0EES1A_EEDaS15_S16_EUlS15_E_NS1_11comp_targetILNS1_3genE2ELNS1_11target_archE906ELNS1_3gpuE6ELNS1_3repE0EEENS1_30default_config_static_selectorELNS0_4arch9wavefront6targetE0EEEvT1_.has_dyn_sized_stack, 0
	.set _ZN7rocprim17ROCPRIM_400000_NS6detail17trampoline_kernelINS0_14default_configENS1_25partition_config_selectorILNS1_17partition_subalgoE9EllbEEZZNS1_14partition_implILS5_9ELb0ES3_jPlS8_PNS0_10empty_typeENS0_5tupleIJS8_S9_EEENSB_IJS8_SA_EEENS0_18inequality_wrapperIZN2at6native12_GLOBAL__N_124unique_dim_cuda_templateIiEESt5tupleIJNSF_6TensorESK_SK_EERKSK_lbbbEUlllE0_EEPmJS9_EEE10hipError_tPvRmT3_T4_T5_T6_T7_T9_mT8_P12ihipStream_tbDpT10_ENKUlT_T0_E_clISt17integral_constantIbLb0EES1A_EEDaS15_S16_EUlS15_E_NS1_11comp_targetILNS1_3genE2ELNS1_11target_archE906ELNS1_3gpuE6ELNS1_3repE0EEENS1_30default_config_static_selectorELNS0_4arch9wavefront6targetE0EEEvT1_.has_recursion, 0
	.set _ZN7rocprim17ROCPRIM_400000_NS6detail17trampoline_kernelINS0_14default_configENS1_25partition_config_selectorILNS1_17partition_subalgoE9EllbEEZZNS1_14partition_implILS5_9ELb0ES3_jPlS8_PNS0_10empty_typeENS0_5tupleIJS8_S9_EEENSB_IJS8_SA_EEENS0_18inequality_wrapperIZN2at6native12_GLOBAL__N_124unique_dim_cuda_templateIiEESt5tupleIJNSF_6TensorESK_SK_EERKSK_lbbbEUlllE0_EEPmJS9_EEE10hipError_tPvRmT3_T4_T5_T6_T7_T9_mT8_P12ihipStream_tbDpT10_ENKUlT_T0_E_clISt17integral_constantIbLb0EES1A_EEDaS15_S16_EUlS15_E_NS1_11comp_targetILNS1_3genE2ELNS1_11target_archE906ELNS1_3gpuE6ELNS1_3repE0EEENS1_30default_config_static_selectorELNS0_4arch9wavefront6targetE0EEEvT1_.has_indirect_call, 0
	.section	.AMDGPU.csdata,"",@progbits
; Kernel info:
; codeLenInByte = 0
; TotalNumSgprs: 0
; NumVgprs: 0
; ScratchSize: 0
; MemoryBound: 0
; FloatMode: 240
; IeeeMode: 1
; LDSByteSize: 0 bytes/workgroup (compile time only)
; SGPRBlocks: 0
; VGPRBlocks: 0
; NumSGPRsForWavesPerEU: 1
; NumVGPRsForWavesPerEU: 1
; NamedBarCnt: 0
; Occupancy: 16
; WaveLimiterHint : 0
; COMPUTE_PGM_RSRC2:SCRATCH_EN: 0
; COMPUTE_PGM_RSRC2:USER_SGPR: 2
; COMPUTE_PGM_RSRC2:TRAP_HANDLER: 0
; COMPUTE_PGM_RSRC2:TGID_X_EN: 1
; COMPUTE_PGM_RSRC2:TGID_Y_EN: 0
; COMPUTE_PGM_RSRC2:TGID_Z_EN: 0
; COMPUTE_PGM_RSRC2:TIDIG_COMP_CNT: 0
	.section	.text._ZN7rocprim17ROCPRIM_400000_NS6detail17trampoline_kernelINS0_14default_configENS1_25partition_config_selectorILNS1_17partition_subalgoE9EllbEEZZNS1_14partition_implILS5_9ELb0ES3_jPlS8_PNS0_10empty_typeENS0_5tupleIJS8_S9_EEENSB_IJS8_SA_EEENS0_18inequality_wrapperIZN2at6native12_GLOBAL__N_124unique_dim_cuda_templateIiEESt5tupleIJNSF_6TensorESK_SK_EERKSK_lbbbEUlllE0_EEPmJS9_EEE10hipError_tPvRmT3_T4_T5_T6_T7_T9_mT8_P12ihipStream_tbDpT10_ENKUlT_T0_E_clISt17integral_constantIbLb0EES1A_EEDaS15_S16_EUlS15_E_NS1_11comp_targetILNS1_3genE10ELNS1_11target_archE1200ELNS1_3gpuE4ELNS1_3repE0EEENS1_30default_config_static_selectorELNS0_4arch9wavefront6targetE0EEEvT1_,"axG",@progbits,_ZN7rocprim17ROCPRIM_400000_NS6detail17trampoline_kernelINS0_14default_configENS1_25partition_config_selectorILNS1_17partition_subalgoE9EllbEEZZNS1_14partition_implILS5_9ELb0ES3_jPlS8_PNS0_10empty_typeENS0_5tupleIJS8_S9_EEENSB_IJS8_SA_EEENS0_18inequality_wrapperIZN2at6native12_GLOBAL__N_124unique_dim_cuda_templateIiEESt5tupleIJNSF_6TensorESK_SK_EERKSK_lbbbEUlllE0_EEPmJS9_EEE10hipError_tPvRmT3_T4_T5_T6_T7_T9_mT8_P12ihipStream_tbDpT10_ENKUlT_T0_E_clISt17integral_constantIbLb0EES1A_EEDaS15_S16_EUlS15_E_NS1_11comp_targetILNS1_3genE10ELNS1_11target_archE1200ELNS1_3gpuE4ELNS1_3repE0EEENS1_30default_config_static_selectorELNS0_4arch9wavefront6targetE0EEEvT1_,comdat
	.globl	_ZN7rocprim17ROCPRIM_400000_NS6detail17trampoline_kernelINS0_14default_configENS1_25partition_config_selectorILNS1_17partition_subalgoE9EllbEEZZNS1_14partition_implILS5_9ELb0ES3_jPlS8_PNS0_10empty_typeENS0_5tupleIJS8_S9_EEENSB_IJS8_SA_EEENS0_18inequality_wrapperIZN2at6native12_GLOBAL__N_124unique_dim_cuda_templateIiEESt5tupleIJNSF_6TensorESK_SK_EERKSK_lbbbEUlllE0_EEPmJS9_EEE10hipError_tPvRmT3_T4_T5_T6_T7_T9_mT8_P12ihipStream_tbDpT10_ENKUlT_T0_E_clISt17integral_constantIbLb0EES1A_EEDaS15_S16_EUlS15_E_NS1_11comp_targetILNS1_3genE10ELNS1_11target_archE1200ELNS1_3gpuE4ELNS1_3repE0EEENS1_30default_config_static_selectorELNS0_4arch9wavefront6targetE0EEEvT1_ ; -- Begin function _ZN7rocprim17ROCPRIM_400000_NS6detail17trampoline_kernelINS0_14default_configENS1_25partition_config_selectorILNS1_17partition_subalgoE9EllbEEZZNS1_14partition_implILS5_9ELb0ES3_jPlS8_PNS0_10empty_typeENS0_5tupleIJS8_S9_EEENSB_IJS8_SA_EEENS0_18inequality_wrapperIZN2at6native12_GLOBAL__N_124unique_dim_cuda_templateIiEESt5tupleIJNSF_6TensorESK_SK_EERKSK_lbbbEUlllE0_EEPmJS9_EEE10hipError_tPvRmT3_T4_T5_T6_T7_T9_mT8_P12ihipStream_tbDpT10_ENKUlT_T0_E_clISt17integral_constantIbLb0EES1A_EEDaS15_S16_EUlS15_E_NS1_11comp_targetILNS1_3genE10ELNS1_11target_archE1200ELNS1_3gpuE4ELNS1_3repE0EEENS1_30default_config_static_selectorELNS0_4arch9wavefront6targetE0EEEvT1_
	.p2align	8
	.type	_ZN7rocprim17ROCPRIM_400000_NS6detail17trampoline_kernelINS0_14default_configENS1_25partition_config_selectorILNS1_17partition_subalgoE9EllbEEZZNS1_14partition_implILS5_9ELb0ES3_jPlS8_PNS0_10empty_typeENS0_5tupleIJS8_S9_EEENSB_IJS8_SA_EEENS0_18inequality_wrapperIZN2at6native12_GLOBAL__N_124unique_dim_cuda_templateIiEESt5tupleIJNSF_6TensorESK_SK_EERKSK_lbbbEUlllE0_EEPmJS9_EEE10hipError_tPvRmT3_T4_T5_T6_T7_T9_mT8_P12ihipStream_tbDpT10_ENKUlT_T0_E_clISt17integral_constantIbLb0EES1A_EEDaS15_S16_EUlS15_E_NS1_11comp_targetILNS1_3genE10ELNS1_11target_archE1200ELNS1_3gpuE4ELNS1_3repE0EEENS1_30default_config_static_selectorELNS0_4arch9wavefront6targetE0EEEvT1_,@function
_ZN7rocprim17ROCPRIM_400000_NS6detail17trampoline_kernelINS0_14default_configENS1_25partition_config_selectorILNS1_17partition_subalgoE9EllbEEZZNS1_14partition_implILS5_9ELb0ES3_jPlS8_PNS0_10empty_typeENS0_5tupleIJS8_S9_EEENSB_IJS8_SA_EEENS0_18inequality_wrapperIZN2at6native12_GLOBAL__N_124unique_dim_cuda_templateIiEESt5tupleIJNSF_6TensorESK_SK_EERKSK_lbbbEUlllE0_EEPmJS9_EEE10hipError_tPvRmT3_T4_T5_T6_T7_T9_mT8_P12ihipStream_tbDpT10_ENKUlT_T0_E_clISt17integral_constantIbLb0EES1A_EEDaS15_S16_EUlS15_E_NS1_11comp_targetILNS1_3genE10ELNS1_11target_archE1200ELNS1_3gpuE4ELNS1_3repE0EEENS1_30default_config_static_selectorELNS0_4arch9wavefront6targetE0EEEvT1_: ; @_ZN7rocprim17ROCPRIM_400000_NS6detail17trampoline_kernelINS0_14default_configENS1_25partition_config_selectorILNS1_17partition_subalgoE9EllbEEZZNS1_14partition_implILS5_9ELb0ES3_jPlS8_PNS0_10empty_typeENS0_5tupleIJS8_S9_EEENSB_IJS8_SA_EEENS0_18inequality_wrapperIZN2at6native12_GLOBAL__N_124unique_dim_cuda_templateIiEESt5tupleIJNSF_6TensorESK_SK_EERKSK_lbbbEUlllE0_EEPmJS9_EEE10hipError_tPvRmT3_T4_T5_T6_T7_T9_mT8_P12ihipStream_tbDpT10_ENKUlT_T0_E_clISt17integral_constantIbLb0EES1A_EEDaS15_S16_EUlS15_E_NS1_11comp_targetILNS1_3genE10ELNS1_11target_archE1200ELNS1_3gpuE4ELNS1_3repE0EEENS1_30default_config_static_selectorELNS0_4arch9wavefront6targetE0EEEvT1_
; %bb.0:
	.section	.rodata,"a",@progbits
	.p2align	6, 0x0
	.amdhsa_kernel _ZN7rocprim17ROCPRIM_400000_NS6detail17trampoline_kernelINS0_14default_configENS1_25partition_config_selectorILNS1_17partition_subalgoE9EllbEEZZNS1_14partition_implILS5_9ELb0ES3_jPlS8_PNS0_10empty_typeENS0_5tupleIJS8_S9_EEENSB_IJS8_SA_EEENS0_18inequality_wrapperIZN2at6native12_GLOBAL__N_124unique_dim_cuda_templateIiEESt5tupleIJNSF_6TensorESK_SK_EERKSK_lbbbEUlllE0_EEPmJS9_EEE10hipError_tPvRmT3_T4_T5_T6_T7_T9_mT8_P12ihipStream_tbDpT10_ENKUlT_T0_E_clISt17integral_constantIbLb0EES1A_EEDaS15_S16_EUlS15_E_NS1_11comp_targetILNS1_3genE10ELNS1_11target_archE1200ELNS1_3gpuE4ELNS1_3repE0EEENS1_30default_config_static_selectorELNS0_4arch9wavefront6targetE0EEEvT1_
		.amdhsa_group_segment_fixed_size 0
		.amdhsa_private_segment_fixed_size 0
		.amdhsa_kernarg_size 120
		.amdhsa_user_sgpr_count 2
		.amdhsa_user_sgpr_dispatch_ptr 0
		.amdhsa_user_sgpr_queue_ptr 0
		.amdhsa_user_sgpr_kernarg_segment_ptr 1
		.amdhsa_user_sgpr_dispatch_id 0
		.amdhsa_user_sgpr_kernarg_preload_length 0
		.amdhsa_user_sgpr_kernarg_preload_offset 0
		.amdhsa_user_sgpr_private_segment_size 0
		.amdhsa_wavefront_size32 1
		.amdhsa_uses_dynamic_stack 0
		.amdhsa_enable_private_segment 0
		.amdhsa_system_sgpr_workgroup_id_x 1
		.amdhsa_system_sgpr_workgroup_id_y 0
		.amdhsa_system_sgpr_workgroup_id_z 0
		.amdhsa_system_sgpr_workgroup_info 0
		.amdhsa_system_vgpr_workitem_id 0
		.amdhsa_next_free_vgpr 1
		.amdhsa_next_free_sgpr 1
		.amdhsa_named_barrier_count 0
		.amdhsa_reserve_vcc 0
		.amdhsa_float_round_mode_32 0
		.amdhsa_float_round_mode_16_64 0
		.amdhsa_float_denorm_mode_32 3
		.amdhsa_float_denorm_mode_16_64 3
		.amdhsa_fp16_overflow 0
		.amdhsa_memory_ordered 1
		.amdhsa_forward_progress 1
		.amdhsa_inst_pref_size 0
		.amdhsa_round_robin_scheduling 0
		.amdhsa_exception_fp_ieee_invalid_op 0
		.amdhsa_exception_fp_denorm_src 0
		.amdhsa_exception_fp_ieee_div_zero 0
		.amdhsa_exception_fp_ieee_overflow 0
		.amdhsa_exception_fp_ieee_underflow 0
		.amdhsa_exception_fp_ieee_inexact 0
		.amdhsa_exception_int_div_zero 0
	.end_amdhsa_kernel
	.section	.text._ZN7rocprim17ROCPRIM_400000_NS6detail17trampoline_kernelINS0_14default_configENS1_25partition_config_selectorILNS1_17partition_subalgoE9EllbEEZZNS1_14partition_implILS5_9ELb0ES3_jPlS8_PNS0_10empty_typeENS0_5tupleIJS8_S9_EEENSB_IJS8_SA_EEENS0_18inequality_wrapperIZN2at6native12_GLOBAL__N_124unique_dim_cuda_templateIiEESt5tupleIJNSF_6TensorESK_SK_EERKSK_lbbbEUlllE0_EEPmJS9_EEE10hipError_tPvRmT3_T4_T5_T6_T7_T9_mT8_P12ihipStream_tbDpT10_ENKUlT_T0_E_clISt17integral_constantIbLb0EES1A_EEDaS15_S16_EUlS15_E_NS1_11comp_targetILNS1_3genE10ELNS1_11target_archE1200ELNS1_3gpuE4ELNS1_3repE0EEENS1_30default_config_static_selectorELNS0_4arch9wavefront6targetE0EEEvT1_,"axG",@progbits,_ZN7rocprim17ROCPRIM_400000_NS6detail17trampoline_kernelINS0_14default_configENS1_25partition_config_selectorILNS1_17partition_subalgoE9EllbEEZZNS1_14partition_implILS5_9ELb0ES3_jPlS8_PNS0_10empty_typeENS0_5tupleIJS8_S9_EEENSB_IJS8_SA_EEENS0_18inequality_wrapperIZN2at6native12_GLOBAL__N_124unique_dim_cuda_templateIiEESt5tupleIJNSF_6TensorESK_SK_EERKSK_lbbbEUlllE0_EEPmJS9_EEE10hipError_tPvRmT3_T4_T5_T6_T7_T9_mT8_P12ihipStream_tbDpT10_ENKUlT_T0_E_clISt17integral_constantIbLb0EES1A_EEDaS15_S16_EUlS15_E_NS1_11comp_targetILNS1_3genE10ELNS1_11target_archE1200ELNS1_3gpuE4ELNS1_3repE0EEENS1_30default_config_static_selectorELNS0_4arch9wavefront6targetE0EEEvT1_,comdat
.Lfunc_end478:
	.size	_ZN7rocprim17ROCPRIM_400000_NS6detail17trampoline_kernelINS0_14default_configENS1_25partition_config_selectorILNS1_17partition_subalgoE9EllbEEZZNS1_14partition_implILS5_9ELb0ES3_jPlS8_PNS0_10empty_typeENS0_5tupleIJS8_S9_EEENSB_IJS8_SA_EEENS0_18inequality_wrapperIZN2at6native12_GLOBAL__N_124unique_dim_cuda_templateIiEESt5tupleIJNSF_6TensorESK_SK_EERKSK_lbbbEUlllE0_EEPmJS9_EEE10hipError_tPvRmT3_T4_T5_T6_T7_T9_mT8_P12ihipStream_tbDpT10_ENKUlT_T0_E_clISt17integral_constantIbLb0EES1A_EEDaS15_S16_EUlS15_E_NS1_11comp_targetILNS1_3genE10ELNS1_11target_archE1200ELNS1_3gpuE4ELNS1_3repE0EEENS1_30default_config_static_selectorELNS0_4arch9wavefront6targetE0EEEvT1_, .Lfunc_end478-_ZN7rocprim17ROCPRIM_400000_NS6detail17trampoline_kernelINS0_14default_configENS1_25partition_config_selectorILNS1_17partition_subalgoE9EllbEEZZNS1_14partition_implILS5_9ELb0ES3_jPlS8_PNS0_10empty_typeENS0_5tupleIJS8_S9_EEENSB_IJS8_SA_EEENS0_18inequality_wrapperIZN2at6native12_GLOBAL__N_124unique_dim_cuda_templateIiEESt5tupleIJNSF_6TensorESK_SK_EERKSK_lbbbEUlllE0_EEPmJS9_EEE10hipError_tPvRmT3_T4_T5_T6_T7_T9_mT8_P12ihipStream_tbDpT10_ENKUlT_T0_E_clISt17integral_constantIbLb0EES1A_EEDaS15_S16_EUlS15_E_NS1_11comp_targetILNS1_3genE10ELNS1_11target_archE1200ELNS1_3gpuE4ELNS1_3repE0EEENS1_30default_config_static_selectorELNS0_4arch9wavefront6targetE0EEEvT1_
                                        ; -- End function
	.set _ZN7rocprim17ROCPRIM_400000_NS6detail17trampoline_kernelINS0_14default_configENS1_25partition_config_selectorILNS1_17partition_subalgoE9EllbEEZZNS1_14partition_implILS5_9ELb0ES3_jPlS8_PNS0_10empty_typeENS0_5tupleIJS8_S9_EEENSB_IJS8_SA_EEENS0_18inequality_wrapperIZN2at6native12_GLOBAL__N_124unique_dim_cuda_templateIiEESt5tupleIJNSF_6TensorESK_SK_EERKSK_lbbbEUlllE0_EEPmJS9_EEE10hipError_tPvRmT3_T4_T5_T6_T7_T9_mT8_P12ihipStream_tbDpT10_ENKUlT_T0_E_clISt17integral_constantIbLb0EES1A_EEDaS15_S16_EUlS15_E_NS1_11comp_targetILNS1_3genE10ELNS1_11target_archE1200ELNS1_3gpuE4ELNS1_3repE0EEENS1_30default_config_static_selectorELNS0_4arch9wavefront6targetE0EEEvT1_.num_vgpr, 0
	.set _ZN7rocprim17ROCPRIM_400000_NS6detail17trampoline_kernelINS0_14default_configENS1_25partition_config_selectorILNS1_17partition_subalgoE9EllbEEZZNS1_14partition_implILS5_9ELb0ES3_jPlS8_PNS0_10empty_typeENS0_5tupleIJS8_S9_EEENSB_IJS8_SA_EEENS0_18inequality_wrapperIZN2at6native12_GLOBAL__N_124unique_dim_cuda_templateIiEESt5tupleIJNSF_6TensorESK_SK_EERKSK_lbbbEUlllE0_EEPmJS9_EEE10hipError_tPvRmT3_T4_T5_T6_T7_T9_mT8_P12ihipStream_tbDpT10_ENKUlT_T0_E_clISt17integral_constantIbLb0EES1A_EEDaS15_S16_EUlS15_E_NS1_11comp_targetILNS1_3genE10ELNS1_11target_archE1200ELNS1_3gpuE4ELNS1_3repE0EEENS1_30default_config_static_selectorELNS0_4arch9wavefront6targetE0EEEvT1_.num_agpr, 0
	.set _ZN7rocprim17ROCPRIM_400000_NS6detail17trampoline_kernelINS0_14default_configENS1_25partition_config_selectorILNS1_17partition_subalgoE9EllbEEZZNS1_14partition_implILS5_9ELb0ES3_jPlS8_PNS0_10empty_typeENS0_5tupleIJS8_S9_EEENSB_IJS8_SA_EEENS0_18inequality_wrapperIZN2at6native12_GLOBAL__N_124unique_dim_cuda_templateIiEESt5tupleIJNSF_6TensorESK_SK_EERKSK_lbbbEUlllE0_EEPmJS9_EEE10hipError_tPvRmT3_T4_T5_T6_T7_T9_mT8_P12ihipStream_tbDpT10_ENKUlT_T0_E_clISt17integral_constantIbLb0EES1A_EEDaS15_S16_EUlS15_E_NS1_11comp_targetILNS1_3genE10ELNS1_11target_archE1200ELNS1_3gpuE4ELNS1_3repE0EEENS1_30default_config_static_selectorELNS0_4arch9wavefront6targetE0EEEvT1_.numbered_sgpr, 0
	.set _ZN7rocprim17ROCPRIM_400000_NS6detail17trampoline_kernelINS0_14default_configENS1_25partition_config_selectorILNS1_17partition_subalgoE9EllbEEZZNS1_14partition_implILS5_9ELb0ES3_jPlS8_PNS0_10empty_typeENS0_5tupleIJS8_S9_EEENSB_IJS8_SA_EEENS0_18inequality_wrapperIZN2at6native12_GLOBAL__N_124unique_dim_cuda_templateIiEESt5tupleIJNSF_6TensorESK_SK_EERKSK_lbbbEUlllE0_EEPmJS9_EEE10hipError_tPvRmT3_T4_T5_T6_T7_T9_mT8_P12ihipStream_tbDpT10_ENKUlT_T0_E_clISt17integral_constantIbLb0EES1A_EEDaS15_S16_EUlS15_E_NS1_11comp_targetILNS1_3genE10ELNS1_11target_archE1200ELNS1_3gpuE4ELNS1_3repE0EEENS1_30default_config_static_selectorELNS0_4arch9wavefront6targetE0EEEvT1_.num_named_barrier, 0
	.set _ZN7rocprim17ROCPRIM_400000_NS6detail17trampoline_kernelINS0_14default_configENS1_25partition_config_selectorILNS1_17partition_subalgoE9EllbEEZZNS1_14partition_implILS5_9ELb0ES3_jPlS8_PNS0_10empty_typeENS0_5tupleIJS8_S9_EEENSB_IJS8_SA_EEENS0_18inequality_wrapperIZN2at6native12_GLOBAL__N_124unique_dim_cuda_templateIiEESt5tupleIJNSF_6TensorESK_SK_EERKSK_lbbbEUlllE0_EEPmJS9_EEE10hipError_tPvRmT3_T4_T5_T6_T7_T9_mT8_P12ihipStream_tbDpT10_ENKUlT_T0_E_clISt17integral_constantIbLb0EES1A_EEDaS15_S16_EUlS15_E_NS1_11comp_targetILNS1_3genE10ELNS1_11target_archE1200ELNS1_3gpuE4ELNS1_3repE0EEENS1_30default_config_static_selectorELNS0_4arch9wavefront6targetE0EEEvT1_.private_seg_size, 0
	.set _ZN7rocprim17ROCPRIM_400000_NS6detail17trampoline_kernelINS0_14default_configENS1_25partition_config_selectorILNS1_17partition_subalgoE9EllbEEZZNS1_14partition_implILS5_9ELb0ES3_jPlS8_PNS0_10empty_typeENS0_5tupleIJS8_S9_EEENSB_IJS8_SA_EEENS0_18inequality_wrapperIZN2at6native12_GLOBAL__N_124unique_dim_cuda_templateIiEESt5tupleIJNSF_6TensorESK_SK_EERKSK_lbbbEUlllE0_EEPmJS9_EEE10hipError_tPvRmT3_T4_T5_T6_T7_T9_mT8_P12ihipStream_tbDpT10_ENKUlT_T0_E_clISt17integral_constantIbLb0EES1A_EEDaS15_S16_EUlS15_E_NS1_11comp_targetILNS1_3genE10ELNS1_11target_archE1200ELNS1_3gpuE4ELNS1_3repE0EEENS1_30default_config_static_selectorELNS0_4arch9wavefront6targetE0EEEvT1_.uses_vcc, 0
	.set _ZN7rocprim17ROCPRIM_400000_NS6detail17trampoline_kernelINS0_14default_configENS1_25partition_config_selectorILNS1_17partition_subalgoE9EllbEEZZNS1_14partition_implILS5_9ELb0ES3_jPlS8_PNS0_10empty_typeENS0_5tupleIJS8_S9_EEENSB_IJS8_SA_EEENS0_18inequality_wrapperIZN2at6native12_GLOBAL__N_124unique_dim_cuda_templateIiEESt5tupleIJNSF_6TensorESK_SK_EERKSK_lbbbEUlllE0_EEPmJS9_EEE10hipError_tPvRmT3_T4_T5_T6_T7_T9_mT8_P12ihipStream_tbDpT10_ENKUlT_T0_E_clISt17integral_constantIbLb0EES1A_EEDaS15_S16_EUlS15_E_NS1_11comp_targetILNS1_3genE10ELNS1_11target_archE1200ELNS1_3gpuE4ELNS1_3repE0EEENS1_30default_config_static_selectorELNS0_4arch9wavefront6targetE0EEEvT1_.uses_flat_scratch, 0
	.set _ZN7rocprim17ROCPRIM_400000_NS6detail17trampoline_kernelINS0_14default_configENS1_25partition_config_selectorILNS1_17partition_subalgoE9EllbEEZZNS1_14partition_implILS5_9ELb0ES3_jPlS8_PNS0_10empty_typeENS0_5tupleIJS8_S9_EEENSB_IJS8_SA_EEENS0_18inequality_wrapperIZN2at6native12_GLOBAL__N_124unique_dim_cuda_templateIiEESt5tupleIJNSF_6TensorESK_SK_EERKSK_lbbbEUlllE0_EEPmJS9_EEE10hipError_tPvRmT3_T4_T5_T6_T7_T9_mT8_P12ihipStream_tbDpT10_ENKUlT_T0_E_clISt17integral_constantIbLb0EES1A_EEDaS15_S16_EUlS15_E_NS1_11comp_targetILNS1_3genE10ELNS1_11target_archE1200ELNS1_3gpuE4ELNS1_3repE0EEENS1_30default_config_static_selectorELNS0_4arch9wavefront6targetE0EEEvT1_.has_dyn_sized_stack, 0
	.set _ZN7rocprim17ROCPRIM_400000_NS6detail17trampoline_kernelINS0_14default_configENS1_25partition_config_selectorILNS1_17partition_subalgoE9EllbEEZZNS1_14partition_implILS5_9ELb0ES3_jPlS8_PNS0_10empty_typeENS0_5tupleIJS8_S9_EEENSB_IJS8_SA_EEENS0_18inequality_wrapperIZN2at6native12_GLOBAL__N_124unique_dim_cuda_templateIiEESt5tupleIJNSF_6TensorESK_SK_EERKSK_lbbbEUlllE0_EEPmJS9_EEE10hipError_tPvRmT3_T4_T5_T6_T7_T9_mT8_P12ihipStream_tbDpT10_ENKUlT_T0_E_clISt17integral_constantIbLb0EES1A_EEDaS15_S16_EUlS15_E_NS1_11comp_targetILNS1_3genE10ELNS1_11target_archE1200ELNS1_3gpuE4ELNS1_3repE0EEENS1_30default_config_static_selectorELNS0_4arch9wavefront6targetE0EEEvT1_.has_recursion, 0
	.set _ZN7rocprim17ROCPRIM_400000_NS6detail17trampoline_kernelINS0_14default_configENS1_25partition_config_selectorILNS1_17partition_subalgoE9EllbEEZZNS1_14partition_implILS5_9ELb0ES3_jPlS8_PNS0_10empty_typeENS0_5tupleIJS8_S9_EEENSB_IJS8_SA_EEENS0_18inequality_wrapperIZN2at6native12_GLOBAL__N_124unique_dim_cuda_templateIiEESt5tupleIJNSF_6TensorESK_SK_EERKSK_lbbbEUlllE0_EEPmJS9_EEE10hipError_tPvRmT3_T4_T5_T6_T7_T9_mT8_P12ihipStream_tbDpT10_ENKUlT_T0_E_clISt17integral_constantIbLb0EES1A_EEDaS15_S16_EUlS15_E_NS1_11comp_targetILNS1_3genE10ELNS1_11target_archE1200ELNS1_3gpuE4ELNS1_3repE0EEENS1_30default_config_static_selectorELNS0_4arch9wavefront6targetE0EEEvT1_.has_indirect_call, 0
	.section	.AMDGPU.csdata,"",@progbits
; Kernel info:
; codeLenInByte = 0
; TotalNumSgprs: 0
; NumVgprs: 0
; ScratchSize: 0
; MemoryBound: 0
; FloatMode: 240
; IeeeMode: 1
; LDSByteSize: 0 bytes/workgroup (compile time only)
; SGPRBlocks: 0
; VGPRBlocks: 0
; NumSGPRsForWavesPerEU: 1
; NumVGPRsForWavesPerEU: 1
; NamedBarCnt: 0
; Occupancy: 16
; WaveLimiterHint : 0
; COMPUTE_PGM_RSRC2:SCRATCH_EN: 0
; COMPUTE_PGM_RSRC2:USER_SGPR: 2
; COMPUTE_PGM_RSRC2:TRAP_HANDLER: 0
; COMPUTE_PGM_RSRC2:TGID_X_EN: 1
; COMPUTE_PGM_RSRC2:TGID_Y_EN: 0
; COMPUTE_PGM_RSRC2:TGID_Z_EN: 0
; COMPUTE_PGM_RSRC2:TIDIG_COMP_CNT: 0
	.section	.text._ZN7rocprim17ROCPRIM_400000_NS6detail17trampoline_kernelINS0_14default_configENS1_25partition_config_selectorILNS1_17partition_subalgoE9EllbEEZZNS1_14partition_implILS5_9ELb0ES3_jPlS8_PNS0_10empty_typeENS0_5tupleIJS8_S9_EEENSB_IJS8_SA_EEENS0_18inequality_wrapperIZN2at6native12_GLOBAL__N_124unique_dim_cuda_templateIiEESt5tupleIJNSF_6TensorESK_SK_EERKSK_lbbbEUlllE0_EEPmJS9_EEE10hipError_tPvRmT3_T4_T5_T6_T7_T9_mT8_P12ihipStream_tbDpT10_ENKUlT_T0_E_clISt17integral_constantIbLb0EES1A_EEDaS15_S16_EUlS15_E_NS1_11comp_targetILNS1_3genE9ELNS1_11target_archE1100ELNS1_3gpuE3ELNS1_3repE0EEENS1_30default_config_static_selectorELNS0_4arch9wavefront6targetE0EEEvT1_,"axG",@progbits,_ZN7rocprim17ROCPRIM_400000_NS6detail17trampoline_kernelINS0_14default_configENS1_25partition_config_selectorILNS1_17partition_subalgoE9EllbEEZZNS1_14partition_implILS5_9ELb0ES3_jPlS8_PNS0_10empty_typeENS0_5tupleIJS8_S9_EEENSB_IJS8_SA_EEENS0_18inequality_wrapperIZN2at6native12_GLOBAL__N_124unique_dim_cuda_templateIiEESt5tupleIJNSF_6TensorESK_SK_EERKSK_lbbbEUlllE0_EEPmJS9_EEE10hipError_tPvRmT3_T4_T5_T6_T7_T9_mT8_P12ihipStream_tbDpT10_ENKUlT_T0_E_clISt17integral_constantIbLb0EES1A_EEDaS15_S16_EUlS15_E_NS1_11comp_targetILNS1_3genE9ELNS1_11target_archE1100ELNS1_3gpuE3ELNS1_3repE0EEENS1_30default_config_static_selectorELNS0_4arch9wavefront6targetE0EEEvT1_,comdat
	.globl	_ZN7rocprim17ROCPRIM_400000_NS6detail17trampoline_kernelINS0_14default_configENS1_25partition_config_selectorILNS1_17partition_subalgoE9EllbEEZZNS1_14partition_implILS5_9ELb0ES3_jPlS8_PNS0_10empty_typeENS0_5tupleIJS8_S9_EEENSB_IJS8_SA_EEENS0_18inequality_wrapperIZN2at6native12_GLOBAL__N_124unique_dim_cuda_templateIiEESt5tupleIJNSF_6TensorESK_SK_EERKSK_lbbbEUlllE0_EEPmJS9_EEE10hipError_tPvRmT3_T4_T5_T6_T7_T9_mT8_P12ihipStream_tbDpT10_ENKUlT_T0_E_clISt17integral_constantIbLb0EES1A_EEDaS15_S16_EUlS15_E_NS1_11comp_targetILNS1_3genE9ELNS1_11target_archE1100ELNS1_3gpuE3ELNS1_3repE0EEENS1_30default_config_static_selectorELNS0_4arch9wavefront6targetE0EEEvT1_ ; -- Begin function _ZN7rocprim17ROCPRIM_400000_NS6detail17trampoline_kernelINS0_14default_configENS1_25partition_config_selectorILNS1_17partition_subalgoE9EllbEEZZNS1_14partition_implILS5_9ELb0ES3_jPlS8_PNS0_10empty_typeENS0_5tupleIJS8_S9_EEENSB_IJS8_SA_EEENS0_18inequality_wrapperIZN2at6native12_GLOBAL__N_124unique_dim_cuda_templateIiEESt5tupleIJNSF_6TensorESK_SK_EERKSK_lbbbEUlllE0_EEPmJS9_EEE10hipError_tPvRmT3_T4_T5_T6_T7_T9_mT8_P12ihipStream_tbDpT10_ENKUlT_T0_E_clISt17integral_constantIbLb0EES1A_EEDaS15_S16_EUlS15_E_NS1_11comp_targetILNS1_3genE9ELNS1_11target_archE1100ELNS1_3gpuE3ELNS1_3repE0EEENS1_30default_config_static_selectorELNS0_4arch9wavefront6targetE0EEEvT1_
	.p2align	8
	.type	_ZN7rocprim17ROCPRIM_400000_NS6detail17trampoline_kernelINS0_14default_configENS1_25partition_config_selectorILNS1_17partition_subalgoE9EllbEEZZNS1_14partition_implILS5_9ELb0ES3_jPlS8_PNS0_10empty_typeENS0_5tupleIJS8_S9_EEENSB_IJS8_SA_EEENS0_18inequality_wrapperIZN2at6native12_GLOBAL__N_124unique_dim_cuda_templateIiEESt5tupleIJNSF_6TensorESK_SK_EERKSK_lbbbEUlllE0_EEPmJS9_EEE10hipError_tPvRmT3_T4_T5_T6_T7_T9_mT8_P12ihipStream_tbDpT10_ENKUlT_T0_E_clISt17integral_constantIbLb0EES1A_EEDaS15_S16_EUlS15_E_NS1_11comp_targetILNS1_3genE9ELNS1_11target_archE1100ELNS1_3gpuE3ELNS1_3repE0EEENS1_30default_config_static_selectorELNS0_4arch9wavefront6targetE0EEEvT1_,@function
_ZN7rocprim17ROCPRIM_400000_NS6detail17trampoline_kernelINS0_14default_configENS1_25partition_config_selectorILNS1_17partition_subalgoE9EllbEEZZNS1_14partition_implILS5_9ELb0ES3_jPlS8_PNS0_10empty_typeENS0_5tupleIJS8_S9_EEENSB_IJS8_SA_EEENS0_18inequality_wrapperIZN2at6native12_GLOBAL__N_124unique_dim_cuda_templateIiEESt5tupleIJNSF_6TensorESK_SK_EERKSK_lbbbEUlllE0_EEPmJS9_EEE10hipError_tPvRmT3_T4_T5_T6_T7_T9_mT8_P12ihipStream_tbDpT10_ENKUlT_T0_E_clISt17integral_constantIbLb0EES1A_EEDaS15_S16_EUlS15_E_NS1_11comp_targetILNS1_3genE9ELNS1_11target_archE1100ELNS1_3gpuE3ELNS1_3repE0EEENS1_30default_config_static_selectorELNS0_4arch9wavefront6targetE0EEEvT1_: ; @_ZN7rocprim17ROCPRIM_400000_NS6detail17trampoline_kernelINS0_14default_configENS1_25partition_config_selectorILNS1_17partition_subalgoE9EllbEEZZNS1_14partition_implILS5_9ELb0ES3_jPlS8_PNS0_10empty_typeENS0_5tupleIJS8_S9_EEENSB_IJS8_SA_EEENS0_18inequality_wrapperIZN2at6native12_GLOBAL__N_124unique_dim_cuda_templateIiEESt5tupleIJNSF_6TensorESK_SK_EERKSK_lbbbEUlllE0_EEPmJS9_EEE10hipError_tPvRmT3_T4_T5_T6_T7_T9_mT8_P12ihipStream_tbDpT10_ENKUlT_T0_E_clISt17integral_constantIbLb0EES1A_EEDaS15_S16_EUlS15_E_NS1_11comp_targetILNS1_3genE9ELNS1_11target_archE1100ELNS1_3gpuE3ELNS1_3repE0EEENS1_30default_config_static_selectorELNS0_4arch9wavefront6targetE0EEEvT1_
; %bb.0:
	.section	.rodata,"a",@progbits
	.p2align	6, 0x0
	.amdhsa_kernel _ZN7rocprim17ROCPRIM_400000_NS6detail17trampoline_kernelINS0_14default_configENS1_25partition_config_selectorILNS1_17partition_subalgoE9EllbEEZZNS1_14partition_implILS5_9ELb0ES3_jPlS8_PNS0_10empty_typeENS0_5tupleIJS8_S9_EEENSB_IJS8_SA_EEENS0_18inequality_wrapperIZN2at6native12_GLOBAL__N_124unique_dim_cuda_templateIiEESt5tupleIJNSF_6TensorESK_SK_EERKSK_lbbbEUlllE0_EEPmJS9_EEE10hipError_tPvRmT3_T4_T5_T6_T7_T9_mT8_P12ihipStream_tbDpT10_ENKUlT_T0_E_clISt17integral_constantIbLb0EES1A_EEDaS15_S16_EUlS15_E_NS1_11comp_targetILNS1_3genE9ELNS1_11target_archE1100ELNS1_3gpuE3ELNS1_3repE0EEENS1_30default_config_static_selectorELNS0_4arch9wavefront6targetE0EEEvT1_
		.amdhsa_group_segment_fixed_size 0
		.amdhsa_private_segment_fixed_size 0
		.amdhsa_kernarg_size 120
		.amdhsa_user_sgpr_count 2
		.amdhsa_user_sgpr_dispatch_ptr 0
		.amdhsa_user_sgpr_queue_ptr 0
		.amdhsa_user_sgpr_kernarg_segment_ptr 1
		.amdhsa_user_sgpr_dispatch_id 0
		.amdhsa_user_sgpr_kernarg_preload_length 0
		.amdhsa_user_sgpr_kernarg_preload_offset 0
		.amdhsa_user_sgpr_private_segment_size 0
		.amdhsa_wavefront_size32 1
		.amdhsa_uses_dynamic_stack 0
		.amdhsa_enable_private_segment 0
		.amdhsa_system_sgpr_workgroup_id_x 1
		.amdhsa_system_sgpr_workgroup_id_y 0
		.amdhsa_system_sgpr_workgroup_id_z 0
		.amdhsa_system_sgpr_workgroup_info 0
		.amdhsa_system_vgpr_workitem_id 0
		.amdhsa_next_free_vgpr 1
		.amdhsa_next_free_sgpr 1
		.amdhsa_named_barrier_count 0
		.amdhsa_reserve_vcc 0
		.amdhsa_float_round_mode_32 0
		.amdhsa_float_round_mode_16_64 0
		.amdhsa_float_denorm_mode_32 3
		.amdhsa_float_denorm_mode_16_64 3
		.amdhsa_fp16_overflow 0
		.amdhsa_memory_ordered 1
		.amdhsa_forward_progress 1
		.amdhsa_inst_pref_size 0
		.amdhsa_round_robin_scheduling 0
		.amdhsa_exception_fp_ieee_invalid_op 0
		.amdhsa_exception_fp_denorm_src 0
		.amdhsa_exception_fp_ieee_div_zero 0
		.amdhsa_exception_fp_ieee_overflow 0
		.amdhsa_exception_fp_ieee_underflow 0
		.amdhsa_exception_fp_ieee_inexact 0
		.amdhsa_exception_int_div_zero 0
	.end_amdhsa_kernel
	.section	.text._ZN7rocprim17ROCPRIM_400000_NS6detail17trampoline_kernelINS0_14default_configENS1_25partition_config_selectorILNS1_17partition_subalgoE9EllbEEZZNS1_14partition_implILS5_9ELb0ES3_jPlS8_PNS0_10empty_typeENS0_5tupleIJS8_S9_EEENSB_IJS8_SA_EEENS0_18inequality_wrapperIZN2at6native12_GLOBAL__N_124unique_dim_cuda_templateIiEESt5tupleIJNSF_6TensorESK_SK_EERKSK_lbbbEUlllE0_EEPmJS9_EEE10hipError_tPvRmT3_T4_T5_T6_T7_T9_mT8_P12ihipStream_tbDpT10_ENKUlT_T0_E_clISt17integral_constantIbLb0EES1A_EEDaS15_S16_EUlS15_E_NS1_11comp_targetILNS1_3genE9ELNS1_11target_archE1100ELNS1_3gpuE3ELNS1_3repE0EEENS1_30default_config_static_selectorELNS0_4arch9wavefront6targetE0EEEvT1_,"axG",@progbits,_ZN7rocprim17ROCPRIM_400000_NS6detail17trampoline_kernelINS0_14default_configENS1_25partition_config_selectorILNS1_17partition_subalgoE9EllbEEZZNS1_14partition_implILS5_9ELb0ES3_jPlS8_PNS0_10empty_typeENS0_5tupleIJS8_S9_EEENSB_IJS8_SA_EEENS0_18inequality_wrapperIZN2at6native12_GLOBAL__N_124unique_dim_cuda_templateIiEESt5tupleIJNSF_6TensorESK_SK_EERKSK_lbbbEUlllE0_EEPmJS9_EEE10hipError_tPvRmT3_T4_T5_T6_T7_T9_mT8_P12ihipStream_tbDpT10_ENKUlT_T0_E_clISt17integral_constantIbLb0EES1A_EEDaS15_S16_EUlS15_E_NS1_11comp_targetILNS1_3genE9ELNS1_11target_archE1100ELNS1_3gpuE3ELNS1_3repE0EEENS1_30default_config_static_selectorELNS0_4arch9wavefront6targetE0EEEvT1_,comdat
.Lfunc_end479:
	.size	_ZN7rocprim17ROCPRIM_400000_NS6detail17trampoline_kernelINS0_14default_configENS1_25partition_config_selectorILNS1_17partition_subalgoE9EllbEEZZNS1_14partition_implILS5_9ELb0ES3_jPlS8_PNS0_10empty_typeENS0_5tupleIJS8_S9_EEENSB_IJS8_SA_EEENS0_18inequality_wrapperIZN2at6native12_GLOBAL__N_124unique_dim_cuda_templateIiEESt5tupleIJNSF_6TensorESK_SK_EERKSK_lbbbEUlllE0_EEPmJS9_EEE10hipError_tPvRmT3_T4_T5_T6_T7_T9_mT8_P12ihipStream_tbDpT10_ENKUlT_T0_E_clISt17integral_constantIbLb0EES1A_EEDaS15_S16_EUlS15_E_NS1_11comp_targetILNS1_3genE9ELNS1_11target_archE1100ELNS1_3gpuE3ELNS1_3repE0EEENS1_30default_config_static_selectorELNS0_4arch9wavefront6targetE0EEEvT1_, .Lfunc_end479-_ZN7rocprim17ROCPRIM_400000_NS6detail17trampoline_kernelINS0_14default_configENS1_25partition_config_selectorILNS1_17partition_subalgoE9EllbEEZZNS1_14partition_implILS5_9ELb0ES3_jPlS8_PNS0_10empty_typeENS0_5tupleIJS8_S9_EEENSB_IJS8_SA_EEENS0_18inequality_wrapperIZN2at6native12_GLOBAL__N_124unique_dim_cuda_templateIiEESt5tupleIJNSF_6TensorESK_SK_EERKSK_lbbbEUlllE0_EEPmJS9_EEE10hipError_tPvRmT3_T4_T5_T6_T7_T9_mT8_P12ihipStream_tbDpT10_ENKUlT_T0_E_clISt17integral_constantIbLb0EES1A_EEDaS15_S16_EUlS15_E_NS1_11comp_targetILNS1_3genE9ELNS1_11target_archE1100ELNS1_3gpuE3ELNS1_3repE0EEENS1_30default_config_static_selectorELNS0_4arch9wavefront6targetE0EEEvT1_
                                        ; -- End function
	.set _ZN7rocprim17ROCPRIM_400000_NS6detail17trampoline_kernelINS0_14default_configENS1_25partition_config_selectorILNS1_17partition_subalgoE9EllbEEZZNS1_14partition_implILS5_9ELb0ES3_jPlS8_PNS0_10empty_typeENS0_5tupleIJS8_S9_EEENSB_IJS8_SA_EEENS0_18inequality_wrapperIZN2at6native12_GLOBAL__N_124unique_dim_cuda_templateIiEESt5tupleIJNSF_6TensorESK_SK_EERKSK_lbbbEUlllE0_EEPmJS9_EEE10hipError_tPvRmT3_T4_T5_T6_T7_T9_mT8_P12ihipStream_tbDpT10_ENKUlT_T0_E_clISt17integral_constantIbLb0EES1A_EEDaS15_S16_EUlS15_E_NS1_11comp_targetILNS1_3genE9ELNS1_11target_archE1100ELNS1_3gpuE3ELNS1_3repE0EEENS1_30default_config_static_selectorELNS0_4arch9wavefront6targetE0EEEvT1_.num_vgpr, 0
	.set _ZN7rocprim17ROCPRIM_400000_NS6detail17trampoline_kernelINS0_14default_configENS1_25partition_config_selectorILNS1_17partition_subalgoE9EllbEEZZNS1_14partition_implILS5_9ELb0ES3_jPlS8_PNS0_10empty_typeENS0_5tupleIJS8_S9_EEENSB_IJS8_SA_EEENS0_18inequality_wrapperIZN2at6native12_GLOBAL__N_124unique_dim_cuda_templateIiEESt5tupleIJNSF_6TensorESK_SK_EERKSK_lbbbEUlllE0_EEPmJS9_EEE10hipError_tPvRmT3_T4_T5_T6_T7_T9_mT8_P12ihipStream_tbDpT10_ENKUlT_T0_E_clISt17integral_constantIbLb0EES1A_EEDaS15_S16_EUlS15_E_NS1_11comp_targetILNS1_3genE9ELNS1_11target_archE1100ELNS1_3gpuE3ELNS1_3repE0EEENS1_30default_config_static_selectorELNS0_4arch9wavefront6targetE0EEEvT1_.num_agpr, 0
	.set _ZN7rocprim17ROCPRIM_400000_NS6detail17trampoline_kernelINS0_14default_configENS1_25partition_config_selectorILNS1_17partition_subalgoE9EllbEEZZNS1_14partition_implILS5_9ELb0ES3_jPlS8_PNS0_10empty_typeENS0_5tupleIJS8_S9_EEENSB_IJS8_SA_EEENS0_18inequality_wrapperIZN2at6native12_GLOBAL__N_124unique_dim_cuda_templateIiEESt5tupleIJNSF_6TensorESK_SK_EERKSK_lbbbEUlllE0_EEPmJS9_EEE10hipError_tPvRmT3_T4_T5_T6_T7_T9_mT8_P12ihipStream_tbDpT10_ENKUlT_T0_E_clISt17integral_constantIbLb0EES1A_EEDaS15_S16_EUlS15_E_NS1_11comp_targetILNS1_3genE9ELNS1_11target_archE1100ELNS1_3gpuE3ELNS1_3repE0EEENS1_30default_config_static_selectorELNS0_4arch9wavefront6targetE0EEEvT1_.numbered_sgpr, 0
	.set _ZN7rocprim17ROCPRIM_400000_NS6detail17trampoline_kernelINS0_14default_configENS1_25partition_config_selectorILNS1_17partition_subalgoE9EllbEEZZNS1_14partition_implILS5_9ELb0ES3_jPlS8_PNS0_10empty_typeENS0_5tupleIJS8_S9_EEENSB_IJS8_SA_EEENS0_18inequality_wrapperIZN2at6native12_GLOBAL__N_124unique_dim_cuda_templateIiEESt5tupleIJNSF_6TensorESK_SK_EERKSK_lbbbEUlllE0_EEPmJS9_EEE10hipError_tPvRmT3_T4_T5_T6_T7_T9_mT8_P12ihipStream_tbDpT10_ENKUlT_T0_E_clISt17integral_constantIbLb0EES1A_EEDaS15_S16_EUlS15_E_NS1_11comp_targetILNS1_3genE9ELNS1_11target_archE1100ELNS1_3gpuE3ELNS1_3repE0EEENS1_30default_config_static_selectorELNS0_4arch9wavefront6targetE0EEEvT1_.num_named_barrier, 0
	.set _ZN7rocprim17ROCPRIM_400000_NS6detail17trampoline_kernelINS0_14default_configENS1_25partition_config_selectorILNS1_17partition_subalgoE9EllbEEZZNS1_14partition_implILS5_9ELb0ES3_jPlS8_PNS0_10empty_typeENS0_5tupleIJS8_S9_EEENSB_IJS8_SA_EEENS0_18inequality_wrapperIZN2at6native12_GLOBAL__N_124unique_dim_cuda_templateIiEESt5tupleIJNSF_6TensorESK_SK_EERKSK_lbbbEUlllE0_EEPmJS9_EEE10hipError_tPvRmT3_T4_T5_T6_T7_T9_mT8_P12ihipStream_tbDpT10_ENKUlT_T0_E_clISt17integral_constantIbLb0EES1A_EEDaS15_S16_EUlS15_E_NS1_11comp_targetILNS1_3genE9ELNS1_11target_archE1100ELNS1_3gpuE3ELNS1_3repE0EEENS1_30default_config_static_selectorELNS0_4arch9wavefront6targetE0EEEvT1_.private_seg_size, 0
	.set _ZN7rocprim17ROCPRIM_400000_NS6detail17trampoline_kernelINS0_14default_configENS1_25partition_config_selectorILNS1_17partition_subalgoE9EllbEEZZNS1_14partition_implILS5_9ELb0ES3_jPlS8_PNS0_10empty_typeENS0_5tupleIJS8_S9_EEENSB_IJS8_SA_EEENS0_18inequality_wrapperIZN2at6native12_GLOBAL__N_124unique_dim_cuda_templateIiEESt5tupleIJNSF_6TensorESK_SK_EERKSK_lbbbEUlllE0_EEPmJS9_EEE10hipError_tPvRmT3_T4_T5_T6_T7_T9_mT8_P12ihipStream_tbDpT10_ENKUlT_T0_E_clISt17integral_constantIbLb0EES1A_EEDaS15_S16_EUlS15_E_NS1_11comp_targetILNS1_3genE9ELNS1_11target_archE1100ELNS1_3gpuE3ELNS1_3repE0EEENS1_30default_config_static_selectorELNS0_4arch9wavefront6targetE0EEEvT1_.uses_vcc, 0
	.set _ZN7rocprim17ROCPRIM_400000_NS6detail17trampoline_kernelINS0_14default_configENS1_25partition_config_selectorILNS1_17partition_subalgoE9EllbEEZZNS1_14partition_implILS5_9ELb0ES3_jPlS8_PNS0_10empty_typeENS0_5tupleIJS8_S9_EEENSB_IJS8_SA_EEENS0_18inequality_wrapperIZN2at6native12_GLOBAL__N_124unique_dim_cuda_templateIiEESt5tupleIJNSF_6TensorESK_SK_EERKSK_lbbbEUlllE0_EEPmJS9_EEE10hipError_tPvRmT3_T4_T5_T6_T7_T9_mT8_P12ihipStream_tbDpT10_ENKUlT_T0_E_clISt17integral_constantIbLb0EES1A_EEDaS15_S16_EUlS15_E_NS1_11comp_targetILNS1_3genE9ELNS1_11target_archE1100ELNS1_3gpuE3ELNS1_3repE0EEENS1_30default_config_static_selectorELNS0_4arch9wavefront6targetE0EEEvT1_.uses_flat_scratch, 0
	.set _ZN7rocprim17ROCPRIM_400000_NS6detail17trampoline_kernelINS0_14default_configENS1_25partition_config_selectorILNS1_17partition_subalgoE9EllbEEZZNS1_14partition_implILS5_9ELb0ES3_jPlS8_PNS0_10empty_typeENS0_5tupleIJS8_S9_EEENSB_IJS8_SA_EEENS0_18inequality_wrapperIZN2at6native12_GLOBAL__N_124unique_dim_cuda_templateIiEESt5tupleIJNSF_6TensorESK_SK_EERKSK_lbbbEUlllE0_EEPmJS9_EEE10hipError_tPvRmT3_T4_T5_T6_T7_T9_mT8_P12ihipStream_tbDpT10_ENKUlT_T0_E_clISt17integral_constantIbLb0EES1A_EEDaS15_S16_EUlS15_E_NS1_11comp_targetILNS1_3genE9ELNS1_11target_archE1100ELNS1_3gpuE3ELNS1_3repE0EEENS1_30default_config_static_selectorELNS0_4arch9wavefront6targetE0EEEvT1_.has_dyn_sized_stack, 0
	.set _ZN7rocprim17ROCPRIM_400000_NS6detail17trampoline_kernelINS0_14default_configENS1_25partition_config_selectorILNS1_17partition_subalgoE9EllbEEZZNS1_14partition_implILS5_9ELb0ES3_jPlS8_PNS0_10empty_typeENS0_5tupleIJS8_S9_EEENSB_IJS8_SA_EEENS0_18inequality_wrapperIZN2at6native12_GLOBAL__N_124unique_dim_cuda_templateIiEESt5tupleIJNSF_6TensorESK_SK_EERKSK_lbbbEUlllE0_EEPmJS9_EEE10hipError_tPvRmT3_T4_T5_T6_T7_T9_mT8_P12ihipStream_tbDpT10_ENKUlT_T0_E_clISt17integral_constantIbLb0EES1A_EEDaS15_S16_EUlS15_E_NS1_11comp_targetILNS1_3genE9ELNS1_11target_archE1100ELNS1_3gpuE3ELNS1_3repE0EEENS1_30default_config_static_selectorELNS0_4arch9wavefront6targetE0EEEvT1_.has_recursion, 0
	.set _ZN7rocprim17ROCPRIM_400000_NS6detail17trampoline_kernelINS0_14default_configENS1_25partition_config_selectorILNS1_17partition_subalgoE9EllbEEZZNS1_14partition_implILS5_9ELb0ES3_jPlS8_PNS0_10empty_typeENS0_5tupleIJS8_S9_EEENSB_IJS8_SA_EEENS0_18inequality_wrapperIZN2at6native12_GLOBAL__N_124unique_dim_cuda_templateIiEESt5tupleIJNSF_6TensorESK_SK_EERKSK_lbbbEUlllE0_EEPmJS9_EEE10hipError_tPvRmT3_T4_T5_T6_T7_T9_mT8_P12ihipStream_tbDpT10_ENKUlT_T0_E_clISt17integral_constantIbLb0EES1A_EEDaS15_S16_EUlS15_E_NS1_11comp_targetILNS1_3genE9ELNS1_11target_archE1100ELNS1_3gpuE3ELNS1_3repE0EEENS1_30default_config_static_selectorELNS0_4arch9wavefront6targetE0EEEvT1_.has_indirect_call, 0
	.section	.AMDGPU.csdata,"",@progbits
; Kernel info:
; codeLenInByte = 0
; TotalNumSgprs: 0
; NumVgprs: 0
; ScratchSize: 0
; MemoryBound: 0
; FloatMode: 240
; IeeeMode: 1
; LDSByteSize: 0 bytes/workgroup (compile time only)
; SGPRBlocks: 0
; VGPRBlocks: 0
; NumSGPRsForWavesPerEU: 1
; NumVGPRsForWavesPerEU: 1
; NamedBarCnt: 0
; Occupancy: 16
; WaveLimiterHint : 0
; COMPUTE_PGM_RSRC2:SCRATCH_EN: 0
; COMPUTE_PGM_RSRC2:USER_SGPR: 2
; COMPUTE_PGM_RSRC2:TRAP_HANDLER: 0
; COMPUTE_PGM_RSRC2:TGID_X_EN: 1
; COMPUTE_PGM_RSRC2:TGID_Y_EN: 0
; COMPUTE_PGM_RSRC2:TGID_Z_EN: 0
; COMPUTE_PGM_RSRC2:TIDIG_COMP_CNT: 0
	.section	.text._ZN7rocprim17ROCPRIM_400000_NS6detail17trampoline_kernelINS0_14default_configENS1_25partition_config_selectorILNS1_17partition_subalgoE9EllbEEZZNS1_14partition_implILS5_9ELb0ES3_jPlS8_PNS0_10empty_typeENS0_5tupleIJS8_S9_EEENSB_IJS8_SA_EEENS0_18inequality_wrapperIZN2at6native12_GLOBAL__N_124unique_dim_cuda_templateIiEESt5tupleIJNSF_6TensorESK_SK_EERKSK_lbbbEUlllE0_EEPmJS9_EEE10hipError_tPvRmT3_T4_T5_T6_T7_T9_mT8_P12ihipStream_tbDpT10_ENKUlT_T0_E_clISt17integral_constantIbLb0EES1A_EEDaS15_S16_EUlS15_E_NS1_11comp_targetILNS1_3genE8ELNS1_11target_archE1030ELNS1_3gpuE2ELNS1_3repE0EEENS1_30default_config_static_selectorELNS0_4arch9wavefront6targetE0EEEvT1_,"axG",@progbits,_ZN7rocprim17ROCPRIM_400000_NS6detail17trampoline_kernelINS0_14default_configENS1_25partition_config_selectorILNS1_17partition_subalgoE9EllbEEZZNS1_14partition_implILS5_9ELb0ES3_jPlS8_PNS0_10empty_typeENS0_5tupleIJS8_S9_EEENSB_IJS8_SA_EEENS0_18inequality_wrapperIZN2at6native12_GLOBAL__N_124unique_dim_cuda_templateIiEESt5tupleIJNSF_6TensorESK_SK_EERKSK_lbbbEUlllE0_EEPmJS9_EEE10hipError_tPvRmT3_T4_T5_T6_T7_T9_mT8_P12ihipStream_tbDpT10_ENKUlT_T0_E_clISt17integral_constantIbLb0EES1A_EEDaS15_S16_EUlS15_E_NS1_11comp_targetILNS1_3genE8ELNS1_11target_archE1030ELNS1_3gpuE2ELNS1_3repE0EEENS1_30default_config_static_selectorELNS0_4arch9wavefront6targetE0EEEvT1_,comdat
	.globl	_ZN7rocprim17ROCPRIM_400000_NS6detail17trampoline_kernelINS0_14default_configENS1_25partition_config_selectorILNS1_17partition_subalgoE9EllbEEZZNS1_14partition_implILS5_9ELb0ES3_jPlS8_PNS0_10empty_typeENS0_5tupleIJS8_S9_EEENSB_IJS8_SA_EEENS0_18inequality_wrapperIZN2at6native12_GLOBAL__N_124unique_dim_cuda_templateIiEESt5tupleIJNSF_6TensorESK_SK_EERKSK_lbbbEUlllE0_EEPmJS9_EEE10hipError_tPvRmT3_T4_T5_T6_T7_T9_mT8_P12ihipStream_tbDpT10_ENKUlT_T0_E_clISt17integral_constantIbLb0EES1A_EEDaS15_S16_EUlS15_E_NS1_11comp_targetILNS1_3genE8ELNS1_11target_archE1030ELNS1_3gpuE2ELNS1_3repE0EEENS1_30default_config_static_selectorELNS0_4arch9wavefront6targetE0EEEvT1_ ; -- Begin function _ZN7rocprim17ROCPRIM_400000_NS6detail17trampoline_kernelINS0_14default_configENS1_25partition_config_selectorILNS1_17partition_subalgoE9EllbEEZZNS1_14partition_implILS5_9ELb0ES3_jPlS8_PNS0_10empty_typeENS0_5tupleIJS8_S9_EEENSB_IJS8_SA_EEENS0_18inequality_wrapperIZN2at6native12_GLOBAL__N_124unique_dim_cuda_templateIiEESt5tupleIJNSF_6TensorESK_SK_EERKSK_lbbbEUlllE0_EEPmJS9_EEE10hipError_tPvRmT3_T4_T5_T6_T7_T9_mT8_P12ihipStream_tbDpT10_ENKUlT_T0_E_clISt17integral_constantIbLb0EES1A_EEDaS15_S16_EUlS15_E_NS1_11comp_targetILNS1_3genE8ELNS1_11target_archE1030ELNS1_3gpuE2ELNS1_3repE0EEENS1_30default_config_static_selectorELNS0_4arch9wavefront6targetE0EEEvT1_
	.p2align	8
	.type	_ZN7rocprim17ROCPRIM_400000_NS6detail17trampoline_kernelINS0_14default_configENS1_25partition_config_selectorILNS1_17partition_subalgoE9EllbEEZZNS1_14partition_implILS5_9ELb0ES3_jPlS8_PNS0_10empty_typeENS0_5tupleIJS8_S9_EEENSB_IJS8_SA_EEENS0_18inequality_wrapperIZN2at6native12_GLOBAL__N_124unique_dim_cuda_templateIiEESt5tupleIJNSF_6TensorESK_SK_EERKSK_lbbbEUlllE0_EEPmJS9_EEE10hipError_tPvRmT3_T4_T5_T6_T7_T9_mT8_P12ihipStream_tbDpT10_ENKUlT_T0_E_clISt17integral_constantIbLb0EES1A_EEDaS15_S16_EUlS15_E_NS1_11comp_targetILNS1_3genE8ELNS1_11target_archE1030ELNS1_3gpuE2ELNS1_3repE0EEENS1_30default_config_static_selectorELNS0_4arch9wavefront6targetE0EEEvT1_,@function
_ZN7rocprim17ROCPRIM_400000_NS6detail17trampoline_kernelINS0_14default_configENS1_25partition_config_selectorILNS1_17partition_subalgoE9EllbEEZZNS1_14partition_implILS5_9ELb0ES3_jPlS8_PNS0_10empty_typeENS0_5tupleIJS8_S9_EEENSB_IJS8_SA_EEENS0_18inequality_wrapperIZN2at6native12_GLOBAL__N_124unique_dim_cuda_templateIiEESt5tupleIJNSF_6TensorESK_SK_EERKSK_lbbbEUlllE0_EEPmJS9_EEE10hipError_tPvRmT3_T4_T5_T6_T7_T9_mT8_P12ihipStream_tbDpT10_ENKUlT_T0_E_clISt17integral_constantIbLb0EES1A_EEDaS15_S16_EUlS15_E_NS1_11comp_targetILNS1_3genE8ELNS1_11target_archE1030ELNS1_3gpuE2ELNS1_3repE0EEENS1_30default_config_static_selectorELNS0_4arch9wavefront6targetE0EEEvT1_: ; @_ZN7rocprim17ROCPRIM_400000_NS6detail17trampoline_kernelINS0_14default_configENS1_25partition_config_selectorILNS1_17partition_subalgoE9EllbEEZZNS1_14partition_implILS5_9ELb0ES3_jPlS8_PNS0_10empty_typeENS0_5tupleIJS8_S9_EEENSB_IJS8_SA_EEENS0_18inequality_wrapperIZN2at6native12_GLOBAL__N_124unique_dim_cuda_templateIiEESt5tupleIJNSF_6TensorESK_SK_EERKSK_lbbbEUlllE0_EEPmJS9_EEE10hipError_tPvRmT3_T4_T5_T6_T7_T9_mT8_P12ihipStream_tbDpT10_ENKUlT_T0_E_clISt17integral_constantIbLb0EES1A_EEDaS15_S16_EUlS15_E_NS1_11comp_targetILNS1_3genE8ELNS1_11target_archE1030ELNS1_3gpuE2ELNS1_3repE0EEENS1_30default_config_static_selectorELNS0_4arch9wavefront6targetE0EEEvT1_
; %bb.0:
	.section	.rodata,"a",@progbits
	.p2align	6, 0x0
	.amdhsa_kernel _ZN7rocprim17ROCPRIM_400000_NS6detail17trampoline_kernelINS0_14default_configENS1_25partition_config_selectorILNS1_17partition_subalgoE9EllbEEZZNS1_14partition_implILS5_9ELb0ES3_jPlS8_PNS0_10empty_typeENS0_5tupleIJS8_S9_EEENSB_IJS8_SA_EEENS0_18inequality_wrapperIZN2at6native12_GLOBAL__N_124unique_dim_cuda_templateIiEESt5tupleIJNSF_6TensorESK_SK_EERKSK_lbbbEUlllE0_EEPmJS9_EEE10hipError_tPvRmT3_T4_T5_T6_T7_T9_mT8_P12ihipStream_tbDpT10_ENKUlT_T0_E_clISt17integral_constantIbLb0EES1A_EEDaS15_S16_EUlS15_E_NS1_11comp_targetILNS1_3genE8ELNS1_11target_archE1030ELNS1_3gpuE2ELNS1_3repE0EEENS1_30default_config_static_selectorELNS0_4arch9wavefront6targetE0EEEvT1_
		.amdhsa_group_segment_fixed_size 0
		.amdhsa_private_segment_fixed_size 0
		.amdhsa_kernarg_size 120
		.amdhsa_user_sgpr_count 2
		.amdhsa_user_sgpr_dispatch_ptr 0
		.amdhsa_user_sgpr_queue_ptr 0
		.amdhsa_user_sgpr_kernarg_segment_ptr 1
		.amdhsa_user_sgpr_dispatch_id 0
		.amdhsa_user_sgpr_kernarg_preload_length 0
		.amdhsa_user_sgpr_kernarg_preload_offset 0
		.amdhsa_user_sgpr_private_segment_size 0
		.amdhsa_wavefront_size32 1
		.amdhsa_uses_dynamic_stack 0
		.amdhsa_enable_private_segment 0
		.amdhsa_system_sgpr_workgroup_id_x 1
		.amdhsa_system_sgpr_workgroup_id_y 0
		.amdhsa_system_sgpr_workgroup_id_z 0
		.amdhsa_system_sgpr_workgroup_info 0
		.amdhsa_system_vgpr_workitem_id 0
		.amdhsa_next_free_vgpr 1
		.amdhsa_next_free_sgpr 1
		.amdhsa_named_barrier_count 0
		.amdhsa_reserve_vcc 0
		.amdhsa_float_round_mode_32 0
		.amdhsa_float_round_mode_16_64 0
		.amdhsa_float_denorm_mode_32 3
		.amdhsa_float_denorm_mode_16_64 3
		.amdhsa_fp16_overflow 0
		.amdhsa_memory_ordered 1
		.amdhsa_forward_progress 1
		.amdhsa_inst_pref_size 0
		.amdhsa_round_robin_scheduling 0
		.amdhsa_exception_fp_ieee_invalid_op 0
		.amdhsa_exception_fp_denorm_src 0
		.amdhsa_exception_fp_ieee_div_zero 0
		.amdhsa_exception_fp_ieee_overflow 0
		.amdhsa_exception_fp_ieee_underflow 0
		.amdhsa_exception_fp_ieee_inexact 0
		.amdhsa_exception_int_div_zero 0
	.end_amdhsa_kernel
	.section	.text._ZN7rocprim17ROCPRIM_400000_NS6detail17trampoline_kernelINS0_14default_configENS1_25partition_config_selectorILNS1_17partition_subalgoE9EllbEEZZNS1_14partition_implILS5_9ELb0ES3_jPlS8_PNS0_10empty_typeENS0_5tupleIJS8_S9_EEENSB_IJS8_SA_EEENS0_18inequality_wrapperIZN2at6native12_GLOBAL__N_124unique_dim_cuda_templateIiEESt5tupleIJNSF_6TensorESK_SK_EERKSK_lbbbEUlllE0_EEPmJS9_EEE10hipError_tPvRmT3_T4_T5_T6_T7_T9_mT8_P12ihipStream_tbDpT10_ENKUlT_T0_E_clISt17integral_constantIbLb0EES1A_EEDaS15_S16_EUlS15_E_NS1_11comp_targetILNS1_3genE8ELNS1_11target_archE1030ELNS1_3gpuE2ELNS1_3repE0EEENS1_30default_config_static_selectorELNS0_4arch9wavefront6targetE0EEEvT1_,"axG",@progbits,_ZN7rocprim17ROCPRIM_400000_NS6detail17trampoline_kernelINS0_14default_configENS1_25partition_config_selectorILNS1_17partition_subalgoE9EllbEEZZNS1_14partition_implILS5_9ELb0ES3_jPlS8_PNS0_10empty_typeENS0_5tupleIJS8_S9_EEENSB_IJS8_SA_EEENS0_18inequality_wrapperIZN2at6native12_GLOBAL__N_124unique_dim_cuda_templateIiEESt5tupleIJNSF_6TensorESK_SK_EERKSK_lbbbEUlllE0_EEPmJS9_EEE10hipError_tPvRmT3_T4_T5_T6_T7_T9_mT8_P12ihipStream_tbDpT10_ENKUlT_T0_E_clISt17integral_constantIbLb0EES1A_EEDaS15_S16_EUlS15_E_NS1_11comp_targetILNS1_3genE8ELNS1_11target_archE1030ELNS1_3gpuE2ELNS1_3repE0EEENS1_30default_config_static_selectorELNS0_4arch9wavefront6targetE0EEEvT1_,comdat
.Lfunc_end480:
	.size	_ZN7rocprim17ROCPRIM_400000_NS6detail17trampoline_kernelINS0_14default_configENS1_25partition_config_selectorILNS1_17partition_subalgoE9EllbEEZZNS1_14partition_implILS5_9ELb0ES3_jPlS8_PNS0_10empty_typeENS0_5tupleIJS8_S9_EEENSB_IJS8_SA_EEENS0_18inequality_wrapperIZN2at6native12_GLOBAL__N_124unique_dim_cuda_templateIiEESt5tupleIJNSF_6TensorESK_SK_EERKSK_lbbbEUlllE0_EEPmJS9_EEE10hipError_tPvRmT3_T4_T5_T6_T7_T9_mT8_P12ihipStream_tbDpT10_ENKUlT_T0_E_clISt17integral_constantIbLb0EES1A_EEDaS15_S16_EUlS15_E_NS1_11comp_targetILNS1_3genE8ELNS1_11target_archE1030ELNS1_3gpuE2ELNS1_3repE0EEENS1_30default_config_static_selectorELNS0_4arch9wavefront6targetE0EEEvT1_, .Lfunc_end480-_ZN7rocprim17ROCPRIM_400000_NS6detail17trampoline_kernelINS0_14default_configENS1_25partition_config_selectorILNS1_17partition_subalgoE9EllbEEZZNS1_14partition_implILS5_9ELb0ES3_jPlS8_PNS0_10empty_typeENS0_5tupleIJS8_S9_EEENSB_IJS8_SA_EEENS0_18inequality_wrapperIZN2at6native12_GLOBAL__N_124unique_dim_cuda_templateIiEESt5tupleIJNSF_6TensorESK_SK_EERKSK_lbbbEUlllE0_EEPmJS9_EEE10hipError_tPvRmT3_T4_T5_T6_T7_T9_mT8_P12ihipStream_tbDpT10_ENKUlT_T0_E_clISt17integral_constantIbLb0EES1A_EEDaS15_S16_EUlS15_E_NS1_11comp_targetILNS1_3genE8ELNS1_11target_archE1030ELNS1_3gpuE2ELNS1_3repE0EEENS1_30default_config_static_selectorELNS0_4arch9wavefront6targetE0EEEvT1_
                                        ; -- End function
	.set _ZN7rocprim17ROCPRIM_400000_NS6detail17trampoline_kernelINS0_14default_configENS1_25partition_config_selectorILNS1_17partition_subalgoE9EllbEEZZNS1_14partition_implILS5_9ELb0ES3_jPlS8_PNS0_10empty_typeENS0_5tupleIJS8_S9_EEENSB_IJS8_SA_EEENS0_18inequality_wrapperIZN2at6native12_GLOBAL__N_124unique_dim_cuda_templateIiEESt5tupleIJNSF_6TensorESK_SK_EERKSK_lbbbEUlllE0_EEPmJS9_EEE10hipError_tPvRmT3_T4_T5_T6_T7_T9_mT8_P12ihipStream_tbDpT10_ENKUlT_T0_E_clISt17integral_constantIbLb0EES1A_EEDaS15_S16_EUlS15_E_NS1_11comp_targetILNS1_3genE8ELNS1_11target_archE1030ELNS1_3gpuE2ELNS1_3repE0EEENS1_30default_config_static_selectorELNS0_4arch9wavefront6targetE0EEEvT1_.num_vgpr, 0
	.set _ZN7rocprim17ROCPRIM_400000_NS6detail17trampoline_kernelINS0_14default_configENS1_25partition_config_selectorILNS1_17partition_subalgoE9EllbEEZZNS1_14partition_implILS5_9ELb0ES3_jPlS8_PNS0_10empty_typeENS0_5tupleIJS8_S9_EEENSB_IJS8_SA_EEENS0_18inequality_wrapperIZN2at6native12_GLOBAL__N_124unique_dim_cuda_templateIiEESt5tupleIJNSF_6TensorESK_SK_EERKSK_lbbbEUlllE0_EEPmJS9_EEE10hipError_tPvRmT3_T4_T5_T6_T7_T9_mT8_P12ihipStream_tbDpT10_ENKUlT_T0_E_clISt17integral_constantIbLb0EES1A_EEDaS15_S16_EUlS15_E_NS1_11comp_targetILNS1_3genE8ELNS1_11target_archE1030ELNS1_3gpuE2ELNS1_3repE0EEENS1_30default_config_static_selectorELNS0_4arch9wavefront6targetE0EEEvT1_.num_agpr, 0
	.set _ZN7rocprim17ROCPRIM_400000_NS6detail17trampoline_kernelINS0_14default_configENS1_25partition_config_selectorILNS1_17partition_subalgoE9EllbEEZZNS1_14partition_implILS5_9ELb0ES3_jPlS8_PNS0_10empty_typeENS0_5tupleIJS8_S9_EEENSB_IJS8_SA_EEENS0_18inequality_wrapperIZN2at6native12_GLOBAL__N_124unique_dim_cuda_templateIiEESt5tupleIJNSF_6TensorESK_SK_EERKSK_lbbbEUlllE0_EEPmJS9_EEE10hipError_tPvRmT3_T4_T5_T6_T7_T9_mT8_P12ihipStream_tbDpT10_ENKUlT_T0_E_clISt17integral_constantIbLb0EES1A_EEDaS15_S16_EUlS15_E_NS1_11comp_targetILNS1_3genE8ELNS1_11target_archE1030ELNS1_3gpuE2ELNS1_3repE0EEENS1_30default_config_static_selectorELNS0_4arch9wavefront6targetE0EEEvT1_.numbered_sgpr, 0
	.set _ZN7rocprim17ROCPRIM_400000_NS6detail17trampoline_kernelINS0_14default_configENS1_25partition_config_selectorILNS1_17partition_subalgoE9EllbEEZZNS1_14partition_implILS5_9ELb0ES3_jPlS8_PNS0_10empty_typeENS0_5tupleIJS8_S9_EEENSB_IJS8_SA_EEENS0_18inequality_wrapperIZN2at6native12_GLOBAL__N_124unique_dim_cuda_templateIiEESt5tupleIJNSF_6TensorESK_SK_EERKSK_lbbbEUlllE0_EEPmJS9_EEE10hipError_tPvRmT3_T4_T5_T6_T7_T9_mT8_P12ihipStream_tbDpT10_ENKUlT_T0_E_clISt17integral_constantIbLb0EES1A_EEDaS15_S16_EUlS15_E_NS1_11comp_targetILNS1_3genE8ELNS1_11target_archE1030ELNS1_3gpuE2ELNS1_3repE0EEENS1_30default_config_static_selectorELNS0_4arch9wavefront6targetE0EEEvT1_.num_named_barrier, 0
	.set _ZN7rocprim17ROCPRIM_400000_NS6detail17trampoline_kernelINS0_14default_configENS1_25partition_config_selectorILNS1_17partition_subalgoE9EllbEEZZNS1_14partition_implILS5_9ELb0ES3_jPlS8_PNS0_10empty_typeENS0_5tupleIJS8_S9_EEENSB_IJS8_SA_EEENS0_18inequality_wrapperIZN2at6native12_GLOBAL__N_124unique_dim_cuda_templateIiEESt5tupleIJNSF_6TensorESK_SK_EERKSK_lbbbEUlllE0_EEPmJS9_EEE10hipError_tPvRmT3_T4_T5_T6_T7_T9_mT8_P12ihipStream_tbDpT10_ENKUlT_T0_E_clISt17integral_constantIbLb0EES1A_EEDaS15_S16_EUlS15_E_NS1_11comp_targetILNS1_3genE8ELNS1_11target_archE1030ELNS1_3gpuE2ELNS1_3repE0EEENS1_30default_config_static_selectorELNS0_4arch9wavefront6targetE0EEEvT1_.private_seg_size, 0
	.set _ZN7rocprim17ROCPRIM_400000_NS6detail17trampoline_kernelINS0_14default_configENS1_25partition_config_selectorILNS1_17partition_subalgoE9EllbEEZZNS1_14partition_implILS5_9ELb0ES3_jPlS8_PNS0_10empty_typeENS0_5tupleIJS8_S9_EEENSB_IJS8_SA_EEENS0_18inequality_wrapperIZN2at6native12_GLOBAL__N_124unique_dim_cuda_templateIiEESt5tupleIJNSF_6TensorESK_SK_EERKSK_lbbbEUlllE0_EEPmJS9_EEE10hipError_tPvRmT3_T4_T5_T6_T7_T9_mT8_P12ihipStream_tbDpT10_ENKUlT_T0_E_clISt17integral_constantIbLb0EES1A_EEDaS15_S16_EUlS15_E_NS1_11comp_targetILNS1_3genE8ELNS1_11target_archE1030ELNS1_3gpuE2ELNS1_3repE0EEENS1_30default_config_static_selectorELNS0_4arch9wavefront6targetE0EEEvT1_.uses_vcc, 0
	.set _ZN7rocprim17ROCPRIM_400000_NS6detail17trampoline_kernelINS0_14default_configENS1_25partition_config_selectorILNS1_17partition_subalgoE9EllbEEZZNS1_14partition_implILS5_9ELb0ES3_jPlS8_PNS0_10empty_typeENS0_5tupleIJS8_S9_EEENSB_IJS8_SA_EEENS0_18inequality_wrapperIZN2at6native12_GLOBAL__N_124unique_dim_cuda_templateIiEESt5tupleIJNSF_6TensorESK_SK_EERKSK_lbbbEUlllE0_EEPmJS9_EEE10hipError_tPvRmT3_T4_T5_T6_T7_T9_mT8_P12ihipStream_tbDpT10_ENKUlT_T0_E_clISt17integral_constantIbLb0EES1A_EEDaS15_S16_EUlS15_E_NS1_11comp_targetILNS1_3genE8ELNS1_11target_archE1030ELNS1_3gpuE2ELNS1_3repE0EEENS1_30default_config_static_selectorELNS0_4arch9wavefront6targetE0EEEvT1_.uses_flat_scratch, 0
	.set _ZN7rocprim17ROCPRIM_400000_NS6detail17trampoline_kernelINS0_14default_configENS1_25partition_config_selectorILNS1_17partition_subalgoE9EllbEEZZNS1_14partition_implILS5_9ELb0ES3_jPlS8_PNS0_10empty_typeENS0_5tupleIJS8_S9_EEENSB_IJS8_SA_EEENS0_18inequality_wrapperIZN2at6native12_GLOBAL__N_124unique_dim_cuda_templateIiEESt5tupleIJNSF_6TensorESK_SK_EERKSK_lbbbEUlllE0_EEPmJS9_EEE10hipError_tPvRmT3_T4_T5_T6_T7_T9_mT8_P12ihipStream_tbDpT10_ENKUlT_T0_E_clISt17integral_constantIbLb0EES1A_EEDaS15_S16_EUlS15_E_NS1_11comp_targetILNS1_3genE8ELNS1_11target_archE1030ELNS1_3gpuE2ELNS1_3repE0EEENS1_30default_config_static_selectorELNS0_4arch9wavefront6targetE0EEEvT1_.has_dyn_sized_stack, 0
	.set _ZN7rocprim17ROCPRIM_400000_NS6detail17trampoline_kernelINS0_14default_configENS1_25partition_config_selectorILNS1_17partition_subalgoE9EllbEEZZNS1_14partition_implILS5_9ELb0ES3_jPlS8_PNS0_10empty_typeENS0_5tupleIJS8_S9_EEENSB_IJS8_SA_EEENS0_18inequality_wrapperIZN2at6native12_GLOBAL__N_124unique_dim_cuda_templateIiEESt5tupleIJNSF_6TensorESK_SK_EERKSK_lbbbEUlllE0_EEPmJS9_EEE10hipError_tPvRmT3_T4_T5_T6_T7_T9_mT8_P12ihipStream_tbDpT10_ENKUlT_T0_E_clISt17integral_constantIbLb0EES1A_EEDaS15_S16_EUlS15_E_NS1_11comp_targetILNS1_3genE8ELNS1_11target_archE1030ELNS1_3gpuE2ELNS1_3repE0EEENS1_30default_config_static_selectorELNS0_4arch9wavefront6targetE0EEEvT1_.has_recursion, 0
	.set _ZN7rocprim17ROCPRIM_400000_NS6detail17trampoline_kernelINS0_14default_configENS1_25partition_config_selectorILNS1_17partition_subalgoE9EllbEEZZNS1_14partition_implILS5_9ELb0ES3_jPlS8_PNS0_10empty_typeENS0_5tupleIJS8_S9_EEENSB_IJS8_SA_EEENS0_18inequality_wrapperIZN2at6native12_GLOBAL__N_124unique_dim_cuda_templateIiEESt5tupleIJNSF_6TensorESK_SK_EERKSK_lbbbEUlllE0_EEPmJS9_EEE10hipError_tPvRmT3_T4_T5_T6_T7_T9_mT8_P12ihipStream_tbDpT10_ENKUlT_T0_E_clISt17integral_constantIbLb0EES1A_EEDaS15_S16_EUlS15_E_NS1_11comp_targetILNS1_3genE8ELNS1_11target_archE1030ELNS1_3gpuE2ELNS1_3repE0EEENS1_30default_config_static_selectorELNS0_4arch9wavefront6targetE0EEEvT1_.has_indirect_call, 0
	.section	.AMDGPU.csdata,"",@progbits
; Kernel info:
; codeLenInByte = 0
; TotalNumSgprs: 0
; NumVgprs: 0
; ScratchSize: 0
; MemoryBound: 0
; FloatMode: 240
; IeeeMode: 1
; LDSByteSize: 0 bytes/workgroup (compile time only)
; SGPRBlocks: 0
; VGPRBlocks: 0
; NumSGPRsForWavesPerEU: 1
; NumVGPRsForWavesPerEU: 1
; NamedBarCnt: 0
; Occupancy: 16
; WaveLimiterHint : 0
; COMPUTE_PGM_RSRC2:SCRATCH_EN: 0
; COMPUTE_PGM_RSRC2:USER_SGPR: 2
; COMPUTE_PGM_RSRC2:TRAP_HANDLER: 0
; COMPUTE_PGM_RSRC2:TGID_X_EN: 1
; COMPUTE_PGM_RSRC2:TGID_Y_EN: 0
; COMPUTE_PGM_RSRC2:TGID_Z_EN: 0
; COMPUTE_PGM_RSRC2:TIDIG_COMP_CNT: 0
	.section	.text._ZN7rocprim17ROCPRIM_400000_NS6detail17trampoline_kernelINS0_14default_configENS1_25partition_config_selectorILNS1_17partition_subalgoE9EllbEEZZNS1_14partition_implILS5_9ELb0ES3_jPlS8_PNS0_10empty_typeENS0_5tupleIJS8_S9_EEENSB_IJS8_SA_EEENS0_18inequality_wrapperIZN2at6native12_GLOBAL__N_124unique_dim_cuda_templateIiEESt5tupleIJNSF_6TensorESK_SK_EERKSK_lbbbEUlllE0_EEPmJS9_EEE10hipError_tPvRmT3_T4_T5_T6_T7_T9_mT8_P12ihipStream_tbDpT10_ENKUlT_T0_E_clISt17integral_constantIbLb1EES1A_EEDaS15_S16_EUlS15_E_NS1_11comp_targetILNS1_3genE0ELNS1_11target_archE4294967295ELNS1_3gpuE0ELNS1_3repE0EEENS1_30default_config_static_selectorELNS0_4arch9wavefront6targetE0EEEvT1_,"axG",@progbits,_ZN7rocprim17ROCPRIM_400000_NS6detail17trampoline_kernelINS0_14default_configENS1_25partition_config_selectorILNS1_17partition_subalgoE9EllbEEZZNS1_14partition_implILS5_9ELb0ES3_jPlS8_PNS0_10empty_typeENS0_5tupleIJS8_S9_EEENSB_IJS8_SA_EEENS0_18inequality_wrapperIZN2at6native12_GLOBAL__N_124unique_dim_cuda_templateIiEESt5tupleIJNSF_6TensorESK_SK_EERKSK_lbbbEUlllE0_EEPmJS9_EEE10hipError_tPvRmT3_T4_T5_T6_T7_T9_mT8_P12ihipStream_tbDpT10_ENKUlT_T0_E_clISt17integral_constantIbLb1EES1A_EEDaS15_S16_EUlS15_E_NS1_11comp_targetILNS1_3genE0ELNS1_11target_archE4294967295ELNS1_3gpuE0ELNS1_3repE0EEENS1_30default_config_static_selectorELNS0_4arch9wavefront6targetE0EEEvT1_,comdat
	.globl	_ZN7rocprim17ROCPRIM_400000_NS6detail17trampoline_kernelINS0_14default_configENS1_25partition_config_selectorILNS1_17partition_subalgoE9EllbEEZZNS1_14partition_implILS5_9ELb0ES3_jPlS8_PNS0_10empty_typeENS0_5tupleIJS8_S9_EEENSB_IJS8_SA_EEENS0_18inequality_wrapperIZN2at6native12_GLOBAL__N_124unique_dim_cuda_templateIiEESt5tupleIJNSF_6TensorESK_SK_EERKSK_lbbbEUlllE0_EEPmJS9_EEE10hipError_tPvRmT3_T4_T5_T6_T7_T9_mT8_P12ihipStream_tbDpT10_ENKUlT_T0_E_clISt17integral_constantIbLb1EES1A_EEDaS15_S16_EUlS15_E_NS1_11comp_targetILNS1_3genE0ELNS1_11target_archE4294967295ELNS1_3gpuE0ELNS1_3repE0EEENS1_30default_config_static_selectorELNS0_4arch9wavefront6targetE0EEEvT1_ ; -- Begin function _ZN7rocprim17ROCPRIM_400000_NS6detail17trampoline_kernelINS0_14default_configENS1_25partition_config_selectorILNS1_17partition_subalgoE9EllbEEZZNS1_14partition_implILS5_9ELb0ES3_jPlS8_PNS0_10empty_typeENS0_5tupleIJS8_S9_EEENSB_IJS8_SA_EEENS0_18inequality_wrapperIZN2at6native12_GLOBAL__N_124unique_dim_cuda_templateIiEESt5tupleIJNSF_6TensorESK_SK_EERKSK_lbbbEUlllE0_EEPmJS9_EEE10hipError_tPvRmT3_T4_T5_T6_T7_T9_mT8_P12ihipStream_tbDpT10_ENKUlT_T0_E_clISt17integral_constantIbLb1EES1A_EEDaS15_S16_EUlS15_E_NS1_11comp_targetILNS1_3genE0ELNS1_11target_archE4294967295ELNS1_3gpuE0ELNS1_3repE0EEENS1_30default_config_static_selectorELNS0_4arch9wavefront6targetE0EEEvT1_
	.p2align	8
	.type	_ZN7rocprim17ROCPRIM_400000_NS6detail17trampoline_kernelINS0_14default_configENS1_25partition_config_selectorILNS1_17partition_subalgoE9EllbEEZZNS1_14partition_implILS5_9ELb0ES3_jPlS8_PNS0_10empty_typeENS0_5tupleIJS8_S9_EEENSB_IJS8_SA_EEENS0_18inequality_wrapperIZN2at6native12_GLOBAL__N_124unique_dim_cuda_templateIiEESt5tupleIJNSF_6TensorESK_SK_EERKSK_lbbbEUlllE0_EEPmJS9_EEE10hipError_tPvRmT3_T4_T5_T6_T7_T9_mT8_P12ihipStream_tbDpT10_ENKUlT_T0_E_clISt17integral_constantIbLb1EES1A_EEDaS15_S16_EUlS15_E_NS1_11comp_targetILNS1_3genE0ELNS1_11target_archE4294967295ELNS1_3gpuE0ELNS1_3repE0EEENS1_30default_config_static_selectorELNS0_4arch9wavefront6targetE0EEEvT1_,@function
_ZN7rocprim17ROCPRIM_400000_NS6detail17trampoline_kernelINS0_14default_configENS1_25partition_config_selectorILNS1_17partition_subalgoE9EllbEEZZNS1_14partition_implILS5_9ELb0ES3_jPlS8_PNS0_10empty_typeENS0_5tupleIJS8_S9_EEENSB_IJS8_SA_EEENS0_18inequality_wrapperIZN2at6native12_GLOBAL__N_124unique_dim_cuda_templateIiEESt5tupleIJNSF_6TensorESK_SK_EERKSK_lbbbEUlllE0_EEPmJS9_EEE10hipError_tPvRmT3_T4_T5_T6_T7_T9_mT8_P12ihipStream_tbDpT10_ENKUlT_T0_E_clISt17integral_constantIbLb1EES1A_EEDaS15_S16_EUlS15_E_NS1_11comp_targetILNS1_3genE0ELNS1_11target_archE4294967295ELNS1_3gpuE0ELNS1_3repE0EEENS1_30default_config_static_selectorELNS0_4arch9wavefront6targetE0EEEvT1_: ; @_ZN7rocprim17ROCPRIM_400000_NS6detail17trampoline_kernelINS0_14default_configENS1_25partition_config_selectorILNS1_17partition_subalgoE9EllbEEZZNS1_14partition_implILS5_9ELb0ES3_jPlS8_PNS0_10empty_typeENS0_5tupleIJS8_S9_EEENSB_IJS8_SA_EEENS0_18inequality_wrapperIZN2at6native12_GLOBAL__N_124unique_dim_cuda_templateIiEESt5tupleIJNSF_6TensorESK_SK_EERKSK_lbbbEUlllE0_EEPmJS9_EEE10hipError_tPvRmT3_T4_T5_T6_T7_T9_mT8_P12ihipStream_tbDpT10_ENKUlT_T0_E_clISt17integral_constantIbLb1EES1A_EEDaS15_S16_EUlS15_E_NS1_11comp_targetILNS1_3genE0ELNS1_11target_archE4294967295ELNS1_3gpuE0ELNS1_3repE0EEENS1_30default_config_static_selectorELNS0_4arch9wavefront6targetE0EEEvT1_
; %bb.0:
	s_endpgm
	.section	.rodata,"a",@progbits
	.p2align	6, 0x0
	.amdhsa_kernel _ZN7rocprim17ROCPRIM_400000_NS6detail17trampoline_kernelINS0_14default_configENS1_25partition_config_selectorILNS1_17partition_subalgoE9EllbEEZZNS1_14partition_implILS5_9ELb0ES3_jPlS8_PNS0_10empty_typeENS0_5tupleIJS8_S9_EEENSB_IJS8_SA_EEENS0_18inequality_wrapperIZN2at6native12_GLOBAL__N_124unique_dim_cuda_templateIiEESt5tupleIJNSF_6TensorESK_SK_EERKSK_lbbbEUlllE0_EEPmJS9_EEE10hipError_tPvRmT3_T4_T5_T6_T7_T9_mT8_P12ihipStream_tbDpT10_ENKUlT_T0_E_clISt17integral_constantIbLb1EES1A_EEDaS15_S16_EUlS15_E_NS1_11comp_targetILNS1_3genE0ELNS1_11target_archE4294967295ELNS1_3gpuE0ELNS1_3repE0EEENS1_30default_config_static_selectorELNS0_4arch9wavefront6targetE0EEEvT1_
		.amdhsa_group_segment_fixed_size 0
		.amdhsa_private_segment_fixed_size 0
		.amdhsa_kernarg_size 136
		.amdhsa_user_sgpr_count 2
		.amdhsa_user_sgpr_dispatch_ptr 0
		.amdhsa_user_sgpr_queue_ptr 0
		.amdhsa_user_sgpr_kernarg_segment_ptr 1
		.amdhsa_user_sgpr_dispatch_id 0
		.amdhsa_user_sgpr_kernarg_preload_length 0
		.amdhsa_user_sgpr_kernarg_preload_offset 0
		.amdhsa_user_sgpr_private_segment_size 0
		.amdhsa_wavefront_size32 1
		.amdhsa_uses_dynamic_stack 0
		.amdhsa_enable_private_segment 0
		.amdhsa_system_sgpr_workgroup_id_x 1
		.amdhsa_system_sgpr_workgroup_id_y 0
		.amdhsa_system_sgpr_workgroup_id_z 0
		.amdhsa_system_sgpr_workgroup_info 0
		.amdhsa_system_vgpr_workitem_id 0
		.amdhsa_next_free_vgpr 1
		.amdhsa_next_free_sgpr 1
		.amdhsa_named_barrier_count 0
		.amdhsa_reserve_vcc 0
		.amdhsa_float_round_mode_32 0
		.amdhsa_float_round_mode_16_64 0
		.amdhsa_float_denorm_mode_32 3
		.amdhsa_float_denorm_mode_16_64 3
		.amdhsa_fp16_overflow 0
		.amdhsa_memory_ordered 1
		.amdhsa_forward_progress 1
		.amdhsa_inst_pref_size 1
		.amdhsa_round_robin_scheduling 0
		.amdhsa_exception_fp_ieee_invalid_op 0
		.amdhsa_exception_fp_denorm_src 0
		.amdhsa_exception_fp_ieee_div_zero 0
		.amdhsa_exception_fp_ieee_overflow 0
		.amdhsa_exception_fp_ieee_underflow 0
		.amdhsa_exception_fp_ieee_inexact 0
		.amdhsa_exception_int_div_zero 0
	.end_amdhsa_kernel
	.section	.text._ZN7rocprim17ROCPRIM_400000_NS6detail17trampoline_kernelINS0_14default_configENS1_25partition_config_selectorILNS1_17partition_subalgoE9EllbEEZZNS1_14partition_implILS5_9ELb0ES3_jPlS8_PNS0_10empty_typeENS0_5tupleIJS8_S9_EEENSB_IJS8_SA_EEENS0_18inequality_wrapperIZN2at6native12_GLOBAL__N_124unique_dim_cuda_templateIiEESt5tupleIJNSF_6TensorESK_SK_EERKSK_lbbbEUlllE0_EEPmJS9_EEE10hipError_tPvRmT3_T4_T5_T6_T7_T9_mT8_P12ihipStream_tbDpT10_ENKUlT_T0_E_clISt17integral_constantIbLb1EES1A_EEDaS15_S16_EUlS15_E_NS1_11comp_targetILNS1_3genE0ELNS1_11target_archE4294967295ELNS1_3gpuE0ELNS1_3repE0EEENS1_30default_config_static_selectorELNS0_4arch9wavefront6targetE0EEEvT1_,"axG",@progbits,_ZN7rocprim17ROCPRIM_400000_NS6detail17trampoline_kernelINS0_14default_configENS1_25partition_config_selectorILNS1_17partition_subalgoE9EllbEEZZNS1_14partition_implILS5_9ELb0ES3_jPlS8_PNS0_10empty_typeENS0_5tupleIJS8_S9_EEENSB_IJS8_SA_EEENS0_18inequality_wrapperIZN2at6native12_GLOBAL__N_124unique_dim_cuda_templateIiEESt5tupleIJNSF_6TensorESK_SK_EERKSK_lbbbEUlllE0_EEPmJS9_EEE10hipError_tPvRmT3_T4_T5_T6_T7_T9_mT8_P12ihipStream_tbDpT10_ENKUlT_T0_E_clISt17integral_constantIbLb1EES1A_EEDaS15_S16_EUlS15_E_NS1_11comp_targetILNS1_3genE0ELNS1_11target_archE4294967295ELNS1_3gpuE0ELNS1_3repE0EEENS1_30default_config_static_selectorELNS0_4arch9wavefront6targetE0EEEvT1_,comdat
.Lfunc_end481:
	.size	_ZN7rocprim17ROCPRIM_400000_NS6detail17trampoline_kernelINS0_14default_configENS1_25partition_config_selectorILNS1_17partition_subalgoE9EllbEEZZNS1_14partition_implILS5_9ELb0ES3_jPlS8_PNS0_10empty_typeENS0_5tupleIJS8_S9_EEENSB_IJS8_SA_EEENS0_18inequality_wrapperIZN2at6native12_GLOBAL__N_124unique_dim_cuda_templateIiEESt5tupleIJNSF_6TensorESK_SK_EERKSK_lbbbEUlllE0_EEPmJS9_EEE10hipError_tPvRmT3_T4_T5_T6_T7_T9_mT8_P12ihipStream_tbDpT10_ENKUlT_T0_E_clISt17integral_constantIbLb1EES1A_EEDaS15_S16_EUlS15_E_NS1_11comp_targetILNS1_3genE0ELNS1_11target_archE4294967295ELNS1_3gpuE0ELNS1_3repE0EEENS1_30default_config_static_selectorELNS0_4arch9wavefront6targetE0EEEvT1_, .Lfunc_end481-_ZN7rocprim17ROCPRIM_400000_NS6detail17trampoline_kernelINS0_14default_configENS1_25partition_config_selectorILNS1_17partition_subalgoE9EllbEEZZNS1_14partition_implILS5_9ELb0ES3_jPlS8_PNS0_10empty_typeENS0_5tupleIJS8_S9_EEENSB_IJS8_SA_EEENS0_18inequality_wrapperIZN2at6native12_GLOBAL__N_124unique_dim_cuda_templateIiEESt5tupleIJNSF_6TensorESK_SK_EERKSK_lbbbEUlllE0_EEPmJS9_EEE10hipError_tPvRmT3_T4_T5_T6_T7_T9_mT8_P12ihipStream_tbDpT10_ENKUlT_T0_E_clISt17integral_constantIbLb1EES1A_EEDaS15_S16_EUlS15_E_NS1_11comp_targetILNS1_3genE0ELNS1_11target_archE4294967295ELNS1_3gpuE0ELNS1_3repE0EEENS1_30default_config_static_selectorELNS0_4arch9wavefront6targetE0EEEvT1_
                                        ; -- End function
	.set _ZN7rocprim17ROCPRIM_400000_NS6detail17trampoline_kernelINS0_14default_configENS1_25partition_config_selectorILNS1_17partition_subalgoE9EllbEEZZNS1_14partition_implILS5_9ELb0ES3_jPlS8_PNS0_10empty_typeENS0_5tupleIJS8_S9_EEENSB_IJS8_SA_EEENS0_18inequality_wrapperIZN2at6native12_GLOBAL__N_124unique_dim_cuda_templateIiEESt5tupleIJNSF_6TensorESK_SK_EERKSK_lbbbEUlllE0_EEPmJS9_EEE10hipError_tPvRmT3_T4_T5_T6_T7_T9_mT8_P12ihipStream_tbDpT10_ENKUlT_T0_E_clISt17integral_constantIbLb1EES1A_EEDaS15_S16_EUlS15_E_NS1_11comp_targetILNS1_3genE0ELNS1_11target_archE4294967295ELNS1_3gpuE0ELNS1_3repE0EEENS1_30default_config_static_selectorELNS0_4arch9wavefront6targetE0EEEvT1_.num_vgpr, 0
	.set _ZN7rocprim17ROCPRIM_400000_NS6detail17trampoline_kernelINS0_14default_configENS1_25partition_config_selectorILNS1_17partition_subalgoE9EllbEEZZNS1_14partition_implILS5_9ELb0ES3_jPlS8_PNS0_10empty_typeENS0_5tupleIJS8_S9_EEENSB_IJS8_SA_EEENS0_18inequality_wrapperIZN2at6native12_GLOBAL__N_124unique_dim_cuda_templateIiEESt5tupleIJNSF_6TensorESK_SK_EERKSK_lbbbEUlllE0_EEPmJS9_EEE10hipError_tPvRmT3_T4_T5_T6_T7_T9_mT8_P12ihipStream_tbDpT10_ENKUlT_T0_E_clISt17integral_constantIbLb1EES1A_EEDaS15_S16_EUlS15_E_NS1_11comp_targetILNS1_3genE0ELNS1_11target_archE4294967295ELNS1_3gpuE0ELNS1_3repE0EEENS1_30default_config_static_selectorELNS0_4arch9wavefront6targetE0EEEvT1_.num_agpr, 0
	.set _ZN7rocprim17ROCPRIM_400000_NS6detail17trampoline_kernelINS0_14default_configENS1_25partition_config_selectorILNS1_17partition_subalgoE9EllbEEZZNS1_14partition_implILS5_9ELb0ES3_jPlS8_PNS0_10empty_typeENS0_5tupleIJS8_S9_EEENSB_IJS8_SA_EEENS0_18inequality_wrapperIZN2at6native12_GLOBAL__N_124unique_dim_cuda_templateIiEESt5tupleIJNSF_6TensorESK_SK_EERKSK_lbbbEUlllE0_EEPmJS9_EEE10hipError_tPvRmT3_T4_T5_T6_T7_T9_mT8_P12ihipStream_tbDpT10_ENKUlT_T0_E_clISt17integral_constantIbLb1EES1A_EEDaS15_S16_EUlS15_E_NS1_11comp_targetILNS1_3genE0ELNS1_11target_archE4294967295ELNS1_3gpuE0ELNS1_3repE0EEENS1_30default_config_static_selectorELNS0_4arch9wavefront6targetE0EEEvT1_.numbered_sgpr, 0
	.set _ZN7rocprim17ROCPRIM_400000_NS6detail17trampoline_kernelINS0_14default_configENS1_25partition_config_selectorILNS1_17partition_subalgoE9EllbEEZZNS1_14partition_implILS5_9ELb0ES3_jPlS8_PNS0_10empty_typeENS0_5tupleIJS8_S9_EEENSB_IJS8_SA_EEENS0_18inequality_wrapperIZN2at6native12_GLOBAL__N_124unique_dim_cuda_templateIiEESt5tupleIJNSF_6TensorESK_SK_EERKSK_lbbbEUlllE0_EEPmJS9_EEE10hipError_tPvRmT3_T4_T5_T6_T7_T9_mT8_P12ihipStream_tbDpT10_ENKUlT_T0_E_clISt17integral_constantIbLb1EES1A_EEDaS15_S16_EUlS15_E_NS1_11comp_targetILNS1_3genE0ELNS1_11target_archE4294967295ELNS1_3gpuE0ELNS1_3repE0EEENS1_30default_config_static_selectorELNS0_4arch9wavefront6targetE0EEEvT1_.num_named_barrier, 0
	.set _ZN7rocprim17ROCPRIM_400000_NS6detail17trampoline_kernelINS0_14default_configENS1_25partition_config_selectorILNS1_17partition_subalgoE9EllbEEZZNS1_14partition_implILS5_9ELb0ES3_jPlS8_PNS0_10empty_typeENS0_5tupleIJS8_S9_EEENSB_IJS8_SA_EEENS0_18inequality_wrapperIZN2at6native12_GLOBAL__N_124unique_dim_cuda_templateIiEESt5tupleIJNSF_6TensorESK_SK_EERKSK_lbbbEUlllE0_EEPmJS9_EEE10hipError_tPvRmT3_T4_T5_T6_T7_T9_mT8_P12ihipStream_tbDpT10_ENKUlT_T0_E_clISt17integral_constantIbLb1EES1A_EEDaS15_S16_EUlS15_E_NS1_11comp_targetILNS1_3genE0ELNS1_11target_archE4294967295ELNS1_3gpuE0ELNS1_3repE0EEENS1_30default_config_static_selectorELNS0_4arch9wavefront6targetE0EEEvT1_.private_seg_size, 0
	.set _ZN7rocprim17ROCPRIM_400000_NS6detail17trampoline_kernelINS0_14default_configENS1_25partition_config_selectorILNS1_17partition_subalgoE9EllbEEZZNS1_14partition_implILS5_9ELb0ES3_jPlS8_PNS0_10empty_typeENS0_5tupleIJS8_S9_EEENSB_IJS8_SA_EEENS0_18inequality_wrapperIZN2at6native12_GLOBAL__N_124unique_dim_cuda_templateIiEESt5tupleIJNSF_6TensorESK_SK_EERKSK_lbbbEUlllE0_EEPmJS9_EEE10hipError_tPvRmT3_T4_T5_T6_T7_T9_mT8_P12ihipStream_tbDpT10_ENKUlT_T0_E_clISt17integral_constantIbLb1EES1A_EEDaS15_S16_EUlS15_E_NS1_11comp_targetILNS1_3genE0ELNS1_11target_archE4294967295ELNS1_3gpuE0ELNS1_3repE0EEENS1_30default_config_static_selectorELNS0_4arch9wavefront6targetE0EEEvT1_.uses_vcc, 0
	.set _ZN7rocprim17ROCPRIM_400000_NS6detail17trampoline_kernelINS0_14default_configENS1_25partition_config_selectorILNS1_17partition_subalgoE9EllbEEZZNS1_14partition_implILS5_9ELb0ES3_jPlS8_PNS0_10empty_typeENS0_5tupleIJS8_S9_EEENSB_IJS8_SA_EEENS0_18inequality_wrapperIZN2at6native12_GLOBAL__N_124unique_dim_cuda_templateIiEESt5tupleIJNSF_6TensorESK_SK_EERKSK_lbbbEUlllE0_EEPmJS9_EEE10hipError_tPvRmT3_T4_T5_T6_T7_T9_mT8_P12ihipStream_tbDpT10_ENKUlT_T0_E_clISt17integral_constantIbLb1EES1A_EEDaS15_S16_EUlS15_E_NS1_11comp_targetILNS1_3genE0ELNS1_11target_archE4294967295ELNS1_3gpuE0ELNS1_3repE0EEENS1_30default_config_static_selectorELNS0_4arch9wavefront6targetE0EEEvT1_.uses_flat_scratch, 0
	.set _ZN7rocprim17ROCPRIM_400000_NS6detail17trampoline_kernelINS0_14default_configENS1_25partition_config_selectorILNS1_17partition_subalgoE9EllbEEZZNS1_14partition_implILS5_9ELb0ES3_jPlS8_PNS0_10empty_typeENS0_5tupleIJS8_S9_EEENSB_IJS8_SA_EEENS0_18inequality_wrapperIZN2at6native12_GLOBAL__N_124unique_dim_cuda_templateIiEESt5tupleIJNSF_6TensorESK_SK_EERKSK_lbbbEUlllE0_EEPmJS9_EEE10hipError_tPvRmT3_T4_T5_T6_T7_T9_mT8_P12ihipStream_tbDpT10_ENKUlT_T0_E_clISt17integral_constantIbLb1EES1A_EEDaS15_S16_EUlS15_E_NS1_11comp_targetILNS1_3genE0ELNS1_11target_archE4294967295ELNS1_3gpuE0ELNS1_3repE0EEENS1_30default_config_static_selectorELNS0_4arch9wavefront6targetE0EEEvT1_.has_dyn_sized_stack, 0
	.set _ZN7rocprim17ROCPRIM_400000_NS6detail17trampoline_kernelINS0_14default_configENS1_25partition_config_selectorILNS1_17partition_subalgoE9EllbEEZZNS1_14partition_implILS5_9ELb0ES3_jPlS8_PNS0_10empty_typeENS0_5tupleIJS8_S9_EEENSB_IJS8_SA_EEENS0_18inequality_wrapperIZN2at6native12_GLOBAL__N_124unique_dim_cuda_templateIiEESt5tupleIJNSF_6TensorESK_SK_EERKSK_lbbbEUlllE0_EEPmJS9_EEE10hipError_tPvRmT3_T4_T5_T6_T7_T9_mT8_P12ihipStream_tbDpT10_ENKUlT_T0_E_clISt17integral_constantIbLb1EES1A_EEDaS15_S16_EUlS15_E_NS1_11comp_targetILNS1_3genE0ELNS1_11target_archE4294967295ELNS1_3gpuE0ELNS1_3repE0EEENS1_30default_config_static_selectorELNS0_4arch9wavefront6targetE0EEEvT1_.has_recursion, 0
	.set _ZN7rocprim17ROCPRIM_400000_NS6detail17trampoline_kernelINS0_14default_configENS1_25partition_config_selectorILNS1_17partition_subalgoE9EllbEEZZNS1_14partition_implILS5_9ELb0ES3_jPlS8_PNS0_10empty_typeENS0_5tupleIJS8_S9_EEENSB_IJS8_SA_EEENS0_18inequality_wrapperIZN2at6native12_GLOBAL__N_124unique_dim_cuda_templateIiEESt5tupleIJNSF_6TensorESK_SK_EERKSK_lbbbEUlllE0_EEPmJS9_EEE10hipError_tPvRmT3_T4_T5_T6_T7_T9_mT8_P12ihipStream_tbDpT10_ENKUlT_T0_E_clISt17integral_constantIbLb1EES1A_EEDaS15_S16_EUlS15_E_NS1_11comp_targetILNS1_3genE0ELNS1_11target_archE4294967295ELNS1_3gpuE0ELNS1_3repE0EEENS1_30default_config_static_selectorELNS0_4arch9wavefront6targetE0EEEvT1_.has_indirect_call, 0
	.section	.AMDGPU.csdata,"",@progbits
; Kernel info:
; codeLenInByte = 4
; TotalNumSgprs: 0
; NumVgprs: 0
; ScratchSize: 0
; MemoryBound: 0
; FloatMode: 240
; IeeeMode: 1
; LDSByteSize: 0 bytes/workgroup (compile time only)
; SGPRBlocks: 0
; VGPRBlocks: 0
; NumSGPRsForWavesPerEU: 1
; NumVGPRsForWavesPerEU: 1
; NamedBarCnt: 0
; Occupancy: 16
; WaveLimiterHint : 0
; COMPUTE_PGM_RSRC2:SCRATCH_EN: 0
; COMPUTE_PGM_RSRC2:USER_SGPR: 2
; COMPUTE_PGM_RSRC2:TRAP_HANDLER: 0
; COMPUTE_PGM_RSRC2:TGID_X_EN: 1
; COMPUTE_PGM_RSRC2:TGID_Y_EN: 0
; COMPUTE_PGM_RSRC2:TGID_Z_EN: 0
; COMPUTE_PGM_RSRC2:TIDIG_COMP_CNT: 0
	.section	.text._ZN7rocprim17ROCPRIM_400000_NS6detail17trampoline_kernelINS0_14default_configENS1_25partition_config_selectorILNS1_17partition_subalgoE9EllbEEZZNS1_14partition_implILS5_9ELb0ES3_jPlS8_PNS0_10empty_typeENS0_5tupleIJS8_S9_EEENSB_IJS8_SA_EEENS0_18inequality_wrapperIZN2at6native12_GLOBAL__N_124unique_dim_cuda_templateIiEESt5tupleIJNSF_6TensorESK_SK_EERKSK_lbbbEUlllE0_EEPmJS9_EEE10hipError_tPvRmT3_T4_T5_T6_T7_T9_mT8_P12ihipStream_tbDpT10_ENKUlT_T0_E_clISt17integral_constantIbLb1EES1A_EEDaS15_S16_EUlS15_E_NS1_11comp_targetILNS1_3genE5ELNS1_11target_archE942ELNS1_3gpuE9ELNS1_3repE0EEENS1_30default_config_static_selectorELNS0_4arch9wavefront6targetE0EEEvT1_,"axG",@progbits,_ZN7rocprim17ROCPRIM_400000_NS6detail17trampoline_kernelINS0_14default_configENS1_25partition_config_selectorILNS1_17partition_subalgoE9EllbEEZZNS1_14partition_implILS5_9ELb0ES3_jPlS8_PNS0_10empty_typeENS0_5tupleIJS8_S9_EEENSB_IJS8_SA_EEENS0_18inequality_wrapperIZN2at6native12_GLOBAL__N_124unique_dim_cuda_templateIiEESt5tupleIJNSF_6TensorESK_SK_EERKSK_lbbbEUlllE0_EEPmJS9_EEE10hipError_tPvRmT3_T4_T5_T6_T7_T9_mT8_P12ihipStream_tbDpT10_ENKUlT_T0_E_clISt17integral_constantIbLb1EES1A_EEDaS15_S16_EUlS15_E_NS1_11comp_targetILNS1_3genE5ELNS1_11target_archE942ELNS1_3gpuE9ELNS1_3repE0EEENS1_30default_config_static_selectorELNS0_4arch9wavefront6targetE0EEEvT1_,comdat
	.globl	_ZN7rocprim17ROCPRIM_400000_NS6detail17trampoline_kernelINS0_14default_configENS1_25partition_config_selectorILNS1_17partition_subalgoE9EllbEEZZNS1_14partition_implILS5_9ELb0ES3_jPlS8_PNS0_10empty_typeENS0_5tupleIJS8_S9_EEENSB_IJS8_SA_EEENS0_18inequality_wrapperIZN2at6native12_GLOBAL__N_124unique_dim_cuda_templateIiEESt5tupleIJNSF_6TensorESK_SK_EERKSK_lbbbEUlllE0_EEPmJS9_EEE10hipError_tPvRmT3_T4_T5_T6_T7_T9_mT8_P12ihipStream_tbDpT10_ENKUlT_T0_E_clISt17integral_constantIbLb1EES1A_EEDaS15_S16_EUlS15_E_NS1_11comp_targetILNS1_3genE5ELNS1_11target_archE942ELNS1_3gpuE9ELNS1_3repE0EEENS1_30default_config_static_selectorELNS0_4arch9wavefront6targetE0EEEvT1_ ; -- Begin function _ZN7rocprim17ROCPRIM_400000_NS6detail17trampoline_kernelINS0_14default_configENS1_25partition_config_selectorILNS1_17partition_subalgoE9EllbEEZZNS1_14partition_implILS5_9ELb0ES3_jPlS8_PNS0_10empty_typeENS0_5tupleIJS8_S9_EEENSB_IJS8_SA_EEENS0_18inequality_wrapperIZN2at6native12_GLOBAL__N_124unique_dim_cuda_templateIiEESt5tupleIJNSF_6TensorESK_SK_EERKSK_lbbbEUlllE0_EEPmJS9_EEE10hipError_tPvRmT3_T4_T5_T6_T7_T9_mT8_P12ihipStream_tbDpT10_ENKUlT_T0_E_clISt17integral_constantIbLb1EES1A_EEDaS15_S16_EUlS15_E_NS1_11comp_targetILNS1_3genE5ELNS1_11target_archE942ELNS1_3gpuE9ELNS1_3repE0EEENS1_30default_config_static_selectorELNS0_4arch9wavefront6targetE0EEEvT1_
	.p2align	8
	.type	_ZN7rocprim17ROCPRIM_400000_NS6detail17trampoline_kernelINS0_14default_configENS1_25partition_config_selectorILNS1_17partition_subalgoE9EllbEEZZNS1_14partition_implILS5_9ELb0ES3_jPlS8_PNS0_10empty_typeENS0_5tupleIJS8_S9_EEENSB_IJS8_SA_EEENS0_18inequality_wrapperIZN2at6native12_GLOBAL__N_124unique_dim_cuda_templateIiEESt5tupleIJNSF_6TensorESK_SK_EERKSK_lbbbEUlllE0_EEPmJS9_EEE10hipError_tPvRmT3_T4_T5_T6_T7_T9_mT8_P12ihipStream_tbDpT10_ENKUlT_T0_E_clISt17integral_constantIbLb1EES1A_EEDaS15_S16_EUlS15_E_NS1_11comp_targetILNS1_3genE5ELNS1_11target_archE942ELNS1_3gpuE9ELNS1_3repE0EEENS1_30default_config_static_selectorELNS0_4arch9wavefront6targetE0EEEvT1_,@function
_ZN7rocprim17ROCPRIM_400000_NS6detail17trampoline_kernelINS0_14default_configENS1_25partition_config_selectorILNS1_17partition_subalgoE9EllbEEZZNS1_14partition_implILS5_9ELb0ES3_jPlS8_PNS0_10empty_typeENS0_5tupleIJS8_S9_EEENSB_IJS8_SA_EEENS0_18inequality_wrapperIZN2at6native12_GLOBAL__N_124unique_dim_cuda_templateIiEESt5tupleIJNSF_6TensorESK_SK_EERKSK_lbbbEUlllE0_EEPmJS9_EEE10hipError_tPvRmT3_T4_T5_T6_T7_T9_mT8_P12ihipStream_tbDpT10_ENKUlT_T0_E_clISt17integral_constantIbLb1EES1A_EEDaS15_S16_EUlS15_E_NS1_11comp_targetILNS1_3genE5ELNS1_11target_archE942ELNS1_3gpuE9ELNS1_3repE0EEENS1_30default_config_static_selectorELNS0_4arch9wavefront6targetE0EEEvT1_: ; @_ZN7rocprim17ROCPRIM_400000_NS6detail17trampoline_kernelINS0_14default_configENS1_25partition_config_selectorILNS1_17partition_subalgoE9EllbEEZZNS1_14partition_implILS5_9ELb0ES3_jPlS8_PNS0_10empty_typeENS0_5tupleIJS8_S9_EEENSB_IJS8_SA_EEENS0_18inequality_wrapperIZN2at6native12_GLOBAL__N_124unique_dim_cuda_templateIiEESt5tupleIJNSF_6TensorESK_SK_EERKSK_lbbbEUlllE0_EEPmJS9_EEE10hipError_tPvRmT3_T4_T5_T6_T7_T9_mT8_P12ihipStream_tbDpT10_ENKUlT_T0_E_clISt17integral_constantIbLb1EES1A_EEDaS15_S16_EUlS15_E_NS1_11comp_targetILNS1_3genE5ELNS1_11target_archE942ELNS1_3gpuE9ELNS1_3repE0EEENS1_30default_config_static_selectorELNS0_4arch9wavefront6targetE0EEEvT1_
; %bb.0:
	.section	.rodata,"a",@progbits
	.p2align	6, 0x0
	.amdhsa_kernel _ZN7rocprim17ROCPRIM_400000_NS6detail17trampoline_kernelINS0_14default_configENS1_25partition_config_selectorILNS1_17partition_subalgoE9EllbEEZZNS1_14partition_implILS5_9ELb0ES3_jPlS8_PNS0_10empty_typeENS0_5tupleIJS8_S9_EEENSB_IJS8_SA_EEENS0_18inequality_wrapperIZN2at6native12_GLOBAL__N_124unique_dim_cuda_templateIiEESt5tupleIJNSF_6TensorESK_SK_EERKSK_lbbbEUlllE0_EEPmJS9_EEE10hipError_tPvRmT3_T4_T5_T6_T7_T9_mT8_P12ihipStream_tbDpT10_ENKUlT_T0_E_clISt17integral_constantIbLb1EES1A_EEDaS15_S16_EUlS15_E_NS1_11comp_targetILNS1_3genE5ELNS1_11target_archE942ELNS1_3gpuE9ELNS1_3repE0EEENS1_30default_config_static_selectorELNS0_4arch9wavefront6targetE0EEEvT1_
		.amdhsa_group_segment_fixed_size 0
		.amdhsa_private_segment_fixed_size 0
		.amdhsa_kernarg_size 136
		.amdhsa_user_sgpr_count 2
		.amdhsa_user_sgpr_dispatch_ptr 0
		.amdhsa_user_sgpr_queue_ptr 0
		.amdhsa_user_sgpr_kernarg_segment_ptr 1
		.amdhsa_user_sgpr_dispatch_id 0
		.amdhsa_user_sgpr_kernarg_preload_length 0
		.amdhsa_user_sgpr_kernarg_preload_offset 0
		.amdhsa_user_sgpr_private_segment_size 0
		.amdhsa_wavefront_size32 1
		.amdhsa_uses_dynamic_stack 0
		.amdhsa_enable_private_segment 0
		.amdhsa_system_sgpr_workgroup_id_x 1
		.amdhsa_system_sgpr_workgroup_id_y 0
		.amdhsa_system_sgpr_workgroup_id_z 0
		.amdhsa_system_sgpr_workgroup_info 0
		.amdhsa_system_vgpr_workitem_id 0
		.amdhsa_next_free_vgpr 1
		.amdhsa_next_free_sgpr 1
		.amdhsa_named_barrier_count 0
		.amdhsa_reserve_vcc 0
		.amdhsa_float_round_mode_32 0
		.amdhsa_float_round_mode_16_64 0
		.amdhsa_float_denorm_mode_32 3
		.amdhsa_float_denorm_mode_16_64 3
		.amdhsa_fp16_overflow 0
		.amdhsa_memory_ordered 1
		.amdhsa_forward_progress 1
		.amdhsa_inst_pref_size 0
		.amdhsa_round_robin_scheduling 0
		.amdhsa_exception_fp_ieee_invalid_op 0
		.amdhsa_exception_fp_denorm_src 0
		.amdhsa_exception_fp_ieee_div_zero 0
		.amdhsa_exception_fp_ieee_overflow 0
		.amdhsa_exception_fp_ieee_underflow 0
		.amdhsa_exception_fp_ieee_inexact 0
		.amdhsa_exception_int_div_zero 0
	.end_amdhsa_kernel
	.section	.text._ZN7rocprim17ROCPRIM_400000_NS6detail17trampoline_kernelINS0_14default_configENS1_25partition_config_selectorILNS1_17partition_subalgoE9EllbEEZZNS1_14partition_implILS5_9ELb0ES3_jPlS8_PNS0_10empty_typeENS0_5tupleIJS8_S9_EEENSB_IJS8_SA_EEENS0_18inequality_wrapperIZN2at6native12_GLOBAL__N_124unique_dim_cuda_templateIiEESt5tupleIJNSF_6TensorESK_SK_EERKSK_lbbbEUlllE0_EEPmJS9_EEE10hipError_tPvRmT3_T4_T5_T6_T7_T9_mT8_P12ihipStream_tbDpT10_ENKUlT_T0_E_clISt17integral_constantIbLb1EES1A_EEDaS15_S16_EUlS15_E_NS1_11comp_targetILNS1_3genE5ELNS1_11target_archE942ELNS1_3gpuE9ELNS1_3repE0EEENS1_30default_config_static_selectorELNS0_4arch9wavefront6targetE0EEEvT1_,"axG",@progbits,_ZN7rocprim17ROCPRIM_400000_NS6detail17trampoline_kernelINS0_14default_configENS1_25partition_config_selectorILNS1_17partition_subalgoE9EllbEEZZNS1_14partition_implILS5_9ELb0ES3_jPlS8_PNS0_10empty_typeENS0_5tupleIJS8_S9_EEENSB_IJS8_SA_EEENS0_18inequality_wrapperIZN2at6native12_GLOBAL__N_124unique_dim_cuda_templateIiEESt5tupleIJNSF_6TensorESK_SK_EERKSK_lbbbEUlllE0_EEPmJS9_EEE10hipError_tPvRmT3_T4_T5_T6_T7_T9_mT8_P12ihipStream_tbDpT10_ENKUlT_T0_E_clISt17integral_constantIbLb1EES1A_EEDaS15_S16_EUlS15_E_NS1_11comp_targetILNS1_3genE5ELNS1_11target_archE942ELNS1_3gpuE9ELNS1_3repE0EEENS1_30default_config_static_selectorELNS0_4arch9wavefront6targetE0EEEvT1_,comdat
.Lfunc_end482:
	.size	_ZN7rocprim17ROCPRIM_400000_NS6detail17trampoline_kernelINS0_14default_configENS1_25partition_config_selectorILNS1_17partition_subalgoE9EllbEEZZNS1_14partition_implILS5_9ELb0ES3_jPlS8_PNS0_10empty_typeENS0_5tupleIJS8_S9_EEENSB_IJS8_SA_EEENS0_18inequality_wrapperIZN2at6native12_GLOBAL__N_124unique_dim_cuda_templateIiEESt5tupleIJNSF_6TensorESK_SK_EERKSK_lbbbEUlllE0_EEPmJS9_EEE10hipError_tPvRmT3_T4_T5_T6_T7_T9_mT8_P12ihipStream_tbDpT10_ENKUlT_T0_E_clISt17integral_constantIbLb1EES1A_EEDaS15_S16_EUlS15_E_NS1_11comp_targetILNS1_3genE5ELNS1_11target_archE942ELNS1_3gpuE9ELNS1_3repE0EEENS1_30default_config_static_selectorELNS0_4arch9wavefront6targetE0EEEvT1_, .Lfunc_end482-_ZN7rocprim17ROCPRIM_400000_NS6detail17trampoline_kernelINS0_14default_configENS1_25partition_config_selectorILNS1_17partition_subalgoE9EllbEEZZNS1_14partition_implILS5_9ELb0ES3_jPlS8_PNS0_10empty_typeENS0_5tupleIJS8_S9_EEENSB_IJS8_SA_EEENS0_18inequality_wrapperIZN2at6native12_GLOBAL__N_124unique_dim_cuda_templateIiEESt5tupleIJNSF_6TensorESK_SK_EERKSK_lbbbEUlllE0_EEPmJS9_EEE10hipError_tPvRmT3_T4_T5_T6_T7_T9_mT8_P12ihipStream_tbDpT10_ENKUlT_T0_E_clISt17integral_constantIbLb1EES1A_EEDaS15_S16_EUlS15_E_NS1_11comp_targetILNS1_3genE5ELNS1_11target_archE942ELNS1_3gpuE9ELNS1_3repE0EEENS1_30default_config_static_selectorELNS0_4arch9wavefront6targetE0EEEvT1_
                                        ; -- End function
	.set _ZN7rocprim17ROCPRIM_400000_NS6detail17trampoline_kernelINS0_14default_configENS1_25partition_config_selectorILNS1_17partition_subalgoE9EllbEEZZNS1_14partition_implILS5_9ELb0ES3_jPlS8_PNS0_10empty_typeENS0_5tupleIJS8_S9_EEENSB_IJS8_SA_EEENS0_18inequality_wrapperIZN2at6native12_GLOBAL__N_124unique_dim_cuda_templateIiEESt5tupleIJNSF_6TensorESK_SK_EERKSK_lbbbEUlllE0_EEPmJS9_EEE10hipError_tPvRmT3_T4_T5_T6_T7_T9_mT8_P12ihipStream_tbDpT10_ENKUlT_T0_E_clISt17integral_constantIbLb1EES1A_EEDaS15_S16_EUlS15_E_NS1_11comp_targetILNS1_3genE5ELNS1_11target_archE942ELNS1_3gpuE9ELNS1_3repE0EEENS1_30default_config_static_selectorELNS0_4arch9wavefront6targetE0EEEvT1_.num_vgpr, 0
	.set _ZN7rocprim17ROCPRIM_400000_NS6detail17trampoline_kernelINS0_14default_configENS1_25partition_config_selectorILNS1_17partition_subalgoE9EllbEEZZNS1_14partition_implILS5_9ELb0ES3_jPlS8_PNS0_10empty_typeENS0_5tupleIJS8_S9_EEENSB_IJS8_SA_EEENS0_18inequality_wrapperIZN2at6native12_GLOBAL__N_124unique_dim_cuda_templateIiEESt5tupleIJNSF_6TensorESK_SK_EERKSK_lbbbEUlllE0_EEPmJS9_EEE10hipError_tPvRmT3_T4_T5_T6_T7_T9_mT8_P12ihipStream_tbDpT10_ENKUlT_T0_E_clISt17integral_constantIbLb1EES1A_EEDaS15_S16_EUlS15_E_NS1_11comp_targetILNS1_3genE5ELNS1_11target_archE942ELNS1_3gpuE9ELNS1_3repE0EEENS1_30default_config_static_selectorELNS0_4arch9wavefront6targetE0EEEvT1_.num_agpr, 0
	.set _ZN7rocprim17ROCPRIM_400000_NS6detail17trampoline_kernelINS0_14default_configENS1_25partition_config_selectorILNS1_17partition_subalgoE9EllbEEZZNS1_14partition_implILS5_9ELb0ES3_jPlS8_PNS0_10empty_typeENS0_5tupleIJS8_S9_EEENSB_IJS8_SA_EEENS0_18inequality_wrapperIZN2at6native12_GLOBAL__N_124unique_dim_cuda_templateIiEESt5tupleIJNSF_6TensorESK_SK_EERKSK_lbbbEUlllE0_EEPmJS9_EEE10hipError_tPvRmT3_T4_T5_T6_T7_T9_mT8_P12ihipStream_tbDpT10_ENKUlT_T0_E_clISt17integral_constantIbLb1EES1A_EEDaS15_S16_EUlS15_E_NS1_11comp_targetILNS1_3genE5ELNS1_11target_archE942ELNS1_3gpuE9ELNS1_3repE0EEENS1_30default_config_static_selectorELNS0_4arch9wavefront6targetE0EEEvT1_.numbered_sgpr, 0
	.set _ZN7rocprim17ROCPRIM_400000_NS6detail17trampoline_kernelINS0_14default_configENS1_25partition_config_selectorILNS1_17partition_subalgoE9EllbEEZZNS1_14partition_implILS5_9ELb0ES3_jPlS8_PNS0_10empty_typeENS0_5tupleIJS8_S9_EEENSB_IJS8_SA_EEENS0_18inequality_wrapperIZN2at6native12_GLOBAL__N_124unique_dim_cuda_templateIiEESt5tupleIJNSF_6TensorESK_SK_EERKSK_lbbbEUlllE0_EEPmJS9_EEE10hipError_tPvRmT3_T4_T5_T6_T7_T9_mT8_P12ihipStream_tbDpT10_ENKUlT_T0_E_clISt17integral_constantIbLb1EES1A_EEDaS15_S16_EUlS15_E_NS1_11comp_targetILNS1_3genE5ELNS1_11target_archE942ELNS1_3gpuE9ELNS1_3repE0EEENS1_30default_config_static_selectorELNS0_4arch9wavefront6targetE0EEEvT1_.num_named_barrier, 0
	.set _ZN7rocprim17ROCPRIM_400000_NS6detail17trampoline_kernelINS0_14default_configENS1_25partition_config_selectorILNS1_17partition_subalgoE9EllbEEZZNS1_14partition_implILS5_9ELb0ES3_jPlS8_PNS0_10empty_typeENS0_5tupleIJS8_S9_EEENSB_IJS8_SA_EEENS0_18inequality_wrapperIZN2at6native12_GLOBAL__N_124unique_dim_cuda_templateIiEESt5tupleIJNSF_6TensorESK_SK_EERKSK_lbbbEUlllE0_EEPmJS9_EEE10hipError_tPvRmT3_T4_T5_T6_T7_T9_mT8_P12ihipStream_tbDpT10_ENKUlT_T0_E_clISt17integral_constantIbLb1EES1A_EEDaS15_S16_EUlS15_E_NS1_11comp_targetILNS1_3genE5ELNS1_11target_archE942ELNS1_3gpuE9ELNS1_3repE0EEENS1_30default_config_static_selectorELNS0_4arch9wavefront6targetE0EEEvT1_.private_seg_size, 0
	.set _ZN7rocprim17ROCPRIM_400000_NS6detail17trampoline_kernelINS0_14default_configENS1_25partition_config_selectorILNS1_17partition_subalgoE9EllbEEZZNS1_14partition_implILS5_9ELb0ES3_jPlS8_PNS0_10empty_typeENS0_5tupleIJS8_S9_EEENSB_IJS8_SA_EEENS0_18inequality_wrapperIZN2at6native12_GLOBAL__N_124unique_dim_cuda_templateIiEESt5tupleIJNSF_6TensorESK_SK_EERKSK_lbbbEUlllE0_EEPmJS9_EEE10hipError_tPvRmT3_T4_T5_T6_T7_T9_mT8_P12ihipStream_tbDpT10_ENKUlT_T0_E_clISt17integral_constantIbLb1EES1A_EEDaS15_S16_EUlS15_E_NS1_11comp_targetILNS1_3genE5ELNS1_11target_archE942ELNS1_3gpuE9ELNS1_3repE0EEENS1_30default_config_static_selectorELNS0_4arch9wavefront6targetE0EEEvT1_.uses_vcc, 0
	.set _ZN7rocprim17ROCPRIM_400000_NS6detail17trampoline_kernelINS0_14default_configENS1_25partition_config_selectorILNS1_17partition_subalgoE9EllbEEZZNS1_14partition_implILS5_9ELb0ES3_jPlS8_PNS0_10empty_typeENS0_5tupleIJS8_S9_EEENSB_IJS8_SA_EEENS0_18inequality_wrapperIZN2at6native12_GLOBAL__N_124unique_dim_cuda_templateIiEESt5tupleIJNSF_6TensorESK_SK_EERKSK_lbbbEUlllE0_EEPmJS9_EEE10hipError_tPvRmT3_T4_T5_T6_T7_T9_mT8_P12ihipStream_tbDpT10_ENKUlT_T0_E_clISt17integral_constantIbLb1EES1A_EEDaS15_S16_EUlS15_E_NS1_11comp_targetILNS1_3genE5ELNS1_11target_archE942ELNS1_3gpuE9ELNS1_3repE0EEENS1_30default_config_static_selectorELNS0_4arch9wavefront6targetE0EEEvT1_.uses_flat_scratch, 0
	.set _ZN7rocprim17ROCPRIM_400000_NS6detail17trampoline_kernelINS0_14default_configENS1_25partition_config_selectorILNS1_17partition_subalgoE9EllbEEZZNS1_14partition_implILS5_9ELb0ES3_jPlS8_PNS0_10empty_typeENS0_5tupleIJS8_S9_EEENSB_IJS8_SA_EEENS0_18inequality_wrapperIZN2at6native12_GLOBAL__N_124unique_dim_cuda_templateIiEESt5tupleIJNSF_6TensorESK_SK_EERKSK_lbbbEUlllE0_EEPmJS9_EEE10hipError_tPvRmT3_T4_T5_T6_T7_T9_mT8_P12ihipStream_tbDpT10_ENKUlT_T0_E_clISt17integral_constantIbLb1EES1A_EEDaS15_S16_EUlS15_E_NS1_11comp_targetILNS1_3genE5ELNS1_11target_archE942ELNS1_3gpuE9ELNS1_3repE0EEENS1_30default_config_static_selectorELNS0_4arch9wavefront6targetE0EEEvT1_.has_dyn_sized_stack, 0
	.set _ZN7rocprim17ROCPRIM_400000_NS6detail17trampoline_kernelINS0_14default_configENS1_25partition_config_selectorILNS1_17partition_subalgoE9EllbEEZZNS1_14partition_implILS5_9ELb0ES3_jPlS8_PNS0_10empty_typeENS0_5tupleIJS8_S9_EEENSB_IJS8_SA_EEENS0_18inequality_wrapperIZN2at6native12_GLOBAL__N_124unique_dim_cuda_templateIiEESt5tupleIJNSF_6TensorESK_SK_EERKSK_lbbbEUlllE0_EEPmJS9_EEE10hipError_tPvRmT3_T4_T5_T6_T7_T9_mT8_P12ihipStream_tbDpT10_ENKUlT_T0_E_clISt17integral_constantIbLb1EES1A_EEDaS15_S16_EUlS15_E_NS1_11comp_targetILNS1_3genE5ELNS1_11target_archE942ELNS1_3gpuE9ELNS1_3repE0EEENS1_30default_config_static_selectorELNS0_4arch9wavefront6targetE0EEEvT1_.has_recursion, 0
	.set _ZN7rocprim17ROCPRIM_400000_NS6detail17trampoline_kernelINS0_14default_configENS1_25partition_config_selectorILNS1_17partition_subalgoE9EllbEEZZNS1_14partition_implILS5_9ELb0ES3_jPlS8_PNS0_10empty_typeENS0_5tupleIJS8_S9_EEENSB_IJS8_SA_EEENS0_18inequality_wrapperIZN2at6native12_GLOBAL__N_124unique_dim_cuda_templateIiEESt5tupleIJNSF_6TensorESK_SK_EERKSK_lbbbEUlllE0_EEPmJS9_EEE10hipError_tPvRmT3_T4_T5_T6_T7_T9_mT8_P12ihipStream_tbDpT10_ENKUlT_T0_E_clISt17integral_constantIbLb1EES1A_EEDaS15_S16_EUlS15_E_NS1_11comp_targetILNS1_3genE5ELNS1_11target_archE942ELNS1_3gpuE9ELNS1_3repE0EEENS1_30default_config_static_selectorELNS0_4arch9wavefront6targetE0EEEvT1_.has_indirect_call, 0
	.section	.AMDGPU.csdata,"",@progbits
; Kernel info:
; codeLenInByte = 0
; TotalNumSgprs: 0
; NumVgprs: 0
; ScratchSize: 0
; MemoryBound: 0
; FloatMode: 240
; IeeeMode: 1
; LDSByteSize: 0 bytes/workgroup (compile time only)
; SGPRBlocks: 0
; VGPRBlocks: 0
; NumSGPRsForWavesPerEU: 1
; NumVGPRsForWavesPerEU: 1
; NamedBarCnt: 0
; Occupancy: 16
; WaveLimiterHint : 0
; COMPUTE_PGM_RSRC2:SCRATCH_EN: 0
; COMPUTE_PGM_RSRC2:USER_SGPR: 2
; COMPUTE_PGM_RSRC2:TRAP_HANDLER: 0
; COMPUTE_PGM_RSRC2:TGID_X_EN: 1
; COMPUTE_PGM_RSRC2:TGID_Y_EN: 0
; COMPUTE_PGM_RSRC2:TGID_Z_EN: 0
; COMPUTE_PGM_RSRC2:TIDIG_COMP_CNT: 0
	.section	.text._ZN7rocprim17ROCPRIM_400000_NS6detail17trampoline_kernelINS0_14default_configENS1_25partition_config_selectorILNS1_17partition_subalgoE9EllbEEZZNS1_14partition_implILS5_9ELb0ES3_jPlS8_PNS0_10empty_typeENS0_5tupleIJS8_S9_EEENSB_IJS8_SA_EEENS0_18inequality_wrapperIZN2at6native12_GLOBAL__N_124unique_dim_cuda_templateIiEESt5tupleIJNSF_6TensorESK_SK_EERKSK_lbbbEUlllE0_EEPmJS9_EEE10hipError_tPvRmT3_T4_T5_T6_T7_T9_mT8_P12ihipStream_tbDpT10_ENKUlT_T0_E_clISt17integral_constantIbLb1EES1A_EEDaS15_S16_EUlS15_E_NS1_11comp_targetILNS1_3genE4ELNS1_11target_archE910ELNS1_3gpuE8ELNS1_3repE0EEENS1_30default_config_static_selectorELNS0_4arch9wavefront6targetE0EEEvT1_,"axG",@progbits,_ZN7rocprim17ROCPRIM_400000_NS6detail17trampoline_kernelINS0_14default_configENS1_25partition_config_selectorILNS1_17partition_subalgoE9EllbEEZZNS1_14partition_implILS5_9ELb0ES3_jPlS8_PNS0_10empty_typeENS0_5tupleIJS8_S9_EEENSB_IJS8_SA_EEENS0_18inequality_wrapperIZN2at6native12_GLOBAL__N_124unique_dim_cuda_templateIiEESt5tupleIJNSF_6TensorESK_SK_EERKSK_lbbbEUlllE0_EEPmJS9_EEE10hipError_tPvRmT3_T4_T5_T6_T7_T9_mT8_P12ihipStream_tbDpT10_ENKUlT_T0_E_clISt17integral_constantIbLb1EES1A_EEDaS15_S16_EUlS15_E_NS1_11comp_targetILNS1_3genE4ELNS1_11target_archE910ELNS1_3gpuE8ELNS1_3repE0EEENS1_30default_config_static_selectorELNS0_4arch9wavefront6targetE0EEEvT1_,comdat
	.globl	_ZN7rocprim17ROCPRIM_400000_NS6detail17trampoline_kernelINS0_14default_configENS1_25partition_config_selectorILNS1_17partition_subalgoE9EllbEEZZNS1_14partition_implILS5_9ELb0ES3_jPlS8_PNS0_10empty_typeENS0_5tupleIJS8_S9_EEENSB_IJS8_SA_EEENS0_18inequality_wrapperIZN2at6native12_GLOBAL__N_124unique_dim_cuda_templateIiEESt5tupleIJNSF_6TensorESK_SK_EERKSK_lbbbEUlllE0_EEPmJS9_EEE10hipError_tPvRmT3_T4_T5_T6_T7_T9_mT8_P12ihipStream_tbDpT10_ENKUlT_T0_E_clISt17integral_constantIbLb1EES1A_EEDaS15_S16_EUlS15_E_NS1_11comp_targetILNS1_3genE4ELNS1_11target_archE910ELNS1_3gpuE8ELNS1_3repE0EEENS1_30default_config_static_selectorELNS0_4arch9wavefront6targetE0EEEvT1_ ; -- Begin function _ZN7rocprim17ROCPRIM_400000_NS6detail17trampoline_kernelINS0_14default_configENS1_25partition_config_selectorILNS1_17partition_subalgoE9EllbEEZZNS1_14partition_implILS5_9ELb0ES3_jPlS8_PNS0_10empty_typeENS0_5tupleIJS8_S9_EEENSB_IJS8_SA_EEENS0_18inequality_wrapperIZN2at6native12_GLOBAL__N_124unique_dim_cuda_templateIiEESt5tupleIJNSF_6TensorESK_SK_EERKSK_lbbbEUlllE0_EEPmJS9_EEE10hipError_tPvRmT3_T4_T5_T6_T7_T9_mT8_P12ihipStream_tbDpT10_ENKUlT_T0_E_clISt17integral_constantIbLb1EES1A_EEDaS15_S16_EUlS15_E_NS1_11comp_targetILNS1_3genE4ELNS1_11target_archE910ELNS1_3gpuE8ELNS1_3repE0EEENS1_30default_config_static_selectorELNS0_4arch9wavefront6targetE0EEEvT1_
	.p2align	8
	.type	_ZN7rocprim17ROCPRIM_400000_NS6detail17trampoline_kernelINS0_14default_configENS1_25partition_config_selectorILNS1_17partition_subalgoE9EllbEEZZNS1_14partition_implILS5_9ELb0ES3_jPlS8_PNS0_10empty_typeENS0_5tupleIJS8_S9_EEENSB_IJS8_SA_EEENS0_18inequality_wrapperIZN2at6native12_GLOBAL__N_124unique_dim_cuda_templateIiEESt5tupleIJNSF_6TensorESK_SK_EERKSK_lbbbEUlllE0_EEPmJS9_EEE10hipError_tPvRmT3_T4_T5_T6_T7_T9_mT8_P12ihipStream_tbDpT10_ENKUlT_T0_E_clISt17integral_constantIbLb1EES1A_EEDaS15_S16_EUlS15_E_NS1_11comp_targetILNS1_3genE4ELNS1_11target_archE910ELNS1_3gpuE8ELNS1_3repE0EEENS1_30default_config_static_selectorELNS0_4arch9wavefront6targetE0EEEvT1_,@function
_ZN7rocprim17ROCPRIM_400000_NS6detail17trampoline_kernelINS0_14default_configENS1_25partition_config_selectorILNS1_17partition_subalgoE9EllbEEZZNS1_14partition_implILS5_9ELb0ES3_jPlS8_PNS0_10empty_typeENS0_5tupleIJS8_S9_EEENSB_IJS8_SA_EEENS0_18inequality_wrapperIZN2at6native12_GLOBAL__N_124unique_dim_cuda_templateIiEESt5tupleIJNSF_6TensorESK_SK_EERKSK_lbbbEUlllE0_EEPmJS9_EEE10hipError_tPvRmT3_T4_T5_T6_T7_T9_mT8_P12ihipStream_tbDpT10_ENKUlT_T0_E_clISt17integral_constantIbLb1EES1A_EEDaS15_S16_EUlS15_E_NS1_11comp_targetILNS1_3genE4ELNS1_11target_archE910ELNS1_3gpuE8ELNS1_3repE0EEENS1_30default_config_static_selectorELNS0_4arch9wavefront6targetE0EEEvT1_: ; @_ZN7rocprim17ROCPRIM_400000_NS6detail17trampoline_kernelINS0_14default_configENS1_25partition_config_selectorILNS1_17partition_subalgoE9EllbEEZZNS1_14partition_implILS5_9ELb0ES3_jPlS8_PNS0_10empty_typeENS0_5tupleIJS8_S9_EEENSB_IJS8_SA_EEENS0_18inequality_wrapperIZN2at6native12_GLOBAL__N_124unique_dim_cuda_templateIiEESt5tupleIJNSF_6TensorESK_SK_EERKSK_lbbbEUlllE0_EEPmJS9_EEE10hipError_tPvRmT3_T4_T5_T6_T7_T9_mT8_P12ihipStream_tbDpT10_ENKUlT_T0_E_clISt17integral_constantIbLb1EES1A_EEDaS15_S16_EUlS15_E_NS1_11comp_targetILNS1_3genE4ELNS1_11target_archE910ELNS1_3gpuE8ELNS1_3repE0EEENS1_30default_config_static_selectorELNS0_4arch9wavefront6targetE0EEEvT1_
; %bb.0:
	.section	.rodata,"a",@progbits
	.p2align	6, 0x0
	.amdhsa_kernel _ZN7rocprim17ROCPRIM_400000_NS6detail17trampoline_kernelINS0_14default_configENS1_25partition_config_selectorILNS1_17partition_subalgoE9EllbEEZZNS1_14partition_implILS5_9ELb0ES3_jPlS8_PNS0_10empty_typeENS0_5tupleIJS8_S9_EEENSB_IJS8_SA_EEENS0_18inequality_wrapperIZN2at6native12_GLOBAL__N_124unique_dim_cuda_templateIiEESt5tupleIJNSF_6TensorESK_SK_EERKSK_lbbbEUlllE0_EEPmJS9_EEE10hipError_tPvRmT3_T4_T5_T6_T7_T9_mT8_P12ihipStream_tbDpT10_ENKUlT_T0_E_clISt17integral_constantIbLb1EES1A_EEDaS15_S16_EUlS15_E_NS1_11comp_targetILNS1_3genE4ELNS1_11target_archE910ELNS1_3gpuE8ELNS1_3repE0EEENS1_30default_config_static_selectorELNS0_4arch9wavefront6targetE0EEEvT1_
		.amdhsa_group_segment_fixed_size 0
		.amdhsa_private_segment_fixed_size 0
		.amdhsa_kernarg_size 136
		.amdhsa_user_sgpr_count 2
		.amdhsa_user_sgpr_dispatch_ptr 0
		.amdhsa_user_sgpr_queue_ptr 0
		.amdhsa_user_sgpr_kernarg_segment_ptr 1
		.amdhsa_user_sgpr_dispatch_id 0
		.amdhsa_user_sgpr_kernarg_preload_length 0
		.amdhsa_user_sgpr_kernarg_preload_offset 0
		.amdhsa_user_sgpr_private_segment_size 0
		.amdhsa_wavefront_size32 1
		.amdhsa_uses_dynamic_stack 0
		.amdhsa_enable_private_segment 0
		.amdhsa_system_sgpr_workgroup_id_x 1
		.amdhsa_system_sgpr_workgroup_id_y 0
		.amdhsa_system_sgpr_workgroup_id_z 0
		.amdhsa_system_sgpr_workgroup_info 0
		.amdhsa_system_vgpr_workitem_id 0
		.amdhsa_next_free_vgpr 1
		.amdhsa_next_free_sgpr 1
		.amdhsa_named_barrier_count 0
		.amdhsa_reserve_vcc 0
		.amdhsa_float_round_mode_32 0
		.amdhsa_float_round_mode_16_64 0
		.amdhsa_float_denorm_mode_32 3
		.amdhsa_float_denorm_mode_16_64 3
		.amdhsa_fp16_overflow 0
		.amdhsa_memory_ordered 1
		.amdhsa_forward_progress 1
		.amdhsa_inst_pref_size 0
		.amdhsa_round_robin_scheduling 0
		.amdhsa_exception_fp_ieee_invalid_op 0
		.amdhsa_exception_fp_denorm_src 0
		.amdhsa_exception_fp_ieee_div_zero 0
		.amdhsa_exception_fp_ieee_overflow 0
		.amdhsa_exception_fp_ieee_underflow 0
		.amdhsa_exception_fp_ieee_inexact 0
		.amdhsa_exception_int_div_zero 0
	.end_amdhsa_kernel
	.section	.text._ZN7rocprim17ROCPRIM_400000_NS6detail17trampoline_kernelINS0_14default_configENS1_25partition_config_selectorILNS1_17partition_subalgoE9EllbEEZZNS1_14partition_implILS5_9ELb0ES3_jPlS8_PNS0_10empty_typeENS0_5tupleIJS8_S9_EEENSB_IJS8_SA_EEENS0_18inequality_wrapperIZN2at6native12_GLOBAL__N_124unique_dim_cuda_templateIiEESt5tupleIJNSF_6TensorESK_SK_EERKSK_lbbbEUlllE0_EEPmJS9_EEE10hipError_tPvRmT3_T4_T5_T6_T7_T9_mT8_P12ihipStream_tbDpT10_ENKUlT_T0_E_clISt17integral_constantIbLb1EES1A_EEDaS15_S16_EUlS15_E_NS1_11comp_targetILNS1_3genE4ELNS1_11target_archE910ELNS1_3gpuE8ELNS1_3repE0EEENS1_30default_config_static_selectorELNS0_4arch9wavefront6targetE0EEEvT1_,"axG",@progbits,_ZN7rocprim17ROCPRIM_400000_NS6detail17trampoline_kernelINS0_14default_configENS1_25partition_config_selectorILNS1_17partition_subalgoE9EllbEEZZNS1_14partition_implILS5_9ELb0ES3_jPlS8_PNS0_10empty_typeENS0_5tupleIJS8_S9_EEENSB_IJS8_SA_EEENS0_18inequality_wrapperIZN2at6native12_GLOBAL__N_124unique_dim_cuda_templateIiEESt5tupleIJNSF_6TensorESK_SK_EERKSK_lbbbEUlllE0_EEPmJS9_EEE10hipError_tPvRmT3_T4_T5_T6_T7_T9_mT8_P12ihipStream_tbDpT10_ENKUlT_T0_E_clISt17integral_constantIbLb1EES1A_EEDaS15_S16_EUlS15_E_NS1_11comp_targetILNS1_3genE4ELNS1_11target_archE910ELNS1_3gpuE8ELNS1_3repE0EEENS1_30default_config_static_selectorELNS0_4arch9wavefront6targetE0EEEvT1_,comdat
.Lfunc_end483:
	.size	_ZN7rocprim17ROCPRIM_400000_NS6detail17trampoline_kernelINS0_14default_configENS1_25partition_config_selectorILNS1_17partition_subalgoE9EllbEEZZNS1_14partition_implILS5_9ELb0ES3_jPlS8_PNS0_10empty_typeENS0_5tupleIJS8_S9_EEENSB_IJS8_SA_EEENS0_18inequality_wrapperIZN2at6native12_GLOBAL__N_124unique_dim_cuda_templateIiEESt5tupleIJNSF_6TensorESK_SK_EERKSK_lbbbEUlllE0_EEPmJS9_EEE10hipError_tPvRmT3_T4_T5_T6_T7_T9_mT8_P12ihipStream_tbDpT10_ENKUlT_T0_E_clISt17integral_constantIbLb1EES1A_EEDaS15_S16_EUlS15_E_NS1_11comp_targetILNS1_3genE4ELNS1_11target_archE910ELNS1_3gpuE8ELNS1_3repE0EEENS1_30default_config_static_selectorELNS0_4arch9wavefront6targetE0EEEvT1_, .Lfunc_end483-_ZN7rocprim17ROCPRIM_400000_NS6detail17trampoline_kernelINS0_14default_configENS1_25partition_config_selectorILNS1_17partition_subalgoE9EllbEEZZNS1_14partition_implILS5_9ELb0ES3_jPlS8_PNS0_10empty_typeENS0_5tupleIJS8_S9_EEENSB_IJS8_SA_EEENS0_18inequality_wrapperIZN2at6native12_GLOBAL__N_124unique_dim_cuda_templateIiEESt5tupleIJNSF_6TensorESK_SK_EERKSK_lbbbEUlllE0_EEPmJS9_EEE10hipError_tPvRmT3_T4_T5_T6_T7_T9_mT8_P12ihipStream_tbDpT10_ENKUlT_T0_E_clISt17integral_constantIbLb1EES1A_EEDaS15_S16_EUlS15_E_NS1_11comp_targetILNS1_3genE4ELNS1_11target_archE910ELNS1_3gpuE8ELNS1_3repE0EEENS1_30default_config_static_selectorELNS0_4arch9wavefront6targetE0EEEvT1_
                                        ; -- End function
	.set _ZN7rocprim17ROCPRIM_400000_NS6detail17trampoline_kernelINS0_14default_configENS1_25partition_config_selectorILNS1_17partition_subalgoE9EllbEEZZNS1_14partition_implILS5_9ELb0ES3_jPlS8_PNS0_10empty_typeENS0_5tupleIJS8_S9_EEENSB_IJS8_SA_EEENS0_18inequality_wrapperIZN2at6native12_GLOBAL__N_124unique_dim_cuda_templateIiEESt5tupleIJNSF_6TensorESK_SK_EERKSK_lbbbEUlllE0_EEPmJS9_EEE10hipError_tPvRmT3_T4_T5_T6_T7_T9_mT8_P12ihipStream_tbDpT10_ENKUlT_T0_E_clISt17integral_constantIbLb1EES1A_EEDaS15_S16_EUlS15_E_NS1_11comp_targetILNS1_3genE4ELNS1_11target_archE910ELNS1_3gpuE8ELNS1_3repE0EEENS1_30default_config_static_selectorELNS0_4arch9wavefront6targetE0EEEvT1_.num_vgpr, 0
	.set _ZN7rocprim17ROCPRIM_400000_NS6detail17trampoline_kernelINS0_14default_configENS1_25partition_config_selectorILNS1_17partition_subalgoE9EllbEEZZNS1_14partition_implILS5_9ELb0ES3_jPlS8_PNS0_10empty_typeENS0_5tupleIJS8_S9_EEENSB_IJS8_SA_EEENS0_18inequality_wrapperIZN2at6native12_GLOBAL__N_124unique_dim_cuda_templateIiEESt5tupleIJNSF_6TensorESK_SK_EERKSK_lbbbEUlllE0_EEPmJS9_EEE10hipError_tPvRmT3_T4_T5_T6_T7_T9_mT8_P12ihipStream_tbDpT10_ENKUlT_T0_E_clISt17integral_constantIbLb1EES1A_EEDaS15_S16_EUlS15_E_NS1_11comp_targetILNS1_3genE4ELNS1_11target_archE910ELNS1_3gpuE8ELNS1_3repE0EEENS1_30default_config_static_selectorELNS0_4arch9wavefront6targetE0EEEvT1_.num_agpr, 0
	.set _ZN7rocprim17ROCPRIM_400000_NS6detail17trampoline_kernelINS0_14default_configENS1_25partition_config_selectorILNS1_17partition_subalgoE9EllbEEZZNS1_14partition_implILS5_9ELb0ES3_jPlS8_PNS0_10empty_typeENS0_5tupleIJS8_S9_EEENSB_IJS8_SA_EEENS0_18inequality_wrapperIZN2at6native12_GLOBAL__N_124unique_dim_cuda_templateIiEESt5tupleIJNSF_6TensorESK_SK_EERKSK_lbbbEUlllE0_EEPmJS9_EEE10hipError_tPvRmT3_T4_T5_T6_T7_T9_mT8_P12ihipStream_tbDpT10_ENKUlT_T0_E_clISt17integral_constantIbLb1EES1A_EEDaS15_S16_EUlS15_E_NS1_11comp_targetILNS1_3genE4ELNS1_11target_archE910ELNS1_3gpuE8ELNS1_3repE0EEENS1_30default_config_static_selectorELNS0_4arch9wavefront6targetE0EEEvT1_.numbered_sgpr, 0
	.set _ZN7rocprim17ROCPRIM_400000_NS6detail17trampoline_kernelINS0_14default_configENS1_25partition_config_selectorILNS1_17partition_subalgoE9EllbEEZZNS1_14partition_implILS5_9ELb0ES3_jPlS8_PNS0_10empty_typeENS0_5tupleIJS8_S9_EEENSB_IJS8_SA_EEENS0_18inequality_wrapperIZN2at6native12_GLOBAL__N_124unique_dim_cuda_templateIiEESt5tupleIJNSF_6TensorESK_SK_EERKSK_lbbbEUlllE0_EEPmJS9_EEE10hipError_tPvRmT3_T4_T5_T6_T7_T9_mT8_P12ihipStream_tbDpT10_ENKUlT_T0_E_clISt17integral_constantIbLb1EES1A_EEDaS15_S16_EUlS15_E_NS1_11comp_targetILNS1_3genE4ELNS1_11target_archE910ELNS1_3gpuE8ELNS1_3repE0EEENS1_30default_config_static_selectorELNS0_4arch9wavefront6targetE0EEEvT1_.num_named_barrier, 0
	.set _ZN7rocprim17ROCPRIM_400000_NS6detail17trampoline_kernelINS0_14default_configENS1_25partition_config_selectorILNS1_17partition_subalgoE9EllbEEZZNS1_14partition_implILS5_9ELb0ES3_jPlS8_PNS0_10empty_typeENS0_5tupleIJS8_S9_EEENSB_IJS8_SA_EEENS0_18inequality_wrapperIZN2at6native12_GLOBAL__N_124unique_dim_cuda_templateIiEESt5tupleIJNSF_6TensorESK_SK_EERKSK_lbbbEUlllE0_EEPmJS9_EEE10hipError_tPvRmT3_T4_T5_T6_T7_T9_mT8_P12ihipStream_tbDpT10_ENKUlT_T0_E_clISt17integral_constantIbLb1EES1A_EEDaS15_S16_EUlS15_E_NS1_11comp_targetILNS1_3genE4ELNS1_11target_archE910ELNS1_3gpuE8ELNS1_3repE0EEENS1_30default_config_static_selectorELNS0_4arch9wavefront6targetE0EEEvT1_.private_seg_size, 0
	.set _ZN7rocprim17ROCPRIM_400000_NS6detail17trampoline_kernelINS0_14default_configENS1_25partition_config_selectorILNS1_17partition_subalgoE9EllbEEZZNS1_14partition_implILS5_9ELb0ES3_jPlS8_PNS0_10empty_typeENS0_5tupleIJS8_S9_EEENSB_IJS8_SA_EEENS0_18inequality_wrapperIZN2at6native12_GLOBAL__N_124unique_dim_cuda_templateIiEESt5tupleIJNSF_6TensorESK_SK_EERKSK_lbbbEUlllE0_EEPmJS9_EEE10hipError_tPvRmT3_T4_T5_T6_T7_T9_mT8_P12ihipStream_tbDpT10_ENKUlT_T0_E_clISt17integral_constantIbLb1EES1A_EEDaS15_S16_EUlS15_E_NS1_11comp_targetILNS1_3genE4ELNS1_11target_archE910ELNS1_3gpuE8ELNS1_3repE0EEENS1_30default_config_static_selectorELNS0_4arch9wavefront6targetE0EEEvT1_.uses_vcc, 0
	.set _ZN7rocprim17ROCPRIM_400000_NS6detail17trampoline_kernelINS0_14default_configENS1_25partition_config_selectorILNS1_17partition_subalgoE9EllbEEZZNS1_14partition_implILS5_9ELb0ES3_jPlS8_PNS0_10empty_typeENS0_5tupleIJS8_S9_EEENSB_IJS8_SA_EEENS0_18inequality_wrapperIZN2at6native12_GLOBAL__N_124unique_dim_cuda_templateIiEESt5tupleIJNSF_6TensorESK_SK_EERKSK_lbbbEUlllE0_EEPmJS9_EEE10hipError_tPvRmT3_T4_T5_T6_T7_T9_mT8_P12ihipStream_tbDpT10_ENKUlT_T0_E_clISt17integral_constantIbLb1EES1A_EEDaS15_S16_EUlS15_E_NS1_11comp_targetILNS1_3genE4ELNS1_11target_archE910ELNS1_3gpuE8ELNS1_3repE0EEENS1_30default_config_static_selectorELNS0_4arch9wavefront6targetE0EEEvT1_.uses_flat_scratch, 0
	.set _ZN7rocprim17ROCPRIM_400000_NS6detail17trampoline_kernelINS0_14default_configENS1_25partition_config_selectorILNS1_17partition_subalgoE9EllbEEZZNS1_14partition_implILS5_9ELb0ES3_jPlS8_PNS0_10empty_typeENS0_5tupleIJS8_S9_EEENSB_IJS8_SA_EEENS0_18inequality_wrapperIZN2at6native12_GLOBAL__N_124unique_dim_cuda_templateIiEESt5tupleIJNSF_6TensorESK_SK_EERKSK_lbbbEUlllE0_EEPmJS9_EEE10hipError_tPvRmT3_T4_T5_T6_T7_T9_mT8_P12ihipStream_tbDpT10_ENKUlT_T0_E_clISt17integral_constantIbLb1EES1A_EEDaS15_S16_EUlS15_E_NS1_11comp_targetILNS1_3genE4ELNS1_11target_archE910ELNS1_3gpuE8ELNS1_3repE0EEENS1_30default_config_static_selectorELNS0_4arch9wavefront6targetE0EEEvT1_.has_dyn_sized_stack, 0
	.set _ZN7rocprim17ROCPRIM_400000_NS6detail17trampoline_kernelINS0_14default_configENS1_25partition_config_selectorILNS1_17partition_subalgoE9EllbEEZZNS1_14partition_implILS5_9ELb0ES3_jPlS8_PNS0_10empty_typeENS0_5tupleIJS8_S9_EEENSB_IJS8_SA_EEENS0_18inequality_wrapperIZN2at6native12_GLOBAL__N_124unique_dim_cuda_templateIiEESt5tupleIJNSF_6TensorESK_SK_EERKSK_lbbbEUlllE0_EEPmJS9_EEE10hipError_tPvRmT3_T4_T5_T6_T7_T9_mT8_P12ihipStream_tbDpT10_ENKUlT_T0_E_clISt17integral_constantIbLb1EES1A_EEDaS15_S16_EUlS15_E_NS1_11comp_targetILNS1_3genE4ELNS1_11target_archE910ELNS1_3gpuE8ELNS1_3repE0EEENS1_30default_config_static_selectorELNS0_4arch9wavefront6targetE0EEEvT1_.has_recursion, 0
	.set _ZN7rocprim17ROCPRIM_400000_NS6detail17trampoline_kernelINS0_14default_configENS1_25partition_config_selectorILNS1_17partition_subalgoE9EllbEEZZNS1_14partition_implILS5_9ELb0ES3_jPlS8_PNS0_10empty_typeENS0_5tupleIJS8_S9_EEENSB_IJS8_SA_EEENS0_18inequality_wrapperIZN2at6native12_GLOBAL__N_124unique_dim_cuda_templateIiEESt5tupleIJNSF_6TensorESK_SK_EERKSK_lbbbEUlllE0_EEPmJS9_EEE10hipError_tPvRmT3_T4_T5_T6_T7_T9_mT8_P12ihipStream_tbDpT10_ENKUlT_T0_E_clISt17integral_constantIbLb1EES1A_EEDaS15_S16_EUlS15_E_NS1_11comp_targetILNS1_3genE4ELNS1_11target_archE910ELNS1_3gpuE8ELNS1_3repE0EEENS1_30default_config_static_selectorELNS0_4arch9wavefront6targetE0EEEvT1_.has_indirect_call, 0
	.section	.AMDGPU.csdata,"",@progbits
; Kernel info:
; codeLenInByte = 0
; TotalNumSgprs: 0
; NumVgprs: 0
; ScratchSize: 0
; MemoryBound: 0
; FloatMode: 240
; IeeeMode: 1
; LDSByteSize: 0 bytes/workgroup (compile time only)
; SGPRBlocks: 0
; VGPRBlocks: 0
; NumSGPRsForWavesPerEU: 1
; NumVGPRsForWavesPerEU: 1
; NamedBarCnt: 0
; Occupancy: 16
; WaveLimiterHint : 0
; COMPUTE_PGM_RSRC2:SCRATCH_EN: 0
; COMPUTE_PGM_RSRC2:USER_SGPR: 2
; COMPUTE_PGM_RSRC2:TRAP_HANDLER: 0
; COMPUTE_PGM_RSRC2:TGID_X_EN: 1
; COMPUTE_PGM_RSRC2:TGID_Y_EN: 0
; COMPUTE_PGM_RSRC2:TGID_Z_EN: 0
; COMPUTE_PGM_RSRC2:TIDIG_COMP_CNT: 0
	.section	.text._ZN7rocprim17ROCPRIM_400000_NS6detail17trampoline_kernelINS0_14default_configENS1_25partition_config_selectorILNS1_17partition_subalgoE9EllbEEZZNS1_14partition_implILS5_9ELb0ES3_jPlS8_PNS0_10empty_typeENS0_5tupleIJS8_S9_EEENSB_IJS8_SA_EEENS0_18inequality_wrapperIZN2at6native12_GLOBAL__N_124unique_dim_cuda_templateIiEESt5tupleIJNSF_6TensorESK_SK_EERKSK_lbbbEUlllE0_EEPmJS9_EEE10hipError_tPvRmT3_T4_T5_T6_T7_T9_mT8_P12ihipStream_tbDpT10_ENKUlT_T0_E_clISt17integral_constantIbLb1EES1A_EEDaS15_S16_EUlS15_E_NS1_11comp_targetILNS1_3genE3ELNS1_11target_archE908ELNS1_3gpuE7ELNS1_3repE0EEENS1_30default_config_static_selectorELNS0_4arch9wavefront6targetE0EEEvT1_,"axG",@progbits,_ZN7rocprim17ROCPRIM_400000_NS6detail17trampoline_kernelINS0_14default_configENS1_25partition_config_selectorILNS1_17partition_subalgoE9EllbEEZZNS1_14partition_implILS5_9ELb0ES3_jPlS8_PNS0_10empty_typeENS0_5tupleIJS8_S9_EEENSB_IJS8_SA_EEENS0_18inequality_wrapperIZN2at6native12_GLOBAL__N_124unique_dim_cuda_templateIiEESt5tupleIJNSF_6TensorESK_SK_EERKSK_lbbbEUlllE0_EEPmJS9_EEE10hipError_tPvRmT3_T4_T5_T6_T7_T9_mT8_P12ihipStream_tbDpT10_ENKUlT_T0_E_clISt17integral_constantIbLb1EES1A_EEDaS15_S16_EUlS15_E_NS1_11comp_targetILNS1_3genE3ELNS1_11target_archE908ELNS1_3gpuE7ELNS1_3repE0EEENS1_30default_config_static_selectorELNS0_4arch9wavefront6targetE0EEEvT1_,comdat
	.globl	_ZN7rocprim17ROCPRIM_400000_NS6detail17trampoline_kernelINS0_14default_configENS1_25partition_config_selectorILNS1_17partition_subalgoE9EllbEEZZNS1_14partition_implILS5_9ELb0ES3_jPlS8_PNS0_10empty_typeENS0_5tupleIJS8_S9_EEENSB_IJS8_SA_EEENS0_18inequality_wrapperIZN2at6native12_GLOBAL__N_124unique_dim_cuda_templateIiEESt5tupleIJNSF_6TensorESK_SK_EERKSK_lbbbEUlllE0_EEPmJS9_EEE10hipError_tPvRmT3_T4_T5_T6_T7_T9_mT8_P12ihipStream_tbDpT10_ENKUlT_T0_E_clISt17integral_constantIbLb1EES1A_EEDaS15_S16_EUlS15_E_NS1_11comp_targetILNS1_3genE3ELNS1_11target_archE908ELNS1_3gpuE7ELNS1_3repE0EEENS1_30default_config_static_selectorELNS0_4arch9wavefront6targetE0EEEvT1_ ; -- Begin function _ZN7rocprim17ROCPRIM_400000_NS6detail17trampoline_kernelINS0_14default_configENS1_25partition_config_selectorILNS1_17partition_subalgoE9EllbEEZZNS1_14partition_implILS5_9ELb0ES3_jPlS8_PNS0_10empty_typeENS0_5tupleIJS8_S9_EEENSB_IJS8_SA_EEENS0_18inequality_wrapperIZN2at6native12_GLOBAL__N_124unique_dim_cuda_templateIiEESt5tupleIJNSF_6TensorESK_SK_EERKSK_lbbbEUlllE0_EEPmJS9_EEE10hipError_tPvRmT3_T4_T5_T6_T7_T9_mT8_P12ihipStream_tbDpT10_ENKUlT_T0_E_clISt17integral_constantIbLb1EES1A_EEDaS15_S16_EUlS15_E_NS1_11comp_targetILNS1_3genE3ELNS1_11target_archE908ELNS1_3gpuE7ELNS1_3repE0EEENS1_30default_config_static_selectorELNS0_4arch9wavefront6targetE0EEEvT1_
	.p2align	8
	.type	_ZN7rocprim17ROCPRIM_400000_NS6detail17trampoline_kernelINS0_14default_configENS1_25partition_config_selectorILNS1_17partition_subalgoE9EllbEEZZNS1_14partition_implILS5_9ELb0ES3_jPlS8_PNS0_10empty_typeENS0_5tupleIJS8_S9_EEENSB_IJS8_SA_EEENS0_18inequality_wrapperIZN2at6native12_GLOBAL__N_124unique_dim_cuda_templateIiEESt5tupleIJNSF_6TensorESK_SK_EERKSK_lbbbEUlllE0_EEPmJS9_EEE10hipError_tPvRmT3_T4_T5_T6_T7_T9_mT8_P12ihipStream_tbDpT10_ENKUlT_T0_E_clISt17integral_constantIbLb1EES1A_EEDaS15_S16_EUlS15_E_NS1_11comp_targetILNS1_3genE3ELNS1_11target_archE908ELNS1_3gpuE7ELNS1_3repE0EEENS1_30default_config_static_selectorELNS0_4arch9wavefront6targetE0EEEvT1_,@function
_ZN7rocprim17ROCPRIM_400000_NS6detail17trampoline_kernelINS0_14default_configENS1_25partition_config_selectorILNS1_17partition_subalgoE9EllbEEZZNS1_14partition_implILS5_9ELb0ES3_jPlS8_PNS0_10empty_typeENS0_5tupleIJS8_S9_EEENSB_IJS8_SA_EEENS0_18inequality_wrapperIZN2at6native12_GLOBAL__N_124unique_dim_cuda_templateIiEESt5tupleIJNSF_6TensorESK_SK_EERKSK_lbbbEUlllE0_EEPmJS9_EEE10hipError_tPvRmT3_T4_T5_T6_T7_T9_mT8_P12ihipStream_tbDpT10_ENKUlT_T0_E_clISt17integral_constantIbLb1EES1A_EEDaS15_S16_EUlS15_E_NS1_11comp_targetILNS1_3genE3ELNS1_11target_archE908ELNS1_3gpuE7ELNS1_3repE0EEENS1_30default_config_static_selectorELNS0_4arch9wavefront6targetE0EEEvT1_: ; @_ZN7rocprim17ROCPRIM_400000_NS6detail17trampoline_kernelINS0_14default_configENS1_25partition_config_selectorILNS1_17partition_subalgoE9EllbEEZZNS1_14partition_implILS5_9ELb0ES3_jPlS8_PNS0_10empty_typeENS0_5tupleIJS8_S9_EEENSB_IJS8_SA_EEENS0_18inequality_wrapperIZN2at6native12_GLOBAL__N_124unique_dim_cuda_templateIiEESt5tupleIJNSF_6TensorESK_SK_EERKSK_lbbbEUlllE0_EEPmJS9_EEE10hipError_tPvRmT3_T4_T5_T6_T7_T9_mT8_P12ihipStream_tbDpT10_ENKUlT_T0_E_clISt17integral_constantIbLb1EES1A_EEDaS15_S16_EUlS15_E_NS1_11comp_targetILNS1_3genE3ELNS1_11target_archE908ELNS1_3gpuE7ELNS1_3repE0EEENS1_30default_config_static_selectorELNS0_4arch9wavefront6targetE0EEEvT1_
; %bb.0:
	.section	.rodata,"a",@progbits
	.p2align	6, 0x0
	.amdhsa_kernel _ZN7rocprim17ROCPRIM_400000_NS6detail17trampoline_kernelINS0_14default_configENS1_25partition_config_selectorILNS1_17partition_subalgoE9EllbEEZZNS1_14partition_implILS5_9ELb0ES3_jPlS8_PNS0_10empty_typeENS0_5tupleIJS8_S9_EEENSB_IJS8_SA_EEENS0_18inequality_wrapperIZN2at6native12_GLOBAL__N_124unique_dim_cuda_templateIiEESt5tupleIJNSF_6TensorESK_SK_EERKSK_lbbbEUlllE0_EEPmJS9_EEE10hipError_tPvRmT3_T4_T5_T6_T7_T9_mT8_P12ihipStream_tbDpT10_ENKUlT_T0_E_clISt17integral_constantIbLb1EES1A_EEDaS15_S16_EUlS15_E_NS1_11comp_targetILNS1_3genE3ELNS1_11target_archE908ELNS1_3gpuE7ELNS1_3repE0EEENS1_30default_config_static_selectorELNS0_4arch9wavefront6targetE0EEEvT1_
		.amdhsa_group_segment_fixed_size 0
		.amdhsa_private_segment_fixed_size 0
		.amdhsa_kernarg_size 136
		.amdhsa_user_sgpr_count 2
		.amdhsa_user_sgpr_dispatch_ptr 0
		.amdhsa_user_sgpr_queue_ptr 0
		.amdhsa_user_sgpr_kernarg_segment_ptr 1
		.amdhsa_user_sgpr_dispatch_id 0
		.amdhsa_user_sgpr_kernarg_preload_length 0
		.amdhsa_user_sgpr_kernarg_preload_offset 0
		.amdhsa_user_sgpr_private_segment_size 0
		.amdhsa_wavefront_size32 1
		.amdhsa_uses_dynamic_stack 0
		.amdhsa_enable_private_segment 0
		.amdhsa_system_sgpr_workgroup_id_x 1
		.amdhsa_system_sgpr_workgroup_id_y 0
		.amdhsa_system_sgpr_workgroup_id_z 0
		.amdhsa_system_sgpr_workgroup_info 0
		.amdhsa_system_vgpr_workitem_id 0
		.amdhsa_next_free_vgpr 1
		.amdhsa_next_free_sgpr 1
		.amdhsa_named_barrier_count 0
		.amdhsa_reserve_vcc 0
		.amdhsa_float_round_mode_32 0
		.amdhsa_float_round_mode_16_64 0
		.amdhsa_float_denorm_mode_32 3
		.amdhsa_float_denorm_mode_16_64 3
		.amdhsa_fp16_overflow 0
		.amdhsa_memory_ordered 1
		.amdhsa_forward_progress 1
		.amdhsa_inst_pref_size 0
		.amdhsa_round_robin_scheduling 0
		.amdhsa_exception_fp_ieee_invalid_op 0
		.amdhsa_exception_fp_denorm_src 0
		.amdhsa_exception_fp_ieee_div_zero 0
		.amdhsa_exception_fp_ieee_overflow 0
		.amdhsa_exception_fp_ieee_underflow 0
		.amdhsa_exception_fp_ieee_inexact 0
		.amdhsa_exception_int_div_zero 0
	.end_amdhsa_kernel
	.section	.text._ZN7rocprim17ROCPRIM_400000_NS6detail17trampoline_kernelINS0_14default_configENS1_25partition_config_selectorILNS1_17partition_subalgoE9EllbEEZZNS1_14partition_implILS5_9ELb0ES3_jPlS8_PNS0_10empty_typeENS0_5tupleIJS8_S9_EEENSB_IJS8_SA_EEENS0_18inequality_wrapperIZN2at6native12_GLOBAL__N_124unique_dim_cuda_templateIiEESt5tupleIJNSF_6TensorESK_SK_EERKSK_lbbbEUlllE0_EEPmJS9_EEE10hipError_tPvRmT3_T4_T5_T6_T7_T9_mT8_P12ihipStream_tbDpT10_ENKUlT_T0_E_clISt17integral_constantIbLb1EES1A_EEDaS15_S16_EUlS15_E_NS1_11comp_targetILNS1_3genE3ELNS1_11target_archE908ELNS1_3gpuE7ELNS1_3repE0EEENS1_30default_config_static_selectorELNS0_4arch9wavefront6targetE0EEEvT1_,"axG",@progbits,_ZN7rocprim17ROCPRIM_400000_NS6detail17trampoline_kernelINS0_14default_configENS1_25partition_config_selectorILNS1_17partition_subalgoE9EllbEEZZNS1_14partition_implILS5_9ELb0ES3_jPlS8_PNS0_10empty_typeENS0_5tupleIJS8_S9_EEENSB_IJS8_SA_EEENS0_18inequality_wrapperIZN2at6native12_GLOBAL__N_124unique_dim_cuda_templateIiEESt5tupleIJNSF_6TensorESK_SK_EERKSK_lbbbEUlllE0_EEPmJS9_EEE10hipError_tPvRmT3_T4_T5_T6_T7_T9_mT8_P12ihipStream_tbDpT10_ENKUlT_T0_E_clISt17integral_constantIbLb1EES1A_EEDaS15_S16_EUlS15_E_NS1_11comp_targetILNS1_3genE3ELNS1_11target_archE908ELNS1_3gpuE7ELNS1_3repE0EEENS1_30default_config_static_selectorELNS0_4arch9wavefront6targetE0EEEvT1_,comdat
.Lfunc_end484:
	.size	_ZN7rocprim17ROCPRIM_400000_NS6detail17trampoline_kernelINS0_14default_configENS1_25partition_config_selectorILNS1_17partition_subalgoE9EllbEEZZNS1_14partition_implILS5_9ELb0ES3_jPlS8_PNS0_10empty_typeENS0_5tupleIJS8_S9_EEENSB_IJS8_SA_EEENS0_18inequality_wrapperIZN2at6native12_GLOBAL__N_124unique_dim_cuda_templateIiEESt5tupleIJNSF_6TensorESK_SK_EERKSK_lbbbEUlllE0_EEPmJS9_EEE10hipError_tPvRmT3_T4_T5_T6_T7_T9_mT8_P12ihipStream_tbDpT10_ENKUlT_T0_E_clISt17integral_constantIbLb1EES1A_EEDaS15_S16_EUlS15_E_NS1_11comp_targetILNS1_3genE3ELNS1_11target_archE908ELNS1_3gpuE7ELNS1_3repE0EEENS1_30default_config_static_selectorELNS0_4arch9wavefront6targetE0EEEvT1_, .Lfunc_end484-_ZN7rocprim17ROCPRIM_400000_NS6detail17trampoline_kernelINS0_14default_configENS1_25partition_config_selectorILNS1_17partition_subalgoE9EllbEEZZNS1_14partition_implILS5_9ELb0ES3_jPlS8_PNS0_10empty_typeENS0_5tupleIJS8_S9_EEENSB_IJS8_SA_EEENS0_18inequality_wrapperIZN2at6native12_GLOBAL__N_124unique_dim_cuda_templateIiEESt5tupleIJNSF_6TensorESK_SK_EERKSK_lbbbEUlllE0_EEPmJS9_EEE10hipError_tPvRmT3_T4_T5_T6_T7_T9_mT8_P12ihipStream_tbDpT10_ENKUlT_T0_E_clISt17integral_constantIbLb1EES1A_EEDaS15_S16_EUlS15_E_NS1_11comp_targetILNS1_3genE3ELNS1_11target_archE908ELNS1_3gpuE7ELNS1_3repE0EEENS1_30default_config_static_selectorELNS0_4arch9wavefront6targetE0EEEvT1_
                                        ; -- End function
	.set _ZN7rocprim17ROCPRIM_400000_NS6detail17trampoline_kernelINS0_14default_configENS1_25partition_config_selectorILNS1_17partition_subalgoE9EllbEEZZNS1_14partition_implILS5_9ELb0ES3_jPlS8_PNS0_10empty_typeENS0_5tupleIJS8_S9_EEENSB_IJS8_SA_EEENS0_18inequality_wrapperIZN2at6native12_GLOBAL__N_124unique_dim_cuda_templateIiEESt5tupleIJNSF_6TensorESK_SK_EERKSK_lbbbEUlllE0_EEPmJS9_EEE10hipError_tPvRmT3_T4_T5_T6_T7_T9_mT8_P12ihipStream_tbDpT10_ENKUlT_T0_E_clISt17integral_constantIbLb1EES1A_EEDaS15_S16_EUlS15_E_NS1_11comp_targetILNS1_3genE3ELNS1_11target_archE908ELNS1_3gpuE7ELNS1_3repE0EEENS1_30default_config_static_selectorELNS0_4arch9wavefront6targetE0EEEvT1_.num_vgpr, 0
	.set _ZN7rocprim17ROCPRIM_400000_NS6detail17trampoline_kernelINS0_14default_configENS1_25partition_config_selectorILNS1_17partition_subalgoE9EllbEEZZNS1_14partition_implILS5_9ELb0ES3_jPlS8_PNS0_10empty_typeENS0_5tupleIJS8_S9_EEENSB_IJS8_SA_EEENS0_18inequality_wrapperIZN2at6native12_GLOBAL__N_124unique_dim_cuda_templateIiEESt5tupleIJNSF_6TensorESK_SK_EERKSK_lbbbEUlllE0_EEPmJS9_EEE10hipError_tPvRmT3_T4_T5_T6_T7_T9_mT8_P12ihipStream_tbDpT10_ENKUlT_T0_E_clISt17integral_constantIbLb1EES1A_EEDaS15_S16_EUlS15_E_NS1_11comp_targetILNS1_3genE3ELNS1_11target_archE908ELNS1_3gpuE7ELNS1_3repE0EEENS1_30default_config_static_selectorELNS0_4arch9wavefront6targetE0EEEvT1_.num_agpr, 0
	.set _ZN7rocprim17ROCPRIM_400000_NS6detail17trampoline_kernelINS0_14default_configENS1_25partition_config_selectorILNS1_17partition_subalgoE9EllbEEZZNS1_14partition_implILS5_9ELb0ES3_jPlS8_PNS0_10empty_typeENS0_5tupleIJS8_S9_EEENSB_IJS8_SA_EEENS0_18inequality_wrapperIZN2at6native12_GLOBAL__N_124unique_dim_cuda_templateIiEESt5tupleIJNSF_6TensorESK_SK_EERKSK_lbbbEUlllE0_EEPmJS9_EEE10hipError_tPvRmT3_T4_T5_T6_T7_T9_mT8_P12ihipStream_tbDpT10_ENKUlT_T0_E_clISt17integral_constantIbLb1EES1A_EEDaS15_S16_EUlS15_E_NS1_11comp_targetILNS1_3genE3ELNS1_11target_archE908ELNS1_3gpuE7ELNS1_3repE0EEENS1_30default_config_static_selectorELNS0_4arch9wavefront6targetE0EEEvT1_.numbered_sgpr, 0
	.set _ZN7rocprim17ROCPRIM_400000_NS6detail17trampoline_kernelINS0_14default_configENS1_25partition_config_selectorILNS1_17partition_subalgoE9EllbEEZZNS1_14partition_implILS5_9ELb0ES3_jPlS8_PNS0_10empty_typeENS0_5tupleIJS8_S9_EEENSB_IJS8_SA_EEENS0_18inequality_wrapperIZN2at6native12_GLOBAL__N_124unique_dim_cuda_templateIiEESt5tupleIJNSF_6TensorESK_SK_EERKSK_lbbbEUlllE0_EEPmJS9_EEE10hipError_tPvRmT3_T4_T5_T6_T7_T9_mT8_P12ihipStream_tbDpT10_ENKUlT_T0_E_clISt17integral_constantIbLb1EES1A_EEDaS15_S16_EUlS15_E_NS1_11comp_targetILNS1_3genE3ELNS1_11target_archE908ELNS1_3gpuE7ELNS1_3repE0EEENS1_30default_config_static_selectorELNS0_4arch9wavefront6targetE0EEEvT1_.num_named_barrier, 0
	.set _ZN7rocprim17ROCPRIM_400000_NS6detail17trampoline_kernelINS0_14default_configENS1_25partition_config_selectorILNS1_17partition_subalgoE9EllbEEZZNS1_14partition_implILS5_9ELb0ES3_jPlS8_PNS0_10empty_typeENS0_5tupleIJS8_S9_EEENSB_IJS8_SA_EEENS0_18inequality_wrapperIZN2at6native12_GLOBAL__N_124unique_dim_cuda_templateIiEESt5tupleIJNSF_6TensorESK_SK_EERKSK_lbbbEUlllE0_EEPmJS9_EEE10hipError_tPvRmT3_T4_T5_T6_T7_T9_mT8_P12ihipStream_tbDpT10_ENKUlT_T0_E_clISt17integral_constantIbLb1EES1A_EEDaS15_S16_EUlS15_E_NS1_11comp_targetILNS1_3genE3ELNS1_11target_archE908ELNS1_3gpuE7ELNS1_3repE0EEENS1_30default_config_static_selectorELNS0_4arch9wavefront6targetE0EEEvT1_.private_seg_size, 0
	.set _ZN7rocprim17ROCPRIM_400000_NS6detail17trampoline_kernelINS0_14default_configENS1_25partition_config_selectorILNS1_17partition_subalgoE9EllbEEZZNS1_14partition_implILS5_9ELb0ES3_jPlS8_PNS0_10empty_typeENS0_5tupleIJS8_S9_EEENSB_IJS8_SA_EEENS0_18inequality_wrapperIZN2at6native12_GLOBAL__N_124unique_dim_cuda_templateIiEESt5tupleIJNSF_6TensorESK_SK_EERKSK_lbbbEUlllE0_EEPmJS9_EEE10hipError_tPvRmT3_T4_T5_T6_T7_T9_mT8_P12ihipStream_tbDpT10_ENKUlT_T0_E_clISt17integral_constantIbLb1EES1A_EEDaS15_S16_EUlS15_E_NS1_11comp_targetILNS1_3genE3ELNS1_11target_archE908ELNS1_3gpuE7ELNS1_3repE0EEENS1_30default_config_static_selectorELNS0_4arch9wavefront6targetE0EEEvT1_.uses_vcc, 0
	.set _ZN7rocprim17ROCPRIM_400000_NS6detail17trampoline_kernelINS0_14default_configENS1_25partition_config_selectorILNS1_17partition_subalgoE9EllbEEZZNS1_14partition_implILS5_9ELb0ES3_jPlS8_PNS0_10empty_typeENS0_5tupleIJS8_S9_EEENSB_IJS8_SA_EEENS0_18inequality_wrapperIZN2at6native12_GLOBAL__N_124unique_dim_cuda_templateIiEESt5tupleIJNSF_6TensorESK_SK_EERKSK_lbbbEUlllE0_EEPmJS9_EEE10hipError_tPvRmT3_T4_T5_T6_T7_T9_mT8_P12ihipStream_tbDpT10_ENKUlT_T0_E_clISt17integral_constantIbLb1EES1A_EEDaS15_S16_EUlS15_E_NS1_11comp_targetILNS1_3genE3ELNS1_11target_archE908ELNS1_3gpuE7ELNS1_3repE0EEENS1_30default_config_static_selectorELNS0_4arch9wavefront6targetE0EEEvT1_.uses_flat_scratch, 0
	.set _ZN7rocprim17ROCPRIM_400000_NS6detail17trampoline_kernelINS0_14default_configENS1_25partition_config_selectorILNS1_17partition_subalgoE9EllbEEZZNS1_14partition_implILS5_9ELb0ES3_jPlS8_PNS0_10empty_typeENS0_5tupleIJS8_S9_EEENSB_IJS8_SA_EEENS0_18inequality_wrapperIZN2at6native12_GLOBAL__N_124unique_dim_cuda_templateIiEESt5tupleIJNSF_6TensorESK_SK_EERKSK_lbbbEUlllE0_EEPmJS9_EEE10hipError_tPvRmT3_T4_T5_T6_T7_T9_mT8_P12ihipStream_tbDpT10_ENKUlT_T0_E_clISt17integral_constantIbLb1EES1A_EEDaS15_S16_EUlS15_E_NS1_11comp_targetILNS1_3genE3ELNS1_11target_archE908ELNS1_3gpuE7ELNS1_3repE0EEENS1_30default_config_static_selectorELNS0_4arch9wavefront6targetE0EEEvT1_.has_dyn_sized_stack, 0
	.set _ZN7rocprim17ROCPRIM_400000_NS6detail17trampoline_kernelINS0_14default_configENS1_25partition_config_selectorILNS1_17partition_subalgoE9EllbEEZZNS1_14partition_implILS5_9ELb0ES3_jPlS8_PNS0_10empty_typeENS0_5tupleIJS8_S9_EEENSB_IJS8_SA_EEENS0_18inequality_wrapperIZN2at6native12_GLOBAL__N_124unique_dim_cuda_templateIiEESt5tupleIJNSF_6TensorESK_SK_EERKSK_lbbbEUlllE0_EEPmJS9_EEE10hipError_tPvRmT3_T4_T5_T6_T7_T9_mT8_P12ihipStream_tbDpT10_ENKUlT_T0_E_clISt17integral_constantIbLb1EES1A_EEDaS15_S16_EUlS15_E_NS1_11comp_targetILNS1_3genE3ELNS1_11target_archE908ELNS1_3gpuE7ELNS1_3repE0EEENS1_30default_config_static_selectorELNS0_4arch9wavefront6targetE0EEEvT1_.has_recursion, 0
	.set _ZN7rocprim17ROCPRIM_400000_NS6detail17trampoline_kernelINS0_14default_configENS1_25partition_config_selectorILNS1_17partition_subalgoE9EllbEEZZNS1_14partition_implILS5_9ELb0ES3_jPlS8_PNS0_10empty_typeENS0_5tupleIJS8_S9_EEENSB_IJS8_SA_EEENS0_18inequality_wrapperIZN2at6native12_GLOBAL__N_124unique_dim_cuda_templateIiEESt5tupleIJNSF_6TensorESK_SK_EERKSK_lbbbEUlllE0_EEPmJS9_EEE10hipError_tPvRmT3_T4_T5_T6_T7_T9_mT8_P12ihipStream_tbDpT10_ENKUlT_T0_E_clISt17integral_constantIbLb1EES1A_EEDaS15_S16_EUlS15_E_NS1_11comp_targetILNS1_3genE3ELNS1_11target_archE908ELNS1_3gpuE7ELNS1_3repE0EEENS1_30default_config_static_selectorELNS0_4arch9wavefront6targetE0EEEvT1_.has_indirect_call, 0
	.section	.AMDGPU.csdata,"",@progbits
; Kernel info:
; codeLenInByte = 0
; TotalNumSgprs: 0
; NumVgprs: 0
; ScratchSize: 0
; MemoryBound: 0
; FloatMode: 240
; IeeeMode: 1
; LDSByteSize: 0 bytes/workgroup (compile time only)
; SGPRBlocks: 0
; VGPRBlocks: 0
; NumSGPRsForWavesPerEU: 1
; NumVGPRsForWavesPerEU: 1
; NamedBarCnt: 0
; Occupancy: 16
; WaveLimiterHint : 0
; COMPUTE_PGM_RSRC2:SCRATCH_EN: 0
; COMPUTE_PGM_RSRC2:USER_SGPR: 2
; COMPUTE_PGM_RSRC2:TRAP_HANDLER: 0
; COMPUTE_PGM_RSRC2:TGID_X_EN: 1
; COMPUTE_PGM_RSRC2:TGID_Y_EN: 0
; COMPUTE_PGM_RSRC2:TGID_Z_EN: 0
; COMPUTE_PGM_RSRC2:TIDIG_COMP_CNT: 0
	.section	.text._ZN7rocprim17ROCPRIM_400000_NS6detail17trampoline_kernelINS0_14default_configENS1_25partition_config_selectorILNS1_17partition_subalgoE9EllbEEZZNS1_14partition_implILS5_9ELb0ES3_jPlS8_PNS0_10empty_typeENS0_5tupleIJS8_S9_EEENSB_IJS8_SA_EEENS0_18inequality_wrapperIZN2at6native12_GLOBAL__N_124unique_dim_cuda_templateIiEESt5tupleIJNSF_6TensorESK_SK_EERKSK_lbbbEUlllE0_EEPmJS9_EEE10hipError_tPvRmT3_T4_T5_T6_T7_T9_mT8_P12ihipStream_tbDpT10_ENKUlT_T0_E_clISt17integral_constantIbLb1EES1A_EEDaS15_S16_EUlS15_E_NS1_11comp_targetILNS1_3genE2ELNS1_11target_archE906ELNS1_3gpuE6ELNS1_3repE0EEENS1_30default_config_static_selectorELNS0_4arch9wavefront6targetE0EEEvT1_,"axG",@progbits,_ZN7rocprim17ROCPRIM_400000_NS6detail17trampoline_kernelINS0_14default_configENS1_25partition_config_selectorILNS1_17partition_subalgoE9EllbEEZZNS1_14partition_implILS5_9ELb0ES3_jPlS8_PNS0_10empty_typeENS0_5tupleIJS8_S9_EEENSB_IJS8_SA_EEENS0_18inequality_wrapperIZN2at6native12_GLOBAL__N_124unique_dim_cuda_templateIiEESt5tupleIJNSF_6TensorESK_SK_EERKSK_lbbbEUlllE0_EEPmJS9_EEE10hipError_tPvRmT3_T4_T5_T6_T7_T9_mT8_P12ihipStream_tbDpT10_ENKUlT_T0_E_clISt17integral_constantIbLb1EES1A_EEDaS15_S16_EUlS15_E_NS1_11comp_targetILNS1_3genE2ELNS1_11target_archE906ELNS1_3gpuE6ELNS1_3repE0EEENS1_30default_config_static_selectorELNS0_4arch9wavefront6targetE0EEEvT1_,comdat
	.globl	_ZN7rocprim17ROCPRIM_400000_NS6detail17trampoline_kernelINS0_14default_configENS1_25partition_config_selectorILNS1_17partition_subalgoE9EllbEEZZNS1_14partition_implILS5_9ELb0ES3_jPlS8_PNS0_10empty_typeENS0_5tupleIJS8_S9_EEENSB_IJS8_SA_EEENS0_18inequality_wrapperIZN2at6native12_GLOBAL__N_124unique_dim_cuda_templateIiEESt5tupleIJNSF_6TensorESK_SK_EERKSK_lbbbEUlllE0_EEPmJS9_EEE10hipError_tPvRmT3_T4_T5_T6_T7_T9_mT8_P12ihipStream_tbDpT10_ENKUlT_T0_E_clISt17integral_constantIbLb1EES1A_EEDaS15_S16_EUlS15_E_NS1_11comp_targetILNS1_3genE2ELNS1_11target_archE906ELNS1_3gpuE6ELNS1_3repE0EEENS1_30default_config_static_selectorELNS0_4arch9wavefront6targetE0EEEvT1_ ; -- Begin function _ZN7rocprim17ROCPRIM_400000_NS6detail17trampoline_kernelINS0_14default_configENS1_25partition_config_selectorILNS1_17partition_subalgoE9EllbEEZZNS1_14partition_implILS5_9ELb0ES3_jPlS8_PNS0_10empty_typeENS0_5tupleIJS8_S9_EEENSB_IJS8_SA_EEENS0_18inequality_wrapperIZN2at6native12_GLOBAL__N_124unique_dim_cuda_templateIiEESt5tupleIJNSF_6TensorESK_SK_EERKSK_lbbbEUlllE0_EEPmJS9_EEE10hipError_tPvRmT3_T4_T5_T6_T7_T9_mT8_P12ihipStream_tbDpT10_ENKUlT_T0_E_clISt17integral_constantIbLb1EES1A_EEDaS15_S16_EUlS15_E_NS1_11comp_targetILNS1_3genE2ELNS1_11target_archE906ELNS1_3gpuE6ELNS1_3repE0EEENS1_30default_config_static_selectorELNS0_4arch9wavefront6targetE0EEEvT1_
	.p2align	8
	.type	_ZN7rocprim17ROCPRIM_400000_NS6detail17trampoline_kernelINS0_14default_configENS1_25partition_config_selectorILNS1_17partition_subalgoE9EllbEEZZNS1_14partition_implILS5_9ELb0ES3_jPlS8_PNS0_10empty_typeENS0_5tupleIJS8_S9_EEENSB_IJS8_SA_EEENS0_18inequality_wrapperIZN2at6native12_GLOBAL__N_124unique_dim_cuda_templateIiEESt5tupleIJNSF_6TensorESK_SK_EERKSK_lbbbEUlllE0_EEPmJS9_EEE10hipError_tPvRmT3_T4_T5_T6_T7_T9_mT8_P12ihipStream_tbDpT10_ENKUlT_T0_E_clISt17integral_constantIbLb1EES1A_EEDaS15_S16_EUlS15_E_NS1_11comp_targetILNS1_3genE2ELNS1_11target_archE906ELNS1_3gpuE6ELNS1_3repE0EEENS1_30default_config_static_selectorELNS0_4arch9wavefront6targetE0EEEvT1_,@function
_ZN7rocprim17ROCPRIM_400000_NS6detail17trampoline_kernelINS0_14default_configENS1_25partition_config_selectorILNS1_17partition_subalgoE9EllbEEZZNS1_14partition_implILS5_9ELb0ES3_jPlS8_PNS0_10empty_typeENS0_5tupleIJS8_S9_EEENSB_IJS8_SA_EEENS0_18inequality_wrapperIZN2at6native12_GLOBAL__N_124unique_dim_cuda_templateIiEESt5tupleIJNSF_6TensorESK_SK_EERKSK_lbbbEUlllE0_EEPmJS9_EEE10hipError_tPvRmT3_T4_T5_T6_T7_T9_mT8_P12ihipStream_tbDpT10_ENKUlT_T0_E_clISt17integral_constantIbLb1EES1A_EEDaS15_S16_EUlS15_E_NS1_11comp_targetILNS1_3genE2ELNS1_11target_archE906ELNS1_3gpuE6ELNS1_3repE0EEENS1_30default_config_static_selectorELNS0_4arch9wavefront6targetE0EEEvT1_: ; @_ZN7rocprim17ROCPRIM_400000_NS6detail17trampoline_kernelINS0_14default_configENS1_25partition_config_selectorILNS1_17partition_subalgoE9EllbEEZZNS1_14partition_implILS5_9ELb0ES3_jPlS8_PNS0_10empty_typeENS0_5tupleIJS8_S9_EEENSB_IJS8_SA_EEENS0_18inequality_wrapperIZN2at6native12_GLOBAL__N_124unique_dim_cuda_templateIiEESt5tupleIJNSF_6TensorESK_SK_EERKSK_lbbbEUlllE0_EEPmJS9_EEE10hipError_tPvRmT3_T4_T5_T6_T7_T9_mT8_P12ihipStream_tbDpT10_ENKUlT_T0_E_clISt17integral_constantIbLb1EES1A_EEDaS15_S16_EUlS15_E_NS1_11comp_targetILNS1_3genE2ELNS1_11target_archE906ELNS1_3gpuE6ELNS1_3repE0EEENS1_30default_config_static_selectorELNS0_4arch9wavefront6targetE0EEEvT1_
; %bb.0:
	.section	.rodata,"a",@progbits
	.p2align	6, 0x0
	.amdhsa_kernel _ZN7rocprim17ROCPRIM_400000_NS6detail17trampoline_kernelINS0_14default_configENS1_25partition_config_selectorILNS1_17partition_subalgoE9EllbEEZZNS1_14partition_implILS5_9ELb0ES3_jPlS8_PNS0_10empty_typeENS0_5tupleIJS8_S9_EEENSB_IJS8_SA_EEENS0_18inequality_wrapperIZN2at6native12_GLOBAL__N_124unique_dim_cuda_templateIiEESt5tupleIJNSF_6TensorESK_SK_EERKSK_lbbbEUlllE0_EEPmJS9_EEE10hipError_tPvRmT3_T4_T5_T6_T7_T9_mT8_P12ihipStream_tbDpT10_ENKUlT_T0_E_clISt17integral_constantIbLb1EES1A_EEDaS15_S16_EUlS15_E_NS1_11comp_targetILNS1_3genE2ELNS1_11target_archE906ELNS1_3gpuE6ELNS1_3repE0EEENS1_30default_config_static_selectorELNS0_4arch9wavefront6targetE0EEEvT1_
		.amdhsa_group_segment_fixed_size 0
		.amdhsa_private_segment_fixed_size 0
		.amdhsa_kernarg_size 136
		.amdhsa_user_sgpr_count 2
		.amdhsa_user_sgpr_dispatch_ptr 0
		.amdhsa_user_sgpr_queue_ptr 0
		.amdhsa_user_sgpr_kernarg_segment_ptr 1
		.amdhsa_user_sgpr_dispatch_id 0
		.amdhsa_user_sgpr_kernarg_preload_length 0
		.amdhsa_user_sgpr_kernarg_preload_offset 0
		.amdhsa_user_sgpr_private_segment_size 0
		.amdhsa_wavefront_size32 1
		.amdhsa_uses_dynamic_stack 0
		.amdhsa_enable_private_segment 0
		.amdhsa_system_sgpr_workgroup_id_x 1
		.amdhsa_system_sgpr_workgroup_id_y 0
		.amdhsa_system_sgpr_workgroup_id_z 0
		.amdhsa_system_sgpr_workgroup_info 0
		.amdhsa_system_vgpr_workitem_id 0
		.amdhsa_next_free_vgpr 1
		.amdhsa_next_free_sgpr 1
		.amdhsa_named_barrier_count 0
		.amdhsa_reserve_vcc 0
		.amdhsa_float_round_mode_32 0
		.amdhsa_float_round_mode_16_64 0
		.amdhsa_float_denorm_mode_32 3
		.amdhsa_float_denorm_mode_16_64 3
		.amdhsa_fp16_overflow 0
		.amdhsa_memory_ordered 1
		.amdhsa_forward_progress 1
		.amdhsa_inst_pref_size 0
		.amdhsa_round_robin_scheduling 0
		.amdhsa_exception_fp_ieee_invalid_op 0
		.amdhsa_exception_fp_denorm_src 0
		.amdhsa_exception_fp_ieee_div_zero 0
		.amdhsa_exception_fp_ieee_overflow 0
		.amdhsa_exception_fp_ieee_underflow 0
		.amdhsa_exception_fp_ieee_inexact 0
		.amdhsa_exception_int_div_zero 0
	.end_amdhsa_kernel
	.section	.text._ZN7rocprim17ROCPRIM_400000_NS6detail17trampoline_kernelINS0_14default_configENS1_25partition_config_selectorILNS1_17partition_subalgoE9EllbEEZZNS1_14partition_implILS5_9ELb0ES3_jPlS8_PNS0_10empty_typeENS0_5tupleIJS8_S9_EEENSB_IJS8_SA_EEENS0_18inequality_wrapperIZN2at6native12_GLOBAL__N_124unique_dim_cuda_templateIiEESt5tupleIJNSF_6TensorESK_SK_EERKSK_lbbbEUlllE0_EEPmJS9_EEE10hipError_tPvRmT3_T4_T5_T6_T7_T9_mT8_P12ihipStream_tbDpT10_ENKUlT_T0_E_clISt17integral_constantIbLb1EES1A_EEDaS15_S16_EUlS15_E_NS1_11comp_targetILNS1_3genE2ELNS1_11target_archE906ELNS1_3gpuE6ELNS1_3repE0EEENS1_30default_config_static_selectorELNS0_4arch9wavefront6targetE0EEEvT1_,"axG",@progbits,_ZN7rocprim17ROCPRIM_400000_NS6detail17trampoline_kernelINS0_14default_configENS1_25partition_config_selectorILNS1_17partition_subalgoE9EllbEEZZNS1_14partition_implILS5_9ELb0ES3_jPlS8_PNS0_10empty_typeENS0_5tupleIJS8_S9_EEENSB_IJS8_SA_EEENS0_18inequality_wrapperIZN2at6native12_GLOBAL__N_124unique_dim_cuda_templateIiEESt5tupleIJNSF_6TensorESK_SK_EERKSK_lbbbEUlllE0_EEPmJS9_EEE10hipError_tPvRmT3_T4_T5_T6_T7_T9_mT8_P12ihipStream_tbDpT10_ENKUlT_T0_E_clISt17integral_constantIbLb1EES1A_EEDaS15_S16_EUlS15_E_NS1_11comp_targetILNS1_3genE2ELNS1_11target_archE906ELNS1_3gpuE6ELNS1_3repE0EEENS1_30default_config_static_selectorELNS0_4arch9wavefront6targetE0EEEvT1_,comdat
.Lfunc_end485:
	.size	_ZN7rocprim17ROCPRIM_400000_NS6detail17trampoline_kernelINS0_14default_configENS1_25partition_config_selectorILNS1_17partition_subalgoE9EllbEEZZNS1_14partition_implILS5_9ELb0ES3_jPlS8_PNS0_10empty_typeENS0_5tupleIJS8_S9_EEENSB_IJS8_SA_EEENS0_18inequality_wrapperIZN2at6native12_GLOBAL__N_124unique_dim_cuda_templateIiEESt5tupleIJNSF_6TensorESK_SK_EERKSK_lbbbEUlllE0_EEPmJS9_EEE10hipError_tPvRmT3_T4_T5_T6_T7_T9_mT8_P12ihipStream_tbDpT10_ENKUlT_T0_E_clISt17integral_constantIbLb1EES1A_EEDaS15_S16_EUlS15_E_NS1_11comp_targetILNS1_3genE2ELNS1_11target_archE906ELNS1_3gpuE6ELNS1_3repE0EEENS1_30default_config_static_selectorELNS0_4arch9wavefront6targetE0EEEvT1_, .Lfunc_end485-_ZN7rocprim17ROCPRIM_400000_NS6detail17trampoline_kernelINS0_14default_configENS1_25partition_config_selectorILNS1_17partition_subalgoE9EllbEEZZNS1_14partition_implILS5_9ELb0ES3_jPlS8_PNS0_10empty_typeENS0_5tupleIJS8_S9_EEENSB_IJS8_SA_EEENS0_18inequality_wrapperIZN2at6native12_GLOBAL__N_124unique_dim_cuda_templateIiEESt5tupleIJNSF_6TensorESK_SK_EERKSK_lbbbEUlllE0_EEPmJS9_EEE10hipError_tPvRmT3_T4_T5_T6_T7_T9_mT8_P12ihipStream_tbDpT10_ENKUlT_T0_E_clISt17integral_constantIbLb1EES1A_EEDaS15_S16_EUlS15_E_NS1_11comp_targetILNS1_3genE2ELNS1_11target_archE906ELNS1_3gpuE6ELNS1_3repE0EEENS1_30default_config_static_selectorELNS0_4arch9wavefront6targetE0EEEvT1_
                                        ; -- End function
	.set _ZN7rocprim17ROCPRIM_400000_NS6detail17trampoline_kernelINS0_14default_configENS1_25partition_config_selectorILNS1_17partition_subalgoE9EllbEEZZNS1_14partition_implILS5_9ELb0ES3_jPlS8_PNS0_10empty_typeENS0_5tupleIJS8_S9_EEENSB_IJS8_SA_EEENS0_18inequality_wrapperIZN2at6native12_GLOBAL__N_124unique_dim_cuda_templateIiEESt5tupleIJNSF_6TensorESK_SK_EERKSK_lbbbEUlllE0_EEPmJS9_EEE10hipError_tPvRmT3_T4_T5_T6_T7_T9_mT8_P12ihipStream_tbDpT10_ENKUlT_T0_E_clISt17integral_constantIbLb1EES1A_EEDaS15_S16_EUlS15_E_NS1_11comp_targetILNS1_3genE2ELNS1_11target_archE906ELNS1_3gpuE6ELNS1_3repE0EEENS1_30default_config_static_selectorELNS0_4arch9wavefront6targetE0EEEvT1_.num_vgpr, 0
	.set _ZN7rocprim17ROCPRIM_400000_NS6detail17trampoline_kernelINS0_14default_configENS1_25partition_config_selectorILNS1_17partition_subalgoE9EllbEEZZNS1_14partition_implILS5_9ELb0ES3_jPlS8_PNS0_10empty_typeENS0_5tupleIJS8_S9_EEENSB_IJS8_SA_EEENS0_18inequality_wrapperIZN2at6native12_GLOBAL__N_124unique_dim_cuda_templateIiEESt5tupleIJNSF_6TensorESK_SK_EERKSK_lbbbEUlllE0_EEPmJS9_EEE10hipError_tPvRmT3_T4_T5_T6_T7_T9_mT8_P12ihipStream_tbDpT10_ENKUlT_T0_E_clISt17integral_constantIbLb1EES1A_EEDaS15_S16_EUlS15_E_NS1_11comp_targetILNS1_3genE2ELNS1_11target_archE906ELNS1_3gpuE6ELNS1_3repE0EEENS1_30default_config_static_selectorELNS0_4arch9wavefront6targetE0EEEvT1_.num_agpr, 0
	.set _ZN7rocprim17ROCPRIM_400000_NS6detail17trampoline_kernelINS0_14default_configENS1_25partition_config_selectorILNS1_17partition_subalgoE9EllbEEZZNS1_14partition_implILS5_9ELb0ES3_jPlS8_PNS0_10empty_typeENS0_5tupleIJS8_S9_EEENSB_IJS8_SA_EEENS0_18inequality_wrapperIZN2at6native12_GLOBAL__N_124unique_dim_cuda_templateIiEESt5tupleIJNSF_6TensorESK_SK_EERKSK_lbbbEUlllE0_EEPmJS9_EEE10hipError_tPvRmT3_T4_T5_T6_T7_T9_mT8_P12ihipStream_tbDpT10_ENKUlT_T0_E_clISt17integral_constantIbLb1EES1A_EEDaS15_S16_EUlS15_E_NS1_11comp_targetILNS1_3genE2ELNS1_11target_archE906ELNS1_3gpuE6ELNS1_3repE0EEENS1_30default_config_static_selectorELNS0_4arch9wavefront6targetE0EEEvT1_.numbered_sgpr, 0
	.set _ZN7rocprim17ROCPRIM_400000_NS6detail17trampoline_kernelINS0_14default_configENS1_25partition_config_selectorILNS1_17partition_subalgoE9EllbEEZZNS1_14partition_implILS5_9ELb0ES3_jPlS8_PNS0_10empty_typeENS0_5tupleIJS8_S9_EEENSB_IJS8_SA_EEENS0_18inequality_wrapperIZN2at6native12_GLOBAL__N_124unique_dim_cuda_templateIiEESt5tupleIJNSF_6TensorESK_SK_EERKSK_lbbbEUlllE0_EEPmJS9_EEE10hipError_tPvRmT3_T4_T5_T6_T7_T9_mT8_P12ihipStream_tbDpT10_ENKUlT_T0_E_clISt17integral_constantIbLb1EES1A_EEDaS15_S16_EUlS15_E_NS1_11comp_targetILNS1_3genE2ELNS1_11target_archE906ELNS1_3gpuE6ELNS1_3repE0EEENS1_30default_config_static_selectorELNS0_4arch9wavefront6targetE0EEEvT1_.num_named_barrier, 0
	.set _ZN7rocprim17ROCPRIM_400000_NS6detail17trampoline_kernelINS0_14default_configENS1_25partition_config_selectorILNS1_17partition_subalgoE9EllbEEZZNS1_14partition_implILS5_9ELb0ES3_jPlS8_PNS0_10empty_typeENS0_5tupleIJS8_S9_EEENSB_IJS8_SA_EEENS0_18inequality_wrapperIZN2at6native12_GLOBAL__N_124unique_dim_cuda_templateIiEESt5tupleIJNSF_6TensorESK_SK_EERKSK_lbbbEUlllE0_EEPmJS9_EEE10hipError_tPvRmT3_T4_T5_T6_T7_T9_mT8_P12ihipStream_tbDpT10_ENKUlT_T0_E_clISt17integral_constantIbLb1EES1A_EEDaS15_S16_EUlS15_E_NS1_11comp_targetILNS1_3genE2ELNS1_11target_archE906ELNS1_3gpuE6ELNS1_3repE0EEENS1_30default_config_static_selectorELNS0_4arch9wavefront6targetE0EEEvT1_.private_seg_size, 0
	.set _ZN7rocprim17ROCPRIM_400000_NS6detail17trampoline_kernelINS0_14default_configENS1_25partition_config_selectorILNS1_17partition_subalgoE9EllbEEZZNS1_14partition_implILS5_9ELb0ES3_jPlS8_PNS0_10empty_typeENS0_5tupleIJS8_S9_EEENSB_IJS8_SA_EEENS0_18inequality_wrapperIZN2at6native12_GLOBAL__N_124unique_dim_cuda_templateIiEESt5tupleIJNSF_6TensorESK_SK_EERKSK_lbbbEUlllE0_EEPmJS9_EEE10hipError_tPvRmT3_T4_T5_T6_T7_T9_mT8_P12ihipStream_tbDpT10_ENKUlT_T0_E_clISt17integral_constantIbLb1EES1A_EEDaS15_S16_EUlS15_E_NS1_11comp_targetILNS1_3genE2ELNS1_11target_archE906ELNS1_3gpuE6ELNS1_3repE0EEENS1_30default_config_static_selectorELNS0_4arch9wavefront6targetE0EEEvT1_.uses_vcc, 0
	.set _ZN7rocprim17ROCPRIM_400000_NS6detail17trampoline_kernelINS0_14default_configENS1_25partition_config_selectorILNS1_17partition_subalgoE9EllbEEZZNS1_14partition_implILS5_9ELb0ES3_jPlS8_PNS0_10empty_typeENS0_5tupleIJS8_S9_EEENSB_IJS8_SA_EEENS0_18inequality_wrapperIZN2at6native12_GLOBAL__N_124unique_dim_cuda_templateIiEESt5tupleIJNSF_6TensorESK_SK_EERKSK_lbbbEUlllE0_EEPmJS9_EEE10hipError_tPvRmT3_T4_T5_T6_T7_T9_mT8_P12ihipStream_tbDpT10_ENKUlT_T0_E_clISt17integral_constantIbLb1EES1A_EEDaS15_S16_EUlS15_E_NS1_11comp_targetILNS1_3genE2ELNS1_11target_archE906ELNS1_3gpuE6ELNS1_3repE0EEENS1_30default_config_static_selectorELNS0_4arch9wavefront6targetE0EEEvT1_.uses_flat_scratch, 0
	.set _ZN7rocprim17ROCPRIM_400000_NS6detail17trampoline_kernelINS0_14default_configENS1_25partition_config_selectorILNS1_17partition_subalgoE9EllbEEZZNS1_14partition_implILS5_9ELb0ES3_jPlS8_PNS0_10empty_typeENS0_5tupleIJS8_S9_EEENSB_IJS8_SA_EEENS0_18inequality_wrapperIZN2at6native12_GLOBAL__N_124unique_dim_cuda_templateIiEESt5tupleIJNSF_6TensorESK_SK_EERKSK_lbbbEUlllE0_EEPmJS9_EEE10hipError_tPvRmT3_T4_T5_T6_T7_T9_mT8_P12ihipStream_tbDpT10_ENKUlT_T0_E_clISt17integral_constantIbLb1EES1A_EEDaS15_S16_EUlS15_E_NS1_11comp_targetILNS1_3genE2ELNS1_11target_archE906ELNS1_3gpuE6ELNS1_3repE0EEENS1_30default_config_static_selectorELNS0_4arch9wavefront6targetE0EEEvT1_.has_dyn_sized_stack, 0
	.set _ZN7rocprim17ROCPRIM_400000_NS6detail17trampoline_kernelINS0_14default_configENS1_25partition_config_selectorILNS1_17partition_subalgoE9EllbEEZZNS1_14partition_implILS5_9ELb0ES3_jPlS8_PNS0_10empty_typeENS0_5tupleIJS8_S9_EEENSB_IJS8_SA_EEENS0_18inequality_wrapperIZN2at6native12_GLOBAL__N_124unique_dim_cuda_templateIiEESt5tupleIJNSF_6TensorESK_SK_EERKSK_lbbbEUlllE0_EEPmJS9_EEE10hipError_tPvRmT3_T4_T5_T6_T7_T9_mT8_P12ihipStream_tbDpT10_ENKUlT_T0_E_clISt17integral_constantIbLb1EES1A_EEDaS15_S16_EUlS15_E_NS1_11comp_targetILNS1_3genE2ELNS1_11target_archE906ELNS1_3gpuE6ELNS1_3repE0EEENS1_30default_config_static_selectorELNS0_4arch9wavefront6targetE0EEEvT1_.has_recursion, 0
	.set _ZN7rocprim17ROCPRIM_400000_NS6detail17trampoline_kernelINS0_14default_configENS1_25partition_config_selectorILNS1_17partition_subalgoE9EllbEEZZNS1_14partition_implILS5_9ELb0ES3_jPlS8_PNS0_10empty_typeENS0_5tupleIJS8_S9_EEENSB_IJS8_SA_EEENS0_18inequality_wrapperIZN2at6native12_GLOBAL__N_124unique_dim_cuda_templateIiEESt5tupleIJNSF_6TensorESK_SK_EERKSK_lbbbEUlllE0_EEPmJS9_EEE10hipError_tPvRmT3_T4_T5_T6_T7_T9_mT8_P12ihipStream_tbDpT10_ENKUlT_T0_E_clISt17integral_constantIbLb1EES1A_EEDaS15_S16_EUlS15_E_NS1_11comp_targetILNS1_3genE2ELNS1_11target_archE906ELNS1_3gpuE6ELNS1_3repE0EEENS1_30default_config_static_selectorELNS0_4arch9wavefront6targetE0EEEvT1_.has_indirect_call, 0
	.section	.AMDGPU.csdata,"",@progbits
; Kernel info:
; codeLenInByte = 0
; TotalNumSgprs: 0
; NumVgprs: 0
; ScratchSize: 0
; MemoryBound: 0
; FloatMode: 240
; IeeeMode: 1
; LDSByteSize: 0 bytes/workgroup (compile time only)
; SGPRBlocks: 0
; VGPRBlocks: 0
; NumSGPRsForWavesPerEU: 1
; NumVGPRsForWavesPerEU: 1
; NamedBarCnt: 0
; Occupancy: 16
; WaveLimiterHint : 0
; COMPUTE_PGM_RSRC2:SCRATCH_EN: 0
; COMPUTE_PGM_RSRC2:USER_SGPR: 2
; COMPUTE_PGM_RSRC2:TRAP_HANDLER: 0
; COMPUTE_PGM_RSRC2:TGID_X_EN: 1
; COMPUTE_PGM_RSRC2:TGID_Y_EN: 0
; COMPUTE_PGM_RSRC2:TGID_Z_EN: 0
; COMPUTE_PGM_RSRC2:TIDIG_COMP_CNT: 0
	.section	.text._ZN7rocprim17ROCPRIM_400000_NS6detail17trampoline_kernelINS0_14default_configENS1_25partition_config_selectorILNS1_17partition_subalgoE9EllbEEZZNS1_14partition_implILS5_9ELb0ES3_jPlS8_PNS0_10empty_typeENS0_5tupleIJS8_S9_EEENSB_IJS8_SA_EEENS0_18inequality_wrapperIZN2at6native12_GLOBAL__N_124unique_dim_cuda_templateIiEESt5tupleIJNSF_6TensorESK_SK_EERKSK_lbbbEUlllE0_EEPmJS9_EEE10hipError_tPvRmT3_T4_T5_T6_T7_T9_mT8_P12ihipStream_tbDpT10_ENKUlT_T0_E_clISt17integral_constantIbLb1EES1A_EEDaS15_S16_EUlS15_E_NS1_11comp_targetILNS1_3genE10ELNS1_11target_archE1200ELNS1_3gpuE4ELNS1_3repE0EEENS1_30default_config_static_selectorELNS0_4arch9wavefront6targetE0EEEvT1_,"axG",@progbits,_ZN7rocprim17ROCPRIM_400000_NS6detail17trampoline_kernelINS0_14default_configENS1_25partition_config_selectorILNS1_17partition_subalgoE9EllbEEZZNS1_14partition_implILS5_9ELb0ES3_jPlS8_PNS0_10empty_typeENS0_5tupleIJS8_S9_EEENSB_IJS8_SA_EEENS0_18inequality_wrapperIZN2at6native12_GLOBAL__N_124unique_dim_cuda_templateIiEESt5tupleIJNSF_6TensorESK_SK_EERKSK_lbbbEUlllE0_EEPmJS9_EEE10hipError_tPvRmT3_T4_T5_T6_T7_T9_mT8_P12ihipStream_tbDpT10_ENKUlT_T0_E_clISt17integral_constantIbLb1EES1A_EEDaS15_S16_EUlS15_E_NS1_11comp_targetILNS1_3genE10ELNS1_11target_archE1200ELNS1_3gpuE4ELNS1_3repE0EEENS1_30default_config_static_selectorELNS0_4arch9wavefront6targetE0EEEvT1_,comdat
	.globl	_ZN7rocprim17ROCPRIM_400000_NS6detail17trampoline_kernelINS0_14default_configENS1_25partition_config_selectorILNS1_17partition_subalgoE9EllbEEZZNS1_14partition_implILS5_9ELb0ES3_jPlS8_PNS0_10empty_typeENS0_5tupleIJS8_S9_EEENSB_IJS8_SA_EEENS0_18inequality_wrapperIZN2at6native12_GLOBAL__N_124unique_dim_cuda_templateIiEESt5tupleIJNSF_6TensorESK_SK_EERKSK_lbbbEUlllE0_EEPmJS9_EEE10hipError_tPvRmT3_T4_T5_T6_T7_T9_mT8_P12ihipStream_tbDpT10_ENKUlT_T0_E_clISt17integral_constantIbLb1EES1A_EEDaS15_S16_EUlS15_E_NS1_11comp_targetILNS1_3genE10ELNS1_11target_archE1200ELNS1_3gpuE4ELNS1_3repE0EEENS1_30default_config_static_selectorELNS0_4arch9wavefront6targetE0EEEvT1_ ; -- Begin function _ZN7rocprim17ROCPRIM_400000_NS6detail17trampoline_kernelINS0_14default_configENS1_25partition_config_selectorILNS1_17partition_subalgoE9EllbEEZZNS1_14partition_implILS5_9ELb0ES3_jPlS8_PNS0_10empty_typeENS0_5tupleIJS8_S9_EEENSB_IJS8_SA_EEENS0_18inequality_wrapperIZN2at6native12_GLOBAL__N_124unique_dim_cuda_templateIiEESt5tupleIJNSF_6TensorESK_SK_EERKSK_lbbbEUlllE0_EEPmJS9_EEE10hipError_tPvRmT3_T4_T5_T6_T7_T9_mT8_P12ihipStream_tbDpT10_ENKUlT_T0_E_clISt17integral_constantIbLb1EES1A_EEDaS15_S16_EUlS15_E_NS1_11comp_targetILNS1_3genE10ELNS1_11target_archE1200ELNS1_3gpuE4ELNS1_3repE0EEENS1_30default_config_static_selectorELNS0_4arch9wavefront6targetE0EEEvT1_
	.p2align	8
	.type	_ZN7rocprim17ROCPRIM_400000_NS6detail17trampoline_kernelINS0_14default_configENS1_25partition_config_selectorILNS1_17partition_subalgoE9EllbEEZZNS1_14partition_implILS5_9ELb0ES3_jPlS8_PNS0_10empty_typeENS0_5tupleIJS8_S9_EEENSB_IJS8_SA_EEENS0_18inequality_wrapperIZN2at6native12_GLOBAL__N_124unique_dim_cuda_templateIiEESt5tupleIJNSF_6TensorESK_SK_EERKSK_lbbbEUlllE0_EEPmJS9_EEE10hipError_tPvRmT3_T4_T5_T6_T7_T9_mT8_P12ihipStream_tbDpT10_ENKUlT_T0_E_clISt17integral_constantIbLb1EES1A_EEDaS15_S16_EUlS15_E_NS1_11comp_targetILNS1_3genE10ELNS1_11target_archE1200ELNS1_3gpuE4ELNS1_3repE0EEENS1_30default_config_static_selectorELNS0_4arch9wavefront6targetE0EEEvT1_,@function
_ZN7rocprim17ROCPRIM_400000_NS6detail17trampoline_kernelINS0_14default_configENS1_25partition_config_selectorILNS1_17partition_subalgoE9EllbEEZZNS1_14partition_implILS5_9ELb0ES3_jPlS8_PNS0_10empty_typeENS0_5tupleIJS8_S9_EEENSB_IJS8_SA_EEENS0_18inequality_wrapperIZN2at6native12_GLOBAL__N_124unique_dim_cuda_templateIiEESt5tupleIJNSF_6TensorESK_SK_EERKSK_lbbbEUlllE0_EEPmJS9_EEE10hipError_tPvRmT3_T4_T5_T6_T7_T9_mT8_P12ihipStream_tbDpT10_ENKUlT_T0_E_clISt17integral_constantIbLb1EES1A_EEDaS15_S16_EUlS15_E_NS1_11comp_targetILNS1_3genE10ELNS1_11target_archE1200ELNS1_3gpuE4ELNS1_3repE0EEENS1_30default_config_static_selectorELNS0_4arch9wavefront6targetE0EEEvT1_: ; @_ZN7rocprim17ROCPRIM_400000_NS6detail17trampoline_kernelINS0_14default_configENS1_25partition_config_selectorILNS1_17partition_subalgoE9EllbEEZZNS1_14partition_implILS5_9ELb0ES3_jPlS8_PNS0_10empty_typeENS0_5tupleIJS8_S9_EEENSB_IJS8_SA_EEENS0_18inequality_wrapperIZN2at6native12_GLOBAL__N_124unique_dim_cuda_templateIiEESt5tupleIJNSF_6TensorESK_SK_EERKSK_lbbbEUlllE0_EEPmJS9_EEE10hipError_tPvRmT3_T4_T5_T6_T7_T9_mT8_P12ihipStream_tbDpT10_ENKUlT_T0_E_clISt17integral_constantIbLb1EES1A_EEDaS15_S16_EUlS15_E_NS1_11comp_targetILNS1_3genE10ELNS1_11target_archE1200ELNS1_3gpuE4ELNS1_3repE0EEENS1_30default_config_static_selectorELNS0_4arch9wavefront6targetE0EEEvT1_
; %bb.0:
	.section	.rodata,"a",@progbits
	.p2align	6, 0x0
	.amdhsa_kernel _ZN7rocprim17ROCPRIM_400000_NS6detail17trampoline_kernelINS0_14default_configENS1_25partition_config_selectorILNS1_17partition_subalgoE9EllbEEZZNS1_14partition_implILS5_9ELb0ES3_jPlS8_PNS0_10empty_typeENS0_5tupleIJS8_S9_EEENSB_IJS8_SA_EEENS0_18inequality_wrapperIZN2at6native12_GLOBAL__N_124unique_dim_cuda_templateIiEESt5tupleIJNSF_6TensorESK_SK_EERKSK_lbbbEUlllE0_EEPmJS9_EEE10hipError_tPvRmT3_T4_T5_T6_T7_T9_mT8_P12ihipStream_tbDpT10_ENKUlT_T0_E_clISt17integral_constantIbLb1EES1A_EEDaS15_S16_EUlS15_E_NS1_11comp_targetILNS1_3genE10ELNS1_11target_archE1200ELNS1_3gpuE4ELNS1_3repE0EEENS1_30default_config_static_selectorELNS0_4arch9wavefront6targetE0EEEvT1_
		.amdhsa_group_segment_fixed_size 0
		.amdhsa_private_segment_fixed_size 0
		.amdhsa_kernarg_size 136
		.amdhsa_user_sgpr_count 2
		.amdhsa_user_sgpr_dispatch_ptr 0
		.amdhsa_user_sgpr_queue_ptr 0
		.amdhsa_user_sgpr_kernarg_segment_ptr 1
		.amdhsa_user_sgpr_dispatch_id 0
		.amdhsa_user_sgpr_kernarg_preload_length 0
		.amdhsa_user_sgpr_kernarg_preload_offset 0
		.amdhsa_user_sgpr_private_segment_size 0
		.amdhsa_wavefront_size32 1
		.amdhsa_uses_dynamic_stack 0
		.amdhsa_enable_private_segment 0
		.amdhsa_system_sgpr_workgroup_id_x 1
		.amdhsa_system_sgpr_workgroup_id_y 0
		.amdhsa_system_sgpr_workgroup_id_z 0
		.amdhsa_system_sgpr_workgroup_info 0
		.amdhsa_system_vgpr_workitem_id 0
		.amdhsa_next_free_vgpr 1
		.amdhsa_next_free_sgpr 1
		.amdhsa_named_barrier_count 0
		.amdhsa_reserve_vcc 0
		.amdhsa_float_round_mode_32 0
		.amdhsa_float_round_mode_16_64 0
		.amdhsa_float_denorm_mode_32 3
		.amdhsa_float_denorm_mode_16_64 3
		.amdhsa_fp16_overflow 0
		.amdhsa_memory_ordered 1
		.amdhsa_forward_progress 1
		.amdhsa_inst_pref_size 0
		.amdhsa_round_robin_scheduling 0
		.amdhsa_exception_fp_ieee_invalid_op 0
		.amdhsa_exception_fp_denorm_src 0
		.amdhsa_exception_fp_ieee_div_zero 0
		.amdhsa_exception_fp_ieee_overflow 0
		.amdhsa_exception_fp_ieee_underflow 0
		.amdhsa_exception_fp_ieee_inexact 0
		.amdhsa_exception_int_div_zero 0
	.end_amdhsa_kernel
	.section	.text._ZN7rocprim17ROCPRIM_400000_NS6detail17trampoline_kernelINS0_14default_configENS1_25partition_config_selectorILNS1_17partition_subalgoE9EllbEEZZNS1_14partition_implILS5_9ELb0ES3_jPlS8_PNS0_10empty_typeENS0_5tupleIJS8_S9_EEENSB_IJS8_SA_EEENS0_18inequality_wrapperIZN2at6native12_GLOBAL__N_124unique_dim_cuda_templateIiEESt5tupleIJNSF_6TensorESK_SK_EERKSK_lbbbEUlllE0_EEPmJS9_EEE10hipError_tPvRmT3_T4_T5_T6_T7_T9_mT8_P12ihipStream_tbDpT10_ENKUlT_T0_E_clISt17integral_constantIbLb1EES1A_EEDaS15_S16_EUlS15_E_NS1_11comp_targetILNS1_3genE10ELNS1_11target_archE1200ELNS1_3gpuE4ELNS1_3repE0EEENS1_30default_config_static_selectorELNS0_4arch9wavefront6targetE0EEEvT1_,"axG",@progbits,_ZN7rocprim17ROCPRIM_400000_NS6detail17trampoline_kernelINS0_14default_configENS1_25partition_config_selectorILNS1_17partition_subalgoE9EllbEEZZNS1_14partition_implILS5_9ELb0ES3_jPlS8_PNS0_10empty_typeENS0_5tupleIJS8_S9_EEENSB_IJS8_SA_EEENS0_18inequality_wrapperIZN2at6native12_GLOBAL__N_124unique_dim_cuda_templateIiEESt5tupleIJNSF_6TensorESK_SK_EERKSK_lbbbEUlllE0_EEPmJS9_EEE10hipError_tPvRmT3_T4_T5_T6_T7_T9_mT8_P12ihipStream_tbDpT10_ENKUlT_T0_E_clISt17integral_constantIbLb1EES1A_EEDaS15_S16_EUlS15_E_NS1_11comp_targetILNS1_3genE10ELNS1_11target_archE1200ELNS1_3gpuE4ELNS1_3repE0EEENS1_30default_config_static_selectorELNS0_4arch9wavefront6targetE0EEEvT1_,comdat
.Lfunc_end486:
	.size	_ZN7rocprim17ROCPRIM_400000_NS6detail17trampoline_kernelINS0_14default_configENS1_25partition_config_selectorILNS1_17partition_subalgoE9EllbEEZZNS1_14partition_implILS5_9ELb0ES3_jPlS8_PNS0_10empty_typeENS0_5tupleIJS8_S9_EEENSB_IJS8_SA_EEENS0_18inequality_wrapperIZN2at6native12_GLOBAL__N_124unique_dim_cuda_templateIiEESt5tupleIJNSF_6TensorESK_SK_EERKSK_lbbbEUlllE0_EEPmJS9_EEE10hipError_tPvRmT3_T4_T5_T6_T7_T9_mT8_P12ihipStream_tbDpT10_ENKUlT_T0_E_clISt17integral_constantIbLb1EES1A_EEDaS15_S16_EUlS15_E_NS1_11comp_targetILNS1_3genE10ELNS1_11target_archE1200ELNS1_3gpuE4ELNS1_3repE0EEENS1_30default_config_static_selectorELNS0_4arch9wavefront6targetE0EEEvT1_, .Lfunc_end486-_ZN7rocprim17ROCPRIM_400000_NS6detail17trampoline_kernelINS0_14default_configENS1_25partition_config_selectorILNS1_17partition_subalgoE9EllbEEZZNS1_14partition_implILS5_9ELb0ES3_jPlS8_PNS0_10empty_typeENS0_5tupleIJS8_S9_EEENSB_IJS8_SA_EEENS0_18inequality_wrapperIZN2at6native12_GLOBAL__N_124unique_dim_cuda_templateIiEESt5tupleIJNSF_6TensorESK_SK_EERKSK_lbbbEUlllE0_EEPmJS9_EEE10hipError_tPvRmT3_T4_T5_T6_T7_T9_mT8_P12ihipStream_tbDpT10_ENKUlT_T0_E_clISt17integral_constantIbLb1EES1A_EEDaS15_S16_EUlS15_E_NS1_11comp_targetILNS1_3genE10ELNS1_11target_archE1200ELNS1_3gpuE4ELNS1_3repE0EEENS1_30default_config_static_selectorELNS0_4arch9wavefront6targetE0EEEvT1_
                                        ; -- End function
	.set _ZN7rocprim17ROCPRIM_400000_NS6detail17trampoline_kernelINS0_14default_configENS1_25partition_config_selectorILNS1_17partition_subalgoE9EllbEEZZNS1_14partition_implILS5_9ELb0ES3_jPlS8_PNS0_10empty_typeENS0_5tupleIJS8_S9_EEENSB_IJS8_SA_EEENS0_18inequality_wrapperIZN2at6native12_GLOBAL__N_124unique_dim_cuda_templateIiEESt5tupleIJNSF_6TensorESK_SK_EERKSK_lbbbEUlllE0_EEPmJS9_EEE10hipError_tPvRmT3_T4_T5_T6_T7_T9_mT8_P12ihipStream_tbDpT10_ENKUlT_T0_E_clISt17integral_constantIbLb1EES1A_EEDaS15_S16_EUlS15_E_NS1_11comp_targetILNS1_3genE10ELNS1_11target_archE1200ELNS1_3gpuE4ELNS1_3repE0EEENS1_30default_config_static_selectorELNS0_4arch9wavefront6targetE0EEEvT1_.num_vgpr, 0
	.set _ZN7rocprim17ROCPRIM_400000_NS6detail17trampoline_kernelINS0_14default_configENS1_25partition_config_selectorILNS1_17partition_subalgoE9EllbEEZZNS1_14partition_implILS5_9ELb0ES3_jPlS8_PNS0_10empty_typeENS0_5tupleIJS8_S9_EEENSB_IJS8_SA_EEENS0_18inequality_wrapperIZN2at6native12_GLOBAL__N_124unique_dim_cuda_templateIiEESt5tupleIJNSF_6TensorESK_SK_EERKSK_lbbbEUlllE0_EEPmJS9_EEE10hipError_tPvRmT3_T4_T5_T6_T7_T9_mT8_P12ihipStream_tbDpT10_ENKUlT_T0_E_clISt17integral_constantIbLb1EES1A_EEDaS15_S16_EUlS15_E_NS1_11comp_targetILNS1_3genE10ELNS1_11target_archE1200ELNS1_3gpuE4ELNS1_3repE0EEENS1_30default_config_static_selectorELNS0_4arch9wavefront6targetE0EEEvT1_.num_agpr, 0
	.set _ZN7rocprim17ROCPRIM_400000_NS6detail17trampoline_kernelINS0_14default_configENS1_25partition_config_selectorILNS1_17partition_subalgoE9EllbEEZZNS1_14partition_implILS5_9ELb0ES3_jPlS8_PNS0_10empty_typeENS0_5tupleIJS8_S9_EEENSB_IJS8_SA_EEENS0_18inequality_wrapperIZN2at6native12_GLOBAL__N_124unique_dim_cuda_templateIiEESt5tupleIJNSF_6TensorESK_SK_EERKSK_lbbbEUlllE0_EEPmJS9_EEE10hipError_tPvRmT3_T4_T5_T6_T7_T9_mT8_P12ihipStream_tbDpT10_ENKUlT_T0_E_clISt17integral_constantIbLb1EES1A_EEDaS15_S16_EUlS15_E_NS1_11comp_targetILNS1_3genE10ELNS1_11target_archE1200ELNS1_3gpuE4ELNS1_3repE0EEENS1_30default_config_static_selectorELNS0_4arch9wavefront6targetE0EEEvT1_.numbered_sgpr, 0
	.set _ZN7rocprim17ROCPRIM_400000_NS6detail17trampoline_kernelINS0_14default_configENS1_25partition_config_selectorILNS1_17partition_subalgoE9EllbEEZZNS1_14partition_implILS5_9ELb0ES3_jPlS8_PNS0_10empty_typeENS0_5tupleIJS8_S9_EEENSB_IJS8_SA_EEENS0_18inequality_wrapperIZN2at6native12_GLOBAL__N_124unique_dim_cuda_templateIiEESt5tupleIJNSF_6TensorESK_SK_EERKSK_lbbbEUlllE0_EEPmJS9_EEE10hipError_tPvRmT3_T4_T5_T6_T7_T9_mT8_P12ihipStream_tbDpT10_ENKUlT_T0_E_clISt17integral_constantIbLb1EES1A_EEDaS15_S16_EUlS15_E_NS1_11comp_targetILNS1_3genE10ELNS1_11target_archE1200ELNS1_3gpuE4ELNS1_3repE0EEENS1_30default_config_static_selectorELNS0_4arch9wavefront6targetE0EEEvT1_.num_named_barrier, 0
	.set _ZN7rocprim17ROCPRIM_400000_NS6detail17trampoline_kernelINS0_14default_configENS1_25partition_config_selectorILNS1_17partition_subalgoE9EllbEEZZNS1_14partition_implILS5_9ELb0ES3_jPlS8_PNS0_10empty_typeENS0_5tupleIJS8_S9_EEENSB_IJS8_SA_EEENS0_18inequality_wrapperIZN2at6native12_GLOBAL__N_124unique_dim_cuda_templateIiEESt5tupleIJNSF_6TensorESK_SK_EERKSK_lbbbEUlllE0_EEPmJS9_EEE10hipError_tPvRmT3_T4_T5_T6_T7_T9_mT8_P12ihipStream_tbDpT10_ENKUlT_T0_E_clISt17integral_constantIbLb1EES1A_EEDaS15_S16_EUlS15_E_NS1_11comp_targetILNS1_3genE10ELNS1_11target_archE1200ELNS1_3gpuE4ELNS1_3repE0EEENS1_30default_config_static_selectorELNS0_4arch9wavefront6targetE0EEEvT1_.private_seg_size, 0
	.set _ZN7rocprim17ROCPRIM_400000_NS6detail17trampoline_kernelINS0_14default_configENS1_25partition_config_selectorILNS1_17partition_subalgoE9EllbEEZZNS1_14partition_implILS5_9ELb0ES3_jPlS8_PNS0_10empty_typeENS0_5tupleIJS8_S9_EEENSB_IJS8_SA_EEENS0_18inequality_wrapperIZN2at6native12_GLOBAL__N_124unique_dim_cuda_templateIiEESt5tupleIJNSF_6TensorESK_SK_EERKSK_lbbbEUlllE0_EEPmJS9_EEE10hipError_tPvRmT3_T4_T5_T6_T7_T9_mT8_P12ihipStream_tbDpT10_ENKUlT_T0_E_clISt17integral_constantIbLb1EES1A_EEDaS15_S16_EUlS15_E_NS1_11comp_targetILNS1_3genE10ELNS1_11target_archE1200ELNS1_3gpuE4ELNS1_3repE0EEENS1_30default_config_static_selectorELNS0_4arch9wavefront6targetE0EEEvT1_.uses_vcc, 0
	.set _ZN7rocprim17ROCPRIM_400000_NS6detail17trampoline_kernelINS0_14default_configENS1_25partition_config_selectorILNS1_17partition_subalgoE9EllbEEZZNS1_14partition_implILS5_9ELb0ES3_jPlS8_PNS0_10empty_typeENS0_5tupleIJS8_S9_EEENSB_IJS8_SA_EEENS0_18inequality_wrapperIZN2at6native12_GLOBAL__N_124unique_dim_cuda_templateIiEESt5tupleIJNSF_6TensorESK_SK_EERKSK_lbbbEUlllE0_EEPmJS9_EEE10hipError_tPvRmT3_T4_T5_T6_T7_T9_mT8_P12ihipStream_tbDpT10_ENKUlT_T0_E_clISt17integral_constantIbLb1EES1A_EEDaS15_S16_EUlS15_E_NS1_11comp_targetILNS1_3genE10ELNS1_11target_archE1200ELNS1_3gpuE4ELNS1_3repE0EEENS1_30default_config_static_selectorELNS0_4arch9wavefront6targetE0EEEvT1_.uses_flat_scratch, 0
	.set _ZN7rocprim17ROCPRIM_400000_NS6detail17trampoline_kernelINS0_14default_configENS1_25partition_config_selectorILNS1_17partition_subalgoE9EllbEEZZNS1_14partition_implILS5_9ELb0ES3_jPlS8_PNS0_10empty_typeENS0_5tupleIJS8_S9_EEENSB_IJS8_SA_EEENS0_18inequality_wrapperIZN2at6native12_GLOBAL__N_124unique_dim_cuda_templateIiEESt5tupleIJNSF_6TensorESK_SK_EERKSK_lbbbEUlllE0_EEPmJS9_EEE10hipError_tPvRmT3_T4_T5_T6_T7_T9_mT8_P12ihipStream_tbDpT10_ENKUlT_T0_E_clISt17integral_constantIbLb1EES1A_EEDaS15_S16_EUlS15_E_NS1_11comp_targetILNS1_3genE10ELNS1_11target_archE1200ELNS1_3gpuE4ELNS1_3repE0EEENS1_30default_config_static_selectorELNS0_4arch9wavefront6targetE0EEEvT1_.has_dyn_sized_stack, 0
	.set _ZN7rocprim17ROCPRIM_400000_NS6detail17trampoline_kernelINS0_14default_configENS1_25partition_config_selectorILNS1_17partition_subalgoE9EllbEEZZNS1_14partition_implILS5_9ELb0ES3_jPlS8_PNS0_10empty_typeENS0_5tupleIJS8_S9_EEENSB_IJS8_SA_EEENS0_18inequality_wrapperIZN2at6native12_GLOBAL__N_124unique_dim_cuda_templateIiEESt5tupleIJNSF_6TensorESK_SK_EERKSK_lbbbEUlllE0_EEPmJS9_EEE10hipError_tPvRmT3_T4_T5_T6_T7_T9_mT8_P12ihipStream_tbDpT10_ENKUlT_T0_E_clISt17integral_constantIbLb1EES1A_EEDaS15_S16_EUlS15_E_NS1_11comp_targetILNS1_3genE10ELNS1_11target_archE1200ELNS1_3gpuE4ELNS1_3repE0EEENS1_30default_config_static_selectorELNS0_4arch9wavefront6targetE0EEEvT1_.has_recursion, 0
	.set _ZN7rocprim17ROCPRIM_400000_NS6detail17trampoline_kernelINS0_14default_configENS1_25partition_config_selectorILNS1_17partition_subalgoE9EllbEEZZNS1_14partition_implILS5_9ELb0ES3_jPlS8_PNS0_10empty_typeENS0_5tupleIJS8_S9_EEENSB_IJS8_SA_EEENS0_18inequality_wrapperIZN2at6native12_GLOBAL__N_124unique_dim_cuda_templateIiEESt5tupleIJNSF_6TensorESK_SK_EERKSK_lbbbEUlllE0_EEPmJS9_EEE10hipError_tPvRmT3_T4_T5_T6_T7_T9_mT8_P12ihipStream_tbDpT10_ENKUlT_T0_E_clISt17integral_constantIbLb1EES1A_EEDaS15_S16_EUlS15_E_NS1_11comp_targetILNS1_3genE10ELNS1_11target_archE1200ELNS1_3gpuE4ELNS1_3repE0EEENS1_30default_config_static_selectorELNS0_4arch9wavefront6targetE0EEEvT1_.has_indirect_call, 0
	.section	.AMDGPU.csdata,"",@progbits
; Kernel info:
; codeLenInByte = 0
; TotalNumSgprs: 0
; NumVgprs: 0
; ScratchSize: 0
; MemoryBound: 0
; FloatMode: 240
; IeeeMode: 1
; LDSByteSize: 0 bytes/workgroup (compile time only)
; SGPRBlocks: 0
; VGPRBlocks: 0
; NumSGPRsForWavesPerEU: 1
; NumVGPRsForWavesPerEU: 1
; NamedBarCnt: 0
; Occupancy: 16
; WaveLimiterHint : 0
; COMPUTE_PGM_RSRC2:SCRATCH_EN: 0
; COMPUTE_PGM_RSRC2:USER_SGPR: 2
; COMPUTE_PGM_RSRC2:TRAP_HANDLER: 0
; COMPUTE_PGM_RSRC2:TGID_X_EN: 1
; COMPUTE_PGM_RSRC2:TGID_Y_EN: 0
; COMPUTE_PGM_RSRC2:TGID_Z_EN: 0
; COMPUTE_PGM_RSRC2:TIDIG_COMP_CNT: 0
	.section	.text._ZN7rocprim17ROCPRIM_400000_NS6detail17trampoline_kernelINS0_14default_configENS1_25partition_config_selectorILNS1_17partition_subalgoE9EllbEEZZNS1_14partition_implILS5_9ELb0ES3_jPlS8_PNS0_10empty_typeENS0_5tupleIJS8_S9_EEENSB_IJS8_SA_EEENS0_18inequality_wrapperIZN2at6native12_GLOBAL__N_124unique_dim_cuda_templateIiEESt5tupleIJNSF_6TensorESK_SK_EERKSK_lbbbEUlllE0_EEPmJS9_EEE10hipError_tPvRmT3_T4_T5_T6_T7_T9_mT8_P12ihipStream_tbDpT10_ENKUlT_T0_E_clISt17integral_constantIbLb1EES1A_EEDaS15_S16_EUlS15_E_NS1_11comp_targetILNS1_3genE9ELNS1_11target_archE1100ELNS1_3gpuE3ELNS1_3repE0EEENS1_30default_config_static_selectorELNS0_4arch9wavefront6targetE0EEEvT1_,"axG",@progbits,_ZN7rocprim17ROCPRIM_400000_NS6detail17trampoline_kernelINS0_14default_configENS1_25partition_config_selectorILNS1_17partition_subalgoE9EllbEEZZNS1_14partition_implILS5_9ELb0ES3_jPlS8_PNS0_10empty_typeENS0_5tupleIJS8_S9_EEENSB_IJS8_SA_EEENS0_18inequality_wrapperIZN2at6native12_GLOBAL__N_124unique_dim_cuda_templateIiEESt5tupleIJNSF_6TensorESK_SK_EERKSK_lbbbEUlllE0_EEPmJS9_EEE10hipError_tPvRmT3_T4_T5_T6_T7_T9_mT8_P12ihipStream_tbDpT10_ENKUlT_T0_E_clISt17integral_constantIbLb1EES1A_EEDaS15_S16_EUlS15_E_NS1_11comp_targetILNS1_3genE9ELNS1_11target_archE1100ELNS1_3gpuE3ELNS1_3repE0EEENS1_30default_config_static_selectorELNS0_4arch9wavefront6targetE0EEEvT1_,comdat
	.globl	_ZN7rocprim17ROCPRIM_400000_NS6detail17trampoline_kernelINS0_14default_configENS1_25partition_config_selectorILNS1_17partition_subalgoE9EllbEEZZNS1_14partition_implILS5_9ELb0ES3_jPlS8_PNS0_10empty_typeENS0_5tupleIJS8_S9_EEENSB_IJS8_SA_EEENS0_18inequality_wrapperIZN2at6native12_GLOBAL__N_124unique_dim_cuda_templateIiEESt5tupleIJNSF_6TensorESK_SK_EERKSK_lbbbEUlllE0_EEPmJS9_EEE10hipError_tPvRmT3_T4_T5_T6_T7_T9_mT8_P12ihipStream_tbDpT10_ENKUlT_T0_E_clISt17integral_constantIbLb1EES1A_EEDaS15_S16_EUlS15_E_NS1_11comp_targetILNS1_3genE9ELNS1_11target_archE1100ELNS1_3gpuE3ELNS1_3repE0EEENS1_30default_config_static_selectorELNS0_4arch9wavefront6targetE0EEEvT1_ ; -- Begin function _ZN7rocprim17ROCPRIM_400000_NS6detail17trampoline_kernelINS0_14default_configENS1_25partition_config_selectorILNS1_17partition_subalgoE9EllbEEZZNS1_14partition_implILS5_9ELb0ES3_jPlS8_PNS0_10empty_typeENS0_5tupleIJS8_S9_EEENSB_IJS8_SA_EEENS0_18inequality_wrapperIZN2at6native12_GLOBAL__N_124unique_dim_cuda_templateIiEESt5tupleIJNSF_6TensorESK_SK_EERKSK_lbbbEUlllE0_EEPmJS9_EEE10hipError_tPvRmT3_T4_T5_T6_T7_T9_mT8_P12ihipStream_tbDpT10_ENKUlT_T0_E_clISt17integral_constantIbLb1EES1A_EEDaS15_S16_EUlS15_E_NS1_11comp_targetILNS1_3genE9ELNS1_11target_archE1100ELNS1_3gpuE3ELNS1_3repE0EEENS1_30default_config_static_selectorELNS0_4arch9wavefront6targetE0EEEvT1_
	.p2align	8
	.type	_ZN7rocprim17ROCPRIM_400000_NS6detail17trampoline_kernelINS0_14default_configENS1_25partition_config_selectorILNS1_17partition_subalgoE9EllbEEZZNS1_14partition_implILS5_9ELb0ES3_jPlS8_PNS0_10empty_typeENS0_5tupleIJS8_S9_EEENSB_IJS8_SA_EEENS0_18inequality_wrapperIZN2at6native12_GLOBAL__N_124unique_dim_cuda_templateIiEESt5tupleIJNSF_6TensorESK_SK_EERKSK_lbbbEUlllE0_EEPmJS9_EEE10hipError_tPvRmT3_T4_T5_T6_T7_T9_mT8_P12ihipStream_tbDpT10_ENKUlT_T0_E_clISt17integral_constantIbLb1EES1A_EEDaS15_S16_EUlS15_E_NS1_11comp_targetILNS1_3genE9ELNS1_11target_archE1100ELNS1_3gpuE3ELNS1_3repE0EEENS1_30default_config_static_selectorELNS0_4arch9wavefront6targetE0EEEvT1_,@function
_ZN7rocprim17ROCPRIM_400000_NS6detail17trampoline_kernelINS0_14default_configENS1_25partition_config_selectorILNS1_17partition_subalgoE9EllbEEZZNS1_14partition_implILS5_9ELb0ES3_jPlS8_PNS0_10empty_typeENS0_5tupleIJS8_S9_EEENSB_IJS8_SA_EEENS0_18inequality_wrapperIZN2at6native12_GLOBAL__N_124unique_dim_cuda_templateIiEESt5tupleIJNSF_6TensorESK_SK_EERKSK_lbbbEUlllE0_EEPmJS9_EEE10hipError_tPvRmT3_T4_T5_T6_T7_T9_mT8_P12ihipStream_tbDpT10_ENKUlT_T0_E_clISt17integral_constantIbLb1EES1A_EEDaS15_S16_EUlS15_E_NS1_11comp_targetILNS1_3genE9ELNS1_11target_archE1100ELNS1_3gpuE3ELNS1_3repE0EEENS1_30default_config_static_selectorELNS0_4arch9wavefront6targetE0EEEvT1_: ; @_ZN7rocprim17ROCPRIM_400000_NS6detail17trampoline_kernelINS0_14default_configENS1_25partition_config_selectorILNS1_17partition_subalgoE9EllbEEZZNS1_14partition_implILS5_9ELb0ES3_jPlS8_PNS0_10empty_typeENS0_5tupleIJS8_S9_EEENSB_IJS8_SA_EEENS0_18inequality_wrapperIZN2at6native12_GLOBAL__N_124unique_dim_cuda_templateIiEESt5tupleIJNSF_6TensorESK_SK_EERKSK_lbbbEUlllE0_EEPmJS9_EEE10hipError_tPvRmT3_T4_T5_T6_T7_T9_mT8_P12ihipStream_tbDpT10_ENKUlT_T0_E_clISt17integral_constantIbLb1EES1A_EEDaS15_S16_EUlS15_E_NS1_11comp_targetILNS1_3genE9ELNS1_11target_archE1100ELNS1_3gpuE3ELNS1_3repE0EEENS1_30default_config_static_selectorELNS0_4arch9wavefront6targetE0EEEvT1_
; %bb.0:
	.section	.rodata,"a",@progbits
	.p2align	6, 0x0
	.amdhsa_kernel _ZN7rocprim17ROCPRIM_400000_NS6detail17trampoline_kernelINS0_14default_configENS1_25partition_config_selectorILNS1_17partition_subalgoE9EllbEEZZNS1_14partition_implILS5_9ELb0ES3_jPlS8_PNS0_10empty_typeENS0_5tupleIJS8_S9_EEENSB_IJS8_SA_EEENS0_18inequality_wrapperIZN2at6native12_GLOBAL__N_124unique_dim_cuda_templateIiEESt5tupleIJNSF_6TensorESK_SK_EERKSK_lbbbEUlllE0_EEPmJS9_EEE10hipError_tPvRmT3_T4_T5_T6_T7_T9_mT8_P12ihipStream_tbDpT10_ENKUlT_T0_E_clISt17integral_constantIbLb1EES1A_EEDaS15_S16_EUlS15_E_NS1_11comp_targetILNS1_3genE9ELNS1_11target_archE1100ELNS1_3gpuE3ELNS1_3repE0EEENS1_30default_config_static_selectorELNS0_4arch9wavefront6targetE0EEEvT1_
		.amdhsa_group_segment_fixed_size 0
		.amdhsa_private_segment_fixed_size 0
		.amdhsa_kernarg_size 136
		.amdhsa_user_sgpr_count 2
		.amdhsa_user_sgpr_dispatch_ptr 0
		.amdhsa_user_sgpr_queue_ptr 0
		.amdhsa_user_sgpr_kernarg_segment_ptr 1
		.amdhsa_user_sgpr_dispatch_id 0
		.amdhsa_user_sgpr_kernarg_preload_length 0
		.amdhsa_user_sgpr_kernarg_preload_offset 0
		.amdhsa_user_sgpr_private_segment_size 0
		.amdhsa_wavefront_size32 1
		.amdhsa_uses_dynamic_stack 0
		.amdhsa_enable_private_segment 0
		.amdhsa_system_sgpr_workgroup_id_x 1
		.amdhsa_system_sgpr_workgroup_id_y 0
		.amdhsa_system_sgpr_workgroup_id_z 0
		.amdhsa_system_sgpr_workgroup_info 0
		.amdhsa_system_vgpr_workitem_id 0
		.amdhsa_next_free_vgpr 1
		.amdhsa_next_free_sgpr 1
		.amdhsa_named_barrier_count 0
		.amdhsa_reserve_vcc 0
		.amdhsa_float_round_mode_32 0
		.amdhsa_float_round_mode_16_64 0
		.amdhsa_float_denorm_mode_32 3
		.amdhsa_float_denorm_mode_16_64 3
		.amdhsa_fp16_overflow 0
		.amdhsa_memory_ordered 1
		.amdhsa_forward_progress 1
		.amdhsa_inst_pref_size 0
		.amdhsa_round_robin_scheduling 0
		.amdhsa_exception_fp_ieee_invalid_op 0
		.amdhsa_exception_fp_denorm_src 0
		.amdhsa_exception_fp_ieee_div_zero 0
		.amdhsa_exception_fp_ieee_overflow 0
		.amdhsa_exception_fp_ieee_underflow 0
		.amdhsa_exception_fp_ieee_inexact 0
		.amdhsa_exception_int_div_zero 0
	.end_amdhsa_kernel
	.section	.text._ZN7rocprim17ROCPRIM_400000_NS6detail17trampoline_kernelINS0_14default_configENS1_25partition_config_selectorILNS1_17partition_subalgoE9EllbEEZZNS1_14partition_implILS5_9ELb0ES3_jPlS8_PNS0_10empty_typeENS0_5tupleIJS8_S9_EEENSB_IJS8_SA_EEENS0_18inequality_wrapperIZN2at6native12_GLOBAL__N_124unique_dim_cuda_templateIiEESt5tupleIJNSF_6TensorESK_SK_EERKSK_lbbbEUlllE0_EEPmJS9_EEE10hipError_tPvRmT3_T4_T5_T6_T7_T9_mT8_P12ihipStream_tbDpT10_ENKUlT_T0_E_clISt17integral_constantIbLb1EES1A_EEDaS15_S16_EUlS15_E_NS1_11comp_targetILNS1_3genE9ELNS1_11target_archE1100ELNS1_3gpuE3ELNS1_3repE0EEENS1_30default_config_static_selectorELNS0_4arch9wavefront6targetE0EEEvT1_,"axG",@progbits,_ZN7rocprim17ROCPRIM_400000_NS6detail17trampoline_kernelINS0_14default_configENS1_25partition_config_selectorILNS1_17partition_subalgoE9EllbEEZZNS1_14partition_implILS5_9ELb0ES3_jPlS8_PNS0_10empty_typeENS0_5tupleIJS8_S9_EEENSB_IJS8_SA_EEENS0_18inequality_wrapperIZN2at6native12_GLOBAL__N_124unique_dim_cuda_templateIiEESt5tupleIJNSF_6TensorESK_SK_EERKSK_lbbbEUlllE0_EEPmJS9_EEE10hipError_tPvRmT3_T4_T5_T6_T7_T9_mT8_P12ihipStream_tbDpT10_ENKUlT_T0_E_clISt17integral_constantIbLb1EES1A_EEDaS15_S16_EUlS15_E_NS1_11comp_targetILNS1_3genE9ELNS1_11target_archE1100ELNS1_3gpuE3ELNS1_3repE0EEENS1_30default_config_static_selectorELNS0_4arch9wavefront6targetE0EEEvT1_,comdat
.Lfunc_end487:
	.size	_ZN7rocprim17ROCPRIM_400000_NS6detail17trampoline_kernelINS0_14default_configENS1_25partition_config_selectorILNS1_17partition_subalgoE9EllbEEZZNS1_14partition_implILS5_9ELb0ES3_jPlS8_PNS0_10empty_typeENS0_5tupleIJS8_S9_EEENSB_IJS8_SA_EEENS0_18inequality_wrapperIZN2at6native12_GLOBAL__N_124unique_dim_cuda_templateIiEESt5tupleIJNSF_6TensorESK_SK_EERKSK_lbbbEUlllE0_EEPmJS9_EEE10hipError_tPvRmT3_T4_T5_T6_T7_T9_mT8_P12ihipStream_tbDpT10_ENKUlT_T0_E_clISt17integral_constantIbLb1EES1A_EEDaS15_S16_EUlS15_E_NS1_11comp_targetILNS1_3genE9ELNS1_11target_archE1100ELNS1_3gpuE3ELNS1_3repE0EEENS1_30default_config_static_selectorELNS0_4arch9wavefront6targetE0EEEvT1_, .Lfunc_end487-_ZN7rocprim17ROCPRIM_400000_NS6detail17trampoline_kernelINS0_14default_configENS1_25partition_config_selectorILNS1_17partition_subalgoE9EllbEEZZNS1_14partition_implILS5_9ELb0ES3_jPlS8_PNS0_10empty_typeENS0_5tupleIJS8_S9_EEENSB_IJS8_SA_EEENS0_18inequality_wrapperIZN2at6native12_GLOBAL__N_124unique_dim_cuda_templateIiEESt5tupleIJNSF_6TensorESK_SK_EERKSK_lbbbEUlllE0_EEPmJS9_EEE10hipError_tPvRmT3_T4_T5_T6_T7_T9_mT8_P12ihipStream_tbDpT10_ENKUlT_T0_E_clISt17integral_constantIbLb1EES1A_EEDaS15_S16_EUlS15_E_NS1_11comp_targetILNS1_3genE9ELNS1_11target_archE1100ELNS1_3gpuE3ELNS1_3repE0EEENS1_30default_config_static_selectorELNS0_4arch9wavefront6targetE0EEEvT1_
                                        ; -- End function
	.set _ZN7rocprim17ROCPRIM_400000_NS6detail17trampoline_kernelINS0_14default_configENS1_25partition_config_selectorILNS1_17partition_subalgoE9EllbEEZZNS1_14partition_implILS5_9ELb0ES3_jPlS8_PNS0_10empty_typeENS0_5tupleIJS8_S9_EEENSB_IJS8_SA_EEENS0_18inequality_wrapperIZN2at6native12_GLOBAL__N_124unique_dim_cuda_templateIiEESt5tupleIJNSF_6TensorESK_SK_EERKSK_lbbbEUlllE0_EEPmJS9_EEE10hipError_tPvRmT3_T4_T5_T6_T7_T9_mT8_P12ihipStream_tbDpT10_ENKUlT_T0_E_clISt17integral_constantIbLb1EES1A_EEDaS15_S16_EUlS15_E_NS1_11comp_targetILNS1_3genE9ELNS1_11target_archE1100ELNS1_3gpuE3ELNS1_3repE0EEENS1_30default_config_static_selectorELNS0_4arch9wavefront6targetE0EEEvT1_.num_vgpr, 0
	.set _ZN7rocprim17ROCPRIM_400000_NS6detail17trampoline_kernelINS0_14default_configENS1_25partition_config_selectorILNS1_17partition_subalgoE9EllbEEZZNS1_14partition_implILS5_9ELb0ES3_jPlS8_PNS0_10empty_typeENS0_5tupleIJS8_S9_EEENSB_IJS8_SA_EEENS0_18inequality_wrapperIZN2at6native12_GLOBAL__N_124unique_dim_cuda_templateIiEESt5tupleIJNSF_6TensorESK_SK_EERKSK_lbbbEUlllE0_EEPmJS9_EEE10hipError_tPvRmT3_T4_T5_T6_T7_T9_mT8_P12ihipStream_tbDpT10_ENKUlT_T0_E_clISt17integral_constantIbLb1EES1A_EEDaS15_S16_EUlS15_E_NS1_11comp_targetILNS1_3genE9ELNS1_11target_archE1100ELNS1_3gpuE3ELNS1_3repE0EEENS1_30default_config_static_selectorELNS0_4arch9wavefront6targetE0EEEvT1_.num_agpr, 0
	.set _ZN7rocprim17ROCPRIM_400000_NS6detail17trampoline_kernelINS0_14default_configENS1_25partition_config_selectorILNS1_17partition_subalgoE9EllbEEZZNS1_14partition_implILS5_9ELb0ES3_jPlS8_PNS0_10empty_typeENS0_5tupleIJS8_S9_EEENSB_IJS8_SA_EEENS0_18inequality_wrapperIZN2at6native12_GLOBAL__N_124unique_dim_cuda_templateIiEESt5tupleIJNSF_6TensorESK_SK_EERKSK_lbbbEUlllE0_EEPmJS9_EEE10hipError_tPvRmT3_T4_T5_T6_T7_T9_mT8_P12ihipStream_tbDpT10_ENKUlT_T0_E_clISt17integral_constantIbLb1EES1A_EEDaS15_S16_EUlS15_E_NS1_11comp_targetILNS1_3genE9ELNS1_11target_archE1100ELNS1_3gpuE3ELNS1_3repE0EEENS1_30default_config_static_selectorELNS0_4arch9wavefront6targetE0EEEvT1_.numbered_sgpr, 0
	.set _ZN7rocprim17ROCPRIM_400000_NS6detail17trampoline_kernelINS0_14default_configENS1_25partition_config_selectorILNS1_17partition_subalgoE9EllbEEZZNS1_14partition_implILS5_9ELb0ES3_jPlS8_PNS0_10empty_typeENS0_5tupleIJS8_S9_EEENSB_IJS8_SA_EEENS0_18inequality_wrapperIZN2at6native12_GLOBAL__N_124unique_dim_cuda_templateIiEESt5tupleIJNSF_6TensorESK_SK_EERKSK_lbbbEUlllE0_EEPmJS9_EEE10hipError_tPvRmT3_T4_T5_T6_T7_T9_mT8_P12ihipStream_tbDpT10_ENKUlT_T0_E_clISt17integral_constantIbLb1EES1A_EEDaS15_S16_EUlS15_E_NS1_11comp_targetILNS1_3genE9ELNS1_11target_archE1100ELNS1_3gpuE3ELNS1_3repE0EEENS1_30default_config_static_selectorELNS0_4arch9wavefront6targetE0EEEvT1_.num_named_barrier, 0
	.set _ZN7rocprim17ROCPRIM_400000_NS6detail17trampoline_kernelINS0_14default_configENS1_25partition_config_selectorILNS1_17partition_subalgoE9EllbEEZZNS1_14partition_implILS5_9ELb0ES3_jPlS8_PNS0_10empty_typeENS0_5tupleIJS8_S9_EEENSB_IJS8_SA_EEENS0_18inequality_wrapperIZN2at6native12_GLOBAL__N_124unique_dim_cuda_templateIiEESt5tupleIJNSF_6TensorESK_SK_EERKSK_lbbbEUlllE0_EEPmJS9_EEE10hipError_tPvRmT3_T4_T5_T6_T7_T9_mT8_P12ihipStream_tbDpT10_ENKUlT_T0_E_clISt17integral_constantIbLb1EES1A_EEDaS15_S16_EUlS15_E_NS1_11comp_targetILNS1_3genE9ELNS1_11target_archE1100ELNS1_3gpuE3ELNS1_3repE0EEENS1_30default_config_static_selectorELNS0_4arch9wavefront6targetE0EEEvT1_.private_seg_size, 0
	.set _ZN7rocprim17ROCPRIM_400000_NS6detail17trampoline_kernelINS0_14default_configENS1_25partition_config_selectorILNS1_17partition_subalgoE9EllbEEZZNS1_14partition_implILS5_9ELb0ES3_jPlS8_PNS0_10empty_typeENS0_5tupleIJS8_S9_EEENSB_IJS8_SA_EEENS0_18inequality_wrapperIZN2at6native12_GLOBAL__N_124unique_dim_cuda_templateIiEESt5tupleIJNSF_6TensorESK_SK_EERKSK_lbbbEUlllE0_EEPmJS9_EEE10hipError_tPvRmT3_T4_T5_T6_T7_T9_mT8_P12ihipStream_tbDpT10_ENKUlT_T0_E_clISt17integral_constantIbLb1EES1A_EEDaS15_S16_EUlS15_E_NS1_11comp_targetILNS1_3genE9ELNS1_11target_archE1100ELNS1_3gpuE3ELNS1_3repE0EEENS1_30default_config_static_selectorELNS0_4arch9wavefront6targetE0EEEvT1_.uses_vcc, 0
	.set _ZN7rocprim17ROCPRIM_400000_NS6detail17trampoline_kernelINS0_14default_configENS1_25partition_config_selectorILNS1_17partition_subalgoE9EllbEEZZNS1_14partition_implILS5_9ELb0ES3_jPlS8_PNS0_10empty_typeENS0_5tupleIJS8_S9_EEENSB_IJS8_SA_EEENS0_18inequality_wrapperIZN2at6native12_GLOBAL__N_124unique_dim_cuda_templateIiEESt5tupleIJNSF_6TensorESK_SK_EERKSK_lbbbEUlllE0_EEPmJS9_EEE10hipError_tPvRmT3_T4_T5_T6_T7_T9_mT8_P12ihipStream_tbDpT10_ENKUlT_T0_E_clISt17integral_constantIbLb1EES1A_EEDaS15_S16_EUlS15_E_NS1_11comp_targetILNS1_3genE9ELNS1_11target_archE1100ELNS1_3gpuE3ELNS1_3repE0EEENS1_30default_config_static_selectorELNS0_4arch9wavefront6targetE0EEEvT1_.uses_flat_scratch, 0
	.set _ZN7rocprim17ROCPRIM_400000_NS6detail17trampoline_kernelINS0_14default_configENS1_25partition_config_selectorILNS1_17partition_subalgoE9EllbEEZZNS1_14partition_implILS5_9ELb0ES3_jPlS8_PNS0_10empty_typeENS0_5tupleIJS8_S9_EEENSB_IJS8_SA_EEENS0_18inequality_wrapperIZN2at6native12_GLOBAL__N_124unique_dim_cuda_templateIiEESt5tupleIJNSF_6TensorESK_SK_EERKSK_lbbbEUlllE0_EEPmJS9_EEE10hipError_tPvRmT3_T4_T5_T6_T7_T9_mT8_P12ihipStream_tbDpT10_ENKUlT_T0_E_clISt17integral_constantIbLb1EES1A_EEDaS15_S16_EUlS15_E_NS1_11comp_targetILNS1_3genE9ELNS1_11target_archE1100ELNS1_3gpuE3ELNS1_3repE0EEENS1_30default_config_static_selectorELNS0_4arch9wavefront6targetE0EEEvT1_.has_dyn_sized_stack, 0
	.set _ZN7rocprim17ROCPRIM_400000_NS6detail17trampoline_kernelINS0_14default_configENS1_25partition_config_selectorILNS1_17partition_subalgoE9EllbEEZZNS1_14partition_implILS5_9ELb0ES3_jPlS8_PNS0_10empty_typeENS0_5tupleIJS8_S9_EEENSB_IJS8_SA_EEENS0_18inequality_wrapperIZN2at6native12_GLOBAL__N_124unique_dim_cuda_templateIiEESt5tupleIJNSF_6TensorESK_SK_EERKSK_lbbbEUlllE0_EEPmJS9_EEE10hipError_tPvRmT3_T4_T5_T6_T7_T9_mT8_P12ihipStream_tbDpT10_ENKUlT_T0_E_clISt17integral_constantIbLb1EES1A_EEDaS15_S16_EUlS15_E_NS1_11comp_targetILNS1_3genE9ELNS1_11target_archE1100ELNS1_3gpuE3ELNS1_3repE0EEENS1_30default_config_static_selectorELNS0_4arch9wavefront6targetE0EEEvT1_.has_recursion, 0
	.set _ZN7rocprim17ROCPRIM_400000_NS6detail17trampoline_kernelINS0_14default_configENS1_25partition_config_selectorILNS1_17partition_subalgoE9EllbEEZZNS1_14partition_implILS5_9ELb0ES3_jPlS8_PNS0_10empty_typeENS0_5tupleIJS8_S9_EEENSB_IJS8_SA_EEENS0_18inequality_wrapperIZN2at6native12_GLOBAL__N_124unique_dim_cuda_templateIiEESt5tupleIJNSF_6TensorESK_SK_EERKSK_lbbbEUlllE0_EEPmJS9_EEE10hipError_tPvRmT3_T4_T5_T6_T7_T9_mT8_P12ihipStream_tbDpT10_ENKUlT_T0_E_clISt17integral_constantIbLb1EES1A_EEDaS15_S16_EUlS15_E_NS1_11comp_targetILNS1_3genE9ELNS1_11target_archE1100ELNS1_3gpuE3ELNS1_3repE0EEENS1_30default_config_static_selectorELNS0_4arch9wavefront6targetE0EEEvT1_.has_indirect_call, 0
	.section	.AMDGPU.csdata,"",@progbits
; Kernel info:
; codeLenInByte = 0
; TotalNumSgprs: 0
; NumVgprs: 0
; ScratchSize: 0
; MemoryBound: 0
; FloatMode: 240
; IeeeMode: 1
; LDSByteSize: 0 bytes/workgroup (compile time only)
; SGPRBlocks: 0
; VGPRBlocks: 0
; NumSGPRsForWavesPerEU: 1
; NumVGPRsForWavesPerEU: 1
; NamedBarCnt: 0
; Occupancy: 16
; WaveLimiterHint : 0
; COMPUTE_PGM_RSRC2:SCRATCH_EN: 0
; COMPUTE_PGM_RSRC2:USER_SGPR: 2
; COMPUTE_PGM_RSRC2:TRAP_HANDLER: 0
; COMPUTE_PGM_RSRC2:TGID_X_EN: 1
; COMPUTE_PGM_RSRC2:TGID_Y_EN: 0
; COMPUTE_PGM_RSRC2:TGID_Z_EN: 0
; COMPUTE_PGM_RSRC2:TIDIG_COMP_CNT: 0
	.section	.text._ZN7rocprim17ROCPRIM_400000_NS6detail17trampoline_kernelINS0_14default_configENS1_25partition_config_selectorILNS1_17partition_subalgoE9EllbEEZZNS1_14partition_implILS5_9ELb0ES3_jPlS8_PNS0_10empty_typeENS0_5tupleIJS8_S9_EEENSB_IJS8_SA_EEENS0_18inequality_wrapperIZN2at6native12_GLOBAL__N_124unique_dim_cuda_templateIiEESt5tupleIJNSF_6TensorESK_SK_EERKSK_lbbbEUlllE0_EEPmJS9_EEE10hipError_tPvRmT3_T4_T5_T6_T7_T9_mT8_P12ihipStream_tbDpT10_ENKUlT_T0_E_clISt17integral_constantIbLb1EES1A_EEDaS15_S16_EUlS15_E_NS1_11comp_targetILNS1_3genE8ELNS1_11target_archE1030ELNS1_3gpuE2ELNS1_3repE0EEENS1_30default_config_static_selectorELNS0_4arch9wavefront6targetE0EEEvT1_,"axG",@progbits,_ZN7rocprim17ROCPRIM_400000_NS6detail17trampoline_kernelINS0_14default_configENS1_25partition_config_selectorILNS1_17partition_subalgoE9EllbEEZZNS1_14partition_implILS5_9ELb0ES3_jPlS8_PNS0_10empty_typeENS0_5tupleIJS8_S9_EEENSB_IJS8_SA_EEENS0_18inequality_wrapperIZN2at6native12_GLOBAL__N_124unique_dim_cuda_templateIiEESt5tupleIJNSF_6TensorESK_SK_EERKSK_lbbbEUlllE0_EEPmJS9_EEE10hipError_tPvRmT3_T4_T5_T6_T7_T9_mT8_P12ihipStream_tbDpT10_ENKUlT_T0_E_clISt17integral_constantIbLb1EES1A_EEDaS15_S16_EUlS15_E_NS1_11comp_targetILNS1_3genE8ELNS1_11target_archE1030ELNS1_3gpuE2ELNS1_3repE0EEENS1_30default_config_static_selectorELNS0_4arch9wavefront6targetE0EEEvT1_,comdat
	.globl	_ZN7rocprim17ROCPRIM_400000_NS6detail17trampoline_kernelINS0_14default_configENS1_25partition_config_selectorILNS1_17partition_subalgoE9EllbEEZZNS1_14partition_implILS5_9ELb0ES3_jPlS8_PNS0_10empty_typeENS0_5tupleIJS8_S9_EEENSB_IJS8_SA_EEENS0_18inequality_wrapperIZN2at6native12_GLOBAL__N_124unique_dim_cuda_templateIiEESt5tupleIJNSF_6TensorESK_SK_EERKSK_lbbbEUlllE0_EEPmJS9_EEE10hipError_tPvRmT3_T4_T5_T6_T7_T9_mT8_P12ihipStream_tbDpT10_ENKUlT_T0_E_clISt17integral_constantIbLb1EES1A_EEDaS15_S16_EUlS15_E_NS1_11comp_targetILNS1_3genE8ELNS1_11target_archE1030ELNS1_3gpuE2ELNS1_3repE0EEENS1_30default_config_static_selectorELNS0_4arch9wavefront6targetE0EEEvT1_ ; -- Begin function _ZN7rocprim17ROCPRIM_400000_NS6detail17trampoline_kernelINS0_14default_configENS1_25partition_config_selectorILNS1_17partition_subalgoE9EllbEEZZNS1_14partition_implILS5_9ELb0ES3_jPlS8_PNS0_10empty_typeENS0_5tupleIJS8_S9_EEENSB_IJS8_SA_EEENS0_18inequality_wrapperIZN2at6native12_GLOBAL__N_124unique_dim_cuda_templateIiEESt5tupleIJNSF_6TensorESK_SK_EERKSK_lbbbEUlllE0_EEPmJS9_EEE10hipError_tPvRmT3_T4_T5_T6_T7_T9_mT8_P12ihipStream_tbDpT10_ENKUlT_T0_E_clISt17integral_constantIbLb1EES1A_EEDaS15_S16_EUlS15_E_NS1_11comp_targetILNS1_3genE8ELNS1_11target_archE1030ELNS1_3gpuE2ELNS1_3repE0EEENS1_30default_config_static_selectorELNS0_4arch9wavefront6targetE0EEEvT1_
	.p2align	8
	.type	_ZN7rocprim17ROCPRIM_400000_NS6detail17trampoline_kernelINS0_14default_configENS1_25partition_config_selectorILNS1_17partition_subalgoE9EllbEEZZNS1_14partition_implILS5_9ELb0ES3_jPlS8_PNS0_10empty_typeENS0_5tupleIJS8_S9_EEENSB_IJS8_SA_EEENS0_18inequality_wrapperIZN2at6native12_GLOBAL__N_124unique_dim_cuda_templateIiEESt5tupleIJNSF_6TensorESK_SK_EERKSK_lbbbEUlllE0_EEPmJS9_EEE10hipError_tPvRmT3_T4_T5_T6_T7_T9_mT8_P12ihipStream_tbDpT10_ENKUlT_T0_E_clISt17integral_constantIbLb1EES1A_EEDaS15_S16_EUlS15_E_NS1_11comp_targetILNS1_3genE8ELNS1_11target_archE1030ELNS1_3gpuE2ELNS1_3repE0EEENS1_30default_config_static_selectorELNS0_4arch9wavefront6targetE0EEEvT1_,@function
_ZN7rocprim17ROCPRIM_400000_NS6detail17trampoline_kernelINS0_14default_configENS1_25partition_config_selectorILNS1_17partition_subalgoE9EllbEEZZNS1_14partition_implILS5_9ELb0ES3_jPlS8_PNS0_10empty_typeENS0_5tupleIJS8_S9_EEENSB_IJS8_SA_EEENS0_18inequality_wrapperIZN2at6native12_GLOBAL__N_124unique_dim_cuda_templateIiEESt5tupleIJNSF_6TensorESK_SK_EERKSK_lbbbEUlllE0_EEPmJS9_EEE10hipError_tPvRmT3_T4_T5_T6_T7_T9_mT8_P12ihipStream_tbDpT10_ENKUlT_T0_E_clISt17integral_constantIbLb1EES1A_EEDaS15_S16_EUlS15_E_NS1_11comp_targetILNS1_3genE8ELNS1_11target_archE1030ELNS1_3gpuE2ELNS1_3repE0EEENS1_30default_config_static_selectorELNS0_4arch9wavefront6targetE0EEEvT1_: ; @_ZN7rocprim17ROCPRIM_400000_NS6detail17trampoline_kernelINS0_14default_configENS1_25partition_config_selectorILNS1_17partition_subalgoE9EllbEEZZNS1_14partition_implILS5_9ELb0ES3_jPlS8_PNS0_10empty_typeENS0_5tupleIJS8_S9_EEENSB_IJS8_SA_EEENS0_18inequality_wrapperIZN2at6native12_GLOBAL__N_124unique_dim_cuda_templateIiEESt5tupleIJNSF_6TensorESK_SK_EERKSK_lbbbEUlllE0_EEPmJS9_EEE10hipError_tPvRmT3_T4_T5_T6_T7_T9_mT8_P12ihipStream_tbDpT10_ENKUlT_T0_E_clISt17integral_constantIbLb1EES1A_EEDaS15_S16_EUlS15_E_NS1_11comp_targetILNS1_3genE8ELNS1_11target_archE1030ELNS1_3gpuE2ELNS1_3repE0EEENS1_30default_config_static_selectorELNS0_4arch9wavefront6targetE0EEEvT1_
; %bb.0:
	.section	.rodata,"a",@progbits
	.p2align	6, 0x0
	.amdhsa_kernel _ZN7rocprim17ROCPRIM_400000_NS6detail17trampoline_kernelINS0_14default_configENS1_25partition_config_selectorILNS1_17partition_subalgoE9EllbEEZZNS1_14partition_implILS5_9ELb0ES3_jPlS8_PNS0_10empty_typeENS0_5tupleIJS8_S9_EEENSB_IJS8_SA_EEENS0_18inequality_wrapperIZN2at6native12_GLOBAL__N_124unique_dim_cuda_templateIiEESt5tupleIJNSF_6TensorESK_SK_EERKSK_lbbbEUlllE0_EEPmJS9_EEE10hipError_tPvRmT3_T4_T5_T6_T7_T9_mT8_P12ihipStream_tbDpT10_ENKUlT_T0_E_clISt17integral_constantIbLb1EES1A_EEDaS15_S16_EUlS15_E_NS1_11comp_targetILNS1_3genE8ELNS1_11target_archE1030ELNS1_3gpuE2ELNS1_3repE0EEENS1_30default_config_static_selectorELNS0_4arch9wavefront6targetE0EEEvT1_
		.amdhsa_group_segment_fixed_size 0
		.amdhsa_private_segment_fixed_size 0
		.amdhsa_kernarg_size 136
		.amdhsa_user_sgpr_count 2
		.amdhsa_user_sgpr_dispatch_ptr 0
		.amdhsa_user_sgpr_queue_ptr 0
		.amdhsa_user_sgpr_kernarg_segment_ptr 1
		.amdhsa_user_sgpr_dispatch_id 0
		.amdhsa_user_sgpr_kernarg_preload_length 0
		.amdhsa_user_sgpr_kernarg_preload_offset 0
		.amdhsa_user_sgpr_private_segment_size 0
		.amdhsa_wavefront_size32 1
		.amdhsa_uses_dynamic_stack 0
		.amdhsa_enable_private_segment 0
		.amdhsa_system_sgpr_workgroup_id_x 1
		.amdhsa_system_sgpr_workgroup_id_y 0
		.amdhsa_system_sgpr_workgroup_id_z 0
		.amdhsa_system_sgpr_workgroup_info 0
		.amdhsa_system_vgpr_workitem_id 0
		.amdhsa_next_free_vgpr 1
		.amdhsa_next_free_sgpr 1
		.amdhsa_named_barrier_count 0
		.amdhsa_reserve_vcc 0
		.amdhsa_float_round_mode_32 0
		.amdhsa_float_round_mode_16_64 0
		.amdhsa_float_denorm_mode_32 3
		.amdhsa_float_denorm_mode_16_64 3
		.amdhsa_fp16_overflow 0
		.amdhsa_memory_ordered 1
		.amdhsa_forward_progress 1
		.amdhsa_inst_pref_size 0
		.amdhsa_round_robin_scheduling 0
		.amdhsa_exception_fp_ieee_invalid_op 0
		.amdhsa_exception_fp_denorm_src 0
		.amdhsa_exception_fp_ieee_div_zero 0
		.amdhsa_exception_fp_ieee_overflow 0
		.amdhsa_exception_fp_ieee_underflow 0
		.amdhsa_exception_fp_ieee_inexact 0
		.amdhsa_exception_int_div_zero 0
	.end_amdhsa_kernel
	.section	.text._ZN7rocprim17ROCPRIM_400000_NS6detail17trampoline_kernelINS0_14default_configENS1_25partition_config_selectorILNS1_17partition_subalgoE9EllbEEZZNS1_14partition_implILS5_9ELb0ES3_jPlS8_PNS0_10empty_typeENS0_5tupleIJS8_S9_EEENSB_IJS8_SA_EEENS0_18inequality_wrapperIZN2at6native12_GLOBAL__N_124unique_dim_cuda_templateIiEESt5tupleIJNSF_6TensorESK_SK_EERKSK_lbbbEUlllE0_EEPmJS9_EEE10hipError_tPvRmT3_T4_T5_T6_T7_T9_mT8_P12ihipStream_tbDpT10_ENKUlT_T0_E_clISt17integral_constantIbLb1EES1A_EEDaS15_S16_EUlS15_E_NS1_11comp_targetILNS1_3genE8ELNS1_11target_archE1030ELNS1_3gpuE2ELNS1_3repE0EEENS1_30default_config_static_selectorELNS0_4arch9wavefront6targetE0EEEvT1_,"axG",@progbits,_ZN7rocprim17ROCPRIM_400000_NS6detail17trampoline_kernelINS0_14default_configENS1_25partition_config_selectorILNS1_17partition_subalgoE9EllbEEZZNS1_14partition_implILS5_9ELb0ES3_jPlS8_PNS0_10empty_typeENS0_5tupleIJS8_S9_EEENSB_IJS8_SA_EEENS0_18inequality_wrapperIZN2at6native12_GLOBAL__N_124unique_dim_cuda_templateIiEESt5tupleIJNSF_6TensorESK_SK_EERKSK_lbbbEUlllE0_EEPmJS9_EEE10hipError_tPvRmT3_T4_T5_T6_T7_T9_mT8_P12ihipStream_tbDpT10_ENKUlT_T0_E_clISt17integral_constantIbLb1EES1A_EEDaS15_S16_EUlS15_E_NS1_11comp_targetILNS1_3genE8ELNS1_11target_archE1030ELNS1_3gpuE2ELNS1_3repE0EEENS1_30default_config_static_selectorELNS0_4arch9wavefront6targetE0EEEvT1_,comdat
.Lfunc_end488:
	.size	_ZN7rocprim17ROCPRIM_400000_NS6detail17trampoline_kernelINS0_14default_configENS1_25partition_config_selectorILNS1_17partition_subalgoE9EllbEEZZNS1_14partition_implILS5_9ELb0ES3_jPlS8_PNS0_10empty_typeENS0_5tupleIJS8_S9_EEENSB_IJS8_SA_EEENS0_18inequality_wrapperIZN2at6native12_GLOBAL__N_124unique_dim_cuda_templateIiEESt5tupleIJNSF_6TensorESK_SK_EERKSK_lbbbEUlllE0_EEPmJS9_EEE10hipError_tPvRmT3_T4_T5_T6_T7_T9_mT8_P12ihipStream_tbDpT10_ENKUlT_T0_E_clISt17integral_constantIbLb1EES1A_EEDaS15_S16_EUlS15_E_NS1_11comp_targetILNS1_3genE8ELNS1_11target_archE1030ELNS1_3gpuE2ELNS1_3repE0EEENS1_30default_config_static_selectorELNS0_4arch9wavefront6targetE0EEEvT1_, .Lfunc_end488-_ZN7rocprim17ROCPRIM_400000_NS6detail17trampoline_kernelINS0_14default_configENS1_25partition_config_selectorILNS1_17partition_subalgoE9EllbEEZZNS1_14partition_implILS5_9ELb0ES3_jPlS8_PNS0_10empty_typeENS0_5tupleIJS8_S9_EEENSB_IJS8_SA_EEENS0_18inequality_wrapperIZN2at6native12_GLOBAL__N_124unique_dim_cuda_templateIiEESt5tupleIJNSF_6TensorESK_SK_EERKSK_lbbbEUlllE0_EEPmJS9_EEE10hipError_tPvRmT3_T4_T5_T6_T7_T9_mT8_P12ihipStream_tbDpT10_ENKUlT_T0_E_clISt17integral_constantIbLb1EES1A_EEDaS15_S16_EUlS15_E_NS1_11comp_targetILNS1_3genE8ELNS1_11target_archE1030ELNS1_3gpuE2ELNS1_3repE0EEENS1_30default_config_static_selectorELNS0_4arch9wavefront6targetE0EEEvT1_
                                        ; -- End function
	.set _ZN7rocprim17ROCPRIM_400000_NS6detail17trampoline_kernelINS0_14default_configENS1_25partition_config_selectorILNS1_17partition_subalgoE9EllbEEZZNS1_14partition_implILS5_9ELb0ES3_jPlS8_PNS0_10empty_typeENS0_5tupleIJS8_S9_EEENSB_IJS8_SA_EEENS0_18inequality_wrapperIZN2at6native12_GLOBAL__N_124unique_dim_cuda_templateIiEESt5tupleIJNSF_6TensorESK_SK_EERKSK_lbbbEUlllE0_EEPmJS9_EEE10hipError_tPvRmT3_T4_T5_T6_T7_T9_mT8_P12ihipStream_tbDpT10_ENKUlT_T0_E_clISt17integral_constantIbLb1EES1A_EEDaS15_S16_EUlS15_E_NS1_11comp_targetILNS1_3genE8ELNS1_11target_archE1030ELNS1_3gpuE2ELNS1_3repE0EEENS1_30default_config_static_selectorELNS0_4arch9wavefront6targetE0EEEvT1_.num_vgpr, 0
	.set _ZN7rocprim17ROCPRIM_400000_NS6detail17trampoline_kernelINS0_14default_configENS1_25partition_config_selectorILNS1_17partition_subalgoE9EllbEEZZNS1_14partition_implILS5_9ELb0ES3_jPlS8_PNS0_10empty_typeENS0_5tupleIJS8_S9_EEENSB_IJS8_SA_EEENS0_18inequality_wrapperIZN2at6native12_GLOBAL__N_124unique_dim_cuda_templateIiEESt5tupleIJNSF_6TensorESK_SK_EERKSK_lbbbEUlllE0_EEPmJS9_EEE10hipError_tPvRmT3_T4_T5_T6_T7_T9_mT8_P12ihipStream_tbDpT10_ENKUlT_T0_E_clISt17integral_constantIbLb1EES1A_EEDaS15_S16_EUlS15_E_NS1_11comp_targetILNS1_3genE8ELNS1_11target_archE1030ELNS1_3gpuE2ELNS1_3repE0EEENS1_30default_config_static_selectorELNS0_4arch9wavefront6targetE0EEEvT1_.num_agpr, 0
	.set _ZN7rocprim17ROCPRIM_400000_NS6detail17trampoline_kernelINS0_14default_configENS1_25partition_config_selectorILNS1_17partition_subalgoE9EllbEEZZNS1_14partition_implILS5_9ELb0ES3_jPlS8_PNS0_10empty_typeENS0_5tupleIJS8_S9_EEENSB_IJS8_SA_EEENS0_18inequality_wrapperIZN2at6native12_GLOBAL__N_124unique_dim_cuda_templateIiEESt5tupleIJNSF_6TensorESK_SK_EERKSK_lbbbEUlllE0_EEPmJS9_EEE10hipError_tPvRmT3_T4_T5_T6_T7_T9_mT8_P12ihipStream_tbDpT10_ENKUlT_T0_E_clISt17integral_constantIbLb1EES1A_EEDaS15_S16_EUlS15_E_NS1_11comp_targetILNS1_3genE8ELNS1_11target_archE1030ELNS1_3gpuE2ELNS1_3repE0EEENS1_30default_config_static_selectorELNS0_4arch9wavefront6targetE0EEEvT1_.numbered_sgpr, 0
	.set _ZN7rocprim17ROCPRIM_400000_NS6detail17trampoline_kernelINS0_14default_configENS1_25partition_config_selectorILNS1_17partition_subalgoE9EllbEEZZNS1_14partition_implILS5_9ELb0ES3_jPlS8_PNS0_10empty_typeENS0_5tupleIJS8_S9_EEENSB_IJS8_SA_EEENS0_18inequality_wrapperIZN2at6native12_GLOBAL__N_124unique_dim_cuda_templateIiEESt5tupleIJNSF_6TensorESK_SK_EERKSK_lbbbEUlllE0_EEPmJS9_EEE10hipError_tPvRmT3_T4_T5_T6_T7_T9_mT8_P12ihipStream_tbDpT10_ENKUlT_T0_E_clISt17integral_constantIbLb1EES1A_EEDaS15_S16_EUlS15_E_NS1_11comp_targetILNS1_3genE8ELNS1_11target_archE1030ELNS1_3gpuE2ELNS1_3repE0EEENS1_30default_config_static_selectorELNS0_4arch9wavefront6targetE0EEEvT1_.num_named_barrier, 0
	.set _ZN7rocprim17ROCPRIM_400000_NS6detail17trampoline_kernelINS0_14default_configENS1_25partition_config_selectorILNS1_17partition_subalgoE9EllbEEZZNS1_14partition_implILS5_9ELb0ES3_jPlS8_PNS0_10empty_typeENS0_5tupleIJS8_S9_EEENSB_IJS8_SA_EEENS0_18inequality_wrapperIZN2at6native12_GLOBAL__N_124unique_dim_cuda_templateIiEESt5tupleIJNSF_6TensorESK_SK_EERKSK_lbbbEUlllE0_EEPmJS9_EEE10hipError_tPvRmT3_T4_T5_T6_T7_T9_mT8_P12ihipStream_tbDpT10_ENKUlT_T0_E_clISt17integral_constantIbLb1EES1A_EEDaS15_S16_EUlS15_E_NS1_11comp_targetILNS1_3genE8ELNS1_11target_archE1030ELNS1_3gpuE2ELNS1_3repE0EEENS1_30default_config_static_selectorELNS0_4arch9wavefront6targetE0EEEvT1_.private_seg_size, 0
	.set _ZN7rocprim17ROCPRIM_400000_NS6detail17trampoline_kernelINS0_14default_configENS1_25partition_config_selectorILNS1_17partition_subalgoE9EllbEEZZNS1_14partition_implILS5_9ELb0ES3_jPlS8_PNS0_10empty_typeENS0_5tupleIJS8_S9_EEENSB_IJS8_SA_EEENS0_18inequality_wrapperIZN2at6native12_GLOBAL__N_124unique_dim_cuda_templateIiEESt5tupleIJNSF_6TensorESK_SK_EERKSK_lbbbEUlllE0_EEPmJS9_EEE10hipError_tPvRmT3_T4_T5_T6_T7_T9_mT8_P12ihipStream_tbDpT10_ENKUlT_T0_E_clISt17integral_constantIbLb1EES1A_EEDaS15_S16_EUlS15_E_NS1_11comp_targetILNS1_3genE8ELNS1_11target_archE1030ELNS1_3gpuE2ELNS1_3repE0EEENS1_30default_config_static_selectorELNS0_4arch9wavefront6targetE0EEEvT1_.uses_vcc, 0
	.set _ZN7rocprim17ROCPRIM_400000_NS6detail17trampoline_kernelINS0_14default_configENS1_25partition_config_selectorILNS1_17partition_subalgoE9EllbEEZZNS1_14partition_implILS5_9ELb0ES3_jPlS8_PNS0_10empty_typeENS0_5tupleIJS8_S9_EEENSB_IJS8_SA_EEENS0_18inequality_wrapperIZN2at6native12_GLOBAL__N_124unique_dim_cuda_templateIiEESt5tupleIJNSF_6TensorESK_SK_EERKSK_lbbbEUlllE0_EEPmJS9_EEE10hipError_tPvRmT3_T4_T5_T6_T7_T9_mT8_P12ihipStream_tbDpT10_ENKUlT_T0_E_clISt17integral_constantIbLb1EES1A_EEDaS15_S16_EUlS15_E_NS1_11comp_targetILNS1_3genE8ELNS1_11target_archE1030ELNS1_3gpuE2ELNS1_3repE0EEENS1_30default_config_static_selectorELNS0_4arch9wavefront6targetE0EEEvT1_.uses_flat_scratch, 0
	.set _ZN7rocprim17ROCPRIM_400000_NS6detail17trampoline_kernelINS0_14default_configENS1_25partition_config_selectorILNS1_17partition_subalgoE9EllbEEZZNS1_14partition_implILS5_9ELb0ES3_jPlS8_PNS0_10empty_typeENS0_5tupleIJS8_S9_EEENSB_IJS8_SA_EEENS0_18inequality_wrapperIZN2at6native12_GLOBAL__N_124unique_dim_cuda_templateIiEESt5tupleIJNSF_6TensorESK_SK_EERKSK_lbbbEUlllE0_EEPmJS9_EEE10hipError_tPvRmT3_T4_T5_T6_T7_T9_mT8_P12ihipStream_tbDpT10_ENKUlT_T0_E_clISt17integral_constantIbLb1EES1A_EEDaS15_S16_EUlS15_E_NS1_11comp_targetILNS1_3genE8ELNS1_11target_archE1030ELNS1_3gpuE2ELNS1_3repE0EEENS1_30default_config_static_selectorELNS0_4arch9wavefront6targetE0EEEvT1_.has_dyn_sized_stack, 0
	.set _ZN7rocprim17ROCPRIM_400000_NS6detail17trampoline_kernelINS0_14default_configENS1_25partition_config_selectorILNS1_17partition_subalgoE9EllbEEZZNS1_14partition_implILS5_9ELb0ES3_jPlS8_PNS0_10empty_typeENS0_5tupleIJS8_S9_EEENSB_IJS8_SA_EEENS0_18inequality_wrapperIZN2at6native12_GLOBAL__N_124unique_dim_cuda_templateIiEESt5tupleIJNSF_6TensorESK_SK_EERKSK_lbbbEUlllE0_EEPmJS9_EEE10hipError_tPvRmT3_T4_T5_T6_T7_T9_mT8_P12ihipStream_tbDpT10_ENKUlT_T0_E_clISt17integral_constantIbLb1EES1A_EEDaS15_S16_EUlS15_E_NS1_11comp_targetILNS1_3genE8ELNS1_11target_archE1030ELNS1_3gpuE2ELNS1_3repE0EEENS1_30default_config_static_selectorELNS0_4arch9wavefront6targetE0EEEvT1_.has_recursion, 0
	.set _ZN7rocprim17ROCPRIM_400000_NS6detail17trampoline_kernelINS0_14default_configENS1_25partition_config_selectorILNS1_17partition_subalgoE9EllbEEZZNS1_14partition_implILS5_9ELb0ES3_jPlS8_PNS0_10empty_typeENS0_5tupleIJS8_S9_EEENSB_IJS8_SA_EEENS0_18inequality_wrapperIZN2at6native12_GLOBAL__N_124unique_dim_cuda_templateIiEESt5tupleIJNSF_6TensorESK_SK_EERKSK_lbbbEUlllE0_EEPmJS9_EEE10hipError_tPvRmT3_T4_T5_T6_T7_T9_mT8_P12ihipStream_tbDpT10_ENKUlT_T0_E_clISt17integral_constantIbLb1EES1A_EEDaS15_S16_EUlS15_E_NS1_11comp_targetILNS1_3genE8ELNS1_11target_archE1030ELNS1_3gpuE2ELNS1_3repE0EEENS1_30default_config_static_selectorELNS0_4arch9wavefront6targetE0EEEvT1_.has_indirect_call, 0
	.section	.AMDGPU.csdata,"",@progbits
; Kernel info:
; codeLenInByte = 0
; TotalNumSgprs: 0
; NumVgprs: 0
; ScratchSize: 0
; MemoryBound: 0
; FloatMode: 240
; IeeeMode: 1
; LDSByteSize: 0 bytes/workgroup (compile time only)
; SGPRBlocks: 0
; VGPRBlocks: 0
; NumSGPRsForWavesPerEU: 1
; NumVGPRsForWavesPerEU: 1
; NamedBarCnt: 0
; Occupancy: 16
; WaveLimiterHint : 0
; COMPUTE_PGM_RSRC2:SCRATCH_EN: 0
; COMPUTE_PGM_RSRC2:USER_SGPR: 2
; COMPUTE_PGM_RSRC2:TRAP_HANDLER: 0
; COMPUTE_PGM_RSRC2:TGID_X_EN: 1
; COMPUTE_PGM_RSRC2:TGID_Y_EN: 0
; COMPUTE_PGM_RSRC2:TGID_Z_EN: 0
; COMPUTE_PGM_RSRC2:TIDIG_COMP_CNT: 0
	.section	.text._ZN7rocprim17ROCPRIM_400000_NS6detail17trampoline_kernelINS0_14default_configENS1_25partition_config_selectorILNS1_17partition_subalgoE9EllbEEZZNS1_14partition_implILS5_9ELb0ES3_jPlS8_PNS0_10empty_typeENS0_5tupleIJS8_S9_EEENSB_IJS8_SA_EEENS0_18inequality_wrapperIZN2at6native12_GLOBAL__N_124unique_dim_cuda_templateIiEESt5tupleIJNSF_6TensorESK_SK_EERKSK_lbbbEUlllE0_EEPmJS9_EEE10hipError_tPvRmT3_T4_T5_T6_T7_T9_mT8_P12ihipStream_tbDpT10_ENKUlT_T0_E_clISt17integral_constantIbLb1EES19_IbLb0EEEEDaS15_S16_EUlS15_E_NS1_11comp_targetILNS1_3genE0ELNS1_11target_archE4294967295ELNS1_3gpuE0ELNS1_3repE0EEENS1_30default_config_static_selectorELNS0_4arch9wavefront6targetE0EEEvT1_,"axG",@progbits,_ZN7rocprim17ROCPRIM_400000_NS6detail17trampoline_kernelINS0_14default_configENS1_25partition_config_selectorILNS1_17partition_subalgoE9EllbEEZZNS1_14partition_implILS5_9ELb0ES3_jPlS8_PNS0_10empty_typeENS0_5tupleIJS8_S9_EEENSB_IJS8_SA_EEENS0_18inequality_wrapperIZN2at6native12_GLOBAL__N_124unique_dim_cuda_templateIiEESt5tupleIJNSF_6TensorESK_SK_EERKSK_lbbbEUlllE0_EEPmJS9_EEE10hipError_tPvRmT3_T4_T5_T6_T7_T9_mT8_P12ihipStream_tbDpT10_ENKUlT_T0_E_clISt17integral_constantIbLb1EES19_IbLb0EEEEDaS15_S16_EUlS15_E_NS1_11comp_targetILNS1_3genE0ELNS1_11target_archE4294967295ELNS1_3gpuE0ELNS1_3repE0EEENS1_30default_config_static_selectorELNS0_4arch9wavefront6targetE0EEEvT1_,comdat
	.globl	_ZN7rocprim17ROCPRIM_400000_NS6detail17trampoline_kernelINS0_14default_configENS1_25partition_config_selectorILNS1_17partition_subalgoE9EllbEEZZNS1_14partition_implILS5_9ELb0ES3_jPlS8_PNS0_10empty_typeENS0_5tupleIJS8_S9_EEENSB_IJS8_SA_EEENS0_18inequality_wrapperIZN2at6native12_GLOBAL__N_124unique_dim_cuda_templateIiEESt5tupleIJNSF_6TensorESK_SK_EERKSK_lbbbEUlllE0_EEPmJS9_EEE10hipError_tPvRmT3_T4_T5_T6_T7_T9_mT8_P12ihipStream_tbDpT10_ENKUlT_T0_E_clISt17integral_constantIbLb1EES19_IbLb0EEEEDaS15_S16_EUlS15_E_NS1_11comp_targetILNS1_3genE0ELNS1_11target_archE4294967295ELNS1_3gpuE0ELNS1_3repE0EEENS1_30default_config_static_selectorELNS0_4arch9wavefront6targetE0EEEvT1_ ; -- Begin function _ZN7rocprim17ROCPRIM_400000_NS6detail17trampoline_kernelINS0_14default_configENS1_25partition_config_selectorILNS1_17partition_subalgoE9EllbEEZZNS1_14partition_implILS5_9ELb0ES3_jPlS8_PNS0_10empty_typeENS0_5tupleIJS8_S9_EEENSB_IJS8_SA_EEENS0_18inequality_wrapperIZN2at6native12_GLOBAL__N_124unique_dim_cuda_templateIiEESt5tupleIJNSF_6TensorESK_SK_EERKSK_lbbbEUlllE0_EEPmJS9_EEE10hipError_tPvRmT3_T4_T5_T6_T7_T9_mT8_P12ihipStream_tbDpT10_ENKUlT_T0_E_clISt17integral_constantIbLb1EES19_IbLb0EEEEDaS15_S16_EUlS15_E_NS1_11comp_targetILNS1_3genE0ELNS1_11target_archE4294967295ELNS1_3gpuE0ELNS1_3repE0EEENS1_30default_config_static_selectorELNS0_4arch9wavefront6targetE0EEEvT1_
	.p2align	8
	.type	_ZN7rocprim17ROCPRIM_400000_NS6detail17trampoline_kernelINS0_14default_configENS1_25partition_config_selectorILNS1_17partition_subalgoE9EllbEEZZNS1_14partition_implILS5_9ELb0ES3_jPlS8_PNS0_10empty_typeENS0_5tupleIJS8_S9_EEENSB_IJS8_SA_EEENS0_18inequality_wrapperIZN2at6native12_GLOBAL__N_124unique_dim_cuda_templateIiEESt5tupleIJNSF_6TensorESK_SK_EERKSK_lbbbEUlllE0_EEPmJS9_EEE10hipError_tPvRmT3_T4_T5_T6_T7_T9_mT8_P12ihipStream_tbDpT10_ENKUlT_T0_E_clISt17integral_constantIbLb1EES19_IbLb0EEEEDaS15_S16_EUlS15_E_NS1_11comp_targetILNS1_3genE0ELNS1_11target_archE4294967295ELNS1_3gpuE0ELNS1_3repE0EEENS1_30default_config_static_selectorELNS0_4arch9wavefront6targetE0EEEvT1_,@function
_ZN7rocprim17ROCPRIM_400000_NS6detail17trampoline_kernelINS0_14default_configENS1_25partition_config_selectorILNS1_17partition_subalgoE9EllbEEZZNS1_14partition_implILS5_9ELb0ES3_jPlS8_PNS0_10empty_typeENS0_5tupleIJS8_S9_EEENSB_IJS8_SA_EEENS0_18inequality_wrapperIZN2at6native12_GLOBAL__N_124unique_dim_cuda_templateIiEESt5tupleIJNSF_6TensorESK_SK_EERKSK_lbbbEUlllE0_EEPmJS9_EEE10hipError_tPvRmT3_T4_T5_T6_T7_T9_mT8_P12ihipStream_tbDpT10_ENKUlT_T0_E_clISt17integral_constantIbLb1EES19_IbLb0EEEEDaS15_S16_EUlS15_E_NS1_11comp_targetILNS1_3genE0ELNS1_11target_archE4294967295ELNS1_3gpuE0ELNS1_3repE0EEENS1_30default_config_static_selectorELNS0_4arch9wavefront6targetE0EEEvT1_: ; @_ZN7rocprim17ROCPRIM_400000_NS6detail17trampoline_kernelINS0_14default_configENS1_25partition_config_selectorILNS1_17partition_subalgoE9EllbEEZZNS1_14partition_implILS5_9ELb0ES3_jPlS8_PNS0_10empty_typeENS0_5tupleIJS8_S9_EEENSB_IJS8_SA_EEENS0_18inequality_wrapperIZN2at6native12_GLOBAL__N_124unique_dim_cuda_templateIiEESt5tupleIJNSF_6TensorESK_SK_EERKSK_lbbbEUlllE0_EEPmJS9_EEE10hipError_tPvRmT3_T4_T5_T6_T7_T9_mT8_P12ihipStream_tbDpT10_ENKUlT_T0_E_clISt17integral_constantIbLb1EES19_IbLb0EEEEDaS15_S16_EUlS15_E_NS1_11comp_targetILNS1_3genE0ELNS1_11target_archE4294967295ELNS1_3gpuE0ELNS1_3repE0EEENS1_30default_config_static_selectorELNS0_4arch9wavefront6targetE0EEEvT1_
; %bb.0:
	s_endpgm
	.section	.rodata,"a",@progbits
	.p2align	6, 0x0
	.amdhsa_kernel _ZN7rocprim17ROCPRIM_400000_NS6detail17trampoline_kernelINS0_14default_configENS1_25partition_config_selectorILNS1_17partition_subalgoE9EllbEEZZNS1_14partition_implILS5_9ELb0ES3_jPlS8_PNS0_10empty_typeENS0_5tupleIJS8_S9_EEENSB_IJS8_SA_EEENS0_18inequality_wrapperIZN2at6native12_GLOBAL__N_124unique_dim_cuda_templateIiEESt5tupleIJNSF_6TensorESK_SK_EERKSK_lbbbEUlllE0_EEPmJS9_EEE10hipError_tPvRmT3_T4_T5_T6_T7_T9_mT8_P12ihipStream_tbDpT10_ENKUlT_T0_E_clISt17integral_constantIbLb1EES19_IbLb0EEEEDaS15_S16_EUlS15_E_NS1_11comp_targetILNS1_3genE0ELNS1_11target_archE4294967295ELNS1_3gpuE0ELNS1_3repE0EEENS1_30default_config_static_selectorELNS0_4arch9wavefront6targetE0EEEvT1_
		.amdhsa_group_segment_fixed_size 0
		.amdhsa_private_segment_fixed_size 0
		.amdhsa_kernarg_size 120
		.amdhsa_user_sgpr_count 2
		.amdhsa_user_sgpr_dispatch_ptr 0
		.amdhsa_user_sgpr_queue_ptr 0
		.amdhsa_user_sgpr_kernarg_segment_ptr 1
		.amdhsa_user_sgpr_dispatch_id 0
		.amdhsa_user_sgpr_kernarg_preload_length 0
		.amdhsa_user_sgpr_kernarg_preload_offset 0
		.amdhsa_user_sgpr_private_segment_size 0
		.amdhsa_wavefront_size32 1
		.amdhsa_uses_dynamic_stack 0
		.amdhsa_enable_private_segment 0
		.amdhsa_system_sgpr_workgroup_id_x 1
		.amdhsa_system_sgpr_workgroup_id_y 0
		.amdhsa_system_sgpr_workgroup_id_z 0
		.amdhsa_system_sgpr_workgroup_info 0
		.amdhsa_system_vgpr_workitem_id 0
		.amdhsa_next_free_vgpr 1
		.amdhsa_next_free_sgpr 1
		.amdhsa_named_barrier_count 0
		.amdhsa_reserve_vcc 0
		.amdhsa_float_round_mode_32 0
		.amdhsa_float_round_mode_16_64 0
		.amdhsa_float_denorm_mode_32 3
		.amdhsa_float_denorm_mode_16_64 3
		.amdhsa_fp16_overflow 0
		.amdhsa_memory_ordered 1
		.amdhsa_forward_progress 1
		.amdhsa_inst_pref_size 1
		.amdhsa_round_robin_scheduling 0
		.amdhsa_exception_fp_ieee_invalid_op 0
		.amdhsa_exception_fp_denorm_src 0
		.amdhsa_exception_fp_ieee_div_zero 0
		.amdhsa_exception_fp_ieee_overflow 0
		.amdhsa_exception_fp_ieee_underflow 0
		.amdhsa_exception_fp_ieee_inexact 0
		.amdhsa_exception_int_div_zero 0
	.end_amdhsa_kernel
	.section	.text._ZN7rocprim17ROCPRIM_400000_NS6detail17trampoline_kernelINS0_14default_configENS1_25partition_config_selectorILNS1_17partition_subalgoE9EllbEEZZNS1_14partition_implILS5_9ELb0ES3_jPlS8_PNS0_10empty_typeENS0_5tupleIJS8_S9_EEENSB_IJS8_SA_EEENS0_18inequality_wrapperIZN2at6native12_GLOBAL__N_124unique_dim_cuda_templateIiEESt5tupleIJNSF_6TensorESK_SK_EERKSK_lbbbEUlllE0_EEPmJS9_EEE10hipError_tPvRmT3_T4_T5_T6_T7_T9_mT8_P12ihipStream_tbDpT10_ENKUlT_T0_E_clISt17integral_constantIbLb1EES19_IbLb0EEEEDaS15_S16_EUlS15_E_NS1_11comp_targetILNS1_3genE0ELNS1_11target_archE4294967295ELNS1_3gpuE0ELNS1_3repE0EEENS1_30default_config_static_selectorELNS0_4arch9wavefront6targetE0EEEvT1_,"axG",@progbits,_ZN7rocprim17ROCPRIM_400000_NS6detail17trampoline_kernelINS0_14default_configENS1_25partition_config_selectorILNS1_17partition_subalgoE9EllbEEZZNS1_14partition_implILS5_9ELb0ES3_jPlS8_PNS0_10empty_typeENS0_5tupleIJS8_S9_EEENSB_IJS8_SA_EEENS0_18inequality_wrapperIZN2at6native12_GLOBAL__N_124unique_dim_cuda_templateIiEESt5tupleIJNSF_6TensorESK_SK_EERKSK_lbbbEUlllE0_EEPmJS9_EEE10hipError_tPvRmT3_T4_T5_T6_T7_T9_mT8_P12ihipStream_tbDpT10_ENKUlT_T0_E_clISt17integral_constantIbLb1EES19_IbLb0EEEEDaS15_S16_EUlS15_E_NS1_11comp_targetILNS1_3genE0ELNS1_11target_archE4294967295ELNS1_3gpuE0ELNS1_3repE0EEENS1_30default_config_static_selectorELNS0_4arch9wavefront6targetE0EEEvT1_,comdat
.Lfunc_end489:
	.size	_ZN7rocprim17ROCPRIM_400000_NS6detail17trampoline_kernelINS0_14default_configENS1_25partition_config_selectorILNS1_17partition_subalgoE9EllbEEZZNS1_14partition_implILS5_9ELb0ES3_jPlS8_PNS0_10empty_typeENS0_5tupleIJS8_S9_EEENSB_IJS8_SA_EEENS0_18inequality_wrapperIZN2at6native12_GLOBAL__N_124unique_dim_cuda_templateIiEESt5tupleIJNSF_6TensorESK_SK_EERKSK_lbbbEUlllE0_EEPmJS9_EEE10hipError_tPvRmT3_T4_T5_T6_T7_T9_mT8_P12ihipStream_tbDpT10_ENKUlT_T0_E_clISt17integral_constantIbLb1EES19_IbLb0EEEEDaS15_S16_EUlS15_E_NS1_11comp_targetILNS1_3genE0ELNS1_11target_archE4294967295ELNS1_3gpuE0ELNS1_3repE0EEENS1_30default_config_static_selectorELNS0_4arch9wavefront6targetE0EEEvT1_, .Lfunc_end489-_ZN7rocprim17ROCPRIM_400000_NS6detail17trampoline_kernelINS0_14default_configENS1_25partition_config_selectorILNS1_17partition_subalgoE9EllbEEZZNS1_14partition_implILS5_9ELb0ES3_jPlS8_PNS0_10empty_typeENS0_5tupleIJS8_S9_EEENSB_IJS8_SA_EEENS0_18inequality_wrapperIZN2at6native12_GLOBAL__N_124unique_dim_cuda_templateIiEESt5tupleIJNSF_6TensorESK_SK_EERKSK_lbbbEUlllE0_EEPmJS9_EEE10hipError_tPvRmT3_T4_T5_T6_T7_T9_mT8_P12ihipStream_tbDpT10_ENKUlT_T0_E_clISt17integral_constantIbLb1EES19_IbLb0EEEEDaS15_S16_EUlS15_E_NS1_11comp_targetILNS1_3genE0ELNS1_11target_archE4294967295ELNS1_3gpuE0ELNS1_3repE0EEENS1_30default_config_static_selectorELNS0_4arch9wavefront6targetE0EEEvT1_
                                        ; -- End function
	.set _ZN7rocprim17ROCPRIM_400000_NS6detail17trampoline_kernelINS0_14default_configENS1_25partition_config_selectorILNS1_17partition_subalgoE9EllbEEZZNS1_14partition_implILS5_9ELb0ES3_jPlS8_PNS0_10empty_typeENS0_5tupleIJS8_S9_EEENSB_IJS8_SA_EEENS0_18inequality_wrapperIZN2at6native12_GLOBAL__N_124unique_dim_cuda_templateIiEESt5tupleIJNSF_6TensorESK_SK_EERKSK_lbbbEUlllE0_EEPmJS9_EEE10hipError_tPvRmT3_T4_T5_T6_T7_T9_mT8_P12ihipStream_tbDpT10_ENKUlT_T0_E_clISt17integral_constantIbLb1EES19_IbLb0EEEEDaS15_S16_EUlS15_E_NS1_11comp_targetILNS1_3genE0ELNS1_11target_archE4294967295ELNS1_3gpuE0ELNS1_3repE0EEENS1_30default_config_static_selectorELNS0_4arch9wavefront6targetE0EEEvT1_.num_vgpr, 0
	.set _ZN7rocprim17ROCPRIM_400000_NS6detail17trampoline_kernelINS0_14default_configENS1_25partition_config_selectorILNS1_17partition_subalgoE9EllbEEZZNS1_14partition_implILS5_9ELb0ES3_jPlS8_PNS0_10empty_typeENS0_5tupleIJS8_S9_EEENSB_IJS8_SA_EEENS0_18inequality_wrapperIZN2at6native12_GLOBAL__N_124unique_dim_cuda_templateIiEESt5tupleIJNSF_6TensorESK_SK_EERKSK_lbbbEUlllE0_EEPmJS9_EEE10hipError_tPvRmT3_T4_T5_T6_T7_T9_mT8_P12ihipStream_tbDpT10_ENKUlT_T0_E_clISt17integral_constantIbLb1EES19_IbLb0EEEEDaS15_S16_EUlS15_E_NS1_11comp_targetILNS1_3genE0ELNS1_11target_archE4294967295ELNS1_3gpuE0ELNS1_3repE0EEENS1_30default_config_static_selectorELNS0_4arch9wavefront6targetE0EEEvT1_.num_agpr, 0
	.set _ZN7rocprim17ROCPRIM_400000_NS6detail17trampoline_kernelINS0_14default_configENS1_25partition_config_selectorILNS1_17partition_subalgoE9EllbEEZZNS1_14partition_implILS5_9ELb0ES3_jPlS8_PNS0_10empty_typeENS0_5tupleIJS8_S9_EEENSB_IJS8_SA_EEENS0_18inequality_wrapperIZN2at6native12_GLOBAL__N_124unique_dim_cuda_templateIiEESt5tupleIJNSF_6TensorESK_SK_EERKSK_lbbbEUlllE0_EEPmJS9_EEE10hipError_tPvRmT3_T4_T5_T6_T7_T9_mT8_P12ihipStream_tbDpT10_ENKUlT_T0_E_clISt17integral_constantIbLb1EES19_IbLb0EEEEDaS15_S16_EUlS15_E_NS1_11comp_targetILNS1_3genE0ELNS1_11target_archE4294967295ELNS1_3gpuE0ELNS1_3repE0EEENS1_30default_config_static_selectorELNS0_4arch9wavefront6targetE0EEEvT1_.numbered_sgpr, 0
	.set _ZN7rocprim17ROCPRIM_400000_NS6detail17trampoline_kernelINS0_14default_configENS1_25partition_config_selectorILNS1_17partition_subalgoE9EllbEEZZNS1_14partition_implILS5_9ELb0ES3_jPlS8_PNS0_10empty_typeENS0_5tupleIJS8_S9_EEENSB_IJS8_SA_EEENS0_18inequality_wrapperIZN2at6native12_GLOBAL__N_124unique_dim_cuda_templateIiEESt5tupleIJNSF_6TensorESK_SK_EERKSK_lbbbEUlllE0_EEPmJS9_EEE10hipError_tPvRmT3_T4_T5_T6_T7_T9_mT8_P12ihipStream_tbDpT10_ENKUlT_T0_E_clISt17integral_constantIbLb1EES19_IbLb0EEEEDaS15_S16_EUlS15_E_NS1_11comp_targetILNS1_3genE0ELNS1_11target_archE4294967295ELNS1_3gpuE0ELNS1_3repE0EEENS1_30default_config_static_selectorELNS0_4arch9wavefront6targetE0EEEvT1_.num_named_barrier, 0
	.set _ZN7rocprim17ROCPRIM_400000_NS6detail17trampoline_kernelINS0_14default_configENS1_25partition_config_selectorILNS1_17partition_subalgoE9EllbEEZZNS1_14partition_implILS5_9ELb0ES3_jPlS8_PNS0_10empty_typeENS0_5tupleIJS8_S9_EEENSB_IJS8_SA_EEENS0_18inequality_wrapperIZN2at6native12_GLOBAL__N_124unique_dim_cuda_templateIiEESt5tupleIJNSF_6TensorESK_SK_EERKSK_lbbbEUlllE0_EEPmJS9_EEE10hipError_tPvRmT3_T4_T5_T6_T7_T9_mT8_P12ihipStream_tbDpT10_ENKUlT_T0_E_clISt17integral_constantIbLb1EES19_IbLb0EEEEDaS15_S16_EUlS15_E_NS1_11comp_targetILNS1_3genE0ELNS1_11target_archE4294967295ELNS1_3gpuE0ELNS1_3repE0EEENS1_30default_config_static_selectorELNS0_4arch9wavefront6targetE0EEEvT1_.private_seg_size, 0
	.set _ZN7rocprim17ROCPRIM_400000_NS6detail17trampoline_kernelINS0_14default_configENS1_25partition_config_selectorILNS1_17partition_subalgoE9EllbEEZZNS1_14partition_implILS5_9ELb0ES3_jPlS8_PNS0_10empty_typeENS0_5tupleIJS8_S9_EEENSB_IJS8_SA_EEENS0_18inequality_wrapperIZN2at6native12_GLOBAL__N_124unique_dim_cuda_templateIiEESt5tupleIJNSF_6TensorESK_SK_EERKSK_lbbbEUlllE0_EEPmJS9_EEE10hipError_tPvRmT3_T4_T5_T6_T7_T9_mT8_P12ihipStream_tbDpT10_ENKUlT_T0_E_clISt17integral_constantIbLb1EES19_IbLb0EEEEDaS15_S16_EUlS15_E_NS1_11comp_targetILNS1_3genE0ELNS1_11target_archE4294967295ELNS1_3gpuE0ELNS1_3repE0EEENS1_30default_config_static_selectorELNS0_4arch9wavefront6targetE0EEEvT1_.uses_vcc, 0
	.set _ZN7rocprim17ROCPRIM_400000_NS6detail17trampoline_kernelINS0_14default_configENS1_25partition_config_selectorILNS1_17partition_subalgoE9EllbEEZZNS1_14partition_implILS5_9ELb0ES3_jPlS8_PNS0_10empty_typeENS0_5tupleIJS8_S9_EEENSB_IJS8_SA_EEENS0_18inequality_wrapperIZN2at6native12_GLOBAL__N_124unique_dim_cuda_templateIiEESt5tupleIJNSF_6TensorESK_SK_EERKSK_lbbbEUlllE0_EEPmJS9_EEE10hipError_tPvRmT3_T4_T5_T6_T7_T9_mT8_P12ihipStream_tbDpT10_ENKUlT_T0_E_clISt17integral_constantIbLb1EES19_IbLb0EEEEDaS15_S16_EUlS15_E_NS1_11comp_targetILNS1_3genE0ELNS1_11target_archE4294967295ELNS1_3gpuE0ELNS1_3repE0EEENS1_30default_config_static_selectorELNS0_4arch9wavefront6targetE0EEEvT1_.uses_flat_scratch, 0
	.set _ZN7rocprim17ROCPRIM_400000_NS6detail17trampoline_kernelINS0_14default_configENS1_25partition_config_selectorILNS1_17partition_subalgoE9EllbEEZZNS1_14partition_implILS5_9ELb0ES3_jPlS8_PNS0_10empty_typeENS0_5tupleIJS8_S9_EEENSB_IJS8_SA_EEENS0_18inequality_wrapperIZN2at6native12_GLOBAL__N_124unique_dim_cuda_templateIiEESt5tupleIJNSF_6TensorESK_SK_EERKSK_lbbbEUlllE0_EEPmJS9_EEE10hipError_tPvRmT3_T4_T5_T6_T7_T9_mT8_P12ihipStream_tbDpT10_ENKUlT_T0_E_clISt17integral_constantIbLb1EES19_IbLb0EEEEDaS15_S16_EUlS15_E_NS1_11comp_targetILNS1_3genE0ELNS1_11target_archE4294967295ELNS1_3gpuE0ELNS1_3repE0EEENS1_30default_config_static_selectorELNS0_4arch9wavefront6targetE0EEEvT1_.has_dyn_sized_stack, 0
	.set _ZN7rocprim17ROCPRIM_400000_NS6detail17trampoline_kernelINS0_14default_configENS1_25partition_config_selectorILNS1_17partition_subalgoE9EllbEEZZNS1_14partition_implILS5_9ELb0ES3_jPlS8_PNS0_10empty_typeENS0_5tupleIJS8_S9_EEENSB_IJS8_SA_EEENS0_18inequality_wrapperIZN2at6native12_GLOBAL__N_124unique_dim_cuda_templateIiEESt5tupleIJNSF_6TensorESK_SK_EERKSK_lbbbEUlllE0_EEPmJS9_EEE10hipError_tPvRmT3_T4_T5_T6_T7_T9_mT8_P12ihipStream_tbDpT10_ENKUlT_T0_E_clISt17integral_constantIbLb1EES19_IbLb0EEEEDaS15_S16_EUlS15_E_NS1_11comp_targetILNS1_3genE0ELNS1_11target_archE4294967295ELNS1_3gpuE0ELNS1_3repE0EEENS1_30default_config_static_selectorELNS0_4arch9wavefront6targetE0EEEvT1_.has_recursion, 0
	.set _ZN7rocprim17ROCPRIM_400000_NS6detail17trampoline_kernelINS0_14default_configENS1_25partition_config_selectorILNS1_17partition_subalgoE9EllbEEZZNS1_14partition_implILS5_9ELb0ES3_jPlS8_PNS0_10empty_typeENS0_5tupleIJS8_S9_EEENSB_IJS8_SA_EEENS0_18inequality_wrapperIZN2at6native12_GLOBAL__N_124unique_dim_cuda_templateIiEESt5tupleIJNSF_6TensorESK_SK_EERKSK_lbbbEUlllE0_EEPmJS9_EEE10hipError_tPvRmT3_T4_T5_T6_T7_T9_mT8_P12ihipStream_tbDpT10_ENKUlT_T0_E_clISt17integral_constantIbLb1EES19_IbLb0EEEEDaS15_S16_EUlS15_E_NS1_11comp_targetILNS1_3genE0ELNS1_11target_archE4294967295ELNS1_3gpuE0ELNS1_3repE0EEENS1_30default_config_static_selectorELNS0_4arch9wavefront6targetE0EEEvT1_.has_indirect_call, 0
	.section	.AMDGPU.csdata,"",@progbits
; Kernel info:
; codeLenInByte = 4
; TotalNumSgprs: 0
; NumVgprs: 0
; ScratchSize: 0
; MemoryBound: 0
; FloatMode: 240
; IeeeMode: 1
; LDSByteSize: 0 bytes/workgroup (compile time only)
; SGPRBlocks: 0
; VGPRBlocks: 0
; NumSGPRsForWavesPerEU: 1
; NumVGPRsForWavesPerEU: 1
; NamedBarCnt: 0
; Occupancy: 16
; WaveLimiterHint : 0
; COMPUTE_PGM_RSRC2:SCRATCH_EN: 0
; COMPUTE_PGM_RSRC2:USER_SGPR: 2
; COMPUTE_PGM_RSRC2:TRAP_HANDLER: 0
; COMPUTE_PGM_RSRC2:TGID_X_EN: 1
; COMPUTE_PGM_RSRC2:TGID_Y_EN: 0
; COMPUTE_PGM_RSRC2:TGID_Z_EN: 0
; COMPUTE_PGM_RSRC2:TIDIG_COMP_CNT: 0
	.section	.text._ZN7rocprim17ROCPRIM_400000_NS6detail17trampoline_kernelINS0_14default_configENS1_25partition_config_selectorILNS1_17partition_subalgoE9EllbEEZZNS1_14partition_implILS5_9ELb0ES3_jPlS8_PNS0_10empty_typeENS0_5tupleIJS8_S9_EEENSB_IJS8_SA_EEENS0_18inequality_wrapperIZN2at6native12_GLOBAL__N_124unique_dim_cuda_templateIiEESt5tupleIJNSF_6TensorESK_SK_EERKSK_lbbbEUlllE0_EEPmJS9_EEE10hipError_tPvRmT3_T4_T5_T6_T7_T9_mT8_P12ihipStream_tbDpT10_ENKUlT_T0_E_clISt17integral_constantIbLb1EES19_IbLb0EEEEDaS15_S16_EUlS15_E_NS1_11comp_targetILNS1_3genE5ELNS1_11target_archE942ELNS1_3gpuE9ELNS1_3repE0EEENS1_30default_config_static_selectorELNS0_4arch9wavefront6targetE0EEEvT1_,"axG",@progbits,_ZN7rocprim17ROCPRIM_400000_NS6detail17trampoline_kernelINS0_14default_configENS1_25partition_config_selectorILNS1_17partition_subalgoE9EllbEEZZNS1_14partition_implILS5_9ELb0ES3_jPlS8_PNS0_10empty_typeENS0_5tupleIJS8_S9_EEENSB_IJS8_SA_EEENS0_18inequality_wrapperIZN2at6native12_GLOBAL__N_124unique_dim_cuda_templateIiEESt5tupleIJNSF_6TensorESK_SK_EERKSK_lbbbEUlllE0_EEPmJS9_EEE10hipError_tPvRmT3_T4_T5_T6_T7_T9_mT8_P12ihipStream_tbDpT10_ENKUlT_T0_E_clISt17integral_constantIbLb1EES19_IbLb0EEEEDaS15_S16_EUlS15_E_NS1_11comp_targetILNS1_3genE5ELNS1_11target_archE942ELNS1_3gpuE9ELNS1_3repE0EEENS1_30default_config_static_selectorELNS0_4arch9wavefront6targetE0EEEvT1_,comdat
	.globl	_ZN7rocprim17ROCPRIM_400000_NS6detail17trampoline_kernelINS0_14default_configENS1_25partition_config_selectorILNS1_17partition_subalgoE9EllbEEZZNS1_14partition_implILS5_9ELb0ES3_jPlS8_PNS0_10empty_typeENS0_5tupleIJS8_S9_EEENSB_IJS8_SA_EEENS0_18inequality_wrapperIZN2at6native12_GLOBAL__N_124unique_dim_cuda_templateIiEESt5tupleIJNSF_6TensorESK_SK_EERKSK_lbbbEUlllE0_EEPmJS9_EEE10hipError_tPvRmT3_T4_T5_T6_T7_T9_mT8_P12ihipStream_tbDpT10_ENKUlT_T0_E_clISt17integral_constantIbLb1EES19_IbLb0EEEEDaS15_S16_EUlS15_E_NS1_11comp_targetILNS1_3genE5ELNS1_11target_archE942ELNS1_3gpuE9ELNS1_3repE0EEENS1_30default_config_static_selectorELNS0_4arch9wavefront6targetE0EEEvT1_ ; -- Begin function _ZN7rocprim17ROCPRIM_400000_NS6detail17trampoline_kernelINS0_14default_configENS1_25partition_config_selectorILNS1_17partition_subalgoE9EllbEEZZNS1_14partition_implILS5_9ELb0ES3_jPlS8_PNS0_10empty_typeENS0_5tupleIJS8_S9_EEENSB_IJS8_SA_EEENS0_18inequality_wrapperIZN2at6native12_GLOBAL__N_124unique_dim_cuda_templateIiEESt5tupleIJNSF_6TensorESK_SK_EERKSK_lbbbEUlllE0_EEPmJS9_EEE10hipError_tPvRmT3_T4_T5_T6_T7_T9_mT8_P12ihipStream_tbDpT10_ENKUlT_T0_E_clISt17integral_constantIbLb1EES19_IbLb0EEEEDaS15_S16_EUlS15_E_NS1_11comp_targetILNS1_3genE5ELNS1_11target_archE942ELNS1_3gpuE9ELNS1_3repE0EEENS1_30default_config_static_selectorELNS0_4arch9wavefront6targetE0EEEvT1_
	.p2align	8
	.type	_ZN7rocprim17ROCPRIM_400000_NS6detail17trampoline_kernelINS0_14default_configENS1_25partition_config_selectorILNS1_17partition_subalgoE9EllbEEZZNS1_14partition_implILS5_9ELb0ES3_jPlS8_PNS0_10empty_typeENS0_5tupleIJS8_S9_EEENSB_IJS8_SA_EEENS0_18inequality_wrapperIZN2at6native12_GLOBAL__N_124unique_dim_cuda_templateIiEESt5tupleIJNSF_6TensorESK_SK_EERKSK_lbbbEUlllE0_EEPmJS9_EEE10hipError_tPvRmT3_T4_T5_T6_T7_T9_mT8_P12ihipStream_tbDpT10_ENKUlT_T0_E_clISt17integral_constantIbLb1EES19_IbLb0EEEEDaS15_S16_EUlS15_E_NS1_11comp_targetILNS1_3genE5ELNS1_11target_archE942ELNS1_3gpuE9ELNS1_3repE0EEENS1_30default_config_static_selectorELNS0_4arch9wavefront6targetE0EEEvT1_,@function
_ZN7rocprim17ROCPRIM_400000_NS6detail17trampoline_kernelINS0_14default_configENS1_25partition_config_selectorILNS1_17partition_subalgoE9EllbEEZZNS1_14partition_implILS5_9ELb0ES3_jPlS8_PNS0_10empty_typeENS0_5tupleIJS8_S9_EEENSB_IJS8_SA_EEENS0_18inequality_wrapperIZN2at6native12_GLOBAL__N_124unique_dim_cuda_templateIiEESt5tupleIJNSF_6TensorESK_SK_EERKSK_lbbbEUlllE0_EEPmJS9_EEE10hipError_tPvRmT3_T4_T5_T6_T7_T9_mT8_P12ihipStream_tbDpT10_ENKUlT_T0_E_clISt17integral_constantIbLb1EES19_IbLb0EEEEDaS15_S16_EUlS15_E_NS1_11comp_targetILNS1_3genE5ELNS1_11target_archE942ELNS1_3gpuE9ELNS1_3repE0EEENS1_30default_config_static_selectorELNS0_4arch9wavefront6targetE0EEEvT1_: ; @_ZN7rocprim17ROCPRIM_400000_NS6detail17trampoline_kernelINS0_14default_configENS1_25partition_config_selectorILNS1_17partition_subalgoE9EllbEEZZNS1_14partition_implILS5_9ELb0ES3_jPlS8_PNS0_10empty_typeENS0_5tupleIJS8_S9_EEENSB_IJS8_SA_EEENS0_18inequality_wrapperIZN2at6native12_GLOBAL__N_124unique_dim_cuda_templateIiEESt5tupleIJNSF_6TensorESK_SK_EERKSK_lbbbEUlllE0_EEPmJS9_EEE10hipError_tPvRmT3_T4_T5_T6_T7_T9_mT8_P12ihipStream_tbDpT10_ENKUlT_T0_E_clISt17integral_constantIbLb1EES19_IbLb0EEEEDaS15_S16_EUlS15_E_NS1_11comp_targetILNS1_3genE5ELNS1_11target_archE942ELNS1_3gpuE9ELNS1_3repE0EEENS1_30default_config_static_selectorELNS0_4arch9wavefront6targetE0EEEvT1_
; %bb.0:
	.section	.rodata,"a",@progbits
	.p2align	6, 0x0
	.amdhsa_kernel _ZN7rocprim17ROCPRIM_400000_NS6detail17trampoline_kernelINS0_14default_configENS1_25partition_config_selectorILNS1_17partition_subalgoE9EllbEEZZNS1_14partition_implILS5_9ELb0ES3_jPlS8_PNS0_10empty_typeENS0_5tupleIJS8_S9_EEENSB_IJS8_SA_EEENS0_18inequality_wrapperIZN2at6native12_GLOBAL__N_124unique_dim_cuda_templateIiEESt5tupleIJNSF_6TensorESK_SK_EERKSK_lbbbEUlllE0_EEPmJS9_EEE10hipError_tPvRmT3_T4_T5_T6_T7_T9_mT8_P12ihipStream_tbDpT10_ENKUlT_T0_E_clISt17integral_constantIbLb1EES19_IbLb0EEEEDaS15_S16_EUlS15_E_NS1_11comp_targetILNS1_3genE5ELNS1_11target_archE942ELNS1_3gpuE9ELNS1_3repE0EEENS1_30default_config_static_selectorELNS0_4arch9wavefront6targetE0EEEvT1_
		.amdhsa_group_segment_fixed_size 0
		.amdhsa_private_segment_fixed_size 0
		.amdhsa_kernarg_size 120
		.amdhsa_user_sgpr_count 2
		.amdhsa_user_sgpr_dispatch_ptr 0
		.amdhsa_user_sgpr_queue_ptr 0
		.amdhsa_user_sgpr_kernarg_segment_ptr 1
		.amdhsa_user_sgpr_dispatch_id 0
		.amdhsa_user_sgpr_kernarg_preload_length 0
		.amdhsa_user_sgpr_kernarg_preload_offset 0
		.amdhsa_user_sgpr_private_segment_size 0
		.amdhsa_wavefront_size32 1
		.amdhsa_uses_dynamic_stack 0
		.amdhsa_enable_private_segment 0
		.amdhsa_system_sgpr_workgroup_id_x 1
		.amdhsa_system_sgpr_workgroup_id_y 0
		.amdhsa_system_sgpr_workgroup_id_z 0
		.amdhsa_system_sgpr_workgroup_info 0
		.amdhsa_system_vgpr_workitem_id 0
		.amdhsa_next_free_vgpr 1
		.amdhsa_next_free_sgpr 1
		.amdhsa_named_barrier_count 0
		.amdhsa_reserve_vcc 0
		.amdhsa_float_round_mode_32 0
		.amdhsa_float_round_mode_16_64 0
		.amdhsa_float_denorm_mode_32 3
		.amdhsa_float_denorm_mode_16_64 3
		.amdhsa_fp16_overflow 0
		.amdhsa_memory_ordered 1
		.amdhsa_forward_progress 1
		.amdhsa_inst_pref_size 0
		.amdhsa_round_robin_scheduling 0
		.amdhsa_exception_fp_ieee_invalid_op 0
		.amdhsa_exception_fp_denorm_src 0
		.amdhsa_exception_fp_ieee_div_zero 0
		.amdhsa_exception_fp_ieee_overflow 0
		.amdhsa_exception_fp_ieee_underflow 0
		.amdhsa_exception_fp_ieee_inexact 0
		.amdhsa_exception_int_div_zero 0
	.end_amdhsa_kernel
	.section	.text._ZN7rocprim17ROCPRIM_400000_NS6detail17trampoline_kernelINS0_14default_configENS1_25partition_config_selectorILNS1_17partition_subalgoE9EllbEEZZNS1_14partition_implILS5_9ELb0ES3_jPlS8_PNS0_10empty_typeENS0_5tupleIJS8_S9_EEENSB_IJS8_SA_EEENS0_18inequality_wrapperIZN2at6native12_GLOBAL__N_124unique_dim_cuda_templateIiEESt5tupleIJNSF_6TensorESK_SK_EERKSK_lbbbEUlllE0_EEPmJS9_EEE10hipError_tPvRmT3_T4_T5_T6_T7_T9_mT8_P12ihipStream_tbDpT10_ENKUlT_T0_E_clISt17integral_constantIbLb1EES19_IbLb0EEEEDaS15_S16_EUlS15_E_NS1_11comp_targetILNS1_3genE5ELNS1_11target_archE942ELNS1_3gpuE9ELNS1_3repE0EEENS1_30default_config_static_selectorELNS0_4arch9wavefront6targetE0EEEvT1_,"axG",@progbits,_ZN7rocprim17ROCPRIM_400000_NS6detail17trampoline_kernelINS0_14default_configENS1_25partition_config_selectorILNS1_17partition_subalgoE9EllbEEZZNS1_14partition_implILS5_9ELb0ES3_jPlS8_PNS0_10empty_typeENS0_5tupleIJS8_S9_EEENSB_IJS8_SA_EEENS0_18inequality_wrapperIZN2at6native12_GLOBAL__N_124unique_dim_cuda_templateIiEESt5tupleIJNSF_6TensorESK_SK_EERKSK_lbbbEUlllE0_EEPmJS9_EEE10hipError_tPvRmT3_T4_T5_T6_T7_T9_mT8_P12ihipStream_tbDpT10_ENKUlT_T0_E_clISt17integral_constantIbLb1EES19_IbLb0EEEEDaS15_S16_EUlS15_E_NS1_11comp_targetILNS1_3genE5ELNS1_11target_archE942ELNS1_3gpuE9ELNS1_3repE0EEENS1_30default_config_static_selectorELNS0_4arch9wavefront6targetE0EEEvT1_,comdat
.Lfunc_end490:
	.size	_ZN7rocprim17ROCPRIM_400000_NS6detail17trampoline_kernelINS0_14default_configENS1_25partition_config_selectorILNS1_17partition_subalgoE9EllbEEZZNS1_14partition_implILS5_9ELb0ES3_jPlS8_PNS0_10empty_typeENS0_5tupleIJS8_S9_EEENSB_IJS8_SA_EEENS0_18inequality_wrapperIZN2at6native12_GLOBAL__N_124unique_dim_cuda_templateIiEESt5tupleIJNSF_6TensorESK_SK_EERKSK_lbbbEUlllE0_EEPmJS9_EEE10hipError_tPvRmT3_T4_T5_T6_T7_T9_mT8_P12ihipStream_tbDpT10_ENKUlT_T0_E_clISt17integral_constantIbLb1EES19_IbLb0EEEEDaS15_S16_EUlS15_E_NS1_11comp_targetILNS1_3genE5ELNS1_11target_archE942ELNS1_3gpuE9ELNS1_3repE0EEENS1_30default_config_static_selectorELNS0_4arch9wavefront6targetE0EEEvT1_, .Lfunc_end490-_ZN7rocprim17ROCPRIM_400000_NS6detail17trampoline_kernelINS0_14default_configENS1_25partition_config_selectorILNS1_17partition_subalgoE9EllbEEZZNS1_14partition_implILS5_9ELb0ES3_jPlS8_PNS0_10empty_typeENS0_5tupleIJS8_S9_EEENSB_IJS8_SA_EEENS0_18inequality_wrapperIZN2at6native12_GLOBAL__N_124unique_dim_cuda_templateIiEESt5tupleIJNSF_6TensorESK_SK_EERKSK_lbbbEUlllE0_EEPmJS9_EEE10hipError_tPvRmT3_T4_T5_T6_T7_T9_mT8_P12ihipStream_tbDpT10_ENKUlT_T0_E_clISt17integral_constantIbLb1EES19_IbLb0EEEEDaS15_S16_EUlS15_E_NS1_11comp_targetILNS1_3genE5ELNS1_11target_archE942ELNS1_3gpuE9ELNS1_3repE0EEENS1_30default_config_static_selectorELNS0_4arch9wavefront6targetE0EEEvT1_
                                        ; -- End function
	.set _ZN7rocprim17ROCPRIM_400000_NS6detail17trampoline_kernelINS0_14default_configENS1_25partition_config_selectorILNS1_17partition_subalgoE9EllbEEZZNS1_14partition_implILS5_9ELb0ES3_jPlS8_PNS0_10empty_typeENS0_5tupleIJS8_S9_EEENSB_IJS8_SA_EEENS0_18inequality_wrapperIZN2at6native12_GLOBAL__N_124unique_dim_cuda_templateIiEESt5tupleIJNSF_6TensorESK_SK_EERKSK_lbbbEUlllE0_EEPmJS9_EEE10hipError_tPvRmT3_T4_T5_T6_T7_T9_mT8_P12ihipStream_tbDpT10_ENKUlT_T0_E_clISt17integral_constantIbLb1EES19_IbLb0EEEEDaS15_S16_EUlS15_E_NS1_11comp_targetILNS1_3genE5ELNS1_11target_archE942ELNS1_3gpuE9ELNS1_3repE0EEENS1_30default_config_static_selectorELNS0_4arch9wavefront6targetE0EEEvT1_.num_vgpr, 0
	.set _ZN7rocprim17ROCPRIM_400000_NS6detail17trampoline_kernelINS0_14default_configENS1_25partition_config_selectorILNS1_17partition_subalgoE9EllbEEZZNS1_14partition_implILS5_9ELb0ES3_jPlS8_PNS0_10empty_typeENS0_5tupleIJS8_S9_EEENSB_IJS8_SA_EEENS0_18inequality_wrapperIZN2at6native12_GLOBAL__N_124unique_dim_cuda_templateIiEESt5tupleIJNSF_6TensorESK_SK_EERKSK_lbbbEUlllE0_EEPmJS9_EEE10hipError_tPvRmT3_T4_T5_T6_T7_T9_mT8_P12ihipStream_tbDpT10_ENKUlT_T0_E_clISt17integral_constantIbLb1EES19_IbLb0EEEEDaS15_S16_EUlS15_E_NS1_11comp_targetILNS1_3genE5ELNS1_11target_archE942ELNS1_3gpuE9ELNS1_3repE0EEENS1_30default_config_static_selectorELNS0_4arch9wavefront6targetE0EEEvT1_.num_agpr, 0
	.set _ZN7rocprim17ROCPRIM_400000_NS6detail17trampoline_kernelINS0_14default_configENS1_25partition_config_selectorILNS1_17partition_subalgoE9EllbEEZZNS1_14partition_implILS5_9ELb0ES3_jPlS8_PNS0_10empty_typeENS0_5tupleIJS8_S9_EEENSB_IJS8_SA_EEENS0_18inequality_wrapperIZN2at6native12_GLOBAL__N_124unique_dim_cuda_templateIiEESt5tupleIJNSF_6TensorESK_SK_EERKSK_lbbbEUlllE0_EEPmJS9_EEE10hipError_tPvRmT3_T4_T5_T6_T7_T9_mT8_P12ihipStream_tbDpT10_ENKUlT_T0_E_clISt17integral_constantIbLb1EES19_IbLb0EEEEDaS15_S16_EUlS15_E_NS1_11comp_targetILNS1_3genE5ELNS1_11target_archE942ELNS1_3gpuE9ELNS1_3repE0EEENS1_30default_config_static_selectorELNS0_4arch9wavefront6targetE0EEEvT1_.numbered_sgpr, 0
	.set _ZN7rocprim17ROCPRIM_400000_NS6detail17trampoline_kernelINS0_14default_configENS1_25partition_config_selectorILNS1_17partition_subalgoE9EllbEEZZNS1_14partition_implILS5_9ELb0ES3_jPlS8_PNS0_10empty_typeENS0_5tupleIJS8_S9_EEENSB_IJS8_SA_EEENS0_18inequality_wrapperIZN2at6native12_GLOBAL__N_124unique_dim_cuda_templateIiEESt5tupleIJNSF_6TensorESK_SK_EERKSK_lbbbEUlllE0_EEPmJS9_EEE10hipError_tPvRmT3_T4_T5_T6_T7_T9_mT8_P12ihipStream_tbDpT10_ENKUlT_T0_E_clISt17integral_constantIbLb1EES19_IbLb0EEEEDaS15_S16_EUlS15_E_NS1_11comp_targetILNS1_3genE5ELNS1_11target_archE942ELNS1_3gpuE9ELNS1_3repE0EEENS1_30default_config_static_selectorELNS0_4arch9wavefront6targetE0EEEvT1_.num_named_barrier, 0
	.set _ZN7rocprim17ROCPRIM_400000_NS6detail17trampoline_kernelINS0_14default_configENS1_25partition_config_selectorILNS1_17partition_subalgoE9EllbEEZZNS1_14partition_implILS5_9ELb0ES3_jPlS8_PNS0_10empty_typeENS0_5tupleIJS8_S9_EEENSB_IJS8_SA_EEENS0_18inequality_wrapperIZN2at6native12_GLOBAL__N_124unique_dim_cuda_templateIiEESt5tupleIJNSF_6TensorESK_SK_EERKSK_lbbbEUlllE0_EEPmJS9_EEE10hipError_tPvRmT3_T4_T5_T6_T7_T9_mT8_P12ihipStream_tbDpT10_ENKUlT_T0_E_clISt17integral_constantIbLb1EES19_IbLb0EEEEDaS15_S16_EUlS15_E_NS1_11comp_targetILNS1_3genE5ELNS1_11target_archE942ELNS1_3gpuE9ELNS1_3repE0EEENS1_30default_config_static_selectorELNS0_4arch9wavefront6targetE0EEEvT1_.private_seg_size, 0
	.set _ZN7rocprim17ROCPRIM_400000_NS6detail17trampoline_kernelINS0_14default_configENS1_25partition_config_selectorILNS1_17partition_subalgoE9EllbEEZZNS1_14partition_implILS5_9ELb0ES3_jPlS8_PNS0_10empty_typeENS0_5tupleIJS8_S9_EEENSB_IJS8_SA_EEENS0_18inequality_wrapperIZN2at6native12_GLOBAL__N_124unique_dim_cuda_templateIiEESt5tupleIJNSF_6TensorESK_SK_EERKSK_lbbbEUlllE0_EEPmJS9_EEE10hipError_tPvRmT3_T4_T5_T6_T7_T9_mT8_P12ihipStream_tbDpT10_ENKUlT_T0_E_clISt17integral_constantIbLb1EES19_IbLb0EEEEDaS15_S16_EUlS15_E_NS1_11comp_targetILNS1_3genE5ELNS1_11target_archE942ELNS1_3gpuE9ELNS1_3repE0EEENS1_30default_config_static_selectorELNS0_4arch9wavefront6targetE0EEEvT1_.uses_vcc, 0
	.set _ZN7rocprim17ROCPRIM_400000_NS6detail17trampoline_kernelINS0_14default_configENS1_25partition_config_selectorILNS1_17partition_subalgoE9EllbEEZZNS1_14partition_implILS5_9ELb0ES3_jPlS8_PNS0_10empty_typeENS0_5tupleIJS8_S9_EEENSB_IJS8_SA_EEENS0_18inequality_wrapperIZN2at6native12_GLOBAL__N_124unique_dim_cuda_templateIiEESt5tupleIJNSF_6TensorESK_SK_EERKSK_lbbbEUlllE0_EEPmJS9_EEE10hipError_tPvRmT3_T4_T5_T6_T7_T9_mT8_P12ihipStream_tbDpT10_ENKUlT_T0_E_clISt17integral_constantIbLb1EES19_IbLb0EEEEDaS15_S16_EUlS15_E_NS1_11comp_targetILNS1_3genE5ELNS1_11target_archE942ELNS1_3gpuE9ELNS1_3repE0EEENS1_30default_config_static_selectorELNS0_4arch9wavefront6targetE0EEEvT1_.uses_flat_scratch, 0
	.set _ZN7rocprim17ROCPRIM_400000_NS6detail17trampoline_kernelINS0_14default_configENS1_25partition_config_selectorILNS1_17partition_subalgoE9EllbEEZZNS1_14partition_implILS5_9ELb0ES3_jPlS8_PNS0_10empty_typeENS0_5tupleIJS8_S9_EEENSB_IJS8_SA_EEENS0_18inequality_wrapperIZN2at6native12_GLOBAL__N_124unique_dim_cuda_templateIiEESt5tupleIJNSF_6TensorESK_SK_EERKSK_lbbbEUlllE0_EEPmJS9_EEE10hipError_tPvRmT3_T4_T5_T6_T7_T9_mT8_P12ihipStream_tbDpT10_ENKUlT_T0_E_clISt17integral_constantIbLb1EES19_IbLb0EEEEDaS15_S16_EUlS15_E_NS1_11comp_targetILNS1_3genE5ELNS1_11target_archE942ELNS1_3gpuE9ELNS1_3repE0EEENS1_30default_config_static_selectorELNS0_4arch9wavefront6targetE0EEEvT1_.has_dyn_sized_stack, 0
	.set _ZN7rocprim17ROCPRIM_400000_NS6detail17trampoline_kernelINS0_14default_configENS1_25partition_config_selectorILNS1_17partition_subalgoE9EllbEEZZNS1_14partition_implILS5_9ELb0ES3_jPlS8_PNS0_10empty_typeENS0_5tupleIJS8_S9_EEENSB_IJS8_SA_EEENS0_18inequality_wrapperIZN2at6native12_GLOBAL__N_124unique_dim_cuda_templateIiEESt5tupleIJNSF_6TensorESK_SK_EERKSK_lbbbEUlllE0_EEPmJS9_EEE10hipError_tPvRmT3_T4_T5_T6_T7_T9_mT8_P12ihipStream_tbDpT10_ENKUlT_T0_E_clISt17integral_constantIbLb1EES19_IbLb0EEEEDaS15_S16_EUlS15_E_NS1_11comp_targetILNS1_3genE5ELNS1_11target_archE942ELNS1_3gpuE9ELNS1_3repE0EEENS1_30default_config_static_selectorELNS0_4arch9wavefront6targetE0EEEvT1_.has_recursion, 0
	.set _ZN7rocprim17ROCPRIM_400000_NS6detail17trampoline_kernelINS0_14default_configENS1_25partition_config_selectorILNS1_17partition_subalgoE9EllbEEZZNS1_14partition_implILS5_9ELb0ES3_jPlS8_PNS0_10empty_typeENS0_5tupleIJS8_S9_EEENSB_IJS8_SA_EEENS0_18inequality_wrapperIZN2at6native12_GLOBAL__N_124unique_dim_cuda_templateIiEESt5tupleIJNSF_6TensorESK_SK_EERKSK_lbbbEUlllE0_EEPmJS9_EEE10hipError_tPvRmT3_T4_T5_T6_T7_T9_mT8_P12ihipStream_tbDpT10_ENKUlT_T0_E_clISt17integral_constantIbLb1EES19_IbLb0EEEEDaS15_S16_EUlS15_E_NS1_11comp_targetILNS1_3genE5ELNS1_11target_archE942ELNS1_3gpuE9ELNS1_3repE0EEENS1_30default_config_static_selectorELNS0_4arch9wavefront6targetE0EEEvT1_.has_indirect_call, 0
	.section	.AMDGPU.csdata,"",@progbits
; Kernel info:
; codeLenInByte = 0
; TotalNumSgprs: 0
; NumVgprs: 0
; ScratchSize: 0
; MemoryBound: 0
; FloatMode: 240
; IeeeMode: 1
; LDSByteSize: 0 bytes/workgroup (compile time only)
; SGPRBlocks: 0
; VGPRBlocks: 0
; NumSGPRsForWavesPerEU: 1
; NumVGPRsForWavesPerEU: 1
; NamedBarCnt: 0
; Occupancy: 16
; WaveLimiterHint : 0
; COMPUTE_PGM_RSRC2:SCRATCH_EN: 0
; COMPUTE_PGM_RSRC2:USER_SGPR: 2
; COMPUTE_PGM_RSRC2:TRAP_HANDLER: 0
; COMPUTE_PGM_RSRC2:TGID_X_EN: 1
; COMPUTE_PGM_RSRC2:TGID_Y_EN: 0
; COMPUTE_PGM_RSRC2:TGID_Z_EN: 0
; COMPUTE_PGM_RSRC2:TIDIG_COMP_CNT: 0
	.section	.text._ZN7rocprim17ROCPRIM_400000_NS6detail17trampoline_kernelINS0_14default_configENS1_25partition_config_selectorILNS1_17partition_subalgoE9EllbEEZZNS1_14partition_implILS5_9ELb0ES3_jPlS8_PNS0_10empty_typeENS0_5tupleIJS8_S9_EEENSB_IJS8_SA_EEENS0_18inequality_wrapperIZN2at6native12_GLOBAL__N_124unique_dim_cuda_templateIiEESt5tupleIJNSF_6TensorESK_SK_EERKSK_lbbbEUlllE0_EEPmJS9_EEE10hipError_tPvRmT3_T4_T5_T6_T7_T9_mT8_P12ihipStream_tbDpT10_ENKUlT_T0_E_clISt17integral_constantIbLb1EES19_IbLb0EEEEDaS15_S16_EUlS15_E_NS1_11comp_targetILNS1_3genE4ELNS1_11target_archE910ELNS1_3gpuE8ELNS1_3repE0EEENS1_30default_config_static_selectorELNS0_4arch9wavefront6targetE0EEEvT1_,"axG",@progbits,_ZN7rocprim17ROCPRIM_400000_NS6detail17trampoline_kernelINS0_14default_configENS1_25partition_config_selectorILNS1_17partition_subalgoE9EllbEEZZNS1_14partition_implILS5_9ELb0ES3_jPlS8_PNS0_10empty_typeENS0_5tupleIJS8_S9_EEENSB_IJS8_SA_EEENS0_18inequality_wrapperIZN2at6native12_GLOBAL__N_124unique_dim_cuda_templateIiEESt5tupleIJNSF_6TensorESK_SK_EERKSK_lbbbEUlllE0_EEPmJS9_EEE10hipError_tPvRmT3_T4_T5_T6_T7_T9_mT8_P12ihipStream_tbDpT10_ENKUlT_T0_E_clISt17integral_constantIbLb1EES19_IbLb0EEEEDaS15_S16_EUlS15_E_NS1_11comp_targetILNS1_3genE4ELNS1_11target_archE910ELNS1_3gpuE8ELNS1_3repE0EEENS1_30default_config_static_selectorELNS0_4arch9wavefront6targetE0EEEvT1_,comdat
	.globl	_ZN7rocprim17ROCPRIM_400000_NS6detail17trampoline_kernelINS0_14default_configENS1_25partition_config_selectorILNS1_17partition_subalgoE9EllbEEZZNS1_14partition_implILS5_9ELb0ES3_jPlS8_PNS0_10empty_typeENS0_5tupleIJS8_S9_EEENSB_IJS8_SA_EEENS0_18inequality_wrapperIZN2at6native12_GLOBAL__N_124unique_dim_cuda_templateIiEESt5tupleIJNSF_6TensorESK_SK_EERKSK_lbbbEUlllE0_EEPmJS9_EEE10hipError_tPvRmT3_T4_T5_T6_T7_T9_mT8_P12ihipStream_tbDpT10_ENKUlT_T0_E_clISt17integral_constantIbLb1EES19_IbLb0EEEEDaS15_S16_EUlS15_E_NS1_11comp_targetILNS1_3genE4ELNS1_11target_archE910ELNS1_3gpuE8ELNS1_3repE0EEENS1_30default_config_static_selectorELNS0_4arch9wavefront6targetE0EEEvT1_ ; -- Begin function _ZN7rocprim17ROCPRIM_400000_NS6detail17trampoline_kernelINS0_14default_configENS1_25partition_config_selectorILNS1_17partition_subalgoE9EllbEEZZNS1_14partition_implILS5_9ELb0ES3_jPlS8_PNS0_10empty_typeENS0_5tupleIJS8_S9_EEENSB_IJS8_SA_EEENS0_18inequality_wrapperIZN2at6native12_GLOBAL__N_124unique_dim_cuda_templateIiEESt5tupleIJNSF_6TensorESK_SK_EERKSK_lbbbEUlllE0_EEPmJS9_EEE10hipError_tPvRmT3_T4_T5_T6_T7_T9_mT8_P12ihipStream_tbDpT10_ENKUlT_T0_E_clISt17integral_constantIbLb1EES19_IbLb0EEEEDaS15_S16_EUlS15_E_NS1_11comp_targetILNS1_3genE4ELNS1_11target_archE910ELNS1_3gpuE8ELNS1_3repE0EEENS1_30default_config_static_selectorELNS0_4arch9wavefront6targetE0EEEvT1_
	.p2align	8
	.type	_ZN7rocprim17ROCPRIM_400000_NS6detail17trampoline_kernelINS0_14default_configENS1_25partition_config_selectorILNS1_17partition_subalgoE9EllbEEZZNS1_14partition_implILS5_9ELb0ES3_jPlS8_PNS0_10empty_typeENS0_5tupleIJS8_S9_EEENSB_IJS8_SA_EEENS0_18inequality_wrapperIZN2at6native12_GLOBAL__N_124unique_dim_cuda_templateIiEESt5tupleIJNSF_6TensorESK_SK_EERKSK_lbbbEUlllE0_EEPmJS9_EEE10hipError_tPvRmT3_T4_T5_T6_T7_T9_mT8_P12ihipStream_tbDpT10_ENKUlT_T0_E_clISt17integral_constantIbLb1EES19_IbLb0EEEEDaS15_S16_EUlS15_E_NS1_11comp_targetILNS1_3genE4ELNS1_11target_archE910ELNS1_3gpuE8ELNS1_3repE0EEENS1_30default_config_static_selectorELNS0_4arch9wavefront6targetE0EEEvT1_,@function
_ZN7rocprim17ROCPRIM_400000_NS6detail17trampoline_kernelINS0_14default_configENS1_25partition_config_selectorILNS1_17partition_subalgoE9EllbEEZZNS1_14partition_implILS5_9ELb0ES3_jPlS8_PNS0_10empty_typeENS0_5tupleIJS8_S9_EEENSB_IJS8_SA_EEENS0_18inequality_wrapperIZN2at6native12_GLOBAL__N_124unique_dim_cuda_templateIiEESt5tupleIJNSF_6TensorESK_SK_EERKSK_lbbbEUlllE0_EEPmJS9_EEE10hipError_tPvRmT3_T4_T5_T6_T7_T9_mT8_P12ihipStream_tbDpT10_ENKUlT_T0_E_clISt17integral_constantIbLb1EES19_IbLb0EEEEDaS15_S16_EUlS15_E_NS1_11comp_targetILNS1_3genE4ELNS1_11target_archE910ELNS1_3gpuE8ELNS1_3repE0EEENS1_30default_config_static_selectorELNS0_4arch9wavefront6targetE0EEEvT1_: ; @_ZN7rocprim17ROCPRIM_400000_NS6detail17trampoline_kernelINS0_14default_configENS1_25partition_config_selectorILNS1_17partition_subalgoE9EllbEEZZNS1_14partition_implILS5_9ELb0ES3_jPlS8_PNS0_10empty_typeENS0_5tupleIJS8_S9_EEENSB_IJS8_SA_EEENS0_18inequality_wrapperIZN2at6native12_GLOBAL__N_124unique_dim_cuda_templateIiEESt5tupleIJNSF_6TensorESK_SK_EERKSK_lbbbEUlllE0_EEPmJS9_EEE10hipError_tPvRmT3_T4_T5_T6_T7_T9_mT8_P12ihipStream_tbDpT10_ENKUlT_T0_E_clISt17integral_constantIbLb1EES19_IbLb0EEEEDaS15_S16_EUlS15_E_NS1_11comp_targetILNS1_3genE4ELNS1_11target_archE910ELNS1_3gpuE8ELNS1_3repE0EEENS1_30default_config_static_selectorELNS0_4arch9wavefront6targetE0EEEvT1_
; %bb.0:
	.section	.rodata,"a",@progbits
	.p2align	6, 0x0
	.amdhsa_kernel _ZN7rocprim17ROCPRIM_400000_NS6detail17trampoline_kernelINS0_14default_configENS1_25partition_config_selectorILNS1_17partition_subalgoE9EllbEEZZNS1_14partition_implILS5_9ELb0ES3_jPlS8_PNS0_10empty_typeENS0_5tupleIJS8_S9_EEENSB_IJS8_SA_EEENS0_18inequality_wrapperIZN2at6native12_GLOBAL__N_124unique_dim_cuda_templateIiEESt5tupleIJNSF_6TensorESK_SK_EERKSK_lbbbEUlllE0_EEPmJS9_EEE10hipError_tPvRmT3_T4_T5_T6_T7_T9_mT8_P12ihipStream_tbDpT10_ENKUlT_T0_E_clISt17integral_constantIbLb1EES19_IbLb0EEEEDaS15_S16_EUlS15_E_NS1_11comp_targetILNS1_3genE4ELNS1_11target_archE910ELNS1_3gpuE8ELNS1_3repE0EEENS1_30default_config_static_selectorELNS0_4arch9wavefront6targetE0EEEvT1_
		.amdhsa_group_segment_fixed_size 0
		.amdhsa_private_segment_fixed_size 0
		.amdhsa_kernarg_size 120
		.amdhsa_user_sgpr_count 2
		.amdhsa_user_sgpr_dispatch_ptr 0
		.amdhsa_user_sgpr_queue_ptr 0
		.amdhsa_user_sgpr_kernarg_segment_ptr 1
		.amdhsa_user_sgpr_dispatch_id 0
		.amdhsa_user_sgpr_kernarg_preload_length 0
		.amdhsa_user_sgpr_kernarg_preload_offset 0
		.amdhsa_user_sgpr_private_segment_size 0
		.amdhsa_wavefront_size32 1
		.amdhsa_uses_dynamic_stack 0
		.amdhsa_enable_private_segment 0
		.amdhsa_system_sgpr_workgroup_id_x 1
		.amdhsa_system_sgpr_workgroup_id_y 0
		.amdhsa_system_sgpr_workgroup_id_z 0
		.amdhsa_system_sgpr_workgroup_info 0
		.amdhsa_system_vgpr_workitem_id 0
		.amdhsa_next_free_vgpr 1
		.amdhsa_next_free_sgpr 1
		.amdhsa_named_barrier_count 0
		.amdhsa_reserve_vcc 0
		.amdhsa_float_round_mode_32 0
		.amdhsa_float_round_mode_16_64 0
		.amdhsa_float_denorm_mode_32 3
		.amdhsa_float_denorm_mode_16_64 3
		.amdhsa_fp16_overflow 0
		.amdhsa_memory_ordered 1
		.amdhsa_forward_progress 1
		.amdhsa_inst_pref_size 0
		.amdhsa_round_robin_scheduling 0
		.amdhsa_exception_fp_ieee_invalid_op 0
		.amdhsa_exception_fp_denorm_src 0
		.amdhsa_exception_fp_ieee_div_zero 0
		.amdhsa_exception_fp_ieee_overflow 0
		.amdhsa_exception_fp_ieee_underflow 0
		.amdhsa_exception_fp_ieee_inexact 0
		.amdhsa_exception_int_div_zero 0
	.end_amdhsa_kernel
	.section	.text._ZN7rocprim17ROCPRIM_400000_NS6detail17trampoline_kernelINS0_14default_configENS1_25partition_config_selectorILNS1_17partition_subalgoE9EllbEEZZNS1_14partition_implILS5_9ELb0ES3_jPlS8_PNS0_10empty_typeENS0_5tupleIJS8_S9_EEENSB_IJS8_SA_EEENS0_18inequality_wrapperIZN2at6native12_GLOBAL__N_124unique_dim_cuda_templateIiEESt5tupleIJNSF_6TensorESK_SK_EERKSK_lbbbEUlllE0_EEPmJS9_EEE10hipError_tPvRmT3_T4_T5_T6_T7_T9_mT8_P12ihipStream_tbDpT10_ENKUlT_T0_E_clISt17integral_constantIbLb1EES19_IbLb0EEEEDaS15_S16_EUlS15_E_NS1_11comp_targetILNS1_3genE4ELNS1_11target_archE910ELNS1_3gpuE8ELNS1_3repE0EEENS1_30default_config_static_selectorELNS0_4arch9wavefront6targetE0EEEvT1_,"axG",@progbits,_ZN7rocprim17ROCPRIM_400000_NS6detail17trampoline_kernelINS0_14default_configENS1_25partition_config_selectorILNS1_17partition_subalgoE9EllbEEZZNS1_14partition_implILS5_9ELb0ES3_jPlS8_PNS0_10empty_typeENS0_5tupleIJS8_S9_EEENSB_IJS8_SA_EEENS0_18inequality_wrapperIZN2at6native12_GLOBAL__N_124unique_dim_cuda_templateIiEESt5tupleIJNSF_6TensorESK_SK_EERKSK_lbbbEUlllE0_EEPmJS9_EEE10hipError_tPvRmT3_T4_T5_T6_T7_T9_mT8_P12ihipStream_tbDpT10_ENKUlT_T0_E_clISt17integral_constantIbLb1EES19_IbLb0EEEEDaS15_S16_EUlS15_E_NS1_11comp_targetILNS1_3genE4ELNS1_11target_archE910ELNS1_3gpuE8ELNS1_3repE0EEENS1_30default_config_static_selectorELNS0_4arch9wavefront6targetE0EEEvT1_,comdat
.Lfunc_end491:
	.size	_ZN7rocprim17ROCPRIM_400000_NS6detail17trampoline_kernelINS0_14default_configENS1_25partition_config_selectorILNS1_17partition_subalgoE9EllbEEZZNS1_14partition_implILS5_9ELb0ES3_jPlS8_PNS0_10empty_typeENS0_5tupleIJS8_S9_EEENSB_IJS8_SA_EEENS0_18inequality_wrapperIZN2at6native12_GLOBAL__N_124unique_dim_cuda_templateIiEESt5tupleIJNSF_6TensorESK_SK_EERKSK_lbbbEUlllE0_EEPmJS9_EEE10hipError_tPvRmT3_T4_T5_T6_T7_T9_mT8_P12ihipStream_tbDpT10_ENKUlT_T0_E_clISt17integral_constantIbLb1EES19_IbLb0EEEEDaS15_S16_EUlS15_E_NS1_11comp_targetILNS1_3genE4ELNS1_11target_archE910ELNS1_3gpuE8ELNS1_3repE0EEENS1_30default_config_static_selectorELNS0_4arch9wavefront6targetE0EEEvT1_, .Lfunc_end491-_ZN7rocprim17ROCPRIM_400000_NS6detail17trampoline_kernelINS0_14default_configENS1_25partition_config_selectorILNS1_17partition_subalgoE9EllbEEZZNS1_14partition_implILS5_9ELb0ES3_jPlS8_PNS0_10empty_typeENS0_5tupleIJS8_S9_EEENSB_IJS8_SA_EEENS0_18inequality_wrapperIZN2at6native12_GLOBAL__N_124unique_dim_cuda_templateIiEESt5tupleIJNSF_6TensorESK_SK_EERKSK_lbbbEUlllE0_EEPmJS9_EEE10hipError_tPvRmT3_T4_T5_T6_T7_T9_mT8_P12ihipStream_tbDpT10_ENKUlT_T0_E_clISt17integral_constantIbLb1EES19_IbLb0EEEEDaS15_S16_EUlS15_E_NS1_11comp_targetILNS1_3genE4ELNS1_11target_archE910ELNS1_3gpuE8ELNS1_3repE0EEENS1_30default_config_static_selectorELNS0_4arch9wavefront6targetE0EEEvT1_
                                        ; -- End function
	.set _ZN7rocprim17ROCPRIM_400000_NS6detail17trampoline_kernelINS0_14default_configENS1_25partition_config_selectorILNS1_17partition_subalgoE9EllbEEZZNS1_14partition_implILS5_9ELb0ES3_jPlS8_PNS0_10empty_typeENS0_5tupleIJS8_S9_EEENSB_IJS8_SA_EEENS0_18inequality_wrapperIZN2at6native12_GLOBAL__N_124unique_dim_cuda_templateIiEESt5tupleIJNSF_6TensorESK_SK_EERKSK_lbbbEUlllE0_EEPmJS9_EEE10hipError_tPvRmT3_T4_T5_T6_T7_T9_mT8_P12ihipStream_tbDpT10_ENKUlT_T0_E_clISt17integral_constantIbLb1EES19_IbLb0EEEEDaS15_S16_EUlS15_E_NS1_11comp_targetILNS1_3genE4ELNS1_11target_archE910ELNS1_3gpuE8ELNS1_3repE0EEENS1_30default_config_static_selectorELNS0_4arch9wavefront6targetE0EEEvT1_.num_vgpr, 0
	.set _ZN7rocprim17ROCPRIM_400000_NS6detail17trampoline_kernelINS0_14default_configENS1_25partition_config_selectorILNS1_17partition_subalgoE9EllbEEZZNS1_14partition_implILS5_9ELb0ES3_jPlS8_PNS0_10empty_typeENS0_5tupleIJS8_S9_EEENSB_IJS8_SA_EEENS0_18inequality_wrapperIZN2at6native12_GLOBAL__N_124unique_dim_cuda_templateIiEESt5tupleIJNSF_6TensorESK_SK_EERKSK_lbbbEUlllE0_EEPmJS9_EEE10hipError_tPvRmT3_T4_T5_T6_T7_T9_mT8_P12ihipStream_tbDpT10_ENKUlT_T0_E_clISt17integral_constantIbLb1EES19_IbLb0EEEEDaS15_S16_EUlS15_E_NS1_11comp_targetILNS1_3genE4ELNS1_11target_archE910ELNS1_3gpuE8ELNS1_3repE0EEENS1_30default_config_static_selectorELNS0_4arch9wavefront6targetE0EEEvT1_.num_agpr, 0
	.set _ZN7rocprim17ROCPRIM_400000_NS6detail17trampoline_kernelINS0_14default_configENS1_25partition_config_selectorILNS1_17partition_subalgoE9EllbEEZZNS1_14partition_implILS5_9ELb0ES3_jPlS8_PNS0_10empty_typeENS0_5tupleIJS8_S9_EEENSB_IJS8_SA_EEENS0_18inequality_wrapperIZN2at6native12_GLOBAL__N_124unique_dim_cuda_templateIiEESt5tupleIJNSF_6TensorESK_SK_EERKSK_lbbbEUlllE0_EEPmJS9_EEE10hipError_tPvRmT3_T4_T5_T6_T7_T9_mT8_P12ihipStream_tbDpT10_ENKUlT_T0_E_clISt17integral_constantIbLb1EES19_IbLb0EEEEDaS15_S16_EUlS15_E_NS1_11comp_targetILNS1_3genE4ELNS1_11target_archE910ELNS1_3gpuE8ELNS1_3repE0EEENS1_30default_config_static_selectorELNS0_4arch9wavefront6targetE0EEEvT1_.numbered_sgpr, 0
	.set _ZN7rocprim17ROCPRIM_400000_NS6detail17trampoline_kernelINS0_14default_configENS1_25partition_config_selectorILNS1_17partition_subalgoE9EllbEEZZNS1_14partition_implILS5_9ELb0ES3_jPlS8_PNS0_10empty_typeENS0_5tupleIJS8_S9_EEENSB_IJS8_SA_EEENS0_18inequality_wrapperIZN2at6native12_GLOBAL__N_124unique_dim_cuda_templateIiEESt5tupleIJNSF_6TensorESK_SK_EERKSK_lbbbEUlllE0_EEPmJS9_EEE10hipError_tPvRmT3_T4_T5_T6_T7_T9_mT8_P12ihipStream_tbDpT10_ENKUlT_T0_E_clISt17integral_constantIbLb1EES19_IbLb0EEEEDaS15_S16_EUlS15_E_NS1_11comp_targetILNS1_3genE4ELNS1_11target_archE910ELNS1_3gpuE8ELNS1_3repE0EEENS1_30default_config_static_selectorELNS0_4arch9wavefront6targetE0EEEvT1_.num_named_barrier, 0
	.set _ZN7rocprim17ROCPRIM_400000_NS6detail17trampoline_kernelINS0_14default_configENS1_25partition_config_selectorILNS1_17partition_subalgoE9EllbEEZZNS1_14partition_implILS5_9ELb0ES3_jPlS8_PNS0_10empty_typeENS0_5tupleIJS8_S9_EEENSB_IJS8_SA_EEENS0_18inequality_wrapperIZN2at6native12_GLOBAL__N_124unique_dim_cuda_templateIiEESt5tupleIJNSF_6TensorESK_SK_EERKSK_lbbbEUlllE0_EEPmJS9_EEE10hipError_tPvRmT3_T4_T5_T6_T7_T9_mT8_P12ihipStream_tbDpT10_ENKUlT_T0_E_clISt17integral_constantIbLb1EES19_IbLb0EEEEDaS15_S16_EUlS15_E_NS1_11comp_targetILNS1_3genE4ELNS1_11target_archE910ELNS1_3gpuE8ELNS1_3repE0EEENS1_30default_config_static_selectorELNS0_4arch9wavefront6targetE0EEEvT1_.private_seg_size, 0
	.set _ZN7rocprim17ROCPRIM_400000_NS6detail17trampoline_kernelINS0_14default_configENS1_25partition_config_selectorILNS1_17partition_subalgoE9EllbEEZZNS1_14partition_implILS5_9ELb0ES3_jPlS8_PNS0_10empty_typeENS0_5tupleIJS8_S9_EEENSB_IJS8_SA_EEENS0_18inequality_wrapperIZN2at6native12_GLOBAL__N_124unique_dim_cuda_templateIiEESt5tupleIJNSF_6TensorESK_SK_EERKSK_lbbbEUlllE0_EEPmJS9_EEE10hipError_tPvRmT3_T4_T5_T6_T7_T9_mT8_P12ihipStream_tbDpT10_ENKUlT_T0_E_clISt17integral_constantIbLb1EES19_IbLb0EEEEDaS15_S16_EUlS15_E_NS1_11comp_targetILNS1_3genE4ELNS1_11target_archE910ELNS1_3gpuE8ELNS1_3repE0EEENS1_30default_config_static_selectorELNS0_4arch9wavefront6targetE0EEEvT1_.uses_vcc, 0
	.set _ZN7rocprim17ROCPRIM_400000_NS6detail17trampoline_kernelINS0_14default_configENS1_25partition_config_selectorILNS1_17partition_subalgoE9EllbEEZZNS1_14partition_implILS5_9ELb0ES3_jPlS8_PNS0_10empty_typeENS0_5tupleIJS8_S9_EEENSB_IJS8_SA_EEENS0_18inequality_wrapperIZN2at6native12_GLOBAL__N_124unique_dim_cuda_templateIiEESt5tupleIJNSF_6TensorESK_SK_EERKSK_lbbbEUlllE0_EEPmJS9_EEE10hipError_tPvRmT3_T4_T5_T6_T7_T9_mT8_P12ihipStream_tbDpT10_ENKUlT_T0_E_clISt17integral_constantIbLb1EES19_IbLb0EEEEDaS15_S16_EUlS15_E_NS1_11comp_targetILNS1_3genE4ELNS1_11target_archE910ELNS1_3gpuE8ELNS1_3repE0EEENS1_30default_config_static_selectorELNS0_4arch9wavefront6targetE0EEEvT1_.uses_flat_scratch, 0
	.set _ZN7rocprim17ROCPRIM_400000_NS6detail17trampoline_kernelINS0_14default_configENS1_25partition_config_selectorILNS1_17partition_subalgoE9EllbEEZZNS1_14partition_implILS5_9ELb0ES3_jPlS8_PNS0_10empty_typeENS0_5tupleIJS8_S9_EEENSB_IJS8_SA_EEENS0_18inequality_wrapperIZN2at6native12_GLOBAL__N_124unique_dim_cuda_templateIiEESt5tupleIJNSF_6TensorESK_SK_EERKSK_lbbbEUlllE0_EEPmJS9_EEE10hipError_tPvRmT3_T4_T5_T6_T7_T9_mT8_P12ihipStream_tbDpT10_ENKUlT_T0_E_clISt17integral_constantIbLb1EES19_IbLb0EEEEDaS15_S16_EUlS15_E_NS1_11comp_targetILNS1_3genE4ELNS1_11target_archE910ELNS1_3gpuE8ELNS1_3repE0EEENS1_30default_config_static_selectorELNS0_4arch9wavefront6targetE0EEEvT1_.has_dyn_sized_stack, 0
	.set _ZN7rocprim17ROCPRIM_400000_NS6detail17trampoline_kernelINS0_14default_configENS1_25partition_config_selectorILNS1_17partition_subalgoE9EllbEEZZNS1_14partition_implILS5_9ELb0ES3_jPlS8_PNS0_10empty_typeENS0_5tupleIJS8_S9_EEENSB_IJS8_SA_EEENS0_18inequality_wrapperIZN2at6native12_GLOBAL__N_124unique_dim_cuda_templateIiEESt5tupleIJNSF_6TensorESK_SK_EERKSK_lbbbEUlllE0_EEPmJS9_EEE10hipError_tPvRmT3_T4_T5_T6_T7_T9_mT8_P12ihipStream_tbDpT10_ENKUlT_T0_E_clISt17integral_constantIbLb1EES19_IbLb0EEEEDaS15_S16_EUlS15_E_NS1_11comp_targetILNS1_3genE4ELNS1_11target_archE910ELNS1_3gpuE8ELNS1_3repE0EEENS1_30default_config_static_selectorELNS0_4arch9wavefront6targetE0EEEvT1_.has_recursion, 0
	.set _ZN7rocprim17ROCPRIM_400000_NS6detail17trampoline_kernelINS0_14default_configENS1_25partition_config_selectorILNS1_17partition_subalgoE9EllbEEZZNS1_14partition_implILS5_9ELb0ES3_jPlS8_PNS0_10empty_typeENS0_5tupleIJS8_S9_EEENSB_IJS8_SA_EEENS0_18inequality_wrapperIZN2at6native12_GLOBAL__N_124unique_dim_cuda_templateIiEESt5tupleIJNSF_6TensorESK_SK_EERKSK_lbbbEUlllE0_EEPmJS9_EEE10hipError_tPvRmT3_T4_T5_T6_T7_T9_mT8_P12ihipStream_tbDpT10_ENKUlT_T0_E_clISt17integral_constantIbLb1EES19_IbLb0EEEEDaS15_S16_EUlS15_E_NS1_11comp_targetILNS1_3genE4ELNS1_11target_archE910ELNS1_3gpuE8ELNS1_3repE0EEENS1_30default_config_static_selectorELNS0_4arch9wavefront6targetE0EEEvT1_.has_indirect_call, 0
	.section	.AMDGPU.csdata,"",@progbits
; Kernel info:
; codeLenInByte = 0
; TotalNumSgprs: 0
; NumVgprs: 0
; ScratchSize: 0
; MemoryBound: 0
; FloatMode: 240
; IeeeMode: 1
; LDSByteSize: 0 bytes/workgroup (compile time only)
; SGPRBlocks: 0
; VGPRBlocks: 0
; NumSGPRsForWavesPerEU: 1
; NumVGPRsForWavesPerEU: 1
; NamedBarCnt: 0
; Occupancy: 16
; WaveLimiterHint : 0
; COMPUTE_PGM_RSRC2:SCRATCH_EN: 0
; COMPUTE_PGM_RSRC2:USER_SGPR: 2
; COMPUTE_PGM_RSRC2:TRAP_HANDLER: 0
; COMPUTE_PGM_RSRC2:TGID_X_EN: 1
; COMPUTE_PGM_RSRC2:TGID_Y_EN: 0
; COMPUTE_PGM_RSRC2:TGID_Z_EN: 0
; COMPUTE_PGM_RSRC2:TIDIG_COMP_CNT: 0
	.section	.text._ZN7rocprim17ROCPRIM_400000_NS6detail17trampoline_kernelINS0_14default_configENS1_25partition_config_selectorILNS1_17partition_subalgoE9EllbEEZZNS1_14partition_implILS5_9ELb0ES3_jPlS8_PNS0_10empty_typeENS0_5tupleIJS8_S9_EEENSB_IJS8_SA_EEENS0_18inequality_wrapperIZN2at6native12_GLOBAL__N_124unique_dim_cuda_templateIiEESt5tupleIJNSF_6TensorESK_SK_EERKSK_lbbbEUlllE0_EEPmJS9_EEE10hipError_tPvRmT3_T4_T5_T6_T7_T9_mT8_P12ihipStream_tbDpT10_ENKUlT_T0_E_clISt17integral_constantIbLb1EES19_IbLb0EEEEDaS15_S16_EUlS15_E_NS1_11comp_targetILNS1_3genE3ELNS1_11target_archE908ELNS1_3gpuE7ELNS1_3repE0EEENS1_30default_config_static_selectorELNS0_4arch9wavefront6targetE0EEEvT1_,"axG",@progbits,_ZN7rocprim17ROCPRIM_400000_NS6detail17trampoline_kernelINS0_14default_configENS1_25partition_config_selectorILNS1_17partition_subalgoE9EllbEEZZNS1_14partition_implILS5_9ELb0ES3_jPlS8_PNS0_10empty_typeENS0_5tupleIJS8_S9_EEENSB_IJS8_SA_EEENS0_18inequality_wrapperIZN2at6native12_GLOBAL__N_124unique_dim_cuda_templateIiEESt5tupleIJNSF_6TensorESK_SK_EERKSK_lbbbEUlllE0_EEPmJS9_EEE10hipError_tPvRmT3_T4_T5_T6_T7_T9_mT8_P12ihipStream_tbDpT10_ENKUlT_T0_E_clISt17integral_constantIbLb1EES19_IbLb0EEEEDaS15_S16_EUlS15_E_NS1_11comp_targetILNS1_3genE3ELNS1_11target_archE908ELNS1_3gpuE7ELNS1_3repE0EEENS1_30default_config_static_selectorELNS0_4arch9wavefront6targetE0EEEvT1_,comdat
	.globl	_ZN7rocprim17ROCPRIM_400000_NS6detail17trampoline_kernelINS0_14default_configENS1_25partition_config_selectorILNS1_17partition_subalgoE9EllbEEZZNS1_14partition_implILS5_9ELb0ES3_jPlS8_PNS0_10empty_typeENS0_5tupleIJS8_S9_EEENSB_IJS8_SA_EEENS0_18inequality_wrapperIZN2at6native12_GLOBAL__N_124unique_dim_cuda_templateIiEESt5tupleIJNSF_6TensorESK_SK_EERKSK_lbbbEUlllE0_EEPmJS9_EEE10hipError_tPvRmT3_T4_T5_T6_T7_T9_mT8_P12ihipStream_tbDpT10_ENKUlT_T0_E_clISt17integral_constantIbLb1EES19_IbLb0EEEEDaS15_S16_EUlS15_E_NS1_11comp_targetILNS1_3genE3ELNS1_11target_archE908ELNS1_3gpuE7ELNS1_3repE0EEENS1_30default_config_static_selectorELNS0_4arch9wavefront6targetE0EEEvT1_ ; -- Begin function _ZN7rocprim17ROCPRIM_400000_NS6detail17trampoline_kernelINS0_14default_configENS1_25partition_config_selectorILNS1_17partition_subalgoE9EllbEEZZNS1_14partition_implILS5_9ELb0ES3_jPlS8_PNS0_10empty_typeENS0_5tupleIJS8_S9_EEENSB_IJS8_SA_EEENS0_18inequality_wrapperIZN2at6native12_GLOBAL__N_124unique_dim_cuda_templateIiEESt5tupleIJNSF_6TensorESK_SK_EERKSK_lbbbEUlllE0_EEPmJS9_EEE10hipError_tPvRmT3_T4_T5_T6_T7_T9_mT8_P12ihipStream_tbDpT10_ENKUlT_T0_E_clISt17integral_constantIbLb1EES19_IbLb0EEEEDaS15_S16_EUlS15_E_NS1_11comp_targetILNS1_3genE3ELNS1_11target_archE908ELNS1_3gpuE7ELNS1_3repE0EEENS1_30default_config_static_selectorELNS0_4arch9wavefront6targetE0EEEvT1_
	.p2align	8
	.type	_ZN7rocprim17ROCPRIM_400000_NS6detail17trampoline_kernelINS0_14default_configENS1_25partition_config_selectorILNS1_17partition_subalgoE9EllbEEZZNS1_14partition_implILS5_9ELb0ES3_jPlS8_PNS0_10empty_typeENS0_5tupleIJS8_S9_EEENSB_IJS8_SA_EEENS0_18inequality_wrapperIZN2at6native12_GLOBAL__N_124unique_dim_cuda_templateIiEESt5tupleIJNSF_6TensorESK_SK_EERKSK_lbbbEUlllE0_EEPmJS9_EEE10hipError_tPvRmT3_T4_T5_T6_T7_T9_mT8_P12ihipStream_tbDpT10_ENKUlT_T0_E_clISt17integral_constantIbLb1EES19_IbLb0EEEEDaS15_S16_EUlS15_E_NS1_11comp_targetILNS1_3genE3ELNS1_11target_archE908ELNS1_3gpuE7ELNS1_3repE0EEENS1_30default_config_static_selectorELNS0_4arch9wavefront6targetE0EEEvT1_,@function
_ZN7rocprim17ROCPRIM_400000_NS6detail17trampoline_kernelINS0_14default_configENS1_25partition_config_selectorILNS1_17partition_subalgoE9EllbEEZZNS1_14partition_implILS5_9ELb0ES3_jPlS8_PNS0_10empty_typeENS0_5tupleIJS8_S9_EEENSB_IJS8_SA_EEENS0_18inequality_wrapperIZN2at6native12_GLOBAL__N_124unique_dim_cuda_templateIiEESt5tupleIJNSF_6TensorESK_SK_EERKSK_lbbbEUlllE0_EEPmJS9_EEE10hipError_tPvRmT3_T4_T5_T6_T7_T9_mT8_P12ihipStream_tbDpT10_ENKUlT_T0_E_clISt17integral_constantIbLb1EES19_IbLb0EEEEDaS15_S16_EUlS15_E_NS1_11comp_targetILNS1_3genE3ELNS1_11target_archE908ELNS1_3gpuE7ELNS1_3repE0EEENS1_30default_config_static_selectorELNS0_4arch9wavefront6targetE0EEEvT1_: ; @_ZN7rocprim17ROCPRIM_400000_NS6detail17trampoline_kernelINS0_14default_configENS1_25partition_config_selectorILNS1_17partition_subalgoE9EllbEEZZNS1_14partition_implILS5_9ELb0ES3_jPlS8_PNS0_10empty_typeENS0_5tupleIJS8_S9_EEENSB_IJS8_SA_EEENS0_18inequality_wrapperIZN2at6native12_GLOBAL__N_124unique_dim_cuda_templateIiEESt5tupleIJNSF_6TensorESK_SK_EERKSK_lbbbEUlllE0_EEPmJS9_EEE10hipError_tPvRmT3_T4_T5_T6_T7_T9_mT8_P12ihipStream_tbDpT10_ENKUlT_T0_E_clISt17integral_constantIbLb1EES19_IbLb0EEEEDaS15_S16_EUlS15_E_NS1_11comp_targetILNS1_3genE3ELNS1_11target_archE908ELNS1_3gpuE7ELNS1_3repE0EEENS1_30default_config_static_selectorELNS0_4arch9wavefront6targetE0EEEvT1_
; %bb.0:
	.section	.rodata,"a",@progbits
	.p2align	6, 0x0
	.amdhsa_kernel _ZN7rocprim17ROCPRIM_400000_NS6detail17trampoline_kernelINS0_14default_configENS1_25partition_config_selectorILNS1_17partition_subalgoE9EllbEEZZNS1_14partition_implILS5_9ELb0ES3_jPlS8_PNS0_10empty_typeENS0_5tupleIJS8_S9_EEENSB_IJS8_SA_EEENS0_18inequality_wrapperIZN2at6native12_GLOBAL__N_124unique_dim_cuda_templateIiEESt5tupleIJNSF_6TensorESK_SK_EERKSK_lbbbEUlllE0_EEPmJS9_EEE10hipError_tPvRmT3_T4_T5_T6_T7_T9_mT8_P12ihipStream_tbDpT10_ENKUlT_T0_E_clISt17integral_constantIbLb1EES19_IbLb0EEEEDaS15_S16_EUlS15_E_NS1_11comp_targetILNS1_3genE3ELNS1_11target_archE908ELNS1_3gpuE7ELNS1_3repE0EEENS1_30default_config_static_selectorELNS0_4arch9wavefront6targetE0EEEvT1_
		.amdhsa_group_segment_fixed_size 0
		.amdhsa_private_segment_fixed_size 0
		.amdhsa_kernarg_size 120
		.amdhsa_user_sgpr_count 2
		.amdhsa_user_sgpr_dispatch_ptr 0
		.amdhsa_user_sgpr_queue_ptr 0
		.amdhsa_user_sgpr_kernarg_segment_ptr 1
		.amdhsa_user_sgpr_dispatch_id 0
		.amdhsa_user_sgpr_kernarg_preload_length 0
		.amdhsa_user_sgpr_kernarg_preload_offset 0
		.amdhsa_user_sgpr_private_segment_size 0
		.amdhsa_wavefront_size32 1
		.amdhsa_uses_dynamic_stack 0
		.amdhsa_enable_private_segment 0
		.amdhsa_system_sgpr_workgroup_id_x 1
		.amdhsa_system_sgpr_workgroup_id_y 0
		.amdhsa_system_sgpr_workgroup_id_z 0
		.amdhsa_system_sgpr_workgroup_info 0
		.amdhsa_system_vgpr_workitem_id 0
		.amdhsa_next_free_vgpr 1
		.amdhsa_next_free_sgpr 1
		.amdhsa_named_barrier_count 0
		.amdhsa_reserve_vcc 0
		.amdhsa_float_round_mode_32 0
		.amdhsa_float_round_mode_16_64 0
		.amdhsa_float_denorm_mode_32 3
		.amdhsa_float_denorm_mode_16_64 3
		.amdhsa_fp16_overflow 0
		.amdhsa_memory_ordered 1
		.amdhsa_forward_progress 1
		.amdhsa_inst_pref_size 0
		.amdhsa_round_robin_scheduling 0
		.amdhsa_exception_fp_ieee_invalid_op 0
		.amdhsa_exception_fp_denorm_src 0
		.amdhsa_exception_fp_ieee_div_zero 0
		.amdhsa_exception_fp_ieee_overflow 0
		.amdhsa_exception_fp_ieee_underflow 0
		.amdhsa_exception_fp_ieee_inexact 0
		.amdhsa_exception_int_div_zero 0
	.end_amdhsa_kernel
	.section	.text._ZN7rocprim17ROCPRIM_400000_NS6detail17trampoline_kernelINS0_14default_configENS1_25partition_config_selectorILNS1_17partition_subalgoE9EllbEEZZNS1_14partition_implILS5_9ELb0ES3_jPlS8_PNS0_10empty_typeENS0_5tupleIJS8_S9_EEENSB_IJS8_SA_EEENS0_18inequality_wrapperIZN2at6native12_GLOBAL__N_124unique_dim_cuda_templateIiEESt5tupleIJNSF_6TensorESK_SK_EERKSK_lbbbEUlllE0_EEPmJS9_EEE10hipError_tPvRmT3_T4_T5_T6_T7_T9_mT8_P12ihipStream_tbDpT10_ENKUlT_T0_E_clISt17integral_constantIbLb1EES19_IbLb0EEEEDaS15_S16_EUlS15_E_NS1_11comp_targetILNS1_3genE3ELNS1_11target_archE908ELNS1_3gpuE7ELNS1_3repE0EEENS1_30default_config_static_selectorELNS0_4arch9wavefront6targetE0EEEvT1_,"axG",@progbits,_ZN7rocprim17ROCPRIM_400000_NS6detail17trampoline_kernelINS0_14default_configENS1_25partition_config_selectorILNS1_17partition_subalgoE9EllbEEZZNS1_14partition_implILS5_9ELb0ES3_jPlS8_PNS0_10empty_typeENS0_5tupleIJS8_S9_EEENSB_IJS8_SA_EEENS0_18inequality_wrapperIZN2at6native12_GLOBAL__N_124unique_dim_cuda_templateIiEESt5tupleIJNSF_6TensorESK_SK_EERKSK_lbbbEUlllE0_EEPmJS9_EEE10hipError_tPvRmT3_T4_T5_T6_T7_T9_mT8_P12ihipStream_tbDpT10_ENKUlT_T0_E_clISt17integral_constantIbLb1EES19_IbLb0EEEEDaS15_S16_EUlS15_E_NS1_11comp_targetILNS1_3genE3ELNS1_11target_archE908ELNS1_3gpuE7ELNS1_3repE0EEENS1_30default_config_static_selectorELNS0_4arch9wavefront6targetE0EEEvT1_,comdat
.Lfunc_end492:
	.size	_ZN7rocprim17ROCPRIM_400000_NS6detail17trampoline_kernelINS0_14default_configENS1_25partition_config_selectorILNS1_17partition_subalgoE9EllbEEZZNS1_14partition_implILS5_9ELb0ES3_jPlS8_PNS0_10empty_typeENS0_5tupleIJS8_S9_EEENSB_IJS8_SA_EEENS0_18inequality_wrapperIZN2at6native12_GLOBAL__N_124unique_dim_cuda_templateIiEESt5tupleIJNSF_6TensorESK_SK_EERKSK_lbbbEUlllE0_EEPmJS9_EEE10hipError_tPvRmT3_T4_T5_T6_T7_T9_mT8_P12ihipStream_tbDpT10_ENKUlT_T0_E_clISt17integral_constantIbLb1EES19_IbLb0EEEEDaS15_S16_EUlS15_E_NS1_11comp_targetILNS1_3genE3ELNS1_11target_archE908ELNS1_3gpuE7ELNS1_3repE0EEENS1_30default_config_static_selectorELNS0_4arch9wavefront6targetE0EEEvT1_, .Lfunc_end492-_ZN7rocprim17ROCPRIM_400000_NS6detail17trampoline_kernelINS0_14default_configENS1_25partition_config_selectorILNS1_17partition_subalgoE9EllbEEZZNS1_14partition_implILS5_9ELb0ES3_jPlS8_PNS0_10empty_typeENS0_5tupleIJS8_S9_EEENSB_IJS8_SA_EEENS0_18inequality_wrapperIZN2at6native12_GLOBAL__N_124unique_dim_cuda_templateIiEESt5tupleIJNSF_6TensorESK_SK_EERKSK_lbbbEUlllE0_EEPmJS9_EEE10hipError_tPvRmT3_T4_T5_T6_T7_T9_mT8_P12ihipStream_tbDpT10_ENKUlT_T0_E_clISt17integral_constantIbLb1EES19_IbLb0EEEEDaS15_S16_EUlS15_E_NS1_11comp_targetILNS1_3genE3ELNS1_11target_archE908ELNS1_3gpuE7ELNS1_3repE0EEENS1_30default_config_static_selectorELNS0_4arch9wavefront6targetE0EEEvT1_
                                        ; -- End function
	.set _ZN7rocprim17ROCPRIM_400000_NS6detail17trampoline_kernelINS0_14default_configENS1_25partition_config_selectorILNS1_17partition_subalgoE9EllbEEZZNS1_14partition_implILS5_9ELb0ES3_jPlS8_PNS0_10empty_typeENS0_5tupleIJS8_S9_EEENSB_IJS8_SA_EEENS0_18inequality_wrapperIZN2at6native12_GLOBAL__N_124unique_dim_cuda_templateIiEESt5tupleIJNSF_6TensorESK_SK_EERKSK_lbbbEUlllE0_EEPmJS9_EEE10hipError_tPvRmT3_T4_T5_T6_T7_T9_mT8_P12ihipStream_tbDpT10_ENKUlT_T0_E_clISt17integral_constantIbLb1EES19_IbLb0EEEEDaS15_S16_EUlS15_E_NS1_11comp_targetILNS1_3genE3ELNS1_11target_archE908ELNS1_3gpuE7ELNS1_3repE0EEENS1_30default_config_static_selectorELNS0_4arch9wavefront6targetE0EEEvT1_.num_vgpr, 0
	.set _ZN7rocprim17ROCPRIM_400000_NS6detail17trampoline_kernelINS0_14default_configENS1_25partition_config_selectorILNS1_17partition_subalgoE9EllbEEZZNS1_14partition_implILS5_9ELb0ES3_jPlS8_PNS0_10empty_typeENS0_5tupleIJS8_S9_EEENSB_IJS8_SA_EEENS0_18inequality_wrapperIZN2at6native12_GLOBAL__N_124unique_dim_cuda_templateIiEESt5tupleIJNSF_6TensorESK_SK_EERKSK_lbbbEUlllE0_EEPmJS9_EEE10hipError_tPvRmT3_T4_T5_T6_T7_T9_mT8_P12ihipStream_tbDpT10_ENKUlT_T0_E_clISt17integral_constantIbLb1EES19_IbLb0EEEEDaS15_S16_EUlS15_E_NS1_11comp_targetILNS1_3genE3ELNS1_11target_archE908ELNS1_3gpuE7ELNS1_3repE0EEENS1_30default_config_static_selectorELNS0_4arch9wavefront6targetE0EEEvT1_.num_agpr, 0
	.set _ZN7rocprim17ROCPRIM_400000_NS6detail17trampoline_kernelINS0_14default_configENS1_25partition_config_selectorILNS1_17partition_subalgoE9EllbEEZZNS1_14partition_implILS5_9ELb0ES3_jPlS8_PNS0_10empty_typeENS0_5tupleIJS8_S9_EEENSB_IJS8_SA_EEENS0_18inequality_wrapperIZN2at6native12_GLOBAL__N_124unique_dim_cuda_templateIiEESt5tupleIJNSF_6TensorESK_SK_EERKSK_lbbbEUlllE0_EEPmJS9_EEE10hipError_tPvRmT3_T4_T5_T6_T7_T9_mT8_P12ihipStream_tbDpT10_ENKUlT_T0_E_clISt17integral_constantIbLb1EES19_IbLb0EEEEDaS15_S16_EUlS15_E_NS1_11comp_targetILNS1_3genE3ELNS1_11target_archE908ELNS1_3gpuE7ELNS1_3repE0EEENS1_30default_config_static_selectorELNS0_4arch9wavefront6targetE0EEEvT1_.numbered_sgpr, 0
	.set _ZN7rocprim17ROCPRIM_400000_NS6detail17trampoline_kernelINS0_14default_configENS1_25partition_config_selectorILNS1_17partition_subalgoE9EllbEEZZNS1_14partition_implILS5_9ELb0ES3_jPlS8_PNS0_10empty_typeENS0_5tupleIJS8_S9_EEENSB_IJS8_SA_EEENS0_18inequality_wrapperIZN2at6native12_GLOBAL__N_124unique_dim_cuda_templateIiEESt5tupleIJNSF_6TensorESK_SK_EERKSK_lbbbEUlllE0_EEPmJS9_EEE10hipError_tPvRmT3_T4_T5_T6_T7_T9_mT8_P12ihipStream_tbDpT10_ENKUlT_T0_E_clISt17integral_constantIbLb1EES19_IbLb0EEEEDaS15_S16_EUlS15_E_NS1_11comp_targetILNS1_3genE3ELNS1_11target_archE908ELNS1_3gpuE7ELNS1_3repE0EEENS1_30default_config_static_selectorELNS0_4arch9wavefront6targetE0EEEvT1_.num_named_barrier, 0
	.set _ZN7rocprim17ROCPRIM_400000_NS6detail17trampoline_kernelINS0_14default_configENS1_25partition_config_selectorILNS1_17partition_subalgoE9EllbEEZZNS1_14partition_implILS5_9ELb0ES3_jPlS8_PNS0_10empty_typeENS0_5tupleIJS8_S9_EEENSB_IJS8_SA_EEENS0_18inequality_wrapperIZN2at6native12_GLOBAL__N_124unique_dim_cuda_templateIiEESt5tupleIJNSF_6TensorESK_SK_EERKSK_lbbbEUlllE0_EEPmJS9_EEE10hipError_tPvRmT3_T4_T5_T6_T7_T9_mT8_P12ihipStream_tbDpT10_ENKUlT_T0_E_clISt17integral_constantIbLb1EES19_IbLb0EEEEDaS15_S16_EUlS15_E_NS1_11comp_targetILNS1_3genE3ELNS1_11target_archE908ELNS1_3gpuE7ELNS1_3repE0EEENS1_30default_config_static_selectorELNS0_4arch9wavefront6targetE0EEEvT1_.private_seg_size, 0
	.set _ZN7rocprim17ROCPRIM_400000_NS6detail17trampoline_kernelINS0_14default_configENS1_25partition_config_selectorILNS1_17partition_subalgoE9EllbEEZZNS1_14partition_implILS5_9ELb0ES3_jPlS8_PNS0_10empty_typeENS0_5tupleIJS8_S9_EEENSB_IJS8_SA_EEENS0_18inequality_wrapperIZN2at6native12_GLOBAL__N_124unique_dim_cuda_templateIiEESt5tupleIJNSF_6TensorESK_SK_EERKSK_lbbbEUlllE0_EEPmJS9_EEE10hipError_tPvRmT3_T4_T5_T6_T7_T9_mT8_P12ihipStream_tbDpT10_ENKUlT_T0_E_clISt17integral_constantIbLb1EES19_IbLb0EEEEDaS15_S16_EUlS15_E_NS1_11comp_targetILNS1_3genE3ELNS1_11target_archE908ELNS1_3gpuE7ELNS1_3repE0EEENS1_30default_config_static_selectorELNS0_4arch9wavefront6targetE0EEEvT1_.uses_vcc, 0
	.set _ZN7rocprim17ROCPRIM_400000_NS6detail17trampoline_kernelINS0_14default_configENS1_25partition_config_selectorILNS1_17partition_subalgoE9EllbEEZZNS1_14partition_implILS5_9ELb0ES3_jPlS8_PNS0_10empty_typeENS0_5tupleIJS8_S9_EEENSB_IJS8_SA_EEENS0_18inequality_wrapperIZN2at6native12_GLOBAL__N_124unique_dim_cuda_templateIiEESt5tupleIJNSF_6TensorESK_SK_EERKSK_lbbbEUlllE0_EEPmJS9_EEE10hipError_tPvRmT3_T4_T5_T6_T7_T9_mT8_P12ihipStream_tbDpT10_ENKUlT_T0_E_clISt17integral_constantIbLb1EES19_IbLb0EEEEDaS15_S16_EUlS15_E_NS1_11comp_targetILNS1_3genE3ELNS1_11target_archE908ELNS1_3gpuE7ELNS1_3repE0EEENS1_30default_config_static_selectorELNS0_4arch9wavefront6targetE0EEEvT1_.uses_flat_scratch, 0
	.set _ZN7rocprim17ROCPRIM_400000_NS6detail17trampoline_kernelINS0_14default_configENS1_25partition_config_selectorILNS1_17partition_subalgoE9EllbEEZZNS1_14partition_implILS5_9ELb0ES3_jPlS8_PNS0_10empty_typeENS0_5tupleIJS8_S9_EEENSB_IJS8_SA_EEENS0_18inequality_wrapperIZN2at6native12_GLOBAL__N_124unique_dim_cuda_templateIiEESt5tupleIJNSF_6TensorESK_SK_EERKSK_lbbbEUlllE0_EEPmJS9_EEE10hipError_tPvRmT3_T4_T5_T6_T7_T9_mT8_P12ihipStream_tbDpT10_ENKUlT_T0_E_clISt17integral_constantIbLb1EES19_IbLb0EEEEDaS15_S16_EUlS15_E_NS1_11comp_targetILNS1_3genE3ELNS1_11target_archE908ELNS1_3gpuE7ELNS1_3repE0EEENS1_30default_config_static_selectorELNS0_4arch9wavefront6targetE0EEEvT1_.has_dyn_sized_stack, 0
	.set _ZN7rocprim17ROCPRIM_400000_NS6detail17trampoline_kernelINS0_14default_configENS1_25partition_config_selectorILNS1_17partition_subalgoE9EllbEEZZNS1_14partition_implILS5_9ELb0ES3_jPlS8_PNS0_10empty_typeENS0_5tupleIJS8_S9_EEENSB_IJS8_SA_EEENS0_18inequality_wrapperIZN2at6native12_GLOBAL__N_124unique_dim_cuda_templateIiEESt5tupleIJNSF_6TensorESK_SK_EERKSK_lbbbEUlllE0_EEPmJS9_EEE10hipError_tPvRmT3_T4_T5_T6_T7_T9_mT8_P12ihipStream_tbDpT10_ENKUlT_T0_E_clISt17integral_constantIbLb1EES19_IbLb0EEEEDaS15_S16_EUlS15_E_NS1_11comp_targetILNS1_3genE3ELNS1_11target_archE908ELNS1_3gpuE7ELNS1_3repE0EEENS1_30default_config_static_selectorELNS0_4arch9wavefront6targetE0EEEvT1_.has_recursion, 0
	.set _ZN7rocprim17ROCPRIM_400000_NS6detail17trampoline_kernelINS0_14default_configENS1_25partition_config_selectorILNS1_17partition_subalgoE9EllbEEZZNS1_14partition_implILS5_9ELb0ES3_jPlS8_PNS0_10empty_typeENS0_5tupleIJS8_S9_EEENSB_IJS8_SA_EEENS0_18inequality_wrapperIZN2at6native12_GLOBAL__N_124unique_dim_cuda_templateIiEESt5tupleIJNSF_6TensorESK_SK_EERKSK_lbbbEUlllE0_EEPmJS9_EEE10hipError_tPvRmT3_T4_T5_T6_T7_T9_mT8_P12ihipStream_tbDpT10_ENKUlT_T0_E_clISt17integral_constantIbLb1EES19_IbLb0EEEEDaS15_S16_EUlS15_E_NS1_11comp_targetILNS1_3genE3ELNS1_11target_archE908ELNS1_3gpuE7ELNS1_3repE0EEENS1_30default_config_static_selectorELNS0_4arch9wavefront6targetE0EEEvT1_.has_indirect_call, 0
	.section	.AMDGPU.csdata,"",@progbits
; Kernel info:
; codeLenInByte = 0
; TotalNumSgprs: 0
; NumVgprs: 0
; ScratchSize: 0
; MemoryBound: 0
; FloatMode: 240
; IeeeMode: 1
; LDSByteSize: 0 bytes/workgroup (compile time only)
; SGPRBlocks: 0
; VGPRBlocks: 0
; NumSGPRsForWavesPerEU: 1
; NumVGPRsForWavesPerEU: 1
; NamedBarCnt: 0
; Occupancy: 16
; WaveLimiterHint : 0
; COMPUTE_PGM_RSRC2:SCRATCH_EN: 0
; COMPUTE_PGM_RSRC2:USER_SGPR: 2
; COMPUTE_PGM_RSRC2:TRAP_HANDLER: 0
; COMPUTE_PGM_RSRC2:TGID_X_EN: 1
; COMPUTE_PGM_RSRC2:TGID_Y_EN: 0
; COMPUTE_PGM_RSRC2:TGID_Z_EN: 0
; COMPUTE_PGM_RSRC2:TIDIG_COMP_CNT: 0
	.section	.text._ZN7rocprim17ROCPRIM_400000_NS6detail17trampoline_kernelINS0_14default_configENS1_25partition_config_selectorILNS1_17partition_subalgoE9EllbEEZZNS1_14partition_implILS5_9ELb0ES3_jPlS8_PNS0_10empty_typeENS0_5tupleIJS8_S9_EEENSB_IJS8_SA_EEENS0_18inequality_wrapperIZN2at6native12_GLOBAL__N_124unique_dim_cuda_templateIiEESt5tupleIJNSF_6TensorESK_SK_EERKSK_lbbbEUlllE0_EEPmJS9_EEE10hipError_tPvRmT3_T4_T5_T6_T7_T9_mT8_P12ihipStream_tbDpT10_ENKUlT_T0_E_clISt17integral_constantIbLb1EES19_IbLb0EEEEDaS15_S16_EUlS15_E_NS1_11comp_targetILNS1_3genE2ELNS1_11target_archE906ELNS1_3gpuE6ELNS1_3repE0EEENS1_30default_config_static_selectorELNS0_4arch9wavefront6targetE0EEEvT1_,"axG",@progbits,_ZN7rocprim17ROCPRIM_400000_NS6detail17trampoline_kernelINS0_14default_configENS1_25partition_config_selectorILNS1_17partition_subalgoE9EllbEEZZNS1_14partition_implILS5_9ELb0ES3_jPlS8_PNS0_10empty_typeENS0_5tupleIJS8_S9_EEENSB_IJS8_SA_EEENS0_18inequality_wrapperIZN2at6native12_GLOBAL__N_124unique_dim_cuda_templateIiEESt5tupleIJNSF_6TensorESK_SK_EERKSK_lbbbEUlllE0_EEPmJS9_EEE10hipError_tPvRmT3_T4_T5_T6_T7_T9_mT8_P12ihipStream_tbDpT10_ENKUlT_T0_E_clISt17integral_constantIbLb1EES19_IbLb0EEEEDaS15_S16_EUlS15_E_NS1_11comp_targetILNS1_3genE2ELNS1_11target_archE906ELNS1_3gpuE6ELNS1_3repE0EEENS1_30default_config_static_selectorELNS0_4arch9wavefront6targetE0EEEvT1_,comdat
	.globl	_ZN7rocprim17ROCPRIM_400000_NS6detail17trampoline_kernelINS0_14default_configENS1_25partition_config_selectorILNS1_17partition_subalgoE9EllbEEZZNS1_14partition_implILS5_9ELb0ES3_jPlS8_PNS0_10empty_typeENS0_5tupleIJS8_S9_EEENSB_IJS8_SA_EEENS0_18inequality_wrapperIZN2at6native12_GLOBAL__N_124unique_dim_cuda_templateIiEESt5tupleIJNSF_6TensorESK_SK_EERKSK_lbbbEUlllE0_EEPmJS9_EEE10hipError_tPvRmT3_T4_T5_T6_T7_T9_mT8_P12ihipStream_tbDpT10_ENKUlT_T0_E_clISt17integral_constantIbLb1EES19_IbLb0EEEEDaS15_S16_EUlS15_E_NS1_11comp_targetILNS1_3genE2ELNS1_11target_archE906ELNS1_3gpuE6ELNS1_3repE0EEENS1_30default_config_static_selectorELNS0_4arch9wavefront6targetE0EEEvT1_ ; -- Begin function _ZN7rocprim17ROCPRIM_400000_NS6detail17trampoline_kernelINS0_14default_configENS1_25partition_config_selectorILNS1_17partition_subalgoE9EllbEEZZNS1_14partition_implILS5_9ELb0ES3_jPlS8_PNS0_10empty_typeENS0_5tupleIJS8_S9_EEENSB_IJS8_SA_EEENS0_18inequality_wrapperIZN2at6native12_GLOBAL__N_124unique_dim_cuda_templateIiEESt5tupleIJNSF_6TensorESK_SK_EERKSK_lbbbEUlllE0_EEPmJS9_EEE10hipError_tPvRmT3_T4_T5_T6_T7_T9_mT8_P12ihipStream_tbDpT10_ENKUlT_T0_E_clISt17integral_constantIbLb1EES19_IbLb0EEEEDaS15_S16_EUlS15_E_NS1_11comp_targetILNS1_3genE2ELNS1_11target_archE906ELNS1_3gpuE6ELNS1_3repE0EEENS1_30default_config_static_selectorELNS0_4arch9wavefront6targetE0EEEvT1_
	.p2align	8
	.type	_ZN7rocprim17ROCPRIM_400000_NS6detail17trampoline_kernelINS0_14default_configENS1_25partition_config_selectorILNS1_17partition_subalgoE9EllbEEZZNS1_14partition_implILS5_9ELb0ES3_jPlS8_PNS0_10empty_typeENS0_5tupleIJS8_S9_EEENSB_IJS8_SA_EEENS0_18inequality_wrapperIZN2at6native12_GLOBAL__N_124unique_dim_cuda_templateIiEESt5tupleIJNSF_6TensorESK_SK_EERKSK_lbbbEUlllE0_EEPmJS9_EEE10hipError_tPvRmT3_T4_T5_T6_T7_T9_mT8_P12ihipStream_tbDpT10_ENKUlT_T0_E_clISt17integral_constantIbLb1EES19_IbLb0EEEEDaS15_S16_EUlS15_E_NS1_11comp_targetILNS1_3genE2ELNS1_11target_archE906ELNS1_3gpuE6ELNS1_3repE0EEENS1_30default_config_static_selectorELNS0_4arch9wavefront6targetE0EEEvT1_,@function
_ZN7rocprim17ROCPRIM_400000_NS6detail17trampoline_kernelINS0_14default_configENS1_25partition_config_selectorILNS1_17partition_subalgoE9EllbEEZZNS1_14partition_implILS5_9ELb0ES3_jPlS8_PNS0_10empty_typeENS0_5tupleIJS8_S9_EEENSB_IJS8_SA_EEENS0_18inequality_wrapperIZN2at6native12_GLOBAL__N_124unique_dim_cuda_templateIiEESt5tupleIJNSF_6TensorESK_SK_EERKSK_lbbbEUlllE0_EEPmJS9_EEE10hipError_tPvRmT3_T4_T5_T6_T7_T9_mT8_P12ihipStream_tbDpT10_ENKUlT_T0_E_clISt17integral_constantIbLb1EES19_IbLb0EEEEDaS15_S16_EUlS15_E_NS1_11comp_targetILNS1_3genE2ELNS1_11target_archE906ELNS1_3gpuE6ELNS1_3repE0EEENS1_30default_config_static_selectorELNS0_4arch9wavefront6targetE0EEEvT1_: ; @_ZN7rocprim17ROCPRIM_400000_NS6detail17trampoline_kernelINS0_14default_configENS1_25partition_config_selectorILNS1_17partition_subalgoE9EllbEEZZNS1_14partition_implILS5_9ELb0ES3_jPlS8_PNS0_10empty_typeENS0_5tupleIJS8_S9_EEENSB_IJS8_SA_EEENS0_18inequality_wrapperIZN2at6native12_GLOBAL__N_124unique_dim_cuda_templateIiEESt5tupleIJNSF_6TensorESK_SK_EERKSK_lbbbEUlllE0_EEPmJS9_EEE10hipError_tPvRmT3_T4_T5_T6_T7_T9_mT8_P12ihipStream_tbDpT10_ENKUlT_T0_E_clISt17integral_constantIbLb1EES19_IbLb0EEEEDaS15_S16_EUlS15_E_NS1_11comp_targetILNS1_3genE2ELNS1_11target_archE906ELNS1_3gpuE6ELNS1_3repE0EEENS1_30default_config_static_selectorELNS0_4arch9wavefront6targetE0EEEvT1_
; %bb.0:
	.section	.rodata,"a",@progbits
	.p2align	6, 0x0
	.amdhsa_kernel _ZN7rocprim17ROCPRIM_400000_NS6detail17trampoline_kernelINS0_14default_configENS1_25partition_config_selectorILNS1_17partition_subalgoE9EllbEEZZNS1_14partition_implILS5_9ELb0ES3_jPlS8_PNS0_10empty_typeENS0_5tupleIJS8_S9_EEENSB_IJS8_SA_EEENS0_18inequality_wrapperIZN2at6native12_GLOBAL__N_124unique_dim_cuda_templateIiEESt5tupleIJNSF_6TensorESK_SK_EERKSK_lbbbEUlllE0_EEPmJS9_EEE10hipError_tPvRmT3_T4_T5_T6_T7_T9_mT8_P12ihipStream_tbDpT10_ENKUlT_T0_E_clISt17integral_constantIbLb1EES19_IbLb0EEEEDaS15_S16_EUlS15_E_NS1_11comp_targetILNS1_3genE2ELNS1_11target_archE906ELNS1_3gpuE6ELNS1_3repE0EEENS1_30default_config_static_selectorELNS0_4arch9wavefront6targetE0EEEvT1_
		.amdhsa_group_segment_fixed_size 0
		.amdhsa_private_segment_fixed_size 0
		.amdhsa_kernarg_size 120
		.amdhsa_user_sgpr_count 2
		.amdhsa_user_sgpr_dispatch_ptr 0
		.amdhsa_user_sgpr_queue_ptr 0
		.amdhsa_user_sgpr_kernarg_segment_ptr 1
		.amdhsa_user_sgpr_dispatch_id 0
		.amdhsa_user_sgpr_kernarg_preload_length 0
		.amdhsa_user_sgpr_kernarg_preload_offset 0
		.amdhsa_user_sgpr_private_segment_size 0
		.amdhsa_wavefront_size32 1
		.amdhsa_uses_dynamic_stack 0
		.amdhsa_enable_private_segment 0
		.amdhsa_system_sgpr_workgroup_id_x 1
		.amdhsa_system_sgpr_workgroup_id_y 0
		.amdhsa_system_sgpr_workgroup_id_z 0
		.amdhsa_system_sgpr_workgroup_info 0
		.amdhsa_system_vgpr_workitem_id 0
		.amdhsa_next_free_vgpr 1
		.amdhsa_next_free_sgpr 1
		.amdhsa_named_barrier_count 0
		.amdhsa_reserve_vcc 0
		.amdhsa_float_round_mode_32 0
		.amdhsa_float_round_mode_16_64 0
		.amdhsa_float_denorm_mode_32 3
		.amdhsa_float_denorm_mode_16_64 3
		.amdhsa_fp16_overflow 0
		.amdhsa_memory_ordered 1
		.amdhsa_forward_progress 1
		.amdhsa_inst_pref_size 0
		.amdhsa_round_robin_scheduling 0
		.amdhsa_exception_fp_ieee_invalid_op 0
		.amdhsa_exception_fp_denorm_src 0
		.amdhsa_exception_fp_ieee_div_zero 0
		.amdhsa_exception_fp_ieee_overflow 0
		.amdhsa_exception_fp_ieee_underflow 0
		.amdhsa_exception_fp_ieee_inexact 0
		.amdhsa_exception_int_div_zero 0
	.end_amdhsa_kernel
	.section	.text._ZN7rocprim17ROCPRIM_400000_NS6detail17trampoline_kernelINS0_14default_configENS1_25partition_config_selectorILNS1_17partition_subalgoE9EllbEEZZNS1_14partition_implILS5_9ELb0ES3_jPlS8_PNS0_10empty_typeENS0_5tupleIJS8_S9_EEENSB_IJS8_SA_EEENS0_18inequality_wrapperIZN2at6native12_GLOBAL__N_124unique_dim_cuda_templateIiEESt5tupleIJNSF_6TensorESK_SK_EERKSK_lbbbEUlllE0_EEPmJS9_EEE10hipError_tPvRmT3_T4_T5_T6_T7_T9_mT8_P12ihipStream_tbDpT10_ENKUlT_T0_E_clISt17integral_constantIbLb1EES19_IbLb0EEEEDaS15_S16_EUlS15_E_NS1_11comp_targetILNS1_3genE2ELNS1_11target_archE906ELNS1_3gpuE6ELNS1_3repE0EEENS1_30default_config_static_selectorELNS0_4arch9wavefront6targetE0EEEvT1_,"axG",@progbits,_ZN7rocprim17ROCPRIM_400000_NS6detail17trampoline_kernelINS0_14default_configENS1_25partition_config_selectorILNS1_17partition_subalgoE9EllbEEZZNS1_14partition_implILS5_9ELb0ES3_jPlS8_PNS0_10empty_typeENS0_5tupleIJS8_S9_EEENSB_IJS8_SA_EEENS0_18inequality_wrapperIZN2at6native12_GLOBAL__N_124unique_dim_cuda_templateIiEESt5tupleIJNSF_6TensorESK_SK_EERKSK_lbbbEUlllE0_EEPmJS9_EEE10hipError_tPvRmT3_T4_T5_T6_T7_T9_mT8_P12ihipStream_tbDpT10_ENKUlT_T0_E_clISt17integral_constantIbLb1EES19_IbLb0EEEEDaS15_S16_EUlS15_E_NS1_11comp_targetILNS1_3genE2ELNS1_11target_archE906ELNS1_3gpuE6ELNS1_3repE0EEENS1_30default_config_static_selectorELNS0_4arch9wavefront6targetE0EEEvT1_,comdat
.Lfunc_end493:
	.size	_ZN7rocprim17ROCPRIM_400000_NS6detail17trampoline_kernelINS0_14default_configENS1_25partition_config_selectorILNS1_17partition_subalgoE9EllbEEZZNS1_14partition_implILS5_9ELb0ES3_jPlS8_PNS0_10empty_typeENS0_5tupleIJS8_S9_EEENSB_IJS8_SA_EEENS0_18inequality_wrapperIZN2at6native12_GLOBAL__N_124unique_dim_cuda_templateIiEESt5tupleIJNSF_6TensorESK_SK_EERKSK_lbbbEUlllE0_EEPmJS9_EEE10hipError_tPvRmT3_T4_T5_T6_T7_T9_mT8_P12ihipStream_tbDpT10_ENKUlT_T0_E_clISt17integral_constantIbLb1EES19_IbLb0EEEEDaS15_S16_EUlS15_E_NS1_11comp_targetILNS1_3genE2ELNS1_11target_archE906ELNS1_3gpuE6ELNS1_3repE0EEENS1_30default_config_static_selectorELNS0_4arch9wavefront6targetE0EEEvT1_, .Lfunc_end493-_ZN7rocprim17ROCPRIM_400000_NS6detail17trampoline_kernelINS0_14default_configENS1_25partition_config_selectorILNS1_17partition_subalgoE9EllbEEZZNS1_14partition_implILS5_9ELb0ES3_jPlS8_PNS0_10empty_typeENS0_5tupleIJS8_S9_EEENSB_IJS8_SA_EEENS0_18inequality_wrapperIZN2at6native12_GLOBAL__N_124unique_dim_cuda_templateIiEESt5tupleIJNSF_6TensorESK_SK_EERKSK_lbbbEUlllE0_EEPmJS9_EEE10hipError_tPvRmT3_T4_T5_T6_T7_T9_mT8_P12ihipStream_tbDpT10_ENKUlT_T0_E_clISt17integral_constantIbLb1EES19_IbLb0EEEEDaS15_S16_EUlS15_E_NS1_11comp_targetILNS1_3genE2ELNS1_11target_archE906ELNS1_3gpuE6ELNS1_3repE0EEENS1_30default_config_static_selectorELNS0_4arch9wavefront6targetE0EEEvT1_
                                        ; -- End function
	.set _ZN7rocprim17ROCPRIM_400000_NS6detail17trampoline_kernelINS0_14default_configENS1_25partition_config_selectorILNS1_17partition_subalgoE9EllbEEZZNS1_14partition_implILS5_9ELb0ES3_jPlS8_PNS0_10empty_typeENS0_5tupleIJS8_S9_EEENSB_IJS8_SA_EEENS0_18inequality_wrapperIZN2at6native12_GLOBAL__N_124unique_dim_cuda_templateIiEESt5tupleIJNSF_6TensorESK_SK_EERKSK_lbbbEUlllE0_EEPmJS9_EEE10hipError_tPvRmT3_T4_T5_T6_T7_T9_mT8_P12ihipStream_tbDpT10_ENKUlT_T0_E_clISt17integral_constantIbLb1EES19_IbLb0EEEEDaS15_S16_EUlS15_E_NS1_11comp_targetILNS1_3genE2ELNS1_11target_archE906ELNS1_3gpuE6ELNS1_3repE0EEENS1_30default_config_static_selectorELNS0_4arch9wavefront6targetE0EEEvT1_.num_vgpr, 0
	.set _ZN7rocprim17ROCPRIM_400000_NS6detail17trampoline_kernelINS0_14default_configENS1_25partition_config_selectorILNS1_17partition_subalgoE9EllbEEZZNS1_14partition_implILS5_9ELb0ES3_jPlS8_PNS0_10empty_typeENS0_5tupleIJS8_S9_EEENSB_IJS8_SA_EEENS0_18inequality_wrapperIZN2at6native12_GLOBAL__N_124unique_dim_cuda_templateIiEESt5tupleIJNSF_6TensorESK_SK_EERKSK_lbbbEUlllE0_EEPmJS9_EEE10hipError_tPvRmT3_T4_T5_T6_T7_T9_mT8_P12ihipStream_tbDpT10_ENKUlT_T0_E_clISt17integral_constantIbLb1EES19_IbLb0EEEEDaS15_S16_EUlS15_E_NS1_11comp_targetILNS1_3genE2ELNS1_11target_archE906ELNS1_3gpuE6ELNS1_3repE0EEENS1_30default_config_static_selectorELNS0_4arch9wavefront6targetE0EEEvT1_.num_agpr, 0
	.set _ZN7rocprim17ROCPRIM_400000_NS6detail17trampoline_kernelINS0_14default_configENS1_25partition_config_selectorILNS1_17partition_subalgoE9EllbEEZZNS1_14partition_implILS5_9ELb0ES3_jPlS8_PNS0_10empty_typeENS0_5tupleIJS8_S9_EEENSB_IJS8_SA_EEENS0_18inequality_wrapperIZN2at6native12_GLOBAL__N_124unique_dim_cuda_templateIiEESt5tupleIJNSF_6TensorESK_SK_EERKSK_lbbbEUlllE0_EEPmJS9_EEE10hipError_tPvRmT3_T4_T5_T6_T7_T9_mT8_P12ihipStream_tbDpT10_ENKUlT_T0_E_clISt17integral_constantIbLb1EES19_IbLb0EEEEDaS15_S16_EUlS15_E_NS1_11comp_targetILNS1_3genE2ELNS1_11target_archE906ELNS1_3gpuE6ELNS1_3repE0EEENS1_30default_config_static_selectorELNS0_4arch9wavefront6targetE0EEEvT1_.numbered_sgpr, 0
	.set _ZN7rocprim17ROCPRIM_400000_NS6detail17trampoline_kernelINS0_14default_configENS1_25partition_config_selectorILNS1_17partition_subalgoE9EllbEEZZNS1_14partition_implILS5_9ELb0ES3_jPlS8_PNS0_10empty_typeENS0_5tupleIJS8_S9_EEENSB_IJS8_SA_EEENS0_18inequality_wrapperIZN2at6native12_GLOBAL__N_124unique_dim_cuda_templateIiEESt5tupleIJNSF_6TensorESK_SK_EERKSK_lbbbEUlllE0_EEPmJS9_EEE10hipError_tPvRmT3_T4_T5_T6_T7_T9_mT8_P12ihipStream_tbDpT10_ENKUlT_T0_E_clISt17integral_constantIbLb1EES19_IbLb0EEEEDaS15_S16_EUlS15_E_NS1_11comp_targetILNS1_3genE2ELNS1_11target_archE906ELNS1_3gpuE6ELNS1_3repE0EEENS1_30default_config_static_selectorELNS0_4arch9wavefront6targetE0EEEvT1_.num_named_barrier, 0
	.set _ZN7rocprim17ROCPRIM_400000_NS6detail17trampoline_kernelINS0_14default_configENS1_25partition_config_selectorILNS1_17partition_subalgoE9EllbEEZZNS1_14partition_implILS5_9ELb0ES3_jPlS8_PNS0_10empty_typeENS0_5tupleIJS8_S9_EEENSB_IJS8_SA_EEENS0_18inequality_wrapperIZN2at6native12_GLOBAL__N_124unique_dim_cuda_templateIiEESt5tupleIJNSF_6TensorESK_SK_EERKSK_lbbbEUlllE0_EEPmJS9_EEE10hipError_tPvRmT3_T4_T5_T6_T7_T9_mT8_P12ihipStream_tbDpT10_ENKUlT_T0_E_clISt17integral_constantIbLb1EES19_IbLb0EEEEDaS15_S16_EUlS15_E_NS1_11comp_targetILNS1_3genE2ELNS1_11target_archE906ELNS1_3gpuE6ELNS1_3repE0EEENS1_30default_config_static_selectorELNS0_4arch9wavefront6targetE0EEEvT1_.private_seg_size, 0
	.set _ZN7rocprim17ROCPRIM_400000_NS6detail17trampoline_kernelINS0_14default_configENS1_25partition_config_selectorILNS1_17partition_subalgoE9EllbEEZZNS1_14partition_implILS5_9ELb0ES3_jPlS8_PNS0_10empty_typeENS0_5tupleIJS8_S9_EEENSB_IJS8_SA_EEENS0_18inequality_wrapperIZN2at6native12_GLOBAL__N_124unique_dim_cuda_templateIiEESt5tupleIJNSF_6TensorESK_SK_EERKSK_lbbbEUlllE0_EEPmJS9_EEE10hipError_tPvRmT3_T4_T5_T6_T7_T9_mT8_P12ihipStream_tbDpT10_ENKUlT_T0_E_clISt17integral_constantIbLb1EES19_IbLb0EEEEDaS15_S16_EUlS15_E_NS1_11comp_targetILNS1_3genE2ELNS1_11target_archE906ELNS1_3gpuE6ELNS1_3repE0EEENS1_30default_config_static_selectorELNS0_4arch9wavefront6targetE0EEEvT1_.uses_vcc, 0
	.set _ZN7rocprim17ROCPRIM_400000_NS6detail17trampoline_kernelINS0_14default_configENS1_25partition_config_selectorILNS1_17partition_subalgoE9EllbEEZZNS1_14partition_implILS5_9ELb0ES3_jPlS8_PNS0_10empty_typeENS0_5tupleIJS8_S9_EEENSB_IJS8_SA_EEENS0_18inequality_wrapperIZN2at6native12_GLOBAL__N_124unique_dim_cuda_templateIiEESt5tupleIJNSF_6TensorESK_SK_EERKSK_lbbbEUlllE0_EEPmJS9_EEE10hipError_tPvRmT3_T4_T5_T6_T7_T9_mT8_P12ihipStream_tbDpT10_ENKUlT_T0_E_clISt17integral_constantIbLb1EES19_IbLb0EEEEDaS15_S16_EUlS15_E_NS1_11comp_targetILNS1_3genE2ELNS1_11target_archE906ELNS1_3gpuE6ELNS1_3repE0EEENS1_30default_config_static_selectorELNS0_4arch9wavefront6targetE0EEEvT1_.uses_flat_scratch, 0
	.set _ZN7rocprim17ROCPRIM_400000_NS6detail17trampoline_kernelINS0_14default_configENS1_25partition_config_selectorILNS1_17partition_subalgoE9EllbEEZZNS1_14partition_implILS5_9ELb0ES3_jPlS8_PNS0_10empty_typeENS0_5tupleIJS8_S9_EEENSB_IJS8_SA_EEENS0_18inequality_wrapperIZN2at6native12_GLOBAL__N_124unique_dim_cuda_templateIiEESt5tupleIJNSF_6TensorESK_SK_EERKSK_lbbbEUlllE0_EEPmJS9_EEE10hipError_tPvRmT3_T4_T5_T6_T7_T9_mT8_P12ihipStream_tbDpT10_ENKUlT_T0_E_clISt17integral_constantIbLb1EES19_IbLb0EEEEDaS15_S16_EUlS15_E_NS1_11comp_targetILNS1_3genE2ELNS1_11target_archE906ELNS1_3gpuE6ELNS1_3repE0EEENS1_30default_config_static_selectorELNS0_4arch9wavefront6targetE0EEEvT1_.has_dyn_sized_stack, 0
	.set _ZN7rocprim17ROCPRIM_400000_NS6detail17trampoline_kernelINS0_14default_configENS1_25partition_config_selectorILNS1_17partition_subalgoE9EllbEEZZNS1_14partition_implILS5_9ELb0ES3_jPlS8_PNS0_10empty_typeENS0_5tupleIJS8_S9_EEENSB_IJS8_SA_EEENS0_18inequality_wrapperIZN2at6native12_GLOBAL__N_124unique_dim_cuda_templateIiEESt5tupleIJNSF_6TensorESK_SK_EERKSK_lbbbEUlllE0_EEPmJS9_EEE10hipError_tPvRmT3_T4_T5_T6_T7_T9_mT8_P12ihipStream_tbDpT10_ENKUlT_T0_E_clISt17integral_constantIbLb1EES19_IbLb0EEEEDaS15_S16_EUlS15_E_NS1_11comp_targetILNS1_3genE2ELNS1_11target_archE906ELNS1_3gpuE6ELNS1_3repE0EEENS1_30default_config_static_selectorELNS0_4arch9wavefront6targetE0EEEvT1_.has_recursion, 0
	.set _ZN7rocprim17ROCPRIM_400000_NS6detail17trampoline_kernelINS0_14default_configENS1_25partition_config_selectorILNS1_17partition_subalgoE9EllbEEZZNS1_14partition_implILS5_9ELb0ES3_jPlS8_PNS0_10empty_typeENS0_5tupleIJS8_S9_EEENSB_IJS8_SA_EEENS0_18inequality_wrapperIZN2at6native12_GLOBAL__N_124unique_dim_cuda_templateIiEESt5tupleIJNSF_6TensorESK_SK_EERKSK_lbbbEUlllE0_EEPmJS9_EEE10hipError_tPvRmT3_T4_T5_T6_T7_T9_mT8_P12ihipStream_tbDpT10_ENKUlT_T0_E_clISt17integral_constantIbLb1EES19_IbLb0EEEEDaS15_S16_EUlS15_E_NS1_11comp_targetILNS1_3genE2ELNS1_11target_archE906ELNS1_3gpuE6ELNS1_3repE0EEENS1_30default_config_static_selectorELNS0_4arch9wavefront6targetE0EEEvT1_.has_indirect_call, 0
	.section	.AMDGPU.csdata,"",@progbits
; Kernel info:
; codeLenInByte = 0
; TotalNumSgprs: 0
; NumVgprs: 0
; ScratchSize: 0
; MemoryBound: 0
; FloatMode: 240
; IeeeMode: 1
; LDSByteSize: 0 bytes/workgroup (compile time only)
; SGPRBlocks: 0
; VGPRBlocks: 0
; NumSGPRsForWavesPerEU: 1
; NumVGPRsForWavesPerEU: 1
; NamedBarCnt: 0
; Occupancy: 16
; WaveLimiterHint : 0
; COMPUTE_PGM_RSRC2:SCRATCH_EN: 0
; COMPUTE_PGM_RSRC2:USER_SGPR: 2
; COMPUTE_PGM_RSRC2:TRAP_HANDLER: 0
; COMPUTE_PGM_RSRC2:TGID_X_EN: 1
; COMPUTE_PGM_RSRC2:TGID_Y_EN: 0
; COMPUTE_PGM_RSRC2:TGID_Z_EN: 0
; COMPUTE_PGM_RSRC2:TIDIG_COMP_CNT: 0
	.section	.text._ZN7rocprim17ROCPRIM_400000_NS6detail17trampoline_kernelINS0_14default_configENS1_25partition_config_selectorILNS1_17partition_subalgoE9EllbEEZZNS1_14partition_implILS5_9ELb0ES3_jPlS8_PNS0_10empty_typeENS0_5tupleIJS8_S9_EEENSB_IJS8_SA_EEENS0_18inequality_wrapperIZN2at6native12_GLOBAL__N_124unique_dim_cuda_templateIiEESt5tupleIJNSF_6TensorESK_SK_EERKSK_lbbbEUlllE0_EEPmJS9_EEE10hipError_tPvRmT3_T4_T5_T6_T7_T9_mT8_P12ihipStream_tbDpT10_ENKUlT_T0_E_clISt17integral_constantIbLb1EES19_IbLb0EEEEDaS15_S16_EUlS15_E_NS1_11comp_targetILNS1_3genE10ELNS1_11target_archE1200ELNS1_3gpuE4ELNS1_3repE0EEENS1_30default_config_static_selectorELNS0_4arch9wavefront6targetE0EEEvT1_,"axG",@progbits,_ZN7rocprim17ROCPRIM_400000_NS6detail17trampoline_kernelINS0_14default_configENS1_25partition_config_selectorILNS1_17partition_subalgoE9EllbEEZZNS1_14partition_implILS5_9ELb0ES3_jPlS8_PNS0_10empty_typeENS0_5tupleIJS8_S9_EEENSB_IJS8_SA_EEENS0_18inequality_wrapperIZN2at6native12_GLOBAL__N_124unique_dim_cuda_templateIiEESt5tupleIJNSF_6TensorESK_SK_EERKSK_lbbbEUlllE0_EEPmJS9_EEE10hipError_tPvRmT3_T4_T5_T6_T7_T9_mT8_P12ihipStream_tbDpT10_ENKUlT_T0_E_clISt17integral_constantIbLb1EES19_IbLb0EEEEDaS15_S16_EUlS15_E_NS1_11comp_targetILNS1_3genE10ELNS1_11target_archE1200ELNS1_3gpuE4ELNS1_3repE0EEENS1_30default_config_static_selectorELNS0_4arch9wavefront6targetE0EEEvT1_,comdat
	.globl	_ZN7rocprim17ROCPRIM_400000_NS6detail17trampoline_kernelINS0_14default_configENS1_25partition_config_selectorILNS1_17partition_subalgoE9EllbEEZZNS1_14partition_implILS5_9ELb0ES3_jPlS8_PNS0_10empty_typeENS0_5tupleIJS8_S9_EEENSB_IJS8_SA_EEENS0_18inequality_wrapperIZN2at6native12_GLOBAL__N_124unique_dim_cuda_templateIiEESt5tupleIJNSF_6TensorESK_SK_EERKSK_lbbbEUlllE0_EEPmJS9_EEE10hipError_tPvRmT3_T4_T5_T6_T7_T9_mT8_P12ihipStream_tbDpT10_ENKUlT_T0_E_clISt17integral_constantIbLb1EES19_IbLb0EEEEDaS15_S16_EUlS15_E_NS1_11comp_targetILNS1_3genE10ELNS1_11target_archE1200ELNS1_3gpuE4ELNS1_3repE0EEENS1_30default_config_static_selectorELNS0_4arch9wavefront6targetE0EEEvT1_ ; -- Begin function _ZN7rocprim17ROCPRIM_400000_NS6detail17trampoline_kernelINS0_14default_configENS1_25partition_config_selectorILNS1_17partition_subalgoE9EllbEEZZNS1_14partition_implILS5_9ELb0ES3_jPlS8_PNS0_10empty_typeENS0_5tupleIJS8_S9_EEENSB_IJS8_SA_EEENS0_18inequality_wrapperIZN2at6native12_GLOBAL__N_124unique_dim_cuda_templateIiEESt5tupleIJNSF_6TensorESK_SK_EERKSK_lbbbEUlllE0_EEPmJS9_EEE10hipError_tPvRmT3_T4_T5_T6_T7_T9_mT8_P12ihipStream_tbDpT10_ENKUlT_T0_E_clISt17integral_constantIbLb1EES19_IbLb0EEEEDaS15_S16_EUlS15_E_NS1_11comp_targetILNS1_3genE10ELNS1_11target_archE1200ELNS1_3gpuE4ELNS1_3repE0EEENS1_30default_config_static_selectorELNS0_4arch9wavefront6targetE0EEEvT1_
	.p2align	8
	.type	_ZN7rocprim17ROCPRIM_400000_NS6detail17trampoline_kernelINS0_14default_configENS1_25partition_config_selectorILNS1_17partition_subalgoE9EllbEEZZNS1_14partition_implILS5_9ELb0ES3_jPlS8_PNS0_10empty_typeENS0_5tupleIJS8_S9_EEENSB_IJS8_SA_EEENS0_18inequality_wrapperIZN2at6native12_GLOBAL__N_124unique_dim_cuda_templateIiEESt5tupleIJNSF_6TensorESK_SK_EERKSK_lbbbEUlllE0_EEPmJS9_EEE10hipError_tPvRmT3_T4_T5_T6_T7_T9_mT8_P12ihipStream_tbDpT10_ENKUlT_T0_E_clISt17integral_constantIbLb1EES19_IbLb0EEEEDaS15_S16_EUlS15_E_NS1_11comp_targetILNS1_3genE10ELNS1_11target_archE1200ELNS1_3gpuE4ELNS1_3repE0EEENS1_30default_config_static_selectorELNS0_4arch9wavefront6targetE0EEEvT1_,@function
_ZN7rocprim17ROCPRIM_400000_NS6detail17trampoline_kernelINS0_14default_configENS1_25partition_config_selectorILNS1_17partition_subalgoE9EllbEEZZNS1_14partition_implILS5_9ELb0ES3_jPlS8_PNS0_10empty_typeENS0_5tupleIJS8_S9_EEENSB_IJS8_SA_EEENS0_18inequality_wrapperIZN2at6native12_GLOBAL__N_124unique_dim_cuda_templateIiEESt5tupleIJNSF_6TensorESK_SK_EERKSK_lbbbEUlllE0_EEPmJS9_EEE10hipError_tPvRmT3_T4_T5_T6_T7_T9_mT8_P12ihipStream_tbDpT10_ENKUlT_T0_E_clISt17integral_constantIbLb1EES19_IbLb0EEEEDaS15_S16_EUlS15_E_NS1_11comp_targetILNS1_3genE10ELNS1_11target_archE1200ELNS1_3gpuE4ELNS1_3repE0EEENS1_30default_config_static_selectorELNS0_4arch9wavefront6targetE0EEEvT1_: ; @_ZN7rocprim17ROCPRIM_400000_NS6detail17trampoline_kernelINS0_14default_configENS1_25partition_config_selectorILNS1_17partition_subalgoE9EllbEEZZNS1_14partition_implILS5_9ELb0ES3_jPlS8_PNS0_10empty_typeENS0_5tupleIJS8_S9_EEENSB_IJS8_SA_EEENS0_18inequality_wrapperIZN2at6native12_GLOBAL__N_124unique_dim_cuda_templateIiEESt5tupleIJNSF_6TensorESK_SK_EERKSK_lbbbEUlllE0_EEPmJS9_EEE10hipError_tPvRmT3_T4_T5_T6_T7_T9_mT8_P12ihipStream_tbDpT10_ENKUlT_T0_E_clISt17integral_constantIbLb1EES19_IbLb0EEEEDaS15_S16_EUlS15_E_NS1_11comp_targetILNS1_3genE10ELNS1_11target_archE1200ELNS1_3gpuE4ELNS1_3repE0EEENS1_30default_config_static_selectorELNS0_4arch9wavefront6targetE0EEEvT1_
; %bb.0:
	.section	.rodata,"a",@progbits
	.p2align	6, 0x0
	.amdhsa_kernel _ZN7rocprim17ROCPRIM_400000_NS6detail17trampoline_kernelINS0_14default_configENS1_25partition_config_selectorILNS1_17partition_subalgoE9EllbEEZZNS1_14partition_implILS5_9ELb0ES3_jPlS8_PNS0_10empty_typeENS0_5tupleIJS8_S9_EEENSB_IJS8_SA_EEENS0_18inequality_wrapperIZN2at6native12_GLOBAL__N_124unique_dim_cuda_templateIiEESt5tupleIJNSF_6TensorESK_SK_EERKSK_lbbbEUlllE0_EEPmJS9_EEE10hipError_tPvRmT3_T4_T5_T6_T7_T9_mT8_P12ihipStream_tbDpT10_ENKUlT_T0_E_clISt17integral_constantIbLb1EES19_IbLb0EEEEDaS15_S16_EUlS15_E_NS1_11comp_targetILNS1_3genE10ELNS1_11target_archE1200ELNS1_3gpuE4ELNS1_3repE0EEENS1_30default_config_static_selectorELNS0_4arch9wavefront6targetE0EEEvT1_
		.amdhsa_group_segment_fixed_size 0
		.amdhsa_private_segment_fixed_size 0
		.amdhsa_kernarg_size 120
		.amdhsa_user_sgpr_count 2
		.amdhsa_user_sgpr_dispatch_ptr 0
		.amdhsa_user_sgpr_queue_ptr 0
		.amdhsa_user_sgpr_kernarg_segment_ptr 1
		.amdhsa_user_sgpr_dispatch_id 0
		.amdhsa_user_sgpr_kernarg_preload_length 0
		.amdhsa_user_sgpr_kernarg_preload_offset 0
		.amdhsa_user_sgpr_private_segment_size 0
		.amdhsa_wavefront_size32 1
		.amdhsa_uses_dynamic_stack 0
		.amdhsa_enable_private_segment 0
		.amdhsa_system_sgpr_workgroup_id_x 1
		.amdhsa_system_sgpr_workgroup_id_y 0
		.amdhsa_system_sgpr_workgroup_id_z 0
		.amdhsa_system_sgpr_workgroup_info 0
		.amdhsa_system_vgpr_workitem_id 0
		.amdhsa_next_free_vgpr 1
		.amdhsa_next_free_sgpr 1
		.amdhsa_named_barrier_count 0
		.amdhsa_reserve_vcc 0
		.amdhsa_float_round_mode_32 0
		.amdhsa_float_round_mode_16_64 0
		.amdhsa_float_denorm_mode_32 3
		.amdhsa_float_denorm_mode_16_64 3
		.amdhsa_fp16_overflow 0
		.amdhsa_memory_ordered 1
		.amdhsa_forward_progress 1
		.amdhsa_inst_pref_size 0
		.amdhsa_round_robin_scheduling 0
		.amdhsa_exception_fp_ieee_invalid_op 0
		.amdhsa_exception_fp_denorm_src 0
		.amdhsa_exception_fp_ieee_div_zero 0
		.amdhsa_exception_fp_ieee_overflow 0
		.amdhsa_exception_fp_ieee_underflow 0
		.amdhsa_exception_fp_ieee_inexact 0
		.amdhsa_exception_int_div_zero 0
	.end_amdhsa_kernel
	.section	.text._ZN7rocprim17ROCPRIM_400000_NS6detail17trampoline_kernelINS0_14default_configENS1_25partition_config_selectorILNS1_17partition_subalgoE9EllbEEZZNS1_14partition_implILS5_9ELb0ES3_jPlS8_PNS0_10empty_typeENS0_5tupleIJS8_S9_EEENSB_IJS8_SA_EEENS0_18inequality_wrapperIZN2at6native12_GLOBAL__N_124unique_dim_cuda_templateIiEESt5tupleIJNSF_6TensorESK_SK_EERKSK_lbbbEUlllE0_EEPmJS9_EEE10hipError_tPvRmT3_T4_T5_T6_T7_T9_mT8_P12ihipStream_tbDpT10_ENKUlT_T0_E_clISt17integral_constantIbLb1EES19_IbLb0EEEEDaS15_S16_EUlS15_E_NS1_11comp_targetILNS1_3genE10ELNS1_11target_archE1200ELNS1_3gpuE4ELNS1_3repE0EEENS1_30default_config_static_selectorELNS0_4arch9wavefront6targetE0EEEvT1_,"axG",@progbits,_ZN7rocprim17ROCPRIM_400000_NS6detail17trampoline_kernelINS0_14default_configENS1_25partition_config_selectorILNS1_17partition_subalgoE9EllbEEZZNS1_14partition_implILS5_9ELb0ES3_jPlS8_PNS0_10empty_typeENS0_5tupleIJS8_S9_EEENSB_IJS8_SA_EEENS0_18inequality_wrapperIZN2at6native12_GLOBAL__N_124unique_dim_cuda_templateIiEESt5tupleIJNSF_6TensorESK_SK_EERKSK_lbbbEUlllE0_EEPmJS9_EEE10hipError_tPvRmT3_T4_T5_T6_T7_T9_mT8_P12ihipStream_tbDpT10_ENKUlT_T0_E_clISt17integral_constantIbLb1EES19_IbLb0EEEEDaS15_S16_EUlS15_E_NS1_11comp_targetILNS1_3genE10ELNS1_11target_archE1200ELNS1_3gpuE4ELNS1_3repE0EEENS1_30default_config_static_selectorELNS0_4arch9wavefront6targetE0EEEvT1_,comdat
.Lfunc_end494:
	.size	_ZN7rocprim17ROCPRIM_400000_NS6detail17trampoline_kernelINS0_14default_configENS1_25partition_config_selectorILNS1_17partition_subalgoE9EllbEEZZNS1_14partition_implILS5_9ELb0ES3_jPlS8_PNS0_10empty_typeENS0_5tupleIJS8_S9_EEENSB_IJS8_SA_EEENS0_18inequality_wrapperIZN2at6native12_GLOBAL__N_124unique_dim_cuda_templateIiEESt5tupleIJNSF_6TensorESK_SK_EERKSK_lbbbEUlllE0_EEPmJS9_EEE10hipError_tPvRmT3_T4_T5_T6_T7_T9_mT8_P12ihipStream_tbDpT10_ENKUlT_T0_E_clISt17integral_constantIbLb1EES19_IbLb0EEEEDaS15_S16_EUlS15_E_NS1_11comp_targetILNS1_3genE10ELNS1_11target_archE1200ELNS1_3gpuE4ELNS1_3repE0EEENS1_30default_config_static_selectorELNS0_4arch9wavefront6targetE0EEEvT1_, .Lfunc_end494-_ZN7rocprim17ROCPRIM_400000_NS6detail17trampoline_kernelINS0_14default_configENS1_25partition_config_selectorILNS1_17partition_subalgoE9EllbEEZZNS1_14partition_implILS5_9ELb0ES3_jPlS8_PNS0_10empty_typeENS0_5tupleIJS8_S9_EEENSB_IJS8_SA_EEENS0_18inequality_wrapperIZN2at6native12_GLOBAL__N_124unique_dim_cuda_templateIiEESt5tupleIJNSF_6TensorESK_SK_EERKSK_lbbbEUlllE0_EEPmJS9_EEE10hipError_tPvRmT3_T4_T5_T6_T7_T9_mT8_P12ihipStream_tbDpT10_ENKUlT_T0_E_clISt17integral_constantIbLb1EES19_IbLb0EEEEDaS15_S16_EUlS15_E_NS1_11comp_targetILNS1_3genE10ELNS1_11target_archE1200ELNS1_3gpuE4ELNS1_3repE0EEENS1_30default_config_static_selectorELNS0_4arch9wavefront6targetE0EEEvT1_
                                        ; -- End function
	.set _ZN7rocprim17ROCPRIM_400000_NS6detail17trampoline_kernelINS0_14default_configENS1_25partition_config_selectorILNS1_17partition_subalgoE9EllbEEZZNS1_14partition_implILS5_9ELb0ES3_jPlS8_PNS0_10empty_typeENS0_5tupleIJS8_S9_EEENSB_IJS8_SA_EEENS0_18inequality_wrapperIZN2at6native12_GLOBAL__N_124unique_dim_cuda_templateIiEESt5tupleIJNSF_6TensorESK_SK_EERKSK_lbbbEUlllE0_EEPmJS9_EEE10hipError_tPvRmT3_T4_T5_T6_T7_T9_mT8_P12ihipStream_tbDpT10_ENKUlT_T0_E_clISt17integral_constantIbLb1EES19_IbLb0EEEEDaS15_S16_EUlS15_E_NS1_11comp_targetILNS1_3genE10ELNS1_11target_archE1200ELNS1_3gpuE4ELNS1_3repE0EEENS1_30default_config_static_selectorELNS0_4arch9wavefront6targetE0EEEvT1_.num_vgpr, 0
	.set _ZN7rocprim17ROCPRIM_400000_NS6detail17trampoline_kernelINS0_14default_configENS1_25partition_config_selectorILNS1_17partition_subalgoE9EllbEEZZNS1_14partition_implILS5_9ELb0ES3_jPlS8_PNS0_10empty_typeENS0_5tupleIJS8_S9_EEENSB_IJS8_SA_EEENS0_18inequality_wrapperIZN2at6native12_GLOBAL__N_124unique_dim_cuda_templateIiEESt5tupleIJNSF_6TensorESK_SK_EERKSK_lbbbEUlllE0_EEPmJS9_EEE10hipError_tPvRmT3_T4_T5_T6_T7_T9_mT8_P12ihipStream_tbDpT10_ENKUlT_T0_E_clISt17integral_constantIbLb1EES19_IbLb0EEEEDaS15_S16_EUlS15_E_NS1_11comp_targetILNS1_3genE10ELNS1_11target_archE1200ELNS1_3gpuE4ELNS1_3repE0EEENS1_30default_config_static_selectorELNS0_4arch9wavefront6targetE0EEEvT1_.num_agpr, 0
	.set _ZN7rocprim17ROCPRIM_400000_NS6detail17trampoline_kernelINS0_14default_configENS1_25partition_config_selectorILNS1_17partition_subalgoE9EllbEEZZNS1_14partition_implILS5_9ELb0ES3_jPlS8_PNS0_10empty_typeENS0_5tupleIJS8_S9_EEENSB_IJS8_SA_EEENS0_18inequality_wrapperIZN2at6native12_GLOBAL__N_124unique_dim_cuda_templateIiEESt5tupleIJNSF_6TensorESK_SK_EERKSK_lbbbEUlllE0_EEPmJS9_EEE10hipError_tPvRmT3_T4_T5_T6_T7_T9_mT8_P12ihipStream_tbDpT10_ENKUlT_T0_E_clISt17integral_constantIbLb1EES19_IbLb0EEEEDaS15_S16_EUlS15_E_NS1_11comp_targetILNS1_3genE10ELNS1_11target_archE1200ELNS1_3gpuE4ELNS1_3repE0EEENS1_30default_config_static_selectorELNS0_4arch9wavefront6targetE0EEEvT1_.numbered_sgpr, 0
	.set _ZN7rocprim17ROCPRIM_400000_NS6detail17trampoline_kernelINS0_14default_configENS1_25partition_config_selectorILNS1_17partition_subalgoE9EllbEEZZNS1_14partition_implILS5_9ELb0ES3_jPlS8_PNS0_10empty_typeENS0_5tupleIJS8_S9_EEENSB_IJS8_SA_EEENS0_18inequality_wrapperIZN2at6native12_GLOBAL__N_124unique_dim_cuda_templateIiEESt5tupleIJNSF_6TensorESK_SK_EERKSK_lbbbEUlllE0_EEPmJS9_EEE10hipError_tPvRmT3_T4_T5_T6_T7_T9_mT8_P12ihipStream_tbDpT10_ENKUlT_T0_E_clISt17integral_constantIbLb1EES19_IbLb0EEEEDaS15_S16_EUlS15_E_NS1_11comp_targetILNS1_3genE10ELNS1_11target_archE1200ELNS1_3gpuE4ELNS1_3repE0EEENS1_30default_config_static_selectorELNS0_4arch9wavefront6targetE0EEEvT1_.num_named_barrier, 0
	.set _ZN7rocprim17ROCPRIM_400000_NS6detail17trampoline_kernelINS0_14default_configENS1_25partition_config_selectorILNS1_17partition_subalgoE9EllbEEZZNS1_14partition_implILS5_9ELb0ES3_jPlS8_PNS0_10empty_typeENS0_5tupleIJS8_S9_EEENSB_IJS8_SA_EEENS0_18inequality_wrapperIZN2at6native12_GLOBAL__N_124unique_dim_cuda_templateIiEESt5tupleIJNSF_6TensorESK_SK_EERKSK_lbbbEUlllE0_EEPmJS9_EEE10hipError_tPvRmT3_T4_T5_T6_T7_T9_mT8_P12ihipStream_tbDpT10_ENKUlT_T0_E_clISt17integral_constantIbLb1EES19_IbLb0EEEEDaS15_S16_EUlS15_E_NS1_11comp_targetILNS1_3genE10ELNS1_11target_archE1200ELNS1_3gpuE4ELNS1_3repE0EEENS1_30default_config_static_selectorELNS0_4arch9wavefront6targetE0EEEvT1_.private_seg_size, 0
	.set _ZN7rocprim17ROCPRIM_400000_NS6detail17trampoline_kernelINS0_14default_configENS1_25partition_config_selectorILNS1_17partition_subalgoE9EllbEEZZNS1_14partition_implILS5_9ELb0ES3_jPlS8_PNS0_10empty_typeENS0_5tupleIJS8_S9_EEENSB_IJS8_SA_EEENS0_18inequality_wrapperIZN2at6native12_GLOBAL__N_124unique_dim_cuda_templateIiEESt5tupleIJNSF_6TensorESK_SK_EERKSK_lbbbEUlllE0_EEPmJS9_EEE10hipError_tPvRmT3_T4_T5_T6_T7_T9_mT8_P12ihipStream_tbDpT10_ENKUlT_T0_E_clISt17integral_constantIbLb1EES19_IbLb0EEEEDaS15_S16_EUlS15_E_NS1_11comp_targetILNS1_3genE10ELNS1_11target_archE1200ELNS1_3gpuE4ELNS1_3repE0EEENS1_30default_config_static_selectorELNS0_4arch9wavefront6targetE0EEEvT1_.uses_vcc, 0
	.set _ZN7rocprim17ROCPRIM_400000_NS6detail17trampoline_kernelINS0_14default_configENS1_25partition_config_selectorILNS1_17partition_subalgoE9EllbEEZZNS1_14partition_implILS5_9ELb0ES3_jPlS8_PNS0_10empty_typeENS0_5tupleIJS8_S9_EEENSB_IJS8_SA_EEENS0_18inequality_wrapperIZN2at6native12_GLOBAL__N_124unique_dim_cuda_templateIiEESt5tupleIJNSF_6TensorESK_SK_EERKSK_lbbbEUlllE0_EEPmJS9_EEE10hipError_tPvRmT3_T4_T5_T6_T7_T9_mT8_P12ihipStream_tbDpT10_ENKUlT_T0_E_clISt17integral_constantIbLb1EES19_IbLb0EEEEDaS15_S16_EUlS15_E_NS1_11comp_targetILNS1_3genE10ELNS1_11target_archE1200ELNS1_3gpuE4ELNS1_3repE0EEENS1_30default_config_static_selectorELNS0_4arch9wavefront6targetE0EEEvT1_.uses_flat_scratch, 0
	.set _ZN7rocprim17ROCPRIM_400000_NS6detail17trampoline_kernelINS0_14default_configENS1_25partition_config_selectorILNS1_17partition_subalgoE9EllbEEZZNS1_14partition_implILS5_9ELb0ES3_jPlS8_PNS0_10empty_typeENS0_5tupleIJS8_S9_EEENSB_IJS8_SA_EEENS0_18inequality_wrapperIZN2at6native12_GLOBAL__N_124unique_dim_cuda_templateIiEESt5tupleIJNSF_6TensorESK_SK_EERKSK_lbbbEUlllE0_EEPmJS9_EEE10hipError_tPvRmT3_T4_T5_T6_T7_T9_mT8_P12ihipStream_tbDpT10_ENKUlT_T0_E_clISt17integral_constantIbLb1EES19_IbLb0EEEEDaS15_S16_EUlS15_E_NS1_11comp_targetILNS1_3genE10ELNS1_11target_archE1200ELNS1_3gpuE4ELNS1_3repE0EEENS1_30default_config_static_selectorELNS0_4arch9wavefront6targetE0EEEvT1_.has_dyn_sized_stack, 0
	.set _ZN7rocprim17ROCPRIM_400000_NS6detail17trampoline_kernelINS0_14default_configENS1_25partition_config_selectorILNS1_17partition_subalgoE9EllbEEZZNS1_14partition_implILS5_9ELb0ES3_jPlS8_PNS0_10empty_typeENS0_5tupleIJS8_S9_EEENSB_IJS8_SA_EEENS0_18inequality_wrapperIZN2at6native12_GLOBAL__N_124unique_dim_cuda_templateIiEESt5tupleIJNSF_6TensorESK_SK_EERKSK_lbbbEUlllE0_EEPmJS9_EEE10hipError_tPvRmT3_T4_T5_T6_T7_T9_mT8_P12ihipStream_tbDpT10_ENKUlT_T0_E_clISt17integral_constantIbLb1EES19_IbLb0EEEEDaS15_S16_EUlS15_E_NS1_11comp_targetILNS1_3genE10ELNS1_11target_archE1200ELNS1_3gpuE4ELNS1_3repE0EEENS1_30default_config_static_selectorELNS0_4arch9wavefront6targetE0EEEvT1_.has_recursion, 0
	.set _ZN7rocprim17ROCPRIM_400000_NS6detail17trampoline_kernelINS0_14default_configENS1_25partition_config_selectorILNS1_17partition_subalgoE9EllbEEZZNS1_14partition_implILS5_9ELb0ES3_jPlS8_PNS0_10empty_typeENS0_5tupleIJS8_S9_EEENSB_IJS8_SA_EEENS0_18inequality_wrapperIZN2at6native12_GLOBAL__N_124unique_dim_cuda_templateIiEESt5tupleIJNSF_6TensorESK_SK_EERKSK_lbbbEUlllE0_EEPmJS9_EEE10hipError_tPvRmT3_T4_T5_T6_T7_T9_mT8_P12ihipStream_tbDpT10_ENKUlT_T0_E_clISt17integral_constantIbLb1EES19_IbLb0EEEEDaS15_S16_EUlS15_E_NS1_11comp_targetILNS1_3genE10ELNS1_11target_archE1200ELNS1_3gpuE4ELNS1_3repE0EEENS1_30default_config_static_selectorELNS0_4arch9wavefront6targetE0EEEvT1_.has_indirect_call, 0
	.section	.AMDGPU.csdata,"",@progbits
; Kernel info:
; codeLenInByte = 0
; TotalNumSgprs: 0
; NumVgprs: 0
; ScratchSize: 0
; MemoryBound: 0
; FloatMode: 240
; IeeeMode: 1
; LDSByteSize: 0 bytes/workgroup (compile time only)
; SGPRBlocks: 0
; VGPRBlocks: 0
; NumSGPRsForWavesPerEU: 1
; NumVGPRsForWavesPerEU: 1
; NamedBarCnt: 0
; Occupancy: 16
; WaveLimiterHint : 0
; COMPUTE_PGM_RSRC2:SCRATCH_EN: 0
; COMPUTE_PGM_RSRC2:USER_SGPR: 2
; COMPUTE_PGM_RSRC2:TRAP_HANDLER: 0
; COMPUTE_PGM_RSRC2:TGID_X_EN: 1
; COMPUTE_PGM_RSRC2:TGID_Y_EN: 0
; COMPUTE_PGM_RSRC2:TGID_Z_EN: 0
; COMPUTE_PGM_RSRC2:TIDIG_COMP_CNT: 0
	.section	.text._ZN7rocprim17ROCPRIM_400000_NS6detail17trampoline_kernelINS0_14default_configENS1_25partition_config_selectorILNS1_17partition_subalgoE9EllbEEZZNS1_14partition_implILS5_9ELb0ES3_jPlS8_PNS0_10empty_typeENS0_5tupleIJS8_S9_EEENSB_IJS8_SA_EEENS0_18inequality_wrapperIZN2at6native12_GLOBAL__N_124unique_dim_cuda_templateIiEESt5tupleIJNSF_6TensorESK_SK_EERKSK_lbbbEUlllE0_EEPmJS9_EEE10hipError_tPvRmT3_T4_T5_T6_T7_T9_mT8_P12ihipStream_tbDpT10_ENKUlT_T0_E_clISt17integral_constantIbLb1EES19_IbLb0EEEEDaS15_S16_EUlS15_E_NS1_11comp_targetILNS1_3genE9ELNS1_11target_archE1100ELNS1_3gpuE3ELNS1_3repE0EEENS1_30default_config_static_selectorELNS0_4arch9wavefront6targetE0EEEvT1_,"axG",@progbits,_ZN7rocprim17ROCPRIM_400000_NS6detail17trampoline_kernelINS0_14default_configENS1_25partition_config_selectorILNS1_17partition_subalgoE9EllbEEZZNS1_14partition_implILS5_9ELb0ES3_jPlS8_PNS0_10empty_typeENS0_5tupleIJS8_S9_EEENSB_IJS8_SA_EEENS0_18inequality_wrapperIZN2at6native12_GLOBAL__N_124unique_dim_cuda_templateIiEESt5tupleIJNSF_6TensorESK_SK_EERKSK_lbbbEUlllE0_EEPmJS9_EEE10hipError_tPvRmT3_T4_T5_T6_T7_T9_mT8_P12ihipStream_tbDpT10_ENKUlT_T0_E_clISt17integral_constantIbLb1EES19_IbLb0EEEEDaS15_S16_EUlS15_E_NS1_11comp_targetILNS1_3genE9ELNS1_11target_archE1100ELNS1_3gpuE3ELNS1_3repE0EEENS1_30default_config_static_selectorELNS0_4arch9wavefront6targetE0EEEvT1_,comdat
	.globl	_ZN7rocprim17ROCPRIM_400000_NS6detail17trampoline_kernelINS0_14default_configENS1_25partition_config_selectorILNS1_17partition_subalgoE9EllbEEZZNS1_14partition_implILS5_9ELb0ES3_jPlS8_PNS0_10empty_typeENS0_5tupleIJS8_S9_EEENSB_IJS8_SA_EEENS0_18inequality_wrapperIZN2at6native12_GLOBAL__N_124unique_dim_cuda_templateIiEESt5tupleIJNSF_6TensorESK_SK_EERKSK_lbbbEUlllE0_EEPmJS9_EEE10hipError_tPvRmT3_T4_T5_T6_T7_T9_mT8_P12ihipStream_tbDpT10_ENKUlT_T0_E_clISt17integral_constantIbLb1EES19_IbLb0EEEEDaS15_S16_EUlS15_E_NS1_11comp_targetILNS1_3genE9ELNS1_11target_archE1100ELNS1_3gpuE3ELNS1_3repE0EEENS1_30default_config_static_selectorELNS0_4arch9wavefront6targetE0EEEvT1_ ; -- Begin function _ZN7rocprim17ROCPRIM_400000_NS6detail17trampoline_kernelINS0_14default_configENS1_25partition_config_selectorILNS1_17partition_subalgoE9EllbEEZZNS1_14partition_implILS5_9ELb0ES3_jPlS8_PNS0_10empty_typeENS0_5tupleIJS8_S9_EEENSB_IJS8_SA_EEENS0_18inequality_wrapperIZN2at6native12_GLOBAL__N_124unique_dim_cuda_templateIiEESt5tupleIJNSF_6TensorESK_SK_EERKSK_lbbbEUlllE0_EEPmJS9_EEE10hipError_tPvRmT3_T4_T5_T6_T7_T9_mT8_P12ihipStream_tbDpT10_ENKUlT_T0_E_clISt17integral_constantIbLb1EES19_IbLb0EEEEDaS15_S16_EUlS15_E_NS1_11comp_targetILNS1_3genE9ELNS1_11target_archE1100ELNS1_3gpuE3ELNS1_3repE0EEENS1_30default_config_static_selectorELNS0_4arch9wavefront6targetE0EEEvT1_
	.p2align	8
	.type	_ZN7rocprim17ROCPRIM_400000_NS6detail17trampoline_kernelINS0_14default_configENS1_25partition_config_selectorILNS1_17partition_subalgoE9EllbEEZZNS1_14partition_implILS5_9ELb0ES3_jPlS8_PNS0_10empty_typeENS0_5tupleIJS8_S9_EEENSB_IJS8_SA_EEENS0_18inequality_wrapperIZN2at6native12_GLOBAL__N_124unique_dim_cuda_templateIiEESt5tupleIJNSF_6TensorESK_SK_EERKSK_lbbbEUlllE0_EEPmJS9_EEE10hipError_tPvRmT3_T4_T5_T6_T7_T9_mT8_P12ihipStream_tbDpT10_ENKUlT_T0_E_clISt17integral_constantIbLb1EES19_IbLb0EEEEDaS15_S16_EUlS15_E_NS1_11comp_targetILNS1_3genE9ELNS1_11target_archE1100ELNS1_3gpuE3ELNS1_3repE0EEENS1_30default_config_static_selectorELNS0_4arch9wavefront6targetE0EEEvT1_,@function
_ZN7rocprim17ROCPRIM_400000_NS6detail17trampoline_kernelINS0_14default_configENS1_25partition_config_selectorILNS1_17partition_subalgoE9EllbEEZZNS1_14partition_implILS5_9ELb0ES3_jPlS8_PNS0_10empty_typeENS0_5tupleIJS8_S9_EEENSB_IJS8_SA_EEENS0_18inequality_wrapperIZN2at6native12_GLOBAL__N_124unique_dim_cuda_templateIiEESt5tupleIJNSF_6TensorESK_SK_EERKSK_lbbbEUlllE0_EEPmJS9_EEE10hipError_tPvRmT3_T4_T5_T6_T7_T9_mT8_P12ihipStream_tbDpT10_ENKUlT_T0_E_clISt17integral_constantIbLb1EES19_IbLb0EEEEDaS15_S16_EUlS15_E_NS1_11comp_targetILNS1_3genE9ELNS1_11target_archE1100ELNS1_3gpuE3ELNS1_3repE0EEENS1_30default_config_static_selectorELNS0_4arch9wavefront6targetE0EEEvT1_: ; @_ZN7rocprim17ROCPRIM_400000_NS6detail17trampoline_kernelINS0_14default_configENS1_25partition_config_selectorILNS1_17partition_subalgoE9EllbEEZZNS1_14partition_implILS5_9ELb0ES3_jPlS8_PNS0_10empty_typeENS0_5tupleIJS8_S9_EEENSB_IJS8_SA_EEENS0_18inequality_wrapperIZN2at6native12_GLOBAL__N_124unique_dim_cuda_templateIiEESt5tupleIJNSF_6TensorESK_SK_EERKSK_lbbbEUlllE0_EEPmJS9_EEE10hipError_tPvRmT3_T4_T5_T6_T7_T9_mT8_P12ihipStream_tbDpT10_ENKUlT_T0_E_clISt17integral_constantIbLb1EES19_IbLb0EEEEDaS15_S16_EUlS15_E_NS1_11comp_targetILNS1_3genE9ELNS1_11target_archE1100ELNS1_3gpuE3ELNS1_3repE0EEENS1_30default_config_static_selectorELNS0_4arch9wavefront6targetE0EEEvT1_
; %bb.0:
	.section	.rodata,"a",@progbits
	.p2align	6, 0x0
	.amdhsa_kernel _ZN7rocprim17ROCPRIM_400000_NS6detail17trampoline_kernelINS0_14default_configENS1_25partition_config_selectorILNS1_17partition_subalgoE9EllbEEZZNS1_14partition_implILS5_9ELb0ES3_jPlS8_PNS0_10empty_typeENS0_5tupleIJS8_S9_EEENSB_IJS8_SA_EEENS0_18inequality_wrapperIZN2at6native12_GLOBAL__N_124unique_dim_cuda_templateIiEESt5tupleIJNSF_6TensorESK_SK_EERKSK_lbbbEUlllE0_EEPmJS9_EEE10hipError_tPvRmT3_T4_T5_T6_T7_T9_mT8_P12ihipStream_tbDpT10_ENKUlT_T0_E_clISt17integral_constantIbLb1EES19_IbLb0EEEEDaS15_S16_EUlS15_E_NS1_11comp_targetILNS1_3genE9ELNS1_11target_archE1100ELNS1_3gpuE3ELNS1_3repE0EEENS1_30default_config_static_selectorELNS0_4arch9wavefront6targetE0EEEvT1_
		.amdhsa_group_segment_fixed_size 0
		.amdhsa_private_segment_fixed_size 0
		.amdhsa_kernarg_size 120
		.amdhsa_user_sgpr_count 2
		.amdhsa_user_sgpr_dispatch_ptr 0
		.amdhsa_user_sgpr_queue_ptr 0
		.amdhsa_user_sgpr_kernarg_segment_ptr 1
		.amdhsa_user_sgpr_dispatch_id 0
		.amdhsa_user_sgpr_kernarg_preload_length 0
		.amdhsa_user_sgpr_kernarg_preload_offset 0
		.amdhsa_user_sgpr_private_segment_size 0
		.amdhsa_wavefront_size32 1
		.amdhsa_uses_dynamic_stack 0
		.amdhsa_enable_private_segment 0
		.amdhsa_system_sgpr_workgroup_id_x 1
		.amdhsa_system_sgpr_workgroup_id_y 0
		.amdhsa_system_sgpr_workgroup_id_z 0
		.amdhsa_system_sgpr_workgroup_info 0
		.amdhsa_system_vgpr_workitem_id 0
		.amdhsa_next_free_vgpr 1
		.amdhsa_next_free_sgpr 1
		.amdhsa_named_barrier_count 0
		.amdhsa_reserve_vcc 0
		.amdhsa_float_round_mode_32 0
		.amdhsa_float_round_mode_16_64 0
		.amdhsa_float_denorm_mode_32 3
		.amdhsa_float_denorm_mode_16_64 3
		.amdhsa_fp16_overflow 0
		.amdhsa_memory_ordered 1
		.amdhsa_forward_progress 1
		.amdhsa_inst_pref_size 0
		.amdhsa_round_robin_scheduling 0
		.amdhsa_exception_fp_ieee_invalid_op 0
		.amdhsa_exception_fp_denorm_src 0
		.amdhsa_exception_fp_ieee_div_zero 0
		.amdhsa_exception_fp_ieee_overflow 0
		.amdhsa_exception_fp_ieee_underflow 0
		.amdhsa_exception_fp_ieee_inexact 0
		.amdhsa_exception_int_div_zero 0
	.end_amdhsa_kernel
	.section	.text._ZN7rocprim17ROCPRIM_400000_NS6detail17trampoline_kernelINS0_14default_configENS1_25partition_config_selectorILNS1_17partition_subalgoE9EllbEEZZNS1_14partition_implILS5_9ELb0ES3_jPlS8_PNS0_10empty_typeENS0_5tupleIJS8_S9_EEENSB_IJS8_SA_EEENS0_18inequality_wrapperIZN2at6native12_GLOBAL__N_124unique_dim_cuda_templateIiEESt5tupleIJNSF_6TensorESK_SK_EERKSK_lbbbEUlllE0_EEPmJS9_EEE10hipError_tPvRmT3_T4_T5_T6_T7_T9_mT8_P12ihipStream_tbDpT10_ENKUlT_T0_E_clISt17integral_constantIbLb1EES19_IbLb0EEEEDaS15_S16_EUlS15_E_NS1_11comp_targetILNS1_3genE9ELNS1_11target_archE1100ELNS1_3gpuE3ELNS1_3repE0EEENS1_30default_config_static_selectorELNS0_4arch9wavefront6targetE0EEEvT1_,"axG",@progbits,_ZN7rocprim17ROCPRIM_400000_NS6detail17trampoline_kernelINS0_14default_configENS1_25partition_config_selectorILNS1_17partition_subalgoE9EllbEEZZNS1_14partition_implILS5_9ELb0ES3_jPlS8_PNS0_10empty_typeENS0_5tupleIJS8_S9_EEENSB_IJS8_SA_EEENS0_18inequality_wrapperIZN2at6native12_GLOBAL__N_124unique_dim_cuda_templateIiEESt5tupleIJNSF_6TensorESK_SK_EERKSK_lbbbEUlllE0_EEPmJS9_EEE10hipError_tPvRmT3_T4_T5_T6_T7_T9_mT8_P12ihipStream_tbDpT10_ENKUlT_T0_E_clISt17integral_constantIbLb1EES19_IbLb0EEEEDaS15_S16_EUlS15_E_NS1_11comp_targetILNS1_3genE9ELNS1_11target_archE1100ELNS1_3gpuE3ELNS1_3repE0EEENS1_30default_config_static_selectorELNS0_4arch9wavefront6targetE0EEEvT1_,comdat
.Lfunc_end495:
	.size	_ZN7rocprim17ROCPRIM_400000_NS6detail17trampoline_kernelINS0_14default_configENS1_25partition_config_selectorILNS1_17partition_subalgoE9EllbEEZZNS1_14partition_implILS5_9ELb0ES3_jPlS8_PNS0_10empty_typeENS0_5tupleIJS8_S9_EEENSB_IJS8_SA_EEENS0_18inequality_wrapperIZN2at6native12_GLOBAL__N_124unique_dim_cuda_templateIiEESt5tupleIJNSF_6TensorESK_SK_EERKSK_lbbbEUlllE0_EEPmJS9_EEE10hipError_tPvRmT3_T4_T5_T6_T7_T9_mT8_P12ihipStream_tbDpT10_ENKUlT_T0_E_clISt17integral_constantIbLb1EES19_IbLb0EEEEDaS15_S16_EUlS15_E_NS1_11comp_targetILNS1_3genE9ELNS1_11target_archE1100ELNS1_3gpuE3ELNS1_3repE0EEENS1_30default_config_static_selectorELNS0_4arch9wavefront6targetE0EEEvT1_, .Lfunc_end495-_ZN7rocprim17ROCPRIM_400000_NS6detail17trampoline_kernelINS0_14default_configENS1_25partition_config_selectorILNS1_17partition_subalgoE9EllbEEZZNS1_14partition_implILS5_9ELb0ES3_jPlS8_PNS0_10empty_typeENS0_5tupleIJS8_S9_EEENSB_IJS8_SA_EEENS0_18inequality_wrapperIZN2at6native12_GLOBAL__N_124unique_dim_cuda_templateIiEESt5tupleIJNSF_6TensorESK_SK_EERKSK_lbbbEUlllE0_EEPmJS9_EEE10hipError_tPvRmT3_T4_T5_T6_T7_T9_mT8_P12ihipStream_tbDpT10_ENKUlT_T0_E_clISt17integral_constantIbLb1EES19_IbLb0EEEEDaS15_S16_EUlS15_E_NS1_11comp_targetILNS1_3genE9ELNS1_11target_archE1100ELNS1_3gpuE3ELNS1_3repE0EEENS1_30default_config_static_selectorELNS0_4arch9wavefront6targetE0EEEvT1_
                                        ; -- End function
	.set _ZN7rocprim17ROCPRIM_400000_NS6detail17trampoline_kernelINS0_14default_configENS1_25partition_config_selectorILNS1_17partition_subalgoE9EllbEEZZNS1_14partition_implILS5_9ELb0ES3_jPlS8_PNS0_10empty_typeENS0_5tupleIJS8_S9_EEENSB_IJS8_SA_EEENS0_18inequality_wrapperIZN2at6native12_GLOBAL__N_124unique_dim_cuda_templateIiEESt5tupleIJNSF_6TensorESK_SK_EERKSK_lbbbEUlllE0_EEPmJS9_EEE10hipError_tPvRmT3_T4_T5_T6_T7_T9_mT8_P12ihipStream_tbDpT10_ENKUlT_T0_E_clISt17integral_constantIbLb1EES19_IbLb0EEEEDaS15_S16_EUlS15_E_NS1_11comp_targetILNS1_3genE9ELNS1_11target_archE1100ELNS1_3gpuE3ELNS1_3repE0EEENS1_30default_config_static_selectorELNS0_4arch9wavefront6targetE0EEEvT1_.num_vgpr, 0
	.set _ZN7rocprim17ROCPRIM_400000_NS6detail17trampoline_kernelINS0_14default_configENS1_25partition_config_selectorILNS1_17partition_subalgoE9EllbEEZZNS1_14partition_implILS5_9ELb0ES3_jPlS8_PNS0_10empty_typeENS0_5tupleIJS8_S9_EEENSB_IJS8_SA_EEENS0_18inequality_wrapperIZN2at6native12_GLOBAL__N_124unique_dim_cuda_templateIiEESt5tupleIJNSF_6TensorESK_SK_EERKSK_lbbbEUlllE0_EEPmJS9_EEE10hipError_tPvRmT3_T4_T5_T6_T7_T9_mT8_P12ihipStream_tbDpT10_ENKUlT_T0_E_clISt17integral_constantIbLb1EES19_IbLb0EEEEDaS15_S16_EUlS15_E_NS1_11comp_targetILNS1_3genE9ELNS1_11target_archE1100ELNS1_3gpuE3ELNS1_3repE0EEENS1_30default_config_static_selectorELNS0_4arch9wavefront6targetE0EEEvT1_.num_agpr, 0
	.set _ZN7rocprim17ROCPRIM_400000_NS6detail17trampoline_kernelINS0_14default_configENS1_25partition_config_selectorILNS1_17partition_subalgoE9EllbEEZZNS1_14partition_implILS5_9ELb0ES3_jPlS8_PNS0_10empty_typeENS0_5tupleIJS8_S9_EEENSB_IJS8_SA_EEENS0_18inequality_wrapperIZN2at6native12_GLOBAL__N_124unique_dim_cuda_templateIiEESt5tupleIJNSF_6TensorESK_SK_EERKSK_lbbbEUlllE0_EEPmJS9_EEE10hipError_tPvRmT3_T4_T5_T6_T7_T9_mT8_P12ihipStream_tbDpT10_ENKUlT_T0_E_clISt17integral_constantIbLb1EES19_IbLb0EEEEDaS15_S16_EUlS15_E_NS1_11comp_targetILNS1_3genE9ELNS1_11target_archE1100ELNS1_3gpuE3ELNS1_3repE0EEENS1_30default_config_static_selectorELNS0_4arch9wavefront6targetE0EEEvT1_.numbered_sgpr, 0
	.set _ZN7rocprim17ROCPRIM_400000_NS6detail17trampoline_kernelINS0_14default_configENS1_25partition_config_selectorILNS1_17partition_subalgoE9EllbEEZZNS1_14partition_implILS5_9ELb0ES3_jPlS8_PNS0_10empty_typeENS0_5tupleIJS8_S9_EEENSB_IJS8_SA_EEENS0_18inequality_wrapperIZN2at6native12_GLOBAL__N_124unique_dim_cuda_templateIiEESt5tupleIJNSF_6TensorESK_SK_EERKSK_lbbbEUlllE0_EEPmJS9_EEE10hipError_tPvRmT3_T4_T5_T6_T7_T9_mT8_P12ihipStream_tbDpT10_ENKUlT_T0_E_clISt17integral_constantIbLb1EES19_IbLb0EEEEDaS15_S16_EUlS15_E_NS1_11comp_targetILNS1_3genE9ELNS1_11target_archE1100ELNS1_3gpuE3ELNS1_3repE0EEENS1_30default_config_static_selectorELNS0_4arch9wavefront6targetE0EEEvT1_.num_named_barrier, 0
	.set _ZN7rocprim17ROCPRIM_400000_NS6detail17trampoline_kernelINS0_14default_configENS1_25partition_config_selectorILNS1_17partition_subalgoE9EllbEEZZNS1_14partition_implILS5_9ELb0ES3_jPlS8_PNS0_10empty_typeENS0_5tupleIJS8_S9_EEENSB_IJS8_SA_EEENS0_18inequality_wrapperIZN2at6native12_GLOBAL__N_124unique_dim_cuda_templateIiEESt5tupleIJNSF_6TensorESK_SK_EERKSK_lbbbEUlllE0_EEPmJS9_EEE10hipError_tPvRmT3_T4_T5_T6_T7_T9_mT8_P12ihipStream_tbDpT10_ENKUlT_T0_E_clISt17integral_constantIbLb1EES19_IbLb0EEEEDaS15_S16_EUlS15_E_NS1_11comp_targetILNS1_3genE9ELNS1_11target_archE1100ELNS1_3gpuE3ELNS1_3repE0EEENS1_30default_config_static_selectorELNS0_4arch9wavefront6targetE0EEEvT1_.private_seg_size, 0
	.set _ZN7rocprim17ROCPRIM_400000_NS6detail17trampoline_kernelINS0_14default_configENS1_25partition_config_selectorILNS1_17partition_subalgoE9EllbEEZZNS1_14partition_implILS5_9ELb0ES3_jPlS8_PNS0_10empty_typeENS0_5tupleIJS8_S9_EEENSB_IJS8_SA_EEENS0_18inequality_wrapperIZN2at6native12_GLOBAL__N_124unique_dim_cuda_templateIiEESt5tupleIJNSF_6TensorESK_SK_EERKSK_lbbbEUlllE0_EEPmJS9_EEE10hipError_tPvRmT3_T4_T5_T6_T7_T9_mT8_P12ihipStream_tbDpT10_ENKUlT_T0_E_clISt17integral_constantIbLb1EES19_IbLb0EEEEDaS15_S16_EUlS15_E_NS1_11comp_targetILNS1_3genE9ELNS1_11target_archE1100ELNS1_3gpuE3ELNS1_3repE0EEENS1_30default_config_static_selectorELNS0_4arch9wavefront6targetE0EEEvT1_.uses_vcc, 0
	.set _ZN7rocprim17ROCPRIM_400000_NS6detail17trampoline_kernelINS0_14default_configENS1_25partition_config_selectorILNS1_17partition_subalgoE9EllbEEZZNS1_14partition_implILS5_9ELb0ES3_jPlS8_PNS0_10empty_typeENS0_5tupleIJS8_S9_EEENSB_IJS8_SA_EEENS0_18inequality_wrapperIZN2at6native12_GLOBAL__N_124unique_dim_cuda_templateIiEESt5tupleIJNSF_6TensorESK_SK_EERKSK_lbbbEUlllE0_EEPmJS9_EEE10hipError_tPvRmT3_T4_T5_T6_T7_T9_mT8_P12ihipStream_tbDpT10_ENKUlT_T0_E_clISt17integral_constantIbLb1EES19_IbLb0EEEEDaS15_S16_EUlS15_E_NS1_11comp_targetILNS1_3genE9ELNS1_11target_archE1100ELNS1_3gpuE3ELNS1_3repE0EEENS1_30default_config_static_selectorELNS0_4arch9wavefront6targetE0EEEvT1_.uses_flat_scratch, 0
	.set _ZN7rocprim17ROCPRIM_400000_NS6detail17trampoline_kernelINS0_14default_configENS1_25partition_config_selectorILNS1_17partition_subalgoE9EllbEEZZNS1_14partition_implILS5_9ELb0ES3_jPlS8_PNS0_10empty_typeENS0_5tupleIJS8_S9_EEENSB_IJS8_SA_EEENS0_18inequality_wrapperIZN2at6native12_GLOBAL__N_124unique_dim_cuda_templateIiEESt5tupleIJNSF_6TensorESK_SK_EERKSK_lbbbEUlllE0_EEPmJS9_EEE10hipError_tPvRmT3_T4_T5_T6_T7_T9_mT8_P12ihipStream_tbDpT10_ENKUlT_T0_E_clISt17integral_constantIbLb1EES19_IbLb0EEEEDaS15_S16_EUlS15_E_NS1_11comp_targetILNS1_3genE9ELNS1_11target_archE1100ELNS1_3gpuE3ELNS1_3repE0EEENS1_30default_config_static_selectorELNS0_4arch9wavefront6targetE0EEEvT1_.has_dyn_sized_stack, 0
	.set _ZN7rocprim17ROCPRIM_400000_NS6detail17trampoline_kernelINS0_14default_configENS1_25partition_config_selectorILNS1_17partition_subalgoE9EllbEEZZNS1_14partition_implILS5_9ELb0ES3_jPlS8_PNS0_10empty_typeENS0_5tupleIJS8_S9_EEENSB_IJS8_SA_EEENS0_18inequality_wrapperIZN2at6native12_GLOBAL__N_124unique_dim_cuda_templateIiEESt5tupleIJNSF_6TensorESK_SK_EERKSK_lbbbEUlllE0_EEPmJS9_EEE10hipError_tPvRmT3_T4_T5_T6_T7_T9_mT8_P12ihipStream_tbDpT10_ENKUlT_T0_E_clISt17integral_constantIbLb1EES19_IbLb0EEEEDaS15_S16_EUlS15_E_NS1_11comp_targetILNS1_3genE9ELNS1_11target_archE1100ELNS1_3gpuE3ELNS1_3repE0EEENS1_30default_config_static_selectorELNS0_4arch9wavefront6targetE0EEEvT1_.has_recursion, 0
	.set _ZN7rocprim17ROCPRIM_400000_NS6detail17trampoline_kernelINS0_14default_configENS1_25partition_config_selectorILNS1_17partition_subalgoE9EllbEEZZNS1_14partition_implILS5_9ELb0ES3_jPlS8_PNS0_10empty_typeENS0_5tupleIJS8_S9_EEENSB_IJS8_SA_EEENS0_18inequality_wrapperIZN2at6native12_GLOBAL__N_124unique_dim_cuda_templateIiEESt5tupleIJNSF_6TensorESK_SK_EERKSK_lbbbEUlllE0_EEPmJS9_EEE10hipError_tPvRmT3_T4_T5_T6_T7_T9_mT8_P12ihipStream_tbDpT10_ENKUlT_T0_E_clISt17integral_constantIbLb1EES19_IbLb0EEEEDaS15_S16_EUlS15_E_NS1_11comp_targetILNS1_3genE9ELNS1_11target_archE1100ELNS1_3gpuE3ELNS1_3repE0EEENS1_30default_config_static_selectorELNS0_4arch9wavefront6targetE0EEEvT1_.has_indirect_call, 0
	.section	.AMDGPU.csdata,"",@progbits
; Kernel info:
; codeLenInByte = 0
; TotalNumSgprs: 0
; NumVgprs: 0
; ScratchSize: 0
; MemoryBound: 0
; FloatMode: 240
; IeeeMode: 1
; LDSByteSize: 0 bytes/workgroup (compile time only)
; SGPRBlocks: 0
; VGPRBlocks: 0
; NumSGPRsForWavesPerEU: 1
; NumVGPRsForWavesPerEU: 1
; NamedBarCnt: 0
; Occupancy: 16
; WaveLimiterHint : 0
; COMPUTE_PGM_RSRC2:SCRATCH_EN: 0
; COMPUTE_PGM_RSRC2:USER_SGPR: 2
; COMPUTE_PGM_RSRC2:TRAP_HANDLER: 0
; COMPUTE_PGM_RSRC2:TGID_X_EN: 1
; COMPUTE_PGM_RSRC2:TGID_Y_EN: 0
; COMPUTE_PGM_RSRC2:TGID_Z_EN: 0
; COMPUTE_PGM_RSRC2:TIDIG_COMP_CNT: 0
	.section	.text._ZN7rocprim17ROCPRIM_400000_NS6detail17trampoline_kernelINS0_14default_configENS1_25partition_config_selectorILNS1_17partition_subalgoE9EllbEEZZNS1_14partition_implILS5_9ELb0ES3_jPlS8_PNS0_10empty_typeENS0_5tupleIJS8_S9_EEENSB_IJS8_SA_EEENS0_18inequality_wrapperIZN2at6native12_GLOBAL__N_124unique_dim_cuda_templateIiEESt5tupleIJNSF_6TensorESK_SK_EERKSK_lbbbEUlllE0_EEPmJS9_EEE10hipError_tPvRmT3_T4_T5_T6_T7_T9_mT8_P12ihipStream_tbDpT10_ENKUlT_T0_E_clISt17integral_constantIbLb1EES19_IbLb0EEEEDaS15_S16_EUlS15_E_NS1_11comp_targetILNS1_3genE8ELNS1_11target_archE1030ELNS1_3gpuE2ELNS1_3repE0EEENS1_30default_config_static_selectorELNS0_4arch9wavefront6targetE0EEEvT1_,"axG",@progbits,_ZN7rocprim17ROCPRIM_400000_NS6detail17trampoline_kernelINS0_14default_configENS1_25partition_config_selectorILNS1_17partition_subalgoE9EllbEEZZNS1_14partition_implILS5_9ELb0ES3_jPlS8_PNS0_10empty_typeENS0_5tupleIJS8_S9_EEENSB_IJS8_SA_EEENS0_18inequality_wrapperIZN2at6native12_GLOBAL__N_124unique_dim_cuda_templateIiEESt5tupleIJNSF_6TensorESK_SK_EERKSK_lbbbEUlllE0_EEPmJS9_EEE10hipError_tPvRmT3_T4_T5_T6_T7_T9_mT8_P12ihipStream_tbDpT10_ENKUlT_T0_E_clISt17integral_constantIbLb1EES19_IbLb0EEEEDaS15_S16_EUlS15_E_NS1_11comp_targetILNS1_3genE8ELNS1_11target_archE1030ELNS1_3gpuE2ELNS1_3repE0EEENS1_30default_config_static_selectorELNS0_4arch9wavefront6targetE0EEEvT1_,comdat
	.globl	_ZN7rocprim17ROCPRIM_400000_NS6detail17trampoline_kernelINS0_14default_configENS1_25partition_config_selectorILNS1_17partition_subalgoE9EllbEEZZNS1_14partition_implILS5_9ELb0ES3_jPlS8_PNS0_10empty_typeENS0_5tupleIJS8_S9_EEENSB_IJS8_SA_EEENS0_18inequality_wrapperIZN2at6native12_GLOBAL__N_124unique_dim_cuda_templateIiEESt5tupleIJNSF_6TensorESK_SK_EERKSK_lbbbEUlllE0_EEPmJS9_EEE10hipError_tPvRmT3_T4_T5_T6_T7_T9_mT8_P12ihipStream_tbDpT10_ENKUlT_T0_E_clISt17integral_constantIbLb1EES19_IbLb0EEEEDaS15_S16_EUlS15_E_NS1_11comp_targetILNS1_3genE8ELNS1_11target_archE1030ELNS1_3gpuE2ELNS1_3repE0EEENS1_30default_config_static_selectorELNS0_4arch9wavefront6targetE0EEEvT1_ ; -- Begin function _ZN7rocprim17ROCPRIM_400000_NS6detail17trampoline_kernelINS0_14default_configENS1_25partition_config_selectorILNS1_17partition_subalgoE9EllbEEZZNS1_14partition_implILS5_9ELb0ES3_jPlS8_PNS0_10empty_typeENS0_5tupleIJS8_S9_EEENSB_IJS8_SA_EEENS0_18inequality_wrapperIZN2at6native12_GLOBAL__N_124unique_dim_cuda_templateIiEESt5tupleIJNSF_6TensorESK_SK_EERKSK_lbbbEUlllE0_EEPmJS9_EEE10hipError_tPvRmT3_T4_T5_T6_T7_T9_mT8_P12ihipStream_tbDpT10_ENKUlT_T0_E_clISt17integral_constantIbLb1EES19_IbLb0EEEEDaS15_S16_EUlS15_E_NS1_11comp_targetILNS1_3genE8ELNS1_11target_archE1030ELNS1_3gpuE2ELNS1_3repE0EEENS1_30default_config_static_selectorELNS0_4arch9wavefront6targetE0EEEvT1_
	.p2align	8
	.type	_ZN7rocprim17ROCPRIM_400000_NS6detail17trampoline_kernelINS0_14default_configENS1_25partition_config_selectorILNS1_17partition_subalgoE9EllbEEZZNS1_14partition_implILS5_9ELb0ES3_jPlS8_PNS0_10empty_typeENS0_5tupleIJS8_S9_EEENSB_IJS8_SA_EEENS0_18inequality_wrapperIZN2at6native12_GLOBAL__N_124unique_dim_cuda_templateIiEESt5tupleIJNSF_6TensorESK_SK_EERKSK_lbbbEUlllE0_EEPmJS9_EEE10hipError_tPvRmT3_T4_T5_T6_T7_T9_mT8_P12ihipStream_tbDpT10_ENKUlT_T0_E_clISt17integral_constantIbLb1EES19_IbLb0EEEEDaS15_S16_EUlS15_E_NS1_11comp_targetILNS1_3genE8ELNS1_11target_archE1030ELNS1_3gpuE2ELNS1_3repE0EEENS1_30default_config_static_selectorELNS0_4arch9wavefront6targetE0EEEvT1_,@function
_ZN7rocprim17ROCPRIM_400000_NS6detail17trampoline_kernelINS0_14default_configENS1_25partition_config_selectorILNS1_17partition_subalgoE9EllbEEZZNS1_14partition_implILS5_9ELb0ES3_jPlS8_PNS0_10empty_typeENS0_5tupleIJS8_S9_EEENSB_IJS8_SA_EEENS0_18inequality_wrapperIZN2at6native12_GLOBAL__N_124unique_dim_cuda_templateIiEESt5tupleIJNSF_6TensorESK_SK_EERKSK_lbbbEUlllE0_EEPmJS9_EEE10hipError_tPvRmT3_T4_T5_T6_T7_T9_mT8_P12ihipStream_tbDpT10_ENKUlT_T0_E_clISt17integral_constantIbLb1EES19_IbLb0EEEEDaS15_S16_EUlS15_E_NS1_11comp_targetILNS1_3genE8ELNS1_11target_archE1030ELNS1_3gpuE2ELNS1_3repE0EEENS1_30default_config_static_selectorELNS0_4arch9wavefront6targetE0EEEvT1_: ; @_ZN7rocprim17ROCPRIM_400000_NS6detail17trampoline_kernelINS0_14default_configENS1_25partition_config_selectorILNS1_17partition_subalgoE9EllbEEZZNS1_14partition_implILS5_9ELb0ES3_jPlS8_PNS0_10empty_typeENS0_5tupleIJS8_S9_EEENSB_IJS8_SA_EEENS0_18inequality_wrapperIZN2at6native12_GLOBAL__N_124unique_dim_cuda_templateIiEESt5tupleIJNSF_6TensorESK_SK_EERKSK_lbbbEUlllE0_EEPmJS9_EEE10hipError_tPvRmT3_T4_T5_T6_T7_T9_mT8_P12ihipStream_tbDpT10_ENKUlT_T0_E_clISt17integral_constantIbLb1EES19_IbLb0EEEEDaS15_S16_EUlS15_E_NS1_11comp_targetILNS1_3genE8ELNS1_11target_archE1030ELNS1_3gpuE2ELNS1_3repE0EEENS1_30default_config_static_selectorELNS0_4arch9wavefront6targetE0EEEvT1_
; %bb.0:
	.section	.rodata,"a",@progbits
	.p2align	6, 0x0
	.amdhsa_kernel _ZN7rocprim17ROCPRIM_400000_NS6detail17trampoline_kernelINS0_14default_configENS1_25partition_config_selectorILNS1_17partition_subalgoE9EllbEEZZNS1_14partition_implILS5_9ELb0ES3_jPlS8_PNS0_10empty_typeENS0_5tupleIJS8_S9_EEENSB_IJS8_SA_EEENS0_18inequality_wrapperIZN2at6native12_GLOBAL__N_124unique_dim_cuda_templateIiEESt5tupleIJNSF_6TensorESK_SK_EERKSK_lbbbEUlllE0_EEPmJS9_EEE10hipError_tPvRmT3_T4_T5_T6_T7_T9_mT8_P12ihipStream_tbDpT10_ENKUlT_T0_E_clISt17integral_constantIbLb1EES19_IbLb0EEEEDaS15_S16_EUlS15_E_NS1_11comp_targetILNS1_3genE8ELNS1_11target_archE1030ELNS1_3gpuE2ELNS1_3repE0EEENS1_30default_config_static_selectorELNS0_4arch9wavefront6targetE0EEEvT1_
		.amdhsa_group_segment_fixed_size 0
		.amdhsa_private_segment_fixed_size 0
		.amdhsa_kernarg_size 120
		.amdhsa_user_sgpr_count 2
		.amdhsa_user_sgpr_dispatch_ptr 0
		.amdhsa_user_sgpr_queue_ptr 0
		.amdhsa_user_sgpr_kernarg_segment_ptr 1
		.amdhsa_user_sgpr_dispatch_id 0
		.amdhsa_user_sgpr_kernarg_preload_length 0
		.amdhsa_user_sgpr_kernarg_preload_offset 0
		.amdhsa_user_sgpr_private_segment_size 0
		.amdhsa_wavefront_size32 1
		.amdhsa_uses_dynamic_stack 0
		.amdhsa_enable_private_segment 0
		.amdhsa_system_sgpr_workgroup_id_x 1
		.amdhsa_system_sgpr_workgroup_id_y 0
		.amdhsa_system_sgpr_workgroup_id_z 0
		.amdhsa_system_sgpr_workgroup_info 0
		.amdhsa_system_vgpr_workitem_id 0
		.amdhsa_next_free_vgpr 1
		.amdhsa_next_free_sgpr 1
		.amdhsa_named_barrier_count 0
		.amdhsa_reserve_vcc 0
		.amdhsa_float_round_mode_32 0
		.amdhsa_float_round_mode_16_64 0
		.amdhsa_float_denorm_mode_32 3
		.amdhsa_float_denorm_mode_16_64 3
		.amdhsa_fp16_overflow 0
		.amdhsa_memory_ordered 1
		.amdhsa_forward_progress 1
		.amdhsa_inst_pref_size 0
		.amdhsa_round_robin_scheduling 0
		.amdhsa_exception_fp_ieee_invalid_op 0
		.amdhsa_exception_fp_denorm_src 0
		.amdhsa_exception_fp_ieee_div_zero 0
		.amdhsa_exception_fp_ieee_overflow 0
		.amdhsa_exception_fp_ieee_underflow 0
		.amdhsa_exception_fp_ieee_inexact 0
		.amdhsa_exception_int_div_zero 0
	.end_amdhsa_kernel
	.section	.text._ZN7rocprim17ROCPRIM_400000_NS6detail17trampoline_kernelINS0_14default_configENS1_25partition_config_selectorILNS1_17partition_subalgoE9EllbEEZZNS1_14partition_implILS5_9ELb0ES3_jPlS8_PNS0_10empty_typeENS0_5tupleIJS8_S9_EEENSB_IJS8_SA_EEENS0_18inequality_wrapperIZN2at6native12_GLOBAL__N_124unique_dim_cuda_templateIiEESt5tupleIJNSF_6TensorESK_SK_EERKSK_lbbbEUlllE0_EEPmJS9_EEE10hipError_tPvRmT3_T4_T5_T6_T7_T9_mT8_P12ihipStream_tbDpT10_ENKUlT_T0_E_clISt17integral_constantIbLb1EES19_IbLb0EEEEDaS15_S16_EUlS15_E_NS1_11comp_targetILNS1_3genE8ELNS1_11target_archE1030ELNS1_3gpuE2ELNS1_3repE0EEENS1_30default_config_static_selectorELNS0_4arch9wavefront6targetE0EEEvT1_,"axG",@progbits,_ZN7rocprim17ROCPRIM_400000_NS6detail17trampoline_kernelINS0_14default_configENS1_25partition_config_selectorILNS1_17partition_subalgoE9EllbEEZZNS1_14partition_implILS5_9ELb0ES3_jPlS8_PNS0_10empty_typeENS0_5tupleIJS8_S9_EEENSB_IJS8_SA_EEENS0_18inequality_wrapperIZN2at6native12_GLOBAL__N_124unique_dim_cuda_templateIiEESt5tupleIJNSF_6TensorESK_SK_EERKSK_lbbbEUlllE0_EEPmJS9_EEE10hipError_tPvRmT3_T4_T5_T6_T7_T9_mT8_P12ihipStream_tbDpT10_ENKUlT_T0_E_clISt17integral_constantIbLb1EES19_IbLb0EEEEDaS15_S16_EUlS15_E_NS1_11comp_targetILNS1_3genE8ELNS1_11target_archE1030ELNS1_3gpuE2ELNS1_3repE0EEENS1_30default_config_static_selectorELNS0_4arch9wavefront6targetE0EEEvT1_,comdat
.Lfunc_end496:
	.size	_ZN7rocprim17ROCPRIM_400000_NS6detail17trampoline_kernelINS0_14default_configENS1_25partition_config_selectorILNS1_17partition_subalgoE9EllbEEZZNS1_14partition_implILS5_9ELb0ES3_jPlS8_PNS0_10empty_typeENS0_5tupleIJS8_S9_EEENSB_IJS8_SA_EEENS0_18inequality_wrapperIZN2at6native12_GLOBAL__N_124unique_dim_cuda_templateIiEESt5tupleIJNSF_6TensorESK_SK_EERKSK_lbbbEUlllE0_EEPmJS9_EEE10hipError_tPvRmT3_T4_T5_T6_T7_T9_mT8_P12ihipStream_tbDpT10_ENKUlT_T0_E_clISt17integral_constantIbLb1EES19_IbLb0EEEEDaS15_S16_EUlS15_E_NS1_11comp_targetILNS1_3genE8ELNS1_11target_archE1030ELNS1_3gpuE2ELNS1_3repE0EEENS1_30default_config_static_selectorELNS0_4arch9wavefront6targetE0EEEvT1_, .Lfunc_end496-_ZN7rocprim17ROCPRIM_400000_NS6detail17trampoline_kernelINS0_14default_configENS1_25partition_config_selectorILNS1_17partition_subalgoE9EllbEEZZNS1_14partition_implILS5_9ELb0ES3_jPlS8_PNS0_10empty_typeENS0_5tupleIJS8_S9_EEENSB_IJS8_SA_EEENS0_18inequality_wrapperIZN2at6native12_GLOBAL__N_124unique_dim_cuda_templateIiEESt5tupleIJNSF_6TensorESK_SK_EERKSK_lbbbEUlllE0_EEPmJS9_EEE10hipError_tPvRmT3_T4_T5_T6_T7_T9_mT8_P12ihipStream_tbDpT10_ENKUlT_T0_E_clISt17integral_constantIbLb1EES19_IbLb0EEEEDaS15_S16_EUlS15_E_NS1_11comp_targetILNS1_3genE8ELNS1_11target_archE1030ELNS1_3gpuE2ELNS1_3repE0EEENS1_30default_config_static_selectorELNS0_4arch9wavefront6targetE0EEEvT1_
                                        ; -- End function
	.set _ZN7rocprim17ROCPRIM_400000_NS6detail17trampoline_kernelINS0_14default_configENS1_25partition_config_selectorILNS1_17partition_subalgoE9EllbEEZZNS1_14partition_implILS5_9ELb0ES3_jPlS8_PNS0_10empty_typeENS0_5tupleIJS8_S9_EEENSB_IJS8_SA_EEENS0_18inequality_wrapperIZN2at6native12_GLOBAL__N_124unique_dim_cuda_templateIiEESt5tupleIJNSF_6TensorESK_SK_EERKSK_lbbbEUlllE0_EEPmJS9_EEE10hipError_tPvRmT3_T4_T5_T6_T7_T9_mT8_P12ihipStream_tbDpT10_ENKUlT_T0_E_clISt17integral_constantIbLb1EES19_IbLb0EEEEDaS15_S16_EUlS15_E_NS1_11comp_targetILNS1_3genE8ELNS1_11target_archE1030ELNS1_3gpuE2ELNS1_3repE0EEENS1_30default_config_static_selectorELNS0_4arch9wavefront6targetE0EEEvT1_.num_vgpr, 0
	.set _ZN7rocprim17ROCPRIM_400000_NS6detail17trampoline_kernelINS0_14default_configENS1_25partition_config_selectorILNS1_17partition_subalgoE9EllbEEZZNS1_14partition_implILS5_9ELb0ES3_jPlS8_PNS0_10empty_typeENS0_5tupleIJS8_S9_EEENSB_IJS8_SA_EEENS0_18inequality_wrapperIZN2at6native12_GLOBAL__N_124unique_dim_cuda_templateIiEESt5tupleIJNSF_6TensorESK_SK_EERKSK_lbbbEUlllE0_EEPmJS9_EEE10hipError_tPvRmT3_T4_T5_T6_T7_T9_mT8_P12ihipStream_tbDpT10_ENKUlT_T0_E_clISt17integral_constantIbLb1EES19_IbLb0EEEEDaS15_S16_EUlS15_E_NS1_11comp_targetILNS1_3genE8ELNS1_11target_archE1030ELNS1_3gpuE2ELNS1_3repE0EEENS1_30default_config_static_selectorELNS0_4arch9wavefront6targetE0EEEvT1_.num_agpr, 0
	.set _ZN7rocprim17ROCPRIM_400000_NS6detail17trampoline_kernelINS0_14default_configENS1_25partition_config_selectorILNS1_17partition_subalgoE9EllbEEZZNS1_14partition_implILS5_9ELb0ES3_jPlS8_PNS0_10empty_typeENS0_5tupleIJS8_S9_EEENSB_IJS8_SA_EEENS0_18inequality_wrapperIZN2at6native12_GLOBAL__N_124unique_dim_cuda_templateIiEESt5tupleIJNSF_6TensorESK_SK_EERKSK_lbbbEUlllE0_EEPmJS9_EEE10hipError_tPvRmT3_T4_T5_T6_T7_T9_mT8_P12ihipStream_tbDpT10_ENKUlT_T0_E_clISt17integral_constantIbLb1EES19_IbLb0EEEEDaS15_S16_EUlS15_E_NS1_11comp_targetILNS1_3genE8ELNS1_11target_archE1030ELNS1_3gpuE2ELNS1_3repE0EEENS1_30default_config_static_selectorELNS0_4arch9wavefront6targetE0EEEvT1_.numbered_sgpr, 0
	.set _ZN7rocprim17ROCPRIM_400000_NS6detail17trampoline_kernelINS0_14default_configENS1_25partition_config_selectorILNS1_17partition_subalgoE9EllbEEZZNS1_14partition_implILS5_9ELb0ES3_jPlS8_PNS0_10empty_typeENS0_5tupleIJS8_S9_EEENSB_IJS8_SA_EEENS0_18inequality_wrapperIZN2at6native12_GLOBAL__N_124unique_dim_cuda_templateIiEESt5tupleIJNSF_6TensorESK_SK_EERKSK_lbbbEUlllE0_EEPmJS9_EEE10hipError_tPvRmT3_T4_T5_T6_T7_T9_mT8_P12ihipStream_tbDpT10_ENKUlT_T0_E_clISt17integral_constantIbLb1EES19_IbLb0EEEEDaS15_S16_EUlS15_E_NS1_11comp_targetILNS1_3genE8ELNS1_11target_archE1030ELNS1_3gpuE2ELNS1_3repE0EEENS1_30default_config_static_selectorELNS0_4arch9wavefront6targetE0EEEvT1_.num_named_barrier, 0
	.set _ZN7rocprim17ROCPRIM_400000_NS6detail17trampoline_kernelINS0_14default_configENS1_25partition_config_selectorILNS1_17partition_subalgoE9EllbEEZZNS1_14partition_implILS5_9ELb0ES3_jPlS8_PNS0_10empty_typeENS0_5tupleIJS8_S9_EEENSB_IJS8_SA_EEENS0_18inequality_wrapperIZN2at6native12_GLOBAL__N_124unique_dim_cuda_templateIiEESt5tupleIJNSF_6TensorESK_SK_EERKSK_lbbbEUlllE0_EEPmJS9_EEE10hipError_tPvRmT3_T4_T5_T6_T7_T9_mT8_P12ihipStream_tbDpT10_ENKUlT_T0_E_clISt17integral_constantIbLb1EES19_IbLb0EEEEDaS15_S16_EUlS15_E_NS1_11comp_targetILNS1_3genE8ELNS1_11target_archE1030ELNS1_3gpuE2ELNS1_3repE0EEENS1_30default_config_static_selectorELNS0_4arch9wavefront6targetE0EEEvT1_.private_seg_size, 0
	.set _ZN7rocprim17ROCPRIM_400000_NS6detail17trampoline_kernelINS0_14default_configENS1_25partition_config_selectorILNS1_17partition_subalgoE9EllbEEZZNS1_14partition_implILS5_9ELb0ES3_jPlS8_PNS0_10empty_typeENS0_5tupleIJS8_S9_EEENSB_IJS8_SA_EEENS0_18inequality_wrapperIZN2at6native12_GLOBAL__N_124unique_dim_cuda_templateIiEESt5tupleIJNSF_6TensorESK_SK_EERKSK_lbbbEUlllE0_EEPmJS9_EEE10hipError_tPvRmT3_T4_T5_T6_T7_T9_mT8_P12ihipStream_tbDpT10_ENKUlT_T0_E_clISt17integral_constantIbLb1EES19_IbLb0EEEEDaS15_S16_EUlS15_E_NS1_11comp_targetILNS1_3genE8ELNS1_11target_archE1030ELNS1_3gpuE2ELNS1_3repE0EEENS1_30default_config_static_selectorELNS0_4arch9wavefront6targetE0EEEvT1_.uses_vcc, 0
	.set _ZN7rocprim17ROCPRIM_400000_NS6detail17trampoline_kernelINS0_14default_configENS1_25partition_config_selectorILNS1_17partition_subalgoE9EllbEEZZNS1_14partition_implILS5_9ELb0ES3_jPlS8_PNS0_10empty_typeENS0_5tupleIJS8_S9_EEENSB_IJS8_SA_EEENS0_18inequality_wrapperIZN2at6native12_GLOBAL__N_124unique_dim_cuda_templateIiEESt5tupleIJNSF_6TensorESK_SK_EERKSK_lbbbEUlllE0_EEPmJS9_EEE10hipError_tPvRmT3_T4_T5_T6_T7_T9_mT8_P12ihipStream_tbDpT10_ENKUlT_T0_E_clISt17integral_constantIbLb1EES19_IbLb0EEEEDaS15_S16_EUlS15_E_NS1_11comp_targetILNS1_3genE8ELNS1_11target_archE1030ELNS1_3gpuE2ELNS1_3repE0EEENS1_30default_config_static_selectorELNS0_4arch9wavefront6targetE0EEEvT1_.uses_flat_scratch, 0
	.set _ZN7rocprim17ROCPRIM_400000_NS6detail17trampoline_kernelINS0_14default_configENS1_25partition_config_selectorILNS1_17partition_subalgoE9EllbEEZZNS1_14partition_implILS5_9ELb0ES3_jPlS8_PNS0_10empty_typeENS0_5tupleIJS8_S9_EEENSB_IJS8_SA_EEENS0_18inequality_wrapperIZN2at6native12_GLOBAL__N_124unique_dim_cuda_templateIiEESt5tupleIJNSF_6TensorESK_SK_EERKSK_lbbbEUlllE0_EEPmJS9_EEE10hipError_tPvRmT3_T4_T5_T6_T7_T9_mT8_P12ihipStream_tbDpT10_ENKUlT_T0_E_clISt17integral_constantIbLb1EES19_IbLb0EEEEDaS15_S16_EUlS15_E_NS1_11comp_targetILNS1_3genE8ELNS1_11target_archE1030ELNS1_3gpuE2ELNS1_3repE0EEENS1_30default_config_static_selectorELNS0_4arch9wavefront6targetE0EEEvT1_.has_dyn_sized_stack, 0
	.set _ZN7rocprim17ROCPRIM_400000_NS6detail17trampoline_kernelINS0_14default_configENS1_25partition_config_selectorILNS1_17partition_subalgoE9EllbEEZZNS1_14partition_implILS5_9ELb0ES3_jPlS8_PNS0_10empty_typeENS0_5tupleIJS8_S9_EEENSB_IJS8_SA_EEENS0_18inequality_wrapperIZN2at6native12_GLOBAL__N_124unique_dim_cuda_templateIiEESt5tupleIJNSF_6TensorESK_SK_EERKSK_lbbbEUlllE0_EEPmJS9_EEE10hipError_tPvRmT3_T4_T5_T6_T7_T9_mT8_P12ihipStream_tbDpT10_ENKUlT_T0_E_clISt17integral_constantIbLb1EES19_IbLb0EEEEDaS15_S16_EUlS15_E_NS1_11comp_targetILNS1_3genE8ELNS1_11target_archE1030ELNS1_3gpuE2ELNS1_3repE0EEENS1_30default_config_static_selectorELNS0_4arch9wavefront6targetE0EEEvT1_.has_recursion, 0
	.set _ZN7rocprim17ROCPRIM_400000_NS6detail17trampoline_kernelINS0_14default_configENS1_25partition_config_selectorILNS1_17partition_subalgoE9EllbEEZZNS1_14partition_implILS5_9ELb0ES3_jPlS8_PNS0_10empty_typeENS0_5tupleIJS8_S9_EEENSB_IJS8_SA_EEENS0_18inequality_wrapperIZN2at6native12_GLOBAL__N_124unique_dim_cuda_templateIiEESt5tupleIJNSF_6TensorESK_SK_EERKSK_lbbbEUlllE0_EEPmJS9_EEE10hipError_tPvRmT3_T4_T5_T6_T7_T9_mT8_P12ihipStream_tbDpT10_ENKUlT_T0_E_clISt17integral_constantIbLb1EES19_IbLb0EEEEDaS15_S16_EUlS15_E_NS1_11comp_targetILNS1_3genE8ELNS1_11target_archE1030ELNS1_3gpuE2ELNS1_3repE0EEENS1_30default_config_static_selectorELNS0_4arch9wavefront6targetE0EEEvT1_.has_indirect_call, 0
	.section	.AMDGPU.csdata,"",@progbits
; Kernel info:
; codeLenInByte = 0
; TotalNumSgprs: 0
; NumVgprs: 0
; ScratchSize: 0
; MemoryBound: 0
; FloatMode: 240
; IeeeMode: 1
; LDSByteSize: 0 bytes/workgroup (compile time only)
; SGPRBlocks: 0
; VGPRBlocks: 0
; NumSGPRsForWavesPerEU: 1
; NumVGPRsForWavesPerEU: 1
; NamedBarCnt: 0
; Occupancy: 16
; WaveLimiterHint : 0
; COMPUTE_PGM_RSRC2:SCRATCH_EN: 0
; COMPUTE_PGM_RSRC2:USER_SGPR: 2
; COMPUTE_PGM_RSRC2:TRAP_HANDLER: 0
; COMPUTE_PGM_RSRC2:TGID_X_EN: 1
; COMPUTE_PGM_RSRC2:TGID_Y_EN: 0
; COMPUTE_PGM_RSRC2:TGID_Z_EN: 0
; COMPUTE_PGM_RSRC2:TIDIG_COMP_CNT: 0
	.section	.text._ZN7rocprim17ROCPRIM_400000_NS6detail17trampoline_kernelINS0_14default_configENS1_25partition_config_selectorILNS1_17partition_subalgoE9EllbEEZZNS1_14partition_implILS5_9ELb0ES3_jPlS8_PNS0_10empty_typeENS0_5tupleIJS8_S9_EEENSB_IJS8_SA_EEENS0_18inequality_wrapperIZN2at6native12_GLOBAL__N_124unique_dim_cuda_templateIiEESt5tupleIJNSF_6TensorESK_SK_EERKSK_lbbbEUlllE0_EEPmJS9_EEE10hipError_tPvRmT3_T4_T5_T6_T7_T9_mT8_P12ihipStream_tbDpT10_ENKUlT_T0_E_clISt17integral_constantIbLb0EES19_IbLb1EEEEDaS15_S16_EUlS15_E_NS1_11comp_targetILNS1_3genE0ELNS1_11target_archE4294967295ELNS1_3gpuE0ELNS1_3repE0EEENS1_30default_config_static_selectorELNS0_4arch9wavefront6targetE0EEEvT1_,"axG",@progbits,_ZN7rocprim17ROCPRIM_400000_NS6detail17trampoline_kernelINS0_14default_configENS1_25partition_config_selectorILNS1_17partition_subalgoE9EllbEEZZNS1_14partition_implILS5_9ELb0ES3_jPlS8_PNS0_10empty_typeENS0_5tupleIJS8_S9_EEENSB_IJS8_SA_EEENS0_18inequality_wrapperIZN2at6native12_GLOBAL__N_124unique_dim_cuda_templateIiEESt5tupleIJNSF_6TensorESK_SK_EERKSK_lbbbEUlllE0_EEPmJS9_EEE10hipError_tPvRmT3_T4_T5_T6_T7_T9_mT8_P12ihipStream_tbDpT10_ENKUlT_T0_E_clISt17integral_constantIbLb0EES19_IbLb1EEEEDaS15_S16_EUlS15_E_NS1_11comp_targetILNS1_3genE0ELNS1_11target_archE4294967295ELNS1_3gpuE0ELNS1_3repE0EEENS1_30default_config_static_selectorELNS0_4arch9wavefront6targetE0EEEvT1_,comdat
	.globl	_ZN7rocprim17ROCPRIM_400000_NS6detail17trampoline_kernelINS0_14default_configENS1_25partition_config_selectorILNS1_17partition_subalgoE9EllbEEZZNS1_14partition_implILS5_9ELb0ES3_jPlS8_PNS0_10empty_typeENS0_5tupleIJS8_S9_EEENSB_IJS8_SA_EEENS0_18inequality_wrapperIZN2at6native12_GLOBAL__N_124unique_dim_cuda_templateIiEESt5tupleIJNSF_6TensorESK_SK_EERKSK_lbbbEUlllE0_EEPmJS9_EEE10hipError_tPvRmT3_T4_T5_T6_T7_T9_mT8_P12ihipStream_tbDpT10_ENKUlT_T0_E_clISt17integral_constantIbLb0EES19_IbLb1EEEEDaS15_S16_EUlS15_E_NS1_11comp_targetILNS1_3genE0ELNS1_11target_archE4294967295ELNS1_3gpuE0ELNS1_3repE0EEENS1_30default_config_static_selectorELNS0_4arch9wavefront6targetE0EEEvT1_ ; -- Begin function _ZN7rocprim17ROCPRIM_400000_NS6detail17trampoline_kernelINS0_14default_configENS1_25partition_config_selectorILNS1_17partition_subalgoE9EllbEEZZNS1_14partition_implILS5_9ELb0ES3_jPlS8_PNS0_10empty_typeENS0_5tupleIJS8_S9_EEENSB_IJS8_SA_EEENS0_18inequality_wrapperIZN2at6native12_GLOBAL__N_124unique_dim_cuda_templateIiEESt5tupleIJNSF_6TensorESK_SK_EERKSK_lbbbEUlllE0_EEPmJS9_EEE10hipError_tPvRmT3_T4_T5_T6_T7_T9_mT8_P12ihipStream_tbDpT10_ENKUlT_T0_E_clISt17integral_constantIbLb0EES19_IbLb1EEEEDaS15_S16_EUlS15_E_NS1_11comp_targetILNS1_3genE0ELNS1_11target_archE4294967295ELNS1_3gpuE0ELNS1_3repE0EEENS1_30default_config_static_selectorELNS0_4arch9wavefront6targetE0EEEvT1_
	.p2align	8
	.type	_ZN7rocprim17ROCPRIM_400000_NS6detail17trampoline_kernelINS0_14default_configENS1_25partition_config_selectorILNS1_17partition_subalgoE9EllbEEZZNS1_14partition_implILS5_9ELb0ES3_jPlS8_PNS0_10empty_typeENS0_5tupleIJS8_S9_EEENSB_IJS8_SA_EEENS0_18inequality_wrapperIZN2at6native12_GLOBAL__N_124unique_dim_cuda_templateIiEESt5tupleIJNSF_6TensorESK_SK_EERKSK_lbbbEUlllE0_EEPmJS9_EEE10hipError_tPvRmT3_T4_T5_T6_T7_T9_mT8_P12ihipStream_tbDpT10_ENKUlT_T0_E_clISt17integral_constantIbLb0EES19_IbLb1EEEEDaS15_S16_EUlS15_E_NS1_11comp_targetILNS1_3genE0ELNS1_11target_archE4294967295ELNS1_3gpuE0ELNS1_3repE0EEENS1_30default_config_static_selectorELNS0_4arch9wavefront6targetE0EEEvT1_,@function
_ZN7rocprim17ROCPRIM_400000_NS6detail17trampoline_kernelINS0_14default_configENS1_25partition_config_selectorILNS1_17partition_subalgoE9EllbEEZZNS1_14partition_implILS5_9ELb0ES3_jPlS8_PNS0_10empty_typeENS0_5tupleIJS8_S9_EEENSB_IJS8_SA_EEENS0_18inequality_wrapperIZN2at6native12_GLOBAL__N_124unique_dim_cuda_templateIiEESt5tupleIJNSF_6TensorESK_SK_EERKSK_lbbbEUlllE0_EEPmJS9_EEE10hipError_tPvRmT3_T4_T5_T6_T7_T9_mT8_P12ihipStream_tbDpT10_ENKUlT_T0_E_clISt17integral_constantIbLb0EES19_IbLb1EEEEDaS15_S16_EUlS15_E_NS1_11comp_targetILNS1_3genE0ELNS1_11target_archE4294967295ELNS1_3gpuE0ELNS1_3repE0EEENS1_30default_config_static_selectorELNS0_4arch9wavefront6targetE0EEEvT1_: ; @_ZN7rocprim17ROCPRIM_400000_NS6detail17trampoline_kernelINS0_14default_configENS1_25partition_config_selectorILNS1_17partition_subalgoE9EllbEEZZNS1_14partition_implILS5_9ELb0ES3_jPlS8_PNS0_10empty_typeENS0_5tupleIJS8_S9_EEENSB_IJS8_SA_EEENS0_18inequality_wrapperIZN2at6native12_GLOBAL__N_124unique_dim_cuda_templateIiEESt5tupleIJNSF_6TensorESK_SK_EERKSK_lbbbEUlllE0_EEPmJS9_EEE10hipError_tPvRmT3_T4_T5_T6_T7_T9_mT8_P12ihipStream_tbDpT10_ENKUlT_T0_E_clISt17integral_constantIbLb0EES19_IbLb1EEEEDaS15_S16_EUlS15_E_NS1_11comp_targetILNS1_3genE0ELNS1_11target_archE4294967295ELNS1_3gpuE0ELNS1_3repE0EEENS1_30default_config_static_selectorELNS0_4arch9wavefront6targetE0EEEvT1_
; %bb.0:
	s_clause 0x3
	s_load_b128 s[4:7], s[0:1], 0x8
	s_load_b64 s[24:25], s[0:1], 0x18
	s_load_b256 s[12:19], s[0:1], 0x40
	s_load_b128 s[8:11], s[0:1], 0x60
	v_cmp_ne_u32_e64 s3, 0, v0
	v_cmp_eq_u32_e64 s2, 0, v0
	s_and_saveexec_b32 s20, s2
	s_cbranch_execz .LBB497_4
; %bb.1:
	s_mov_b32 s22, exec_lo
	s_mov_b32 s21, exec_lo
	v_mbcnt_lo_u32_b32 v1, s22, 0
                                        ; implicit-def: $vgpr2
	s_delay_alu instid0(VALU_DEP_1)
	v_cmpx_eq_u32_e32 0, v1
	s_cbranch_execz .LBB497_3
; %bb.2:
	s_load_b64 s[26:27], s[0:1], 0x78
	s_bcnt1_i32_b32 s22, s22
	s_delay_alu instid0(SALU_CYCLE_1)
	v_dual_mov_b32 v2, 0 :: v_dual_mov_b32 v3, s22
	s_wait_xcnt 0x0
	s_wait_kmcnt 0x0
	global_atomic_add_u32 v2, v2, v3, s[26:27] th:TH_ATOMIC_RETURN scope:SCOPE_DEV
.LBB497_3:
	s_wait_xcnt 0x0
	s_or_b32 exec_lo, exec_lo, s21
	s_wait_loadcnt 0x0
	v_readfirstlane_b32 s21, v2
	s_delay_alu instid0(VALU_DEP_1)
	v_dual_mov_b32 v2, 0 :: v_dual_add_nc_u32 v1, s21, v1
	ds_store_b32 v2, v1
.LBB497_4:
	s_or_b32 exec_lo, exec_lo, s20
	v_mov_b32_e32 v1, 0
	s_clause 0x1
	s_load_b128 s[20:23], s[0:1], 0x28
	s_load_b32 s28, s[0:1], 0x70
	s_wait_dscnt 0x0
	s_barrier_signal -1
	s_barrier_wait -1
	ds_load_b32 v4, v1
	s_wait_dscnt 0x0
	s_barrier_signal -1
	s_barrier_wait -1
	s_wait_kmcnt 0x0
	global_load_b64 v[2:3], v1, s[14:15]
	s_wait_xcnt 0x0
	s_mov_b32 s15, 0
	s_lshl_b64 s[26:27], s[6:7], 3
	v_lshlrev_b32_e32 v1, 3, v0
	s_add_nc_u64 s[4:5], s[4:5], s[26:27]
	s_mov_b32 s1, -1
	s_mul_i32 s14, s28, 0x280
	s_add_co_i32 s28, s28, -1
	s_add_co_i32 s0, s14, s6
	s_add_nc_u64 s[34:35], s[6:7], s[14:15]
	s_sub_co_i32 s31, s16, s0
	v_readfirstlane_b32 s30, v4
	v_cmp_le_u64_e64 s0, s[16:17], s[34:35]
	s_addk_co_i32 s31, 0x280
	s_cmp_eq_u32 s30, s28
	s_mul_i32 s14, s30, 0x280
	s_cselect_b32 s28, -1, 0
	s_lshl_b64 s[16:17], s[14:15], 3
	s_and_b32 s33, s0, s28
	s_add_nc_u64 s[4:5], s[4:5], s[16:17]
	s_xor_b32 s29, s33, -1
	s_delay_alu instid0(SALU_CYCLE_1)
	s_and_b32 vcc_lo, exec_lo, s29
	s_wait_loadcnt 0x0
	v_readfirstlane_b32 s14, v2
	v_readfirstlane_b32 s15, v3
	s_cbranch_vccz .LBB497_6
; %bb.5:
	s_clause 0x4
	global_load_b64 v[2:3], v0, s[4:5] scale_offset
	global_load_b64 v[4:5], v0, s[4:5] offset:1024 scale_offset
	global_load_b64 v[6:7], v0, s[4:5] offset:2048 scale_offset
	;; [unrolled: 1-line block ×4, first 2 shown]
	v_lshlrev_b32_e32 v12, 3, v0
	s_mov_b32 s1, 0
	s_wait_loadcnt 0x3
	ds_store_2addr_stride64_b64 v12, v[2:3], v[4:5] offset1:2
	s_wait_loadcnt 0x1
	ds_store_2addr_stride64_b64 v12, v[6:7], v[8:9] offset0:4 offset1:6
	s_wait_loadcnt 0x0
	ds_store_b64 v12, v[10:11] offset:4096
	s_wait_dscnt 0x0
	s_barrier_signal -1
	s_barrier_wait -1
.LBB497_6:
	v_cmp_gt_u32_e64 s0, s31, v0
	s_and_not1_b32 vcc_lo, exec_lo, s1
	s_cbranch_vccnz .LBB497_18
; %bb.7:
	v_mov_b32_e32 v2, 0
	s_delay_alu instid0(VALU_DEP_1)
	v_dual_mov_b32 v3, v2 :: v_dual_mov_b32 v4, v2
	v_dual_mov_b32 v5, v2 :: v_dual_mov_b32 v6, v2
	;; [unrolled: 1-line block ×4, first 2 shown]
	v_mov_b32_e32 v11, v2
	s_and_saveexec_b32 s1, s0
	s_cbranch_execz .LBB497_9
; %bb.8:
	global_load_b64 v[4:5], v0, s[4:5] scale_offset
	v_dual_mov_b32 v6, v2 :: v_dual_mov_b32 v7, v2
	v_dual_mov_b32 v8, v2 :: v_dual_mov_b32 v9, v2
	;; [unrolled: 1-line block ×4, first 2 shown]
	s_wait_loadcnt 0x0
	v_mov_b64_e32 v[2:3], v[4:5]
	v_mov_b64_e32 v[4:5], v[6:7]
	;; [unrolled: 1-line block ×8, first 2 shown]
.LBB497_9:
	s_or_b32 exec_lo, exec_lo, s1
	v_or_b32_e32 v12, 0x80, v0
	s_mov_b32 s0, exec_lo
	s_delay_alu instid0(VALU_DEP_1)
	v_cmpx_gt_u32_e64 s31, v12
	s_cbranch_execz .LBB497_11
; %bb.10:
	global_load_b64 v[4:5], v0, s[4:5] offset:1024 scale_offset
.LBB497_11:
	s_wait_xcnt 0x0
	s_or_b32 exec_lo, exec_lo, s0
	v_or_b32_e32 v12, 0x100, v0
	s_mov_b32 s0, exec_lo
	s_delay_alu instid0(VALU_DEP_1)
	v_cmpx_gt_u32_e64 s31, v12
	s_cbranch_execz .LBB497_13
; %bb.12:
	global_load_b64 v[6:7], v0, s[4:5] offset:2048 scale_offset
.LBB497_13:
	s_wait_xcnt 0x0
	;; [unrolled: 10-line block ×4, first 2 shown]
	s_or_b32 exec_lo, exec_lo, s0
	v_lshlrev_b32_e32 v12, 3, v0
	s_wait_loadcnt 0x0
	ds_store_2addr_stride64_b64 v12, v[2:3], v[4:5] offset1:2
	ds_store_2addr_stride64_b64 v12, v[6:7], v[8:9] offset0:4 offset1:6
	ds_store_b64 v12, v[10:11] offset:4096
	s_wait_dscnt 0x0
	s_barrier_signal -1
	s_barrier_wait -1
.LBB497_18:
	v_mul_u32_u24_e32 v30, 5, v0
	s_add_nc_u64 s[0:1], s[24:25], s[26:27]
	s_and_b32 vcc_lo, exec_lo, s29
	s_add_nc_u64 s[0:1], s[0:1], s[16:17]
	s_delay_alu instid0(VALU_DEP_1)
	v_lshlrev_b32_e32 v31, 3, v30
	s_mov_b32 s16, -1
	ds_load_2addr_b64 v[14:17], v31 offset1:1
	ds_load_2addr_b64 v[10:13], v31 offset0:2 offset1:3
	ds_load_b64 v[20:21], v31 offset:32
	s_wait_dscnt 0x0
	s_barrier_signal -1
	s_barrier_wait -1
	s_cbranch_vccz .LBB497_20
; %bb.19:
	s_clause 0x4
	global_load_b64 v[2:3], v0, s[0:1] scale_offset
	global_load_b64 v[4:5], v0, s[0:1] offset:1024 scale_offset
	global_load_b64 v[6:7], v0, s[0:1] offset:2048 scale_offset
	;; [unrolled: 1-line block ×4, first 2 shown]
	v_lshlrev_b32_e32 v22, 3, v0
	s_mov_b32 s16, 0
	s_wait_loadcnt 0x3
	ds_store_2addr_stride64_b64 v22, v[2:3], v[4:5] offset1:2
	s_wait_loadcnt 0x1
	ds_store_2addr_stride64_b64 v22, v[6:7], v[8:9] offset0:4 offset1:6
	s_wait_loadcnt 0x0
	ds_store_b64 v22, v[18:19] offset:4096
	s_wait_dscnt 0x0
	s_barrier_signal -1
	s_barrier_wait -1
.LBB497_20:
	s_and_not1_b32 vcc_lo, exec_lo, s16
	s_cbranch_vccnz .LBB497_32
; %bb.21:
	s_mov_b32 s16, exec_lo
                                        ; implicit-def: $vgpr2_vgpr3
	v_cmpx_gt_u32_e64 s31, v0
	s_cbranch_execz .LBB497_23
; %bb.22:
	global_load_b64 v[2:3], v0, s[0:1] scale_offset
.LBB497_23:
	s_wait_xcnt 0x0
	s_or_b32 exec_lo, exec_lo, s16
	v_or_b32_e32 v4, 0x80, v0
	s_delay_alu instid0(VALU_DEP_1)
	v_cmp_gt_u32_e32 vcc_lo, s31, v4
                                        ; implicit-def: $vgpr4_vgpr5
	s_and_saveexec_b32 s16, vcc_lo
	s_cbranch_execz .LBB497_25
; %bb.24:
	global_load_b64 v[4:5], v0, s[0:1] offset:1024 scale_offset
.LBB497_25:
	s_wait_xcnt 0x0
	s_or_b32 exec_lo, exec_lo, s16
	v_or_b32_e32 v6, 0x100, v0
	s_delay_alu instid0(VALU_DEP_1)
	v_cmp_gt_u32_e32 vcc_lo, s31, v6
                                        ; implicit-def: $vgpr6_vgpr7
	s_and_saveexec_b32 s16, vcc_lo
	s_cbranch_execz .LBB497_27
; %bb.26:
	global_load_b64 v[6:7], v0, s[0:1] offset:2048 scale_offset
.LBB497_27:
	s_wait_xcnt 0x0
	s_or_b32 exec_lo, exec_lo, s16
	v_or_b32_e32 v8, 0x180, v0
	s_delay_alu instid0(VALU_DEP_1)
	v_cmp_gt_u32_e32 vcc_lo, s31, v8
                                        ; implicit-def: $vgpr8_vgpr9
	s_and_saveexec_b32 s16, vcc_lo
	s_cbranch_execz .LBB497_29
; %bb.28:
	global_load_b64 v[8:9], v0, s[0:1] offset:3072 scale_offset
.LBB497_29:
	s_wait_xcnt 0x0
	s_or_b32 exec_lo, exec_lo, s16
	v_or_b32_e32 v18, 0x200, v0
	s_delay_alu instid0(VALU_DEP_1)
	v_cmp_gt_u32_e32 vcc_lo, s31, v18
                                        ; implicit-def: $vgpr18_vgpr19
	s_and_saveexec_b32 s16, vcc_lo
	s_cbranch_execz .LBB497_31
; %bb.30:
	global_load_b64 v[18:19], v0, s[0:1] offset:4096 scale_offset
.LBB497_31:
	s_wait_xcnt 0x0
	s_or_b32 exec_lo, exec_lo, s16
	v_lshlrev_b32_e32 v22, 5, v0
	s_delay_alu instid0(VALU_DEP_1)
	v_sub_nc_u32_e32 v22, v31, v22
	s_wait_loadcnt 0x0
	ds_store_2addr_stride64_b64 v22, v[2:3], v[4:5] offset1:2
	ds_store_2addr_stride64_b64 v22, v[6:7], v[8:9] offset0:4 offset1:6
	ds_store_b64 v22, v[18:19] offset:4096
	s_wait_dscnt 0x0
	s_barrier_signal -1
	s_barrier_wait -1
.LBB497_32:
	ds_load_b64 v[18:19], v31 offset:32
	ds_load_2addr_b64 v[2:5], v31 offset0:2 offset1:3
	ds_load_2addr_b64 v[6:9], v31 offset1:1
	s_cmp_lg_u32 s30, 0
	s_wait_dscnt 0x0
	s_cselect_b32 s16, -1, 0
	s_cmp_lg_u64 s[6:7], 0
	v_cmp_gt_i64_e64 s7, s[18:19], 0
	s_cselect_b32 s0, -1, 0
	s_mov_b32 s6, 0
	s_or_b32 s0, s0, s16
	s_barrier_signal -1
	s_and_b32 vcc_lo, exec_lo, s0
	s_barrier_wait -1
	s_cbranch_vccz .LBB497_44
; %bb.33:
	v_dual_mov_b32 v26, 0 :: v_dual_lshlrev_b32 v33, 3, v0
	v_cndmask_b32_e64 v32, 0, 1, s7
	s_and_b32 vcc_lo, exec_lo, s29
	global_load_b64 v[22:23], v26, s[4:5] offset:-8
	ds_store_b64 v33, v[20:21]
	v_cmp_ne_u32_e64 s0, 1, v32
	s_cbranch_vccz .LBB497_46
; %bb.34:
	s_and_b32 vcc_lo, exec_lo, s0
	s_cbranch_vccnz .LBB497_47
; %bb.35:
	v_mul_u64_e32 v[24:25], s[18:19], v[12:13]
	s_wait_xcnt 0x0
	v_mul_u64_e32 v[26:27], s[18:19], v[20:21]
	s_add_nc_u64 s[4:5], s[18:19], -1
	s_mov_b32 s17, 0
	s_mov_b64 s[0:1], s[4:5]
                                        ; implicit-def: $sgpr6
	s_delay_alu instid0(VALU_DEP_2) | instskip(NEXT) | instid1(VALU_DEP_2)
	v_lshl_add_u64 v[24:25], v[24:25], 2, s[8:9]
	v_lshl_add_u64 v[26:27], v[26:27], 2, s[8:9]
	s_delay_alu instid0(VALU_DEP_2)
	v_mov_b64_e32 v[28:29], v[24:25]
.LBB497_36:                             ; =>This Inner Loop Header: Depth=1
	global_load_b32 v34, v[28:29], off
	global_load_b32 v35, v[26:27], off
	s_cmp_eq_u64 s[0:1], 0
	s_add_nc_u64 s[24:25], s[0:1], -1
	s_cselect_b32 s1, -1, 0
	s_wait_xcnt 0x1
	v_add_nc_u64_e32 v[28:29], 4, v[28:29]
	s_wait_xcnt 0x0
	v_add_nc_u64_e32 v[26:27], 4, v[26:27]
	s_wait_loadcnt 0x0
	v_cmp_ne_u32_e32 vcc_lo, v34, v35
	v_cmp_eq_u32_e64 s0, v34, v35
	s_or_b32 s1, vcc_lo, s1
	s_delay_alu instid0(SALU_CYCLE_1) | instskip(NEXT) | instid1(SALU_CYCLE_1)
	s_and_b32 s1, exec_lo, s1
	s_or_b32 s17, s1, s17
	s_and_not1_b32 s6, s6, exec_lo
	s_and_b32 s26, s0, exec_lo
	s_mov_b64 s[0:1], s[24:25]
	s_or_b32 s6, s6, s26
	s_and_not1_b32 exec_lo, exec_lo, s17
	s_cbranch_execnz .LBB497_36
; %bb.37:
	s_or_b32 exec_lo, exec_lo, s17
	v_mul_u64_e32 v[26:27], s[18:19], v[10:11]
	s_mov_b32 s24, 0
	s_mov_b64 s[0:1], s[4:5]
                                        ; implicit-def: $sgpr17
	s_delay_alu instid0(VALU_DEP_1) | instskip(NEXT) | instid1(VALU_DEP_1)
	v_lshl_add_u64 v[26:27], v[26:27], 2, s[8:9]
	v_mov_b64_e32 v[28:29], v[26:27]
.LBB497_38:                             ; =>This Inner Loop Header: Depth=1
	global_load_b32 v34, v[28:29], off
	global_load_b32 v35, v[24:25], off
	s_cmp_eq_u64 s[0:1], 0
	s_add_nc_u64 s[26:27], s[0:1], -1
	s_cselect_b32 s1, -1, 0
	s_wait_xcnt 0x1
	v_add_nc_u64_e32 v[28:29], 4, v[28:29]
	s_wait_xcnt 0x0
	v_add_nc_u64_e32 v[24:25], 4, v[24:25]
	s_wait_loadcnt 0x0
	v_cmp_ne_u32_e32 vcc_lo, v34, v35
	v_cmp_eq_u32_e64 s0, v34, v35
	s_or_b32 s1, vcc_lo, s1
	s_delay_alu instid0(SALU_CYCLE_1) | instskip(NEXT) | instid1(SALU_CYCLE_1)
	s_and_b32 s1, exec_lo, s1
	s_or_b32 s24, s1, s24
	s_and_not1_b32 s17, s17, exec_lo
	s_and_b32 s25, s0, exec_lo
	s_mov_b64 s[0:1], s[26:27]
	s_or_b32 s17, s17, s25
	s_and_not1_b32 exec_lo, exec_lo, s24
	s_cbranch_execnz .LBB497_38
; %bb.39:
	s_or_b32 exec_lo, exec_lo, s24
	v_mul_u64_e32 v[24:25], s[18:19], v[16:17]
	s_mov_b32 s25, 0
	s_mov_b64 s[0:1], s[4:5]
                                        ; implicit-def: $sgpr24
	s_delay_alu instid0(VALU_DEP_1) | instskip(NEXT) | instid1(VALU_DEP_1)
	v_lshl_add_u64 v[24:25], v[24:25], 2, s[8:9]
	v_mov_b64_e32 v[28:29], v[24:25]
.LBB497_40:                             ; =>This Inner Loop Header: Depth=1
	global_load_b32 v34, v[28:29], off
	global_load_b32 v35, v[26:27], off
	s_cmp_eq_u64 s[0:1], 0
	s_add_nc_u64 s[26:27], s[0:1], -1
	s_cselect_b32 s1, -1, 0
	s_wait_xcnt 0x1
	v_add_nc_u64_e32 v[28:29], 4, v[28:29]
	s_wait_xcnt 0x0
	v_add_nc_u64_e32 v[26:27], 4, v[26:27]
	s_wait_loadcnt 0x0
	v_cmp_ne_u32_e32 vcc_lo, v34, v35
	v_cmp_eq_u32_e64 s0, v34, v35
	s_or_b32 s1, vcc_lo, s1
	s_delay_alu instid0(SALU_CYCLE_1) | instskip(NEXT) | instid1(SALU_CYCLE_1)
	s_and_b32 s1, exec_lo, s1
	s_or_b32 s25, s1, s25
	s_and_not1_b32 s24, s24, exec_lo
	s_and_b32 s34, s0, exec_lo
	s_mov_b64 s[0:1], s[26:27]
	s_or_b32 s24, s24, s34
	s_and_not1_b32 exec_lo, exec_lo, s25
	s_cbranch_execnz .LBB497_40
; %bb.41:
	s_or_b32 exec_lo, exec_lo, s25
	v_mul_u64_e32 v[26:27], s[18:19], v[14:15]
	s_mov_b32 s25, 0
                                        ; implicit-def: $sgpr1
	s_delay_alu instid0(VALU_DEP_1)
	v_lshl_add_u64 v[26:27], v[26:27], 2, s[8:9]
.LBB497_42:                             ; =>This Inner Loop Header: Depth=1
	global_load_b32 v28, v[26:27], off
	global_load_b32 v29, v[24:25], off
	s_cmp_eq_u64 s[4:5], 0
	s_add_nc_u64 s[26:27], s[4:5], -1
	s_cselect_b32 s4, -1, 0
	s_wait_xcnt 0x1
	v_add_nc_u64_e32 v[26:27], 4, v[26:27]
	s_wait_xcnt 0x0
	v_add_nc_u64_e32 v[24:25], 4, v[24:25]
	s_wait_loadcnt 0x0
	v_cmp_ne_u32_e32 vcc_lo, v28, v29
	v_cmp_eq_u32_e64 s0, v28, v29
	s_or_b32 s4, vcc_lo, s4
	s_delay_alu instid0(SALU_CYCLE_1) | instskip(NEXT) | instid1(SALU_CYCLE_1)
	s_and_b32 s4, exec_lo, s4
	s_or_b32 s25, s4, s25
	s_and_not1_b32 s1, s1, exec_lo
	s_and_b32 s0, s0, exec_lo
	s_mov_b64 s[4:5], s[26:27]
	s_or_b32 s1, s1, s0
	s_and_not1_b32 exec_lo, exec_lo, s25
	s_cbranch_execnz .LBB497_42
; %bb.43:
	s_or_b32 exec_lo, exec_lo, s25
	s_xor_b32 s0, s17, -1
	s_delay_alu instid0(SALU_CYCLE_1) | instskip(SKIP_1) | instid1(SALU_CYCLE_1)
	v_cndmask_b32_e64 v24, 0, 1, s0
	s_xor_b32 s0, s24, -1
	v_cndmask_b32_e64 v25, 0, 1, s0
	s_xor_b32 s0, s6, -1
	s_delay_alu instid0(VALU_DEP_2) | instskip(SKIP_2) | instid1(VALU_DEP_2)
	v_lshlrev_b16 v24, 8, v24
	v_cndmask_b32_e64 v34, 0, 1, s0
	s_xor_b32 s0, s1, -1
	v_lshrrev_b32_e32 v24, 8, v24
	s_delay_alu instid0(VALU_DEP_1) | instskip(NEXT) | instid1(VALU_DEP_1)
	v_lshlrev_b16 v24, 8, v24
	v_or_b32_e32 v24, v25, v24
	s_delay_alu instid0(VALU_DEP_1)
	v_lshlrev_b32_e32 v26, 16, v24
	s_branch .LBB497_48
.LBB497_44:
                                        ; implicit-def: $sgpr0
                                        ; implicit-def: $vgpr34
                                        ; implicit-def: $vgpr25
	s_branch .LBB497_89
.LBB497_45:
                                        ; implicit-def: $vgpr24
                                        ; implicit-def: $vgpr23
                                        ; implicit-def: $vgpr35
                                        ; implicit-def: $vgpr22
	s_branch .LBB497_142
.LBB497_46:
	s_wait_xcnt 0x0
                                        ; implicit-def: $sgpr0
                                        ; implicit-def: $vgpr34
                                        ; implicit-def: $vgpr25
	s_cbranch_execnz .LBB497_55
	s_branch .LBB497_88
.LBB497_47:
	v_mov_b32_e32 v34, 0
	s_mov_b32 s0, 0
.LBB497_48:
	s_wait_loadcnt 0x0
	v_mov_b64_e32 v[24:25], v[22:23]
	s_wait_dscnt 0x0
	s_barrier_signal -1
	s_barrier_wait -1
	s_and_saveexec_b32 s1, s3
; %bb.49:
	v_add_nc_u32_e32 v24, -8, v33
	ds_load_b64 v[24:25], v24
; %bb.50:
	s_or_b32 exec_lo, exec_lo, s1
	v_cndmask_b32_e64 v27, 0, 1, s0
	v_lshrrev_b32_e32 v28, 16, v26
	s_mov_b32 s4, 0
	s_and_not1_b32 vcc_lo, exec_lo, s7
	s_mov_b32 s0, 0
	v_lshlrev_b16 v27, 8, v27
	v_perm_b32 v28, v28, v26, 0xc0c0304
	s_delay_alu instid0(VALU_DEP_2) | instskip(NEXT) | instid1(VALU_DEP_1)
	v_bitop3_b16 v27, v26, v27, 0xff bitop3:0xec
	v_and_b32_e32 v29, 0xffff, v27
	s_cbranch_vccnz .LBB497_54
; %bb.51:
	s_wait_dscnt 0x0
	v_mul_u64_e32 v[24:25], s[18:19], v[24:25]
	v_mul_u64_e32 v[26:27], s[18:19], v[14:15]
	s_add_nc_u64 s[0:1], s[18:19], -1
	s_mov_b32 s5, 0
                                        ; implicit-def: $sgpr6
	s_delay_alu instid0(VALU_DEP_2) | instskip(NEXT) | instid1(VALU_DEP_2)
	v_lshl_add_u64 v[24:25], v[24:25], 2, s[8:9]
	v_lshl_add_u64 v[26:27], v[26:27], 2, s[8:9]
.LBB497_52:                             ; =>This Inner Loop Header: Depth=1
	global_load_b32 v35, v[24:25], off
	global_load_b32 v36, v[26:27], off
	s_cmp_eq_u64 s[0:1], 0
	s_add_nc_u64 s[24:25], s[0:1], -1
	s_cselect_b32 s1, -1, 0
	s_wait_xcnt 0x1
	v_add_nc_u64_e32 v[24:25], 4, v[24:25]
	s_wait_xcnt 0x0
	v_add_nc_u64_e32 v[26:27], 4, v[26:27]
	s_wait_loadcnt 0x0
	v_cmp_ne_u32_e32 vcc_lo, v35, v36
	v_cmp_eq_u32_e64 s0, v35, v36
	s_or_b32 s1, vcc_lo, s1
	s_delay_alu instid0(SALU_CYCLE_1) | instskip(NEXT) | instid1(SALU_CYCLE_1)
	s_and_b32 s1, exec_lo, s1
	s_or_b32 s5, s1, s5
	s_and_not1_b32 s6, s6, exec_lo
	s_and_b32 s17, s0, exec_lo
	s_mov_b64 s[0:1], s[24:25]
	s_or_b32 s6, s6, s17
	s_and_not1_b32 exec_lo, exec_lo, s5
	s_cbranch_execnz .LBB497_52
; %bb.53:
	s_or_b32 exec_lo, exec_lo, s5
	s_xor_b32 s0, s6, -1
.LBB497_54:
	s_wait_dscnt 0x0
	s_delay_alu instid0(VALU_DEP_1)
	v_lshl_or_b32 v25, v28, 16, v29
	s_and_b32 vcc_lo, exec_lo, s4
	s_cbranch_vccz .LBB497_88
.LBB497_55:
	v_add_nc_u32_e32 v24, 4, v30
	s_mov_b32 s5, 0
	s_mov_b32 s4, 0
	s_mov_b32 s6, exec_lo
	s_delay_alu instid0(VALU_DEP_1)
	v_cmpx_gt_u32_e64 s31, v24
	s_cbranch_execz .LBB497_61
; %bb.56:
	s_and_not1_b32 vcc_lo, exec_lo, s7
	s_mov_b32 s0, 0
	s_cbranch_vccnz .LBB497_60
; %bb.57:
	v_mul_u64_e32 v[24:25], s[18:19], v[12:13]
	v_mul_u64_e32 v[26:27], s[18:19], v[20:21]
	s_add_nc_u64 s[0:1], s[18:19], -1
                                        ; implicit-def: $sgpr7
	s_delay_alu instid0(VALU_DEP_2) | instskip(NEXT) | instid1(VALU_DEP_2)
	v_lshl_add_u64 v[24:25], v[24:25], 2, s[8:9]
	v_lshl_add_u64 v[26:27], v[26:27], 2, s[8:9]
.LBB497_58:                             ; =>This Inner Loop Header: Depth=1
	global_load_b32 v28, v[24:25], off
	global_load_b32 v29, v[26:27], off
	s_cmp_eq_u64 s[0:1], 0
	s_add_nc_u64 s[24:25], s[0:1], -1
	s_cselect_b32 s1, -1, 0
	s_wait_xcnt 0x1
	v_add_nc_u64_e32 v[24:25], 4, v[24:25]
	s_wait_xcnt 0x0
	v_add_nc_u64_e32 v[26:27], 4, v[26:27]
	s_wait_loadcnt 0x0
	v_cmp_ne_u32_e32 vcc_lo, v28, v29
	v_cmp_eq_u32_e64 s0, v28, v29
	s_or_b32 s1, vcc_lo, s1
	s_delay_alu instid0(SALU_CYCLE_1) | instskip(NEXT) | instid1(SALU_CYCLE_1)
	s_and_b32 s1, exec_lo, s1
	s_or_b32 s4, s1, s4
	s_and_not1_b32 s7, s7, exec_lo
	s_and_b32 s17, s0, exec_lo
	s_mov_b64 s[0:1], s[24:25]
	s_or_b32 s7, s7, s17
	s_and_not1_b32 exec_lo, exec_lo, s4
	s_cbranch_execnz .LBB497_58
; %bb.59:
	s_or_b32 exec_lo, exec_lo, s4
	s_xor_b32 s0, s7, -1
.LBB497_60:
	s_delay_alu instid0(SALU_CYCLE_1)
	s_and_b32 s4, s0, exec_lo
.LBB497_61:
	s_or_b32 exec_lo, exec_lo, s6
	v_add_nc_u32_e32 v24, 3, v30
	s_mov_b32 s6, exec_lo
	s_delay_alu instid0(VALU_DEP_1)
	v_cmpx_gt_u32_e64 s31, v24
	s_cbranch_execz .LBB497_67
; %bb.62:
	v_cmp_ne_u32_e32 vcc_lo, 1, v32
	s_mov_b32 s0, 0
	s_cbranch_vccnz .LBB497_66
; %bb.63:
	v_mul_u64_e32 v[24:25], s[18:19], v[10:11]
	v_mul_u64_e32 v[26:27], s[18:19], v[12:13]
	s_add_nc_u64 s[0:1], s[18:19], -1
	s_mov_b32 s5, 0
                                        ; implicit-def: $sgpr7
	s_delay_alu instid0(VALU_DEP_2) | instskip(NEXT) | instid1(VALU_DEP_2)
	v_lshl_add_u64 v[24:25], v[24:25], 2, s[8:9]
	v_lshl_add_u64 v[26:27], v[26:27], 2, s[8:9]
.LBB497_64:                             ; =>This Inner Loop Header: Depth=1
	global_load_b32 v28, v[24:25], off
	global_load_b32 v29, v[26:27], off
	s_cmp_eq_u64 s[0:1], 0
	s_add_nc_u64 s[24:25], s[0:1], -1
	s_cselect_b32 s1, -1, 0
	s_wait_xcnt 0x1
	v_add_nc_u64_e32 v[24:25], 4, v[24:25]
	s_wait_xcnt 0x0
	v_add_nc_u64_e32 v[26:27], 4, v[26:27]
	s_wait_loadcnt 0x0
	v_cmp_ne_u32_e32 vcc_lo, v28, v29
	v_cmp_eq_u32_e64 s0, v28, v29
	s_or_b32 s1, vcc_lo, s1
	s_delay_alu instid0(SALU_CYCLE_1) | instskip(NEXT) | instid1(SALU_CYCLE_1)
	s_and_b32 s1, exec_lo, s1
	s_or_b32 s5, s1, s5
	s_and_not1_b32 s7, s7, exec_lo
	s_and_b32 s17, s0, exec_lo
	s_mov_b64 s[0:1], s[24:25]
	s_or_b32 s7, s7, s17
	s_and_not1_b32 exec_lo, exec_lo, s5
	s_cbranch_execnz .LBB497_64
; %bb.65:
	s_or_b32 exec_lo, exec_lo, s5
	s_xor_b32 s0, s7, -1
.LBB497_66:
	s_delay_alu instid0(SALU_CYCLE_1)
	s_and_b32 s5, s0, exec_lo
.LBB497_67:
	s_or_b32 exec_lo, exec_lo, s6
	v_add_nc_u32_e32 v24, 2, v30
	s_mov_b32 s6, 0
	s_mov_b32 s7, 0
	s_mov_b32 s17, exec_lo
	s_delay_alu instid0(VALU_DEP_1)
	v_cmpx_gt_u32_e64 s31, v24
	s_cbranch_execz .LBB497_73
; %bb.68:
	v_cmp_ne_u32_e32 vcc_lo, 1, v32
	s_mov_b32 s0, 0
	s_cbranch_vccnz .LBB497_72
; %bb.69:
	v_mul_u64_e32 v[24:25], s[18:19], v[16:17]
	v_mul_u64_e32 v[26:27], s[18:19], v[10:11]
	s_add_nc_u64 s[0:1], s[18:19], -1
                                        ; implicit-def: $sgpr24
	s_delay_alu instid0(VALU_DEP_2) | instskip(NEXT) | instid1(VALU_DEP_2)
	v_lshl_add_u64 v[24:25], v[24:25], 2, s[8:9]
	v_lshl_add_u64 v[26:27], v[26:27], 2, s[8:9]
.LBB497_70:                             ; =>This Inner Loop Header: Depth=1
	global_load_b32 v28, v[24:25], off
	global_load_b32 v29, v[26:27], off
	s_cmp_eq_u64 s[0:1], 0
	s_add_nc_u64 s[26:27], s[0:1], -1
	s_cselect_b32 s1, -1, 0
	s_wait_xcnt 0x1
	v_add_nc_u64_e32 v[24:25], 4, v[24:25]
	s_wait_xcnt 0x0
	v_add_nc_u64_e32 v[26:27], 4, v[26:27]
	s_wait_loadcnt 0x0
	v_cmp_ne_u32_e32 vcc_lo, v28, v29
	v_cmp_eq_u32_e64 s0, v28, v29
	s_or_b32 s1, vcc_lo, s1
	s_delay_alu instid0(SALU_CYCLE_1) | instskip(NEXT) | instid1(SALU_CYCLE_1)
	s_and_b32 s1, exec_lo, s1
	s_or_b32 s7, s1, s7
	s_and_not1_b32 s24, s24, exec_lo
	s_and_b32 s25, s0, exec_lo
	s_mov_b64 s[0:1], s[26:27]
	s_or_b32 s24, s24, s25
	s_and_not1_b32 exec_lo, exec_lo, s7
	s_cbranch_execnz .LBB497_70
; %bb.71:
	s_or_b32 exec_lo, exec_lo, s7
	s_xor_b32 s0, s24, -1
.LBB497_72:
	s_delay_alu instid0(SALU_CYCLE_1)
	s_and_b32 s7, s0, exec_lo
.LBB497_73:
	s_or_b32 exec_lo, exec_lo, s17
	v_add_nc_u32_e32 v24, 1, v30
	s_mov_b32 s17, exec_lo
	s_delay_alu instid0(VALU_DEP_1)
	v_cmpx_gt_u32_e64 s31, v24
	s_cbranch_execz .LBB497_79
; %bb.74:
	v_cmp_ne_u32_e32 vcc_lo, 1, v32
	s_mov_b32 s0, 0
	s_cbranch_vccnz .LBB497_78
; %bb.75:
	v_mul_u64_e32 v[24:25], s[18:19], v[14:15]
	v_mul_u64_e32 v[26:27], s[18:19], v[16:17]
	s_add_nc_u64 s[0:1], s[18:19], -1
	s_mov_b32 s6, 0
                                        ; implicit-def: $sgpr24
	s_delay_alu instid0(VALU_DEP_2) | instskip(NEXT) | instid1(VALU_DEP_2)
	v_lshl_add_u64 v[24:25], v[24:25], 2, s[8:9]
	v_lshl_add_u64 v[26:27], v[26:27], 2, s[8:9]
.LBB497_76:                             ; =>This Inner Loop Header: Depth=1
	global_load_b32 v28, v[24:25], off
	global_load_b32 v29, v[26:27], off
	s_cmp_eq_u64 s[0:1], 0
	s_add_nc_u64 s[26:27], s[0:1], -1
	s_cselect_b32 s1, -1, 0
	s_wait_xcnt 0x1
	v_add_nc_u64_e32 v[24:25], 4, v[24:25]
	s_wait_xcnt 0x0
	v_add_nc_u64_e32 v[26:27], 4, v[26:27]
	s_wait_loadcnt 0x0
	v_cmp_ne_u32_e32 vcc_lo, v28, v29
	v_cmp_eq_u32_e64 s0, v28, v29
	s_or_b32 s1, vcc_lo, s1
	s_delay_alu instid0(SALU_CYCLE_1) | instskip(NEXT) | instid1(SALU_CYCLE_1)
	s_and_b32 s1, exec_lo, s1
	s_or_b32 s6, s1, s6
	s_and_not1_b32 s24, s24, exec_lo
	s_and_b32 s25, s0, exec_lo
	s_mov_b64 s[0:1], s[26:27]
	s_or_b32 s24, s24, s25
	s_and_not1_b32 exec_lo, exec_lo, s6
	s_cbranch_execnz .LBB497_76
; %bb.77:
	s_or_b32 exec_lo, exec_lo, s6
	s_xor_b32 s0, s24, -1
.LBB497_78:
	s_delay_alu instid0(SALU_CYCLE_1)
	s_and_b32 s6, s0, exec_lo
.LBB497_79:
	s_or_b32 exec_lo, exec_lo, s17
	s_wait_loadcnt_dscnt 0x0
	s_barrier_signal -1
	s_barrier_wait -1
	s_and_saveexec_b32 s0, s3
; %bb.80:
	v_add_nc_u32_e32 v22, -8, v33
	ds_load_b64 v[22:23], v22
; %bb.81:
	s_or_b32 exec_lo, exec_lo, s0
	v_cndmask_b32_e64 v24, 0, 1, s5
	v_cndmask_b32_e64 v25, 0, 1, s7
	;; [unrolled: 1-line block ×3, first 2 shown]
	s_mov_b32 s0, 0
	s_mov_b32 s5, exec_lo
	v_lshlrev_b16 v24, 8, v24
	s_delay_alu instid0(VALU_DEP_2) | instskip(NEXT) | instid1(VALU_DEP_2)
	v_lshlrev_b16 v26, 8, v26
	v_or_b32_e32 v24, v25, v24
	s_delay_alu instid0(VALU_DEP_2) | instskip(NEXT) | instid1(VALU_DEP_2)
	v_and_b32_e32 v26, 0xffff, v26
	v_lshlrev_b32_e32 v27, 16, v24
	v_cmpx_gt_u32_e64 s31, v30
	s_cbranch_execz .LBB497_87
; %bb.82:
	v_cmp_ne_u32_e32 vcc_lo, 1, v32
	s_cbranch_vccnz .LBB497_86
; %bb.83:
	s_wait_dscnt 0x0
	v_mul_u64_e32 v[22:23], s[18:19], v[22:23]
	v_mul_u64_e32 v[24:25], s[18:19], v[14:15]
	s_add_nc_u64 s[0:1], s[18:19], -1
	s_mov_b32 s6, 0
                                        ; implicit-def: $sgpr7
	s_delay_alu instid0(VALU_DEP_2) | instskip(NEXT) | instid1(VALU_DEP_2)
	v_lshl_add_u64 v[22:23], v[22:23], 2, s[8:9]
	v_lshl_add_u64 v[24:25], v[24:25], 2, s[8:9]
.LBB497_84:                             ; =>This Inner Loop Header: Depth=1
	global_load_b32 v28, v[22:23], off
	global_load_b32 v29, v[24:25], off
	s_cmp_eq_u64 s[0:1], 0
	s_add_nc_u64 s[24:25], s[0:1], -1
	s_cselect_b32 s1, -1, 0
	s_wait_xcnt 0x1
	v_add_nc_u64_e32 v[22:23], 4, v[22:23]
	s_wait_xcnt 0x0
	v_add_nc_u64_e32 v[24:25], 4, v[24:25]
	s_wait_loadcnt 0x0
	v_cmp_ne_u32_e32 vcc_lo, v28, v29
	v_cmp_eq_u32_e64 s0, v28, v29
	s_or_b32 s1, vcc_lo, s1
	s_delay_alu instid0(SALU_CYCLE_1) | instskip(NEXT) | instid1(SALU_CYCLE_1)
	s_and_b32 s1, exec_lo, s1
	s_or_b32 s6, s1, s6
	s_and_not1_b32 s7, s7, exec_lo
	s_and_b32 s17, s0, exec_lo
	s_mov_b64 s[0:1], s[24:25]
	s_or_b32 s7, s7, s17
	s_and_not1_b32 exec_lo, exec_lo, s6
	s_cbranch_execnz .LBB497_84
; %bb.85:
	s_or_b32 exec_lo, exec_lo, s6
	s_xor_b32 s0, s7, -1
.LBB497_86:
	s_delay_alu instid0(SALU_CYCLE_1)
	s_and_b32 s0, s0, exec_lo
.LBB497_87:
	s_or_b32 exec_lo, exec_lo, s5
	v_cndmask_b32_e64 v34, 0, 1, s4
	v_or_b32_e32 v25, v26, v27
.LBB497_88:
	s_mov_b32 s6, -1
	s_cbranch_execnz .LBB497_45
.LBB497_89:
	s_wait_loadcnt_dscnt 0x0
	v_lshlrev_b32_e32 v22, 5, v0
	v_cmp_gt_i64_e64 s7, s[18:19], 0
	s_and_b32 vcc_lo, exec_lo, s29
	v_sub_nc_u32_e32 v31, v31, v22
	ds_store_b64 v31, v[20:21]
	s_cbranch_vccz .LBB497_100
; %bb.90:
	s_and_not1_b32 vcc_lo, exec_lo, s7
	s_cbranch_vccnz .LBB497_101
; %bb.91:
	v_mul_u64_e32 v[22:23], s[18:19], v[12:13]
	v_mul_u64_e32 v[24:25], s[18:19], v[20:21]
	s_add_nc_u64 s[4:5], s[18:19], -1
	s_mov_b32 s24, 0
	s_mov_b64 s[0:1], s[4:5]
                                        ; implicit-def: $sgpr17
	s_delay_alu instid0(VALU_DEP_2) | instskip(NEXT) | instid1(VALU_DEP_2)
	v_lshl_add_u64 v[22:23], v[22:23], 2, s[8:9]
	v_lshl_add_u64 v[24:25], v[24:25], 2, s[8:9]
	s_delay_alu instid0(VALU_DEP_2)
	v_mov_b64_e32 v[26:27], v[22:23]
.LBB497_92:                             ; =>This Inner Loop Header: Depth=1
	global_load_b32 v28, v[26:27], off
	global_load_b32 v29, v[24:25], off
	s_cmp_eq_u64 s[0:1], 0
	s_add_nc_u64 s[26:27], s[0:1], -1
	s_cselect_b32 s1, -1, 0
	s_wait_xcnt 0x1
	v_add_nc_u64_e32 v[26:27], 4, v[26:27]
	s_wait_xcnt 0x0
	v_add_nc_u64_e32 v[24:25], 4, v[24:25]
	s_wait_loadcnt 0x0
	v_cmp_ne_u32_e32 vcc_lo, v28, v29
	v_cmp_eq_u32_e64 s0, v28, v29
	s_or_b32 s1, vcc_lo, s1
	s_delay_alu instid0(SALU_CYCLE_1) | instskip(NEXT) | instid1(SALU_CYCLE_1)
	s_and_b32 s1, exec_lo, s1
	s_or_b32 s24, s1, s24
	s_and_not1_b32 s17, s17, exec_lo
	s_and_b32 s25, s0, exec_lo
	s_mov_b64 s[0:1], s[26:27]
	s_or_b32 s17, s17, s25
	s_and_not1_b32 exec_lo, exec_lo, s24
	s_cbranch_execnz .LBB497_92
; %bb.93:
	s_or_b32 exec_lo, exec_lo, s24
	v_mul_u64_e32 v[24:25], s[18:19], v[10:11]
	s_mov_b32 s25, 0
	s_mov_b64 s[0:1], s[4:5]
                                        ; implicit-def: $sgpr24
	s_delay_alu instid0(VALU_DEP_1) | instskip(NEXT) | instid1(VALU_DEP_1)
	v_lshl_add_u64 v[24:25], v[24:25], 2, s[8:9]
	v_mov_b64_e32 v[26:27], v[24:25]
.LBB497_94:                             ; =>This Inner Loop Header: Depth=1
	global_load_b32 v28, v[26:27], off
	global_load_b32 v29, v[22:23], off
	s_cmp_eq_u64 s[0:1], 0
	s_add_nc_u64 s[26:27], s[0:1], -1
	s_cselect_b32 s1, -1, 0
	s_wait_xcnt 0x1
	v_add_nc_u64_e32 v[26:27], 4, v[26:27]
	s_wait_xcnt 0x0
	v_add_nc_u64_e32 v[22:23], 4, v[22:23]
	s_wait_loadcnt 0x0
	v_cmp_ne_u32_e32 vcc_lo, v28, v29
	v_cmp_eq_u32_e64 s0, v28, v29
	s_or_b32 s1, vcc_lo, s1
	s_delay_alu instid0(SALU_CYCLE_1) | instskip(NEXT) | instid1(SALU_CYCLE_1)
	s_and_b32 s1, exec_lo, s1
	s_or_b32 s25, s1, s25
	s_and_not1_b32 s24, s24, exec_lo
	s_and_b32 s34, s0, exec_lo
	s_mov_b64 s[0:1], s[26:27]
	s_or_b32 s24, s24, s34
	s_and_not1_b32 exec_lo, exec_lo, s25
	s_cbranch_execnz .LBB497_94
; %bb.95:
	s_or_b32 exec_lo, exec_lo, s25
	v_mul_u64_e32 v[22:23], s[18:19], v[16:17]
	s_mov_b32 s26, 0
	s_mov_b64 s[0:1], s[4:5]
                                        ; implicit-def: $sgpr25
	s_delay_alu instid0(VALU_DEP_1) | instskip(NEXT) | instid1(VALU_DEP_1)
	v_lshl_add_u64 v[22:23], v[22:23], 2, s[8:9]
	v_mov_b64_e32 v[26:27], v[22:23]
.LBB497_96:                             ; =>This Inner Loop Header: Depth=1
	global_load_b32 v28, v[26:27], off
	global_load_b32 v29, v[24:25], off
	s_cmp_eq_u64 s[0:1], 0
	s_add_nc_u64 s[34:35], s[0:1], -1
	s_cselect_b32 s1, -1, 0
	s_wait_xcnt 0x1
	v_add_nc_u64_e32 v[26:27], 4, v[26:27]
	s_wait_xcnt 0x0
	v_add_nc_u64_e32 v[24:25], 4, v[24:25]
	s_wait_loadcnt 0x0
	v_cmp_ne_u32_e32 vcc_lo, v28, v29
	v_cmp_eq_u32_e64 s0, v28, v29
	s_or_b32 s1, vcc_lo, s1
	s_delay_alu instid0(SALU_CYCLE_1) | instskip(NEXT) | instid1(SALU_CYCLE_1)
	s_and_b32 s1, exec_lo, s1
	s_or_b32 s26, s1, s26
	s_and_not1_b32 s25, s25, exec_lo
	s_and_b32 s27, s0, exec_lo
	s_mov_b64 s[0:1], s[34:35]
	s_or_b32 s25, s25, s27
	s_and_not1_b32 exec_lo, exec_lo, s26
	s_cbranch_execnz .LBB497_96
; %bb.97:
	s_or_b32 exec_lo, exec_lo, s26
	v_mul_u64_e32 v[24:25], s[18:19], v[14:15]
	s_mov_b32 s26, 0
                                        ; implicit-def: $sgpr1
	s_delay_alu instid0(VALU_DEP_1)
	v_lshl_add_u64 v[24:25], v[24:25], 2, s[8:9]
.LBB497_98:                             ; =>This Inner Loop Header: Depth=1
	global_load_b32 v26, v[24:25], off
	global_load_b32 v27, v[22:23], off
	s_cmp_eq_u64 s[4:5], 0
	s_add_nc_u64 s[34:35], s[4:5], -1
	s_cselect_b32 s4, -1, 0
	s_wait_xcnt 0x1
	v_add_nc_u64_e32 v[24:25], 4, v[24:25]
	s_wait_xcnt 0x0
	v_add_nc_u64_e32 v[22:23], 4, v[22:23]
	s_wait_loadcnt 0x0
	v_cmp_ne_u32_e32 vcc_lo, v26, v27
	v_cmp_eq_u32_e64 s0, v26, v27
	s_or_b32 s4, vcc_lo, s4
	s_delay_alu instid0(SALU_CYCLE_1) | instskip(NEXT) | instid1(SALU_CYCLE_1)
	s_and_b32 s4, exec_lo, s4
	s_or_b32 s26, s4, s26
	s_and_not1_b32 s1, s1, exec_lo
	s_and_b32 s0, s0, exec_lo
	s_mov_b64 s[4:5], s[34:35]
	s_or_b32 s1, s1, s0
	s_and_not1_b32 exec_lo, exec_lo, s26
	s_cbranch_execnz .LBB497_98
; %bb.99:
	s_or_b32 exec_lo, exec_lo, s26
	s_xor_b32 s0, s24, -1
	s_delay_alu instid0(SALU_CYCLE_1) | instskip(SKIP_1) | instid1(SALU_CYCLE_1)
	v_cndmask_b32_e64 v22, 0, 1, s0
	s_xor_b32 s0, s25, -1
	v_cndmask_b32_e64 v23, 0, 1, s0
	s_xor_b32 s0, s17, -1
	s_delay_alu instid0(VALU_DEP_2) | instskip(SKIP_2) | instid1(VALU_DEP_2)
	v_lshlrev_b16 v22, 8, v22
	v_cndmask_b32_e64 v34, 0, 1, s0
	s_xor_b32 s0, s1, -1
	v_lshrrev_b32_e32 v22, 8, v22
	s_delay_alu instid0(VALU_DEP_1) | instskip(NEXT) | instid1(VALU_DEP_1)
	v_lshlrev_b16 v22, 8, v22
	v_or_b32_e32 v22, v23, v22
	s_delay_alu instid0(VALU_DEP_1)
	v_lshlrev_b32_e32 v22, 16, v22
	s_branch .LBB497_102
.LBB497_100:
                                        ; implicit-def: $sgpr0
                                        ; implicit-def: $vgpr34
                                        ; implicit-def: $vgpr25
                                        ; implicit-def: $vgpr24
                                        ; implicit-def: $vgpr23
                                        ; implicit-def: $vgpr35
                                        ; implicit-def: $vgpr22
	s_cbranch_execnz .LBB497_109
	s_branch .LBB497_142
.LBB497_101:
	v_dual_mov_b32 v22, 0 :: v_dual_mov_b32 v34, 0
	s_mov_b32 s0, 0
.LBB497_102:
	s_delay_alu instid0(VALU_DEP_1)
	v_dual_lshrrev_b32 v35, 16, v22 :: v_dual_lshrrev_b32 v22, 24, v22
	v_cndmask_b32_e64 v23, 0, 1, s0
	v_mov_b32_e32 v24, 1
	s_wait_dscnt 0x0
	s_barrier_signal -1
	s_barrier_wait -1
                                        ; implicit-def: $sgpr0
                                        ; implicit-def: $vgpr25
	s_and_saveexec_b32 s1, s3
	s_delay_alu instid0(SALU_CYCLE_1)
	s_xor_b32 s4, exec_lo, s1
	s_cbranch_execz .LBB497_108
; %bb.103:
	v_lshlrev_b16 v25, 8, v22
	v_lshlrev_b16 v26, 8, v23
	s_and_not1_b32 vcc_lo, exec_lo, s7
	s_mov_b32 s0, 0
	s_delay_alu instid0(VALU_DEP_2) | instskip(NEXT) | instid1(VALU_DEP_1)
	v_bitop3_b16 v25, v35, v25, 0xff bitop3:0xec
	v_dual_lshlrev_b32 v25, 16, v25 :: v_dual_bitop2_b32 v26, 1, v26 bitop3:0x54
	s_delay_alu instid0(VALU_DEP_1) | instskip(NEXT) | instid1(VALU_DEP_1)
	v_and_b32_e32 v26, 0xffff, v26
	v_or_b32_e32 v25, v26, v25
	s_cbranch_vccnz .LBB497_107
; %bb.104:
	v_add_nc_u32_e32 v26, -8, v31
	v_mul_u64_e32 v[28:29], s[18:19], v[14:15]
	s_add_nc_u64 s[0:1], s[18:19], -1
	s_mov_b32 s5, 0
                                        ; implicit-def: $sgpr17
	ds_load_b64 v[26:27], v26
	s_wait_dscnt 0x0
	v_mul_u64_e32 v[26:27], s[18:19], v[26:27]
	v_lshl_add_u64 v[28:29], v[28:29], 2, s[8:9]
	s_delay_alu instid0(VALU_DEP_2)
	v_lshl_add_u64 v[26:27], v[26:27], 2, s[8:9]
.LBB497_105:                            ; =>This Inner Loop Header: Depth=1
	global_load_b32 v32, v[26:27], off
	global_load_b32 v33, v[28:29], off
	s_cmp_eq_u64 s[0:1], 0
	s_add_nc_u64 s[24:25], s[0:1], -1
	s_cselect_b32 s1, -1, 0
	s_wait_xcnt 0x1
	v_add_nc_u64_e32 v[26:27], 4, v[26:27]
	s_wait_xcnt 0x0
	v_add_nc_u64_e32 v[28:29], 4, v[28:29]
	s_wait_loadcnt 0x0
	v_cmp_ne_u32_e32 vcc_lo, v32, v33
	v_cmp_eq_u32_e64 s0, v32, v33
	s_or_b32 s1, vcc_lo, s1
	s_delay_alu instid0(SALU_CYCLE_1) | instskip(NEXT) | instid1(SALU_CYCLE_1)
	s_and_b32 s1, exec_lo, s1
	s_or_b32 s5, s1, s5
	s_and_not1_b32 s17, s17, exec_lo
	s_and_b32 s26, s0, exec_lo
	s_mov_b64 s[0:1], s[24:25]
	s_or_b32 s17, s17, s26
	s_and_not1_b32 exec_lo, exec_lo, s5
	s_cbranch_execnz .LBB497_105
; %bb.106:
	s_or_b32 exec_lo, exec_lo, s5
	s_xor_b32 s0, s17, -1
.LBB497_107:
	s_delay_alu instid0(VALU_DEP_1)
	v_perm_b32 v25, v25, v25, 0x3020104
	s_or_b32 s6, s6, exec_lo
.LBB497_108:
	s_or_b32 exec_lo, exec_lo, s4
	s_branch .LBB497_142
.LBB497_109:
	v_add_nc_u32_e32 v22, 4, v30
	s_mov_b32 s4, 0
	s_mov_b32 s5, 0
	s_mov_b32 s17, exec_lo
	s_delay_alu instid0(VALU_DEP_1)
	v_cmpx_gt_u32_e64 s31, v22
	s_cbranch_execz .LBB497_115
; %bb.110:
	s_and_not1_b32 vcc_lo, exec_lo, s7
	s_mov_b32 s0, 0
	s_cbranch_vccnz .LBB497_114
; %bb.111:
	v_mul_u64_e32 v[22:23], s[18:19], v[12:13]
	v_mul_u64_e32 v[24:25], s[18:19], v[20:21]
	s_add_nc_u64 s[0:1], s[18:19], -1
                                        ; implicit-def: $sgpr24
	s_delay_alu instid0(VALU_DEP_2) | instskip(NEXT) | instid1(VALU_DEP_2)
	v_lshl_add_u64 v[22:23], v[22:23], 2, s[8:9]
	v_lshl_add_u64 v[24:25], v[24:25], 2, s[8:9]
.LBB497_112:                            ; =>This Inner Loop Header: Depth=1
	global_load_b32 v26, v[22:23], off
	global_load_b32 v27, v[24:25], off
	s_cmp_eq_u64 s[0:1], 0
	s_add_nc_u64 s[26:27], s[0:1], -1
	s_cselect_b32 s1, -1, 0
	s_wait_xcnt 0x1
	v_add_nc_u64_e32 v[22:23], 4, v[22:23]
	s_wait_xcnt 0x0
	v_add_nc_u64_e32 v[24:25], 4, v[24:25]
	s_wait_loadcnt 0x0
	v_cmp_ne_u32_e32 vcc_lo, v26, v27
	v_cmp_eq_u32_e64 s0, v26, v27
	s_or_b32 s1, vcc_lo, s1
	s_delay_alu instid0(SALU_CYCLE_1) | instskip(NEXT) | instid1(SALU_CYCLE_1)
	s_and_b32 s1, exec_lo, s1
	s_or_b32 s5, s1, s5
	s_and_not1_b32 s24, s24, exec_lo
	s_and_b32 s25, s0, exec_lo
	s_mov_b64 s[0:1], s[26:27]
	s_or_b32 s24, s24, s25
	s_and_not1_b32 exec_lo, exec_lo, s5
	s_cbranch_execnz .LBB497_112
; %bb.113:
	s_or_b32 exec_lo, exec_lo, s5
	s_xor_b32 s0, s24, -1
.LBB497_114:
	s_delay_alu instid0(SALU_CYCLE_1)
	s_and_b32 s5, s0, exec_lo
.LBB497_115:
	s_or_b32 exec_lo, exec_lo, s17
	v_add_nc_u32_e32 v22, 3, v30
	s_mov_b32 s17, exec_lo
	s_delay_alu instid0(VALU_DEP_1)
	v_cmpx_gt_u32_e64 s31, v22
	s_cbranch_execz .LBB497_121
; %bb.116:
	s_and_not1_b32 vcc_lo, exec_lo, s7
	s_mov_b32 s0, 0
	s_cbranch_vccnz .LBB497_120
; %bb.117:
	v_mul_u64_e32 v[22:23], s[18:19], v[10:11]
	v_mul_u64_e32 v[24:25], s[18:19], v[12:13]
	s_add_nc_u64 s[0:1], s[18:19], -1
	s_mov_b32 s4, 0
                                        ; implicit-def: $sgpr24
	s_delay_alu instid0(VALU_DEP_2) | instskip(NEXT) | instid1(VALU_DEP_2)
	v_lshl_add_u64 v[22:23], v[22:23], 2, s[8:9]
	v_lshl_add_u64 v[24:25], v[24:25], 2, s[8:9]
.LBB497_118:                            ; =>This Inner Loop Header: Depth=1
	global_load_b32 v26, v[22:23], off
	global_load_b32 v27, v[24:25], off
	s_cmp_eq_u64 s[0:1], 0
	s_add_nc_u64 s[26:27], s[0:1], -1
	s_cselect_b32 s1, -1, 0
	s_wait_xcnt 0x1
	v_add_nc_u64_e32 v[22:23], 4, v[22:23]
	s_wait_xcnt 0x0
	v_add_nc_u64_e32 v[24:25], 4, v[24:25]
	s_wait_loadcnt 0x0
	v_cmp_ne_u32_e32 vcc_lo, v26, v27
	v_cmp_eq_u32_e64 s0, v26, v27
	s_or_b32 s1, vcc_lo, s1
	s_delay_alu instid0(SALU_CYCLE_1) | instskip(NEXT) | instid1(SALU_CYCLE_1)
	s_and_b32 s1, exec_lo, s1
	s_or_b32 s4, s1, s4
	s_and_not1_b32 s24, s24, exec_lo
	s_and_b32 s25, s0, exec_lo
	s_mov_b64 s[0:1], s[26:27]
	s_or_b32 s24, s24, s25
	s_and_not1_b32 exec_lo, exec_lo, s4
	s_cbranch_execnz .LBB497_118
; %bb.119:
	s_or_b32 exec_lo, exec_lo, s4
	s_xor_b32 s0, s24, -1
.LBB497_120:
	s_delay_alu instid0(SALU_CYCLE_1)
	s_and_b32 s4, s0, exec_lo
.LBB497_121:
	s_or_b32 exec_lo, exec_lo, s17
	v_add_nc_u32_e32 v22, 2, v30
	s_mov_b32 s17, 0
	s_mov_b32 s24, 0
	s_mov_b32 s25, exec_lo
	s_delay_alu instid0(VALU_DEP_1)
	v_cmpx_gt_u32_e64 s31, v22
	s_cbranch_execz .LBB497_127
; %bb.122:
	s_and_not1_b32 vcc_lo, exec_lo, s7
	s_mov_b32 s0, 0
	s_cbranch_vccnz .LBB497_126
; %bb.123:
	v_mul_u64_e32 v[22:23], s[18:19], v[16:17]
	v_mul_u64_e32 v[24:25], s[18:19], v[10:11]
	s_add_nc_u64 s[0:1], s[18:19], -1
                                        ; implicit-def: $sgpr26
	s_delay_alu instid0(VALU_DEP_2) | instskip(NEXT) | instid1(VALU_DEP_2)
	v_lshl_add_u64 v[22:23], v[22:23], 2, s[8:9]
	v_lshl_add_u64 v[24:25], v[24:25], 2, s[8:9]
.LBB497_124:                            ; =>This Inner Loop Header: Depth=1
	global_load_b32 v26, v[22:23], off
	global_load_b32 v27, v[24:25], off
	s_cmp_eq_u64 s[0:1], 0
	s_add_nc_u64 s[34:35], s[0:1], -1
	s_cselect_b32 s1, -1, 0
	s_wait_xcnt 0x1
	v_add_nc_u64_e32 v[22:23], 4, v[22:23]
	s_wait_xcnt 0x0
	v_add_nc_u64_e32 v[24:25], 4, v[24:25]
	s_wait_loadcnt 0x0
	v_cmp_ne_u32_e32 vcc_lo, v26, v27
	v_cmp_eq_u32_e64 s0, v26, v27
	s_or_b32 s1, vcc_lo, s1
	s_delay_alu instid0(SALU_CYCLE_1) | instskip(NEXT) | instid1(SALU_CYCLE_1)
	s_and_b32 s1, exec_lo, s1
	s_or_b32 s24, s1, s24
	s_and_not1_b32 s26, s26, exec_lo
	s_and_b32 s27, s0, exec_lo
	s_mov_b64 s[0:1], s[34:35]
	s_or_b32 s26, s26, s27
	s_and_not1_b32 exec_lo, exec_lo, s24
	s_cbranch_execnz .LBB497_124
; %bb.125:
	s_or_b32 exec_lo, exec_lo, s24
	s_xor_b32 s0, s26, -1
.LBB497_126:
	s_delay_alu instid0(SALU_CYCLE_1)
	s_and_b32 s24, s0, exec_lo
.LBB497_127:
	s_or_b32 exec_lo, exec_lo, s25
	v_add_nc_u32_e32 v22, 1, v30
	s_mov_b32 s25, exec_lo
	s_delay_alu instid0(VALU_DEP_1)
	v_cmpx_gt_u32_e64 s31, v22
	s_cbranch_execz .LBB497_133
; %bb.128:
	s_and_not1_b32 vcc_lo, exec_lo, s7
	s_mov_b32 s0, 0
	s_cbranch_vccnz .LBB497_132
; %bb.129:
	v_mul_u64_e32 v[22:23], s[18:19], v[14:15]
	v_mul_u64_e32 v[24:25], s[18:19], v[16:17]
	s_add_nc_u64 s[0:1], s[18:19], -1
	s_mov_b32 s17, 0
                                        ; implicit-def: $sgpr26
	s_delay_alu instid0(VALU_DEP_2) | instskip(NEXT) | instid1(VALU_DEP_2)
	v_lshl_add_u64 v[22:23], v[22:23], 2, s[8:9]
	v_lshl_add_u64 v[24:25], v[24:25], 2, s[8:9]
.LBB497_130:                            ; =>This Inner Loop Header: Depth=1
	global_load_b32 v26, v[22:23], off
	global_load_b32 v27, v[24:25], off
	s_cmp_eq_u64 s[0:1], 0
	s_add_nc_u64 s[34:35], s[0:1], -1
	s_cselect_b32 s1, -1, 0
	s_wait_xcnt 0x1
	v_add_nc_u64_e32 v[22:23], 4, v[22:23]
	s_wait_xcnt 0x0
	v_add_nc_u64_e32 v[24:25], 4, v[24:25]
	s_wait_loadcnt 0x0
	v_cmp_ne_u32_e32 vcc_lo, v26, v27
	v_cmp_eq_u32_e64 s0, v26, v27
	s_or_b32 s1, vcc_lo, s1
	s_delay_alu instid0(SALU_CYCLE_1) | instskip(NEXT) | instid1(SALU_CYCLE_1)
	s_and_b32 s1, exec_lo, s1
	s_or_b32 s17, s1, s17
	s_and_not1_b32 s26, s26, exec_lo
	s_and_b32 s27, s0, exec_lo
	s_mov_b64 s[0:1], s[34:35]
	s_or_b32 s26, s26, s27
	s_and_not1_b32 exec_lo, exec_lo, s17
	s_cbranch_execnz .LBB497_130
; %bb.131:
	s_or_b32 exec_lo, exec_lo, s17
	s_xor_b32 s0, s26, -1
.LBB497_132:
	s_delay_alu instid0(SALU_CYCLE_1)
	s_and_b32 s17, s0, exec_lo
.LBB497_133:
	s_or_b32 exec_lo, exec_lo, s25
	v_cndmask_b32_e64 v34, 0, 1, s5
	v_cndmask_b32_e64 v35, 0, 1, s24
	v_cndmask_b32_e64 v22, 0, 1, s4
	v_cndmask_b32_e64 v23, 0, 1, s17
	v_mov_b32_e32 v24, 1
	s_wait_dscnt 0x0
	s_barrier_signal -1
	s_barrier_wait -1
                                        ; implicit-def: $sgpr0
                                        ; implicit-def: $vgpr25
	s_and_saveexec_b32 s4, s3
	s_cbranch_execz .LBB497_141
; %bb.134:
	v_lshlrev_b16 v25, 8, v23
	v_lshlrev_b16 v26, 8, v22
	s_mov_b32 s0, 0
	s_mov_b32 s3, exec_lo
	s_delay_alu instid0(VALU_DEP_1) | instskip(NEXT) | instid1(VALU_DEP_1)
	v_or_b32_e32 v26, v35, v26
	v_dual_lshlrev_b32 v26, 16, v26 :: v_dual_bitop2_b32 v25, 1, v25 bitop3:0x54
	s_delay_alu instid0(VALU_DEP_1) | instskip(NEXT) | instid1(VALU_DEP_1)
	v_and_b32_e32 v25, 0xffff, v25
	v_or_b32_e32 v25, v25, v26
	v_cmpx_gt_u32_e64 s31, v30
	s_cbranch_execz .LBB497_140
; %bb.135:
	s_and_not1_b32 vcc_lo, exec_lo, s7
	s_cbranch_vccnz .LBB497_139
; %bb.136:
	v_add_nc_u32_e32 v26, -8, v31
	v_mul_u64_e32 v[28:29], s[18:19], v[14:15]
	s_add_nc_u64 s[0:1], s[18:19], -1
	s_mov_b32 s5, 0
                                        ; implicit-def: $sgpr7
	ds_load_b64 v[26:27], v26
	s_wait_dscnt 0x0
	v_mul_u64_e32 v[26:27], s[18:19], v[26:27]
	v_lshl_add_u64 v[28:29], v[28:29], 2, s[8:9]
	s_delay_alu instid0(VALU_DEP_2)
	v_lshl_add_u64 v[26:27], v[26:27], 2, s[8:9]
.LBB497_137:                            ; =>This Inner Loop Header: Depth=1
	global_load_b32 v31, v[26:27], off
	global_load_b32 v32, v[28:29], off
	s_cmp_eq_u64 s[0:1], 0
	s_add_nc_u64 s[8:9], s[0:1], -1
	s_cselect_b32 s1, -1, 0
	s_wait_xcnt 0x1
	v_add_nc_u64_e32 v[26:27], 4, v[26:27]
	s_wait_xcnt 0x0
	v_add_nc_u64_e32 v[28:29], 4, v[28:29]
	s_wait_loadcnt 0x0
	v_cmp_ne_u32_e32 vcc_lo, v31, v32
	v_cmp_eq_u32_e64 s0, v31, v32
	s_or_b32 s1, vcc_lo, s1
	s_delay_alu instid0(SALU_CYCLE_1) | instskip(NEXT) | instid1(SALU_CYCLE_1)
	s_and_b32 s1, exec_lo, s1
	s_or_b32 s5, s1, s5
	s_and_not1_b32 s7, s7, exec_lo
	s_and_b32 s17, s0, exec_lo
	s_mov_b64 s[0:1], s[8:9]
	s_or_b32 s7, s7, s17
	s_and_not1_b32 exec_lo, exec_lo, s5
	s_cbranch_execnz .LBB497_137
; %bb.138:
	s_or_b32 exec_lo, exec_lo, s5
	s_xor_b32 s0, s7, -1
.LBB497_139:
	s_delay_alu instid0(SALU_CYCLE_1)
	s_and_b32 s0, s0, exec_lo
.LBB497_140:
	s_or_b32 exec_lo, exec_lo, s3
	s_delay_alu instid0(VALU_DEP_2)
	v_perm_b32 v25, v25, v25, 0x3020104
	s_or_b32 s6, s6, exec_lo
.LBB497_141:
	s_or_b32 exec_lo, exec_lo, s4
.LBB497_142:
	s_and_saveexec_b32 s1, s6
	s_cbranch_execz .LBB497_144
; %bb.143:
	s_wait_loadcnt_dscnt 0x0
	v_dual_lshrrev_b32 v22, 24, v25 :: v_dual_lshrrev_b32 v35, 16, v25
	v_lshrrev_b32_e32 v23, 8, v25
	v_cndmask_b32_e64 v24, 0, 1, s0
.LBB497_144:
	s_or_b32 exec_lo, exec_lo, s1
	s_delay_alu instid0(SALU_CYCLE_1)
	s_and_not1_b32 vcc_lo, exec_lo, s33
	s_cbranch_vccnz .LBB497_148
; %bb.145:
	s_wait_loadcnt_dscnt 0x0
	v_perm_b32 v23, v24, v23, 0xc0c0004
	v_perm_b32 v22, v35, v22, 0xc0c0004
	v_cmp_gt_u32_e32 vcc_lo, s31, v30
	v_dual_add_nc_u32 v24, 1, v30 :: v_dual_add_nc_u32 v26, 4, v30
	v_and_b32_e32 v34, 0xff, v34
	s_delay_alu instid0(VALU_DEP_4) | instskip(SKIP_1) | instid1(VALU_DEP_2)
	v_lshl_or_b32 v22, v22, 16, v23
	s_mov_b32 s0, exec_lo
	v_and_b32_e32 v25, 0xffff, v34
	s_delay_alu instid0(VALU_DEP_2) | instskip(SKIP_2) | instid1(VALU_DEP_3)
	v_cndmask_b32_e32 v23, 0, v22, vcc_lo
	v_cmp_gt_u32_e32 vcc_lo, s31, v24
	v_add_nc_u32_e32 v24, 2, v30
	v_and_b32_e32 v23, 0xff, v23
	s_delay_alu instid0(VALU_DEP_1) | instskip(NEXT) | instid1(VALU_DEP_3)
	v_cndmask_b32_e32 v23, v23, v22, vcc_lo
	v_cmp_gt_u32_e32 vcc_lo, s31, v24
	v_add_nc_u32_e32 v24, 3, v30
	s_delay_alu instid0(VALU_DEP_3) | instskip(NEXT) | instid1(VALU_DEP_1)
	v_and_b32_e32 v23, 0xffff, v23
	v_cndmask_b32_e32 v23, v23, v22, vcc_lo
	s_delay_alu instid0(VALU_DEP_3) | instskip(NEXT) | instid1(VALU_DEP_2)
	v_cmp_gt_u32_e32 vcc_lo, s31, v24
	v_and_b32_e32 v23, 0xffffff, v23
	s_delay_alu instid0(VALU_DEP_1) | instskip(NEXT) | instid1(VALU_DEP_1)
	v_cndmask_b32_e32 v24, v23, v22, vcc_lo
	v_lshrrev_b64 v[22:23], 24, v[24:25]
	v_dual_lshrrev_b32 v35, 16, v24 :: v_dual_lshrrev_b32 v23, 8, v24
	v_cmpx_le_u32_e64 s31, v26
; %bb.146:
	v_mov_b32_e32 v34, 0
; %bb.147:
	s_or_b32 exec_lo, exec_lo, s0
.LBB497_148:
	s_delay_alu instid0(VALU_DEP_1)
	v_and_b32_e32 v25, 0xff, v24
	s_wait_loadcnt_dscnt 0x0
	v_and_b32_e32 v36, 0xff, v23
	v_and_b32_e32 v37, 0xff, v35
	v_mbcnt_lo_u32_b32 v39, -1, 0
	v_and_b32_e32 v38, 0xff, v22
	v_and_b32_e32 v26, 0xff, v34
	v_lshrrev_b32_e32 v40, 5, v0
	v_add3_u32 v27, v36, v25, v37
	v_and_b32_e32 v28, 15, v39
	s_and_b32 vcc_lo, exec_lo, s16
	s_mov_b32 s7, -1
	s_delay_alu instid0(VALU_DEP_2)
	v_add3_u32 v41, v27, v38, v26
	v_and_b32_e32 v26, 16, v39
	v_or_b32_e32 v27, 31, v0
	v_cmp_eq_u32_e64 s3, 0, v28
	v_cmp_lt_u32_e64 s5, 1, v28
	v_cmp_lt_u32_e64 s6, 3, v28
	;; [unrolled: 1-line block ×3, first 2 shown]
	v_cmp_eq_u32_e64 s1, 0, v26
	v_cmp_eq_u32_e64 s0, v0, v27
	s_barrier_signal -1
	s_barrier_wait -1
                                        ; implicit-def: $vgpr30
                                        ; implicit-def: $vgpr31
                                        ; implicit-def: $vgpr32
                                        ; implicit-def: $vgpr33
                                        ; implicit-def: $vgpr42
                                        ; implicit-def: $vgpr28
                                        ; implicit-def: $vgpr26
	s_cbranch_vccz .LBB497_175
; %bb.149:
	v_mov_b32_dpp v26, v41 row_shr:1 row_mask:0xf bank_mask:0xf
	s_delay_alu instid0(VALU_DEP_1) | instskip(NEXT) | instid1(VALU_DEP_1)
	v_cndmask_b32_e64 v26, v26, 0, s3
	v_add_nc_u32_e32 v26, v26, v41
	s_delay_alu instid0(VALU_DEP_1) | instskip(NEXT) | instid1(VALU_DEP_1)
	v_mov_b32_dpp v27, v26 row_shr:2 row_mask:0xf bank_mask:0xf
	v_cndmask_b32_e64 v27, 0, v27, s5
	s_delay_alu instid0(VALU_DEP_1) | instskip(NEXT) | instid1(VALU_DEP_1)
	v_add_nc_u32_e32 v26, v26, v27
	v_mov_b32_dpp v27, v26 row_shr:4 row_mask:0xf bank_mask:0xf
	s_delay_alu instid0(VALU_DEP_1) | instskip(NEXT) | instid1(VALU_DEP_1)
	v_cndmask_b32_e64 v27, 0, v27, s6
	v_add_nc_u32_e32 v26, v26, v27
	s_delay_alu instid0(VALU_DEP_1) | instskip(NEXT) | instid1(VALU_DEP_1)
	v_mov_b32_dpp v27, v26 row_shr:8 row_mask:0xf bank_mask:0xf
	v_cndmask_b32_e64 v27, 0, v27, s4
	s_delay_alu instid0(VALU_DEP_1) | instskip(SKIP_3) | instid1(VALU_DEP_1)
	v_add_nc_u32_e32 v26, v26, v27
	ds_swizzle_b32 v27, v26 offset:swizzle(BROADCAST,32,15)
	s_wait_dscnt 0x0
	v_cndmask_b32_e64 v27, v27, 0, s1
	v_add_nc_u32_e32 v26, v26, v27
	s_and_saveexec_b32 s7, s0
; %bb.150:
	v_lshlrev_b32_e32 v27, 2, v40
	ds_store_b32 v27, v26
; %bb.151:
	s_or_b32 exec_lo, exec_lo, s7
	s_delay_alu instid0(SALU_CYCLE_1)
	s_mov_b32 s7, exec_lo
	s_wait_dscnt 0x0
	s_barrier_signal -1
	s_barrier_wait -1
	v_cmpx_gt_u32_e32 4, v0
	s_cbranch_execz .LBB497_153
; %bb.152:
	v_dual_lshlrev_b32 v27, 2, v0 :: v_dual_bitop2_b32 v29, 3, v39 bitop3:0x40
	ds_load_b32 v28, v27
	v_cmp_ne_u32_e32 vcc_lo, 0, v29
	s_wait_dscnt 0x0
	v_mov_b32_dpp v30, v28 row_shr:1 row_mask:0xf bank_mask:0xf
	s_delay_alu instid0(VALU_DEP_1) | instskip(SKIP_1) | instid1(VALU_DEP_2)
	v_cndmask_b32_e32 v30, 0, v30, vcc_lo
	v_cmp_lt_u32_e32 vcc_lo, 1, v29
	v_add_nc_u32_e32 v28, v30, v28
	s_delay_alu instid0(VALU_DEP_1) | instskip(NEXT) | instid1(VALU_DEP_1)
	v_mov_b32_dpp v30, v28 row_shr:2 row_mask:0xf bank_mask:0xf
	v_cndmask_b32_e32 v29, 0, v30, vcc_lo
	s_delay_alu instid0(VALU_DEP_1)
	v_add_nc_u32_e32 v28, v28, v29
	ds_store_b32 v27, v28
.LBB497_153:
	s_or_b32 exec_lo, exec_lo, s7
	s_delay_alu instid0(SALU_CYCLE_1)
	s_mov_b32 s8, exec_lo
	v_cmp_gt_u32_e32 vcc_lo, 32, v0
	s_wait_dscnt 0x0
	s_barrier_signal -1
	s_barrier_wait -1
                                        ; implicit-def: $vgpr42
	v_cmpx_lt_u32_e32 31, v0
	s_cbranch_execz .LBB497_155
; %bb.154:
	v_lshl_add_u32 v27, v40, 2, -4
	ds_load_b32 v42, v27
	s_wait_dscnt 0x0
	v_add_nc_u32_e32 v26, v42, v26
.LBB497_155:
	s_or_b32 exec_lo, exec_lo, s8
	v_sub_co_u32 v27, s7, v39, 1
	s_delay_alu instid0(VALU_DEP_1) | instskip(NEXT) | instid1(VALU_DEP_1)
	v_cmp_gt_i32_e64 s8, 0, v27
	v_cndmask_b32_e64 v27, v27, v39, s8
	s_delay_alu instid0(VALU_DEP_1)
	v_lshlrev_b32_e32 v27, 2, v27
	ds_bpermute_b32 v43, v27, v26
	s_and_saveexec_b32 s8, vcc_lo
	s_cbranch_execz .LBB497_174
; %bb.156:
	v_mov_b32_e32 v33, 0
	ds_load_b32 v26, v33 offset:12
	s_and_saveexec_b32 s9, s7
	s_cbranch_execz .LBB497_158
; %bb.157:
	s_add_co_i32 s16, s30, 32
	s_delay_alu instid0(SALU_CYCLE_1)
	v_dual_mov_b32 v27, 1 :: v_dual_mov_b32 v28, s16
	s_wait_dscnt 0x0
	global_store_b64 v28, v[26:27], s[10:11] scale_offset scope:SCOPE_DEV
.LBB497_158:
	s_wait_xcnt 0x0
	s_or_b32 exec_lo, exec_lo, s9
	v_xad_u32 v28, v39, -1, s30
	s_mov_b32 s16, 0
	s_mov_b32 s9, exec_lo
	s_delay_alu instid0(VALU_DEP_1) | instskip(SKIP_4) | instid1(VALU_DEP_1)
	v_add_nc_u32_e32 v32, 32, v28
	global_load_b64 v[30:31], v32, s[10:11] scale_offset scope:SCOPE_DEV
	s_wait_loadcnt 0x0
	v_and_b32_e32 v27, 0xff, v31
	s_wait_xcnt 0x0
	v_cmpx_eq_u16_e32 0, v27
	s_cbranch_execz .LBB497_162
; %bb.159:
	v_lshl_add_u64 v[32:33], v[32:33], 3, s[10:11]
.LBB497_160:                            ; =>This Inner Loop Header: Depth=1
	global_load_b64 v[30:31], v[32:33], off scope:SCOPE_DEV
	s_wait_loadcnt 0x0
	v_and_b32_e32 v27, 0xff, v31
	s_delay_alu instid0(VALU_DEP_1)
	v_cmp_ne_u16_e32 vcc_lo, 0, v27
	s_or_b32 s16, vcc_lo, s16
	s_wait_xcnt 0x0
	s_and_not1_b32 exec_lo, exec_lo, s16
	s_cbranch_execnz .LBB497_160
; %bb.161:
	s_or_b32 exec_lo, exec_lo, s16
.LBB497_162:
	s_delay_alu instid0(SALU_CYCLE_1)
	s_or_b32 exec_lo, exec_lo, s9
	v_cmp_ne_u32_e32 vcc_lo, 31, v39
	v_lshlrev_b32_e64 v45, v39, -1
	v_lshl_or_b32 v52, v39, 2, 64
	v_dual_add_nc_u32 v47, 2, v39 :: v_dual_add_nc_u32 v49, 4, v39
	v_add_co_ci_u32_e64 v27, null, 0, v39, vcc_lo
	v_dual_add_nc_u32 v51, 8, v39 :: v_dual_add_nc_u32 v53, 16, v39
	s_delay_alu instid0(VALU_DEP_2)
	v_lshlrev_b32_e32 v44, 2, v27
	v_and_b32_e32 v27, 0xff, v31
	ds_bpermute_b32 v29, v44, v30
	v_cmp_eq_u16_e32 vcc_lo, 2, v27
	v_and_or_b32 v27, vcc_lo, v45, 0x80000000
	v_cmp_gt_u32_e32 vcc_lo, 30, v39
	s_delay_alu instid0(VALU_DEP_2) | instskip(SKIP_1) | instid1(VALU_DEP_2)
	v_ctz_i32_b32_e32 v27, v27
	v_cndmask_b32_e64 v32, 0, 2, vcc_lo
	v_cmp_lt_u32_e32 vcc_lo, v39, v27
	s_delay_alu instid0(VALU_DEP_2) | instskip(SKIP_3) | instid1(VALU_DEP_2)
	v_add_lshl_u32 v46, v32, v39, 2
	s_wait_dscnt 0x0
	v_cndmask_b32_e32 v29, 0, v29, vcc_lo
	v_cmp_gt_u32_e32 vcc_lo, 28, v39
	v_add_nc_u32_e32 v29, v29, v30
	v_cndmask_b32_e64 v32, 0, 4, vcc_lo
	v_cmp_le_u32_e32 vcc_lo, v47, v27
	ds_bpermute_b32 v30, v46, v29
	v_add_lshl_u32 v48, v32, v39, 2
	s_wait_dscnt 0x0
	v_cndmask_b32_e32 v30, 0, v30, vcc_lo
	v_cmp_gt_u32_e32 vcc_lo, 24, v39
	v_cndmask_b32_e64 v32, 0, 8, vcc_lo
	v_cmp_le_u32_e32 vcc_lo, v49, v27
	s_delay_alu instid0(VALU_DEP_4) | instskip(NEXT) | instid1(VALU_DEP_3)
	v_add_nc_u32_e32 v29, v29, v30
	v_add_lshl_u32 v50, v32, v39, 2
	ds_bpermute_b32 v30, v48, v29
	s_wait_dscnt 0x0
	v_cndmask_b32_e32 v30, 0, v30, vcc_lo
	v_cmp_le_u32_e32 vcc_lo, v51, v27
	s_delay_alu instid0(VALU_DEP_2) | instskip(SKIP_4) | instid1(VALU_DEP_2)
	v_add_nc_u32_e32 v29, v29, v30
	ds_bpermute_b32 v30, v50, v29
	s_wait_dscnt 0x0
	v_cndmask_b32_e32 v30, 0, v30, vcc_lo
	v_cmp_le_u32_e32 vcc_lo, v53, v27
	v_add_nc_u32_e32 v29, v29, v30
	ds_bpermute_b32 v30, v52, v29
	s_wait_dscnt 0x0
	v_cndmask_b32_e32 v27, 0, v30, vcc_lo
	s_delay_alu instid0(VALU_DEP_1)
	v_dual_mov_b32 v29, 0 :: v_dual_add_nc_u32 v30, v29, v27
	s_branch .LBB497_165
.LBB497_163:                            ;   in Loop: Header=BB497_165 Depth=1
	s_or_b32 exec_lo, exec_lo, s9
	v_and_b32_e32 v32, 0xff, v31
	ds_bpermute_b32 v33, v44, v30
	v_subrev_nc_u32_e32 v28, 32, v28
	s_mov_b32 s9, 0
	v_cmp_eq_u16_e32 vcc_lo, 2, v32
	v_and_or_b32 v32, vcc_lo, v45, 0x80000000
	s_delay_alu instid0(VALU_DEP_1) | instskip(NEXT) | instid1(VALU_DEP_1)
	v_ctz_i32_b32_e32 v32, v32
	v_cmp_lt_u32_e32 vcc_lo, v39, v32
	s_wait_dscnt 0x0
	v_cndmask_b32_e32 v33, 0, v33, vcc_lo
	v_cmp_le_u32_e32 vcc_lo, v47, v32
	s_delay_alu instid0(VALU_DEP_2) | instskip(SKIP_4) | instid1(VALU_DEP_2)
	v_add_nc_u32_e32 v30, v33, v30
	ds_bpermute_b32 v33, v46, v30
	s_wait_dscnt 0x0
	v_cndmask_b32_e32 v33, 0, v33, vcc_lo
	v_cmp_le_u32_e32 vcc_lo, v49, v32
	v_add_nc_u32_e32 v30, v30, v33
	ds_bpermute_b32 v33, v48, v30
	s_wait_dscnt 0x0
	v_cndmask_b32_e32 v33, 0, v33, vcc_lo
	v_cmp_le_u32_e32 vcc_lo, v51, v32
	s_delay_alu instid0(VALU_DEP_2) | instskip(SKIP_4) | instid1(VALU_DEP_2)
	v_add_nc_u32_e32 v30, v30, v33
	ds_bpermute_b32 v33, v50, v30
	s_wait_dscnt 0x0
	v_cndmask_b32_e32 v33, 0, v33, vcc_lo
	v_cmp_le_u32_e32 vcc_lo, v53, v32
	v_add_nc_u32_e32 v30, v30, v33
	ds_bpermute_b32 v33, v52, v30
	s_wait_dscnt 0x0
	v_cndmask_b32_e32 v32, 0, v33, vcc_lo
	s_delay_alu instid0(VALU_DEP_1)
	v_add3_u32 v30, v32, v27, v30
.LBB497_164:                            ;   in Loop: Header=BB497_165 Depth=1
	s_and_b32 vcc_lo, exec_lo, s9
	s_cbranch_vccnz .LBB497_170
.LBB497_165:                            ; =>This Loop Header: Depth=1
                                        ;     Child Loop BB497_168 Depth 2
	v_and_b32_e32 v27, 0xff, v31
	s_mov_b32 s9, -1
                                        ; implicit-def: $vgpr31
	s_delay_alu instid0(VALU_DEP_1)
	v_cmp_ne_u16_e32 vcc_lo, 2, v27
	v_mov_b32_e32 v27, v30
                                        ; implicit-def: $vgpr30
	s_cmp_lg_u32 vcc_lo, exec_lo
	s_cbranch_scc1 .LBB497_164
; %bb.166:                              ;   in Loop: Header=BB497_165 Depth=1
	global_load_b64 v[30:31], v28, s[10:11] scale_offset scope:SCOPE_DEV
	s_mov_b32 s9, exec_lo
	s_wait_loadcnt 0x0
	v_and_b32_e32 v32, 0xff, v31
	s_wait_xcnt 0x0
	s_delay_alu instid0(VALU_DEP_1)
	v_cmpx_eq_u16_e32 0, v32
	s_cbranch_execz .LBB497_163
; %bb.167:                              ;   in Loop: Header=BB497_165 Depth=1
	v_lshl_add_u64 v[32:33], v[28:29], 3, s[10:11]
	s_mov_b32 s16, 0
.LBB497_168:                            ;   Parent Loop BB497_165 Depth=1
                                        ; =>  This Inner Loop Header: Depth=2
	global_load_b64 v[30:31], v[32:33], off scope:SCOPE_DEV
	s_wait_loadcnt 0x0
	v_and_b32_e32 v54, 0xff, v31
	s_delay_alu instid0(VALU_DEP_1)
	v_cmp_ne_u16_e32 vcc_lo, 0, v54
	s_or_b32 s16, vcc_lo, s16
	s_wait_xcnt 0x0
	s_and_not1_b32 exec_lo, exec_lo, s16
	s_cbranch_execnz .LBB497_168
; %bb.169:                              ;   in Loop: Header=BB497_165 Depth=1
	s_or_b32 exec_lo, exec_lo, s16
	s_branch .LBB497_163
.LBB497_170:
	s_and_saveexec_b32 s9, s7
	s_cbranch_execz .LBB497_172
; %bb.171:
	s_add_co_i32 s16, s30, 32
	v_dual_mov_b32 v29, 2 :: v_dual_add_nc_u32 v28, v27, v26
	v_dual_mov_b32 v30, s16 :: v_dual_mov_b32 v31, 0
	global_store_b64 v30, v[28:29], s[10:11] scale_offset scope:SCOPE_DEV
	ds_store_b64 v31, v[26:27] offset:5120
.LBB497_172:
	s_wait_xcnt 0x0
	s_or_b32 exec_lo, exec_lo, s9
	s_delay_alu instid0(SALU_CYCLE_1)
	s_and_b32 exec_lo, exec_lo, s2
; %bb.173:
	v_mov_b32_e32 v26, 0
	ds_store_b32 v26, v27 offset:12
.LBB497_174:
	s_or_b32 exec_lo, exec_lo, s8
	s_wait_dscnt 0x0
	v_dual_mov_b32 v26, 0 :: v_dual_cndmask_b32 v28, v43, v42, s7
	s_wait_storecnt 0x0
	s_barrier_signal -1
	s_barrier_wait -1
	ds_load_b32 v27, v26 offset:12
	v_cndmask_b32_e64 v28, v28, 0, s2
	s_wait_dscnt 0x0
	s_barrier_signal -1
	s_barrier_wait -1
	s_mov_b32 s7, 0
	v_add_nc_u32_e32 v42, v27, v28
	ds_load_b64 v[26:27], v26 offset:5120
	v_add_nc_u32_e32 v33, v42, v25
	s_wait_dscnt 0x0
	s_delay_alu instid0(VALU_DEP_1) | instskip(NEXT) | instid1(VALU_DEP_1)
	v_dual_add_nc_u32 v32, v33, v36 :: v_dual_mov_b32 v28, v27
	v_add_nc_u32_e32 v31, v32, v37
	s_delay_alu instid0(VALU_DEP_1)
	v_add_nc_u32_e32 v30, v31, v38
.LBB497_175:
	s_and_b32 vcc_lo, exec_lo, s7
	s_cbranch_vccz .LBB497_185
; %bb.176:
	v_mov_b32_dpp v26, v41 row_shr:1 row_mask:0xf bank_mask:0xf
	s_delay_alu instid0(VALU_DEP_1) | instskip(NEXT) | instid1(VALU_DEP_1)
	v_cndmask_b32_e64 v26, v26, 0, s3
	v_add_nc_u32_e32 v26, v26, v41
	s_delay_alu instid0(VALU_DEP_1) | instskip(NEXT) | instid1(VALU_DEP_1)
	v_mov_b32_dpp v27, v26 row_shr:2 row_mask:0xf bank_mask:0xf
	v_cndmask_b32_e64 v27, 0, v27, s5
	s_delay_alu instid0(VALU_DEP_1) | instskip(NEXT) | instid1(VALU_DEP_1)
	v_add_nc_u32_e32 v26, v26, v27
	v_mov_b32_dpp v27, v26 row_shr:4 row_mask:0xf bank_mask:0xf
	s_delay_alu instid0(VALU_DEP_1) | instskip(NEXT) | instid1(VALU_DEP_1)
	v_cndmask_b32_e64 v27, 0, v27, s6
	v_add_nc_u32_e32 v26, v26, v27
	s_delay_alu instid0(VALU_DEP_1) | instskip(NEXT) | instid1(VALU_DEP_1)
	v_mov_b32_dpp v27, v26 row_shr:8 row_mask:0xf bank_mask:0xf
	v_cndmask_b32_e64 v27, 0, v27, s4
	s_delay_alu instid0(VALU_DEP_1) | instskip(SKIP_3) | instid1(VALU_DEP_1)
	v_add_nc_u32_e32 v26, v26, v27
	ds_swizzle_b32 v27, v26 offset:swizzle(BROADCAST,32,15)
	s_wait_dscnt 0x0
	v_cndmask_b32_e64 v27, v27, 0, s1
	v_add_nc_u32_e32 v26, v26, v27
	s_and_saveexec_b32 s1, s0
; %bb.177:
	v_lshlrev_b32_e32 v27, 2, v40
	ds_store_b32 v27, v26
; %bb.178:
	s_or_b32 exec_lo, exec_lo, s1
	s_delay_alu instid0(SALU_CYCLE_1)
	s_mov_b32 s0, exec_lo
	s_wait_dscnt 0x0
	s_barrier_signal -1
	s_barrier_wait -1
	v_cmpx_gt_u32_e32 4, v0
	s_cbranch_execz .LBB497_180
; %bb.179:
	v_dual_lshlrev_b32 v27, 2, v0 :: v_dual_bitop2_b32 v29, 3, v39 bitop3:0x40
	ds_load_b32 v28, v27
	v_cmp_ne_u32_e32 vcc_lo, 0, v29
	s_wait_dscnt 0x0
	v_mov_b32_dpp v30, v28 row_shr:1 row_mask:0xf bank_mask:0xf
	s_delay_alu instid0(VALU_DEP_1) | instskip(SKIP_1) | instid1(VALU_DEP_2)
	v_cndmask_b32_e32 v30, 0, v30, vcc_lo
	v_cmp_lt_u32_e32 vcc_lo, 1, v29
	v_add_nc_u32_e32 v28, v30, v28
	s_delay_alu instid0(VALU_DEP_1) | instskip(NEXT) | instid1(VALU_DEP_1)
	v_mov_b32_dpp v30, v28 row_shr:2 row_mask:0xf bank_mask:0xf
	v_cndmask_b32_e32 v29, 0, v30, vcc_lo
	s_delay_alu instid0(VALU_DEP_1)
	v_add_nc_u32_e32 v28, v28, v29
	ds_store_b32 v27, v28
.LBB497_180:
	s_or_b32 exec_lo, exec_lo, s0
	v_dual_mov_b32 v27, 0 :: v_dual_mov_b32 v28, 0
	s_mov_b32 s0, exec_lo
	s_wait_dscnt 0x0
	s_barrier_signal -1
	s_barrier_wait -1
	v_cmpx_lt_u32_e32 31, v0
; %bb.181:
	v_lshl_add_u32 v28, v40, 2, -4
	ds_load_b32 v28, v28
; %bb.182:
	s_or_b32 exec_lo, exec_lo, s0
	v_sub_co_u32 v29, vcc_lo, v39, 1
	s_wait_dscnt 0x0
	v_add_nc_u32_e32 v26, v28, v26
	s_delay_alu instid0(VALU_DEP_2) | instskip(NEXT) | instid1(VALU_DEP_1)
	v_cmp_gt_i32_e64 s0, 0, v29
	v_cndmask_b32_e64 v29, v29, v39, s0
	s_delay_alu instid0(VALU_DEP_1)
	v_lshlrev_b32_e32 v29, 2, v29
	ds_bpermute_b32 v29, v29, v26
	ds_load_b32 v26, v27 offset:12
	s_and_saveexec_b32 s0, s2
	s_cbranch_execz .LBB497_184
; %bb.183:
	v_dual_mov_b32 v30, 0 :: v_dual_mov_b32 v27, 2
	s_wait_dscnt 0x0
	global_store_b64 v30, v[26:27], s[10:11] offset:256 scope:SCOPE_DEV
.LBB497_184:
	s_wait_xcnt 0x0
	s_or_b32 exec_lo, exec_lo, s0
	s_wait_dscnt 0x1
	v_cndmask_b32_e32 v27, v29, v28, vcc_lo
	s_wait_storecnt_dscnt 0x0
	s_barrier_signal -1
	s_barrier_wait -1
	s_delay_alu instid0(VALU_DEP_1) | instskip(NEXT) | instid1(VALU_DEP_1)
	v_cndmask_b32_e64 v42, v27, 0, s2
	v_dual_mov_b32 v28, 0 :: v_dual_add_nc_u32 v33, v42, v25
	s_delay_alu instid0(VALU_DEP_1) | instskip(NEXT) | instid1(VALU_DEP_1)
	v_add_nc_u32_e32 v32, v33, v36
	v_add_nc_u32_e32 v31, v32, v37
	s_delay_alu instid0(VALU_DEP_1)
	v_add_nc_u32_e32 v30, v31, v38
.LBB497_185:
	s_delay_alu instid0(VALU_DEP_4)
	v_dual_add_nc_u32 v25, v28, v26 :: v_dual_bitop2_b32 v24, 1, v24 bitop3:0x40
	v_cmp_gt_u32_e64 s0, 0x81, v26
	s_mov_b32 s4, -1
	v_cmp_lt_u32_e64 s1, v42, v25
	v_cmp_eq_u32_e64 s3, 1, v24
	s_and_b32 vcc_lo, exec_lo, s0
	s_cbranch_vccz .LBB497_197
; %bb.186:
	s_or_b32 s1, s29, s1
	s_delay_alu instid0(SALU_CYCLE_1) | instskip(NEXT) | instid1(SALU_CYCLE_1)
	s_and_b32 s3, s1, s3
	s_and_saveexec_b32 s1, s3
	s_cbranch_execz .LBB497_188
; %bb.187:
	s_lshl_b64 s[4:5], s[14:15], 3
	s_delay_alu instid0(SALU_CYCLE_1)
	s_add_nc_u64 s[4:5], s[20:21], s[4:5]
	global_store_b64 v42, v[14:15], s[4:5] scale_offset
.LBB497_188:
	s_wait_xcnt 0x0
	s_or_b32 exec_lo, exec_lo, s1
	v_and_b32_e32 v27, 1, v23
	v_cmp_lt_u32_e32 vcc_lo, v33, v25
	s_delay_alu instid0(VALU_DEP_2) | instskip(SKIP_1) | instid1(SALU_CYCLE_1)
	v_cmp_eq_u32_e64 s1, 1, v27
	s_or_b32 s3, s29, vcc_lo
	s_and_b32 s3, s3, s1
	s_delay_alu instid0(SALU_CYCLE_1)
	s_and_saveexec_b32 s1, s3
	s_cbranch_execz .LBB497_190
; %bb.189:
	s_lshl_b64 s[4:5], s[14:15], 3
	s_delay_alu instid0(SALU_CYCLE_1)
	s_add_nc_u64 s[4:5], s[20:21], s[4:5]
	global_store_b64 v33, v[16:17], s[4:5] scale_offset
.LBB497_190:
	s_wait_xcnt 0x0
	s_or_b32 exec_lo, exec_lo, s1
	v_and_b32_e32 v27, 1, v35
	v_cmp_lt_u32_e32 vcc_lo, v32, v25
	s_delay_alu instid0(VALU_DEP_2) | instskip(SKIP_1) | instid1(SALU_CYCLE_1)
	v_cmp_eq_u32_e64 s1, 1, v27
	s_or_b32 s3, s29, vcc_lo
	s_and_b32 s3, s3, s1
	s_delay_alu instid0(SALU_CYCLE_1)
	;; [unrolled: 17-line block ×4, first 2 shown]
	s_and_saveexec_b32 s1, s3
	s_cbranch_execz .LBB497_196
; %bb.195:
	s_lshl_b64 s[4:5], s[14:15], 3
	s_delay_alu instid0(SALU_CYCLE_1)
	s_add_nc_u64 s[4:5], s[20:21], s[4:5]
	global_store_b64 v30, v[20:21], s[4:5] scale_offset
.LBB497_196:
	s_wait_xcnt 0x0
	s_or_b32 exec_lo, exec_lo, s1
	s_mov_b32 s4, 0
.LBB497_197:
	s_delay_alu instid0(SALU_CYCLE_1)
	s_and_b32 vcc_lo, exec_lo, s4
	s_cbranch_vccz .LBB497_211
; %bb.198:
	s_mov_b32 s1, exec_lo
	v_cmpx_eq_u32_e32 1, v24
; %bb.199:
	v_sub_nc_u32_e32 v27, v42, v28
	s_delay_alu instid0(VALU_DEP_1)
	v_lshlrev_b32_e32 v27, 3, v27
	ds_store_b64 v27, v[14:15]
; %bb.200:
	s_or_b32 exec_lo, exec_lo, s1
	v_and_b32_e32 v14, 1, v23
	s_mov_b32 s1, exec_lo
	s_delay_alu instid0(VALU_DEP_1)
	v_cmpx_eq_u32_e32 1, v14
; %bb.201:
	v_sub_nc_u32_e32 v14, v33, v28
	s_delay_alu instid0(VALU_DEP_1)
	v_lshlrev_b32_e32 v14, 3, v14
	ds_store_b64 v14, v[16:17]
; %bb.202:
	s_or_b32 exec_lo, exec_lo, s1
	v_and_b32_e32 v14, 1, v35
	s_mov_b32 s1, exec_lo
	s_delay_alu instid0(VALU_DEP_1)
	;; [unrolled: 11-line block ×4, first 2 shown]
	v_cmpx_eq_u32_e32 1, v10
; %bb.207:
	v_sub_nc_u32_e32 v10, v30, v28
	s_delay_alu instid0(VALU_DEP_1)
	v_lshlrev_b32_e32 v10, 3, v10
	ds_store_b64 v10, v[20:21]
; %bb.208:
	s_or_b32 exec_lo, exec_lo, s1
	v_dual_mov_b32 v29, 0 :: v_dual_lshlrev_b32 v12, 3, v0
	s_lshl_b64 s[4:5], s[14:15], 3
	v_mov_b32_e32 v13, v0
	s_mov_b32 s1, 0
	s_delay_alu instid0(VALU_DEP_2) | instskip(SKIP_3) | instid1(VALU_DEP_1)
	v_lshlrev_b64_e32 v[10:11], 3, v[28:29]
	s_wait_storecnt_dscnt 0x0
	s_barrier_signal -1
	s_barrier_wait -1
	v_add_nc_u64_e32 v[10:11], s[20:21], v[10:11]
	s_delay_alu instid0(VALU_DEP_1)
	v_add_nc_u64_e32 v[10:11], s[4:5], v[10:11]
.LBB497_209:                            ; =>This Inner Loop Header: Depth=1
	ds_load_b64 v[14:15], v12
	v_readfirstlane_b32 s4, v10
	v_readfirstlane_b32 s5, v11
	v_add_nc_u32_e32 v12, 0x400, v12
	s_wait_dscnt 0x0
	global_store_b64 v13, v[14:15], s[4:5] scale_offset
	s_wait_xcnt 0x0
	v_add_nc_u32_e32 v13, 0x80, v13
	s_delay_alu instid0(VALU_DEP_1) | instskip(SKIP_1) | instid1(SALU_CYCLE_1)
	v_cmp_ge_u32_e32 vcc_lo, v13, v26
	s_or_b32 s1, vcc_lo, s1
	s_and_not1_b32 exec_lo, exec_lo, s1
	s_cbranch_execnz .LBB497_209
; %bb.210:
	s_or_b32 exec_lo, exec_lo, s1
.LBB497_211:
	s_delay_alu instid0(SALU_CYCLE_1)
	s_and_b32 vcc_lo, exec_lo, s0
	s_mov_b32 s0, -1
	s_wait_storecnt 0x0
	s_barrier_signal -1
	s_barrier_wait -1
	s_cbranch_vccnz .LBB497_215
; %bb.212:
	s_and_b32 vcc_lo, exec_lo, s0
	s_cbranch_vccnz .LBB497_226
.LBB497_213:
	s_and_b32 s0, s2, s28
	s_delay_alu instid0(SALU_CYCLE_1)
	s_and_saveexec_b32 s1, s0
	s_cbranch_execnz .LBB497_239
.LBB497_214:
	s_endpgm
.LBB497_215:
	v_cmp_lt_u32_e32 vcc_lo, v42, v25
	v_cmp_eq_u32_e64 s0, 1, v24
	s_or_b32 s1, s29, vcc_lo
	s_delay_alu instid0(SALU_CYCLE_1) | instskip(NEXT) | instid1(SALU_CYCLE_1)
	s_and_b32 s1, s1, s0
	s_and_saveexec_b32 s0, s1
	s_cbranch_execz .LBB497_217
; %bb.216:
	s_lshl_b64 s[4:5], s[14:15], 3
	s_delay_alu instid0(SALU_CYCLE_1)
	s_add_nc_u64 s[4:5], s[22:23], s[4:5]
	global_store_b64 v42, v[6:7], s[4:5] scale_offset
.LBB497_217:
	s_wait_xcnt 0x0
	s_or_b32 exec_lo, exec_lo, s0
	v_and_b32_e32 v10, 1, v23
	v_cmp_lt_u32_e32 vcc_lo, v33, v25
	s_delay_alu instid0(VALU_DEP_2) | instskip(SKIP_1) | instid1(SALU_CYCLE_1)
	v_cmp_eq_u32_e64 s0, 1, v10
	s_or_b32 s1, s29, vcc_lo
	s_and_b32 s1, s1, s0
	s_delay_alu instid0(SALU_CYCLE_1)
	s_and_saveexec_b32 s0, s1
	s_cbranch_execz .LBB497_219
; %bb.218:
	s_lshl_b64 s[4:5], s[14:15], 3
	s_delay_alu instid0(SALU_CYCLE_1)
	s_add_nc_u64 s[4:5], s[22:23], s[4:5]
	global_store_b64 v33, v[8:9], s[4:5] scale_offset
.LBB497_219:
	s_wait_xcnt 0x0
	s_or_b32 exec_lo, exec_lo, s0
	v_and_b32_e32 v10, 1, v35
	v_cmp_lt_u32_e32 vcc_lo, v32, v25
	s_delay_alu instid0(VALU_DEP_2) | instskip(SKIP_1) | instid1(SALU_CYCLE_1)
	v_cmp_eq_u32_e64 s0, 1, v10
	s_or_b32 s1, s29, vcc_lo
	s_and_b32 s1, s1, s0
	s_delay_alu instid0(SALU_CYCLE_1)
	;; [unrolled: 17-line block ×4, first 2 shown]
	s_and_saveexec_b32 s0, s1
	s_cbranch_execz .LBB497_225
; %bb.224:
	s_lshl_b64 s[4:5], s[14:15], 3
	s_delay_alu instid0(SALU_CYCLE_1)
	s_add_nc_u64 s[4:5], s[22:23], s[4:5]
	global_store_b64 v30, v[18:19], s[4:5] scale_offset
.LBB497_225:
	s_wait_xcnt 0x0
	s_or_b32 exec_lo, exec_lo, s0
	s_branch .LBB497_213
.LBB497_226:
	s_mov_b32 s0, exec_lo
	v_cmpx_eq_u32_e32 1, v24
; %bb.227:
	v_sub_nc_u32_e32 v10, v42, v28
	s_delay_alu instid0(VALU_DEP_1)
	v_lshlrev_b32_e32 v10, 3, v10
	ds_store_b64 v10, v[6:7]
; %bb.228:
	s_or_b32 exec_lo, exec_lo, s0
	v_and_b32_e32 v6, 1, v23
	s_mov_b32 s0, exec_lo
	s_delay_alu instid0(VALU_DEP_1)
	v_cmpx_eq_u32_e32 1, v6
; %bb.229:
	v_sub_nc_u32_e32 v6, v33, v28
	s_delay_alu instid0(VALU_DEP_1)
	v_lshlrev_b32_e32 v6, 3, v6
	ds_store_b64 v6, v[8:9]
; %bb.230:
	s_or_b32 exec_lo, exec_lo, s0
	v_and_b32_e32 v6, 1, v35
	s_mov_b32 s0, exec_lo
	s_delay_alu instid0(VALU_DEP_1)
	v_cmpx_eq_u32_e32 1, v6
; %bb.231:
	v_sub_nc_u32_e32 v6, v32, v28
	s_delay_alu instid0(VALU_DEP_1)
	v_lshlrev_b32_e32 v6, 3, v6
	ds_store_b64 v6, v[2:3]
; %bb.232:
	s_or_b32 exec_lo, exec_lo, s0
	v_and_b32_e32 v2, 1, v22
	s_mov_b32 s0, exec_lo
	s_delay_alu instid0(VALU_DEP_1)
	v_cmpx_eq_u32_e32 1, v2
; %bb.233:
	v_sub_nc_u32_e32 v2, v31, v28
	s_delay_alu instid0(VALU_DEP_1)
	v_lshlrev_b32_e32 v2, 3, v2
	ds_store_b64 v2, v[4:5]
; %bb.234:
	s_or_b32 exec_lo, exec_lo, s0
	v_and_b32_e32 v2, 1, v34
	s_mov_b32 s0, exec_lo
	s_delay_alu instid0(VALU_DEP_1)
	v_cmpx_eq_u32_e32 1, v2
; %bb.235:
	v_sub_nc_u32_e32 v2, v30, v28
	s_delay_alu instid0(VALU_DEP_1)
	v_lshlrev_b32_e32 v2, 3, v2
	ds_store_b64 v2, v[18:19]
; %bb.236:
	s_or_b32 exec_lo, exec_lo, s0
	v_mov_b32_e32 v29, 0
	s_lshl_b64 s[0:1], s[14:15], 3
	s_wait_storecnt_dscnt 0x0
	s_barrier_signal -1
	s_barrier_wait -1
	v_lshlrev_b64_e32 v[2:3], 3, v[28:29]
	s_delay_alu instid0(VALU_DEP_1) | instskip(NEXT) | instid1(VALU_DEP_1)
	v_add_nc_u64_e32 v[2:3], s[22:23], v[2:3]
	v_add_nc_u64_e32 v[2:3], s[0:1], v[2:3]
	s_mov_b32 s0, 0
.LBB497_237:                            ; =>This Inner Loop Header: Depth=1
	ds_load_b64 v[4:5], v1
	v_readfirstlane_b32 s4, v2
	v_readfirstlane_b32 s5, v3
	v_add_nc_u32_e32 v1, 0x400, v1
	s_wait_dscnt 0x0
	global_store_b64 v0, v[4:5], s[4:5] scale_offset
	s_wait_xcnt 0x0
	v_add_nc_u32_e32 v0, 0x80, v0
	s_delay_alu instid0(VALU_DEP_1) | instskip(SKIP_1) | instid1(SALU_CYCLE_1)
	v_cmp_ge_u32_e32 vcc_lo, v0, v26
	s_or_b32 s0, vcc_lo, s0
	s_and_not1_b32 exec_lo, exec_lo, s0
	s_cbranch_execnz .LBB497_237
; %bb.238:
	s_or_b32 exec_lo, exec_lo, s0
	s_and_b32 s0, s2, s28
	s_delay_alu instid0(SALU_CYCLE_1)
	s_and_saveexec_b32 s1, s0
	s_cbranch_execz .LBB497_214
.LBB497_239:
	v_mov_b32_e32 v27, 0
	s_delay_alu instid0(VALU_DEP_1) | instskip(SKIP_1) | instid1(VALU_DEP_1)
	v_add_nc_u64_e32 v[0:1], s[14:15], v[26:27]
	v_mov_b32_e32 v29, v27
	v_add_nc_u64_e32 v[0:1], v[0:1], v[28:29]
	global_store_b64 v27, v[0:1], s[12:13]
	s_endpgm
	.section	.rodata,"a",@progbits
	.p2align	6, 0x0
	.amdhsa_kernel _ZN7rocprim17ROCPRIM_400000_NS6detail17trampoline_kernelINS0_14default_configENS1_25partition_config_selectorILNS1_17partition_subalgoE9EllbEEZZNS1_14partition_implILS5_9ELb0ES3_jPlS8_PNS0_10empty_typeENS0_5tupleIJS8_S9_EEENSB_IJS8_SA_EEENS0_18inequality_wrapperIZN2at6native12_GLOBAL__N_124unique_dim_cuda_templateIiEESt5tupleIJNSF_6TensorESK_SK_EERKSK_lbbbEUlllE0_EEPmJS9_EEE10hipError_tPvRmT3_T4_T5_T6_T7_T9_mT8_P12ihipStream_tbDpT10_ENKUlT_T0_E_clISt17integral_constantIbLb0EES19_IbLb1EEEEDaS15_S16_EUlS15_E_NS1_11comp_targetILNS1_3genE0ELNS1_11target_archE4294967295ELNS1_3gpuE0ELNS1_3repE0EEENS1_30default_config_static_selectorELNS0_4arch9wavefront6targetE0EEEvT1_
		.amdhsa_group_segment_fixed_size 5128
		.amdhsa_private_segment_fixed_size 0
		.amdhsa_kernarg_size 136
		.amdhsa_user_sgpr_count 2
		.amdhsa_user_sgpr_dispatch_ptr 0
		.amdhsa_user_sgpr_queue_ptr 0
		.amdhsa_user_sgpr_kernarg_segment_ptr 1
		.amdhsa_user_sgpr_dispatch_id 0
		.amdhsa_user_sgpr_kernarg_preload_length 0
		.amdhsa_user_sgpr_kernarg_preload_offset 0
		.amdhsa_user_sgpr_private_segment_size 0
		.amdhsa_wavefront_size32 1
		.amdhsa_uses_dynamic_stack 0
		.amdhsa_enable_private_segment 0
		.amdhsa_system_sgpr_workgroup_id_x 1
		.amdhsa_system_sgpr_workgroup_id_y 0
		.amdhsa_system_sgpr_workgroup_id_z 0
		.amdhsa_system_sgpr_workgroup_info 0
		.amdhsa_system_vgpr_workitem_id 0
		.amdhsa_next_free_vgpr 55
		.amdhsa_next_free_sgpr 36
		.amdhsa_named_barrier_count 0
		.amdhsa_reserve_vcc 1
		.amdhsa_float_round_mode_32 0
		.amdhsa_float_round_mode_16_64 0
		.amdhsa_float_denorm_mode_32 3
		.amdhsa_float_denorm_mode_16_64 3
		.amdhsa_fp16_overflow 0
		.amdhsa_memory_ordered 1
		.amdhsa_forward_progress 1
		.amdhsa_inst_pref_size 75
		.amdhsa_round_robin_scheduling 0
		.amdhsa_exception_fp_ieee_invalid_op 0
		.amdhsa_exception_fp_denorm_src 0
		.amdhsa_exception_fp_ieee_div_zero 0
		.amdhsa_exception_fp_ieee_overflow 0
		.amdhsa_exception_fp_ieee_underflow 0
		.amdhsa_exception_fp_ieee_inexact 0
		.amdhsa_exception_int_div_zero 0
	.end_amdhsa_kernel
	.section	.text._ZN7rocprim17ROCPRIM_400000_NS6detail17trampoline_kernelINS0_14default_configENS1_25partition_config_selectorILNS1_17partition_subalgoE9EllbEEZZNS1_14partition_implILS5_9ELb0ES3_jPlS8_PNS0_10empty_typeENS0_5tupleIJS8_S9_EEENSB_IJS8_SA_EEENS0_18inequality_wrapperIZN2at6native12_GLOBAL__N_124unique_dim_cuda_templateIiEESt5tupleIJNSF_6TensorESK_SK_EERKSK_lbbbEUlllE0_EEPmJS9_EEE10hipError_tPvRmT3_T4_T5_T6_T7_T9_mT8_P12ihipStream_tbDpT10_ENKUlT_T0_E_clISt17integral_constantIbLb0EES19_IbLb1EEEEDaS15_S16_EUlS15_E_NS1_11comp_targetILNS1_3genE0ELNS1_11target_archE4294967295ELNS1_3gpuE0ELNS1_3repE0EEENS1_30default_config_static_selectorELNS0_4arch9wavefront6targetE0EEEvT1_,"axG",@progbits,_ZN7rocprim17ROCPRIM_400000_NS6detail17trampoline_kernelINS0_14default_configENS1_25partition_config_selectorILNS1_17partition_subalgoE9EllbEEZZNS1_14partition_implILS5_9ELb0ES3_jPlS8_PNS0_10empty_typeENS0_5tupleIJS8_S9_EEENSB_IJS8_SA_EEENS0_18inequality_wrapperIZN2at6native12_GLOBAL__N_124unique_dim_cuda_templateIiEESt5tupleIJNSF_6TensorESK_SK_EERKSK_lbbbEUlllE0_EEPmJS9_EEE10hipError_tPvRmT3_T4_T5_T6_T7_T9_mT8_P12ihipStream_tbDpT10_ENKUlT_T0_E_clISt17integral_constantIbLb0EES19_IbLb1EEEEDaS15_S16_EUlS15_E_NS1_11comp_targetILNS1_3genE0ELNS1_11target_archE4294967295ELNS1_3gpuE0ELNS1_3repE0EEENS1_30default_config_static_selectorELNS0_4arch9wavefront6targetE0EEEvT1_,comdat
.Lfunc_end497:
	.size	_ZN7rocprim17ROCPRIM_400000_NS6detail17trampoline_kernelINS0_14default_configENS1_25partition_config_selectorILNS1_17partition_subalgoE9EllbEEZZNS1_14partition_implILS5_9ELb0ES3_jPlS8_PNS0_10empty_typeENS0_5tupleIJS8_S9_EEENSB_IJS8_SA_EEENS0_18inequality_wrapperIZN2at6native12_GLOBAL__N_124unique_dim_cuda_templateIiEESt5tupleIJNSF_6TensorESK_SK_EERKSK_lbbbEUlllE0_EEPmJS9_EEE10hipError_tPvRmT3_T4_T5_T6_T7_T9_mT8_P12ihipStream_tbDpT10_ENKUlT_T0_E_clISt17integral_constantIbLb0EES19_IbLb1EEEEDaS15_S16_EUlS15_E_NS1_11comp_targetILNS1_3genE0ELNS1_11target_archE4294967295ELNS1_3gpuE0ELNS1_3repE0EEENS1_30default_config_static_selectorELNS0_4arch9wavefront6targetE0EEEvT1_, .Lfunc_end497-_ZN7rocprim17ROCPRIM_400000_NS6detail17trampoline_kernelINS0_14default_configENS1_25partition_config_selectorILNS1_17partition_subalgoE9EllbEEZZNS1_14partition_implILS5_9ELb0ES3_jPlS8_PNS0_10empty_typeENS0_5tupleIJS8_S9_EEENSB_IJS8_SA_EEENS0_18inequality_wrapperIZN2at6native12_GLOBAL__N_124unique_dim_cuda_templateIiEESt5tupleIJNSF_6TensorESK_SK_EERKSK_lbbbEUlllE0_EEPmJS9_EEE10hipError_tPvRmT3_T4_T5_T6_T7_T9_mT8_P12ihipStream_tbDpT10_ENKUlT_T0_E_clISt17integral_constantIbLb0EES19_IbLb1EEEEDaS15_S16_EUlS15_E_NS1_11comp_targetILNS1_3genE0ELNS1_11target_archE4294967295ELNS1_3gpuE0ELNS1_3repE0EEENS1_30default_config_static_selectorELNS0_4arch9wavefront6targetE0EEEvT1_
                                        ; -- End function
	.set _ZN7rocprim17ROCPRIM_400000_NS6detail17trampoline_kernelINS0_14default_configENS1_25partition_config_selectorILNS1_17partition_subalgoE9EllbEEZZNS1_14partition_implILS5_9ELb0ES3_jPlS8_PNS0_10empty_typeENS0_5tupleIJS8_S9_EEENSB_IJS8_SA_EEENS0_18inequality_wrapperIZN2at6native12_GLOBAL__N_124unique_dim_cuda_templateIiEESt5tupleIJNSF_6TensorESK_SK_EERKSK_lbbbEUlllE0_EEPmJS9_EEE10hipError_tPvRmT3_T4_T5_T6_T7_T9_mT8_P12ihipStream_tbDpT10_ENKUlT_T0_E_clISt17integral_constantIbLb0EES19_IbLb1EEEEDaS15_S16_EUlS15_E_NS1_11comp_targetILNS1_3genE0ELNS1_11target_archE4294967295ELNS1_3gpuE0ELNS1_3repE0EEENS1_30default_config_static_selectorELNS0_4arch9wavefront6targetE0EEEvT1_.num_vgpr, 55
	.set _ZN7rocprim17ROCPRIM_400000_NS6detail17trampoline_kernelINS0_14default_configENS1_25partition_config_selectorILNS1_17partition_subalgoE9EllbEEZZNS1_14partition_implILS5_9ELb0ES3_jPlS8_PNS0_10empty_typeENS0_5tupleIJS8_S9_EEENSB_IJS8_SA_EEENS0_18inequality_wrapperIZN2at6native12_GLOBAL__N_124unique_dim_cuda_templateIiEESt5tupleIJNSF_6TensorESK_SK_EERKSK_lbbbEUlllE0_EEPmJS9_EEE10hipError_tPvRmT3_T4_T5_T6_T7_T9_mT8_P12ihipStream_tbDpT10_ENKUlT_T0_E_clISt17integral_constantIbLb0EES19_IbLb1EEEEDaS15_S16_EUlS15_E_NS1_11comp_targetILNS1_3genE0ELNS1_11target_archE4294967295ELNS1_3gpuE0ELNS1_3repE0EEENS1_30default_config_static_selectorELNS0_4arch9wavefront6targetE0EEEvT1_.num_agpr, 0
	.set _ZN7rocprim17ROCPRIM_400000_NS6detail17trampoline_kernelINS0_14default_configENS1_25partition_config_selectorILNS1_17partition_subalgoE9EllbEEZZNS1_14partition_implILS5_9ELb0ES3_jPlS8_PNS0_10empty_typeENS0_5tupleIJS8_S9_EEENSB_IJS8_SA_EEENS0_18inequality_wrapperIZN2at6native12_GLOBAL__N_124unique_dim_cuda_templateIiEESt5tupleIJNSF_6TensorESK_SK_EERKSK_lbbbEUlllE0_EEPmJS9_EEE10hipError_tPvRmT3_T4_T5_T6_T7_T9_mT8_P12ihipStream_tbDpT10_ENKUlT_T0_E_clISt17integral_constantIbLb0EES19_IbLb1EEEEDaS15_S16_EUlS15_E_NS1_11comp_targetILNS1_3genE0ELNS1_11target_archE4294967295ELNS1_3gpuE0ELNS1_3repE0EEENS1_30default_config_static_selectorELNS0_4arch9wavefront6targetE0EEEvT1_.numbered_sgpr, 36
	.set _ZN7rocprim17ROCPRIM_400000_NS6detail17trampoline_kernelINS0_14default_configENS1_25partition_config_selectorILNS1_17partition_subalgoE9EllbEEZZNS1_14partition_implILS5_9ELb0ES3_jPlS8_PNS0_10empty_typeENS0_5tupleIJS8_S9_EEENSB_IJS8_SA_EEENS0_18inequality_wrapperIZN2at6native12_GLOBAL__N_124unique_dim_cuda_templateIiEESt5tupleIJNSF_6TensorESK_SK_EERKSK_lbbbEUlllE0_EEPmJS9_EEE10hipError_tPvRmT3_T4_T5_T6_T7_T9_mT8_P12ihipStream_tbDpT10_ENKUlT_T0_E_clISt17integral_constantIbLb0EES19_IbLb1EEEEDaS15_S16_EUlS15_E_NS1_11comp_targetILNS1_3genE0ELNS1_11target_archE4294967295ELNS1_3gpuE0ELNS1_3repE0EEENS1_30default_config_static_selectorELNS0_4arch9wavefront6targetE0EEEvT1_.num_named_barrier, 0
	.set _ZN7rocprim17ROCPRIM_400000_NS6detail17trampoline_kernelINS0_14default_configENS1_25partition_config_selectorILNS1_17partition_subalgoE9EllbEEZZNS1_14partition_implILS5_9ELb0ES3_jPlS8_PNS0_10empty_typeENS0_5tupleIJS8_S9_EEENSB_IJS8_SA_EEENS0_18inequality_wrapperIZN2at6native12_GLOBAL__N_124unique_dim_cuda_templateIiEESt5tupleIJNSF_6TensorESK_SK_EERKSK_lbbbEUlllE0_EEPmJS9_EEE10hipError_tPvRmT3_T4_T5_T6_T7_T9_mT8_P12ihipStream_tbDpT10_ENKUlT_T0_E_clISt17integral_constantIbLb0EES19_IbLb1EEEEDaS15_S16_EUlS15_E_NS1_11comp_targetILNS1_3genE0ELNS1_11target_archE4294967295ELNS1_3gpuE0ELNS1_3repE0EEENS1_30default_config_static_selectorELNS0_4arch9wavefront6targetE0EEEvT1_.private_seg_size, 0
	.set _ZN7rocprim17ROCPRIM_400000_NS6detail17trampoline_kernelINS0_14default_configENS1_25partition_config_selectorILNS1_17partition_subalgoE9EllbEEZZNS1_14partition_implILS5_9ELb0ES3_jPlS8_PNS0_10empty_typeENS0_5tupleIJS8_S9_EEENSB_IJS8_SA_EEENS0_18inequality_wrapperIZN2at6native12_GLOBAL__N_124unique_dim_cuda_templateIiEESt5tupleIJNSF_6TensorESK_SK_EERKSK_lbbbEUlllE0_EEPmJS9_EEE10hipError_tPvRmT3_T4_T5_T6_T7_T9_mT8_P12ihipStream_tbDpT10_ENKUlT_T0_E_clISt17integral_constantIbLb0EES19_IbLb1EEEEDaS15_S16_EUlS15_E_NS1_11comp_targetILNS1_3genE0ELNS1_11target_archE4294967295ELNS1_3gpuE0ELNS1_3repE0EEENS1_30default_config_static_selectorELNS0_4arch9wavefront6targetE0EEEvT1_.uses_vcc, 1
	.set _ZN7rocprim17ROCPRIM_400000_NS6detail17trampoline_kernelINS0_14default_configENS1_25partition_config_selectorILNS1_17partition_subalgoE9EllbEEZZNS1_14partition_implILS5_9ELb0ES3_jPlS8_PNS0_10empty_typeENS0_5tupleIJS8_S9_EEENSB_IJS8_SA_EEENS0_18inequality_wrapperIZN2at6native12_GLOBAL__N_124unique_dim_cuda_templateIiEESt5tupleIJNSF_6TensorESK_SK_EERKSK_lbbbEUlllE0_EEPmJS9_EEE10hipError_tPvRmT3_T4_T5_T6_T7_T9_mT8_P12ihipStream_tbDpT10_ENKUlT_T0_E_clISt17integral_constantIbLb0EES19_IbLb1EEEEDaS15_S16_EUlS15_E_NS1_11comp_targetILNS1_3genE0ELNS1_11target_archE4294967295ELNS1_3gpuE0ELNS1_3repE0EEENS1_30default_config_static_selectorELNS0_4arch9wavefront6targetE0EEEvT1_.uses_flat_scratch, 0
	.set _ZN7rocprim17ROCPRIM_400000_NS6detail17trampoline_kernelINS0_14default_configENS1_25partition_config_selectorILNS1_17partition_subalgoE9EllbEEZZNS1_14partition_implILS5_9ELb0ES3_jPlS8_PNS0_10empty_typeENS0_5tupleIJS8_S9_EEENSB_IJS8_SA_EEENS0_18inequality_wrapperIZN2at6native12_GLOBAL__N_124unique_dim_cuda_templateIiEESt5tupleIJNSF_6TensorESK_SK_EERKSK_lbbbEUlllE0_EEPmJS9_EEE10hipError_tPvRmT3_T4_T5_T6_T7_T9_mT8_P12ihipStream_tbDpT10_ENKUlT_T0_E_clISt17integral_constantIbLb0EES19_IbLb1EEEEDaS15_S16_EUlS15_E_NS1_11comp_targetILNS1_3genE0ELNS1_11target_archE4294967295ELNS1_3gpuE0ELNS1_3repE0EEENS1_30default_config_static_selectorELNS0_4arch9wavefront6targetE0EEEvT1_.has_dyn_sized_stack, 0
	.set _ZN7rocprim17ROCPRIM_400000_NS6detail17trampoline_kernelINS0_14default_configENS1_25partition_config_selectorILNS1_17partition_subalgoE9EllbEEZZNS1_14partition_implILS5_9ELb0ES3_jPlS8_PNS0_10empty_typeENS0_5tupleIJS8_S9_EEENSB_IJS8_SA_EEENS0_18inequality_wrapperIZN2at6native12_GLOBAL__N_124unique_dim_cuda_templateIiEESt5tupleIJNSF_6TensorESK_SK_EERKSK_lbbbEUlllE0_EEPmJS9_EEE10hipError_tPvRmT3_T4_T5_T6_T7_T9_mT8_P12ihipStream_tbDpT10_ENKUlT_T0_E_clISt17integral_constantIbLb0EES19_IbLb1EEEEDaS15_S16_EUlS15_E_NS1_11comp_targetILNS1_3genE0ELNS1_11target_archE4294967295ELNS1_3gpuE0ELNS1_3repE0EEENS1_30default_config_static_selectorELNS0_4arch9wavefront6targetE0EEEvT1_.has_recursion, 0
	.set _ZN7rocprim17ROCPRIM_400000_NS6detail17trampoline_kernelINS0_14default_configENS1_25partition_config_selectorILNS1_17partition_subalgoE9EllbEEZZNS1_14partition_implILS5_9ELb0ES3_jPlS8_PNS0_10empty_typeENS0_5tupleIJS8_S9_EEENSB_IJS8_SA_EEENS0_18inequality_wrapperIZN2at6native12_GLOBAL__N_124unique_dim_cuda_templateIiEESt5tupleIJNSF_6TensorESK_SK_EERKSK_lbbbEUlllE0_EEPmJS9_EEE10hipError_tPvRmT3_T4_T5_T6_T7_T9_mT8_P12ihipStream_tbDpT10_ENKUlT_T0_E_clISt17integral_constantIbLb0EES19_IbLb1EEEEDaS15_S16_EUlS15_E_NS1_11comp_targetILNS1_3genE0ELNS1_11target_archE4294967295ELNS1_3gpuE0ELNS1_3repE0EEENS1_30default_config_static_selectorELNS0_4arch9wavefront6targetE0EEEvT1_.has_indirect_call, 0
	.section	.AMDGPU.csdata,"",@progbits
; Kernel info:
; codeLenInByte = 9540
; TotalNumSgprs: 38
; NumVgprs: 55
; ScratchSize: 0
; MemoryBound: 0
; FloatMode: 240
; IeeeMode: 1
; LDSByteSize: 5128 bytes/workgroup (compile time only)
; SGPRBlocks: 0
; VGPRBlocks: 3
; NumSGPRsForWavesPerEU: 38
; NumVGPRsForWavesPerEU: 55
; NamedBarCnt: 0
; Occupancy: 16
; WaveLimiterHint : 1
; COMPUTE_PGM_RSRC2:SCRATCH_EN: 0
; COMPUTE_PGM_RSRC2:USER_SGPR: 2
; COMPUTE_PGM_RSRC2:TRAP_HANDLER: 0
; COMPUTE_PGM_RSRC2:TGID_X_EN: 1
; COMPUTE_PGM_RSRC2:TGID_Y_EN: 0
; COMPUTE_PGM_RSRC2:TGID_Z_EN: 0
; COMPUTE_PGM_RSRC2:TIDIG_COMP_CNT: 0
	.section	.text._ZN7rocprim17ROCPRIM_400000_NS6detail17trampoline_kernelINS0_14default_configENS1_25partition_config_selectorILNS1_17partition_subalgoE9EllbEEZZNS1_14partition_implILS5_9ELb0ES3_jPlS8_PNS0_10empty_typeENS0_5tupleIJS8_S9_EEENSB_IJS8_SA_EEENS0_18inequality_wrapperIZN2at6native12_GLOBAL__N_124unique_dim_cuda_templateIiEESt5tupleIJNSF_6TensorESK_SK_EERKSK_lbbbEUlllE0_EEPmJS9_EEE10hipError_tPvRmT3_T4_T5_T6_T7_T9_mT8_P12ihipStream_tbDpT10_ENKUlT_T0_E_clISt17integral_constantIbLb0EES19_IbLb1EEEEDaS15_S16_EUlS15_E_NS1_11comp_targetILNS1_3genE5ELNS1_11target_archE942ELNS1_3gpuE9ELNS1_3repE0EEENS1_30default_config_static_selectorELNS0_4arch9wavefront6targetE0EEEvT1_,"axG",@progbits,_ZN7rocprim17ROCPRIM_400000_NS6detail17trampoline_kernelINS0_14default_configENS1_25partition_config_selectorILNS1_17partition_subalgoE9EllbEEZZNS1_14partition_implILS5_9ELb0ES3_jPlS8_PNS0_10empty_typeENS0_5tupleIJS8_S9_EEENSB_IJS8_SA_EEENS0_18inequality_wrapperIZN2at6native12_GLOBAL__N_124unique_dim_cuda_templateIiEESt5tupleIJNSF_6TensorESK_SK_EERKSK_lbbbEUlllE0_EEPmJS9_EEE10hipError_tPvRmT3_T4_T5_T6_T7_T9_mT8_P12ihipStream_tbDpT10_ENKUlT_T0_E_clISt17integral_constantIbLb0EES19_IbLb1EEEEDaS15_S16_EUlS15_E_NS1_11comp_targetILNS1_3genE5ELNS1_11target_archE942ELNS1_3gpuE9ELNS1_3repE0EEENS1_30default_config_static_selectorELNS0_4arch9wavefront6targetE0EEEvT1_,comdat
	.globl	_ZN7rocprim17ROCPRIM_400000_NS6detail17trampoline_kernelINS0_14default_configENS1_25partition_config_selectorILNS1_17partition_subalgoE9EllbEEZZNS1_14partition_implILS5_9ELb0ES3_jPlS8_PNS0_10empty_typeENS0_5tupleIJS8_S9_EEENSB_IJS8_SA_EEENS0_18inequality_wrapperIZN2at6native12_GLOBAL__N_124unique_dim_cuda_templateIiEESt5tupleIJNSF_6TensorESK_SK_EERKSK_lbbbEUlllE0_EEPmJS9_EEE10hipError_tPvRmT3_T4_T5_T6_T7_T9_mT8_P12ihipStream_tbDpT10_ENKUlT_T0_E_clISt17integral_constantIbLb0EES19_IbLb1EEEEDaS15_S16_EUlS15_E_NS1_11comp_targetILNS1_3genE5ELNS1_11target_archE942ELNS1_3gpuE9ELNS1_3repE0EEENS1_30default_config_static_selectorELNS0_4arch9wavefront6targetE0EEEvT1_ ; -- Begin function _ZN7rocprim17ROCPRIM_400000_NS6detail17trampoline_kernelINS0_14default_configENS1_25partition_config_selectorILNS1_17partition_subalgoE9EllbEEZZNS1_14partition_implILS5_9ELb0ES3_jPlS8_PNS0_10empty_typeENS0_5tupleIJS8_S9_EEENSB_IJS8_SA_EEENS0_18inequality_wrapperIZN2at6native12_GLOBAL__N_124unique_dim_cuda_templateIiEESt5tupleIJNSF_6TensorESK_SK_EERKSK_lbbbEUlllE0_EEPmJS9_EEE10hipError_tPvRmT3_T4_T5_T6_T7_T9_mT8_P12ihipStream_tbDpT10_ENKUlT_T0_E_clISt17integral_constantIbLb0EES19_IbLb1EEEEDaS15_S16_EUlS15_E_NS1_11comp_targetILNS1_3genE5ELNS1_11target_archE942ELNS1_3gpuE9ELNS1_3repE0EEENS1_30default_config_static_selectorELNS0_4arch9wavefront6targetE0EEEvT1_
	.p2align	8
	.type	_ZN7rocprim17ROCPRIM_400000_NS6detail17trampoline_kernelINS0_14default_configENS1_25partition_config_selectorILNS1_17partition_subalgoE9EllbEEZZNS1_14partition_implILS5_9ELb0ES3_jPlS8_PNS0_10empty_typeENS0_5tupleIJS8_S9_EEENSB_IJS8_SA_EEENS0_18inequality_wrapperIZN2at6native12_GLOBAL__N_124unique_dim_cuda_templateIiEESt5tupleIJNSF_6TensorESK_SK_EERKSK_lbbbEUlllE0_EEPmJS9_EEE10hipError_tPvRmT3_T4_T5_T6_T7_T9_mT8_P12ihipStream_tbDpT10_ENKUlT_T0_E_clISt17integral_constantIbLb0EES19_IbLb1EEEEDaS15_S16_EUlS15_E_NS1_11comp_targetILNS1_3genE5ELNS1_11target_archE942ELNS1_3gpuE9ELNS1_3repE0EEENS1_30default_config_static_selectorELNS0_4arch9wavefront6targetE0EEEvT1_,@function
_ZN7rocprim17ROCPRIM_400000_NS6detail17trampoline_kernelINS0_14default_configENS1_25partition_config_selectorILNS1_17partition_subalgoE9EllbEEZZNS1_14partition_implILS5_9ELb0ES3_jPlS8_PNS0_10empty_typeENS0_5tupleIJS8_S9_EEENSB_IJS8_SA_EEENS0_18inequality_wrapperIZN2at6native12_GLOBAL__N_124unique_dim_cuda_templateIiEESt5tupleIJNSF_6TensorESK_SK_EERKSK_lbbbEUlllE0_EEPmJS9_EEE10hipError_tPvRmT3_T4_T5_T6_T7_T9_mT8_P12ihipStream_tbDpT10_ENKUlT_T0_E_clISt17integral_constantIbLb0EES19_IbLb1EEEEDaS15_S16_EUlS15_E_NS1_11comp_targetILNS1_3genE5ELNS1_11target_archE942ELNS1_3gpuE9ELNS1_3repE0EEENS1_30default_config_static_selectorELNS0_4arch9wavefront6targetE0EEEvT1_: ; @_ZN7rocprim17ROCPRIM_400000_NS6detail17trampoline_kernelINS0_14default_configENS1_25partition_config_selectorILNS1_17partition_subalgoE9EllbEEZZNS1_14partition_implILS5_9ELb0ES3_jPlS8_PNS0_10empty_typeENS0_5tupleIJS8_S9_EEENSB_IJS8_SA_EEENS0_18inequality_wrapperIZN2at6native12_GLOBAL__N_124unique_dim_cuda_templateIiEESt5tupleIJNSF_6TensorESK_SK_EERKSK_lbbbEUlllE0_EEPmJS9_EEE10hipError_tPvRmT3_T4_T5_T6_T7_T9_mT8_P12ihipStream_tbDpT10_ENKUlT_T0_E_clISt17integral_constantIbLb0EES19_IbLb1EEEEDaS15_S16_EUlS15_E_NS1_11comp_targetILNS1_3genE5ELNS1_11target_archE942ELNS1_3gpuE9ELNS1_3repE0EEENS1_30default_config_static_selectorELNS0_4arch9wavefront6targetE0EEEvT1_
; %bb.0:
	.section	.rodata,"a",@progbits
	.p2align	6, 0x0
	.amdhsa_kernel _ZN7rocprim17ROCPRIM_400000_NS6detail17trampoline_kernelINS0_14default_configENS1_25partition_config_selectorILNS1_17partition_subalgoE9EllbEEZZNS1_14partition_implILS5_9ELb0ES3_jPlS8_PNS0_10empty_typeENS0_5tupleIJS8_S9_EEENSB_IJS8_SA_EEENS0_18inequality_wrapperIZN2at6native12_GLOBAL__N_124unique_dim_cuda_templateIiEESt5tupleIJNSF_6TensorESK_SK_EERKSK_lbbbEUlllE0_EEPmJS9_EEE10hipError_tPvRmT3_T4_T5_T6_T7_T9_mT8_P12ihipStream_tbDpT10_ENKUlT_T0_E_clISt17integral_constantIbLb0EES19_IbLb1EEEEDaS15_S16_EUlS15_E_NS1_11comp_targetILNS1_3genE5ELNS1_11target_archE942ELNS1_3gpuE9ELNS1_3repE0EEENS1_30default_config_static_selectorELNS0_4arch9wavefront6targetE0EEEvT1_
		.amdhsa_group_segment_fixed_size 0
		.amdhsa_private_segment_fixed_size 0
		.amdhsa_kernarg_size 136
		.amdhsa_user_sgpr_count 2
		.amdhsa_user_sgpr_dispatch_ptr 0
		.amdhsa_user_sgpr_queue_ptr 0
		.amdhsa_user_sgpr_kernarg_segment_ptr 1
		.amdhsa_user_sgpr_dispatch_id 0
		.amdhsa_user_sgpr_kernarg_preload_length 0
		.amdhsa_user_sgpr_kernarg_preload_offset 0
		.amdhsa_user_sgpr_private_segment_size 0
		.amdhsa_wavefront_size32 1
		.amdhsa_uses_dynamic_stack 0
		.amdhsa_enable_private_segment 0
		.amdhsa_system_sgpr_workgroup_id_x 1
		.amdhsa_system_sgpr_workgroup_id_y 0
		.amdhsa_system_sgpr_workgroup_id_z 0
		.amdhsa_system_sgpr_workgroup_info 0
		.amdhsa_system_vgpr_workitem_id 0
		.amdhsa_next_free_vgpr 1
		.amdhsa_next_free_sgpr 1
		.amdhsa_named_barrier_count 0
		.amdhsa_reserve_vcc 0
		.amdhsa_float_round_mode_32 0
		.amdhsa_float_round_mode_16_64 0
		.amdhsa_float_denorm_mode_32 3
		.amdhsa_float_denorm_mode_16_64 3
		.amdhsa_fp16_overflow 0
		.amdhsa_memory_ordered 1
		.amdhsa_forward_progress 1
		.amdhsa_inst_pref_size 0
		.amdhsa_round_robin_scheduling 0
		.amdhsa_exception_fp_ieee_invalid_op 0
		.amdhsa_exception_fp_denorm_src 0
		.amdhsa_exception_fp_ieee_div_zero 0
		.amdhsa_exception_fp_ieee_overflow 0
		.amdhsa_exception_fp_ieee_underflow 0
		.amdhsa_exception_fp_ieee_inexact 0
		.amdhsa_exception_int_div_zero 0
	.end_amdhsa_kernel
	.section	.text._ZN7rocprim17ROCPRIM_400000_NS6detail17trampoline_kernelINS0_14default_configENS1_25partition_config_selectorILNS1_17partition_subalgoE9EllbEEZZNS1_14partition_implILS5_9ELb0ES3_jPlS8_PNS0_10empty_typeENS0_5tupleIJS8_S9_EEENSB_IJS8_SA_EEENS0_18inequality_wrapperIZN2at6native12_GLOBAL__N_124unique_dim_cuda_templateIiEESt5tupleIJNSF_6TensorESK_SK_EERKSK_lbbbEUlllE0_EEPmJS9_EEE10hipError_tPvRmT3_T4_T5_T6_T7_T9_mT8_P12ihipStream_tbDpT10_ENKUlT_T0_E_clISt17integral_constantIbLb0EES19_IbLb1EEEEDaS15_S16_EUlS15_E_NS1_11comp_targetILNS1_3genE5ELNS1_11target_archE942ELNS1_3gpuE9ELNS1_3repE0EEENS1_30default_config_static_selectorELNS0_4arch9wavefront6targetE0EEEvT1_,"axG",@progbits,_ZN7rocprim17ROCPRIM_400000_NS6detail17trampoline_kernelINS0_14default_configENS1_25partition_config_selectorILNS1_17partition_subalgoE9EllbEEZZNS1_14partition_implILS5_9ELb0ES3_jPlS8_PNS0_10empty_typeENS0_5tupleIJS8_S9_EEENSB_IJS8_SA_EEENS0_18inequality_wrapperIZN2at6native12_GLOBAL__N_124unique_dim_cuda_templateIiEESt5tupleIJNSF_6TensorESK_SK_EERKSK_lbbbEUlllE0_EEPmJS9_EEE10hipError_tPvRmT3_T4_T5_T6_T7_T9_mT8_P12ihipStream_tbDpT10_ENKUlT_T0_E_clISt17integral_constantIbLb0EES19_IbLb1EEEEDaS15_S16_EUlS15_E_NS1_11comp_targetILNS1_3genE5ELNS1_11target_archE942ELNS1_3gpuE9ELNS1_3repE0EEENS1_30default_config_static_selectorELNS0_4arch9wavefront6targetE0EEEvT1_,comdat
.Lfunc_end498:
	.size	_ZN7rocprim17ROCPRIM_400000_NS6detail17trampoline_kernelINS0_14default_configENS1_25partition_config_selectorILNS1_17partition_subalgoE9EllbEEZZNS1_14partition_implILS5_9ELb0ES3_jPlS8_PNS0_10empty_typeENS0_5tupleIJS8_S9_EEENSB_IJS8_SA_EEENS0_18inequality_wrapperIZN2at6native12_GLOBAL__N_124unique_dim_cuda_templateIiEESt5tupleIJNSF_6TensorESK_SK_EERKSK_lbbbEUlllE0_EEPmJS9_EEE10hipError_tPvRmT3_T4_T5_T6_T7_T9_mT8_P12ihipStream_tbDpT10_ENKUlT_T0_E_clISt17integral_constantIbLb0EES19_IbLb1EEEEDaS15_S16_EUlS15_E_NS1_11comp_targetILNS1_3genE5ELNS1_11target_archE942ELNS1_3gpuE9ELNS1_3repE0EEENS1_30default_config_static_selectorELNS0_4arch9wavefront6targetE0EEEvT1_, .Lfunc_end498-_ZN7rocprim17ROCPRIM_400000_NS6detail17trampoline_kernelINS0_14default_configENS1_25partition_config_selectorILNS1_17partition_subalgoE9EllbEEZZNS1_14partition_implILS5_9ELb0ES3_jPlS8_PNS0_10empty_typeENS0_5tupleIJS8_S9_EEENSB_IJS8_SA_EEENS0_18inequality_wrapperIZN2at6native12_GLOBAL__N_124unique_dim_cuda_templateIiEESt5tupleIJNSF_6TensorESK_SK_EERKSK_lbbbEUlllE0_EEPmJS9_EEE10hipError_tPvRmT3_T4_T5_T6_T7_T9_mT8_P12ihipStream_tbDpT10_ENKUlT_T0_E_clISt17integral_constantIbLb0EES19_IbLb1EEEEDaS15_S16_EUlS15_E_NS1_11comp_targetILNS1_3genE5ELNS1_11target_archE942ELNS1_3gpuE9ELNS1_3repE0EEENS1_30default_config_static_selectorELNS0_4arch9wavefront6targetE0EEEvT1_
                                        ; -- End function
	.set _ZN7rocprim17ROCPRIM_400000_NS6detail17trampoline_kernelINS0_14default_configENS1_25partition_config_selectorILNS1_17partition_subalgoE9EllbEEZZNS1_14partition_implILS5_9ELb0ES3_jPlS8_PNS0_10empty_typeENS0_5tupleIJS8_S9_EEENSB_IJS8_SA_EEENS0_18inequality_wrapperIZN2at6native12_GLOBAL__N_124unique_dim_cuda_templateIiEESt5tupleIJNSF_6TensorESK_SK_EERKSK_lbbbEUlllE0_EEPmJS9_EEE10hipError_tPvRmT3_T4_T5_T6_T7_T9_mT8_P12ihipStream_tbDpT10_ENKUlT_T0_E_clISt17integral_constantIbLb0EES19_IbLb1EEEEDaS15_S16_EUlS15_E_NS1_11comp_targetILNS1_3genE5ELNS1_11target_archE942ELNS1_3gpuE9ELNS1_3repE0EEENS1_30default_config_static_selectorELNS0_4arch9wavefront6targetE0EEEvT1_.num_vgpr, 0
	.set _ZN7rocprim17ROCPRIM_400000_NS6detail17trampoline_kernelINS0_14default_configENS1_25partition_config_selectorILNS1_17partition_subalgoE9EllbEEZZNS1_14partition_implILS5_9ELb0ES3_jPlS8_PNS0_10empty_typeENS0_5tupleIJS8_S9_EEENSB_IJS8_SA_EEENS0_18inequality_wrapperIZN2at6native12_GLOBAL__N_124unique_dim_cuda_templateIiEESt5tupleIJNSF_6TensorESK_SK_EERKSK_lbbbEUlllE0_EEPmJS9_EEE10hipError_tPvRmT3_T4_T5_T6_T7_T9_mT8_P12ihipStream_tbDpT10_ENKUlT_T0_E_clISt17integral_constantIbLb0EES19_IbLb1EEEEDaS15_S16_EUlS15_E_NS1_11comp_targetILNS1_3genE5ELNS1_11target_archE942ELNS1_3gpuE9ELNS1_3repE0EEENS1_30default_config_static_selectorELNS0_4arch9wavefront6targetE0EEEvT1_.num_agpr, 0
	.set _ZN7rocprim17ROCPRIM_400000_NS6detail17trampoline_kernelINS0_14default_configENS1_25partition_config_selectorILNS1_17partition_subalgoE9EllbEEZZNS1_14partition_implILS5_9ELb0ES3_jPlS8_PNS0_10empty_typeENS0_5tupleIJS8_S9_EEENSB_IJS8_SA_EEENS0_18inequality_wrapperIZN2at6native12_GLOBAL__N_124unique_dim_cuda_templateIiEESt5tupleIJNSF_6TensorESK_SK_EERKSK_lbbbEUlllE0_EEPmJS9_EEE10hipError_tPvRmT3_T4_T5_T6_T7_T9_mT8_P12ihipStream_tbDpT10_ENKUlT_T0_E_clISt17integral_constantIbLb0EES19_IbLb1EEEEDaS15_S16_EUlS15_E_NS1_11comp_targetILNS1_3genE5ELNS1_11target_archE942ELNS1_3gpuE9ELNS1_3repE0EEENS1_30default_config_static_selectorELNS0_4arch9wavefront6targetE0EEEvT1_.numbered_sgpr, 0
	.set _ZN7rocprim17ROCPRIM_400000_NS6detail17trampoline_kernelINS0_14default_configENS1_25partition_config_selectorILNS1_17partition_subalgoE9EllbEEZZNS1_14partition_implILS5_9ELb0ES3_jPlS8_PNS0_10empty_typeENS0_5tupleIJS8_S9_EEENSB_IJS8_SA_EEENS0_18inequality_wrapperIZN2at6native12_GLOBAL__N_124unique_dim_cuda_templateIiEESt5tupleIJNSF_6TensorESK_SK_EERKSK_lbbbEUlllE0_EEPmJS9_EEE10hipError_tPvRmT3_T4_T5_T6_T7_T9_mT8_P12ihipStream_tbDpT10_ENKUlT_T0_E_clISt17integral_constantIbLb0EES19_IbLb1EEEEDaS15_S16_EUlS15_E_NS1_11comp_targetILNS1_3genE5ELNS1_11target_archE942ELNS1_3gpuE9ELNS1_3repE0EEENS1_30default_config_static_selectorELNS0_4arch9wavefront6targetE0EEEvT1_.num_named_barrier, 0
	.set _ZN7rocprim17ROCPRIM_400000_NS6detail17trampoline_kernelINS0_14default_configENS1_25partition_config_selectorILNS1_17partition_subalgoE9EllbEEZZNS1_14partition_implILS5_9ELb0ES3_jPlS8_PNS0_10empty_typeENS0_5tupleIJS8_S9_EEENSB_IJS8_SA_EEENS0_18inequality_wrapperIZN2at6native12_GLOBAL__N_124unique_dim_cuda_templateIiEESt5tupleIJNSF_6TensorESK_SK_EERKSK_lbbbEUlllE0_EEPmJS9_EEE10hipError_tPvRmT3_T4_T5_T6_T7_T9_mT8_P12ihipStream_tbDpT10_ENKUlT_T0_E_clISt17integral_constantIbLb0EES19_IbLb1EEEEDaS15_S16_EUlS15_E_NS1_11comp_targetILNS1_3genE5ELNS1_11target_archE942ELNS1_3gpuE9ELNS1_3repE0EEENS1_30default_config_static_selectorELNS0_4arch9wavefront6targetE0EEEvT1_.private_seg_size, 0
	.set _ZN7rocprim17ROCPRIM_400000_NS6detail17trampoline_kernelINS0_14default_configENS1_25partition_config_selectorILNS1_17partition_subalgoE9EllbEEZZNS1_14partition_implILS5_9ELb0ES3_jPlS8_PNS0_10empty_typeENS0_5tupleIJS8_S9_EEENSB_IJS8_SA_EEENS0_18inequality_wrapperIZN2at6native12_GLOBAL__N_124unique_dim_cuda_templateIiEESt5tupleIJNSF_6TensorESK_SK_EERKSK_lbbbEUlllE0_EEPmJS9_EEE10hipError_tPvRmT3_T4_T5_T6_T7_T9_mT8_P12ihipStream_tbDpT10_ENKUlT_T0_E_clISt17integral_constantIbLb0EES19_IbLb1EEEEDaS15_S16_EUlS15_E_NS1_11comp_targetILNS1_3genE5ELNS1_11target_archE942ELNS1_3gpuE9ELNS1_3repE0EEENS1_30default_config_static_selectorELNS0_4arch9wavefront6targetE0EEEvT1_.uses_vcc, 0
	.set _ZN7rocprim17ROCPRIM_400000_NS6detail17trampoline_kernelINS0_14default_configENS1_25partition_config_selectorILNS1_17partition_subalgoE9EllbEEZZNS1_14partition_implILS5_9ELb0ES3_jPlS8_PNS0_10empty_typeENS0_5tupleIJS8_S9_EEENSB_IJS8_SA_EEENS0_18inequality_wrapperIZN2at6native12_GLOBAL__N_124unique_dim_cuda_templateIiEESt5tupleIJNSF_6TensorESK_SK_EERKSK_lbbbEUlllE0_EEPmJS9_EEE10hipError_tPvRmT3_T4_T5_T6_T7_T9_mT8_P12ihipStream_tbDpT10_ENKUlT_T0_E_clISt17integral_constantIbLb0EES19_IbLb1EEEEDaS15_S16_EUlS15_E_NS1_11comp_targetILNS1_3genE5ELNS1_11target_archE942ELNS1_3gpuE9ELNS1_3repE0EEENS1_30default_config_static_selectorELNS0_4arch9wavefront6targetE0EEEvT1_.uses_flat_scratch, 0
	.set _ZN7rocprim17ROCPRIM_400000_NS6detail17trampoline_kernelINS0_14default_configENS1_25partition_config_selectorILNS1_17partition_subalgoE9EllbEEZZNS1_14partition_implILS5_9ELb0ES3_jPlS8_PNS0_10empty_typeENS0_5tupleIJS8_S9_EEENSB_IJS8_SA_EEENS0_18inequality_wrapperIZN2at6native12_GLOBAL__N_124unique_dim_cuda_templateIiEESt5tupleIJNSF_6TensorESK_SK_EERKSK_lbbbEUlllE0_EEPmJS9_EEE10hipError_tPvRmT3_T4_T5_T6_T7_T9_mT8_P12ihipStream_tbDpT10_ENKUlT_T0_E_clISt17integral_constantIbLb0EES19_IbLb1EEEEDaS15_S16_EUlS15_E_NS1_11comp_targetILNS1_3genE5ELNS1_11target_archE942ELNS1_3gpuE9ELNS1_3repE0EEENS1_30default_config_static_selectorELNS0_4arch9wavefront6targetE0EEEvT1_.has_dyn_sized_stack, 0
	.set _ZN7rocprim17ROCPRIM_400000_NS6detail17trampoline_kernelINS0_14default_configENS1_25partition_config_selectorILNS1_17partition_subalgoE9EllbEEZZNS1_14partition_implILS5_9ELb0ES3_jPlS8_PNS0_10empty_typeENS0_5tupleIJS8_S9_EEENSB_IJS8_SA_EEENS0_18inequality_wrapperIZN2at6native12_GLOBAL__N_124unique_dim_cuda_templateIiEESt5tupleIJNSF_6TensorESK_SK_EERKSK_lbbbEUlllE0_EEPmJS9_EEE10hipError_tPvRmT3_T4_T5_T6_T7_T9_mT8_P12ihipStream_tbDpT10_ENKUlT_T0_E_clISt17integral_constantIbLb0EES19_IbLb1EEEEDaS15_S16_EUlS15_E_NS1_11comp_targetILNS1_3genE5ELNS1_11target_archE942ELNS1_3gpuE9ELNS1_3repE0EEENS1_30default_config_static_selectorELNS0_4arch9wavefront6targetE0EEEvT1_.has_recursion, 0
	.set _ZN7rocprim17ROCPRIM_400000_NS6detail17trampoline_kernelINS0_14default_configENS1_25partition_config_selectorILNS1_17partition_subalgoE9EllbEEZZNS1_14partition_implILS5_9ELb0ES3_jPlS8_PNS0_10empty_typeENS0_5tupleIJS8_S9_EEENSB_IJS8_SA_EEENS0_18inequality_wrapperIZN2at6native12_GLOBAL__N_124unique_dim_cuda_templateIiEESt5tupleIJNSF_6TensorESK_SK_EERKSK_lbbbEUlllE0_EEPmJS9_EEE10hipError_tPvRmT3_T4_T5_T6_T7_T9_mT8_P12ihipStream_tbDpT10_ENKUlT_T0_E_clISt17integral_constantIbLb0EES19_IbLb1EEEEDaS15_S16_EUlS15_E_NS1_11comp_targetILNS1_3genE5ELNS1_11target_archE942ELNS1_3gpuE9ELNS1_3repE0EEENS1_30default_config_static_selectorELNS0_4arch9wavefront6targetE0EEEvT1_.has_indirect_call, 0
	.section	.AMDGPU.csdata,"",@progbits
; Kernel info:
; codeLenInByte = 0
; TotalNumSgprs: 0
; NumVgprs: 0
; ScratchSize: 0
; MemoryBound: 0
; FloatMode: 240
; IeeeMode: 1
; LDSByteSize: 0 bytes/workgroup (compile time only)
; SGPRBlocks: 0
; VGPRBlocks: 0
; NumSGPRsForWavesPerEU: 1
; NumVGPRsForWavesPerEU: 1
; NamedBarCnt: 0
; Occupancy: 16
; WaveLimiterHint : 0
; COMPUTE_PGM_RSRC2:SCRATCH_EN: 0
; COMPUTE_PGM_RSRC2:USER_SGPR: 2
; COMPUTE_PGM_RSRC2:TRAP_HANDLER: 0
; COMPUTE_PGM_RSRC2:TGID_X_EN: 1
; COMPUTE_PGM_RSRC2:TGID_Y_EN: 0
; COMPUTE_PGM_RSRC2:TGID_Z_EN: 0
; COMPUTE_PGM_RSRC2:TIDIG_COMP_CNT: 0
	.section	.text._ZN7rocprim17ROCPRIM_400000_NS6detail17trampoline_kernelINS0_14default_configENS1_25partition_config_selectorILNS1_17partition_subalgoE9EllbEEZZNS1_14partition_implILS5_9ELb0ES3_jPlS8_PNS0_10empty_typeENS0_5tupleIJS8_S9_EEENSB_IJS8_SA_EEENS0_18inequality_wrapperIZN2at6native12_GLOBAL__N_124unique_dim_cuda_templateIiEESt5tupleIJNSF_6TensorESK_SK_EERKSK_lbbbEUlllE0_EEPmJS9_EEE10hipError_tPvRmT3_T4_T5_T6_T7_T9_mT8_P12ihipStream_tbDpT10_ENKUlT_T0_E_clISt17integral_constantIbLb0EES19_IbLb1EEEEDaS15_S16_EUlS15_E_NS1_11comp_targetILNS1_3genE4ELNS1_11target_archE910ELNS1_3gpuE8ELNS1_3repE0EEENS1_30default_config_static_selectorELNS0_4arch9wavefront6targetE0EEEvT1_,"axG",@progbits,_ZN7rocprim17ROCPRIM_400000_NS6detail17trampoline_kernelINS0_14default_configENS1_25partition_config_selectorILNS1_17partition_subalgoE9EllbEEZZNS1_14partition_implILS5_9ELb0ES3_jPlS8_PNS0_10empty_typeENS0_5tupleIJS8_S9_EEENSB_IJS8_SA_EEENS0_18inequality_wrapperIZN2at6native12_GLOBAL__N_124unique_dim_cuda_templateIiEESt5tupleIJNSF_6TensorESK_SK_EERKSK_lbbbEUlllE0_EEPmJS9_EEE10hipError_tPvRmT3_T4_T5_T6_T7_T9_mT8_P12ihipStream_tbDpT10_ENKUlT_T0_E_clISt17integral_constantIbLb0EES19_IbLb1EEEEDaS15_S16_EUlS15_E_NS1_11comp_targetILNS1_3genE4ELNS1_11target_archE910ELNS1_3gpuE8ELNS1_3repE0EEENS1_30default_config_static_selectorELNS0_4arch9wavefront6targetE0EEEvT1_,comdat
	.globl	_ZN7rocprim17ROCPRIM_400000_NS6detail17trampoline_kernelINS0_14default_configENS1_25partition_config_selectorILNS1_17partition_subalgoE9EllbEEZZNS1_14partition_implILS5_9ELb0ES3_jPlS8_PNS0_10empty_typeENS0_5tupleIJS8_S9_EEENSB_IJS8_SA_EEENS0_18inequality_wrapperIZN2at6native12_GLOBAL__N_124unique_dim_cuda_templateIiEESt5tupleIJNSF_6TensorESK_SK_EERKSK_lbbbEUlllE0_EEPmJS9_EEE10hipError_tPvRmT3_T4_T5_T6_T7_T9_mT8_P12ihipStream_tbDpT10_ENKUlT_T0_E_clISt17integral_constantIbLb0EES19_IbLb1EEEEDaS15_S16_EUlS15_E_NS1_11comp_targetILNS1_3genE4ELNS1_11target_archE910ELNS1_3gpuE8ELNS1_3repE0EEENS1_30default_config_static_selectorELNS0_4arch9wavefront6targetE0EEEvT1_ ; -- Begin function _ZN7rocprim17ROCPRIM_400000_NS6detail17trampoline_kernelINS0_14default_configENS1_25partition_config_selectorILNS1_17partition_subalgoE9EllbEEZZNS1_14partition_implILS5_9ELb0ES3_jPlS8_PNS0_10empty_typeENS0_5tupleIJS8_S9_EEENSB_IJS8_SA_EEENS0_18inequality_wrapperIZN2at6native12_GLOBAL__N_124unique_dim_cuda_templateIiEESt5tupleIJNSF_6TensorESK_SK_EERKSK_lbbbEUlllE0_EEPmJS9_EEE10hipError_tPvRmT3_T4_T5_T6_T7_T9_mT8_P12ihipStream_tbDpT10_ENKUlT_T0_E_clISt17integral_constantIbLb0EES19_IbLb1EEEEDaS15_S16_EUlS15_E_NS1_11comp_targetILNS1_3genE4ELNS1_11target_archE910ELNS1_3gpuE8ELNS1_3repE0EEENS1_30default_config_static_selectorELNS0_4arch9wavefront6targetE0EEEvT1_
	.p2align	8
	.type	_ZN7rocprim17ROCPRIM_400000_NS6detail17trampoline_kernelINS0_14default_configENS1_25partition_config_selectorILNS1_17partition_subalgoE9EllbEEZZNS1_14partition_implILS5_9ELb0ES3_jPlS8_PNS0_10empty_typeENS0_5tupleIJS8_S9_EEENSB_IJS8_SA_EEENS0_18inequality_wrapperIZN2at6native12_GLOBAL__N_124unique_dim_cuda_templateIiEESt5tupleIJNSF_6TensorESK_SK_EERKSK_lbbbEUlllE0_EEPmJS9_EEE10hipError_tPvRmT3_T4_T5_T6_T7_T9_mT8_P12ihipStream_tbDpT10_ENKUlT_T0_E_clISt17integral_constantIbLb0EES19_IbLb1EEEEDaS15_S16_EUlS15_E_NS1_11comp_targetILNS1_3genE4ELNS1_11target_archE910ELNS1_3gpuE8ELNS1_3repE0EEENS1_30default_config_static_selectorELNS0_4arch9wavefront6targetE0EEEvT1_,@function
_ZN7rocprim17ROCPRIM_400000_NS6detail17trampoline_kernelINS0_14default_configENS1_25partition_config_selectorILNS1_17partition_subalgoE9EllbEEZZNS1_14partition_implILS5_9ELb0ES3_jPlS8_PNS0_10empty_typeENS0_5tupleIJS8_S9_EEENSB_IJS8_SA_EEENS0_18inequality_wrapperIZN2at6native12_GLOBAL__N_124unique_dim_cuda_templateIiEESt5tupleIJNSF_6TensorESK_SK_EERKSK_lbbbEUlllE0_EEPmJS9_EEE10hipError_tPvRmT3_T4_T5_T6_T7_T9_mT8_P12ihipStream_tbDpT10_ENKUlT_T0_E_clISt17integral_constantIbLb0EES19_IbLb1EEEEDaS15_S16_EUlS15_E_NS1_11comp_targetILNS1_3genE4ELNS1_11target_archE910ELNS1_3gpuE8ELNS1_3repE0EEENS1_30default_config_static_selectorELNS0_4arch9wavefront6targetE0EEEvT1_: ; @_ZN7rocprim17ROCPRIM_400000_NS6detail17trampoline_kernelINS0_14default_configENS1_25partition_config_selectorILNS1_17partition_subalgoE9EllbEEZZNS1_14partition_implILS5_9ELb0ES3_jPlS8_PNS0_10empty_typeENS0_5tupleIJS8_S9_EEENSB_IJS8_SA_EEENS0_18inequality_wrapperIZN2at6native12_GLOBAL__N_124unique_dim_cuda_templateIiEESt5tupleIJNSF_6TensorESK_SK_EERKSK_lbbbEUlllE0_EEPmJS9_EEE10hipError_tPvRmT3_T4_T5_T6_T7_T9_mT8_P12ihipStream_tbDpT10_ENKUlT_T0_E_clISt17integral_constantIbLb0EES19_IbLb1EEEEDaS15_S16_EUlS15_E_NS1_11comp_targetILNS1_3genE4ELNS1_11target_archE910ELNS1_3gpuE8ELNS1_3repE0EEENS1_30default_config_static_selectorELNS0_4arch9wavefront6targetE0EEEvT1_
; %bb.0:
	.section	.rodata,"a",@progbits
	.p2align	6, 0x0
	.amdhsa_kernel _ZN7rocprim17ROCPRIM_400000_NS6detail17trampoline_kernelINS0_14default_configENS1_25partition_config_selectorILNS1_17partition_subalgoE9EllbEEZZNS1_14partition_implILS5_9ELb0ES3_jPlS8_PNS0_10empty_typeENS0_5tupleIJS8_S9_EEENSB_IJS8_SA_EEENS0_18inequality_wrapperIZN2at6native12_GLOBAL__N_124unique_dim_cuda_templateIiEESt5tupleIJNSF_6TensorESK_SK_EERKSK_lbbbEUlllE0_EEPmJS9_EEE10hipError_tPvRmT3_T4_T5_T6_T7_T9_mT8_P12ihipStream_tbDpT10_ENKUlT_T0_E_clISt17integral_constantIbLb0EES19_IbLb1EEEEDaS15_S16_EUlS15_E_NS1_11comp_targetILNS1_3genE4ELNS1_11target_archE910ELNS1_3gpuE8ELNS1_3repE0EEENS1_30default_config_static_selectorELNS0_4arch9wavefront6targetE0EEEvT1_
		.amdhsa_group_segment_fixed_size 0
		.amdhsa_private_segment_fixed_size 0
		.amdhsa_kernarg_size 136
		.amdhsa_user_sgpr_count 2
		.amdhsa_user_sgpr_dispatch_ptr 0
		.amdhsa_user_sgpr_queue_ptr 0
		.amdhsa_user_sgpr_kernarg_segment_ptr 1
		.amdhsa_user_sgpr_dispatch_id 0
		.amdhsa_user_sgpr_kernarg_preload_length 0
		.amdhsa_user_sgpr_kernarg_preload_offset 0
		.amdhsa_user_sgpr_private_segment_size 0
		.amdhsa_wavefront_size32 1
		.amdhsa_uses_dynamic_stack 0
		.amdhsa_enable_private_segment 0
		.amdhsa_system_sgpr_workgroup_id_x 1
		.amdhsa_system_sgpr_workgroup_id_y 0
		.amdhsa_system_sgpr_workgroup_id_z 0
		.amdhsa_system_sgpr_workgroup_info 0
		.amdhsa_system_vgpr_workitem_id 0
		.amdhsa_next_free_vgpr 1
		.amdhsa_next_free_sgpr 1
		.amdhsa_named_barrier_count 0
		.amdhsa_reserve_vcc 0
		.amdhsa_float_round_mode_32 0
		.amdhsa_float_round_mode_16_64 0
		.amdhsa_float_denorm_mode_32 3
		.amdhsa_float_denorm_mode_16_64 3
		.amdhsa_fp16_overflow 0
		.amdhsa_memory_ordered 1
		.amdhsa_forward_progress 1
		.amdhsa_inst_pref_size 0
		.amdhsa_round_robin_scheduling 0
		.amdhsa_exception_fp_ieee_invalid_op 0
		.amdhsa_exception_fp_denorm_src 0
		.amdhsa_exception_fp_ieee_div_zero 0
		.amdhsa_exception_fp_ieee_overflow 0
		.amdhsa_exception_fp_ieee_underflow 0
		.amdhsa_exception_fp_ieee_inexact 0
		.amdhsa_exception_int_div_zero 0
	.end_amdhsa_kernel
	.section	.text._ZN7rocprim17ROCPRIM_400000_NS6detail17trampoline_kernelINS0_14default_configENS1_25partition_config_selectorILNS1_17partition_subalgoE9EllbEEZZNS1_14partition_implILS5_9ELb0ES3_jPlS8_PNS0_10empty_typeENS0_5tupleIJS8_S9_EEENSB_IJS8_SA_EEENS0_18inequality_wrapperIZN2at6native12_GLOBAL__N_124unique_dim_cuda_templateIiEESt5tupleIJNSF_6TensorESK_SK_EERKSK_lbbbEUlllE0_EEPmJS9_EEE10hipError_tPvRmT3_T4_T5_T6_T7_T9_mT8_P12ihipStream_tbDpT10_ENKUlT_T0_E_clISt17integral_constantIbLb0EES19_IbLb1EEEEDaS15_S16_EUlS15_E_NS1_11comp_targetILNS1_3genE4ELNS1_11target_archE910ELNS1_3gpuE8ELNS1_3repE0EEENS1_30default_config_static_selectorELNS0_4arch9wavefront6targetE0EEEvT1_,"axG",@progbits,_ZN7rocprim17ROCPRIM_400000_NS6detail17trampoline_kernelINS0_14default_configENS1_25partition_config_selectorILNS1_17partition_subalgoE9EllbEEZZNS1_14partition_implILS5_9ELb0ES3_jPlS8_PNS0_10empty_typeENS0_5tupleIJS8_S9_EEENSB_IJS8_SA_EEENS0_18inequality_wrapperIZN2at6native12_GLOBAL__N_124unique_dim_cuda_templateIiEESt5tupleIJNSF_6TensorESK_SK_EERKSK_lbbbEUlllE0_EEPmJS9_EEE10hipError_tPvRmT3_T4_T5_T6_T7_T9_mT8_P12ihipStream_tbDpT10_ENKUlT_T0_E_clISt17integral_constantIbLb0EES19_IbLb1EEEEDaS15_S16_EUlS15_E_NS1_11comp_targetILNS1_3genE4ELNS1_11target_archE910ELNS1_3gpuE8ELNS1_3repE0EEENS1_30default_config_static_selectorELNS0_4arch9wavefront6targetE0EEEvT1_,comdat
.Lfunc_end499:
	.size	_ZN7rocprim17ROCPRIM_400000_NS6detail17trampoline_kernelINS0_14default_configENS1_25partition_config_selectorILNS1_17partition_subalgoE9EllbEEZZNS1_14partition_implILS5_9ELb0ES3_jPlS8_PNS0_10empty_typeENS0_5tupleIJS8_S9_EEENSB_IJS8_SA_EEENS0_18inequality_wrapperIZN2at6native12_GLOBAL__N_124unique_dim_cuda_templateIiEESt5tupleIJNSF_6TensorESK_SK_EERKSK_lbbbEUlllE0_EEPmJS9_EEE10hipError_tPvRmT3_T4_T5_T6_T7_T9_mT8_P12ihipStream_tbDpT10_ENKUlT_T0_E_clISt17integral_constantIbLb0EES19_IbLb1EEEEDaS15_S16_EUlS15_E_NS1_11comp_targetILNS1_3genE4ELNS1_11target_archE910ELNS1_3gpuE8ELNS1_3repE0EEENS1_30default_config_static_selectorELNS0_4arch9wavefront6targetE0EEEvT1_, .Lfunc_end499-_ZN7rocprim17ROCPRIM_400000_NS6detail17trampoline_kernelINS0_14default_configENS1_25partition_config_selectorILNS1_17partition_subalgoE9EllbEEZZNS1_14partition_implILS5_9ELb0ES3_jPlS8_PNS0_10empty_typeENS0_5tupleIJS8_S9_EEENSB_IJS8_SA_EEENS0_18inequality_wrapperIZN2at6native12_GLOBAL__N_124unique_dim_cuda_templateIiEESt5tupleIJNSF_6TensorESK_SK_EERKSK_lbbbEUlllE0_EEPmJS9_EEE10hipError_tPvRmT3_T4_T5_T6_T7_T9_mT8_P12ihipStream_tbDpT10_ENKUlT_T0_E_clISt17integral_constantIbLb0EES19_IbLb1EEEEDaS15_S16_EUlS15_E_NS1_11comp_targetILNS1_3genE4ELNS1_11target_archE910ELNS1_3gpuE8ELNS1_3repE0EEENS1_30default_config_static_selectorELNS0_4arch9wavefront6targetE0EEEvT1_
                                        ; -- End function
	.set _ZN7rocprim17ROCPRIM_400000_NS6detail17trampoline_kernelINS0_14default_configENS1_25partition_config_selectorILNS1_17partition_subalgoE9EllbEEZZNS1_14partition_implILS5_9ELb0ES3_jPlS8_PNS0_10empty_typeENS0_5tupleIJS8_S9_EEENSB_IJS8_SA_EEENS0_18inequality_wrapperIZN2at6native12_GLOBAL__N_124unique_dim_cuda_templateIiEESt5tupleIJNSF_6TensorESK_SK_EERKSK_lbbbEUlllE0_EEPmJS9_EEE10hipError_tPvRmT3_T4_T5_T6_T7_T9_mT8_P12ihipStream_tbDpT10_ENKUlT_T0_E_clISt17integral_constantIbLb0EES19_IbLb1EEEEDaS15_S16_EUlS15_E_NS1_11comp_targetILNS1_3genE4ELNS1_11target_archE910ELNS1_3gpuE8ELNS1_3repE0EEENS1_30default_config_static_selectorELNS0_4arch9wavefront6targetE0EEEvT1_.num_vgpr, 0
	.set _ZN7rocprim17ROCPRIM_400000_NS6detail17trampoline_kernelINS0_14default_configENS1_25partition_config_selectorILNS1_17partition_subalgoE9EllbEEZZNS1_14partition_implILS5_9ELb0ES3_jPlS8_PNS0_10empty_typeENS0_5tupleIJS8_S9_EEENSB_IJS8_SA_EEENS0_18inequality_wrapperIZN2at6native12_GLOBAL__N_124unique_dim_cuda_templateIiEESt5tupleIJNSF_6TensorESK_SK_EERKSK_lbbbEUlllE0_EEPmJS9_EEE10hipError_tPvRmT3_T4_T5_T6_T7_T9_mT8_P12ihipStream_tbDpT10_ENKUlT_T0_E_clISt17integral_constantIbLb0EES19_IbLb1EEEEDaS15_S16_EUlS15_E_NS1_11comp_targetILNS1_3genE4ELNS1_11target_archE910ELNS1_3gpuE8ELNS1_3repE0EEENS1_30default_config_static_selectorELNS0_4arch9wavefront6targetE0EEEvT1_.num_agpr, 0
	.set _ZN7rocprim17ROCPRIM_400000_NS6detail17trampoline_kernelINS0_14default_configENS1_25partition_config_selectorILNS1_17partition_subalgoE9EllbEEZZNS1_14partition_implILS5_9ELb0ES3_jPlS8_PNS0_10empty_typeENS0_5tupleIJS8_S9_EEENSB_IJS8_SA_EEENS0_18inequality_wrapperIZN2at6native12_GLOBAL__N_124unique_dim_cuda_templateIiEESt5tupleIJNSF_6TensorESK_SK_EERKSK_lbbbEUlllE0_EEPmJS9_EEE10hipError_tPvRmT3_T4_T5_T6_T7_T9_mT8_P12ihipStream_tbDpT10_ENKUlT_T0_E_clISt17integral_constantIbLb0EES19_IbLb1EEEEDaS15_S16_EUlS15_E_NS1_11comp_targetILNS1_3genE4ELNS1_11target_archE910ELNS1_3gpuE8ELNS1_3repE0EEENS1_30default_config_static_selectorELNS0_4arch9wavefront6targetE0EEEvT1_.numbered_sgpr, 0
	.set _ZN7rocprim17ROCPRIM_400000_NS6detail17trampoline_kernelINS0_14default_configENS1_25partition_config_selectorILNS1_17partition_subalgoE9EllbEEZZNS1_14partition_implILS5_9ELb0ES3_jPlS8_PNS0_10empty_typeENS0_5tupleIJS8_S9_EEENSB_IJS8_SA_EEENS0_18inequality_wrapperIZN2at6native12_GLOBAL__N_124unique_dim_cuda_templateIiEESt5tupleIJNSF_6TensorESK_SK_EERKSK_lbbbEUlllE0_EEPmJS9_EEE10hipError_tPvRmT3_T4_T5_T6_T7_T9_mT8_P12ihipStream_tbDpT10_ENKUlT_T0_E_clISt17integral_constantIbLb0EES19_IbLb1EEEEDaS15_S16_EUlS15_E_NS1_11comp_targetILNS1_3genE4ELNS1_11target_archE910ELNS1_3gpuE8ELNS1_3repE0EEENS1_30default_config_static_selectorELNS0_4arch9wavefront6targetE0EEEvT1_.num_named_barrier, 0
	.set _ZN7rocprim17ROCPRIM_400000_NS6detail17trampoline_kernelINS0_14default_configENS1_25partition_config_selectorILNS1_17partition_subalgoE9EllbEEZZNS1_14partition_implILS5_9ELb0ES3_jPlS8_PNS0_10empty_typeENS0_5tupleIJS8_S9_EEENSB_IJS8_SA_EEENS0_18inequality_wrapperIZN2at6native12_GLOBAL__N_124unique_dim_cuda_templateIiEESt5tupleIJNSF_6TensorESK_SK_EERKSK_lbbbEUlllE0_EEPmJS9_EEE10hipError_tPvRmT3_T4_T5_T6_T7_T9_mT8_P12ihipStream_tbDpT10_ENKUlT_T0_E_clISt17integral_constantIbLb0EES19_IbLb1EEEEDaS15_S16_EUlS15_E_NS1_11comp_targetILNS1_3genE4ELNS1_11target_archE910ELNS1_3gpuE8ELNS1_3repE0EEENS1_30default_config_static_selectorELNS0_4arch9wavefront6targetE0EEEvT1_.private_seg_size, 0
	.set _ZN7rocprim17ROCPRIM_400000_NS6detail17trampoline_kernelINS0_14default_configENS1_25partition_config_selectorILNS1_17partition_subalgoE9EllbEEZZNS1_14partition_implILS5_9ELb0ES3_jPlS8_PNS0_10empty_typeENS0_5tupleIJS8_S9_EEENSB_IJS8_SA_EEENS0_18inequality_wrapperIZN2at6native12_GLOBAL__N_124unique_dim_cuda_templateIiEESt5tupleIJNSF_6TensorESK_SK_EERKSK_lbbbEUlllE0_EEPmJS9_EEE10hipError_tPvRmT3_T4_T5_T6_T7_T9_mT8_P12ihipStream_tbDpT10_ENKUlT_T0_E_clISt17integral_constantIbLb0EES19_IbLb1EEEEDaS15_S16_EUlS15_E_NS1_11comp_targetILNS1_3genE4ELNS1_11target_archE910ELNS1_3gpuE8ELNS1_3repE0EEENS1_30default_config_static_selectorELNS0_4arch9wavefront6targetE0EEEvT1_.uses_vcc, 0
	.set _ZN7rocprim17ROCPRIM_400000_NS6detail17trampoline_kernelINS0_14default_configENS1_25partition_config_selectorILNS1_17partition_subalgoE9EllbEEZZNS1_14partition_implILS5_9ELb0ES3_jPlS8_PNS0_10empty_typeENS0_5tupleIJS8_S9_EEENSB_IJS8_SA_EEENS0_18inequality_wrapperIZN2at6native12_GLOBAL__N_124unique_dim_cuda_templateIiEESt5tupleIJNSF_6TensorESK_SK_EERKSK_lbbbEUlllE0_EEPmJS9_EEE10hipError_tPvRmT3_T4_T5_T6_T7_T9_mT8_P12ihipStream_tbDpT10_ENKUlT_T0_E_clISt17integral_constantIbLb0EES19_IbLb1EEEEDaS15_S16_EUlS15_E_NS1_11comp_targetILNS1_3genE4ELNS1_11target_archE910ELNS1_3gpuE8ELNS1_3repE0EEENS1_30default_config_static_selectorELNS0_4arch9wavefront6targetE0EEEvT1_.uses_flat_scratch, 0
	.set _ZN7rocprim17ROCPRIM_400000_NS6detail17trampoline_kernelINS0_14default_configENS1_25partition_config_selectorILNS1_17partition_subalgoE9EllbEEZZNS1_14partition_implILS5_9ELb0ES3_jPlS8_PNS0_10empty_typeENS0_5tupleIJS8_S9_EEENSB_IJS8_SA_EEENS0_18inequality_wrapperIZN2at6native12_GLOBAL__N_124unique_dim_cuda_templateIiEESt5tupleIJNSF_6TensorESK_SK_EERKSK_lbbbEUlllE0_EEPmJS9_EEE10hipError_tPvRmT3_T4_T5_T6_T7_T9_mT8_P12ihipStream_tbDpT10_ENKUlT_T0_E_clISt17integral_constantIbLb0EES19_IbLb1EEEEDaS15_S16_EUlS15_E_NS1_11comp_targetILNS1_3genE4ELNS1_11target_archE910ELNS1_3gpuE8ELNS1_3repE0EEENS1_30default_config_static_selectorELNS0_4arch9wavefront6targetE0EEEvT1_.has_dyn_sized_stack, 0
	.set _ZN7rocprim17ROCPRIM_400000_NS6detail17trampoline_kernelINS0_14default_configENS1_25partition_config_selectorILNS1_17partition_subalgoE9EllbEEZZNS1_14partition_implILS5_9ELb0ES3_jPlS8_PNS0_10empty_typeENS0_5tupleIJS8_S9_EEENSB_IJS8_SA_EEENS0_18inequality_wrapperIZN2at6native12_GLOBAL__N_124unique_dim_cuda_templateIiEESt5tupleIJNSF_6TensorESK_SK_EERKSK_lbbbEUlllE0_EEPmJS9_EEE10hipError_tPvRmT3_T4_T5_T6_T7_T9_mT8_P12ihipStream_tbDpT10_ENKUlT_T0_E_clISt17integral_constantIbLb0EES19_IbLb1EEEEDaS15_S16_EUlS15_E_NS1_11comp_targetILNS1_3genE4ELNS1_11target_archE910ELNS1_3gpuE8ELNS1_3repE0EEENS1_30default_config_static_selectorELNS0_4arch9wavefront6targetE0EEEvT1_.has_recursion, 0
	.set _ZN7rocprim17ROCPRIM_400000_NS6detail17trampoline_kernelINS0_14default_configENS1_25partition_config_selectorILNS1_17partition_subalgoE9EllbEEZZNS1_14partition_implILS5_9ELb0ES3_jPlS8_PNS0_10empty_typeENS0_5tupleIJS8_S9_EEENSB_IJS8_SA_EEENS0_18inequality_wrapperIZN2at6native12_GLOBAL__N_124unique_dim_cuda_templateIiEESt5tupleIJNSF_6TensorESK_SK_EERKSK_lbbbEUlllE0_EEPmJS9_EEE10hipError_tPvRmT3_T4_T5_T6_T7_T9_mT8_P12ihipStream_tbDpT10_ENKUlT_T0_E_clISt17integral_constantIbLb0EES19_IbLb1EEEEDaS15_S16_EUlS15_E_NS1_11comp_targetILNS1_3genE4ELNS1_11target_archE910ELNS1_3gpuE8ELNS1_3repE0EEENS1_30default_config_static_selectorELNS0_4arch9wavefront6targetE0EEEvT1_.has_indirect_call, 0
	.section	.AMDGPU.csdata,"",@progbits
; Kernel info:
; codeLenInByte = 0
; TotalNumSgprs: 0
; NumVgprs: 0
; ScratchSize: 0
; MemoryBound: 0
; FloatMode: 240
; IeeeMode: 1
; LDSByteSize: 0 bytes/workgroup (compile time only)
; SGPRBlocks: 0
; VGPRBlocks: 0
; NumSGPRsForWavesPerEU: 1
; NumVGPRsForWavesPerEU: 1
; NamedBarCnt: 0
; Occupancy: 16
; WaveLimiterHint : 0
; COMPUTE_PGM_RSRC2:SCRATCH_EN: 0
; COMPUTE_PGM_RSRC2:USER_SGPR: 2
; COMPUTE_PGM_RSRC2:TRAP_HANDLER: 0
; COMPUTE_PGM_RSRC2:TGID_X_EN: 1
; COMPUTE_PGM_RSRC2:TGID_Y_EN: 0
; COMPUTE_PGM_RSRC2:TGID_Z_EN: 0
; COMPUTE_PGM_RSRC2:TIDIG_COMP_CNT: 0
	.section	.text._ZN7rocprim17ROCPRIM_400000_NS6detail17trampoline_kernelINS0_14default_configENS1_25partition_config_selectorILNS1_17partition_subalgoE9EllbEEZZNS1_14partition_implILS5_9ELb0ES3_jPlS8_PNS0_10empty_typeENS0_5tupleIJS8_S9_EEENSB_IJS8_SA_EEENS0_18inequality_wrapperIZN2at6native12_GLOBAL__N_124unique_dim_cuda_templateIiEESt5tupleIJNSF_6TensorESK_SK_EERKSK_lbbbEUlllE0_EEPmJS9_EEE10hipError_tPvRmT3_T4_T5_T6_T7_T9_mT8_P12ihipStream_tbDpT10_ENKUlT_T0_E_clISt17integral_constantIbLb0EES19_IbLb1EEEEDaS15_S16_EUlS15_E_NS1_11comp_targetILNS1_3genE3ELNS1_11target_archE908ELNS1_3gpuE7ELNS1_3repE0EEENS1_30default_config_static_selectorELNS0_4arch9wavefront6targetE0EEEvT1_,"axG",@progbits,_ZN7rocprim17ROCPRIM_400000_NS6detail17trampoline_kernelINS0_14default_configENS1_25partition_config_selectorILNS1_17partition_subalgoE9EllbEEZZNS1_14partition_implILS5_9ELb0ES3_jPlS8_PNS0_10empty_typeENS0_5tupleIJS8_S9_EEENSB_IJS8_SA_EEENS0_18inequality_wrapperIZN2at6native12_GLOBAL__N_124unique_dim_cuda_templateIiEESt5tupleIJNSF_6TensorESK_SK_EERKSK_lbbbEUlllE0_EEPmJS9_EEE10hipError_tPvRmT3_T4_T5_T6_T7_T9_mT8_P12ihipStream_tbDpT10_ENKUlT_T0_E_clISt17integral_constantIbLb0EES19_IbLb1EEEEDaS15_S16_EUlS15_E_NS1_11comp_targetILNS1_3genE3ELNS1_11target_archE908ELNS1_3gpuE7ELNS1_3repE0EEENS1_30default_config_static_selectorELNS0_4arch9wavefront6targetE0EEEvT1_,comdat
	.globl	_ZN7rocprim17ROCPRIM_400000_NS6detail17trampoline_kernelINS0_14default_configENS1_25partition_config_selectorILNS1_17partition_subalgoE9EllbEEZZNS1_14partition_implILS5_9ELb0ES3_jPlS8_PNS0_10empty_typeENS0_5tupleIJS8_S9_EEENSB_IJS8_SA_EEENS0_18inequality_wrapperIZN2at6native12_GLOBAL__N_124unique_dim_cuda_templateIiEESt5tupleIJNSF_6TensorESK_SK_EERKSK_lbbbEUlllE0_EEPmJS9_EEE10hipError_tPvRmT3_T4_T5_T6_T7_T9_mT8_P12ihipStream_tbDpT10_ENKUlT_T0_E_clISt17integral_constantIbLb0EES19_IbLb1EEEEDaS15_S16_EUlS15_E_NS1_11comp_targetILNS1_3genE3ELNS1_11target_archE908ELNS1_3gpuE7ELNS1_3repE0EEENS1_30default_config_static_selectorELNS0_4arch9wavefront6targetE0EEEvT1_ ; -- Begin function _ZN7rocprim17ROCPRIM_400000_NS6detail17trampoline_kernelINS0_14default_configENS1_25partition_config_selectorILNS1_17partition_subalgoE9EllbEEZZNS1_14partition_implILS5_9ELb0ES3_jPlS8_PNS0_10empty_typeENS0_5tupleIJS8_S9_EEENSB_IJS8_SA_EEENS0_18inequality_wrapperIZN2at6native12_GLOBAL__N_124unique_dim_cuda_templateIiEESt5tupleIJNSF_6TensorESK_SK_EERKSK_lbbbEUlllE0_EEPmJS9_EEE10hipError_tPvRmT3_T4_T5_T6_T7_T9_mT8_P12ihipStream_tbDpT10_ENKUlT_T0_E_clISt17integral_constantIbLb0EES19_IbLb1EEEEDaS15_S16_EUlS15_E_NS1_11comp_targetILNS1_3genE3ELNS1_11target_archE908ELNS1_3gpuE7ELNS1_3repE0EEENS1_30default_config_static_selectorELNS0_4arch9wavefront6targetE0EEEvT1_
	.p2align	8
	.type	_ZN7rocprim17ROCPRIM_400000_NS6detail17trampoline_kernelINS0_14default_configENS1_25partition_config_selectorILNS1_17partition_subalgoE9EllbEEZZNS1_14partition_implILS5_9ELb0ES3_jPlS8_PNS0_10empty_typeENS0_5tupleIJS8_S9_EEENSB_IJS8_SA_EEENS0_18inequality_wrapperIZN2at6native12_GLOBAL__N_124unique_dim_cuda_templateIiEESt5tupleIJNSF_6TensorESK_SK_EERKSK_lbbbEUlllE0_EEPmJS9_EEE10hipError_tPvRmT3_T4_T5_T6_T7_T9_mT8_P12ihipStream_tbDpT10_ENKUlT_T0_E_clISt17integral_constantIbLb0EES19_IbLb1EEEEDaS15_S16_EUlS15_E_NS1_11comp_targetILNS1_3genE3ELNS1_11target_archE908ELNS1_3gpuE7ELNS1_3repE0EEENS1_30default_config_static_selectorELNS0_4arch9wavefront6targetE0EEEvT1_,@function
_ZN7rocprim17ROCPRIM_400000_NS6detail17trampoline_kernelINS0_14default_configENS1_25partition_config_selectorILNS1_17partition_subalgoE9EllbEEZZNS1_14partition_implILS5_9ELb0ES3_jPlS8_PNS0_10empty_typeENS0_5tupleIJS8_S9_EEENSB_IJS8_SA_EEENS0_18inequality_wrapperIZN2at6native12_GLOBAL__N_124unique_dim_cuda_templateIiEESt5tupleIJNSF_6TensorESK_SK_EERKSK_lbbbEUlllE0_EEPmJS9_EEE10hipError_tPvRmT3_T4_T5_T6_T7_T9_mT8_P12ihipStream_tbDpT10_ENKUlT_T0_E_clISt17integral_constantIbLb0EES19_IbLb1EEEEDaS15_S16_EUlS15_E_NS1_11comp_targetILNS1_3genE3ELNS1_11target_archE908ELNS1_3gpuE7ELNS1_3repE0EEENS1_30default_config_static_selectorELNS0_4arch9wavefront6targetE0EEEvT1_: ; @_ZN7rocprim17ROCPRIM_400000_NS6detail17trampoline_kernelINS0_14default_configENS1_25partition_config_selectorILNS1_17partition_subalgoE9EllbEEZZNS1_14partition_implILS5_9ELb0ES3_jPlS8_PNS0_10empty_typeENS0_5tupleIJS8_S9_EEENSB_IJS8_SA_EEENS0_18inequality_wrapperIZN2at6native12_GLOBAL__N_124unique_dim_cuda_templateIiEESt5tupleIJNSF_6TensorESK_SK_EERKSK_lbbbEUlllE0_EEPmJS9_EEE10hipError_tPvRmT3_T4_T5_T6_T7_T9_mT8_P12ihipStream_tbDpT10_ENKUlT_T0_E_clISt17integral_constantIbLb0EES19_IbLb1EEEEDaS15_S16_EUlS15_E_NS1_11comp_targetILNS1_3genE3ELNS1_11target_archE908ELNS1_3gpuE7ELNS1_3repE0EEENS1_30default_config_static_selectorELNS0_4arch9wavefront6targetE0EEEvT1_
; %bb.0:
	.section	.rodata,"a",@progbits
	.p2align	6, 0x0
	.amdhsa_kernel _ZN7rocprim17ROCPRIM_400000_NS6detail17trampoline_kernelINS0_14default_configENS1_25partition_config_selectorILNS1_17partition_subalgoE9EllbEEZZNS1_14partition_implILS5_9ELb0ES3_jPlS8_PNS0_10empty_typeENS0_5tupleIJS8_S9_EEENSB_IJS8_SA_EEENS0_18inequality_wrapperIZN2at6native12_GLOBAL__N_124unique_dim_cuda_templateIiEESt5tupleIJNSF_6TensorESK_SK_EERKSK_lbbbEUlllE0_EEPmJS9_EEE10hipError_tPvRmT3_T4_T5_T6_T7_T9_mT8_P12ihipStream_tbDpT10_ENKUlT_T0_E_clISt17integral_constantIbLb0EES19_IbLb1EEEEDaS15_S16_EUlS15_E_NS1_11comp_targetILNS1_3genE3ELNS1_11target_archE908ELNS1_3gpuE7ELNS1_3repE0EEENS1_30default_config_static_selectorELNS0_4arch9wavefront6targetE0EEEvT1_
		.amdhsa_group_segment_fixed_size 0
		.amdhsa_private_segment_fixed_size 0
		.amdhsa_kernarg_size 136
		.amdhsa_user_sgpr_count 2
		.amdhsa_user_sgpr_dispatch_ptr 0
		.amdhsa_user_sgpr_queue_ptr 0
		.amdhsa_user_sgpr_kernarg_segment_ptr 1
		.amdhsa_user_sgpr_dispatch_id 0
		.amdhsa_user_sgpr_kernarg_preload_length 0
		.amdhsa_user_sgpr_kernarg_preload_offset 0
		.amdhsa_user_sgpr_private_segment_size 0
		.amdhsa_wavefront_size32 1
		.amdhsa_uses_dynamic_stack 0
		.amdhsa_enable_private_segment 0
		.amdhsa_system_sgpr_workgroup_id_x 1
		.amdhsa_system_sgpr_workgroup_id_y 0
		.amdhsa_system_sgpr_workgroup_id_z 0
		.amdhsa_system_sgpr_workgroup_info 0
		.amdhsa_system_vgpr_workitem_id 0
		.amdhsa_next_free_vgpr 1
		.amdhsa_next_free_sgpr 1
		.amdhsa_named_barrier_count 0
		.amdhsa_reserve_vcc 0
		.amdhsa_float_round_mode_32 0
		.amdhsa_float_round_mode_16_64 0
		.amdhsa_float_denorm_mode_32 3
		.amdhsa_float_denorm_mode_16_64 3
		.amdhsa_fp16_overflow 0
		.amdhsa_memory_ordered 1
		.amdhsa_forward_progress 1
		.amdhsa_inst_pref_size 0
		.amdhsa_round_robin_scheduling 0
		.amdhsa_exception_fp_ieee_invalid_op 0
		.amdhsa_exception_fp_denorm_src 0
		.amdhsa_exception_fp_ieee_div_zero 0
		.amdhsa_exception_fp_ieee_overflow 0
		.amdhsa_exception_fp_ieee_underflow 0
		.amdhsa_exception_fp_ieee_inexact 0
		.amdhsa_exception_int_div_zero 0
	.end_amdhsa_kernel
	.section	.text._ZN7rocprim17ROCPRIM_400000_NS6detail17trampoline_kernelINS0_14default_configENS1_25partition_config_selectorILNS1_17partition_subalgoE9EllbEEZZNS1_14partition_implILS5_9ELb0ES3_jPlS8_PNS0_10empty_typeENS0_5tupleIJS8_S9_EEENSB_IJS8_SA_EEENS0_18inequality_wrapperIZN2at6native12_GLOBAL__N_124unique_dim_cuda_templateIiEESt5tupleIJNSF_6TensorESK_SK_EERKSK_lbbbEUlllE0_EEPmJS9_EEE10hipError_tPvRmT3_T4_T5_T6_T7_T9_mT8_P12ihipStream_tbDpT10_ENKUlT_T0_E_clISt17integral_constantIbLb0EES19_IbLb1EEEEDaS15_S16_EUlS15_E_NS1_11comp_targetILNS1_3genE3ELNS1_11target_archE908ELNS1_3gpuE7ELNS1_3repE0EEENS1_30default_config_static_selectorELNS0_4arch9wavefront6targetE0EEEvT1_,"axG",@progbits,_ZN7rocprim17ROCPRIM_400000_NS6detail17trampoline_kernelINS0_14default_configENS1_25partition_config_selectorILNS1_17partition_subalgoE9EllbEEZZNS1_14partition_implILS5_9ELb0ES3_jPlS8_PNS0_10empty_typeENS0_5tupleIJS8_S9_EEENSB_IJS8_SA_EEENS0_18inequality_wrapperIZN2at6native12_GLOBAL__N_124unique_dim_cuda_templateIiEESt5tupleIJNSF_6TensorESK_SK_EERKSK_lbbbEUlllE0_EEPmJS9_EEE10hipError_tPvRmT3_T4_T5_T6_T7_T9_mT8_P12ihipStream_tbDpT10_ENKUlT_T0_E_clISt17integral_constantIbLb0EES19_IbLb1EEEEDaS15_S16_EUlS15_E_NS1_11comp_targetILNS1_3genE3ELNS1_11target_archE908ELNS1_3gpuE7ELNS1_3repE0EEENS1_30default_config_static_selectorELNS0_4arch9wavefront6targetE0EEEvT1_,comdat
.Lfunc_end500:
	.size	_ZN7rocprim17ROCPRIM_400000_NS6detail17trampoline_kernelINS0_14default_configENS1_25partition_config_selectorILNS1_17partition_subalgoE9EllbEEZZNS1_14partition_implILS5_9ELb0ES3_jPlS8_PNS0_10empty_typeENS0_5tupleIJS8_S9_EEENSB_IJS8_SA_EEENS0_18inequality_wrapperIZN2at6native12_GLOBAL__N_124unique_dim_cuda_templateIiEESt5tupleIJNSF_6TensorESK_SK_EERKSK_lbbbEUlllE0_EEPmJS9_EEE10hipError_tPvRmT3_T4_T5_T6_T7_T9_mT8_P12ihipStream_tbDpT10_ENKUlT_T0_E_clISt17integral_constantIbLb0EES19_IbLb1EEEEDaS15_S16_EUlS15_E_NS1_11comp_targetILNS1_3genE3ELNS1_11target_archE908ELNS1_3gpuE7ELNS1_3repE0EEENS1_30default_config_static_selectorELNS0_4arch9wavefront6targetE0EEEvT1_, .Lfunc_end500-_ZN7rocprim17ROCPRIM_400000_NS6detail17trampoline_kernelINS0_14default_configENS1_25partition_config_selectorILNS1_17partition_subalgoE9EllbEEZZNS1_14partition_implILS5_9ELb0ES3_jPlS8_PNS0_10empty_typeENS0_5tupleIJS8_S9_EEENSB_IJS8_SA_EEENS0_18inequality_wrapperIZN2at6native12_GLOBAL__N_124unique_dim_cuda_templateIiEESt5tupleIJNSF_6TensorESK_SK_EERKSK_lbbbEUlllE0_EEPmJS9_EEE10hipError_tPvRmT3_T4_T5_T6_T7_T9_mT8_P12ihipStream_tbDpT10_ENKUlT_T0_E_clISt17integral_constantIbLb0EES19_IbLb1EEEEDaS15_S16_EUlS15_E_NS1_11comp_targetILNS1_3genE3ELNS1_11target_archE908ELNS1_3gpuE7ELNS1_3repE0EEENS1_30default_config_static_selectorELNS0_4arch9wavefront6targetE0EEEvT1_
                                        ; -- End function
	.set _ZN7rocprim17ROCPRIM_400000_NS6detail17trampoline_kernelINS0_14default_configENS1_25partition_config_selectorILNS1_17partition_subalgoE9EllbEEZZNS1_14partition_implILS5_9ELb0ES3_jPlS8_PNS0_10empty_typeENS0_5tupleIJS8_S9_EEENSB_IJS8_SA_EEENS0_18inequality_wrapperIZN2at6native12_GLOBAL__N_124unique_dim_cuda_templateIiEESt5tupleIJNSF_6TensorESK_SK_EERKSK_lbbbEUlllE0_EEPmJS9_EEE10hipError_tPvRmT3_T4_T5_T6_T7_T9_mT8_P12ihipStream_tbDpT10_ENKUlT_T0_E_clISt17integral_constantIbLb0EES19_IbLb1EEEEDaS15_S16_EUlS15_E_NS1_11comp_targetILNS1_3genE3ELNS1_11target_archE908ELNS1_3gpuE7ELNS1_3repE0EEENS1_30default_config_static_selectorELNS0_4arch9wavefront6targetE0EEEvT1_.num_vgpr, 0
	.set _ZN7rocprim17ROCPRIM_400000_NS6detail17trampoline_kernelINS0_14default_configENS1_25partition_config_selectorILNS1_17partition_subalgoE9EllbEEZZNS1_14partition_implILS5_9ELb0ES3_jPlS8_PNS0_10empty_typeENS0_5tupleIJS8_S9_EEENSB_IJS8_SA_EEENS0_18inequality_wrapperIZN2at6native12_GLOBAL__N_124unique_dim_cuda_templateIiEESt5tupleIJNSF_6TensorESK_SK_EERKSK_lbbbEUlllE0_EEPmJS9_EEE10hipError_tPvRmT3_T4_T5_T6_T7_T9_mT8_P12ihipStream_tbDpT10_ENKUlT_T0_E_clISt17integral_constantIbLb0EES19_IbLb1EEEEDaS15_S16_EUlS15_E_NS1_11comp_targetILNS1_3genE3ELNS1_11target_archE908ELNS1_3gpuE7ELNS1_3repE0EEENS1_30default_config_static_selectorELNS0_4arch9wavefront6targetE0EEEvT1_.num_agpr, 0
	.set _ZN7rocprim17ROCPRIM_400000_NS6detail17trampoline_kernelINS0_14default_configENS1_25partition_config_selectorILNS1_17partition_subalgoE9EllbEEZZNS1_14partition_implILS5_9ELb0ES3_jPlS8_PNS0_10empty_typeENS0_5tupleIJS8_S9_EEENSB_IJS8_SA_EEENS0_18inequality_wrapperIZN2at6native12_GLOBAL__N_124unique_dim_cuda_templateIiEESt5tupleIJNSF_6TensorESK_SK_EERKSK_lbbbEUlllE0_EEPmJS9_EEE10hipError_tPvRmT3_T4_T5_T6_T7_T9_mT8_P12ihipStream_tbDpT10_ENKUlT_T0_E_clISt17integral_constantIbLb0EES19_IbLb1EEEEDaS15_S16_EUlS15_E_NS1_11comp_targetILNS1_3genE3ELNS1_11target_archE908ELNS1_3gpuE7ELNS1_3repE0EEENS1_30default_config_static_selectorELNS0_4arch9wavefront6targetE0EEEvT1_.numbered_sgpr, 0
	.set _ZN7rocprim17ROCPRIM_400000_NS6detail17trampoline_kernelINS0_14default_configENS1_25partition_config_selectorILNS1_17partition_subalgoE9EllbEEZZNS1_14partition_implILS5_9ELb0ES3_jPlS8_PNS0_10empty_typeENS0_5tupleIJS8_S9_EEENSB_IJS8_SA_EEENS0_18inequality_wrapperIZN2at6native12_GLOBAL__N_124unique_dim_cuda_templateIiEESt5tupleIJNSF_6TensorESK_SK_EERKSK_lbbbEUlllE0_EEPmJS9_EEE10hipError_tPvRmT3_T4_T5_T6_T7_T9_mT8_P12ihipStream_tbDpT10_ENKUlT_T0_E_clISt17integral_constantIbLb0EES19_IbLb1EEEEDaS15_S16_EUlS15_E_NS1_11comp_targetILNS1_3genE3ELNS1_11target_archE908ELNS1_3gpuE7ELNS1_3repE0EEENS1_30default_config_static_selectorELNS0_4arch9wavefront6targetE0EEEvT1_.num_named_barrier, 0
	.set _ZN7rocprim17ROCPRIM_400000_NS6detail17trampoline_kernelINS0_14default_configENS1_25partition_config_selectorILNS1_17partition_subalgoE9EllbEEZZNS1_14partition_implILS5_9ELb0ES3_jPlS8_PNS0_10empty_typeENS0_5tupleIJS8_S9_EEENSB_IJS8_SA_EEENS0_18inequality_wrapperIZN2at6native12_GLOBAL__N_124unique_dim_cuda_templateIiEESt5tupleIJNSF_6TensorESK_SK_EERKSK_lbbbEUlllE0_EEPmJS9_EEE10hipError_tPvRmT3_T4_T5_T6_T7_T9_mT8_P12ihipStream_tbDpT10_ENKUlT_T0_E_clISt17integral_constantIbLb0EES19_IbLb1EEEEDaS15_S16_EUlS15_E_NS1_11comp_targetILNS1_3genE3ELNS1_11target_archE908ELNS1_3gpuE7ELNS1_3repE0EEENS1_30default_config_static_selectorELNS0_4arch9wavefront6targetE0EEEvT1_.private_seg_size, 0
	.set _ZN7rocprim17ROCPRIM_400000_NS6detail17trampoline_kernelINS0_14default_configENS1_25partition_config_selectorILNS1_17partition_subalgoE9EllbEEZZNS1_14partition_implILS5_9ELb0ES3_jPlS8_PNS0_10empty_typeENS0_5tupleIJS8_S9_EEENSB_IJS8_SA_EEENS0_18inequality_wrapperIZN2at6native12_GLOBAL__N_124unique_dim_cuda_templateIiEESt5tupleIJNSF_6TensorESK_SK_EERKSK_lbbbEUlllE0_EEPmJS9_EEE10hipError_tPvRmT3_T4_T5_T6_T7_T9_mT8_P12ihipStream_tbDpT10_ENKUlT_T0_E_clISt17integral_constantIbLb0EES19_IbLb1EEEEDaS15_S16_EUlS15_E_NS1_11comp_targetILNS1_3genE3ELNS1_11target_archE908ELNS1_3gpuE7ELNS1_3repE0EEENS1_30default_config_static_selectorELNS0_4arch9wavefront6targetE0EEEvT1_.uses_vcc, 0
	.set _ZN7rocprim17ROCPRIM_400000_NS6detail17trampoline_kernelINS0_14default_configENS1_25partition_config_selectorILNS1_17partition_subalgoE9EllbEEZZNS1_14partition_implILS5_9ELb0ES3_jPlS8_PNS0_10empty_typeENS0_5tupleIJS8_S9_EEENSB_IJS8_SA_EEENS0_18inequality_wrapperIZN2at6native12_GLOBAL__N_124unique_dim_cuda_templateIiEESt5tupleIJNSF_6TensorESK_SK_EERKSK_lbbbEUlllE0_EEPmJS9_EEE10hipError_tPvRmT3_T4_T5_T6_T7_T9_mT8_P12ihipStream_tbDpT10_ENKUlT_T0_E_clISt17integral_constantIbLb0EES19_IbLb1EEEEDaS15_S16_EUlS15_E_NS1_11comp_targetILNS1_3genE3ELNS1_11target_archE908ELNS1_3gpuE7ELNS1_3repE0EEENS1_30default_config_static_selectorELNS0_4arch9wavefront6targetE0EEEvT1_.uses_flat_scratch, 0
	.set _ZN7rocprim17ROCPRIM_400000_NS6detail17trampoline_kernelINS0_14default_configENS1_25partition_config_selectorILNS1_17partition_subalgoE9EllbEEZZNS1_14partition_implILS5_9ELb0ES3_jPlS8_PNS0_10empty_typeENS0_5tupleIJS8_S9_EEENSB_IJS8_SA_EEENS0_18inequality_wrapperIZN2at6native12_GLOBAL__N_124unique_dim_cuda_templateIiEESt5tupleIJNSF_6TensorESK_SK_EERKSK_lbbbEUlllE0_EEPmJS9_EEE10hipError_tPvRmT3_T4_T5_T6_T7_T9_mT8_P12ihipStream_tbDpT10_ENKUlT_T0_E_clISt17integral_constantIbLb0EES19_IbLb1EEEEDaS15_S16_EUlS15_E_NS1_11comp_targetILNS1_3genE3ELNS1_11target_archE908ELNS1_3gpuE7ELNS1_3repE0EEENS1_30default_config_static_selectorELNS0_4arch9wavefront6targetE0EEEvT1_.has_dyn_sized_stack, 0
	.set _ZN7rocprim17ROCPRIM_400000_NS6detail17trampoline_kernelINS0_14default_configENS1_25partition_config_selectorILNS1_17partition_subalgoE9EllbEEZZNS1_14partition_implILS5_9ELb0ES3_jPlS8_PNS0_10empty_typeENS0_5tupleIJS8_S9_EEENSB_IJS8_SA_EEENS0_18inequality_wrapperIZN2at6native12_GLOBAL__N_124unique_dim_cuda_templateIiEESt5tupleIJNSF_6TensorESK_SK_EERKSK_lbbbEUlllE0_EEPmJS9_EEE10hipError_tPvRmT3_T4_T5_T6_T7_T9_mT8_P12ihipStream_tbDpT10_ENKUlT_T0_E_clISt17integral_constantIbLb0EES19_IbLb1EEEEDaS15_S16_EUlS15_E_NS1_11comp_targetILNS1_3genE3ELNS1_11target_archE908ELNS1_3gpuE7ELNS1_3repE0EEENS1_30default_config_static_selectorELNS0_4arch9wavefront6targetE0EEEvT1_.has_recursion, 0
	.set _ZN7rocprim17ROCPRIM_400000_NS6detail17trampoline_kernelINS0_14default_configENS1_25partition_config_selectorILNS1_17partition_subalgoE9EllbEEZZNS1_14partition_implILS5_9ELb0ES3_jPlS8_PNS0_10empty_typeENS0_5tupleIJS8_S9_EEENSB_IJS8_SA_EEENS0_18inequality_wrapperIZN2at6native12_GLOBAL__N_124unique_dim_cuda_templateIiEESt5tupleIJNSF_6TensorESK_SK_EERKSK_lbbbEUlllE0_EEPmJS9_EEE10hipError_tPvRmT3_T4_T5_T6_T7_T9_mT8_P12ihipStream_tbDpT10_ENKUlT_T0_E_clISt17integral_constantIbLb0EES19_IbLb1EEEEDaS15_S16_EUlS15_E_NS1_11comp_targetILNS1_3genE3ELNS1_11target_archE908ELNS1_3gpuE7ELNS1_3repE0EEENS1_30default_config_static_selectorELNS0_4arch9wavefront6targetE0EEEvT1_.has_indirect_call, 0
	.section	.AMDGPU.csdata,"",@progbits
; Kernel info:
; codeLenInByte = 0
; TotalNumSgprs: 0
; NumVgprs: 0
; ScratchSize: 0
; MemoryBound: 0
; FloatMode: 240
; IeeeMode: 1
; LDSByteSize: 0 bytes/workgroup (compile time only)
; SGPRBlocks: 0
; VGPRBlocks: 0
; NumSGPRsForWavesPerEU: 1
; NumVGPRsForWavesPerEU: 1
; NamedBarCnt: 0
; Occupancy: 16
; WaveLimiterHint : 0
; COMPUTE_PGM_RSRC2:SCRATCH_EN: 0
; COMPUTE_PGM_RSRC2:USER_SGPR: 2
; COMPUTE_PGM_RSRC2:TRAP_HANDLER: 0
; COMPUTE_PGM_RSRC2:TGID_X_EN: 1
; COMPUTE_PGM_RSRC2:TGID_Y_EN: 0
; COMPUTE_PGM_RSRC2:TGID_Z_EN: 0
; COMPUTE_PGM_RSRC2:TIDIG_COMP_CNT: 0
	.section	.text._ZN7rocprim17ROCPRIM_400000_NS6detail17trampoline_kernelINS0_14default_configENS1_25partition_config_selectorILNS1_17partition_subalgoE9EllbEEZZNS1_14partition_implILS5_9ELb0ES3_jPlS8_PNS0_10empty_typeENS0_5tupleIJS8_S9_EEENSB_IJS8_SA_EEENS0_18inequality_wrapperIZN2at6native12_GLOBAL__N_124unique_dim_cuda_templateIiEESt5tupleIJNSF_6TensorESK_SK_EERKSK_lbbbEUlllE0_EEPmJS9_EEE10hipError_tPvRmT3_T4_T5_T6_T7_T9_mT8_P12ihipStream_tbDpT10_ENKUlT_T0_E_clISt17integral_constantIbLb0EES19_IbLb1EEEEDaS15_S16_EUlS15_E_NS1_11comp_targetILNS1_3genE2ELNS1_11target_archE906ELNS1_3gpuE6ELNS1_3repE0EEENS1_30default_config_static_selectorELNS0_4arch9wavefront6targetE0EEEvT1_,"axG",@progbits,_ZN7rocprim17ROCPRIM_400000_NS6detail17trampoline_kernelINS0_14default_configENS1_25partition_config_selectorILNS1_17partition_subalgoE9EllbEEZZNS1_14partition_implILS5_9ELb0ES3_jPlS8_PNS0_10empty_typeENS0_5tupleIJS8_S9_EEENSB_IJS8_SA_EEENS0_18inequality_wrapperIZN2at6native12_GLOBAL__N_124unique_dim_cuda_templateIiEESt5tupleIJNSF_6TensorESK_SK_EERKSK_lbbbEUlllE0_EEPmJS9_EEE10hipError_tPvRmT3_T4_T5_T6_T7_T9_mT8_P12ihipStream_tbDpT10_ENKUlT_T0_E_clISt17integral_constantIbLb0EES19_IbLb1EEEEDaS15_S16_EUlS15_E_NS1_11comp_targetILNS1_3genE2ELNS1_11target_archE906ELNS1_3gpuE6ELNS1_3repE0EEENS1_30default_config_static_selectorELNS0_4arch9wavefront6targetE0EEEvT1_,comdat
	.globl	_ZN7rocprim17ROCPRIM_400000_NS6detail17trampoline_kernelINS0_14default_configENS1_25partition_config_selectorILNS1_17partition_subalgoE9EllbEEZZNS1_14partition_implILS5_9ELb0ES3_jPlS8_PNS0_10empty_typeENS0_5tupleIJS8_S9_EEENSB_IJS8_SA_EEENS0_18inequality_wrapperIZN2at6native12_GLOBAL__N_124unique_dim_cuda_templateIiEESt5tupleIJNSF_6TensorESK_SK_EERKSK_lbbbEUlllE0_EEPmJS9_EEE10hipError_tPvRmT3_T4_T5_T6_T7_T9_mT8_P12ihipStream_tbDpT10_ENKUlT_T0_E_clISt17integral_constantIbLb0EES19_IbLb1EEEEDaS15_S16_EUlS15_E_NS1_11comp_targetILNS1_3genE2ELNS1_11target_archE906ELNS1_3gpuE6ELNS1_3repE0EEENS1_30default_config_static_selectorELNS0_4arch9wavefront6targetE0EEEvT1_ ; -- Begin function _ZN7rocprim17ROCPRIM_400000_NS6detail17trampoline_kernelINS0_14default_configENS1_25partition_config_selectorILNS1_17partition_subalgoE9EllbEEZZNS1_14partition_implILS5_9ELb0ES3_jPlS8_PNS0_10empty_typeENS0_5tupleIJS8_S9_EEENSB_IJS8_SA_EEENS0_18inequality_wrapperIZN2at6native12_GLOBAL__N_124unique_dim_cuda_templateIiEESt5tupleIJNSF_6TensorESK_SK_EERKSK_lbbbEUlllE0_EEPmJS9_EEE10hipError_tPvRmT3_T4_T5_T6_T7_T9_mT8_P12ihipStream_tbDpT10_ENKUlT_T0_E_clISt17integral_constantIbLb0EES19_IbLb1EEEEDaS15_S16_EUlS15_E_NS1_11comp_targetILNS1_3genE2ELNS1_11target_archE906ELNS1_3gpuE6ELNS1_3repE0EEENS1_30default_config_static_selectorELNS0_4arch9wavefront6targetE0EEEvT1_
	.p2align	8
	.type	_ZN7rocprim17ROCPRIM_400000_NS6detail17trampoline_kernelINS0_14default_configENS1_25partition_config_selectorILNS1_17partition_subalgoE9EllbEEZZNS1_14partition_implILS5_9ELb0ES3_jPlS8_PNS0_10empty_typeENS0_5tupleIJS8_S9_EEENSB_IJS8_SA_EEENS0_18inequality_wrapperIZN2at6native12_GLOBAL__N_124unique_dim_cuda_templateIiEESt5tupleIJNSF_6TensorESK_SK_EERKSK_lbbbEUlllE0_EEPmJS9_EEE10hipError_tPvRmT3_T4_T5_T6_T7_T9_mT8_P12ihipStream_tbDpT10_ENKUlT_T0_E_clISt17integral_constantIbLb0EES19_IbLb1EEEEDaS15_S16_EUlS15_E_NS1_11comp_targetILNS1_3genE2ELNS1_11target_archE906ELNS1_3gpuE6ELNS1_3repE0EEENS1_30default_config_static_selectorELNS0_4arch9wavefront6targetE0EEEvT1_,@function
_ZN7rocprim17ROCPRIM_400000_NS6detail17trampoline_kernelINS0_14default_configENS1_25partition_config_selectorILNS1_17partition_subalgoE9EllbEEZZNS1_14partition_implILS5_9ELb0ES3_jPlS8_PNS0_10empty_typeENS0_5tupleIJS8_S9_EEENSB_IJS8_SA_EEENS0_18inequality_wrapperIZN2at6native12_GLOBAL__N_124unique_dim_cuda_templateIiEESt5tupleIJNSF_6TensorESK_SK_EERKSK_lbbbEUlllE0_EEPmJS9_EEE10hipError_tPvRmT3_T4_T5_T6_T7_T9_mT8_P12ihipStream_tbDpT10_ENKUlT_T0_E_clISt17integral_constantIbLb0EES19_IbLb1EEEEDaS15_S16_EUlS15_E_NS1_11comp_targetILNS1_3genE2ELNS1_11target_archE906ELNS1_3gpuE6ELNS1_3repE0EEENS1_30default_config_static_selectorELNS0_4arch9wavefront6targetE0EEEvT1_: ; @_ZN7rocprim17ROCPRIM_400000_NS6detail17trampoline_kernelINS0_14default_configENS1_25partition_config_selectorILNS1_17partition_subalgoE9EllbEEZZNS1_14partition_implILS5_9ELb0ES3_jPlS8_PNS0_10empty_typeENS0_5tupleIJS8_S9_EEENSB_IJS8_SA_EEENS0_18inequality_wrapperIZN2at6native12_GLOBAL__N_124unique_dim_cuda_templateIiEESt5tupleIJNSF_6TensorESK_SK_EERKSK_lbbbEUlllE0_EEPmJS9_EEE10hipError_tPvRmT3_T4_T5_T6_T7_T9_mT8_P12ihipStream_tbDpT10_ENKUlT_T0_E_clISt17integral_constantIbLb0EES19_IbLb1EEEEDaS15_S16_EUlS15_E_NS1_11comp_targetILNS1_3genE2ELNS1_11target_archE906ELNS1_3gpuE6ELNS1_3repE0EEENS1_30default_config_static_selectorELNS0_4arch9wavefront6targetE0EEEvT1_
; %bb.0:
	.section	.rodata,"a",@progbits
	.p2align	6, 0x0
	.amdhsa_kernel _ZN7rocprim17ROCPRIM_400000_NS6detail17trampoline_kernelINS0_14default_configENS1_25partition_config_selectorILNS1_17partition_subalgoE9EllbEEZZNS1_14partition_implILS5_9ELb0ES3_jPlS8_PNS0_10empty_typeENS0_5tupleIJS8_S9_EEENSB_IJS8_SA_EEENS0_18inequality_wrapperIZN2at6native12_GLOBAL__N_124unique_dim_cuda_templateIiEESt5tupleIJNSF_6TensorESK_SK_EERKSK_lbbbEUlllE0_EEPmJS9_EEE10hipError_tPvRmT3_T4_T5_T6_T7_T9_mT8_P12ihipStream_tbDpT10_ENKUlT_T0_E_clISt17integral_constantIbLb0EES19_IbLb1EEEEDaS15_S16_EUlS15_E_NS1_11comp_targetILNS1_3genE2ELNS1_11target_archE906ELNS1_3gpuE6ELNS1_3repE0EEENS1_30default_config_static_selectorELNS0_4arch9wavefront6targetE0EEEvT1_
		.amdhsa_group_segment_fixed_size 0
		.amdhsa_private_segment_fixed_size 0
		.amdhsa_kernarg_size 136
		.amdhsa_user_sgpr_count 2
		.amdhsa_user_sgpr_dispatch_ptr 0
		.amdhsa_user_sgpr_queue_ptr 0
		.amdhsa_user_sgpr_kernarg_segment_ptr 1
		.amdhsa_user_sgpr_dispatch_id 0
		.amdhsa_user_sgpr_kernarg_preload_length 0
		.amdhsa_user_sgpr_kernarg_preload_offset 0
		.amdhsa_user_sgpr_private_segment_size 0
		.amdhsa_wavefront_size32 1
		.amdhsa_uses_dynamic_stack 0
		.amdhsa_enable_private_segment 0
		.amdhsa_system_sgpr_workgroup_id_x 1
		.amdhsa_system_sgpr_workgroup_id_y 0
		.amdhsa_system_sgpr_workgroup_id_z 0
		.amdhsa_system_sgpr_workgroup_info 0
		.amdhsa_system_vgpr_workitem_id 0
		.amdhsa_next_free_vgpr 1
		.amdhsa_next_free_sgpr 1
		.amdhsa_named_barrier_count 0
		.amdhsa_reserve_vcc 0
		.amdhsa_float_round_mode_32 0
		.amdhsa_float_round_mode_16_64 0
		.amdhsa_float_denorm_mode_32 3
		.amdhsa_float_denorm_mode_16_64 3
		.amdhsa_fp16_overflow 0
		.amdhsa_memory_ordered 1
		.amdhsa_forward_progress 1
		.amdhsa_inst_pref_size 0
		.amdhsa_round_robin_scheduling 0
		.amdhsa_exception_fp_ieee_invalid_op 0
		.amdhsa_exception_fp_denorm_src 0
		.amdhsa_exception_fp_ieee_div_zero 0
		.amdhsa_exception_fp_ieee_overflow 0
		.amdhsa_exception_fp_ieee_underflow 0
		.amdhsa_exception_fp_ieee_inexact 0
		.amdhsa_exception_int_div_zero 0
	.end_amdhsa_kernel
	.section	.text._ZN7rocprim17ROCPRIM_400000_NS6detail17trampoline_kernelINS0_14default_configENS1_25partition_config_selectorILNS1_17partition_subalgoE9EllbEEZZNS1_14partition_implILS5_9ELb0ES3_jPlS8_PNS0_10empty_typeENS0_5tupleIJS8_S9_EEENSB_IJS8_SA_EEENS0_18inequality_wrapperIZN2at6native12_GLOBAL__N_124unique_dim_cuda_templateIiEESt5tupleIJNSF_6TensorESK_SK_EERKSK_lbbbEUlllE0_EEPmJS9_EEE10hipError_tPvRmT3_T4_T5_T6_T7_T9_mT8_P12ihipStream_tbDpT10_ENKUlT_T0_E_clISt17integral_constantIbLb0EES19_IbLb1EEEEDaS15_S16_EUlS15_E_NS1_11comp_targetILNS1_3genE2ELNS1_11target_archE906ELNS1_3gpuE6ELNS1_3repE0EEENS1_30default_config_static_selectorELNS0_4arch9wavefront6targetE0EEEvT1_,"axG",@progbits,_ZN7rocprim17ROCPRIM_400000_NS6detail17trampoline_kernelINS0_14default_configENS1_25partition_config_selectorILNS1_17partition_subalgoE9EllbEEZZNS1_14partition_implILS5_9ELb0ES3_jPlS8_PNS0_10empty_typeENS0_5tupleIJS8_S9_EEENSB_IJS8_SA_EEENS0_18inequality_wrapperIZN2at6native12_GLOBAL__N_124unique_dim_cuda_templateIiEESt5tupleIJNSF_6TensorESK_SK_EERKSK_lbbbEUlllE0_EEPmJS9_EEE10hipError_tPvRmT3_T4_T5_T6_T7_T9_mT8_P12ihipStream_tbDpT10_ENKUlT_T0_E_clISt17integral_constantIbLb0EES19_IbLb1EEEEDaS15_S16_EUlS15_E_NS1_11comp_targetILNS1_3genE2ELNS1_11target_archE906ELNS1_3gpuE6ELNS1_3repE0EEENS1_30default_config_static_selectorELNS0_4arch9wavefront6targetE0EEEvT1_,comdat
.Lfunc_end501:
	.size	_ZN7rocprim17ROCPRIM_400000_NS6detail17trampoline_kernelINS0_14default_configENS1_25partition_config_selectorILNS1_17partition_subalgoE9EllbEEZZNS1_14partition_implILS5_9ELb0ES3_jPlS8_PNS0_10empty_typeENS0_5tupleIJS8_S9_EEENSB_IJS8_SA_EEENS0_18inequality_wrapperIZN2at6native12_GLOBAL__N_124unique_dim_cuda_templateIiEESt5tupleIJNSF_6TensorESK_SK_EERKSK_lbbbEUlllE0_EEPmJS9_EEE10hipError_tPvRmT3_T4_T5_T6_T7_T9_mT8_P12ihipStream_tbDpT10_ENKUlT_T0_E_clISt17integral_constantIbLb0EES19_IbLb1EEEEDaS15_S16_EUlS15_E_NS1_11comp_targetILNS1_3genE2ELNS1_11target_archE906ELNS1_3gpuE6ELNS1_3repE0EEENS1_30default_config_static_selectorELNS0_4arch9wavefront6targetE0EEEvT1_, .Lfunc_end501-_ZN7rocprim17ROCPRIM_400000_NS6detail17trampoline_kernelINS0_14default_configENS1_25partition_config_selectorILNS1_17partition_subalgoE9EllbEEZZNS1_14partition_implILS5_9ELb0ES3_jPlS8_PNS0_10empty_typeENS0_5tupleIJS8_S9_EEENSB_IJS8_SA_EEENS0_18inequality_wrapperIZN2at6native12_GLOBAL__N_124unique_dim_cuda_templateIiEESt5tupleIJNSF_6TensorESK_SK_EERKSK_lbbbEUlllE0_EEPmJS9_EEE10hipError_tPvRmT3_T4_T5_T6_T7_T9_mT8_P12ihipStream_tbDpT10_ENKUlT_T0_E_clISt17integral_constantIbLb0EES19_IbLb1EEEEDaS15_S16_EUlS15_E_NS1_11comp_targetILNS1_3genE2ELNS1_11target_archE906ELNS1_3gpuE6ELNS1_3repE0EEENS1_30default_config_static_selectorELNS0_4arch9wavefront6targetE0EEEvT1_
                                        ; -- End function
	.set _ZN7rocprim17ROCPRIM_400000_NS6detail17trampoline_kernelINS0_14default_configENS1_25partition_config_selectorILNS1_17partition_subalgoE9EllbEEZZNS1_14partition_implILS5_9ELb0ES3_jPlS8_PNS0_10empty_typeENS0_5tupleIJS8_S9_EEENSB_IJS8_SA_EEENS0_18inequality_wrapperIZN2at6native12_GLOBAL__N_124unique_dim_cuda_templateIiEESt5tupleIJNSF_6TensorESK_SK_EERKSK_lbbbEUlllE0_EEPmJS9_EEE10hipError_tPvRmT3_T4_T5_T6_T7_T9_mT8_P12ihipStream_tbDpT10_ENKUlT_T0_E_clISt17integral_constantIbLb0EES19_IbLb1EEEEDaS15_S16_EUlS15_E_NS1_11comp_targetILNS1_3genE2ELNS1_11target_archE906ELNS1_3gpuE6ELNS1_3repE0EEENS1_30default_config_static_selectorELNS0_4arch9wavefront6targetE0EEEvT1_.num_vgpr, 0
	.set _ZN7rocprim17ROCPRIM_400000_NS6detail17trampoline_kernelINS0_14default_configENS1_25partition_config_selectorILNS1_17partition_subalgoE9EllbEEZZNS1_14partition_implILS5_9ELb0ES3_jPlS8_PNS0_10empty_typeENS0_5tupleIJS8_S9_EEENSB_IJS8_SA_EEENS0_18inequality_wrapperIZN2at6native12_GLOBAL__N_124unique_dim_cuda_templateIiEESt5tupleIJNSF_6TensorESK_SK_EERKSK_lbbbEUlllE0_EEPmJS9_EEE10hipError_tPvRmT3_T4_T5_T6_T7_T9_mT8_P12ihipStream_tbDpT10_ENKUlT_T0_E_clISt17integral_constantIbLb0EES19_IbLb1EEEEDaS15_S16_EUlS15_E_NS1_11comp_targetILNS1_3genE2ELNS1_11target_archE906ELNS1_3gpuE6ELNS1_3repE0EEENS1_30default_config_static_selectorELNS0_4arch9wavefront6targetE0EEEvT1_.num_agpr, 0
	.set _ZN7rocprim17ROCPRIM_400000_NS6detail17trampoline_kernelINS0_14default_configENS1_25partition_config_selectorILNS1_17partition_subalgoE9EllbEEZZNS1_14partition_implILS5_9ELb0ES3_jPlS8_PNS0_10empty_typeENS0_5tupleIJS8_S9_EEENSB_IJS8_SA_EEENS0_18inequality_wrapperIZN2at6native12_GLOBAL__N_124unique_dim_cuda_templateIiEESt5tupleIJNSF_6TensorESK_SK_EERKSK_lbbbEUlllE0_EEPmJS9_EEE10hipError_tPvRmT3_T4_T5_T6_T7_T9_mT8_P12ihipStream_tbDpT10_ENKUlT_T0_E_clISt17integral_constantIbLb0EES19_IbLb1EEEEDaS15_S16_EUlS15_E_NS1_11comp_targetILNS1_3genE2ELNS1_11target_archE906ELNS1_3gpuE6ELNS1_3repE0EEENS1_30default_config_static_selectorELNS0_4arch9wavefront6targetE0EEEvT1_.numbered_sgpr, 0
	.set _ZN7rocprim17ROCPRIM_400000_NS6detail17trampoline_kernelINS0_14default_configENS1_25partition_config_selectorILNS1_17partition_subalgoE9EllbEEZZNS1_14partition_implILS5_9ELb0ES3_jPlS8_PNS0_10empty_typeENS0_5tupleIJS8_S9_EEENSB_IJS8_SA_EEENS0_18inequality_wrapperIZN2at6native12_GLOBAL__N_124unique_dim_cuda_templateIiEESt5tupleIJNSF_6TensorESK_SK_EERKSK_lbbbEUlllE0_EEPmJS9_EEE10hipError_tPvRmT3_T4_T5_T6_T7_T9_mT8_P12ihipStream_tbDpT10_ENKUlT_T0_E_clISt17integral_constantIbLb0EES19_IbLb1EEEEDaS15_S16_EUlS15_E_NS1_11comp_targetILNS1_3genE2ELNS1_11target_archE906ELNS1_3gpuE6ELNS1_3repE0EEENS1_30default_config_static_selectorELNS0_4arch9wavefront6targetE0EEEvT1_.num_named_barrier, 0
	.set _ZN7rocprim17ROCPRIM_400000_NS6detail17trampoline_kernelINS0_14default_configENS1_25partition_config_selectorILNS1_17partition_subalgoE9EllbEEZZNS1_14partition_implILS5_9ELb0ES3_jPlS8_PNS0_10empty_typeENS0_5tupleIJS8_S9_EEENSB_IJS8_SA_EEENS0_18inequality_wrapperIZN2at6native12_GLOBAL__N_124unique_dim_cuda_templateIiEESt5tupleIJNSF_6TensorESK_SK_EERKSK_lbbbEUlllE0_EEPmJS9_EEE10hipError_tPvRmT3_T4_T5_T6_T7_T9_mT8_P12ihipStream_tbDpT10_ENKUlT_T0_E_clISt17integral_constantIbLb0EES19_IbLb1EEEEDaS15_S16_EUlS15_E_NS1_11comp_targetILNS1_3genE2ELNS1_11target_archE906ELNS1_3gpuE6ELNS1_3repE0EEENS1_30default_config_static_selectorELNS0_4arch9wavefront6targetE0EEEvT1_.private_seg_size, 0
	.set _ZN7rocprim17ROCPRIM_400000_NS6detail17trampoline_kernelINS0_14default_configENS1_25partition_config_selectorILNS1_17partition_subalgoE9EllbEEZZNS1_14partition_implILS5_9ELb0ES3_jPlS8_PNS0_10empty_typeENS0_5tupleIJS8_S9_EEENSB_IJS8_SA_EEENS0_18inequality_wrapperIZN2at6native12_GLOBAL__N_124unique_dim_cuda_templateIiEESt5tupleIJNSF_6TensorESK_SK_EERKSK_lbbbEUlllE0_EEPmJS9_EEE10hipError_tPvRmT3_T4_T5_T6_T7_T9_mT8_P12ihipStream_tbDpT10_ENKUlT_T0_E_clISt17integral_constantIbLb0EES19_IbLb1EEEEDaS15_S16_EUlS15_E_NS1_11comp_targetILNS1_3genE2ELNS1_11target_archE906ELNS1_3gpuE6ELNS1_3repE0EEENS1_30default_config_static_selectorELNS0_4arch9wavefront6targetE0EEEvT1_.uses_vcc, 0
	.set _ZN7rocprim17ROCPRIM_400000_NS6detail17trampoline_kernelINS0_14default_configENS1_25partition_config_selectorILNS1_17partition_subalgoE9EllbEEZZNS1_14partition_implILS5_9ELb0ES3_jPlS8_PNS0_10empty_typeENS0_5tupleIJS8_S9_EEENSB_IJS8_SA_EEENS0_18inequality_wrapperIZN2at6native12_GLOBAL__N_124unique_dim_cuda_templateIiEESt5tupleIJNSF_6TensorESK_SK_EERKSK_lbbbEUlllE0_EEPmJS9_EEE10hipError_tPvRmT3_T4_T5_T6_T7_T9_mT8_P12ihipStream_tbDpT10_ENKUlT_T0_E_clISt17integral_constantIbLb0EES19_IbLb1EEEEDaS15_S16_EUlS15_E_NS1_11comp_targetILNS1_3genE2ELNS1_11target_archE906ELNS1_3gpuE6ELNS1_3repE0EEENS1_30default_config_static_selectorELNS0_4arch9wavefront6targetE0EEEvT1_.uses_flat_scratch, 0
	.set _ZN7rocprim17ROCPRIM_400000_NS6detail17trampoline_kernelINS0_14default_configENS1_25partition_config_selectorILNS1_17partition_subalgoE9EllbEEZZNS1_14partition_implILS5_9ELb0ES3_jPlS8_PNS0_10empty_typeENS0_5tupleIJS8_S9_EEENSB_IJS8_SA_EEENS0_18inequality_wrapperIZN2at6native12_GLOBAL__N_124unique_dim_cuda_templateIiEESt5tupleIJNSF_6TensorESK_SK_EERKSK_lbbbEUlllE0_EEPmJS9_EEE10hipError_tPvRmT3_T4_T5_T6_T7_T9_mT8_P12ihipStream_tbDpT10_ENKUlT_T0_E_clISt17integral_constantIbLb0EES19_IbLb1EEEEDaS15_S16_EUlS15_E_NS1_11comp_targetILNS1_3genE2ELNS1_11target_archE906ELNS1_3gpuE6ELNS1_3repE0EEENS1_30default_config_static_selectorELNS0_4arch9wavefront6targetE0EEEvT1_.has_dyn_sized_stack, 0
	.set _ZN7rocprim17ROCPRIM_400000_NS6detail17trampoline_kernelINS0_14default_configENS1_25partition_config_selectorILNS1_17partition_subalgoE9EllbEEZZNS1_14partition_implILS5_9ELb0ES3_jPlS8_PNS0_10empty_typeENS0_5tupleIJS8_S9_EEENSB_IJS8_SA_EEENS0_18inequality_wrapperIZN2at6native12_GLOBAL__N_124unique_dim_cuda_templateIiEESt5tupleIJNSF_6TensorESK_SK_EERKSK_lbbbEUlllE0_EEPmJS9_EEE10hipError_tPvRmT3_T4_T5_T6_T7_T9_mT8_P12ihipStream_tbDpT10_ENKUlT_T0_E_clISt17integral_constantIbLb0EES19_IbLb1EEEEDaS15_S16_EUlS15_E_NS1_11comp_targetILNS1_3genE2ELNS1_11target_archE906ELNS1_3gpuE6ELNS1_3repE0EEENS1_30default_config_static_selectorELNS0_4arch9wavefront6targetE0EEEvT1_.has_recursion, 0
	.set _ZN7rocprim17ROCPRIM_400000_NS6detail17trampoline_kernelINS0_14default_configENS1_25partition_config_selectorILNS1_17partition_subalgoE9EllbEEZZNS1_14partition_implILS5_9ELb0ES3_jPlS8_PNS0_10empty_typeENS0_5tupleIJS8_S9_EEENSB_IJS8_SA_EEENS0_18inequality_wrapperIZN2at6native12_GLOBAL__N_124unique_dim_cuda_templateIiEESt5tupleIJNSF_6TensorESK_SK_EERKSK_lbbbEUlllE0_EEPmJS9_EEE10hipError_tPvRmT3_T4_T5_T6_T7_T9_mT8_P12ihipStream_tbDpT10_ENKUlT_T0_E_clISt17integral_constantIbLb0EES19_IbLb1EEEEDaS15_S16_EUlS15_E_NS1_11comp_targetILNS1_3genE2ELNS1_11target_archE906ELNS1_3gpuE6ELNS1_3repE0EEENS1_30default_config_static_selectorELNS0_4arch9wavefront6targetE0EEEvT1_.has_indirect_call, 0
	.section	.AMDGPU.csdata,"",@progbits
; Kernel info:
; codeLenInByte = 0
; TotalNumSgprs: 0
; NumVgprs: 0
; ScratchSize: 0
; MemoryBound: 0
; FloatMode: 240
; IeeeMode: 1
; LDSByteSize: 0 bytes/workgroup (compile time only)
; SGPRBlocks: 0
; VGPRBlocks: 0
; NumSGPRsForWavesPerEU: 1
; NumVGPRsForWavesPerEU: 1
; NamedBarCnt: 0
; Occupancy: 16
; WaveLimiterHint : 0
; COMPUTE_PGM_RSRC2:SCRATCH_EN: 0
; COMPUTE_PGM_RSRC2:USER_SGPR: 2
; COMPUTE_PGM_RSRC2:TRAP_HANDLER: 0
; COMPUTE_PGM_RSRC2:TGID_X_EN: 1
; COMPUTE_PGM_RSRC2:TGID_Y_EN: 0
; COMPUTE_PGM_RSRC2:TGID_Z_EN: 0
; COMPUTE_PGM_RSRC2:TIDIG_COMP_CNT: 0
	.section	.text._ZN7rocprim17ROCPRIM_400000_NS6detail17trampoline_kernelINS0_14default_configENS1_25partition_config_selectorILNS1_17partition_subalgoE9EllbEEZZNS1_14partition_implILS5_9ELb0ES3_jPlS8_PNS0_10empty_typeENS0_5tupleIJS8_S9_EEENSB_IJS8_SA_EEENS0_18inequality_wrapperIZN2at6native12_GLOBAL__N_124unique_dim_cuda_templateIiEESt5tupleIJNSF_6TensorESK_SK_EERKSK_lbbbEUlllE0_EEPmJS9_EEE10hipError_tPvRmT3_T4_T5_T6_T7_T9_mT8_P12ihipStream_tbDpT10_ENKUlT_T0_E_clISt17integral_constantIbLb0EES19_IbLb1EEEEDaS15_S16_EUlS15_E_NS1_11comp_targetILNS1_3genE10ELNS1_11target_archE1200ELNS1_3gpuE4ELNS1_3repE0EEENS1_30default_config_static_selectorELNS0_4arch9wavefront6targetE0EEEvT1_,"axG",@progbits,_ZN7rocprim17ROCPRIM_400000_NS6detail17trampoline_kernelINS0_14default_configENS1_25partition_config_selectorILNS1_17partition_subalgoE9EllbEEZZNS1_14partition_implILS5_9ELb0ES3_jPlS8_PNS0_10empty_typeENS0_5tupleIJS8_S9_EEENSB_IJS8_SA_EEENS0_18inequality_wrapperIZN2at6native12_GLOBAL__N_124unique_dim_cuda_templateIiEESt5tupleIJNSF_6TensorESK_SK_EERKSK_lbbbEUlllE0_EEPmJS9_EEE10hipError_tPvRmT3_T4_T5_T6_T7_T9_mT8_P12ihipStream_tbDpT10_ENKUlT_T0_E_clISt17integral_constantIbLb0EES19_IbLb1EEEEDaS15_S16_EUlS15_E_NS1_11comp_targetILNS1_3genE10ELNS1_11target_archE1200ELNS1_3gpuE4ELNS1_3repE0EEENS1_30default_config_static_selectorELNS0_4arch9wavefront6targetE0EEEvT1_,comdat
	.globl	_ZN7rocprim17ROCPRIM_400000_NS6detail17trampoline_kernelINS0_14default_configENS1_25partition_config_selectorILNS1_17partition_subalgoE9EllbEEZZNS1_14partition_implILS5_9ELb0ES3_jPlS8_PNS0_10empty_typeENS0_5tupleIJS8_S9_EEENSB_IJS8_SA_EEENS0_18inequality_wrapperIZN2at6native12_GLOBAL__N_124unique_dim_cuda_templateIiEESt5tupleIJNSF_6TensorESK_SK_EERKSK_lbbbEUlllE0_EEPmJS9_EEE10hipError_tPvRmT3_T4_T5_T6_T7_T9_mT8_P12ihipStream_tbDpT10_ENKUlT_T0_E_clISt17integral_constantIbLb0EES19_IbLb1EEEEDaS15_S16_EUlS15_E_NS1_11comp_targetILNS1_3genE10ELNS1_11target_archE1200ELNS1_3gpuE4ELNS1_3repE0EEENS1_30default_config_static_selectorELNS0_4arch9wavefront6targetE0EEEvT1_ ; -- Begin function _ZN7rocprim17ROCPRIM_400000_NS6detail17trampoline_kernelINS0_14default_configENS1_25partition_config_selectorILNS1_17partition_subalgoE9EllbEEZZNS1_14partition_implILS5_9ELb0ES3_jPlS8_PNS0_10empty_typeENS0_5tupleIJS8_S9_EEENSB_IJS8_SA_EEENS0_18inequality_wrapperIZN2at6native12_GLOBAL__N_124unique_dim_cuda_templateIiEESt5tupleIJNSF_6TensorESK_SK_EERKSK_lbbbEUlllE0_EEPmJS9_EEE10hipError_tPvRmT3_T4_T5_T6_T7_T9_mT8_P12ihipStream_tbDpT10_ENKUlT_T0_E_clISt17integral_constantIbLb0EES19_IbLb1EEEEDaS15_S16_EUlS15_E_NS1_11comp_targetILNS1_3genE10ELNS1_11target_archE1200ELNS1_3gpuE4ELNS1_3repE0EEENS1_30default_config_static_selectorELNS0_4arch9wavefront6targetE0EEEvT1_
	.p2align	8
	.type	_ZN7rocprim17ROCPRIM_400000_NS6detail17trampoline_kernelINS0_14default_configENS1_25partition_config_selectorILNS1_17partition_subalgoE9EllbEEZZNS1_14partition_implILS5_9ELb0ES3_jPlS8_PNS0_10empty_typeENS0_5tupleIJS8_S9_EEENSB_IJS8_SA_EEENS0_18inequality_wrapperIZN2at6native12_GLOBAL__N_124unique_dim_cuda_templateIiEESt5tupleIJNSF_6TensorESK_SK_EERKSK_lbbbEUlllE0_EEPmJS9_EEE10hipError_tPvRmT3_T4_T5_T6_T7_T9_mT8_P12ihipStream_tbDpT10_ENKUlT_T0_E_clISt17integral_constantIbLb0EES19_IbLb1EEEEDaS15_S16_EUlS15_E_NS1_11comp_targetILNS1_3genE10ELNS1_11target_archE1200ELNS1_3gpuE4ELNS1_3repE0EEENS1_30default_config_static_selectorELNS0_4arch9wavefront6targetE0EEEvT1_,@function
_ZN7rocprim17ROCPRIM_400000_NS6detail17trampoline_kernelINS0_14default_configENS1_25partition_config_selectorILNS1_17partition_subalgoE9EllbEEZZNS1_14partition_implILS5_9ELb0ES3_jPlS8_PNS0_10empty_typeENS0_5tupleIJS8_S9_EEENSB_IJS8_SA_EEENS0_18inequality_wrapperIZN2at6native12_GLOBAL__N_124unique_dim_cuda_templateIiEESt5tupleIJNSF_6TensorESK_SK_EERKSK_lbbbEUlllE0_EEPmJS9_EEE10hipError_tPvRmT3_T4_T5_T6_T7_T9_mT8_P12ihipStream_tbDpT10_ENKUlT_T0_E_clISt17integral_constantIbLb0EES19_IbLb1EEEEDaS15_S16_EUlS15_E_NS1_11comp_targetILNS1_3genE10ELNS1_11target_archE1200ELNS1_3gpuE4ELNS1_3repE0EEENS1_30default_config_static_selectorELNS0_4arch9wavefront6targetE0EEEvT1_: ; @_ZN7rocprim17ROCPRIM_400000_NS6detail17trampoline_kernelINS0_14default_configENS1_25partition_config_selectorILNS1_17partition_subalgoE9EllbEEZZNS1_14partition_implILS5_9ELb0ES3_jPlS8_PNS0_10empty_typeENS0_5tupleIJS8_S9_EEENSB_IJS8_SA_EEENS0_18inequality_wrapperIZN2at6native12_GLOBAL__N_124unique_dim_cuda_templateIiEESt5tupleIJNSF_6TensorESK_SK_EERKSK_lbbbEUlllE0_EEPmJS9_EEE10hipError_tPvRmT3_T4_T5_T6_T7_T9_mT8_P12ihipStream_tbDpT10_ENKUlT_T0_E_clISt17integral_constantIbLb0EES19_IbLb1EEEEDaS15_S16_EUlS15_E_NS1_11comp_targetILNS1_3genE10ELNS1_11target_archE1200ELNS1_3gpuE4ELNS1_3repE0EEENS1_30default_config_static_selectorELNS0_4arch9wavefront6targetE0EEEvT1_
; %bb.0:
	.section	.rodata,"a",@progbits
	.p2align	6, 0x0
	.amdhsa_kernel _ZN7rocprim17ROCPRIM_400000_NS6detail17trampoline_kernelINS0_14default_configENS1_25partition_config_selectorILNS1_17partition_subalgoE9EllbEEZZNS1_14partition_implILS5_9ELb0ES3_jPlS8_PNS0_10empty_typeENS0_5tupleIJS8_S9_EEENSB_IJS8_SA_EEENS0_18inequality_wrapperIZN2at6native12_GLOBAL__N_124unique_dim_cuda_templateIiEESt5tupleIJNSF_6TensorESK_SK_EERKSK_lbbbEUlllE0_EEPmJS9_EEE10hipError_tPvRmT3_T4_T5_T6_T7_T9_mT8_P12ihipStream_tbDpT10_ENKUlT_T0_E_clISt17integral_constantIbLb0EES19_IbLb1EEEEDaS15_S16_EUlS15_E_NS1_11comp_targetILNS1_3genE10ELNS1_11target_archE1200ELNS1_3gpuE4ELNS1_3repE0EEENS1_30default_config_static_selectorELNS0_4arch9wavefront6targetE0EEEvT1_
		.amdhsa_group_segment_fixed_size 0
		.amdhsa_private_segment_fixed_size 0
		.amdhsa_kernarg_size 136
		.amdhsa_user_sgpr_count 2
		.amdhsa_user_sgpr_dispatch_ptr 0
		.amdhsa_user_sgpr_queue_ptr 0
		.amdhsa_user_sgpr_kernarg_segment_ptr 1
		.amdhsa_user_sgpr_dispatch_id 0
		.amdhsa_user_sgpr_kernarg_preload_length 0
		.amdhsa_user_sgpr_kernarg_preload_offset 0
		.amdhsa_user_sgpr_private_segment_size 0
		.amdhsa_wavefront_size32 1
		.amdhsa_uses_dynamic_stack 0
		.amdhsa_enable_private_segment 0
		.amdhsa_system_sgpr_workgroup_id_x 1
		.amdhsa_system_sgpr_workgroup_id_y 0
		.amdhsa_system_sgpr_workgroup_id_z 0
		.amdhsa_system_sgpr_workgroup_info 0
		.amdhsa_system_vgpr_workitem_id 0
		.amdhsa_next_free_vgpr 1
		.amdhsa_next_free_sgpr 1
		.amdhsa_named_barrier_count 0
		.amdhsa_reserve_vcc 0
		.amdhsa_float_round_mode_32 0
		.amdhsa_float_round_mode_16_64 0
		.amdhsa_float_denorm_mode_32 3
		.amdhsa_float_denorm_mode_16_64 3
		.amdhsa_fp16_overflow 0
		.amdhsa_memory_ordered 1
		.amdhsa_forward_progress 1
		.amdhsa_inst_pref_size 0
		.amdhsa_round_robin_scheduling 0
		.amdhsa_exception_fp_ieee_invalid_op 0
		.amdhsa_exception_fp_denorm_src 0
		.amdhsa_exception_fp_ieee_div_zero 0
		.amdhsa_exception_fp_ieee_overflow 0
		.amdhsa_exception_fp_ieee_underflow 0
		.amdhsa_exception_fp_ieee_inexact 0
		.amdhsa_exception_int_div_zero 0
	.end_amdhsa_kernel
	.section	.text._ZN7rocprim17ROCPRIM_400000_NS6detail17trampoline_kernelINS0_14default_configENS1_25partition_config_selectorILNS1_17partition_subalgoE9EllbEEZZNS1_14partition_implILS5_9ELb0ES3_jPlS8_PNS0_10empty_typeENS0_5tupleIJS8_S9_EEENSB_IJS8_SA_EEENS0_18inequality_wrapperIZN2at6native12_GLOBAL__N_124unique_dim_cuda_templateIiEESt5tupleIJNSF_6TensorESK_SK_EERKSK_lbbbEUlllE0_EEPmJS9_EEE10hipError_tPvRmT3_T4_T5_T6_T7_T9_mT8_P12ihipStream_tbDpT10_ENKUlT_T0_E_clISt17integral_constantIbLb0EES19_IbLb1EEEEDaS15_S16_EUlS15_E_NS1_11comp_targetILNS1_3genE10ELNS1_11target_archE1200ELNS1_3gpuE4ELNS1_3repE0EEENS1_30default_config_static_selectorELNS0_4arch9wavefront6targetE0EEEvT1_,"axG",@progbits,_ZN7rocprim17ROCPRIM_400000_NS6detail17trampoline_kernelINS0_14default_configENS1_25partition_config_selectorILNS1_17partition_subalgoE9EllbEEZZNS1_14partition_implILS5_9ELb0ES3_jPlS8_PNS0_10empty_typeENS0_5tupleIJS8_S9_EEENSB_IJS8_SA_EEENS0_18inequality_wrapperIZN2at6native12_GLOBAL__N_124unique_dim_cuda_templateIiEESt5tupleIJNSF_6TensorESK_SK_EERKSK_lbbbEUlllE0_EEPmJS9_EEE10hipError_tPvRmT3_T4_T5_T6_T7_T9_mT8_P12ihipStream_tbDpT10_ENKUlT_T0_E_clISt17integral_constantIbLb0EES19_IbLb1EEEEDaS15_S16_EUlS15_E_NS1_11comp_targetILNS1_3genE10ELNS1_11target_archE1200ELNS1_3gpuE4ELNS1_3repE0EEENS1_30default_config_static_selectorELNS0_4arch9wavefront6targetE0EEEvT1_,comdat
.Lfunc_end502:
	.size	_ZN7rocprim17ROCPRIM_400000_NS6detail17trampoline_kernelINS0_14default_configENS1_25partition_config_selectorILNS1_17partition_subalgoE9EllbEEZZNS1_14partition_implILS5_9ELb0ES3_jPlS8_PNS0_10empty_typeENS0_5tupleIJS8_S9_EEENSB_IJS8_SA_EEENS0_18inequality_wrapperIZN2at6native12_GLOBAL__N_124unique_dim_cuda_templateIiEESt5tupleIJNSF_6TensorESK_SK_EERKSK_lbbbEUlllE0_EEPmJS9_EEE10hipError_tPvRmT3_T4_T5_T6_T7_T9_mT8_P12ihipStream_tbDpT10_ENKUlT_T0_E_clISt17integral_constantIbLb0EES19_IbLb1EEEEDaS15_S16_EUlS15_E_NS1_11comp_targetILNS1_3genE10ELNS1_11target_archE1200ELNS1_3gpuE4ELNS1_3repE0EEENS1_30default_config_static_selectorELNS0_4arch9wavefront6targetE0EEEvT1_, .Lfunc_end502-_ZN7rocprim17ROCPRIM_400000_NS6detail17trampoline_kernelINS0_14default_configENS1_25partition_config_selectorILNS1_17partition_subalgoE9EllbEEZZNS1_14partition_implILS5_9ELb0ES3_jPlS8_PNS0_10empty_typeENS0_5tupleIJS8_S9_EEENSB_IJS8_SA_EEENS0_18inequality_wrapperIZN2at6native12_GLOBAL__N_124unique_dim_cuda_templateIiEESt5tupleIJNSF_6TensorESK_SK_EERKSK_lbbbEUlllE0_EEPmJS9_EEE10hipError_tPvRmT3_T4_T5_T6_T7_T9_mT8_P12ihipStream_tbDpT10_ENKUlT_T0_E_clISt17integral_constantIbLb0EES19_IbLb1EEEEDaS15_S16_EUlS15_E_NS1_11comp_targetILNS1_3genE10ELNS1_11target_archE1200ELNS1_3gpuE4ELNS1_3repE0EEENS1_30default_config_static_selectorELNS0_4arch9wavefront6targetE0EEEvT1_
                                        ; -- End function
	.set _ZN7rocprim17ROCPRIM_400000_NS6detail17trampoline_kernelINS0_14default_configENS1_25partition_config_selectorILNS1_17partition_subalgoE9EllbEEZZNS1_14partition_implILS5_9ELb0ES3_jPlS8_PNS0_10empty_typeENS0_5tupleIJS8_S9_EEENSB_IJS8_SA_EEENS0_18inequality_wrapperIZN2at6native12_GLOBAL__N_124unique_dim_cuda_templateIiEESt5tupleIJNSF_6TensorESK_SK_EERKSK_lbbbEUlllE0_EEPmJS9_EEE10hipError_tPvRmT3_T4_T5_T6_T7_T9_mT8_P12ihipStream_tbDpT10_ENKUlT_T0_E_clISt17integral_constantIbLb0EES19_IbLb1EEEEDaS15_S16_EUlS15_E_NS1_11comp_targetILNS1_3genE10ELNS1_11target_archE1200ELNS1_3gpuE4ELNS1_3repE0EEENS1_30default_config_static_selectorELNS0_4arch9wavefront6targetE0EEEvT1_.num_vgpr, 0
	.set _ZN7rocprim17ROCPRIM_400000_NS6detail17trampoline_kernelINS0_14default_configENS1_25partition_config_selectorILNS1_17partition_subalgoE9EllbEEZZNS1_14partition_implILS5_9ELb0ES3_jPlS8_PNS0_10empty_typeENS0_5tupleIJS8_S9_EEENSB_IJS8_SA_EEENS0_18inequality_wrapperIZN2at6native12_GLOBAL__N_124unique_dim_cuda_templateIiEESt5tupleIJNSF_6TensorESK_SK_EERKSK_lbbbEUlllE0_EEPmJS9_EEE10hipError_tPvRmT3_T4_T5_T6_T7_T9_mT8_P12ihipStream_tbDpT10_ENKUlT_T0_E_clISt17integral_constantIbLb0EES19_IbLb1EEEEDaS15_S16_EUlS15_E_NS1_11comp_targetILNS1_3genE10ELNS1_11target_archE1200ELNS1_3gpuE4ELNS1_3repE0EEENS1_30default_config_static_selectorELNS0_4arch9wavefront6targetE0EEEvT1_.num_agpr, 0
	.set _ZN7rocprim17ROCPRIM_400000_NS6detail17trampoline_kernelINS0_14default_configENS1_25partition_config_selectorILNS1_17partition_subalgoE9EllbEEZZNS1_14partition_implILS5_9ELb0ES3_jPlS8_PNS0_10empty_typeENS0_5tupleIJS8_S9_EEENSB_IJS8_SA_EEENS0_18inequality_wrapperIZN2at6native12_GLOBAL__N_124unique_dim_cuda_templateIiEESt5tupleIJNSF_6TensorESK_SK_EERKSK_lbbbEUlllE0_EEPmJS9_EEE10hipError_tPvRmT3_T4_T5_T6_T7_T9_mT8_P12ihipStream_tbDpT10_ENKUlT_T0_E_clISt17integral_constantIbLb0EES19_IbLb1EEEEDaS15_S16_EUlS15_E_NS1_11comp_targetILNS1_3genE10ELNS1_11target_archE1200ELNS1_3gpuE4ELNS1_3repE0EEENS1_30default_config_static_selectorELNS0_4arch9wavefront6targetE0EEEvT1_.numbered_sgpr, 0
	.set _ZN7rocprim17ROCPRIM_400000_NS6detail17trampoline_kernelINS0_14default_configENS1_25partition_config_selectorILNS1_17partition_subalgoE9EllbEEZZNS1_14partition_implILS5_9ELb0ES3_jPlS8_PNS0_10empty_typeENS0_5tupleIJS8_S9_EEENSB_IJS8_SA_EEENS0_18inequality_wrapperIZN2at6native12_GLOBAL__N_124unique_dim_cuda_templateIiEESt5tupleIJNSF_6TensorESK_SK_EERKSK_lbbbEUlllE0_EEPmJS9_EEE10hipError_tPvRmT3_T4_T5_T6_T7_T9_mT8_P12ihipStream_tbDpT10_ENKUlT_T0_E_clISt17integral_constantIbLb0EES19_IbLb1EEEEDaS15_S16_EUlS15_E_NS1_11comp_targetILNS1_3genE10ELNS1_11target_archE1200ELNS1_3gpuE4ELNS1_3repE0EEENS1_30default_config_static_selectorELNS0_4arch9wavefront6targetE0EEEvT1_.num_named_barrier, 0
	.set _ZN7rocprim17ROCPRIM_400000_NS6detail17trampoline_kernelINS0_14default_configENS1_25partition_config_selectorILNS1_17partition_subalgoE9EllbEEZZNS1_14partition_implILS5_9ELb0ES3_jPlS8_PNS0_10empty_typeENS0_5tupleIJS8_S9_EEENSB_IJS8_SA_EEENS0_18inequality_wrapperIZN2at6native12_GLOBAL__N_124unique_dim_cuda_templateIiEESt5tupleIJNSF_6TensorESK_SK_EERKSK_lbbbEUlllE0_EEPmJS9_EEE10hipError_tPvRmT3_T4_T5_T6_T7_T9_mT8_P12ihipStream_tbDpT10_ENKUlT_T0_E_clISt17integral_constantIbLb0EES19_IbLb1EEEEDaS15_S16_EUlS15_E_NS1_11comp_targetILNS1_3genE10ELNS1_11target_archE1200ELNS1_3gpuE4ELNS1_3repE0EEENS1_30default_config_static_selectorELNS0_4arch9wavefront6targetE0EEEvT1_.private_seg_size, 0
	.set _ZN7rocprim17ROCPRIM_400000_NS6detail17trampoline_kernelINS0_14default_configENS1_25partition_config_selectorILNS1_17partition_subalgoE9EllbEEZZNS1_14partition_implILS5_9ELb0ES3_jPlS8_PNS0_10empty_typeENS0_5tupleIJS8_S9_EEENSB_IJS8_SA_EEENS0_18inequality_wrapperIZN2at6native12_GLOBAL__N_124unique_dim_cuda_templateIiEESt5tupleIJNSF_6TensorESK_SK_EERKSK_lbbbEUlllE0_EEPmJS9_EEE10hipError_tPvRmT3_T4_T5_T6_T7_T9_mT8_P12ihipStream_tbDpT10_ENKUlT_T0_E_clISt17integral_constantIbLb0EES19_IbLb1EEEEDaS15_S16_EUlS15_E_NS1_11comp_targetILNS1_3genE10ELNS1_11target_archE1200ELNS1_3gpuE4ELNS1_3repE0EEENS1_30default_config_static_selectorELNS0_4arch9wavefront6targetE0EEEvT1_.uses_vcc, 0
	.set _ZN7rocprim17ROCPRIM_400000_NS6detail17trampoline_kernelINS0_14default_configENS1_25partition_config_selectorILNS1_17partition_subalgoE9EllbEEZZNS1_14partition_implILS5_9ELb0ES3_jPlS8_PNS0_10empty_typeENS0_5tupleIJS8_S9_EEENSB_IJS8_SA_EEENS0_18inequality_wrapperIZN2at6native12_GLOBAL__N_124unique_dim_cuda_templateIiEESt5tupleIJNSF_6TensorESK_SK_EERKSK_lbbbEUlllE0_EEPmJS9_EEE10hipError_tPvRmT3_T4_T5_T6_T7_T9_mT8_P12ihipStream_tbDpT10_ENKUlT_T0_E_clISt17integral_constantIbLb0EES19_IbLb1EEEEDaS15_S16_EUlS15_E_NS1_11comp_targetILNS1_3genE10ELNS1_11target_archE1200ELNS1_3gpuE4ELNS1_3repE0EEENS1_30default_config_static_selectorELNS0_4arch9wavefront6targetE0EEEvT1_.uses_flat_scratch, 0
	.set _ZN7rocprim17ROCPRIM_400000_NS6detail17trampoline_kernelINS0_14default_configENS1_25partition_config_selectorILNS1_17partition_subalgoE9EllbEEZZNS1_14partition_implILS5_9ELb0ES3_jPlS8_PNS0_10empty_typeENS0_5tupleIJS8_S9_EEENSB_IJS8_SA_EEENS0_18inequality_wrapperIZN2at6native12_GLOBAL__N_124unique_dim_cuda_templateIiEESt5tupleIJNSF_6TensorESK_SK_EERKSK_lbbbEUlllE0_EEPmJS9_EEE10hipError_tPvRmT3_T4_T5_T6_T7_T9_mT8_P12ihipStream_tbDpT10_ENKUlT_T0_E_clISt17integral_constantIbLb0EES19_IbLb1EEEEDaS15_S16_EUlS15_E_NS1_11comp_targetILNS1_3genE10ELNS1_11target_archE1200ELNS1_3gpuE4ELNS1_3repE0EEENS1_30default_config_static_selectorELNS0_4arch9wavefront6targetE0EEEvT1_.has_dyn_sized_stack, 0
	.set _ZN7rocprim17ROCPRIM_400000_NS6detail17trampoline_kernelINS0_14default_configENS1_25partition_config_selectorILNS1_17partition_subalgoE9EllbEEZZNS1_14partition_implILS5_9ELb0ES3_jPlS8_PNS0_10empty_typeENS0_5tupleIJS8_S9_EEENSB_IJS8_SA_EEENS0_18inequality_wrapperIZN2at6native12_GLOBAL__N_124unique_dim_cuda_templateIiEESt5tupleIJNSF_6TensorESK_SK_EERKSK_lbbbEUlllE0_EEPmJS9_EEE10hipError_tPvRmT3_T4_T5_T6_T7_T9_mT8_P12ihipStream_tbDpT10_ENKUlT_T0_E_clISt17integral_constantIbLb0EES19_IbLb1EEEEDaS15_S16_EUlS15_E_NS1_11comp_targetILNS1_3genE10ELNS1_11target_archE1200ELNS1_3gpuE4ELNS1_3repE0EEENS1_30default_config_static_selectorELNS0_4arch9wavefront6targetE0EEEvT1_.has_recursion, 0
	.set _ZN7rocprim17ROCPRIM_400000_NS6detail17trampoline_kernelINS0_14default_configENS1_25partition_config_selectorILNS1_17partition_subalgoE9EllbEEZZNS1_14partition_implILS5_9ELb0ES3_jPlS8_PNS0_10empty_typeENS0_5tupleIJS8_S9_EEENSB_IJS8_SA_EEENS0_18inequality_wrapperIZN2at6native12_GLOBAL__N_124unique_dim_cuda_templateIiEESt5tupleIJNSF_6TensorESK_SK_EERKSK_lbbbEUlllE0_EEPmJS9_EEE10hipError_tPvRmT3_T4_T5_T6_T7_T9_mT8_P12ihipStream_tbDpT10_ENKUlT_T0_E_clISt17integral_constantIbLb0EES19_IbLb1EEEEDaS15_S16_EUlS15_E_NS1_11comp_targetILNS1_3genE10ELNS1_11target_archE1200ELNS1_3gpuE4ELNS1_3repE0EEENS1_30default_config_static_selectorELNS0_4arch9wavefront6targetE0EEEvT1_.has_indirect_call, 0
	.section	.AMDGPU.csdata,"",@progbits
; Kernel info:
; codeLenInByte = 0
; TotalNumSgprs: 0
; NumVgprs: 0
; ScratchSize: 0
; MemoryBound: 0
; FloatMode: 240
; IeeeMode: 1
; LDSByteSize: 0 bytes/workgroup (compile time only)
; SGPRBlocks: 0
; VGPRBlocks: 0
; NumSGPRsForWavesPerEU: 1
; NumVGPRsForWavesPerEU: 1
; NamedBarCnt: 0
; Occupancy: 16
; WaveLimiterHint : 0
; COMPUTE_PGM_RSRC2:SCRATCH_EN: 0
; COMPUTE_PGM_RSRC2:USER_SGPR: 2
; COMPUTE_PGM_RSRC2:TRAP_HANDLER: 0
; COMPUTE_PGM_RSRC2:TGID_X_EN: 1
; COMPUTE_PGM_RSRC2:TGID_Y_EN: 0
; COMPUTE_PGM_RSRC2:TGID_Z_EN: 0
; COMPUTE_PGM_RSRC2:TIDIG_COMP_CNT: 0
	.section	.text._ZN7rocprim17ROCPRIM_400000_NS6detail17trampoline_kernelINS0_14default_configENS1_25partition_config_selectorILNS1_17partition_subalgoE9EllbEEZZNS1_14partition_implILS5_9ELb0ES3_jPlS8_PNS0_10empty_typeENS0_5tupleIJS8_S9_EEENSB_IJS8_SA_EEENS0_18inequality_wrapperIZN2at6native12_GLOBAL__N_124unique_dim_cuda_templateIiEESt5tupleIJNSF_6TensorESK_SK_EERKSK_lbbbEUlllE0_EEPmJS9_EEE10hipError_tPvRmT3_T4_T5_T6_T7_T9_mT8_P12ihipStream_tbDpT10_ENKUlT_T0_E_clISt17integral_constantIbLb0EES19_IbLb1EEEEDaS15_S16_EUlS15_E_NS1_11comp_targetILNS1_3genE9ELNS1_11target_archE1100ELNS1_3gpuE3ELNS1_3repE0EEENS1_30default_config_static_selectorELNS0_4arch9wavefront6targetE0EEEvT1_,"axG",@progbits,_ZN7rocprim17ROCPRIM_400000_NS6detail17trampoline_kernelINS0_14default_configENS1_25partition_config_selectorILNS1_17partition_subalgoE9EllbEEZZNS1_14partition_implILS5_9ELb0ES3_jPlS8_PNS0_10empty_typeENS0_5tupleIJS8_S9_EEENSB_IJS8_SA_EEENS0_18inequality_wrapperIZN2at6native12_GLOBAL__N_124unique_dim_cuda_templateIiEESt5tupleIJNSF_6TensorESK_SK_EERKSK_lbbbEUlllE0_EEPmJS9_EEE10hipError_tPvRmT3_T4_T5_T6_T7_T9_mT8_P12ihipStream_tbDpT10_ENKUlT_T0_E_clISt17integral_constantIbLb0EES19_IbLb1EEEEDaS15_S16_EUlS15_E_NS1_11comp_targetILNS1_3genE9ELNS1_11target_archE1100ELNS1_3gpuE3ELNS1_3repE0EEENS1_30default_config_static_selectorELNS0_4arch9wavefront6targetE0EEEvT1_,comdat
	.globl	_ZN7rocprim17ROCPRIM_400000_NS6detail17trampoline_kernelINS0_14default_configENS1_25partition_config_selectorILNS1_17partition_subalgoE9EllbEEZZNS1_14partition_implILS5_9ELb0ES3_jPlS8_PNS0_10empty_typeENS0_5tupleIJS8_S9_EEENSB_IJS8_SA_EEENS0_18inequality_wrapperIZN2at6native12_GLOBAL__N_124unique_dim_cuda_templateIiEESt5tupleIJNSF_6TensorESK_SK_EERKSK_lbbbEUlllE0_EEPmJS9_EEE10hipError_tPvRmT3_T4_T5_T6_T7_T9_mT8_P12ihipStream_tbDpT10_ENKUlT_T0_E_clISt17integral_constantIbLb0EES19_IbLb1EEEEDaS15_S16_EUlS15_E_NS1_11comp_targetILNS1_3genE9ELNS1_11target_archE1100ELNS1_3gpuE3ELNS1_3repE0EEENS1_30default_config_static_selectorELNS0_4arch9wavefront6targetE0EEEvT1_ ; -- Begin function _ZN7rocprim17ROCPRIM_400000_NS6detail17trampoline_kernelINS0_14default_configENS1_25partition_config_selectorILNS1_17partition_subalgoE9EllbEEZZNS1_14partition_implILS5_9ELb0ES3_jPlS8_PNS0_10empty_typeENS0_5tupleIJS8_S9_EEENSB_IJS8_SA_EEENS0_18inequality_wrapperIZN2at6native12_GLOBAL__N_124unique_dim_cuda_templateIiEESt5tupleIJNSF_6TensorESK_SK_EERKSK_lbbbEUlllE0_EEPmJS9_EEE10hipError_tPvRmT3_T4_T5_T6_T7_T9_mT8_P12ihipStream_tbDpT10_ENKUlT_T0_E_clISt17integral_constantIbLb0EES19_IbLb1EEEEDaS15_S16_EUlS15_E_NS1_11comp_targetILNS1_3genE9ELNS1_11target_archE1100ELNS1_3gpuE3ELNS1_3repE0EEENS1_30default_config_static_selectorELNS0_4arch9wavefront6targetE0EEEvT1_
	.p2align	8
	.type	_ZN7rocprim17ROCPRIM_400000_NS6detail17trampoline_kernelINS0_14default_configENS1_25partition_config_selectorILNS1_17partition_subalgoE9EllbEEZZNS1_14partition_implILS5_9ELb0ES3_jPlS8_PNS0_10empty_typeENS0_5tupleIJS8_S9_EEENSB_IJS8_SA_EEENS0_18inequality_wrapperIZN2at6native12_GLOBAL__N_124unique_dim_cuda_templateIiEESt5tupleIJNSF_6TensorESK_SK_EERKSK_lbbbEUlllE0_EEPmJS9_EEE10hipError_tPvRmT3_T4_T5_T6_T7_T9_mT8_P12ihipStream_tbDpT10_ENKUlT_T0_E_clISt17integral_constantIbLb0EES19_IbLb1EEEEDaS15_S16_EUlS15_E_NS1_11comp_targetILNS1_3genE9ELNS1_11target_archE1100ELNS1_3gpuE3ELNS1_3repE0EEENS1_30default_config_static_selectorELNS0_4arch9wavefront6targetE0EEEvT1_,@function
_ZN7rocprim17ROCPRIM_400000_NS6detail17trampoline_kernelINS0_14default_configENS1_25partition_config_selectorILNS1_17partition_subalgoE9EllbEEZZNS1_14partition_implILS5_9ELb0ES3_jPlS8_PNS0_10empty_typeENS0_5tupleIJS8_S9_EEENSB_IJS8_SA_EEENS0_18inequality_wrapperIZN2at6native12_GLOBAL__N_124unique_dim_cuda_templateIiEESt5tupleIJNSF_6TensorESK_SK_EERKSK_lbbbEUlllE0_EEPmJS9_EEE10hipError_tPvRmT3_T4_T5_T6_T7_T9_mT8_P12ihipStream_tbDpT10_ENKUlT_T0_E_clISt17integral_constantIbLb0EES19_IbLb1EEEEDaS15_S16_EUlS15_E_NS1_11comp_targetILNS1_3genE9ELNS1_11target_archE1100ELNS1_3gpuE3ELNS1_3repE0EEENS1_30default_config_static_selectorELNS0_4arch9wavefront6targetE0EEEvT1_: ; @_ZN7rocprim17ROCPRIM_400000_NS6detail17trampoline_kernelINS0_14default_configENS1_25partition_config_selectorILNS1_17partition_subalgoE9EllbEEZZNS1_14partition_implILS5_9ELb0ES3_jPlS8_PNS0_10empty_typeENS0_5tupleIJS8_S9_EEENSB_IJS8_SA_EEENS0_18inequality_wrapperIZN2at6native12_GLOBAL__N_124unique_dim_cuda_templateIiEESt5tupleIJNSF_6TensorESK_SK_EERKSK_lbbbEUlllE0_EEPmJS9_EEE10hipError_tPvRmT3_T4_T5_T6_T7_T9_mT8_P12ihipStream_tbDpT10_ENKUlT_T0_E_clISt17integral_constantIbLb0EES19_IbLb1EEEEDaS15_S16_EUlS15_E_NS1_11comp_targetILNS1_3genE9ELNS1_11target_archE1100ELNS1_3gpuE3ELNS1_3repE0EEENS1_30default_config_static_selectorELNS0_4arch9wavefront6targetE0EEEvT1_
; %bb.0:
	.section	.rodata,"a",@progbits
	.p2align	6, 0x0
	.amdhsa_kernel _ZN7rocprim17ROCPRIM_400000_NS6detail17trampoline_kernelINS0_14default_configENS1_25partition_config_selectorILNS1_17partition_subalgoE9EllbEEZZNS1_14partition_implILS5_9ELb0ES3_jPlS8_PNS0_10empty_typeENS0_5tupleIJS8_S9_EEENSB_IJS8_SA_EEENS0_18inequality_wrapperIZN2at6native12_GLOBAL__N_124unique_dim_cuda_templateIiEESt5tupleIJNSF_6TensorESK_SK_EERKSK_lbbbEUlllE0_EEPmJS9_EEE10hipError_tPvRmT3_T4_T5_T6_T7_T9_mT8_P12ihipStream_tbDpT10_ENKUlT_T0_E_clISt17integral_constantIbLb0EES19_IbLb1EEEEDaS15_S16_EUlS15_E_NS1_11comp_targetILNS1_3genE9ELNS1_11target_archE1100ELNS1_3gpuE3ELNS1_3repE0EEENS1_30default_config_static_selectorELNS0_4arch9wavefront6targetE0EEEvT1_
		.amdhsa_group_segment_fixed_size 0
		.amdhsa_private_segment_fixed_size 0
		.amdhsa_kernarg_size 136
		.amdhsa_user_sgpr_count 2
		.amdhsa_user_sgpr_dispatch_ptr 0
		.amdhsa_user_sgpr_queue_ptr 0
		.amdhsa_user_sgpr_kernarg_segment_ptr 1
		.amdhsa_user_sgpr_dispatch_id 0
		.amdhsa_user_sgpr_kernarg_preload_length 0
		.amdhsa_user_sgpr_kernarg_preload_offset 0
		.amdhsa_user_sgpr_private_segment_size 0
		.amdhsa_wavefront_size32 1
		.amdhsa_uses_dynamic_stack 0
		.amdhsa_enable_private_segment 0
		.amdhsa_system_sgpr_workgroup_id_x 1
		.amdhsa_system_sgpr_workgroup_id_y 0
		.amdhsa_system_sgpr_workgroup_id_z 0
		.amdhsa_system_sgpr_workgroup_info 0
		.amdhsa_system_vgpr_workitem_id 0
		.amdhsa_next_free_vgpr 1
		.amdhsa_next_free_sgpr 1
		.amdhsa_named_barrier_count 0
		.amdhsa_reserve_vcc 0
		.amdhsa_float_round_mode_32 0
		.amdhsa_float_round_mode_16_64 0
		.amdhsa_float_denorm_mode_32 3
		.amdhsa_float_denorm_mode_16_64 3
		.amdhsa_fp16_overflow 0
		.amdhsa_memory_ordered 1
		.amdhsa_forward_progress 1
		.amdhsa_inst_pref_size 0
		.amdhsa_round_robin_scheduling 0
		.amdhsa_exception_fp_ieee_invalid_op 0
		.amdhsa_exception_fp_denorm_src 0
		.amdhsa_exception_fp_ieee_div_zero 0
		.amdhsa_exception_fp_ieee_overflow 0
		.amdhsa_exception_fp_ieee_underflow 0
		.amdhsa_exception_fp_ieee_inexact 0
		.amdhsa_exception_int_div_zero 0
	.end_amdhsa_kernel
	.section	.text._ZN7rocprim17ROCPRIM_400000_NS6detail17trampoline_kernelINS0_14default_configENS1_25partition_config_selectorILNS1_17partition_subalgoE9EllbEEZZNS1_14partition_implILS5_9ELb0ES3_jPlS8_PNS0_10empty_typeENS0_5tupleIJS8_S9_EEENSB_IJS8_SA_EEENS0_18inequality_wrapperIZN2at6native12_GLOBAL__N_124unique_dim_cuda_templateIiEESt5tupleIJNSF_6TensorESK_SK_EERKSK_lbbbEUlllE0_EEPmJS9_EEE10hipError_tPvRmT3_T4_T5_T6_T7_T9_mT8_P12ihipStream_tbDpT10_ENKUlT_T0_E_clISt17integral_constantIbLb0EES19_IbLb1EEEEDaS15_S16_EUlS15_E_NS1_11comp_targetILNS1_3genE9ELNS1_11target_archE1100ELNS1_3gpuE3ELNS1_3repE0EEENS1_30default_config_static_selectorELNS0_4arch9wavefront6targetE0EEEvT1_,"axG",@progbits,_ZN7rocprim17ROCPRIM_400000_NS6detail17trampoline_kernelINS0_14default_configENS1_25partition_config_selectorILNS1_17partition_subalgoE9EllbEEZZNS1_14partition_implILS5_9ELb0ES3_jPlS8_PNS0_10empty_typeENS0_5tupleIJS8_S9_EEENSB_IJS8_SA_EEENS0_18inequality_wrapperIZN2at6native12_GLOBAL__N_124unique_dim_cuda_templateIiEESt5tupleIJNSF_6TensorESK_SK_EERKSK_lbbbEUlllE0_EEPmJS9_EEE10hipError_tPvRmT3_T4_T5_T6_T7_T9_mT8_P12ihipStream_tbDpT10_ENKUlT_T0_E_clISt17integral_constantIbLb0EES19_IbLb1EEEEDaS15_S16_EUlS15_E_NS1_11comp_targetILNS1_3genE9ELNS1_11target_archE1100ELNS1_3gpuE3ELNS1_3repE0EEENS1_30default_config_static_selectorELNS0_4arch9wavefront6targetE0EEEvT1_,comdat
.Lfunc_end503:
	.size	_ZN7rocprim17ROCPRIM_400000_NS6detail17trampoline_kernelINS0_14default_configENS1_25partition_config_selectorILNS1_17partition_subalgoE9EllbEEZZNS1_14partition_implILS5_9ELb0ES3_jPlS8_PNS0_10empty_typeENS0_5tupleIJS8_S9_EEENSB_IJS8_SA_EEENS0_18inequality_wrapperIZN2at6native12_GLOBAL__N_124unique_dim_cuda_templateIiEESt5tupleIJNSF_6TensorESK_SK_EERKSK_lbbbEUlllE0_EEPmJS9_EEE10hipError_tPvRmT3_T4_T5_T6_T7_T9_mT8_P12ihipStream_tbDpT10_ENKUlT_T0_E_clISt17integral_constantIbLb0EES19_IbLb1EEEEDaS15_S16_EUlS15_E_NS1_11comp_targetILNS1_3genE9ELNS1_11target_archE1100ELNS1_3gpuE3ELNS1_3repE0EEENS1_30default_config_static_selectorELNS0_4arch9wavefront6targetE0EEEvT1_, .Lfunc_end503-_ZN7rocprim17ROCPRIM_400000_NS6detail17trampoline_kernelINS0_14default_configENS1_25partition_config_selectorILNS1_17partition_subalgoE9EllbEEZZNS1_14partition_implILS5_9ELb0ES3_jPlS8_PNS0_10empty_typeENS0_5tupleIJS8_S9_EEENSB_IJS8_SA_EEENS0_18inequality_wrapperIZN2at6native12_GLOBAL__N_124unique_dim_cuda_templateIiEESt5tupleIJNSF_6TensorESK_SK_EERKSK_lbbbEUlllE0_EEPmJS9_EEE10hipError_tPvRmT3_T4_T5_T6_T7_T9_mT8_P12ihipStream_tbDpT10_ENKUlT_T0_E_clISt17integral_constantIbLb0EES19_IbLb1EEEEDaS15_S16_EUlS15_E_NS1_11comp_targetILNS1_3genE9ELNS1_11target_archE1100ELNS1_3gpuE3ELNS1_3repE0EEENS1_30default_config_static_selectorELNS0_4arch9wavefront6targetE0EEEvT1_
                                        ; -- End function
	.set _ZN7rocprim17ROCPRIM_400000_NS6detail17trampoline_kernelINS0_14default_configENS1_25partition_config_selectorILNS1_17partition_subalgoE9EllbEEZZNS1_14partition_implILS5_9ELb0ES3_jPlS8_PNS0_10empty_typeENS0_5tupleIJS8_S9_EEENSB_IJS8_SA_EEENS0_18inequality_wrapperIZN2at6native12_GLOBAL__N_124unique_dim_cuda_templateIiEESt5tupleIJNSF_6TensorESK_SK_EERKSK_lbbbEUlllE0_EEPmJS9_EEE10hipError_tPvRmT3_T4_T5_T6_T7_T9_mT8_P12ihipStream_tbDpT10_ENKUlT_T0_E_clISt17integral_constantIbLb0EES19_IbLb1EEEEDaS15_S16_EUlS15_E_NS1_11comp_targetILNS1_3genE9ELNS1_11target_archE1100ELNS1_3gpuE3ELNS1_3repE0EEENS1_30default_config_static_selectorELNS0_4arch9wavefront6targetE0EEEvT1_.num_vgpr, 0
	.set _ZN7rocprim17ROCPRIM_400000_NS6detail17trampoline_kernelINS0_14default_configENS1_25partition_config_selectorILNS1_17partition_subalgoE9EllbEEZZNS1_14partition_implILS5_9ELb0ES3_jPlS8_PNS0_10empty_typeENS0_5tupleIJS8_S9_EEENSB_IJS8_SA_EEENS0_18inequality_wrapperIZN2at6native12_GLOBAL__N_124unique_dim_cuda_templateIiEESt5tupleIJNSF_6TensorESK_SK_EERKSK_lbbbEUlllE0_EEPmJS9_EEE10hipError_tPvRmT3_T4_T5_T6_T7_T9_mT8_P12ihipStream_tbDpT10_ENKUlT_T0_E_clISt17integral_constantIbLb0EES19_IbLb1EEEEDaS15_S16_EUlS15_E_NS1_11comp_targetILNS1_3genE9ELNS1_11target_archE1100ELNS1_3gpuE3ELNS1_3repE0EEENS1_30default_config_static_selectorELNS0_4arch9wavefront6targetE0EEEvT1_.num_agpr, 0
	.set _ZN7rocprim17ROCPRIM_400000_NS6detail17trampoline_kernelINS0_14default_configENS1_25partition_config_selectorILNS1_17partition_subalgoE9EllbEEZZNS1_14partition_implILS5_9ELb0ES3_jPlS8_PNS0_10empty_typeENS0_5tupleIJS8_S9_EEENSB_IJS8_SA_EEENS0_18inequality_wrapperIZN2at6native12_GLOBAL__N_124unique_dim_cuda_templateIiEESt5tupleIJNSF_6TensorESK_SK_EERKSK_lbbbEUlllE0_EEPmJS9_EEE10hipError_tPvRmT3_T4_T5_T6_T7_T9_mT8_P12ihipStream_tbDpT10_ENKUlT_T0_E_clISt17integral_constantIbLb0EES19_IbLb1EEEEDaS15_S16_EUlS15_E_NS1_11comp_targetILNS1_3genE9ELNS1_11target_archE1100ELNS1_3gpuE3ELNS1_3repE0EEENS1_30default_config_static_selectorELNS0_4arch9wavefront6targetE0EEEvT1_.numbered_sgpr, 0
	.set _ZN7rocprim17ROCPRIM_400000_NS6detail17trampoline_kernelINS0_14default_configENS1_25partition_config_selectorILNS1_17partition_subalgoE9EllbEEZZNS1_14partition_implILS5_9ELb0ES3_jPlS8_PNS0_10empty_typeENS0_5tupleIJS8_S9_EEENSB_IJS8_SA_EEENS0_18inequality_wrapperIZN2at6native12_GLOBAL__N_124unique_dim_cuda_templateIiEESt5tupleIJNSF_6TensorESK_SK_EERKSK_lbbbEUlllE0_EEPmJS9_EEE10hipError_tPvRmT3_T4_T5_T6_T7_T9_mT8_P12ihipStream_tbDpT10_ENKUlT_T0_E_clISt17integral_constantIbLb0EES19_IbLb1EEEEDaS15_S16_EUlS15_E_NS1_11comp_targetILNS1_3genE9ELNS1_11target_archE1100ELNS1_3gpuE3ELNS1_3repE0EEENS1_30default_config_static_selectorELNS0_4arch9wavefront6targetE0EEEvT1_.num_named_barrier, 0
	.set _ZN7rocprim17ROCPRIM_400000_NS6detail17trampoline_kernelINS0_14default_configENS1_25partition_config_selectorILNS1_17partition_subalgoE9EllbEEZZNS1_14partition_implILS5_9ELb0ES3_jPlS8_PNS0_10empty_typeENS0_5tupleIJS8_S9_EEENSB_IJS8_SA_EEENS0_18inequality_wrapperIZN2at6native12_GLOBAL__N_124unique_dim_cuda_templateIiEESt5tupleIJNSF_6TensorESK_SK_EERKSK_lbbbEUlllE0_EEPmJS9_EEE10hipError_tPvRmT3_T4_T5_T6_T7_T9_mT8_P12ihipStream_tbDpT10_ENKUlT_T0_E_clISt17integral_constantIbLb0EES19_IbLb1EEEEDaS15_S16_EUlS15_E_NS1_11comp_targetILNS1_3genE9ELNS1_11target_archE1100ELNS1_3gpuE3ELNS1_3repE0EEENS1_30default_config_static_selectorELNS0_4arch9wavefront6targetE0EEEvT1_.private_seg_size, 0
	.set _ZN7rocprim17ROCPRIM_400000_NS6detail17trampoline_kernelINS0_14default_configENS1_25partition_config_selectorILNS1_17partition_subalgoE9EllbEEZZNS1_14partition_implILS5_9ELb0ES3_jPlS8_PNS0_10empty_typeENS0_5tupleIJS8_S9_EEENSB_IJS8_SA_EEENS0_18inequality_wrapperIZN2at6native12_GLOBAL__N_124unique_dim_cuda_templateIiEESt5tupleIJNSF_6TensorESK_SK_EERKSK_lbbbEUlllE0_EEPmJS9_EEE10hipError_tPvRmT3_T4_T5_T6_T7_T9_mT8_P12ihipStream_tbDpT10_ENKUlT_T0_E_clISt17integral_constantIbLb0EES19_IbLb1EEEEDaS15_S16_EUlS15_E_NS1_11comp_targetILNS1_3genE9ELNS1_11target_archE1100ELNS1_3gpuE3ELNS1_3repE0EEENS1_30default_config_static_selectorELNS0_4arch9wavefront6targetE0EEEvT1_.uses_vcc, 0
	.set _ZN7rocprim17ROCPRIM_400000_NS6detail17trampoline_kernelINS0_14default_configENS1_25partition_config_selectorILNS1_17partition_subalgoE9EllbEEZZNS1_14partition_implILS5_9ELb0ES3_jPlS8_PNS0_10empty_typeENS0_5tupleIJS8_S9_EEENSB_IJS8_SA_EEENS0_18inequality_wrapperIZN2at6native12_GLOBAL__N_124unique_dim_cuda_templateIiEESt5tupleIJNSF_6TensorESK_SK_EERKSK_lbbbEUlllE0_EEPmJS9_EEE10hipError_tPvRmT3_T4_T5_T6_T7_T9_mT8_P12ihipStream_tbDpT10_ENKUlT_T0_E_clISt17integral_constantIbLb0EES19_IbLb1EEEEDaS15_S16_EUlS15_E_NS1_11comp_targetILNS1_3genE9ELNS1_11target_archE1100ELNS1_3gpuE3ELNS1_3repE0EEENS1_30default_config_static_selectorELNS0_4arch9wavefront6targetE0EEEvT1_.uses_flat_scratch, 0
	.set _ZN7rocprim17ROCPRIM_400000_NS6detail17trampoline_kernelINS0_14default_configENS1_25partition_config_selectorILNS1_17partition_subalgoE9EllbEEZZNS1_14partition_implILS5_9ELb0ES3_jPlS8_PNS0_10empty_typeENS0_5tupleIJS8_S9_EEENSB_IJS8_SA_EEENS0_18inequality_wrapperIZN2at6native12_GLOBAL__N_124unique_dim_cuda_templateIiEESt5tupleIJNSF_6TensorESK_SK_EERKSK_lbbbEUlllE0_EEPmJS9_EEE10hipError_tPvRmT3_T4_T5_T6_T7_T9_mT8_P12ihipStream_tbDpT10_ENKUlT_T0_E_clISt17integral_constantIbLb0EES19_IbLb1EEEEDaS15_S16_EUlS15_E_NS1_11comp_targetILNS1_3genE9ELNS1_11target_archE1100ELNS1_3gpuE3ELNS1_3repE0EEENS1_30default_config_static_selectorELNS0_4arch9wavefront6targetE0EEEvT1_.has_dyn_sized_stack, 0
	.set _ZN7rocprim17ROCPRIM_400000_NS6detail17trampoline_kernelINS0_14default_configENS1_25partition_config_selectorILNS1_17partition_subalgoE9EllbEEZZNS1_14partition_implILS5_9ELb0ES3_jPlS8_PNS0_10empty_typeENS0_5tupleIJS8_S9_EEENSB_IJS8_SA_EEENS0_18inequality_wrapperIZN2at6native12_GLOBAL__N_124unique_dim_cuda_templateIiEESt5tupleIJNSF_6TensorESK_SK_EERKSK_lbbbEUlllE0_EEPmJS9_EEE10hipError_tPvRmT3_T4_T5_T6_T7_T9_mT8_P12ihipStream_tbDpT10_ENKUlT_T0_E_clISt17integral_constantIbLb0EES19_IbLb1EEEEDaS15_S16_EUlS15_E_NS1_11comp_targetILNS1_3genE9ELNS1_11target_archE1100ELNS1_3gpuE3ELNS1_3repE0EEENS1_30default_config_static_selectorELNS0_4arch9wavefront6targetE0EEEvT1_.has_recursion, 0
	.set _ZN7rocprim17ROCPRIM_400000_NS6detail17trampoline_kernelINS0_14default_configENS1_25partition_config_selectorILNS1_17partition_subalgoE9EllbEEZZNS1_14partition_implILS5_9ELb0ES3_jPlS8_PNS0_10empty_typeENS0_5tupleIJS8_S9_EEENSB_IJS8_SA_EEENS0_18inequality_wrapperIZN2at6native12_GLOBAL__N_124unique_dim_cuda_templateIiEESt5tupleIJNSF_6TensorESK_SK_EERKSK_lbbbEUlllE0_EEPmJS9_EEE10hipError_tPvRmT3_T4_T5_T6_T7_T9_mT8_P12ihipStream_tbDpT10_ENKUlT_T0_E_clISt17integral_constantIbLb0EES19_IbLb1EEEEDaS15_S16_EUlS15_E_NS1_11comp_targetILNS1_3genE9ELNS1_11target_archE1100ELNS1_3gpuE3ELNS1_3repE0EEENS1_30default_config_static_selectorELNS0_4arch9wavefront6targetE0EEEvT1_.has_indirect_call, 0
	.section	.AMDGPU.csdata,"",@progbits
; Kernel info:
; codeLenInByte = 0
; TotalNumSgprs: 0
; NumVgprs: 0
; ScratchSize: 0
; MemoryBound: 0
; FloatMode: 240
; IeeeMode: 1
; LDSByteSize: 0 bytes/workgroup (compile time only)
; SGPRBlocks: 0
; VGPRBlocks: 0
; NumSGPRsForWavesPerEU: 1
; NumVGPRsForWavesPerEU: 1
; NamedBarCnt: 0
; Occupancy: 16
; WaveLimiterHint : 0
; COMPUTE_PGM_RSRC2:SCRATCH_EN: 0
; COMPUTE_PGM_RSRC2:USER_SGPR: 2
; COMPUTE_PGM_RSRC2:TRAP_HANDLER: 0
; COMPUTE_PGM_RSRC2:TGID_X_EN: 1
; COMPUTE_PGM_RSRC2:TGID_Y_EN: 0
; COMPUTE_PGM_RSRC2:TGID_Z_EN: 0
; COMPUTE_PGM_RSRC2:TIDIG_COMP_CNT: 0
	.section	.text._ZN7rocprim17ROCPRIM_400000_NS6detail17trampoline_kernelINS0_14default_configENS1_25partition_config_selectorILNS1_17partition_subalgoE9EllbEEZZNS1_14partition_implILS5_9ELb0ES3_jPlS8_PNS0_10empty_typeENS0_5tupleIJS8_S9_EEENSB_IJS8_SA_EEENS0_18inequality_wrapperIZN2at6native12_GLOBAL__N_124unique_dim_cuda_templateIiEESt5tupleIJNSF_6TensorESK_SK_EERKSK_lbbbEUlllE0_EEPmJS9_EEE10hipError_tPvRmT3_T4_T5_T6_T7_T9_mT8_P12ihipStream_tbDpT10_ENKUlT_T0_E_clISt17integral_constantIbLb0EES19_IbLb1EEEEDaS15_S16_EUlS15_E_NS1_11comp_targetILNS1_3genE8ELNS1_11target_archE1030ELNS1_3gpuE2ELNS1_3repE0EEENS1_30default_config_static_selectorELNS0_4arch9wavefront6targetE0EEEvT1_,"axG",@progbits,_ZN7rocprim17ROCPRIM_400000_NS6detail17trampoline_kernelINS0_14default_configENS1_25partition_config_selectorILNS1_17partition_subalgoE9EllbEEZZNS1_14partition_implILS5_9ELb0ES3_jPlS8_PNS0_10empty_typeENS0_5tupleIJS8_S9_EEENSB_IJS8_SA_EEENS0_18inequality_wrapperIZN2at6native12_GLOBAL__N_124unique_dim_cuda_templateIiEESt5tupleIJNSF_6TensorESK_SK_EERKSK_lbbbEUlllE0_EEPmJS9_EEE10hipError_tPvRmT3_T4_T5_T6_T7_T9_mT8_P12ihipStream_tbDpT10_ENKUlT_T0_E_clISt17integral_constantIbLb0EES19_IbLb1EEEEDaS15_S16_EUlS15_E_NS1_11comp_targetILNS1_3genE8ELNS1_11target_archE1030ELNS1_3gpuE2ELNS1_3repE0EEENS1_30default_config_static_selectorELNS0_4arch9wavefront6targetE0EEEvT1_,comdat
	.globl	_ZN7rocprim17ROCPRIM_400000_NS6detail17trampoline_kernelINS0_14default_configENS1_25partition_config_selectorILNS1_17partition_subalgoE9EllbEEZZNS1_14partition_implILS5_9ELb0ES3_jPlS8_PNS0_10empty_typeENS0_5tupleIJS8_S9_EEENSB_IJS8_SA_EEENS0_18inequality_wrapperIZN2at6native12_GLOBAL__N_124unique_dim_cuda_templateIiEESt5tupleIJNSF_6TensorESK_SK_EERKSK_lbbbEUlllE0_EEPmJS9_EEE10hipError_tPvRmT3_T4_T5_T6_T7_T9_mT8_P12ihipStream_tbDpT10_ENKUlT_T0_E_clISt17integral_constantIbLb0EES19_IbLb1EEEEDaS15_S16_EUlS15_E_NS1_11comp_targetILNS1_3genE8ELNS1_11target_archE1030ELNS1_3gpuE2ELNS1_3repE0EEENS1_30default_config_static_selectorELNS0_4arch9wavefront6targetE0EEEvT1_ ; -- Begin function _ZN7rocprim17ROCPRIM_400000_NS6detail17trampoline_kernelINS0_14default_configENS1_25partition_config_selectorILNS1_17partition_subalgoE9EllbEEZZNS1_14partition_implILS5_9ELb0ES3_jPlS8_PNS0_10empty_typeENS0_5tupleIJS8_S9_EEENSB_IJS8_SA_EEENS0_18inequality_wrapperIZN2at6native12_GLOBAL__N_124unique_dim_cuda_templateIiEESt5tupleIJNSF_6TensorESK_SK_EERKSK_lbbbEUlllE0_EEPmJS9_EEE10hipError_tPvRmT3_T4_T5_T6_T7_T9_mT8_P12ihipStream_tbDpT10_ENKUlT_T0_E_clISt17integral_constantIbLb0EES19_IbLb1EEEEDaS15_S16_EUlS15_E_NS1_11comp_targetILNS1_3genE8ELNS1_11target_archE1030ELNS1_3gpuE2ELNS1_3repE0EEENS1_30default_config_static_selectorELNS0_4arch9wavefront6targetE0EEEvT1_
	.p2align	8
	.type	_ZN7rocprim17ROCPRIM_400000_NS6detail17trampoline_kernelINS0_14default_configENS1_25partition_config_selectorILNS1_17partition_subalgoE9EllbEEZZNS1_14partition_implILS5_9ELb0ES3_jPlS8_PNS0_10empty_typeENS0_5tupleIJS8_S9_EEENSB_IJS8_SA_EEENS0_18inequality_wrapperIZN2at6native12_GLOBAL__N_124unique_dim_cuda_templateIiEESt5tupleIJNSF_6TensorESK_SK_EERKSK_lbbbEUlllE0_EEPmJS9_EEE10hipError_tPvRmT3_T4_T5_T6_T7_T9_mT8_P12ihipStream_tbDpT10_ENKUlT_T0_E_clISt17integral_constantIbLb0EES19_IbLb1EEEEDaS15_S16_EUlS15_E_NS1_11comp_targetILNS1_3genE8ELNS1_11target_archE1030ELNS1_3gpuE2ELNS1_3repE0EEENS1_30default_config_static_selectorELNS0_4arch9wavefront6targetE0EEEvT1_,@function
_ZN7rocprim17ROCPRIM_400000_NS6detail17trampoline_kernelINS0_14default_configENS1_25partition_config_selectorILNS1_17partition_subalgoE9EllbEEZZNS1_14partition_implILS5_9ELb0ES3_jPlS8_PNS0_10empty_typeENS0_5tupleIJS8_S9_EEENSB_IJS8_SA_EEENS0_18inequality_wrapperIZN2at6native12_GLOBAL__N_124unique_dim_cuda_templateIiEESt5tupleIJNSF_6TensorESK_SK_EERKSK_lbbbEUlllE0_EEPmJS9_EEE10hipError_tPvRmT3_T4_T5_T6_T7_T9_mT8_P12ihipStream_tbDpT10_ENKUlT_T0_E_clISt17integral_constantIbLb0EES19_IbLb1EEEEDaS15_S16_EUlS15_E_NS1_11comp_targetILNS1_3genE8ELNS1_11target_archE1030ELNS1_3gpuE2ELNS1_3repE0EEENS1_30default_config_static_selectorELNS0_4arch9wavefront6targetE0EEEvT1_: ; @_ZN7rocprim17ROCPRIM_400000_NS6detail17trampoline_kernelINS0_14default_configENS1_25partition_config_selectorILNS1_17partition_subalgoE9EllbEEZZNS1_14partition_implILS5_9ELb0ES3_jPlS8_PNS0_10empty_typeENS0_5tupleIJS8_S9_EEENSB_IJS8_SA_EEENS0_18inequality_wrapperIZN2at6native12_GLOBAL__N_124unique_dim_cuda_templateIiEESt5tupleIJNSF_6TensorESK_SK_EERKSK_lbbbEUlllE0_EEPmJS9_EEE10hipError_tPvRmT3_T4_T5_T6_T7_T9_mT8_P12ihipStream_tbDpT10_ENKUlT_T0_E_clISt17integral_constantIbLb0EES19_IbLb1EEEEDaS15_S16_EUlS15_E_NS1_11comp_targetILNS1_3genE8ELNS1_11target_archE1030ELNS1_3gpuE2ELNS1_3repE0EEENS1_30default_config_static_selectorELNS0_4arch9wavefront6targetE0EEEvT1_
; %bb.0:
	.section	.rodata,"a",@progbits
	.p2align	6, 0x0
	.amdhsa_kernel _ZN7rocprim17ROCPRIM_400000_NS6detail17trampoline_kernelINS0_14default_configENS1_25partition_config_selectorILNS1_17partition_subalgoE9EllbEEZZNS1_14partition_implILS5_9ELb0ES3_jPlS8_PNS0_10empty_typeENS0_5tupleIJS8_S9_EEENSB_IJS8_SA_EEENS0_18inequality_wrapperIZN2at6native12_GLOBAL__N_124unique_dim_cuda_templateIiEESt5tupleIJNSF_6TensorESK_SK_EERKSK_lbbbEUlllE0_EEPmJS9_EEE10hipError_tPvRmT3_T4_T5_T6_T7_T9_mT8_P12ihipStream_tbDpT10_ENKUlT_T0_E_clISt17integral_constantIbLb0EES19_IbLb1EEEEDaS15_S16_EUlS15_E_NS1_11comp_targetILNS1_3genE8ELNS1_11target_archE1030ELNS1_3gpuE2ELNS1_3repE0EEENS1_30default_config_static_selectorELNS0_4arch9wavefront6targetE0EEEvT1_
		.amdhsa_group_segment_fixed_size 0
		.amdhsa_private_segment_fixed_size 0
		.amdhsa_kernarg_size 136
		.amdhsa_user_sgpr_count 2
		.amdhsa_user_sgpr_dispatch_ptr 0
		.amdhsa_user_sgpr_queue_ptr 0
		.amdhsa_user_sgpr_kernarg_segment_ptr 1
		.amdhsa_user_sgpr_dispatch_id 0
		.amdhsa_user_sgpr_kernarg_preload_length 0
		.amdhsa_user_sgpr_kernarg_preload_offset 0
		.amdhsa_user_sgpr_private_segment_size 0
		.amdhsa_wavefront_size32 1
		.amdhsa_uses_dynamic_stack 0
		.amdhsa_enable_private_segment 0
		.amdhsa_system_sgpr_workgroup_id_x 1
		.amdhsa_system_sgpr_workgroup_id_y 0
		.amdhsa_system_sgpr_workgroup_id_z 0
		.amdhsa_system_sgpr_workgroup_info 0
		.amdhsa_system_vgpr_workitem_id 0
		.amdhsa_next_free_vgpr 1
		.amdhsa_next_free_sgpr 1
		.amdhsa_named_barrier_count 0
		.amdhsa_reserve_vcc 0
		.amdhsa_float_round_mode_32 0
		.amdhsa_float_round_mode_16_64 0
		.amdhsa_float_denorm_mode_32 3
		.amdhsa_float_denorm_mode_16_64 3
		.amdhsa_fp16_overflow 0
		.amdhsa_memory_ordered 1
		.amdhsa_forward_progress 1
		.amdhsa_inst_pref_size 0
		.amdhsa_round_robin_scheduling 0
		.amdhsa_exception_fp_ieee_invalid_op 0
		.amdhsa_exception_fp_denorm_src 0
		.amdhsa_exception_fp_ieee_div_zero 0
		.amdhsa_exception_fp_ieee_overflow 0
		.amdhsa_exception_fp_ieee_underflow 0
		.amdhsa_exception_fp_ieee_inexact 0
		.amdhsa_exception_int_div_zero 0
	.end_amdhsa_kernel
	.section	.text._ZN7rocprim17ROCPRIM_400000_NS6detail17trampoline_kernelINS0_14default_configENS1_25partition_config_selectorILNS1_17partition_subalgoE9EllbEEZZNS1_14partition_implILS5_9ELb0ES3_jPlS8_PNS0_10empty_typeENS0_5tupleIJS8_S9_EEENSB_IJS8_SA_EEENS0_18inequality_wrapperIZN2at6native12_GLOBAL__N_124unique_dim_cuda_templateIiEESt5tupleIJNSF_6TensorESK_SK_EERKSK_lbbbEUlllE0_EEPmJS9_EEE10hipError_tPvRmT3_T4_T5_T6_T7_T9_mT8_P12ihipStream_tbDpT10_ENKUlT_T0_E_clISt17integral_constantIbLb0EES19_IbLb1EEEEDaS15_S16_EUlS15_E_NS1_11comp_targetILNS1_3genE8ELNS1_11target_archE1030ELNS1_3gpuE2ELNS1_3repE0EEENS1_30default_config_static_selectorELNS0_4arch9wavefront6targetE0EEEvT1_,"axG",@progbits,_ZN7rocprim17ROCPRIM_400000_NS6detail17trampoline_kernelINS0_14default_configENS1_25partition_config_selectorILNS1_17partition_subalgoE9EllbEEZZNS1_14partition_implILS5_9ELb0ES3_jPlS8_PNS0_10empty_typeENS0_5tupleIJS8_S9_EEENSB_IJS8_SA_EEENS0_18inequality_wrapperIZN2at6native12_GLOBAL__N_124unique_dim_cuda_templateIiEESt5tupleIJNSF_6TensorESK_SK_EERKSK_lbbbEUlllE0_EEPmJS9_EEE10hipError_tPvRmT3_T4_T5_T6_T7_T9_mT8_P12ihipStream_tbDpT10_ENKUlT_T0_E_clISt17integral_constantIbLb0EES19_IbLb1EEEEDaS15_S16_EUlS15_E_NS1_11comp_targetILNS1_3genE8ELNS1_11target_archE1030ELNS1_3gpuE2ELNS1_3repE0EEENS1_30default_config_static_selectorELNS0_4arch9wavefront6targetE0EEEvT1_,comdat
.Lfunc_end504:
	.size	_ZN7rocprim17ROCPRIM_400000_NS6detail17trampoline_kernelINS0_14default_configENS1_25partition_config_selectorILNS1_17partition_subalgoE9EllbEEZZNS1_14partition_implILS5_9ELb0ES3_jPlS8_PNS0_10empty_typeENS0_5tupleIJS8_S9_EEENSB_IJS8_SA_EEENS0_18inequality_wrapperIZN2at6native12_GLOBAL__N_124unique_dim_cuda_templateIiEESt5tupleIJNSF_6TensorESK_SK_EERKSK_lbbbEUlllE0_EEPmJS9_EEE10hipError_tPvRmT3_T4_T5_T6_T7_T9_mT8_P12ihipStream_tbDpT10_ENKUlT_T0_E_clISt17integral_constantIbLb0EES19_IbLb1EEEEDaS15_S16_EUlS15_E_NS1_11comp_targetILNS1_3genE8ELNS1_11target_archE1030ELNS1_3gpuE2ELNS1_3repE0EEENS1_30default_config_static_selectorELNS0_4arch9wavefront6targetE0EEEvT1_, .Lfunc_end504-_ZN7rocprim17ROCPRIM_400000_NS6detail17trampoline_kernelINS0_14default_configENS1_25partition_config_selectorILNS1_17partition_subalgoE9EllbEEZZNS1_14partition_implILS5_9ELb0ES3_jPlS8_PNS0_10empty_typeENS0_5tupleIJS8_S9_EEENSB_IJS8_SA_EEENS0_18inequality_wrapperIZN2at6native12_GLOBAL__N_124unique_dim_cuda_templateIiEESt5tupleIJNSF_6TensorESK_SK_EERKSK_lbbbEUlllE0_EEPmJS9_EEE10hipError_tPvRmT3_T4_T5_T6_T7_T9_mT8_P12ihipStream_tbDpT10_ENKUlT_T0_E_clISt17integral_constantIbLb0EES19_IbLb1EEEEDaS15_S16_EUlS15_E_NS1_11comp_targetILNS1_3genE8ELNS1_11target_archE1030ELNS1_3gpuE2ELNS1_3repE0EEENS1_30default_config_static_selectorELNS0_4arch9wavefront6targetE0EEEvT1_
                                        ; -- End function
	.set _ZN7rocprim17ROCPRIM_400000_NS6detail17trampoline_kernelINS0_14default_configENS1_25partition_config_selectorILNS1_17partition_subalgoE9EllbEEZZNS1_14partition_implILS5_9ELb0ES3_jPlS8_PNS0_10empty_typeENS0_5tupleIJS8_S9_EEENSB_IJS8_SA_EEENS0_18inequality_wrapperIZN2at6native12_GLOBAL__N_124unique_dim_cuda_templateIiEESt5tupleIJNSF_6TensorESK_SK_EERKSK_lbbbEUlllE0_EEPmJS9_EEE10hipError_tPvRmT3_T4_T5_T6_T7_T9_mT8_P12ihipStream_tbDpT10_ENKUlT_T0_E_clISt17integral_constantIbLb0EES19_IbLb1EEEEDaS15_S16_EUlS15_E_NS1_11comp_targetILNS1_3genE8ELNS1_11target_archE1030ELNS1_3gpuE2ELNS1_3repE0EEENS1_30default_config_static_selectorELNS0_4arch9wavefront6targetE0EEEvT1_.num_vgpr, 0
	.set _ZN7rocprim17ROCPRIM_400000_NS6detail17trampoline_kernelINS0_14default_configENS1_25partition_config_selectorILNS1_17partition_subalgoE9EllbEEZZNS1_14partition_implILS5_9ELb0ES3_jPlS8_PNS0_10empty_typeENS0_5tupleIJS8_S9_EEENSB_IJS8_SA_EEENS0_18inequality_wrapperIZN2at6native12_GLOBAL__N_124unique_dim_cuda_templateIiEESt5tupleIJNSF_6TensorESK_SK_EERKSK_lbbbEUlllE0_EEPmJS9_EEE10hipError_tPvRmT3_T4_T5_T6_T7_T9_mT8_P12ihipStream_tbDpT10_ENKUlT_T0_E_clISt17integral_constantIbLb0EES19_IbLb1EEEEDaS15_S16_EUlS15_E_NS1_11comp_targetILNS1_3genE8ELNS1_11target_archE1030ELNS1_3gpuE2ELNS1_3repE0EEENS1_30default_config_static_selectorELNS0_4arch9wavefront6targetE0EEEvT1_.num_agpr, 0
	.set _ZN7rocprim17ROCPRIM_400000_NS6detail17trampoline_kernelINS0_14default_configENS1_25partition_config_selectorILNS1_17partition_subalgoE9EllbEEZZNS1_14partition_implILS5_9ELb0ES3_jPlS8_PNS0_10empty_typeENS0_5tupleIJS8_S9_EEENSB_IJS8_SA_EEENS0_18inequality_wrapperIZN2at6native12_GLOBAL__N_124unique_dim_cuda_templateIiEESt5tupleIJNSF_6TensorESK_SK_EERKSK_lbbbEUlllE0_EEPmJS9_EEE10hipError_tPvRmT3_T4_T5_T6_T7_T9_mT8_P12ihipStream_tbDpT10_ENKUlT_T0_E_clISt17integral_constantIbLb0EES19_IbLb1EEEEDaS15_S16_EUlS15_E_NS1_11comp_targetILNS1_3genE8ELNS1_11target_archE1030ELNS1_3gpuE2ELNS1_3repE0EEENS1_30default_config_static_selectorELNS0_4arch9wavefront6targetE0EEEvT1_.numbered_sgpr, 0
	.set _ZN7rocprim17ROCPRIM_400000_NS6detail17trampoline_kernelINS0_14default_configENS1_25partition_config_selectorILNS1_17partition_subalgoE9EllbEEZZNS1_14partition_implILS5_9ELb0ES3_jPlS8_PNS0_10empty_typeENS0_5tupleIJS8_S9_EEENSB_IJS8_SA_EEENS0_18inequality_wrapperIZN2at6native12_GLOBAL__N_124unique_dim_cuda_templateIiEESt5tupleIJNSF_6TensorESK_SK_EERKSK_lbbbEUlllE0_EEPmJS9_EEE10hipError_tPvRmT3_T4_T5_T6_T7_T9_mT8_P12ihipStream_tbDpT10_ENKUlT_T0_E_clISt17integral_constantIbLb0EES19_IbLb1EEEEDaS15_S16_EUlS15_E_NS1_11comp_targetILNS1_3genE8ELNS1_11target_archE1030ELNS1_3gpuE2ELNS1_3repE0EEENS1_30default_config_static_selectorELNS0_4arch9wavefront6targetE0EEEvT1_.num_named_barrier, 0
	.set _ZN7rocprim17ROCPRIM_400000_NS6detail17trampoline_kernelINS0_14default_configENS1_25partition_config_selectorILNS1_17partition_subalgoE9EllbEEZZNS1_14partition_implILS5_9ELb0ES3_jPlS8_PNS0_10empty_typeENS0_5tupleIJS8_S9_EEENSB_IJS8_SA_EEENS0_18inequality_wrapperIZN2at6native12_GLOBAL__N_124unique_dim_cuda_templateIiEESt5tupleIJNSF_6TensorESK_SK_EERKSK_lbbbEUlllE0_EEPmJS9_EEE10hipError_tPvRmT3_T4_T5_T6_T7_T9_mT8_P12ihipStream_tbDpT10_ENKUlT_T0_E_clISt17integral_constantIbLb0EES19_IbLb1EEEEDaS15_S16_EUlS15_E_NS1_11comp_targetILNS1_3genE8ELNS1_11target_archE1030ELNS1_3gpuE2ELNS1_3repE0EEENS1_30default_config_static_selectorELNS0_4arch9wavefront6targetE0EEEvT1_.private_seg_size, 0
	.set _ZN7rocprim17ROCPRIM_400000_NS6detail17trampoline_kernelINS0_14default_configENS1_25partition_config_selectorILNS1_17partition_subalgoE9EllbEEZZNS1_14partition_implILS5_9ELb0ES3_jPlS8_PNS0_10empty_typeENS0_5tupleIJS8_S9_EEENSB_IJS8_SA_EEENS0_18inequality_wrapperIZN2at6native12_GLOBAL__N_124unique_dim_cuda_templateIiEESt5tupleIJNSF_6TensorESK_SK_EERKSK_lbbbEUlllE0_EEPmJS9_EEE10hipError_tPvRmT3_T4_T5_T6_T7_T9_mT8_P12ihipStream_tbDpT10_ENKUlT_T0_E_clISt17integral_constantIbLb0EES19_IbLb1EEEEDaS15_S16_EUlS15_E_NS1_11comp_targetILNS1_3genE8ELNS1_11target_archE1030ELNS1_3gpuE2ELNS1_3repE0EEENS1_30default_config_static_selectorELNS0_4arch9wavefront6targetE0EEEvT1_.uses_vcc, 0
	.set _ZN7rocprim17ROCPRIM_400000_NS6detail17trampoline_kernelINS0_14default_configENS1_25partition_config_selectorILNS1_17partition_subalgoE9EllbEEZZNS1_14partition_implILS5_9ELb0ES3_jPlS8_PNS0_10empty_typeENS0_5tupleIJS8_S9_EEENSB_IJS8_SA_EEENS0_18inequality_wrapperIZN2at6native12_GLOBAL__N_124unique_dim_cuda_templateIiEESt5tupleIJNSF_6TensorESK_SK_EERKSK_lbbbEUlllE0_EEPmJS9_EEE10hipError_tPvRmT3_T4_T5_T6_T7_T9_mT8_P12ihipStream_tbDpT10_ENKUlT_T0_E_clISt17integral_constantIbLb0EES19_IbLb1EEEEDaS15_S16_EUlS15_E_NS1_11comp_targetILNS1_3genE8ELNS1_11target_archE1030ELNS1_3gpuE2ELNS1_3repE0EEENS1_30default_config_static_selectorELNS0_4arch9wavefront6targetE0EEEvT1_.uses_flat_scratch, 0
	.set _ZN7rocprim17ROCPRIM_400000_NS6detail17trampoline_kernelINS0_14default_configENS1_25partition_config_selectorILNS1_17partition_subalgoE9EllbEEZZNS1_14partition_implILS5_9ELb0ES3_jPlS8_PNS0_10empty_typeENS0_5tupleIJS8_S9_EEENSB_IJS8_SA_EEENS0_18inequality_wrapperIZN2at6native12_GLOBAL__N_124unique_dim_cuda_templateIiEESt5tupleIJNSF_6TensorESK_SK_EERKSK_lbbbEUlllE0_EEPmJS9_EEE10hipError_tPvRmT3_T4_T5_T6_T7_T9_mT8_P12ihipStream_tbDpT10_ENKUlT_T0_E_clISt17integral_constantIbLb0EES19_IbLb1EEEEDaS15_S16_EUlS15_E_NS1_11comp_targetILNS1_3genE8ELNS1_11target_archE1030ELNS1_3gpuE2ELNS1_3repE0EEENS1_30default_config_static_selectorELNS0_4arch9wavefront6targetE0EEEvT1_.has_dyn_sized_stack, 0
	.set _ZN7rocprim17ROCPRIM_400000_NS6detail17trampoline_kernelINS0_14default_configENS1_25partition_config_selectorILNS1_17partition_subalgoE9EllbEEZZNS1_14partition_implILS5_9ELb0ES3_jPlS8_PNS0_10empty_typeENS0_5tupleIJS8_S9_EEENSB_IJS8_SA_EEENS0_18inequality_wrapperIZN2at6native12_GLOBAL__N_124unique_dim_cuda_templateIiEESt5tupleIJNSF_6TensorESK_SK_EERKSK_lbbbEUlllE0_EEPmJS9_EEE10hipError_tPvRmT3_T4_T5_T6_T7_T9_mT8_P12ihipStream_tbDpT10_ENKUlT_T0_E_clISt17integral_constantIbLb0EES19_IbLb1EEEEDaS15_S16_EUlS15_E_NS1_11comp_targetILNS1_3genE8ELNS1_11target_archE1030ELNS1_3gpuE2ELNS1_3repE0EEENS1_30default_config_static_selectorELNS0_4arch9wavefront6targetE0EEEvT1_.has_recursion, 0
	.set _ZN7rocprim17ROCPRIM_400000_NS6detail17trampoline_kernelINS0_14default_configENS1_25partition_config_selectorILNS1_17partition_subalgoE9EllbEEZZNS1_14partition_implILS5_9ELb0ES3_jPlS8_PNS0_10empty_typeENS0_5tupleIJS8_S9_EEENSB_IJS8_SA_EEENS0_18inequality_wrapperIZN2at6native12_GLOBAL__N_124unique_dim_cuda_templateIiEESt5tupleIJNSF_6TensorESK_SK_EERKSK_lbbbEUlllE0_EEPmJS9_EEE10hipError_tPvRmT3_T4_T5_T6_T7_T9_mT8_P12ihipStream_tbDpT10_ENKUlT_T0_E_clISt17integral_constantIbLb0EES19_IbLb1EEEEDaS15_S16_EUlS15_E_NS1_11comp_targetILNS1_3genE8ELNS1_11target_archE1030ELNS1_3gpuE2ELNS1_3repE0EEENS1_30default_config_static_selectorELNS0_4arch9wavefront6targetE0EEEvT1_.has_indirect_call, 0
	.section	.AMDGPU.csdata,"",@progbits
; Kernel info:
; codeLenInByte = 0
; TotalNumSgprs: 0
; NumVgprs: 0
; ScratchSize: 0
; MemoryBound: 0
; FloatMode: 240
; IeeeMode: 1
; LDSByteSize: 0 bytes/workgroup (compile time only)
; SGPRBlocks: 0
; VGPRBlocks: 0
; NumSGPRsForWavesPerEU: 1
; NumVGPRsForWavesPerEU: 1
; NamedBarCnt: 0
; Occupancy: 16
; WaveLimiterHint : 0
; COMPUTE_PGM_RSRC2:SCRATCH_EN: 0
; COMPUTE_PGM_RSRC2:USER_SGPR: 2
; COMPUTE_PGM_RSRC2:TRAP_HANDLER: 0
; COMPUTE_PGM_RSRC2:TGID_X_EN: 1
; COMPUTE_PGM_RSRC2:TGID_Y_EN: 0
; COMPUTE_PGM_RSRC2:TGID_Z_EN: 0
; COMPUTE_PGM_RSRC2:TIDIG_COMP_CNT: 0
	.section	.text._ZN7rocprim17ROCPRIM_400000_NS6detail17trampoline_kernelINS0_14default_configENS1_37merge_sort_block_sort_config_selectorIlNS0_10empty_typeEEEZNS1_21merge_sort_block_sortIS3_PlS8_PS5_S9_ZN2at6native12_GLOBAL__N_124unique_dim_cuda_templateIlEESt5tupleIJNSA_6TensorESF_SF_EERKSF_lbbbEUlllE_EE10hipError_tT0_T1_T2_T3_mRjT4_P12ihipStream_tbNS1_7vsmem_tEEUlT_E_NS1_11comp_targetILNS1_3genE0ELNS1_11target_archE4294967295ELNS1_3gpuE0ELNS1_3repE0EEENS1_30default_config_static_selectorELNS0_4arch9wavefront6targetE0EEEvSM_,"axG",@progbits,_ZN7rocprim17ROCPRIM_400000_NS6detail17trampoline_kernelINS0_14default_configENS1_37merge_sort_block_sort_config_selectorIlNS0_10empty_typeEEEZNS1_21merge_sort_block_sortIS3_PlS8_PS5_S9_ZN2at6native12_GLOBAL__N_124unique_dim_cuda_templateIlEESt5tupleIJNSA_6TensorESF_SF_EERKSF_lbbbEUlllE_EE10hipError_tT0_T1_T2_T3_mRjT4_P12ihipStream_tbNS1_7vsmem_tEEUlT_E_NS1_11comp_targetILNS1_3genE0ELNS1_11target_archE4294967295ELNS1_3gpuE0ELNS1_3repE0EEENS1_30default_config_static_selectorELNS0_4arch9wavefront6targetE0EEEvSM_,comdat
	.globl	_ZN7rocprim17ROCPRIM_400000_NS6detail17trampoline_kernelINS0_14default_configENS1_37merge_sort_block_sort_config_selectorIlNS0_10empty_typeEEEZNS1_21merge_sort_block_sortIS3_PlS8_PS5_S9_ZN2at6native12_GLOBAL__N_124unique_dim_cuda_templateIlEESt5tupleIJNSA_6TensorESF_SF_EERKSF_lbbbEUlllE_EE10hipError_tT0_T1_T2_T3_mRjT4_P12ihipStream_tbNS1_7vsmem_tEEUlT_E_NS1_11comp_targetILNS1_3genE0ELNS1_11target_archE4294967295ELNS1_3gpuE0ELNS1_3repE0EEENS1_30default_config_static_selectorELNS0_4arch9wavefront6targetE0EEEvSM_ ; -- Begin function _ZN7rocprim17ROCPRIM_400000_NS6detail17trampoline_kernelINS0_14default_configENS1_37merge_sort_block_sort_config_selectorIlNS0_10empty_typeEEEZNS1_21merge_sort_block_sortIS3_PlS8_PS5_S9_ZN2at6native12_GLOBAL__N_124unique_dim_cuda_templateIlEESt5tupleIJNSA_6TensorESF_SF_EERKSF_lbbbEUlllE_EE10hipError_tT0_T1_T2_T3_mRjT4_P12ihipStream_tbNS1_7vsmem_tEEUlT_E_NS1_11comp_targetILNS1_3genE0ELNS1_11target_archE4294967295ELNS1_3gpuE0ELNS1_3repE0EEENS1_30default_config_static_selectorELNS0_4arch9wavefront6targetE0EEEvSM_
	.p2align	8
	.type	_ZN7rocprim17ROCPRIM_400000_NS6detail17trampoline_kernelINS0_14default_configENS1_37merge_sort_block_sort_config_selectorIlNS0_10empty_typeEEEZNS1_21merge_sort_block_sortIS3_PlS8_PS5_S9_ZN2at6native12_GLOBAL__N_124unique_dim_cuda_templateIlEESt5tupleIJNSA_6TensorESF_SF_EERKSF_lbbbEUlllE_EE10hipError_tT0_T1_T2_T3_mRjT4_P12ihipStream_tbNS1_7vsmem_tEEUlT_E_NS1_11comp_targetILNS1_3genE0ELNS1_11target_archE4294967295ELNS1_3gpuE0ELNS1_3repE0EEENS1_30default_config_static_selectorELNS0_4arch9wavefront6targetE0EEEvSM_,@function
_ZN7rocprim17ROCPRIM_400000_NS6detail17trampoline_kernelINS0_14default_configENS1_37merge_sort_block_sort_config_selectorIlNS0_10empty_typeEEEZNS1_21merge_sort_block_sortIS3_PlS8_PS5_S9_ZN2at6native12_GLOBAL__N_124unique_dim_cuda_templateIlEESt5tupleIJNSA_6TensorESF_SF_EERKSF_lbbbEUlllE_EE10hipError_tT0_T1_T2_T3_mRjT4_P12ihipStream_tbNS1_7vsmem_tEEUlT_E_NS1_11comp_targetILNS1_3genE0ELNS1_11target_archE4294967295ELNS1_3gpuE0ELNS1_3repE0EEENS1_30default_config_static_selectorELNS0_4arch9wavefront6targetE0EEEvSM_: ; @_ZN7rocprim17ROCPRIM_400000_NS6detail17trampoline_kernelINS0_14default_configENS1_37merge_sort_block_sort_config_selectorIlNS0_10empty_typeEEEZNS1_21merge_sort_block_sortIS3_PlS8_PS5_S9_ZN2at6native12_GLOBAL__N_124unique_dim_cuda_templateIlEESt5tupleIJNSA_6TensorESF_SF_EERKSF_lbbbEUlllE_EE10hipError_tT0_T1_T2_T3_mRjT4_P12ihipStream_tbNS1_7vsmem_tEEUlT_E_NS1_11comp_targetILNS1_3genE0ELNS1_11target_archE4294967295ELNS1_3gpuE0ELNS1_3repE0EEENS1_30default_config_static_selectorELNS0_4arch9wavefront6targetE0EEEvSM_
; %bb.0:
	s_clause 0x1
	s_load_b32 s4, s[0:1], 0x0
	s_load_b64 s[8:9], s[0:1], 0x48
	s_bfe_u32 s2, ttmp6, 0x40010
	s_and_b32 s3, ttmp7, 0xffff
	s_add_co_i32 s2, s2, 1
	s_bfe_u32 s6, ttmp6, 0x4000c
	s_mul_i32 s2, s3, s2
	s_bfe_u32 s5, ttmp6, 0x40004
	s_add_co_i32 s6, s6, 1
	s_bfe_u32 s7, ttmp6, 0x40014
	s_add_co_i32 s5, s5, s2
	s_and_b32 s2, ttmp6, 15
	s_mul_i32 s6, ttmp9, s6
	s_lshr_b32 s10, ttmp7, 16
	s_add_co_i32 s7, s7, 1
	s_add_co_i32 s2, s2, s6
	s_mul_i32 s6, s10, s7
	s_bfe_u32 s7, ttmp6, 0x40008
	s_getreg_b32 s11, hwreg(HW_REG_IB_STS2, 6, 4)
	s_add_co_i32 s7, s7, s6
	s_cmp_eq_u32 s11, 0
	s_cselect_b32 s6, s10, s7
	s_cselect_b32 s3, s3, s5
	s_wait_kmcnt 0x0
	s_mul_i32 s6, s9, s6
	s_cselect_b32 s9, ttmp9, s2
	s_add_co_i32 s2, s6, s3
	s_mov_b32 s3, 0
	s_mul_i32 s2, s2, s8
	s_delay_alu instid0(SALU_CYCLE_1) | instskip(NEXT) | instid1(SALU_CYCLE_1)
	s_add_co_i32 s2, s2, s9
	s_cmp_ge_u32 s2, s4
	s_cbranch_scc1 .LBB505_1486
; %bb.1:
	s_clause 0x2
	s_load_b64 s[4:5], s[0:1], 0x8
	s_load_b128 s[12:15], s[0:1], 0x18
	s_load_b128 s[16:19], s[0:1], 0x38
	v_and_b32_e32 v18, 0x3ff, v0
	s_add_nc_u64 s[10:11], s[0:1], 0x48
	s_wait_xcnt 0x0
	s_lshl_b64 s[0:1], s[2:3], 14
	s_wait_kmcnt 0x0
	s_lshr_b64 s[6:7], s[4:5], 11
	s_add_nc_u64 s[12:13], s[12:13], s[0:1]
	s_cmp_lg_u64 s[6:7], s[2:3]
	s_add_nc_u64 s[20:21], s[14:15], s[0:1]
	s_cbranch_scc0 .LBB505_8
; %bb.2:
	s_clause 0x7
	global_load_b64 v[2:3], v18, s[12:13] scale_offset
	global_load_b64 v[4:5], v18, s[12:13] offset:2048 scale_offset
	global_load_b64 v[6:7], v18, s[12:13] offset:4096 scale_offset
	;; [unrolled: 1-line block ×7, first 2 shown]
	v_dual_lshrrev_b32 v19, 2, v18 :: v_dual_lshlrev_b32 v1, 3, v18
	v_add_nc_u32_e32 v20, 0x100, v18
	v_add_nc_u32_e32 v21, 0x200, v18
	;; [unrolled: 1-line block ×3, first 2 shown]
	v_or_b32_e32 v23, 0x400, v18
	v_add_nc_u32_e32 v24, 0x500, v18
	v_add_nc_u32_e32 v25, 0x600, v18
	;; [unrolled: 1-line block ×3, first 2 shown]
	v_dual_lshlrev_b32 v27, 1, v18 :: v_dual_lshrrev_b32 v20, 2, v20
	v_and_b32_e32 v19, 0xf8, v19
	v_dual_lshrrev_b32 v21, 2, v21 :: v_dual_lshrrev_b32 v22, 2, v22
	v_dual_lshrrev_b32 v23, 2, v23 :: v_dual_lshrrev_b32 v24, 2, v24
	;; [unrolled: 1-line block ×3, first 2 shown]
	v_and_b32_e32 v27, 0x7f8, v27
	v_add_nc_u32_e32 v36, v19, v1
	v_and_b32_e32 v19, 0x1f8, v20
	v_and_b32_e32 v20, 0x1f8, v21
	;; [unrolled: 1-line block ×7, first 2 shown]
	v_lshl_add_u32 v44, v18, 6, v27
	v_dual_add_nc_u32 v37, v19, v1 :: v_dual_add_nc_u32 v38, v20, v1
	v_add_nc_u32_e32 v39, v21, v1
	s_cmp_lt_u32 s9, s8
	v_dual_add_nc_u32 v40, v22, v1 :: v_dual_add_nc_u32 v41, v23, v1
	v_dual_add_nc_u32 v42, v24, v1 :: v_dual_add_nc_u32 v43, v25, v1
	s_mov_b32 s1, 0
	s_cselect_b32 s0, 12, 18
	v_bfe_u32 v19, v0, 10, 10
	s_add_nc_u64 s[0:1], s[10:11], s[0:1]
	v_bfe_u32 v20, v0, 20, 10
	v_cmp_gt_i64_e64 s14, s[16:17], 0
	s_wait_loadcnt 0x7
	ds_store_b64 v36, v[2:3]
	s_wait_loadcnt 0x6
	ds_store_b64 v37, v[4:5] offset:2048
	s_wait_loadcnt 0x5
	ds_store_b64 v38, v[6:7] offset:4096
	;; [unrolled: 2-line block ×7, first 2 shown]
	s_wait_dscnt 0x0
	s_barrier_signal -1
	s_barrier_wait -1
	ds_load_2addr_b64 v[14:17], v44 offset1:1
	ds_load_2addr_b64 v[10:13], v44 offset0:2 offset1:3
	ds_load_2addr_b64 v[6:9], v44 offset0:4 offset1:5
	;; [unrolled: 1-line block ×3, first 2 shown]
	s_wait_dscnt 0x0
	s_barrier_signal -1
	s_barrier_wait -1
	s_load_u16 s5, s[10:11], 0xe
	v_cndmask_b32_e64 v45, 0, 1, s14
	s_load_u16 s0, s[0:1], 0x0
	s_wait_kmcnt 0x0
	v_mad_u32_u24 v19, v20, s5, v19
	s_mov_b32 s5, exec_lo
	s_delay_alu instid0(VALU_DEP_1) | instskip(NEXT) | instid1(VALU_DEP_1)
	v_mul_lo_u32 v19, v19, s0
	v_add_lshl_u32 v24, v19, v18, 3
	v_mov_b32_e32 v19, 0
	s_delay_alu instid0(VALU_DEP_2)
	v_cmpx_gt_u32_e32 0x800, v24
	s_cbranch_execz .LBB505_188
; %bb.3:
	s_and_not1_b32 vcc_lo, exec_lo, s14
	s_cbranch_vccnz .LBB505_18
; %bb.4:
	v_mul_u64_e32 v[20:21], s[16:17], v[16:17]
	v_mul_u64_e32 v[22:23], s[16:17], v[14:15]
	s_mov_b32 s22, 0
	s_mov_b64 s[6:7], s[16:17]
                                        ; implicit-def: $sgpr15
                                        ; implicit-def: $sgpr23
                                        ; implicit-def: $sgpr25
                                        ; implicit-def: $sgpr24
                                        ; implicit-def: $sgpr26
	s_delay_alu instid0(VALU_DEP_2) | instskip(NEXT) | instid1(VALU_DEP_2)
	v_lshl_add_u64 v[20:21], v[20:21], 3, s[18:19]
	v_lshl_add_u64 v[22:23], v[22:23], 3, s[18:19]
	s_branch .LBB505_6
.LBB505_5:                              ;   in Loop: Header=BB505_6 Depth=1
	s_or_b32 exec_lo, exec_lo, s27
	s_and_b32 s0, s0, s26
	s_delay_alu instid0(SALU_CYCLE_1) | instskip(SKIP_1) | instid1(SALU_CYCLE_1)
	s_or_b32 s0, vcc_lo, s0
	s_and_b32 s1, exec_lo, s25
	s_or_b32 s22, s1, s22
	s_and_not1_b32 s1, s26, exec_lo
	s_and_b32 s0, s0, exec_lo
	s_and_not1_b32 s23, s23, exec_lo
	s_and_b32 s27, s24, exec_lo
	s_or_b32 s26, s1, s0
	s_and_not1_b32 s1, s15, exec_lo
	s_or_b32 s23, s23, s27
	s_or_b32 s15, s1, s0
	s_and_not1_b32 exec_lo, exec_lo, s22
	s_cbranch_execz .LBB505_9
.LBB505_6:                              ; =>This Inner Loop Header: Depth=1
	global_load_b64 v[26:27], v[20:21], off
	global_load_b64 v[28:29], v[22:23], off
	s_or_b32 s24, s24, exec_lo
	s_or_b32 s25, s25, exec_lo
	s_mov_b32 s27, exec_lo
	s_wait_loadcnt 0x0
	v_cmp_le_i64_e64 s0, v[26:27], v[28:29]
	v_cmp_lt_i64_e32 vcc_lo, v[26:27], v[28:29]
	v_cmpx_eq_u64_e64 v[26:27], v[28:29]
	s_cbranch_execz .LBB505_5
; %bb.7:                                ;   in Loop: Header=BB505_6 Depth=1
	s_add_nc_u64 s[6:7], s[6:7], -1
	v_add_nc_u64_e32 v[20:21], 8, v[20:21]
	s_cmp_eq_u64 s[6:7], 0
	v_add_nc_u64_e32 v[22:23], 8, v[22:23]
	s_cselect_b32 s1, -1, 0
	s_and_not1_b32 s25, s25, exec_lo
	s_and_b32 s1, s1, exec_lo
	s_and_not1_b32 s24, s24, exec_lo
	s_or_b32 s25, s25, s1
	s_branch .LBB505_5
.LBB505_8:
	s_mov_b32 s24, s3
                                        ; implicit-def: $vgpr2_vgpr3
	s_cbranch_execnz .LBB505_698
	s_branch .LBB505_1484
.LBB505_9:
	s_or_b32 exec_lo, exec_lo, s22
	s_and_saveexec_b32 s0, s23
	s_delay_alu instid0(SALU_CYCLE_1)
	s_xor_b32 s0, exec_lo, s0
; %bb.10:
	v_dual_cndmask_b32 v21, v17, v15, s15 :: v_dual_cndmask_b32 v20, v16, v14, s15
	v_dual_cndmask_b32 v15, v15, v17, s15 :: v_dual_cndmask_b32 v14, v14, v16, s15
	s_delay_alu instid0(VALU_DEP_2)
	v_mov_b64_e32 v[16:17], v[20:21]
; %bb.11:
	s_or_b32 exec_lo, exec_lo, s0
	v_mul_u64_e32 v[20:21], s[16:17], v[12:13]
	v_mul_u64_e32 v[22:23], s[16:17], v[10:11]
	s_mov_b32 s22, 0
	s_mov_b64 s[6:7], s[16:17]
                                        ; implicit-def: $sgpr15
                                        ; implicit-def: $sgpr23
                                        ; implicit-def: $sgpr25
                                        ; implicit-def: $sgpr24
                                        ; implicit-def: $sgpr26
	s_delay_alu instid0(VALU_DEP_2) | instskip(NEXT) | instid1(VALU_DEP_2)
	v_lshl_add_u64 v[20:21], v[20:21], 3, s[18:19]
	v_lshl_add_u64 v[22:23], v[22:23], 3, s[18:19]
	s_branch .LBB505_13
.LBB505_12:                             ;   in Loop: Header=BB505_13 Depth=1
	s_or_b32 exec_lo, exec_lo, s27
	s_and_b32 s0, s0, s26
	s_delay_alu instid0(SALU_CYCLE_1) | instskip(SKIP_1) | instid1(SALU_CYCLE_1)
	s_or_b32 s0, vcc_lo, s0
	s_and_b32 s1, exec_lo, s25
	s_or_b32 s22, s1, s22
	s_and_not1_b32 s1, s26, exec_lo
	s_and_b32 s0, s0, exec_lo
	s_and_not1_b32 s23, s23, exec_lo
	s_and_b32 s27, s24, exec_lo
	s_or_b32 s26, s1, s0
	s_and_not1_b32 s1, s15, exec_lo
	s_or_b32 s23, s23, s27
	s_or_b32 s15, s1, s0
	s_and_not1_b32 exec_lo, exec_lo, s22
	s_cbranch_execz .LBB505_15
.LBB505_13:                             ; =>This Inner Loop Header: Depth=1
	global_load_b64 v[26:27], v[20:21], off
	global_load_b64 v[28:29], v[22:23], off
	s_or_b32 s24, s24, exec_lo
	s_or_b32 s25, s25, exec_lo
	s_mov_b32 s27, exec_lo
	s_wait_loadcnt 0x0
	v_cmp_le_i64_e64 s0, v[26:27], v[28:29]
	v_cmp_lt_i64_e32 vcc_lo, v[26:27], v[28:29]
	v_cmpx_eq_u64_e64 v[26:27], v[28:29]
	s_cbranch_execz .LBB505_12
; %bb.14:                               ;   in Loop: Header=BB505_13 Depth=1
	s_add_nc_u64 s[6:7], s[6:7], -1
	v_add_nc_u64_e32 v[20:21], 8, v[20:21]
	s_cmp_eq_u64 s[6:7], 0
	v_add_nc_u64_e32 v[22:23], 8, v[22:23]
	s_cselect_b32 s1, -1, 0
	s_and_not1_b32 s25, s25, exec_lo
	s_and_b32 s1, s1, exec_lo
	s_and_not1_b32 s24, s24, exec_lo
	s_or_b32 s25, s25, s1
	s_branch .LBB505_12
.LBB505_15:
	s_or_b32 exec_lo, exec_lo, s22
	s_and_saveexec_b32 s0, s23
	s_delay_alu instid0(SALU_CYCLE_1)
	s_xor_b32 s0, exec_lo, s0
; %bb.16:
	v_dual_cndmask_b32 v21, v11, v13, s15 :: v_dual_cndmask_b32 v20, v10, v12, s15
	v_dual_cndmask_b32 v13, v13, v11, s15 :: v_dual_cndmask_b32 v12, v12, v10, s15
	s_delay_alu instid0(VALU_DEP_2)
	v_mov_b64_e32 v[10:11], v[20:21]
; %bb.17:
	s_or_b32 exec_lo, exec_lo, s0
.LBB505_18:
	s_delay_alu instid0(SALU_CYCLE_1)
	s_and_not1_b32 vcc_lo, exec_lo, s14
	s_cbranch_vccnz .LBB505_32
; %bb.19:
	v_mul_u64_e32 v[20:21], s[16:17], v[8:9]
	v_mul_u64_e32 v[22:23], s[16:17], v[6:7]
	s_mov_b32 s22, 0
	s_mov_b64 s[6:7], s[16:17]
                                        ; implicit-def: $sgpr15
                                        ; implicit-def: $sgpr23
                                        ; implicit-def: $sgpr25
                                        ; implicit-def: $sgpr24
                                        ; implicit-def: $sgpr26
	s_delay_alu instid0(VALU_DEP_2) | instskip(NEXT) | instid1(VALU_DEP_2)
	v_lshl_add_u64 v[20:21], v[20:21], 3, s[18:19]
	v_lshl_add_u64 v[22:23], v[22:23], 3, s[18:19]
	s_branch .LBB505_21
.LBB505_20:                             ;   in Loop: Header=BB505_21 Depth=1
	s_or_b32 exec_lo, exec_lo, s27
	s_and_b32 s0, s0, s26
	s_delay_alu instid0(SALU_CYCLE_1) | instskip(SKIP_1) | instid1(SALU_CYCLE_1)
	s_or_b32 s0, vcc_lo, s0
	s_and_b32 s1, exec_lo, s25
	s_or_b32 s22, s1, s22
	s_and_not1_b32 s1, s26, exec_lo
	s_and_b32 s0, s0, exec_lo
	s_and_not1_b32 s23, s23, exec_lo
	s_and_b32 s27, s24, exec_lo
	s_or_b32 s26, s1, s0
	s_and_not1_b32 s1, s15, exec_lo
	s_or_b32 s23, s23, s27
	s_or_b32 s15, s1, s0
	s_and_not1_b32 exec_lo, exec_lo, s22
	s_cbranch_execz .LBB505_23
.LBB505_21:                             ; =>This Inner Loop Header: Depth=1
	global_load_b64 v[26:27], v[20:21], off
	global_load_b64 v[28:29], v[22:23], off
	s_or_b32 s24, s24, exec_lo
	s_or_b32 s25, s25, exec_lo
	s_mov_b32 s27, exec_lo
	s_wait_loadcnt 0x0
	v_cmp_le_i64_e64 s0, v[26:27], v[28:29]
	v_cmp_lt_i64_e32 vcc_lo, v[26:27], v[28:29]
	v_cmpx_eq_u64_e64 v[26:27], v[28:29]
	s_cbranch_execz .LBB505_20
; %bb.22:                               ;   in Loop: Header=BB505_21 Depth=1
	s_add_nc_u64 s[6:7], s[6:7], -1
	v_add_nc_u64_e32 v[20:21], 8, v[20:21]
	s_cmp_eq_u64 s[6:7], 0
	v_add_nc_u64_e32 v[22:23], 8, v[22:23]
	s_cselect_b32 s1, -1, 0
	s_and_not1_b32 s25, s25, exec_lo
	s_and_b32 s1, s1, exec_lo
	s_and_not1_b32 s24, s24, exec_lo
	s_or_b32 s25, s25, s1
	s_branch .LBB505_20
.LBB505_23:
	s_or_b32 exec_lo, exec_lo, s22
	s_and_saveexec_b32 s0, s23
	s_delay_alu instid0(SALU_CYCLE_1)
	s_xor_b32 s0, exec_lo, s0
; %bb.24:
	v_dual_cndmask_b32 v21, v7, v9, s15 :: v_dual_cndmask_b32 v20, v6, v8, s15
	v_dual_cndmask_b32 v9, v9, v7, s15 :: v_dual_cndmask_b32 v8, v8, v6, s15
	s_delay_alu instid0(VALU_DEP_2)
	v_mov_b64_e32 v[6:7], v[20:21]
; %bb.25:
	s_or_b32 exec_lo, exec_lo, s0
	v_mul_u64_e32 v[20:21], s[16:17], v[4:5]
	v_mul_u64_e32 v[22:23], s[16:17], v[2:3]
	s_mov_b32 s22, 0
	s_mov_b64 s[6:7], s[16:17]
                                        ; implicit-def: $sgpr15
                                        ; implicit-def: $sgpr23
                                        ; implicit-def: $sgpr25
                                        ; implicit-def: $sgpr24
                                        ; implicit-def: $sgpr26
	s_delay_alu instid0(VALU_DEP_2) | instskip(NEXT) | instid1(VALU_DEP_2)
	v_lshl_add_u64 v[20:21], v[20:21], 3, s[18:19]
	v_lshl_add_u64 v[22:23], v[22:23], 3, s[18:19]
	s_branch .LBB505_27
.LBB505_26:                             ;   in Loop: Header=BB505_27 Depth=1
	s_or_b32 exec_lo, exec_lo, s27
	s_and_b32 s0, s0, s26
	s_delay_alu instid0(SALU_CYCLE_1) | instskip(SKIP_1) | instid1(SALU_CYCLE_1)
	s_or_b32 s0, vcc_lo, s0
	s_and_b32 s1, exec_lo, s25
	s_or_b32 s22, s1, s22
	s_and_not1_b32 s1, s26, exec_lo
	s_and_b32 s0, s0, exec_lo
	s_and_not1_b32 s23, s23, exec_lo
	s_and_b32 s27, s24, exec_lo
	s_or_b32 s26, s1, s0
	s_and_not1_b32 s1, s15, exec_lo
	s_or_b32 s23, s23, s27
	s_or_b32 s15, s1, s0
	s_and_not1_b32 exec_lo, exec_lo, s22
	s_cbranch_execz .LBB505_29
.LBB505_27:                             ; =>This Inner Loop Header: Depth=1
	global_load_b64 v[26:27], v[20:21], off
	global_load_b64 v[28:29], v[22:23], off
	s_or_b32 s24, s24, exec_lo
	s_or_b32 s25, s25, exec_lo
	s_mov_b32 s27, exec_lo
	s_wait_loadcnt 0x0
	v_cmp_le_i64_e64 s0, v[26:27], v[28:29]
	v_cmp_lt_i64_e32 vcc_lo, v[26:27], v[28:29]
	v_cmpx_eq_u64_e64 v[26:27], v[28:29]
	s_cbranch_execz .LBB505_26
; %bb.28:                               ;   in Loop: Header=BB505_27 Depth=1
	s_add_nc_u64 s[6:7], s[6:7], -1
	v_add_nc_u64_e32 v[20:21], 8, v[20:21]
	s_cmp_eq_u64 s[6:7], 0
	v_add_nc_u64_e32 v[22:23], 8, v[22:23]
	s_cselect_b32 s1, -1, 0
	s_and_not1_b32 s25, s25, exec_lo
	s_and_b32 s1, s1, exec_lo
	s_and_not1_b32 s24, s24, exec_lo
	s_or_b32 s25, s25, s1
	s_branch .LBB505_26
.LBB505_29:
	s_or_b32 exec_lo, exec_lo, s22
	s_and_saveexec_b32 s0, s23
	s_delay_alu instid0(SALU_CYCLE_1)
	s_xor_b32 s0, exec_lo, s0
; %bb.30:
	v_dual_cndmask_b32 v21, v3, v5, s15 :: v_dual_cndmask_b32 v20, v2, v4, s15
	v_dual_cndmask_b32 v5, v5, v3, s15 :: v_dual_cndmask_b32 v4, v4, v2, s15
	s_delay_alu instid0(VALU_DEP_2)
	v_mov_b64_e32 v[2:3], v[20:21]
; %bb.31:
	s_or_b32 exec_lo, exec_lo, s0
.LBB505_32:
	s_delay_alu instid0(SALU_CYCLE_1)
	s_and_b32 vcc_lo, exec_lo, s14
	s_cbranch_vccz .LBB505_46
; %bb.33:
	s_delay_alu instid0(VALU_DEP_1) | instskip(SKIP_3) | instid1(VALU_DEP_2)
	v_mul_u64_e32 v[20:21], s[16:17], v[10:11]
	v_mul_u64_e32 v[22:23], s[16:17], v[16:17]
	s_mov_b32 s15, 0
	s_mov_b64 s[6:7], s[16:17]
                                        ; implicit-def: $sgpr14
                                        ; implicit-def: $sgpr22
                                        ; implicit-def: $sgpr24
                                        ; implicit-def: $sgpr23
                                        ; implicit-def: $sgpr25
	v_lshl_add_u64 v[20:21], v[20:21], 3, s[18:19]
	s_delay_alu instid0(VALU_DEP_2)
	v_lshl_add_u64 v[22:23], v[22:23], 3, s[18:19]
	s_branch .LBB505_35
.LBB505_34:                             ;   in Loop: Header=BB505_35 Depth=1
	s_or_b32 exec_lo, exec_lo, s26
	s_and_b32 s0, s0, s25
	s_delay_alu instid0(SALU_CYCLE_1) | instskip(SKIP_1) | instid1(SALU_CYCLE_1)
	s_or_b32 s0, vcc_lo, s0
	s_and_b32 s1, exec_lo, s24
	s_or_b32 s15, s1, s15
	s_and_not1_b32 s1, s25, exec_lo
	s_and_b32 s0, s0, exec_lo
	s_and_not1_b32 s22, s22, exec_lo
	s_and_b32 s26, s23, exec_lo
	s_or_b32 s25, s1, s0
	s_and_not1_b32 s1, s14, exec_lo
	s_or_b32 s22, s22, s26
	s_or_b32 s14, s1, s0
	s_and_not1_b32 exec_lo, exec_lo, s15
	s_cbranch_execz .LBB505_37
.LBB505_35:                             ; =>This Inner Loop Header: Depth=1
	global_load_b64 v[26:27], v[20:21], off
	global_load_b64 v[28:29], v[22:23], off
	s_or_b32 s23, s23, exec_lo
	s_or_b32 s24, s24, exec_lo
	s_mov_b32 s26, exec_lo
	s_wait_loadcnt 0x0
	v_cmp_le_i64_e64 s0, v[26:27], v[28:29]
	v_cmp_lt_i64_e32 vcc_lo, v[26:27], v[28:29]
	v_cmpx_eq_u64_e64 v[26:27], v[28:29]
	s_cbranch_execz .LBB505_34
; %bb.36:                               ;   in Loop: Header=BB505_35 Depth=1
	s_add_nc_u64 s[6:7], s[6:7], -1
	v_add_nc_u64_e32 v[20:21], 8, v[20:21]
	s_cmp_eq_u64 s[6:7], 0
	v_add_nc_u64_e32 v[22:23], 8, v[22:23]
	s_cselect_b32 s1, -1, 0
	s_and_not1_b32 s24, s24, exec_lo
	s_and_b32 s1, s1, exec_lo
	s_and_not1_b32 s23, s23, exec_lo
	s_or_b32 s24, s24, s1
	s_branch .LBB505_34
.LBB505_37:
	s_or_b32 exec_lo, exec_lo, s15
	s_and_saveexec_b32 s0, s22
	s_delay_alu instid0(SALU_CYCLE_1)
	s_xor_b32 s0, exec_lo, s0
; %bb.38:
	v_dual_cndmask_b32 v21, v17, v11, s14 :: v_dual_cndmask_b32 v20, v16, v10, s14
	v_dual_cndmask_b32 v11, v11, v17, s14 :: v_dual_cndmask_b32 v10, v10, v16, s14
	s_delay_alu instid0(VALU_DEP_2)
	v_mov_b64_e32 v[16:17], v[20:21]
; %bb.39:
	s_or_b32 exec_lo, exec_lo, s0
	v_mul_u64_e32 v[20:21], s[16:17], v[6:7]
	v_mul_u64_e32 v[22:23], s[16:17], v[12:13]
	s_mov_b32 s15, 0
	s_mov_b64 s[6:7], s[16:17]
                                        ; implicit-def: $sgpr14
                                        ; implicit-def: $sgpr22
                                        ; implicit-def: $sgpr24
                                        ; implicit-def: $sgpr23
                                        ; implicit-def: $sgpr25
	s_delay_alu instid0(VALU_DEP_2) | instskip(NEXT) | instid1(VALU_DEP_2)
	v_lshl_add_u64 v[20:21], v[20:21], 3, s[18:19]
	v_lshl_add_u64 v[22:23], v[22:23], 3, s[18:19]
	s_branch .LBB505_41
.LBB505_40:                             ;   in Loop: Header=BB505_41 Depth=1
	s_or_b32 exec_lo, exec_lo, s26
	s_and_b32 s0, s0, s25
	s_delay_alu instid0(SALU_CYCLE_1) | instskip(SKIP_1) | instid1(SALU_CYCLE_1)
	s_or_b32 s0, vcc_lo, s0
	s_and_b32 s1, exec_lo, s24
	s_or_b32 s15, s1, s15
	s_and_not1_b32 s1, s25, exec_lo
	s_and_b32 s0, s0, exec_lo
	s_and_not1_b32 s22, s22, exec_lo
	s_and_b32 s26, s23, exec_lo
	s_or_b32 s25, s1, s0
	s_and_not1_b32 s1, s14, exec_lo
	s_or_b32 s22, s22, s26
	s_or_b32 s14, s1, s0
	s_and_not1_b32 exec_lo, exec_lo, s15
	s_cbranch_execz .LBB505_43
.LBB505_41:                             ; =>This Inner Loop Header: Depth=1
	global_load_b64 v[26:27], v[20:21], off
	global_load_b64 v[28:29], v[22:23], off
	s_or_b32 s23, s23, exec_lo
	s_or_b32 s24, s24, exec_lo
	s_mov_b32 s26, exec_lo
	s_wait_loadcnt 0x0
	v_cmp_le_i64_e64 s0, v[26:27], v[28:29]
	v_cmp_lt_i64_e32 vcc_lo, v[26:27], v[28:29]
	v_cmpx_eq_u64_e64 v[26:27], v[28:29]
	s_cbranch_execz .LBB505_40
; %bb.42:                               ;   in Loop: Header=BB505_41 Depth=1
	s_add_nc_u64 s[6:7], s[6:7], -1
	v_add_nc_u64_e32 v[20:21], 8, v[20:21]
	s_cmp_eq_u64 s[6:7], 0
	v_add_nc_u64_e32 v[22:23], 8, v[22:23]
	s_cselect_b32 s1, -1, 0
	s_and_not1_b32 s24, s24, exec_lo
	s_and_b32 s1, s1, exec_lo
	s_and_not1_b32 s23, s23, exec_lo
	s_or_b32 s24, s24, s1
	s_branch .LBB505_40
.LBB505_43:
	s_or_b32 exec_lo, exec_lo, s15
	s_and_saveexec_b32 s0, s22
	s_delay_alu instid0(SALU_CYCLE_1)
	s_xor_b32 s0, exec_lo, s0
; %bb.44:
	v_dual_cndmask_b32 v21, v13, v7, s14 :: v_dual_cndmask_b32 v20, v12, v6, s14
	v_dual_cndmask_b32 v7, v7, v13, s14 :: v_dual_cndmask_b32 v6, v6, v12, s14
	s_delay_alu instid0(VALU_DEP_2)
	v_mov_b64_e32 v[12:13], v[20:21]
; %bb.45:
	s_or_b32 exec_lo, exec_lo, s0
.LBB505_46:
	v_cmp_ne_u32_e32 vcc_lo, 1, v45
	s_cbranch_vccnz .LBB505_72
; %bb.47:
	s_delay_alu instid0(VALU_DEP_2) | instskip(SKIP_3) | instid1(VALU_DEP_2)
	v_mul_u64_e32 v[20:21], s[16:17], v[2:3]
	v_mul_u64_e32 v[22:23], s[16:17], v[8:9]
	s_mov_b32 s15, 0
	s_mov_b64 s[6:7], s[16:17]
                                        ; implicit-def: $sgpr14
                                        ; implicit-def: $sgpr22
                                        ; implicit-def: $sgpr24
                                        ; implicit-def: $sgpr23
                                        ; implicit-def: $sgpr25
	v_lshl_add_u64 v[20:21], v[20:21], 3, s[18:19]
	s_delay_alu instid0(VALU_DEP_2)
	v_lshl_add_u64 v[22:23], v[22:23], 3, s[18:19]
	s_branch .LBB505_49
.LBB505_48:                             ;   in Loop: Header=BB505_49 Depth=1
	s_or_b32 exec_lo, exec_lo, s26
	s_and_b32 s0, s0, s25
	s_delay_alu instid0(SALU_CYCLE_1) | instskip(SKIP_1) | instid1(SALU_CYCLE_1)
	s_or_b32 s0, vcc_lo, s0
	s_and_b32 s1, exec_lo, s24
	s_or_b32 s15, s1, s15
	s_and_not1_b32 s1, s25, exec_lo
	s_and_b32 s0, s0, exec_lo
	s_and_not1_b32 s22, s22, exec_lo
	s_and_b32 s26, s23, exec_lo
	s_or_b32 s25, s1, s0
	s_and_not1_b32 s1, s14, exec_lo
	s_or_b32 s22, s22, s26
	s_or_b32 s14, s1, s0
	s_and_not1_b32 exec_lo, exec_lo, s15
	s_cbranch_execz .LBB505_51
.LBB505_49:                             ; =>This Inner Loop Header: Depth=1
	global_load_b64 v[26:27], v[20:21], off
	global_load_b64 v[28:29], v[22:23], off
	s_or_b32 s23, s23, exec_lo
	s_or_b32 s24, s24, exec_lo
	s_mov_b32 s26, exec_lo
	s_wait_loadcnt 0x0
	v_cmp_le_i64_e64 s0, v[26:27], v[28:29]
	v_cmp_lt_i64_e32 vcc_lo, v[26:27], v[28:29]
	v_cmpx_eq_u64_e64 v[26:27], v[28:29]
	s_cbranch_execz .LBB505_48
; %bb.50:                               ;   in Loop: Header=BB505_49 Depth=1
	s_add_nc_u64 s[6:7], s[6:7], -1
	v_add_nc_u64_e32 v[20:21], 8, v[20:21]
	s_cmp_eq_u64 s[6:7], 0
	v_add_nc_u64_e32 v[22:23], 8, v[22:23]
	s_cselect_b32 s1, -1, 0
	s_and_not1_b32 s24, s24, exec_lo
	s_and_b32 s1, s1, exec_lo
	s_and_not1_b32 s23, s23, exec_lo
	s_or_b32 s24, s24, s1
	s_branch .LBB505_48
.LBB505_51:
	s_or_b32 exec_lo, exec_lo, s15
	s_and_saveexec_b32 s0, s22
	s_delay_alu instid0(SALU_CYCLE_1)
	s_xor_b32 s0, exec_lo, s0
; %bb.52:
	v_dual_cndmask_b32 v21, v9, v3, s14 :: v_dual_cndmask_b32 v20, v8, v2, s14
	v_dual_cndmask_b32 v3, v3, v9, s14 :: v_dual_cndmask_b32 v2, v2, v8, s14
	s_delay_alu instid0(VALU_DEP_2)
	v_mov_b64_e32 v[8:9], v[20:21]
; %bb.53:
	s_or_b32 exec_lo, exec_lo, s0
	v_mul_u64_e32 v[20:21], s[16:17], v[16:17]
	v_mul_u64_e32 v[22:23], s[16:17], v[14:15]
	s_mov_b32 s15, 0
	s_mov_b64 s[6:7], s[16:17]
                                        ; implicit-def: $sgpr14
                                        ; implicit-def: $sgpr22
                                        ; implicit-def: $sgpr24
                                        ; implicit-def: $sgpr23
                                        ; implicit-def: $sgpr25
	s_delay_alu instid0(VALU_DEP_2) | instskip(NEXT) | instid1(VALU_DEP_2)
	v_lshl_add_u64 v[20:21], v[20:21], 3, s[18:19]
	v_lshl_add_u64 v[22:23], v[22:23], 3, s[18:19]
	s_branch .LBB505_55
.LBB505_54:                             ;   in Loop: Header=BB505_55 Depth=1
	s_or_b32 exec_lo, exec_lo, s26
	s_and_b32 s0, s0, s25
	s_delay_alu instid0(SALU_CYCLE_1) | instskip(SKIP_1) | instid1(SALU_CYCLE_1)
	s_or_b32 s0, vcc_lo, s0
	s_and_b32 s1, exec_lo, s24
	s_or_b32 s15, s1, s15
	s_and_not1_b32 s1, s25, exec_lo
	s_and_b32 s0, s0, exec_lo
	s_and_not1_b32 s22, s22, exec_lo
	s_and_b32 s26, s23, exec_lo
	s_or_b32 s25, s1, s0
	s_and_not1_b32 s1, s14, exec_lo
	s_or_b32 s22, s22, s26
	s_or_b32 s14, s1, s0
	s_and_not1_b32 exec_lo, exec_lo, s15
	s_cbranch_execz .LBB505_57
.LBB505_55:                             ; =>This Inner Loop Header: Depth=1
	global_load_b64 v[26:27], v[20:21], off
	global_load_b64 v[28:29], v[22:23], off
	s_or_b32 s23, s23, exec_lo
	s_or_b32 s24, s24, exec_lo
	s_mov_b32 s26, exec_lo
	s_wait_loadcnt 0x0
	v_cmp_le_i64_e64 s0, v[26:27], v[28:29]
	v_cmp_lt_i64_e32 vcc_lo, v[26:27], v[28:29]
	v_cmpx_eq_u64_e64 v[26:27], v[28:29]
	s_cbranch_execz .LBB505_54
; %bb.56:                               ;   in Loop: Header=BB505_55 Depth=1
	s_add_nc_u64 s[6:7], s[6:7], -1
	v_add_nc_u64_e32 v[20:21], 8, v[20:21]
	s_cmp_eq_u64 s[6:7], 0
	v_add_nc_u64_e32 v[22:23], 8, v[22:23]
	s_cselect_b32 s1, -1, 0
	s_and_not1_b32 s24, s24, exec_lo
	s_and_b32 s1, s1, exec_lo
	s_and_not1_b32 s23, s23, exec_lo
	s_or_b32 s24, s24, s1
	s_branch .LBB505_54
.LBB505_57:
	s_or_b32 exec_lo, exec_lo, s15
	s_and_saveexec_b32 s0, s22
	s_delay_alu instid0(SALU_CYCLE_1)
	s_xor_b32 s0, exec_lo, s0
; %bb.58:
	v_dual_cndmask_b32 v21, v17, v15, s14 :: v_dual_cndmask_b32 v20, v16, v14, s14
	v_dual_cndmask_b32 v15, v15, v17, s14 :: v_dual_cndmask_b32 v14, v14, v16, s14
	s_delay_alu instid0(VALU_DEP_2)
	v_mov_b64_e32 v[16:17], v[20:21]
; %bb.59:
	s_or_b32 exec_lo, exec_lo, s0
	v_mul_u64_e32 v[20:21], s[16:17], v[12:13]
	v_mul_u64_e32 v[22:23], s[16:17], v[10:11]
	s_mov_b32 s15, 0
	s_mov_b64 s[6:7], s[16:17]
                                        ; implicit-def: $sgpr14
                                        ; implicit-def: $sgpr22
                                        ; implicit-def: $sgpr24
                                        ; implicit-def: $sgpr23
                                        ; implicit-def: $sgpr25
	s_delay_alu instid0(VALU_DEP_2) | instskip(NEXT) | instid1(VALU_DEP_2)
	v_lshl_add_u64 v[20:21], v[20:21], 3, s[18:19]
	;; [unrolled: 64-line block ×3, first 2 shown]
	v_lshl_add_u64 v[22:23], v[22:23], 3, s[18:19]
	s_branch .LBB505_67
.LBB505_66:                             ;   in Loop: Header=BB505_67 Depth=1
	s_or_b32 exec_lo, exec_lo, s26
	s_and_b32 s0, s0, s25
	s_delay_alu instid0(SALU_CYCLE_1) | instskip(SKIP_1) | instid1(SALU_CYCLE_1)
	s_or_b32 s0, vcc_lo, s0
	s_and_b32 s1, exec_lo, s24
	s_or_b32 s15, s1, s15
	s_and_not1_b32 s1, s25, exec_lo
	s_and_b32 s0, s0, exec_lo
	s_and_not1_b32 s22, s22, exec_lo
	s_and_b32 s26, s23, exec_lo
	s_or_b32 s25, s1, s0
	s_and_not1_b32 s1, s14, exec_lo
	s_or_b32 s22, s22, s26
	s_or_b32 s14, s1, s0
	s_and_not1_b32 exec_lo, exec_lo, s15
	s_cbranch_execz .LBB505_69
.LBB505_67:                             ; =>This Inner Loop Header: Depth=1
	global_load_b64 v[26:27], v[20:21], off
	global_load_b64 v[28:29], v[22:23], off
	s_or_b32 s23, s23, exec_lo
	s_or_b32 s24, s24, exec_lo
	s_mov_b32 s26, exec_lo
	s_wait_loadcnt 0x0
	v_cmp_le_i64_e64 s0, v[26:27], v[28:29]
	v_cmp_lt_i64_e32 vcc_lo, v[26:27], v[28:29]
	v_cmpx_eq_u64_e64 v[26:27], v[28:29]
	s_cbranch_execz .LBB505_66
; %bb.68:                               ;   in Loop: Header=BB505_67 Depth=1
	s_add_nc_u64 s[6:7], s[6:7], -1
	v_add_nc_u64_e32 v[20:21], 8, v[20:21]
	s_cmp_eq_u64 s[6:7], 0
	v_add_nc_u64_e32 v[22:23], 8, v[22:23]
	s_cselect_b32 s1, -1, 0
	s_and_not1_b32 s24, s24, exec_lo
	s_and_b32 s1, s1, exec_lo
	s_and_not1_b32 s23, s23, exec_lo
	s_or_b32 s24, s24, s1
	s_branch .LBB505_66
.LBB505_69:
	s_or_b32 exec_lo, exec_lo, s15
	s_and_saveexec_b32 s0, s22
	s_delay_alu instid0(SALU_CYCLE_1)
	s_xor_b32 s0, exec_lo, s0
; %bb.70:
	v_dual_cndmask_b32 v21, v7, v9, s14 :: v_dual_cndmask_b32 v20, v6, v8, s14
	v_dual_cndmask_b32 v9, v9, v7, s14 :: v_dual_cndmask_b32 v8, v8, v6, s14
	s_delay_alu instid0(VALU_DEP_2)
	v_mov_b64_e32 v[6:7], v[20:21]
; %bb.71:
	s_or_b32 exec_lo, exec_lo, s0
.LBB505_72:
	v_cmp_ne_u32_e32 vcc_lo, 1, v45
	s_cbranch_vccnz .LBB505_86
; %bb.73:
	v_mul_u64_e32 v[20:21], s[16:17], v[4:5]
	v_mul_u64_e32 v[22:23], s[16:17], v[2:3]
	s_mov_b32 s15, 0
	s_mov_b64 s[6:7], s[16:17]
                                        ; implicit-def: $sgpr14
                                        ; implicit-def: $sgpr22
                                        ; implicit-def: $sgpr24
                                        ; implicit-def: $sgpr23
                                        ; implicit-def: $sgpr25
	s_delay_alu instid0(VALU_DEP_2) | instskip(NEXT) | instid1(VALU_DEP_2)
	v_lshl_add_u64 v[20:21], v[20:21], 3, s[18:19]
	v_lshl_add_u64 v[22:23], v[22:23], 3, s[18:19]
	s_branch .LBB505_75
.LBB505_74:                             ;   in Loop: Header=BB505_75 Depth=1
	s_or_b32 exec_lo, exec_lo, s26
	s_and_b32 s0, s0, s25
	s_delay_alu instid0(SALU_CYCLE_1) | instskip(SKIP_1) | instid1(SALU_CYCLE_1)
	s_or_b32 s0, vcc_lo, s0
	s_and_b32 s1, exec_lo, s24
	s_or_b32 s15, s1, s15
	s_and_not1_b32 s1, s25, exec_lo
	s_and_b32 s0, s0, exec_lo
	s_and_not1_b32 s22, s22, exec_lo
	s_and_b32 s26, s23, exec_lo
	s_or_b32 s25, s1, s0
	s_and_not1_b32 s1, s14, exec_lo
	s_or_b32 s22, s22, s26
	s_or_b32 s14, s1, s0
	s_and_not1_b32 exec_lo, exec_lo, s15
	s_cbranch_execz .LBB505_77
.LBB505_75:                             ; =>This Inner Loop Header: Depth=1
	global_load_b64 v[26:27], v[20:21], off
	global_load_b64 v[28:29], v[22:23], off
	s_or_b32 s23, s23, exec_lo
	s_or_b32 s24, s24, exec_lo
	s_mov_b32 s26, exec_lo
	s_wait_loadcnt 0x0
	v_cmp_le_i64_e64 s0, v[26:27], v[28:29]
	v_cmp_lt_i64_e32 vcc_lo, v[26:27], v[28:29]
	v_cmpx_eq_u64_e64 v[26:27], v[28:29]
	s_cbranch_execz .LBB505_74
; %bb.76:                               ;   in Loop: Header=BB505_75 Depth=1
	s_add_nc_u64 s[6:7], s[6:7], -1
	v_add_nc_u64_e32 v[20:21], 8, v[20:21]
	s_cmp_eq_u64 s[6:7], 0
	v_add_nc_u64_e32 v[22:23], 8, v[22:23]
	s_cselect_b32 s1, -1, 0
	s_and_not1_b32 s24, s24, exec_lo
	s_and_b32 s1, s1, exec_lo
	s_and_not1_b32 s23, s23, exec_lo
	s_or_b32 s24, s24, s1
	s_branch .LBB505_74
.LBB505_77:
	s_or_b32 exec_lo, exec_lo, s15
	s_and_saveexec_b32 s0, s22
	s_delay_alu instid0(SALU_CYCLE_1)
	s_xor_b32 s0, exec_lo, s0
; %bb.78:
	v_dual_cndmask_b32 v21, v3, v5, s14 :: v_dual_cndmask_b32 v20, v2, v4, s14
	v_dual_cndmask_b32 v5, v5, v3, s14 :: v_dual_cndmask_b32 v4, v4, v2, s14
	s_delay_alu instid0(VALU_DEP_2)
	v_mov_b64_e32 v[2:3], v[20:21]
; %bb.79:
	s_or_b32 exec_lo, exec_lo, s0
	v_mul_u64_e32 v[20:21], s[16:17], v[10:11]
	v_mul_u64_e32 v[22:23], s[16:17], v[16:17]
	s_mov_b32 s15, 0
	s_mov_b64 s[6:7], s[16:17]
                                        ; implicit-def: $sgpr14
                                        ; implicit-def: $sgpr22
                                        ; implicit-def: $sgpr24
                                        ; implicit-def: $sgpr23
                                        ; implicit-def: $sgpr25
	s_delay_alu instid0(VALU_DEP_2) | instskip(NEXT) | instid1(VALU_DEP_2)
	v_lshl_add_u64 v[20:21], v[20:21], 3, s[18:19]
	v_lshl_add_u64 v[22:23], v[22:23], 3, s[18:19]
	s_branch .LBB505_81
.LBB505_80:                             ;   in Loop: Header=BB505_81 Depth=1
	s_or_b32 exec_lo, exec_lo, s26
	s_and_b32 s0, s0, s25
	s_delay_alu instid0(SALU_CYCLE_1) | instskip(SKIP_1) | instid1(SALU_CYCLE_1)
	s_or_b32 s0, vcc_lo, s0
	s_and_b32 s1, exec_lo, s24
	s_or_b32 s15, s1, s15
	s_and_not1_b32 s1, s25, exec_lo
	s_and_b32 s0, s0, exec_lo
	s_and_not1_b32 s22, s22, exec_lo
	s_and_b32 s26, s23, exec_lo
	s_or_b32 s25, s1, s0
	s_and_not1_b32 s1, s14, exec_lo
	s_or_b32 s22, s22, s26
	s_or_b32 s14, s1, s0
	s_and_not1_b32 exec_lo, exec_lo, s15
	s_cbranch_execz .LBB505_83
.LBB505_81:                             ; =>This Inner Loop Header: Depth=1
	global_load_b64 v[26:27], v[20:21], off
	global_load_b64 v[28:29], v[22:23], off
	s_or_b32 s23, s23, exec_lo
	s_or_b32 s24, s24, exec_lo
	s_mov_b32 s26, exec_lo
	s_wait_loadcnt 0x0
	v_cmp_le_i64_e64 s0, v[26:27], v[28:29]
	v_cmp_lt_i64_e32 vcc_lo, v[26:27], v[28:29]
	v_cmpx_eq_u64_e64 v[26:27], v[28:29]
	s_cbranch_execz .LBB505_80
; %bb.82:                               ;   in Loop: Header=BB505_81 Depth=1
	s_add_nc_u64 s[6:7], s[6:7], -1
	v_add_nc_u64_e32 v[20:21], 8, v[20:21]
	s_cmp_eq_u64 s[6:7], 0
	v_add_nc_u64_e32 v[22:23], 8, v[22:23]
	s_cselect_b32 s1, -1, 0
	s_and_not1_b32 s24, s24, exec_lo
	s_and_b32 s1, s1, exec_lo
	s_and_not1_b32 s23, s23, exec_lo
	s_or_b32 s24, s24, s1
	s_branch .LBB505_80
.LBB505_83:
	s_or_b32 exec_lo, exec_lo, s15
	s_and_saveexec_b32 s0, s22
	s_delay_alu instid0(SALU_CYCLE_1)
	s_xor_b32 s0, exec_lo, s0
; %bb.84:
	v_dual_cndmask_b32 v21, v17, v11, s14 :: v_dual_cndmask_b32 v20, v16, v10, s14
	v_dual_cndmask_b32 v11, v11, v17, s14 :: v_dual_cndmask_b32 v10, v10, v16, s14
	s_delay_alu instid0(VALU_DEP_2)
	v_mov_b64_e32 v[16:17], v[20:21]
; %bb.85:
	s_or_b32 exec_lo, exec_lo, s0
.LBB505_86:
	v_cmp_ne_u32_e32 vcc_lo, 1, v45
	s_cbranch_vccnz .LBB505_100
; %bb.87:
	s_delay_alu instid0(VALU_DEP_3) | instskip(SKIP_3) | instid1(VALU_DEP_2)
	v_mul_u64_e32 v[20:21], s[16:17], v[6:7]
	v_mul_u64_e32 v[22:23], s[16:17], v[12:13]
	s_mov_b32 s15, 0
	s_mov_b64 s[6:7], s[16:17]
                                        ; implicit-def: $sgpr14
                                        ; implicit-def: $sgpr22
                                        ; implicit-def: $sgpr24
                                        ; implicit-def: $sgpr23
                                        ; implicit-def: $sgpr25
	v_lshl_add_u64 v[20:21], v[20:21], 3, s[18:19]
	s_delay_alu instid0(VALU_DEP_2)
	v_lshl_add_u64 v[22:23], v[22:23], 3, s[18:19]
	s_branch .LBB505_89
.LBB505_88:                             ;   in Loop: Header=BB505_89 Depth=1
	s_or_b32 exec_lo, exec_lo, s26
	s_and_b32 s0, s0, s25
	s_delay_alu instid0(SALU_CYCLE_1) | instskip(SKIP_1) | instid1(SALU_CYCLE_1)
	s_or_b32 s0, vcc_lo, s0
	s_and_b32 s1, exec_lo, s24
	s_or_b32 s15, s1, s15
	s_and_not1_b32 s1, s25, exec_lo
	s_and_b32 s0, s0, exec_lo
	s_and_not1_b32 s22, s22, exec_lo
	s_and_b32 s26, s23, exec_lo
	s_or_b32 s25, s1, s0
	s_and_not1_b32 s1, s14, exec_lo
	s_or_b32 s22, s22, s26
	s_or_b32 s14, s1, s0
	s_and_not1_b32 exec_lo, exec_lo, s15
	s_cbranch_execz .LBB505_91
.LBB505_89:                             ; =>This Inner Loop Header: Depth=1
	global_load_b64 v[26:27], v[20:21], off
	global_load_b64 v[28:29], v[22:23], off
	s_or_b32 s23, s23, exec_lo
	s_or_b32 s24, s24, exec_lo
	s_mov_b32 s26, exec_lo
	s_wait_loadcnt 0x0
	v_cmp_le_i64_e64 s0, v[26:27], v[28:29]
	v_cmp_lt_i64_e32 vcc_lo, v[26:27], v[28:29]
	v_cmpx_eq_u64_e64 v[26:27], v[28:29]
	s_cbranch_execz .LBB505_88
; %bb.90:                               ;   in Loop: Header=BB505_89 Depth=1
	s_add_nc_u64 s[6:7], s[6:7], -1
	v_add_nc_u64_e32 v[20:21], 8, v[20:21]
	s_cmp_eq_u64 s[6:7], 0
	v_add_nc_u64_e32 v[22:23], 8, v[22:23]
	s_cselect_b32 s1, -1, 0
	s_and_not1_b32 s24, s24, exec_lo
	s_and_b32 s1, s1, exec_lo
	s_and_not1_b32 s23, s23, exec_lo
	s_or_b32 s24, s24, s1
	s_branch .LBB505_88
.LBB505_91:
	s_or_b32 exec_lo, exec_lo, s15
	s_and_saveexec_b32 s0, s22
	s_delay_alu instid0(SALU_CYCLE_1)
	s_xor_b32 s0, exec_lo, s0
; %bb.92:
	v_dual_cndmask_b32 v21, v13, v7, s14 :: v_dual_cndmask_b32 v20, v12, v6, s14
	v_dual_cndmask_b32 v7, v7, v13, s14 :: v_dual_cndmask_b32 v6, v6, v12, s14
	s_delay_alu instid0(VALU_DEP_2)
	v_mov_b64_e32 v[12:13], v[20:21]
; %bb.93:
	s_or_b32 exec_lo, exec_lo, s0
	v_mul_u64_e32 v[20:21], s[16:17], v[2:3]
	v_mul_u64_e32 v[22:23], s[16:17], v[8:9]
	s_mov_b32 s15, 0
	s_mov_b64 s[6:7], s[16:17]
                                        ; implicit-def: $sgpr14
                                        ; implicit-def: $sgpr22
                                        ; implicit-def: $sgpr24
                                        ; implicit-def: $sgpr23
                                        ; implicit-def: $sgpr25
	s_delay_alu instid0(VALU_DEP_2) | instskip(NEXT) | instid1(VALU_DEP_2)
	v_lshl_add_u64 v[20:21], v[20:21], 3, s[18:19]
	v_lshl_add_u64 v[22:23], v[22:23], 3, s[18:19]
	s_branch .LBB505_95
.LBB505_94:                             ;   in Loop: Header=BB505_95 Depth=1
	s_or_b32 exec_lo, exec_lo, s26
	s_and_b32 s0, s0, s25
	s_delay_alu instid0(SALU_CYCLE_1) | instskip(SKIP_1) | instid1(SALU_CYCLE_1)
	s_or_b32 s0, vcc_lo, s0
	s_and_b32 s1, exec_lo, s24
	s_or_b32 s15, s1, s15
	s_and_not1_b32 s1, s25, exec_lo
	s_and_b32 s0, s0, exec_lo
	s_and_not1_b32 s22, s22, exec_lo
	s_and_b32 s26, s23, exec_lo
	s_or_b32 s25, s1, s0
	s_and_not1_b32 s1, s14, exec_lo
	s_or_b32 s22, s22, s26
	s_or_b32 s14, s1, s0
	s_and_not1_b32 exec_lo, exec_lo, s15
	s_cbranch_execz .LBB505_97
.LBB505_95:                             ; =>This Inner Loop Header: Depth=1
	global_load_b64 v[26:27], v[20:21], off
	global_load_b64 v[28:29], v[22:23], off
	s_or_b32 s23, s23, exec_lo
	s_or_b32 s24, s24, exec_lo
	s_mov_b32 s26, exec_lo
	s_wait_loadcnt 0x0
	v_cmp_le_i64_e64 s0, v[26:27], v[28:29]
	v_cmp_lt_i64_e32 vcc_lo, v[26:27], v[28:29]
	v_cmpx_eq_u64_e64 v[26:27], v[28:29]
	s_cbranch_execz .LBB505_94
; %bb.96:                               ;   in Loop: Header=BB505_95 Depth=1
	s_add_nc_u64 s[6:7], s[6:7], -1
	v_add_nc_u64_e32 v[20:21], 8, v[20:21]
	s_cmp_eq_u64 s[6:7], 0
	v_add_nc_u64_e32 v[22:23], 8, v[22:23]
	s_cselect_b32 s1, -1, 0
	s_and_not1_b32 s24, s24, exec_lo
	s_and_b32 s1, s1, exec_lo
	s_and_not1_b32 s23, s23, exec_lo
	s_or_b32 s24, s24, s1
	s_branch .LBB505_94
.LBB505_97:
	s_or_b32 exec_lo, exec_lo, s15
	s_and_saveexec_b32 s0, s22
	s_delay_alu instid0(SALU_CYCLE_1)
	s_xor_b32 s0, exec_lo, s0
; %bb.98:
	v_dual_cndmask_b32 v21, v9, v3, s14 :: v_dual_cndmask_b32 v20, v8, v2, s14
	v_dual_cndmask_b32 v3, v3, v9, s14 :: v_dual_cndmask_b32 v2, v2, v8, s14
	s_delay_alu instid0(VALU_DEP_2)
	v_mov_b64_e32 v[8:9], v[20:21]
; %bb.99:
	s_or_b32 exec_lo, exec_lo, s0
.LBB505_100:
	v_cmp_ne_u32_e32 vcc_lo, 1, v45
	s_cbranch_vccnz .LBB505_114
; %bb.101:
	s_delay_alu instid0(VALU_DEP_3) | instskip(SKIP_3) | instid1(VALU_DEP_2)
	v_mul_u64_e32 v[20:21], s[16:17], v[16:17]
	v_mul_u64_e32 v[22:23], s[16:17], v[14:15]
	s_mov_b32 s15, 0
	s_mov_b64 s[6:7], s[16:17]
                                        ; implicit-def: $sgpr14
                                        ; implicit-def: $sgpr22
                                        ; implicit-def: $sgpr24
                                        ; implicit-def: $sgpr23
                                        ; implicit-def: $sgpr25
	v_lshl_add_u64 v[20:21], v[20:21], 3, s[18:19]
	s_delay_alu instid0(VALU_DEP_2)
	v_lshl_add_u64 v[22:23], v[22:23], 3, s[18:19]
	s_branch .LBB505_103
.LBB505_102:                            ;   in Loop: Header=BB505_103 Depth=1
	s_or_b32 exec_lo, exec_lo, s26
	s_and_b32 s0, s0, s25
	s_delay_alu instid0(SALU_CYCLE_1) | instskip(SKIP_1) | instid1(SALU_CYCLE_1)
	s_or_b32 s0, vcc_lo, s0
	s_and_b32 s1, exec_lo, s24
	s_or_b32 s15, s1, s15
	s_and_not1_b32 s1, s25, exec_lo
	s_and_b32 s0, s0, exec_lo
	s_and_not1_b32 s22, s22, exec_lo
	s_and_b32 s26, s23, exec_lo
	s_or_b32 s25, s1, s0
	s_and_not1_b32 s1, s14, exec_lo
	s_or_b32 s22, s22, s26
	s_or_b32 s14, s1, s0
	s_and_not1_b32 exec_lo, exec_lo, s15
	s_cbranch_execz .LBB505_105
.LBB505_103:                            ; =>This Inner Loop Header: Depth=1
	global_load_b64 v[26:27], v[20:21], off
	global_load_b64 v[28:29], v[22:23], off
	s_or_b32 s23, s23, exec_lo
	s_or_b32 s24, s24, exec_lo
	s_mov_b32 s26, exec_lo
	s_wait_loadcnt 0x0
	v_cmp_le_i64_e64 s0, v[26:27], v[28:29]
	v_cmp_lt_i64_e32 vcc_lo, v[26:27], v[28:29]
	v_cmpx_eq_u64_e64 v[26:27], v[28:29]
	s_cbranch_execz .LBB505_102
; %bb.104:                              ;   in Loop: Header=BB505_103 Depth=1
	s_add_nc_u64 s[6:7], s[6:7], -1
	v_add_nc_u64_e32 v[20:21], 8, v[20:21]
	s_cmp_eq_u64 s[6:7], 0
	v_add_nc_u64_e32 v[22:23], 8, v[22:23]
	s_cselect_b32 s1, -1, 0
	s_and_not1_b32 s24, s24, exec_lo
	s_and_b32 s1, s1, exec_lo
	s_and_not1_b32 s23, s23, exec_lo
	s_or_b32 s24, s24, s1
	s_branch .LBB505_102
.LBB505_105:
	s_or_b32 exec_lo, exec_lo, s15
	s_and_saveexec_b32 s0, s22
	s_delay_alu instid0(SALU_CYCLE_1)
	s_xor_b32 s0, exec_lo, s0
; %bb.106:
	v_dual_cndmask_b32 v21, v17, v15, s14 :: v_dual_cndmask_b32 v20, v16, v14, s14
	v_dual_cndmask_b32 v15, v15, v17, s14 :: v_dual_cndmask_b32 v14, v14, v16, s14
	s_delay_alu instid0(VALU_DEP_2)
	v_mov_b64_e32 v[16:17], v[20:21]
; %bb.107:
	s_or_b32 exec_lo, exec_lo, s0
	v_mul_u64_e32 v[20:21], s[16:17], v[12:13]
	v_mul_u64_e32 v[22:23], s[16:17], v[10:11]
	s_mov_b32 s15, 0
	s_mov_b64 s[6:7], s[16:17]
                                        ; implicit-def: $sgpr14
                                        ; implicit-def: $sgpr22
                                        ; implicit-def: $sgpr24
                                        ; implicit-def: $sgpr23
                                        ; implicit-def: $sgpr25
	s_delay_alu instid0(VALU_DEP_2) | instskip(NEXT) | instid1(VALU_DEP_2)
	v_lshl_add_u64 v[20:21], v[20:21], 3, s[18:19]
	v_lshl_add_u64 v[22:23], v[22:23], 3, s[18:19]
	s_branch .LBB505_109
.LBB505_108:                            ;   in Loop: Header=BB505_109 Depth=1
	s_or_b32 exec_lo, exec_lo, s26
	s_and_b32 s0, s0, s25
	s_delay_alu instid0(SALU_CYCLE_1) | instskip(SKIP_1) | instid1(SALU_CYCLE_1)
	s_or_b32 s0, vcc_lo, s0
	s_and_b32 s1, exec_lo, s24
	s_or_b32 s15, s1, s15
	s_and_not1_b32 s1, s25, exec_lo
	s_and_b32 s0, s0, exec_lo
	s_and_not1_b32 s22, s22, exec_lo
	s_and_b32 s26, s23, exec_lo
	s_or_b32 s25, s1, s0
	s_and_not1_b32 s1, s14, exec_lo
	s_or_b32 s22, s22, s26
	s_or_b32 s14, s1, s0
	s_and_not1_b32 exec_lo, exec_lo, s15
	s_cbranch_execz .LBB505_111
.LBB505_109:                            ; =>This Inner Loop Header: Depth=1
	global_load_b64 v[26:27], v[20:21], off
	global_load_b64 v[28:29], v[22:23], off
	s_or_b32 s23, s23, exec_lo
	s_or_b32 s24, s24, exec_lo
	s_mov_b32 s26, exec_lo
	s_wait_loadcnt 0x0
	v_cmp_le_i64_e64 s0, v[26:27], v[28:29]
	v_cmp_lt_i64_e32 vcc_lo, v[26:27], v[28:29]
	v_cmpx_eq_u64_e64 v[26:27], v[28:29]
	s_cbranch_execz .LBB505_108
; %bb.110:                              ;   in Loop: Header=BB505_109 Depth=1
	s_add_nc_u64 s[6:7], s[6:7], -1
	v_add_nc_u64_e32 v[20:21], 8, v[20:21]
	s_cmp_eq_u64 s[6:7], 0
	v_add_nc_u64_e32 v[22:23], 8, v[22:23]
	s_cselect_b32 s1, -1, 0
	s_and_not1_b32 s24, s24, exec_lo
	s_and_b32 s1, s1, exec_lo
	s_and_not1_b32 s23, s23, exec_lo
	s_or_b32 s24, s24, s1
	s_branch .LBB505_108
.LBB505_111:
	s_or_b32 exec_lo, exec_lo, s15
	s_and_saveexec_b32 s0, s22
	s_delay_alu instid0(SALU_CYCLE_1)
	s_xor_b32 s0, exec_lo, s0
; %bb.112:
	v_dual_cndmask_b32 v21, v11, v13, s14 :: v_dual_cndmask_b32 v20, v10, v12, s14
	v_dual_cndmask_b32 v13, v13, v11, s14 :: v_dual_cndmask_b32 v12, v12, v10, s14
	s_delay_alu instid0(VALU_DEP_2)
	v_mov_b64_e32 v[10:11], v[20:21]
; %bb.113:
	s_or_b32 exec_lo, exec_lo, s0
.LBB505_114:
	v_cmp_ne_u32_e32 vcc_lo, 1, v45
	s_cbranch_vccnz .LBB505_188
; %bb.115:
	s_delay_alu instid0(VALU_DEP_3) | instskip(SKIP_3) | instid1(VALU_DEP_2)
	v_mul_u64_e32 v[20:21], s[16:17], v[8:9]
	v_mul_u64_e32 v[22:23], s[16:17], v[6:7]
	s_mov_b32 s15, 0
	s_mov_b64 s[6:7], s[16:17]
                                        ; implicit-def: $sgpr14
                                        ; implicit-def: $sgpr22
                                        ; implicit-def: $sgpr24
                                        ; implicit-def: $sgpr23
                                        ; implicit-def: $sgpr25
	v_lshl_add_u64 v[20:21], v[20:21], 3, s[18:19]
	s_delay_alu instid0(VALU_DEP_2)
	v_lshl_add_u64 v[22:23], v[22:23], 3, s[18:19]
	s_branch .LBB505_117
.LBB505_116:                            ;   in Loop: Header=BB505_117 Depth=1
	s_or_b32 exec_lo, exec_lo, s26
	s_and_b32 s0, s0, s25
	s_delay_alu instid0(SALU_CYCLE_1) | instskip(SKIP_1) | instid1(SALU_CYCLE_1)
	s_or_b32 s0, vcc_lo, s0
	s_and_b32 s1, exec_lo, s24
	s_or_b32 s15, s1, s15
	s_and_not1_b32 s1, s25, exec_lo
	s_and_b32 s0, s0, exec_lo
	s_and_not1_b32 s22, s22, exec_lo
	s_and_b32 s26, s23, exec_lo
	s_or_b32 s25, s1, s0
	s_and_not1_b32 s1, s14, exec_lo
	s_or_b32 s22, s22, s26
	s_or_b32 s14, s1, s0
	s_and_not1_b32 exec_lo, exec_lo, s15
	s_cbranch_execz .LBB505_119
.LBB505_117:                            ; =>This Inner Loop Header: Depth=1
	global_load_b64 v[26:27], v[20:21], off
	global_load_b64 v[28:29], v[22:23], off
	s_or_b32 s23, s23, exec_lo
	s_or_b32 s24, s24, exec_lo
	s_mov_b32 s26, exec_lo
	s_wait_loadcnt 0x0
	v_cmp_le_i64_e64 s0, v[26:27], v[28:29]
	v_cmp_lt_i64_e32 vcc_lo, v[26:27], v[28:29]
	v_cmpx_eq_u64_e64 v[26:27], v[28:29]
	s_cbranch_execz .LBB505_116
; %bb.118:                              ;   in Loop: Header=BB505_117 Depth=1
	s_add_nc_u64 s[6:7], s[6:7], -1
	v_add_nc_u64_e32 v[20:21], 8, v[20:21]
	s_cmp_eq_u64 s[6:7], 0
	v_add_nc_u64_e32 v[22:23], 8, v[22:23]
	s_cselect_b32 s1, -1, 0
	s_and_not1_b32 s24, s24, exec_lo
	s_and_b32 s1, s1, exec_lo
	s_and_not1_b32 s23, s23, exec_lo
	s_or_b32 s24, s24, s1
	s_branch .LBB505_116
.LBB505_119:
	s_or_b32 exec_lo, exec_lo, s15
	s_and_saveexec_b32 s0, s22
	s_delay_alu instid0(SALU_CYCLE_1)
	s_xor_b32 s0, exec_lo, s0
; %bb.120:
	v_dual_cndmask_b32 v21, v7, v9, s14 :: v_dual_cndmask_b32 v20, v6, v8, s14
	v_dual_cndmask_b32 v9, v9, v7, s14 :: v_dual_cndmask_b32 v8, v8, v6, s14
	s_delay_alu instid0(VALU_DEP_2)
	v_mov_b64_e32 v[6:7], v[20:21]
; %bb.121:
	s_or_b32 exec_lo, exec_lo, s0
	v_mul_u64_e32 v[20:21], s[16:17], v[4:5]
	v_mul_u64_e32 v[22:23], s[16:17], v[2:3]
	s_mov_b32 s15, 0
	s_mov_b64 s[6:7], s[16:17]
                                        ; implicit-def: $sgpr14
                                        ; implicit-def: $sgpr22
                                        ; implicit-def: $sgpr24
                                        ; implicit-def: $sgpr23
                                        ; implicit-def: $sgpr25
	s_delay_alu instid0(VALU_DEP_2) | instskip(NEXT) | instid1(VALU_DEP_2)
	v_lshl_add_u64 v[20:21], v[20:21], 3, s[18:19]
	v_lshl_add_u64 v[22:23], v[22:23], 3, s[18:19]
	s_branch .LBB505_123
.LBB505_122:                            ;   in Loop: Header=BB505_123 Depth=1
	s_or_b32 exec_lo, exec_lo, s26
	s_and_b32 s0, s0, s25
	s_delay_alu instid0(SALU_CYCLE_1) | instskip(SKIP_1) | instid1(SALU_CYCLE_1)
	s_or_b32 s0, vcc_lo, s0
	s_and_b32 s1, exec_lo, s24
	s_or_b32 s15, s1, s15
	s_and_not1_b32 s1, s25, exec_lo
	s_and_b32 s0, s0, exec_lo
	s_and_not1_b32 s22, s22, exec_lo
	s_and_b32 s26, s23, exec_lo
	s_or_b32 s25, s1, s0
	s_and_not1_b32 s1, s14, exec_lo
	s_or_b32 s22, s22, s26
	s_or_b32 s14, s1, s0
	s_and_not1_b32 exec_lo, exec_lo, s15
	s_cbranch_execz .LBB505_125
.LBB505_123:                            ; =>This Inner Loop Header: Depth=1
	global_load_b64 v[26:27], v[20:21], off
	global_load_b64 v[28:29], v[22:23], off
	s_or_b32 s23, s23, exec_lo
	s_or_b32 s24, s24, exec_lo
	s_mov_b32 s26, exec_lo
	s_wait_loadcnt 0x0
	v_cmp_le_i64_e64 s0, v[26:27], v[28:29]
	v_cmp_lt_i64_e32 vcc_lo, v[26:27], v[28:29]
	v_cmpx_eq_u64_e64 v[26:27], v[28:29]
	s_cbranch_execz .LBB505_122
; %bb.124:                              ;   in Loop: Header=BB505_123 Depth=1
	s_add_nc_u64 s[6:7], s[6:7], -1
	v_add_nc_u64_e32 v[20:21], 8, v[20:21]
	s_cmp_eq_u64 s[6:7], 0
	v_add_nc_u64_e32 v[22:23], 8, v[22:23]
	s_cselect_b32 s1, -1, 0
	s_and_not1_b32 s24, s24, exec_lo
	s_and_b32 s1, s1, exec_lo
	s_and_not1_b32 s23, s23, exec_lo
	s_or_b32 s24, s24, s1
	s_branch .LBB505_122
.LBB505_125:
	s_or_b32 exec_lo, exec_lo, s15
	s_and_saveexec_b32 s0, s22
	s_delay_alu instid0(SALU_CYCLE_1)
	s_xor_b32 s0, exec_lo, s0
; %bb.126:
	v_dual_cndmask_b32 v21, v3, v5, s14 :: v_dual_cndmask_b32 v20, v2, v4, s14
	v_dual_cndmask_b32 v5, v5, v3, s14 :: v_dual_cndmask_b32 v4, v4, v2, s14
	s_delay_alu instid0(VALU_DEP_2)
	v_mov_b64_e32 v[2:3], v[20:21]
; %bb.127:
	s_or_b32 exec_lo, exec_lo, s0
	v_mul_u64_e32 v[20:21], s[16:17], v[10:11]
	v_mul_u64_e32 v[22:23], s[16:17], v[16:17]
	s_mov_b32 s15, 0
	s_mov_b64 s[6:7], s[16:17]
                                        ; implicit-def: $sgpr14
                                        ; implicit-def: $sgpr22
                                        ; implicit-def: $sgpr24
                                        ; implicit-def: $sgpr23
                                        ; implicit-def: $sgpr25
	s_delay_alu instid0(VALU_DEP_2) | instskip(NEXT) | instid1(VALU_DEP_2)
	v_lshl_add_u64 v[20:21], v[20:21], 3, s[18:19]
	;; [unrolled: 64-line block ×11, first 2 shown]
	v_lshl_add_u64 v[22:23], v[22:23], 3, s[18:19]
	s_branch .LBB505_183
.LBB505_182:                            ;   in Loop: Header=BB505_183 Depth=1
	s_or_b32 exec_lo, exec_lo, s26
	s_and_b32 s0, s0, s25
	s_delay_alu instid0(SALU_CYCLE_1) | instskip(SKIP_1) | instid1(SALU_CYCLE_1)
	s_or_b32 s0, vcc_lo, s0
	s_and_b32 s1, exec_lo, s24
	s_or_b32 s15, s1, s15
	s_and_not1_b32 s1, s25, exec_lo
	s_and_b32 s0, s0, exec_lo
	s_and_not1_b32 s22, s22, exec_lo
	s_and_b32 s26, s23, exec_lo
	s_or_b32 s25, s1, s0
	s_and_not1_b32 s1, s14, exec_lo
	s_or_b32 s22, s22, s26
	s_or_b32 s14, s1, s0
	s_and_not1_b32 exec_lo, exec_lo, s15
	s_cbranch_execz .LBB505_185
.LBB505_183:                            ; =>This Inner Loop Header: Depth=1
	global_load_b64 v[26:27], v[20:21], off
	global_load_b64 v[28:29], v[22:23], off
	s_or_b32 s23, s23, exec_lo
	s_or_b32 s24, s24, exec_lo
	s_mov_b32 s26, exec_lo
	s_wait_loadcnt 0x0
	v_cmp_le_i64_e64 s0, v[26:27], v[28:29]
	v_cmp_lt_i64_e32 vcc_lo, v[26:27], v[28:29]
	v_cmpx_eq_u64_e64 v[26:27], v[28:29]
	s_cbranch_execz .LBB505_182
; %bb.184:                              ;   in Loop: Header=BB505_183 Depth=1
	s_add_nc_u64 s[6:7], s[6:7], -1
	v_add_nc_u64_e32 v[20:21], 8, v[20:21]
	s_cmp_eq_u64 s[6:7], 0
	v_add_nc_u64_e32 v[22:23], 8, v[22:23]
	s_cselect_b32 s1, -1, 0
	s_and_not1_b32 s24, s24, exec_lo
	s_and_b32 s1, s1, exec_lo
	s_and_not1_b32 s23, s23, exec_lo
	s_or_b32 s24, s24, s1
	s_branch .LBB505_182
.LBB505_185:
	s_or_b32 exec_lo, exec_lo, s15
	s_and_saveexec_b32 s0, s22
	s_delay_alu instid0(SALU_CYCLE_1)
	s_xor_b32 s0, exec_lo, s0
; %bb.186:
	v_dual_cndmask_b32 v21, v9, v3, s14 :: v_dual_cndmask_b32 v20, v8, v2, s14
	v_dual_cndmask_b32 v3, v3, v9, s14 :: v_dual_cndmask_b32 v2, v2, v8, s14
	s_delay_alu instid0(VALU_DEP_2)
	v_mov_b64_e32 v[8:9], v[20:21]
; %bb.187:
	s_or_b32 exec_lo, exec_lo, s0
.LBB505_188:
	s_delay_alu instid0(SALU_CYCLE_1) | instskip(SKIP_4) | instid1(VALU_DEP_1)
	s_or_b32 exec_lo, exec_lo, s5
	v_mbcnt_lo_u32_b32 v20, -1, 0
	v_and_b32_e32 v21, 0xffffff00, v24
	s_mov_b32 s1, 0
	s_mov_b32 s5, exec_lo
	v_dual_lshlrev_b32 v48, 3, v20 :: v_dual_lshlrev_b32 v46, 3, v21
	v_sub_nc_u32_e64 v47, 0x800, v21 clamp
	s_delay_alu instid0(VALU_DEP_2) | instskip(SKIP_1) | instid1(VALU_DEP_4)
	v_or_b32_e32 v22, 8, v48
	v_and_b32_e32 v26, 0xf0, v48
	v_lshl_or_b32 v49, v20, 6, v46
	ds_store_b128 v49, v[14:17]
	ds_store_b128 v49, v[10:13] offset:16
	v_min_u32_e32 v50, v47, v22
	v_and_b32_e32 v22, 8, v48
	v_lshl_or_b32 v25, v26, 3, v46
	ds_store_b128 v49, v[6:9] offset:32
	ds_store_b128 v49, v[2:5] offset:48
	v_add_min_u32_e64 v51, v50, 8, v47
	v_min_u32_e32 v27, v47, v22
	v_sub_nc_u32_e32 v22, v50, v26
	; wave barrier
	s_delay_alu instid0(VALU_DEP_3) | instskip(NEXT) | instid1(VALU_DEP_2)
	v_sub_nc_u32_e32 v21, v51, v50
	v_min_u32_e32 v28, v27, v22
	s_delay_alu instid0(VALU_DEP_2) | instskip(NEXT) | instid1(VALU_DEP_1)
	v_sub_nc_u32_e64 v24, v27, v21 clamp
	v_cmpx_lt_u32_e64 v24, v28
	s_cbranch_execz .LBB505_199
; %bb.189:
	v_dual_lshlrev_b32 v20, 3, v50 :: v_dual_lshlrev_b32 v21, 3, v27
	s_lshl_b64 s[6:7], s[16:17], 3
	s_delay_alu instid0(VALU_DEP_1)
	v_add3_u32 v29, v46, v20, v21
	s_branch .LBB505_192
.LBB505_190:                            ;   in Loop: Header=BB505_192 Depth=1
	s_or_b32 exec_lo, exec_lo, s23
.LBB505_191:                            ;   in Loop: Header=BB505_192 Depth=1
	s_delay_alu instid0(VALU_DEP_1) | instskip(NEXT) | instid1(VALU_DEP_1)
	v_dual_add_nc_u32 v20, 1, v30 :: v_dual_cndmask_b32 v28, v28, v30, s22
	v_cndmask_b32_e64 v24, v20, v24, s22
	s_delay_alu instid0(VALU_DEP_1) | instskip(SKIP_1) | instid1(SALU_CYCLE_1)
	v_cmp_ge_u32_e32 vcc_lo, v24, v28
	s_or_b32 s1, vcc_lo, s1
	s_and_not1_b32 exec_lo, exec_lo, s1
	s_cbranch_execz .LBB505_198
.LBB505_192:                            ; =>This Loop Header: Depth=1
                                        ;     Child Loop BB505_195 Depth 2
	v_add_nc_u32_e32 v20, v28, v24
	v_cmp_ne_u32_e32 vcc_lo, 1, v45
	s_delay_alu instid0(VALU_DEP_2)
	v_lshrrev_b32_e32 v30, 1, v20
	s_cbranch_vccnz .LBB505_197
; %bb.193:                              ;   in Loop: Header=BB505_192 Depth=1
	s_delay_alu instid0(VALU_DEP_1) | instskip(SKIP_3) | instid1(VALU_DEP_2)
	v_not_b32_e32 v20, v30
	v_lshl_add_u32 v21, v30, 3, v25
	s_mov_b32 s23, 0
	s_mov_b64 s[14:15], s[16:17]
                                        ; implicit-def: $sgpr22
                                        ; implicit-def: $sgpr24
                                        ; implicit-def: $sgpr25
                                        ; implicit-def: $sgpr26
	v_lshl_add_u32 v20, v20, 3, v29
	ds_load_b64 v[32:33], v20
	ds_load_b64 v[34:35], v21
	s_wait_dscnt 0x1
	v_mad_nc_u64_u32 v[20:21], s6, v32, s[18:19]
	s_wait_dscnt 0x0
	v_mad_nc_u64_u32 v[22:23], s6, v34, s[18:19]
	s_delay_alu instid0(VALU_DEP_2) | instskip(NEXT) | instid1(VALU_DEP_2)
	v_mad_u32 v21, s7, v32, v21
	v_mad_u32 v23, s7, v34, v23
	s_delay_alu instid0(VALU_DEP_2) | instskip(NEXT) | instid1(VALU_DEP_2)
	v_mad_u32 v21, s6, v33, v21
	v_mad_u32 v23, s6, v35, v23
	s_branch .LBB505_195
.LBB505_194:                            ;   in Loop: Header=BB505_195 Depth=2
	s_or_b32 exec_lo, exec_lo, s27
	s_delay_alu instid0(SALU_CYCLE_1) | instskip(NEXT) | instid1(SALU_CYCLE_1)
	s_and_b32 s27, exec_lo, s24
	s_or_b32 s23, s27, s23
	s_and_not1_b32 s26, s26, exec_lo
	s_and_b32 s0, s0, exec_lo
	s_and_not1_b32 s22, s22, exec_lo
	s_and_b32 s27, s25, exec_lo
	s_or_b32 s26, s26, s0
	s_or_b32 s22, s22, s27
	s_and_not1_b32 exec_lo, exec_lo, s23
	s_cbranch_execz .LBB505_190
.LBB505_195:                            ;   Parent Loop BB505_192 Depth=1
                                        ; =>  This Inner Loop Header: Depth=2
	global_load_b64 v[32:33], v[20:21], off
	global_load_b64 v[34:35], v[22:23], off
	s_and_not1_b32 s25, s25, exec_lo
	s_or_b32 s24, s24, exec_lo
	s_wait_loadcnt 0x0
	v_cmp_le_i64_e32 vcc_lo, v[32:33], v[34:35]
	v_cmp_lt_i64_e64 s0, v[32:33], v[34:35]
	s_and_b32 s27, vcc_lo, s26
	s_delay_alu instid0(SALU_CYCLE_1) | instskip(NEXT) | instid1(SALU_CYCLE_1)
	s_or_b32 s0, s0, s27
	s_and_b32 s27, s0, exec_lo
	s_delay_alu instid0(SALU_CYCLE_1)
	s_or_b32 s25, s25, s27
	s_mov_b32 s27, exec_lo
	v_cmpx_eq_u64_e64 v[32:33], v[34:35]
	s_cbranch_execz .LBB505_194
; %bb.196:                              ;   in Loop: Header=BB505_195 Depth=2
	s_add_nc_u64 s[14:15], s[14:15], -1
	v_add_nc_u64_e32 v[20:21], 8, v[20:21]
	s_cmp_eq_u64 s[14:15], 0
	v_add_nc_u64_e32 v[22:23], 8, v[22:23]
	s_cselect_b32 s26, -1, 0
	s_and_not1_b32 s24, s24, exec_lo
	s_and_b32 s26, s26, exec_lo
	s_and_not1_b32 s25, s25, exec_lo
	s_or_b32 s24, s24, s26
                                        ; implicit-def: $sgpr26
	s_branch .LBB505_194
.LBB505_197:                            ;   in Loop: Header=BB505_192 Depth=1
	s_mov_b32 s22, 0
	s_branch .LBB505_191
.LBB505_198:
	s_or_b32 exec_lo, exec_lo, s1
.LBB505_199:
	s_delay_alu instid0(SALU_CYCLE_1) | instskip(SKIP_1) | instid1(VALU_DEP_1)
	s_or_b32 exec_lo, exec_lo, s5
	v_dual_add_nc_u32 v21, v50, v27 :: v_dual_add_nc_u32 v20, v24, v26
	v_sub_nc_u32_e32 v21, v21, v24
	s_delay_alu instid0(VALU_DEP_2) | instskip(NEXT) | instid1(VALU_DEP_2)
	v_cmp_le_u32_e32 vcc_lo, v20, v50
	v_cmp_le_u32_e64 s0, v21, v51
	s_or_b32 s0, vcc_lo, s0
	s_delay_alu instid0(SALU_CYCLE_1)
	s_and_saveexec_b32 s1, s0
	s_cbranch_execz .LBB505_290
; %bb.200:
	s_mov_b32 s5, exec_lo
	v_cmp_ge_u32_e32 vcc_lo, v20, v50
                                        ; implicit-def: $vgpr2_vgpr3
	v_cmpx_lt_u32_e64 v20, v50
; %bb.201:
	v_lshl_add_u32 v2, v24, 3, v25
	ds_load_b64 v[2:3], v2
; %bb.202:
	s_or_b32 exec_lo, exec_lo, s5
	v_cmp_ge_u32_e64 s5, v21, v51
	s_mov_b32 s6, exec_lo
                                        ; implicit-def: $vgpr4_vgpr5
	v_cmpx_lt_u32_e64 v21, v51
; %bb.203:
	v_lshl_add_u32 v4, v21, 3, v46
	ds_load_b64 v[4:5], v4
; %bb.204:
	s_or_b32 exec_lo, exec_lo, s6
	s_nor_b32 s0, vcc_lo, s5
	s_delay_alu instid0(SALU_CYCLE_1)
	s_and_saveexec_b32 s14, s0
	s_cbranch_execz .LBB505_213
; %bb.205:
	v_cmp_ne_u32_e32 vcc_lo, 1, v45
	s_cbranch_vccnz .LBB505_211
; %bb.206:
	s_wait_dscnt 0x0
	v_mul_u64_e32 v[6:7], s[16:17], v[4:5]
	v_mul_u64_e32 v[8:9], s[16:17], v[2:3]
	s_mov_b32 s15, 0
	s_mov_b64 s[6:7], s[16:17]
                                        ; implicit-def: $sgpr22
                                        ; implicit-def: $sgpr23
                                        ; implicit-def: $sgpr24
                                        ; implicit-def: $sgpr25
	s_delay_alu instid0(VALU_DEP_2) | instskip(NEXT) | instid1(VALU_DEP_2)
	v_lshl_add_u64 v[6:7], v[6:7], 3, s[18:19]
	v_lshl_add_u64 v[8:9], v[8:9], 3, s[18:19]
	s_branch .LBB505_208
.LBB505_207:                            ;   in Loop: Header=BB505_208 Depth=1
	s_or_b32 exec_lo, exec_lo, s26
	s_delay_alu instid0(SALU_CYCLE_1) | instskip(NEXT) | instid1(SALU_CYCLE_1)
	s_and_b32 s26, exec_lo, s23
	s_or_b32 s15, s26, s15
	s_and_not1_b32 s25, s25, exec_lo
	s_and_b32 s0, s0, exec_lo
	s_and_not1_b32 s22, s22, exec_lo
	s_and_b32 s26, s24, exec_lo
	s_or_b32 s25, s25, s0
	s_or_b32 s22, s22, s26
	s_and_not1_b32 exec_lo, exec_lo, s15
	s_cbranch_execz .LBB505_210
.LBB505_208:                            ; =>This Inner Loop Header: Depth=1
	global_load_b64 v[10:11], v[6:7], off
	global_load_b64 v[12:13], v[8:9], off
	s_and_not1_b32 s24, s24, exec_lo
	s_or_b32 s23, s23, exec_lo
	s_wait_loadcnt 0x0
	v_cmp_le_i64_e32 vcc_lo, v[10:11], v[12:13]
	v_cmp_lt_i64_e64 s0, v[10:11], v[12:13]
	s_and_b32 s26, vcc_lo, s25
	s_delay_alu instid0(SALU_CYCLE_1) | instskip(NEXT) | instid1(SALU_CYCLE_1)
	s_or_b32 s0, s0, s26
	s_and_b32 s26, s0, exec_lo
	s_delay_alu instid0(SALU_CYCLE_1)
	s_or_b32 s24, s24, s26
	s_mov_b32 s26, exec_lo
	v_cmpx_eq_u64_e64 v[10:11], v[12:13]
	s_cbranch_execz .LBB505_207
; %bb.209:                              ;   in Loop: Header=BB505_208 Depth=1
	s_add_nc_u64 s[6:7], s[6:7], -1
	v_add_nc_u64_e32 v[6:7], 8, v[6:7]
	s_cmp_eq_u64 s[6:7], 0
	v_add_nc_u64_e32 v[8:9], 8, v[8:9]
	s_cselect_b32 s25, -1, 0
	s_and_not1_b32 s23, s23, exec_lo
	s_and_b32 s25, s25, exec_lo
	s_and_not1_b32 s24, s24, exec_lo
	s_or_b32 s23, s23, s25
                                        ; implicit-def: $sgpr25
	s_branch .LBB505_207
.LBB505_210:
	s_or_b32 exec_lo, exec_lo, s15
	s_xor_b32 s0, s22, -1
	s_branch .LBB505_212
.LBB505_211:
	s_mov_b32 s0, -1
.LBB505_212:
	s_and_not1_b32 s5, s5, exec_lo
	s_and_b32 s0, s0, exec_lo
	s_delay_alu instid0(SALU_CYCLE_1)
	s_or_b32 s5, s5, s0
.LBB505_213:
	s_or_b32 exec_lo, exec_lo, s14
	v_dual_cndmask_b32 v6, v21, v20, s5 :: v_dual_cndmask_b32 v7, v51, v50, s5
	s_mov_b32 s15, -1
	s_mov_b32 s14, -1
	s_mov_b32 s22, exec_lo
	s_delay_alu instid0(VALU_DEP_1) | instskip(NEXT) | instid1(VALU_DEP_1)
	v_add_nc_u32_e32 v8, 1, v6
	v_add_min_u32_e64 v6, v7, -1, v8
	s_delay_alu instid0(VALU_DEP_1)
	v_lshl_add_u32 v6, v6, 3, v46
	ds_load_b64 v[6:7], v6
	s_wait_dscnt 0x0
	v_cndmask_b32_e64 v15, v7, v5, s5
	v_dual_cndmask_b32 v10, v8, v21, s5 :: v_dual_cndmask_b32 v14, v6, v4, s5
	v_dual_cndmask_b32 v11, v20, v8, s5 :: v_dual_cndmask_b32 v17, v3, v7, s5
	v_cndmask_b32_e64 v16, v2, v6, s5
	s_delay_alu instid0(VALU_DEP_3)
	v_cmpx_lt_u32_e64 v10, v51
	s_cbranch_execz .LBB505_224
; %bb.214:
	s_mov_b32 s0, 0
	s_mov_b32 s14, exec_lo
	v_cmpx_lt_u32_e64 v11, v50
	s_cbranch_execz .LBB505_223
; %bb.215:
	v_cmp_ne_u32_e32 vcc_lo, 1, v45
	s_cbranch_vccnz .LBB505_221
; %bb.216:
	v_mul_u64_e32 v[6:7], s[16:17], v[14:15]
	v_mul_u64_e32 v[8:9], s[16:17], v[16:17]
	s_mov_b32 s23, 0
	s_mov_b64 s[6:7], s[16:17]
                                        ; implicit-def: $sgpr24
                                        ; implicit-def: $sgpr25
                                        ; implicit-def: $sgpr26
                                        ; implicit-def: $sgpr27
	s_delay_alu instid0(VALU_DEP_2) | instskip(NEXT) | instid1(VALU_DEP_2)
	v_lshl_add_u64 v[6:7], v[6:7], 3, s[18:19]
	v_lshl_add_u64 v[8:9], v[8:9], 3, s[18:19]
	s_branch .LBB505_218
.LBB505_217:                            ;   in Loop: Header=BB505_218 Depth=1
	s_or_b32 exec_lo, exec_lo, s28
	s_delay_alu instid0(SALU_CYCLE_1) | instskip(NEXT) | instid1(SALU_CYCLE_1)
	s_and_b32 s28, exec_lo, s25
	s_or_b32 s23, s28, s23
	s_and_not1_b32 s27, s27, exec_lo
	s_and_b32 s0, s0, exec_lo
	s_and_not1_b32 s24, s24, exec_lo
	s_and_b32 s28, s26, exec_lo
	s_or_b32 s27, s27, s0
	s_or_b32 s24, s24, s28
	s_and_not1_b32 exec_lo, exec_lo, s23
	s_cbranch_execz .LBB505_220
.LBB505_218:                            ; =>This Inner Loop Header: Depth=1
	global_load_b64 v[12:13], v[6:7], off
	global_load_b64 v[20:21], v[8:9], off
	s_and_not1_b32 s26, s26, exec_lo
	s_or_b32 s25, s25, exec_lo
	s_wait_loadcnt 0x0
	v_cmp_le_i64_e32 vcc_lo, v[12:13], v[20:21]
	v_cmp_lt_i64_e64 s0, v[12:13], v[20:21]
	s_and_b32 s28, vcc_lo, s27
	s_delay_alu instid0(SALU_CYCLE_1) | instskip(NEXT) | instid1(SALU_CYCLE_1)
	s_or_b32 s0, s0, s28
	s_and_b32 s28, s0, exec_lo
	s_delay_alu instid0(SALU_CYCLE_1)
	s_or_b32 s26, s26, s28
	s_mov_b32 s28, exec_lo
	v_cmpx_eq_u64_e64 v[12:13], v[20:21]
	s_cbranch_execz .LBB505_217
; %bb.219:                              ;   in Loop: Header=BB505_218 Depth=1
	s_add_nc_u64 s[6:7], s[6:7], -1
	v_add_nc_u64_e32 v[6:7], 8, v[6:7]
	s_cmp_eq_u64 s[6:7], 0
	v_add_nc_u64_e32 v[8:9], 8, v[8:9]
	s_cselect_b32 s27, -1, 0
	s_and_not1_b32 s25, s25, exec_lo
	s_and_b32 s27, s27, exec_lo
	s_and_not1_b32 s26, s26, exec_lo
	s_or_b32 s25, s25, s27
                                        ; implicit-def: $sgpr27
	s_branch .LBB505_217
.LBB505_220:
	s_or_b32 exec_lo, exec_lo, s23
	s_xor_b32 s0, s24, -1
	s_branch .LBB505_222
.LBB505_221:
	s_mov_b32 s0, -1
.LBB505_222:
	s_delay_alu instid0(SALU_CYCLE_1)
	s_and_b32 s0, s0, exec_lo
.LBB505_223:
	s_or_b32 exec_lo, exec_lo, s14
	s_delay_alu instid0(SALU_CYCLE_1)
	s_or_not1_b32 s14, s0, exec_lo
.LBB505_224:
	s_or_b32 exec_lo, exec_lo, s22
	v_dual_cndmask_b32 v6, v10, v11, s14 :: v_dual_cndmask_b32 v7, v51, v50, s14
	s_mov_b32 s22, exec_lo
	s_delay_alu instid0(VALU_DEP_1) | instskip(NEXT) | instid1(VALU_DEP_1)
	v_add_nc_u32_e32 v8, 1, v6
	v_add_min_u32_e64 v6, v7, -1, v8
	s_delay_alu instid0(VALU_DEP_1)
	v_lshl_add_u32 v6, v6, 3, v46
	ds_load_b64 v[6:7], v6
	v_cndmask_b32_e64 v13, v11, v8, s14
	s_wait_dscnt 0x0
	v_dual_cndmask_b32 v11, v7, v15, s14 :: v_dual_cndmask_b32 v12, v8, v10, s14
	v_dual_cndmask_b32 v21, v17, v7, s14 :: v_dual_cndmask_b32 v10, v6, v14, s14
	v_cndmask_b32_e64 v20, v16, v6, s14
	s_delay_alu instid0(VALU_DEP_3)
	v_cmpx_lt_u32_e64 v12, v51
	s_cbranch_execz .LBB505_235
; %bb.225:
	s_mov_b32 s0, 0
	s_mov_b32 s15, exec_lo
	v_cmpx_lt_u32_e64 v13, v50
	s_cbranch_execz .LBB505_234
; %bb.226:
	v_cmp_ne_u32_e32 vcc_lo, 1, v45
	s_cbranch_vccnz .LBB505_232
; %bb.227:
	v_mul_u64_e32 v[6:7], s[16:17], v[10:11]
	v_mul_u64_e32 v[8:9], s[16:17], v[20:21]
	s_mov_b32 s23, 0
	s_mov_b64 s[6:7], s[16:17]
                                        ; implicit-def: $sgpr24
                                        ; implicit-def: $sgpr25
                                        ; implicit-def: $sgpr26
                                        ; implicit-def: $sgpr27
	s_delay_alu instid0(VALU_DEP_2) | instskip(NEXT) | instid1(VALU_DEP_2)
	v_lshl_add_u64 v[6:7], v[6:7], 3, s[18:19]
	v_lshl_add_u64 v[8:9], v[8:9], 3, s[18:19]
	s_branch .LBB505_229
.LBB505_228:                            ;   in Loop: Header=BB505_229 Depth=1
	s_or_b32 exec_lo, exec_lo, s28
	s_delay_alu instid0(SALU_CYCLE_1) | instskip(NEXT) | instid1(SALU_CYCLE_1)
	s_and_b32 s28, exec_lo, s25
	s_or_b32 s23, s28, s23
	s_and_not1_b32 s27, s27, exec_lo
	s_and_b32 s0, s0, exec_lo
	s_and_not1_b32 s24, s24, exec_lo
	s_and_b32 s28, s26, exec_lo
	s_or_b32 s27, s27, s0
	s_or_b32 s24, s24, s28
	s_and_not1_b32 exec_lo, exec_lo, s23
	s_cbranch_execz .LBB505_231
.LBB505_229:                            ; =>This Inner Loop Header: Depth=1
	global_load_b64 v[22:23], v[6:7], off
	global_load_b64 v[24:25], v[8:9], off
	s_and_not1_b32 s26, s26, exec_lo
	s_or_b32 s25, s25, exec_lo
	s_wait_loadcnt 0x0
	v_cmp_le_i64_e32 vcc_lo, v[22:23], v[24:25]
	v_cmp_lt_i64_e64 s0, v[22:23], v[24:25]
	s_and_b32 s28, vcc_lo, s27
	s_delay_alu instid0(SALU_CYCLE_1) | instskip(NEXT) | instid1(SALU_CYCLE_1)
	s_or_b32 s0, s0, s28
	s_and_b32 s28, s0, exec_lo
	s_delay_alu instid0(SALU_CYCLE_1)
	s_or_b32 s26, s26, s28
	s_mov_b32 s28, exec_lo
	v_cmpx_eq_u64_e64 v[22:23], v[24:25]
	s_cbranch_execz .LBB505_228
; %bb.230:                              ;   in Loop: Header=BB505_229 Depth=1
	s_add_nc_u64 s[6:7], s[6:7], -1
	v_add_nc_u64_e32 v[6:7], 8, v[6:7]
	s_cmp_eq_u64 s[6:7], 0
	v_add_nc_u64_e32 v[8:9], 8, v[8:9]
	s_cselect_b32 s27, -1, 0
	s_and_not1_b32 s25, s25, exec_lo
	s_and_b32 s27, s27, exec_lo
	s_and_not1_b32 s26, s26, exec_lo
	s_or_b32 s25, s25, s27
                                        ; implicit-def: $sgpr27
	s_branch .LBB505_228
.LBB505_231:
	s_or_b32 exec_lo, exec_lo, s23
	s_xor_b32 s0, s24, -1
	s_branch .LBB505_233
.LBB505_232:
	s_mov_b32 s0, -1
.LBB505_233:
	s_delay_alu instid0(SALU_CYCLE_1)
	s_and_b32 s0, s0, exec_lo
.LBB505_234:
	s_or_b32 exec_lo, exec_lo, s15
	s_delay_alu instid0(SALU_CYCLE_1)
	s_or_not1_b32 s15, s0, exec_lo
.LBB505_235:
	s_or_b32 exec_lo, exec_lo, s22
	v_dual_cndmask_b32 v6, v12, v13, s15 :: v_dual_cndmask_b32 v7, v51, v50, s15
	s_mov_b32 s23, -1
	s_mov_b32 s22, -1
	s_mov_b32 s24, exec_lo
	s_delay_alu instid0(VALU_DEP_1) | instskip(NEXT) | instid1(VALU_DEP_1)
	v_add_nc_u32_e32 v8, 1, v6
	v_add_min_u32_e64 v6, v7, -1, v8
	s_delay_alu instid0(VALU_DEP_1)
	v_lshl_add_u32 v6, v6, 3, v46
	ds_load_b64 v[6:7], v6
	s_wait_dscnt 0x0
	v_dual_cndmask_b32 v25, v13, v8, s15 :: v_dual_cndmask_b32 v22, v20, v6, s15
	v_dual_cndmask_b32 v13, v7, v11, s15 :: v_dual_cndmask_b32 v24, v8, v12, s15
	;; [unrolled: 1-line block ×3, first 2 shown]
	s_delay_alu instid0(VALU_DEP_2)
	v_cmpx_lt_u32_e64 v24, v51
	s_cbranch_execz .LBB505_246
; %bb.236:
	s_mov_b32 s0, 0
	s_mov_b32 s22, exec_lo
	v_cmpx_lt_u32_e64 v25, v50
	s_cbranch_execz .LBB505_245
; %bb.237:
	v_cmp_ne_u32_e32 vcc_lo, 1, v45
	s_cbranch_vccnz .LBB505_243
; %bb.238:
	v_mul_u64_e32 v[6:7], s[16:17], v[12:13]
	v_mul_u64_e32 v[8:9], s[16:17], v[22:23]
	s_mov_b32 s25, 0
	s_mov_b64 s[6:7], s[16:17]
                                        ; implicit-def: $sgpr26
                                        ; implicit-def: $sgpr27
                                        ; implicit-def: $sgpr28
                                        ; implicit-def: $sgpr29
	s_delay_alu instid0(VALU_DEP_2) | instskip(NEXT) | instid1(VALU_DEP_2)
	v_lshl_add_u64 v[6:7], v[6:7], 3, s[18:19]
	v_lshl_add_u64 v[8:9], v[8:9], 3, s[18:19]
	s_branch .LBB505_240
.LBB505_239:                            ;   in Loop: Header=BB505_240 Depth=1
	s_or_b32 exec_lo, exec_lo, s30
	s_delay_alu instid0(SALU_CYCLE_1) | instskip(NEXT) | instid1(SALU_CYCLE_1)
	s_and_b32 s30, exec_lo, s27
	s_or_b32 s25, s30, s25
	s_and_not1_b32 s29, s29, exec_lo
	s_and_b32 s0, s0, exec_lo
	s_and_not1_b32 s26, s26, exec_lo
	s_and_b32 s30, s28, exec_lo
	s_or_b32 s29, s29, s0
	s_or_b32 s26, s26, s30
	s_and_not1_b32 exec_lo, exec_lo, s25
	s_cbranch_execz .LBB505_242
.LBB505_240:                            ; =>This Inner Loop Header: Depth=1
	global_load_b64 v[26:27], v[6:7], off
	global_load_b64 v[28:29], v[8:9], off
	s_and_not1_b32 s28, s28, exec_lo
	s_or_b32 s27, s27, exec_lo
	s_wait_loadcnt 0x0
	v_cmp_le_i64_e32 vcc_lo, v[26:27], v[28:29]
	v_cmp_lt_i64_e64 s0, v[26:27], v[28:29]
	s_and_b32 s30, vcc_lo, s29
	s_delay_alu instid0(SALU_CYCLE_1) | instskip(NEXT) | instid1(SALU_CYCLE_1)
	s_or_b32 s0, s0, s30
	s_and_b32 s30, s0, exec_lo
	s_delay_alu instid0(SALU_CYCLE_1)
	s_or_b32 s28, s28, s30
	s_mov_b32 s30, exec_lo
	v_cmpx_eq_u64_e64 v[26:27], v[28:29]
	s_cbranch_execz .LBB505_239
; %bb.241:                              ;   in Loop: Header=BB505_240 Depth=1
	s_add_nc_u64 s[6:7], s[6:7], -1
	v_add_nc_u64_e32 v[6:7], 8, v[6:7]
	s_cmp_eq_u64 s[6:7], 0
	v_add_nc_u64_e32 v[8:9], 8, v[8:9]
	s_cselect_b32 s29, -1, 0
	s_and_not1_b32 s27, s27, exec_lo
	s_and_b32 s29, s29, exec_lo
	s_and_not1_b32 s28, s28, exec_lo
	s_or_b32 s27, s27, s29
                                        ; implicit-def: $sgpr29
	s_branch .LBB505_239
.LBB505_242:
	s_or_b32 exec_lo, exec_lo, s25
	s_xor_b32 s0, s26, -1
	s_branch .LBB505_244
.LBB505_243:
	s_mov_b32 s0, -1
.LBB505_244:
	s_delay_alu instid0(SALU_CYCLE_1)
	s_and_b32 s0, s0, exec_lo
.LBB505_245:
	s_or_b32 exec_lo, exec_lo, s22
	s_delay_alu instid0(SALU_CYCLE_1)
	s_or_not1_b32 s22, s0, exec_lo
.LBB505_246:
	s_or_b32 exec_lo, exec_lo, s24
	v_dual_cndmask_b32 v6, v24, v25, s22 :: v_dual_cndmask_b32 v7, v51, v50, s22
	s_mov_b32 s24, exec_lo
	s_delay_alu instid0(VALU_DEP_1) | instskip(NEXT) | instid1(VALU_DEP_1)
	v_add_nc_u32_e32 v6, 1, v6
	v_add_min_u32_e64 v7, v7, -1, v6
	s_delay_alu instid0(VALU_DEP_1)
	v_lshl_add_u32 v7, v7, 3, v46
	ds_load_b64 v[8:9], v7
	s_wait_dscnt 0x0
	v_dual_cndmask_b32 v7, v9, v13, s22 :: v_dual_cndmask_b32 v28, v6, v24, s22
	v_dual_cndmask_b32 v29, v25, v6, s22 :: v_dual_cndmask_b32 v6, v8, v12, s22
	;; [unrolled: 1-line block ×3, first 2 shown]
	s_delay_alu instid0(VALU_DEP_3)
	v_cmpx_lt_u32_e64 v28, v51
	s_cbranch_execz .LBB505_257
; %bb.247:
	s_mov_b32 s0, 0
	s_mov_b32 s23, exec_lo
	v_cmpx_lt_u32_e64 v29, v50
	s_cbranch_execz .LBB505_256
; %bb.248:
	v_cmp_ne_u32_e32 vcc_lo, 1, v45
	s_cbranch_vccnz .LBB505_254
; %bb.249:
	v_mul_u64_e32 v[8:9], s[16:17], v[6:7]
	v_mul_u64_e32 v[26:27], s[16:17], v[24:25]
	s_mov_b32 s25, 0
	s_mov_b64 s[6:7], s[16:17]
                                        ; implicit-def: $sgpr26
                                        ; implicit-def: $sgpr27
                                        ; implicit-def: $sgpr28
                                        ; implicit-def: $sgpr29
	s_delay_alu instid0(VALU_DEP_2) | instskip(NEXT) | instid1(VALU_DEP_2)
	v_lshl_add_u64 v[8:9], v[8:9], 3, s[18:19]
	v_lshl_add_u64 v[26:27], v[26:27], 3, s[18:19]
	s_branch .LBB505_251
.LBB505_250:                            ;   in Loop: Header=BB505_251 Depth=1
	s_or_b32 exec_lo, exec_lo, s30
	s_delay_alu instid0(SALU_CYCLE_1) | instskip(NEXT) | instid1(SALU_CYCLE_1)
	s_and_b32 s30, exec_lo, s27
	s_or_b32 s25, s30, s25
	s_and_not1_b32 s29, s29, exec_lo
	s_and_b32 s0, s0, exec_lo
	s_and_not1_b32 s26, s26, exec_lo
	s_and_b32 s30, s28, exec_lo
	s_or_b32 s29, s29, s0
	s_or_b32 s26, s26, s30
	s_and_not1_b32 exec_lo, exec_lo, s25
	s_cbranch_execz .LBB505_253
.LBB505_251:                            ; =>This Inner Loop Header: Depth=1
	global_load_b64 v[30:31], v[8:9], off
	global_load_b64 v[32:33], v[26:27], off
	s_and_not1_b32 s28, s28, exec_lo
	s_or_b32 s27, s27, exec_lo
	s_wait_loadcnt 0x0
	v_cmp_le_i64_e32 vcc_lo, v[30:31], v[32:33]
	v_cmp_lt_i64_e64 s0, v[30:31], v[32:33]
	s_and_b32 s30, vcc_lo, s29
	s_delay_alu instid0(SALU_CYCLE_1) | instskip(NEXT) | instid1(SALU_CYCLE_1)
	s_or_b32 s0, s0, s30
	s_and_b32 s30, s0, exec_lo
	s_delay_alu instid0(SALU_CYCLE_1)
	s_or_b32 s28, s28, s30
	s_mov_b32 s30, exec_lo
	v_cmpx_eq_u64_e64 v[30:31], v[32:33]
	s_cbranch_execz .LBB505_250
; %bb.252:                              ;   in Loop: Header=BB505_251 Depth=1
	s_add_nc_u64 s[6:7], s[6:7], -1
	v_add_nc_u64_e32 v[8:9], 8, v[8:9]
	s_cmp_eq_u64 s[6:7], 0
	v_add_nc_u64_e32 v[26:27], 8, v[26:27]
	s_cselect_b32 s29, -1, 0
	s_and_not1_b32 s27, s27, exec_lo
	s_and_b32 s29, s29, exec_lo
	s_and_not1_b32 s28, s28, exec_lo
	s_or_b32 s27, s27, s29
                                        ; implicit-def: $sgpr29
	s_branch .LBB505_250
.LBB505_253:
	s_or_b32 exec_lo, exec_lo, s25
	s_xor_b32 s0, s26, -1
	s_branch .LBB505_255
.LBB505_254:
	s_mov_b32 s0, -1
.LBB505_255:
	s_delay_alu instid0(SALU_CYCLE_1)
	s_and_b32 s0, s0, exec_lo
.LBB505_256:
	s_or_b32 exec_lo, exec_lo, s23
	s_delay_alu instid0(SALU_CYCLE_1)
	s_or_not1_b32 s23, s0, exec_lo
.LBB505_257:
	s_or_b32 exec_lo, exec_lo, s24
	v_dual_cndmask_b32 v8, v28, v29, s23 :: v_dual_cndmask_b32 v9, v51, v50, s23
	s_mov_b32 s24, -1
	s_mov_b32 s25, -1
	s_mov_b32 s26, exec_lo
	s_delay_alu instid0(VALU_DEP_1) | instskip(NEXT) | instid1(VALU_DEP_1)
	v_add_nc_u32_e32 v8, 1, v8
	v_add_min_u32_e64 v9, v9, -1, v8
	s_delay_alu instid0(VALU_DEP_1)
	v_lshl_add_u32 v9, v9, 3, v46
	ds_load_b64 v[26:27], v9
	s_wait_dscnt 0x0
	v_dual_cndmask_b32 v9, v27, v7, s23 :: v_dual_cndmask_b32 v32, v8, v28, s23
	v_dual_cndmask_b32 v33, v29, v8, s23 :: v_dual_cndmask_b32 v8, v26, v6, s23
	;; [unrolled: 1-line block ×3, first 2 shown]
	s_delay_alu instid0(VALU_DEP_3)
	v_cmpx_lt_u32_e64 v32, v51
	s_cbranch_execz .LBB505_268
; %bb.258:
	s_mov_b32 s0, 0
	s_mov_b32 s25, exec_lo
	v_cmpx_lt_u32_e64 v33, v50
	s_cbranch_execz .LBB505_267
; %bb.259:
	v_cmp_ne_u32_e32 vcc_lo, 1, v45
	s_cbranch_vccnz .LBB505_265
; %bb.260:
	v_mul_u64_e32 v[28:29], s[16:17], v[8:9]
	v_mul_u64_e32 v[30:31], s[16:17], v[26:27]
	s_mov_b32 s27, 0
	s_mov_b64 s[6:7], s[16:17]
                                        ; implicit-def: $sgpr28
                                        ; implicit-def: $sgpr29
                                        ; implicit-def: $sgpr30
                                        ; implicit-def: $sgpr31
	s_delay_alu instid0(VALU_DEP_2) | instskip(NEXT) | instid1(VALU_DEP_2)
	v_lshl_add_u64 v[28:29], v[28:29], 3, s[18:19]
	v_lshl_add_u64 v[30:31], v[30:31], 3, s[18:19]
	s_branch .LBB505_262
.LBB505_261:                            ;   in Loop: Header=BB505_262 Depth=1
	s_or_b32 exec_lo, exec_lo, s33
	s_delay_alu instid0(SALU_CYCLE_1) | instskip(NEXT) | instid1(SALU_CYCLE_1)
	s_and_b32 s33, exec_lo, s29
	s_or_b32 s27, s33, s27
	s_and_not1_b32 s31, s31, exec_lo
	s_and_b32 s0, s0, exec_lo
	s_and_not1_b32 s28, s28, exec_lo
	s_and_b32 s33, s30, exec_lo
	s_or_b32 s31, s31, s0
	s_or_b32 s28, s28, s33
	s_and_not1_b32 exec_lo, exec_lo, s27
	s_cbranch_execz .LBB505_264
.LBB505_262:                            ; =>This Inner Loop Header: Depth=1
	global_load_b64 v[34:35], v[28:29], off
	global_load_b64 v[52:53], v[30:31], off
	s_and_not1_b32 s30, s30, exec_lo
	s_or_b32 s29, s29, exec_lo
	s_wait_loadcnt 0x0
	v_cmp_le_i64_e32 vcc_lo, v[34:35], v[52:53]
	v_cmp_lt_i64_e64 s0, v[34:35], v[52:53]
	s_and_b32 s33, vcc_lo, s31
	s_delay_alu instid0(SALU_CYCLE_1) | instskip(NEXT) | instid1(SALU_CYCLE_1)
	s_or_b32 s0, s0, s33
	s_and_b32 s33, s0, exec_lo
	s_delay_alu instid0(SALU_CYCLE_1)
	s_or_b32 s30, s30, s33
	s_mov_b32 s33, exec_lo
	v_cmpx_eq_u64_e64 v[34:35], v[52:53]
	s_cbranch_execz .LBB505_261
; %bb.263:                              ;   in Loop: Header=BB505_262 Depth=1
	s_add_nc_u64 s[6:7], s[6:7], -1
	v_add_nc_u64_e32 v[28:29], 8, v[28:29]
	s_cmp_eq_u64 s[6:7], 0
	v_add_nc_u64_e32 v[30:31], 8, v[30:31]
	s_cselect_b32 s31, -1, 0
	s_and_not1_b32 s29, s29, exec_lo
	s_and_b32 s31, s31, exec_lo
	s_and_not1_b32 s30, s30, exec_lo
	s_or_b32 s29, s29, s31
                                        ; implicit-def: $sgpr31
	s_branch .LBB505_261
.LBB505_264:
	s_or_b32 exec_lo, exec_lo, s27
	s_xor_b32 s0, s28, -1
	s_branch .LBB505_266
.LBB505_265:
	s_mov_b32 s0, -1
.LBB505_266:
	s_delay_alu instid0(SALU_CYCLE_1)
	s_and_b32 s0, s0, exec_lo
.LBB505_267:
	s_or_b32 exec_lo, exec_lo, s25
	s_delay_alu instid0(SALU_CYCLE_1)
	s_or_not1_b32 s25, s0, exec_lo
.LBB505_268:
	s_or_b32 exec_lo, exec_lo, s26
	v_dual_cndmask_b32 v28, v32, v33, s25 :: v_dual_cndmask_b32 v29, v51, v50, s25
	s_mov_b32 s26, exec_lo
	s_delay_alu instid0(VALU_DEP_1) | instskip(NEXT) | instid1(VALU_DEP_1)
	v_add_nc_u32_e32 v28, 1, v28
	v_add_min_u32_e64 v29, v29, -1, v28
	s_delay_alu instid0(VALU_DEP_1)
	v_lshl_add_u32 v29, v29, 3, v46
	ds_load_b64 v[30:31], v29
	s_wait_dscnt 0x0
	v_dual_cndmask_b32 v29, v31, v9, s25 :: v_dual_cndmask_b32 v53, v28, v32, s25
	v_dual_cndmask_b32 v31, v27, v31, s25 :: v_dual_cndmask_b32 v52, v33, v28, s25
	v_cndmask_b32_e64 v28, v30, v8, s25
	v_cndmask_b32_e64 v30, v26, v30, s25
	s_delay_alu instid0(VALU_DEP_4)
	v_cmpx_lt_u32_e64 v53, v51
	s_cbranch_execz .LBB505_279
; %bb.269:
	s_mov_b32 s0, 0
	s_mov_b32 s24, exec_lo
	v_cmpx_lt_u32_e64 v52, v50
	s_cbranch_execz .LBB505_278
; %bb.270:
	v_cmp_ne_u32_e32 vcc_lo, 1, v45
	s_cbranch_vccnz .LBB505_276
; %bb.271:
	v_mul_u64_e32 v[32:33], s[16:17], v[28:29]
	v_mul_u64_e32 v[34:35], s[16:17], v[30:31]
	s_mov_b32 s27, 0
	s_mov_b64 s[6:7], s[16:17]
                                        ; implicit-def: $sgpr28
                                        ; implicit-def: $sgpr29
                                        ; implicit-def: $sgpr30
                                        ; implicit-def: $sgpr31
	s_delay_alu instid0(VALU_DEP_2) | instskip(NEXT) | instid1(VALU_DEP_2)
	v_lshl_add_u64 v[32:33], v[32:33], 3, s[18:19]
	v_lshl_add_u64 v[34:35], v[34:35], 3, s[18:19]
	s_branch .LBB505_273
.LBB505_272:                            ;   in Loop: Header=BB505_273 Depth=1
	s_or_b32 exec_lo, exec_lo, s33
	s_delay_alu instid0(SALU_CYCLE_1) | instskip(NEXT) | instid1(SALU_CYCLE_1)
	s_and_b32 s33, exec_lo, s29
	s_or_b32 s27, s33, s27
	s_and_not1_b32 s31, s31, exec_lo
	s_and_b32 s0, s0, exec_lo
	s_and_not1_b32 s28, s28, exec_lo
	s_and_b32 s33, s30, exec_lo
	s_or_b32 s31, s31, s0
	s_or_b32 s28, s28, s33
	s_and_not1_b32 exec_lo, exec_lo, s27
	s_cbranch_execz .LBB505_275
.LBB505_273:                            ; =>This Inner Loop Header: Depth=1
	global_load_b64 v[54:55], v[32:33], off
	global_load_b64 v[56:57], v[34:35], off
	s_and_not1_b32 s30, s30, exec_lo
	s_or_b32 s29, s29, exec_lo
	s_wait_loadcnt 0x0
	v_cmp_le_i64_e32 vcc_lo, v[54:55], v[56:57]
	v_cmp_lt_i64_e64 s0, v[54:55], v[56:57]
	s_and_b32 s33, vcc_lo, s31
	s_delay_alu instid0(SALU_CYCLE_1) | instskip(NEXT) | instid1(SALU_CYCLE_1)
	s_or_b32 s0, s0, s33
	s_and_b32 s33, s0, exec_lo
	s_delay_alu instid0(SALU_CYCLE_1)
	s_or_b32 s30, s30, s33
	s_mov_b32 s33, exec_lo
	v_cmpx_eq_u64_e64 v[54:55], v[56:57]
	s_cbranch_execz .LBB505_272
; %bb.274:                              ;   in Loop: Header=BB505_273 Depth=1
	s_add_nc_u64 s[6:7], s[6:7], -1
	v_add_nc_u64_e32 v[32:33], 8, v[32:33]
	s_cmp_eq_u64 s[6:7], 0
	v_add_nc_u64_e32 v[34:35], 8, v[34:35]
	s_cselect_b32 s31, -1, 0
	s_and_not1_b32 s29, s29, exec_lo
	s_and_b32 s31, s31, exec_lo
	s_and_not1_b32 s30, s30, exec_lo
	s_or_b32 s29, s29, s31
                                        ; implicit-def: $sgpr31
	s_branch .LBB505_272
.LBB505_275:
	s_or_b32 exec_lo, exec_lo, s27
	s_xor_b32 s0, s28, -1
	s_branch .LBB505_277
.LBB505_276:
	s_mov_b32 s0, -1
.LBB505_277:
	s_delay_alu instid0(SALU_CYCLE_1)
	s_and_b32 s0, s0, exec_lo
.LBB505_278:
	s_or_b32 exec_lo, exec_lo, s24
	s_delay_alu instid0(SALU_CYCLE_1)
	s_or_not1_b32 s24, s0, exec_lo
.LBB505_279:
	s_or_b32 exec_lo, exec_lo, s26
	v_dual_cndmask_b32 v32, v53, v52, s24 :: v_dual_cndmask_b32 v33, v51, v50, s24
	v_dual_cndmask_b32 v8, v8, v26, s25 :: v_dual_cndmask_b32 v7, v7, v25, s23
	;; [unrolled: 1-line block ×3, first 2 shown]
	s_delay_alu instid0(VALU_DEP_3) | instskip(SKIP_2) | instid1(VALU_DEP_3)
	v_dual_add_nc_u32 v34, 1, v32 :: v_dual_cndmask_b32 v9, v9, v27, s25
	v_dual_cndmask_b32 v12, v12, v22, s22 :: v_dual_cndmask_b32 v11, v11, v21, s15
	v_dual_cndmask_b32 v10, v10, v20, s15 :: v_dual_cndmask_b32 v17, v15, v17, s14
	v_add_min_u32_e64 v32, v33, -1, v34
	v_dual_cndmask_b32 v16, v14, v16, s14 :: v_dual_cndmask_b32 v15, v5, v3, s5
	v_dual_cndmask_b32 v14, v4, v2, s5 :: v_dual_cndmask_b32 v20, v34, v53, s24
	s_delay_alu instid0(VALU_DEP_3)
	v_lshl_add_u32 v32, v32, 3, v46
	v_dual_cndmask_b32 v3, v29, v31, s24 :: v_dual_cndmask_b32 v2, v28, v30, s24
	s_mov_b32 s5, exec_lo
	ds_load_b64 v[32:33], v32
	s_wait_dscnt 0x0
	v_dual_cndmask_b32 v5, v31, v33, s24 :: v_dual_cndmask_b32 v4, v30, v32, s24
	v_cmpx_lt_u32_e64 v20, v51
	s_cbranch_execz .LBB505_289
; %bb.280:
	v_dual_cndmask_b32 v22, v52, v34, s24 :: v_dual_cndmask_b32 v21, v33, v29, s24
	v_cndmask_b32_e64 v20, v32, v28, s24
	s_mov_b32 s14, exec_lo
	s_delay_alu instid0(VALU_DEP_2)
	v_cmpx_lt_u32_e64 v22, v50
	s_cbranch_execz .LBB505_288
; %bb.281:
	v_cmp_ne_u32_e32 vcc_lo, 1, v45
	s_cbranch_vccnz .LBB505_287
; %bb.282:
	v_mul_u64_e32 v[22:23], s[16:17], v[20:21]
	v_mul_u64_e32 v[24:25], s[16:17], v[4:5]
	s_mov_b32 s15, 0
	s_mov_b64 s[6:7], s[16:17]
                                        ; implicit-def: $sgpr22
                                        ; implicit-def: $sgpr23
                                        ; implicit-def: $sgpr24
                                        ; implicit-def: $sgpr25
	s_delay_alu instid0(VALU_DEP_2) | instskip(NEXT) | instid1(VALU_DEP_2)
	v_lshl_add_u64 v[22:23], v[22:23], 3, s[18:19]
	v_lshl_add_u64 v[24:25], v[24:25], 3, s[18:19]
	s_branch .LBB505_284
.LBB505_283:                            ;   in Loop: Header=BB505_284 Depth=1
	s_or_b32 exec_lo, exec_lo, s26
	s_delay_alu instid0(SALU_CYCLE_1) | instskip(NEXT) | instid1(SALU_CYCLE_1)
	s_and_b32 s26, exec_lo, s23
	s_or_b32 s15, s26, s15
	s_and_not1_b32 s25, s25, exec_lo
	s_and_b32 s0, s0, exec_lo
	s_and_not1_b32 s22, s22, exec_lo
	s_and_b32 s26, s24, exec_lo
	s_or_b32 s25, s25, s0
	s_or_b32 s22, s22, s26
	s_and_not1_b32 exec_lo, exec_lo, s15
	s_cbranch_execz .LBB505_286
.LBB505_284:                            ; =>This Inner Loop Header: Depth=1
	global_load_b64 v[26:27], v[22:23], off
	global_load_b64 v[28:29], v[24:25], off
	s_and_not1_b32 s24, s24, exec_lo
	s_or_b32 s23, s23, exec_lo
	s_wait_loadcnt 0x0
	v_cmp_le_i64_e32 vcc_lo, v[26:27], v[28:29]
	v_cmp_lt_i64_e64 s0, v[26:27], v[28:29]
	s_and_b32 s26, vcc_lo, s25
	s_delay_alu instid0(SALU_CYCLE_1) | instskip(NEXT) | instid1(SALU_CYCLE_1)
	s_or_b32 s0, s0, s26
	s_and_b32 s26, s0, exec_lo
	s_delay_alu instid0(SALU_CYCLE_1)
	s_or_b32 s24, s24, s26
	s_mov_b32 s26, exec_lo
	v_cmpx_eq_u64_e64 v[26:27], v[28:29]
	s_cbranch_execz .LBB505_283
; %bb.285:                              ;   in Loop: Header=BB505_284 Depth=1
	s_add_nc_u64 s[6:7], s[6:7], -1
	v_add_nc_u64_e32 v[22:23], 8, v[22:23]
	s_cmp_eq_u64 s[6:7], 0
	v_add_nc_u64_e32 v[24:25], 8, v[24:25]
	s_cselect_b32 s25, -1, 0
	s_and_not1_b32 s23, s23, exec_lo
	s_and_b32 s25, s25, exec_lo
	s_and_not1_b32 s24, s24, exec_lo
	s_or_b32 s23, s23, s25
                                        ; implicit-def: $sgpr25
	s_branch .LBB505_283
.LBB505_286:
	s_or_b32 exec_lo, exec_lo, s15
	v_dual_cndmask_b32 v5, v5, v21, s22 :: v_dual_cndmask_b32 v4, v4, v20, s22
.LBB505_287:
	s_delay_alu instid0(VALU_DEP_1)
	v_mov_b64_e32 v[20:21], v[4:5]
.LBB505_288:
	s_or_b32 exec_lo, exec_lo, s14
	s_delay_alu instid0(VALU_DEP_1)
	v_mov_b64_e32 v[4:5], v[20:21]
.LBB505_289:
	s_or_b32 exec_lo, exec_lo, s5
.LBB505_290:
	s_delay_alu instid0(SALU_CYCLE_1)
	s_or_b32 exec_lo, exec_lo, s1
	v_and_b32_e32 v26, 0xe0, v48
	s_mov_b32 s1, exec_lo
	; wave barrier
	ds_store_b128 v49, v[14:17]
	ds_store_b128 v49, v[10:13] offset:16
	v_or_b32_e32 v20, 16, v26
	v_lshl_add_u32 v25, v26, 3, v46
	ds_store_b128 v49, v[6:9] offset:32
	ds_store_b128 v49, v[2:5] offset:48
	; wave barrier
	v_min_u32_e32 v50, v47, v20
	v_and_b32_e32 v20, 24, v48
	s_delay_alu instid0(VALU_DEP_2) | instskip(NEXT) | instid1(VALU_DEP_2)
	v_add_min_u32_e64 v51, v50, 16, v47
	v_min_u32_e32 v27, v47, v20
	v_sub_nc_u32_e32 v21, v50, v26
	s_delay_alu instid0(VALU_DEP_3) | instskip(NEXT) | instid1(VALU_DEP_2)
	v_sub_nc_u32_e32 v20, v51, v50
	v_min_u32_e32 v28, v27, v21
	s_delay_alu instid0(VALU_DEP_2) | instskip(NEXT) | instid1(VALU_DEP_1)
	v_sub_nc_u32_e64 v24, v27, v20 clamp
	v_cmpx_lt_u32_e64 v24, v28
	s_cbranch_execz .LBB505_300
; %bb.291:
	v_dual_lshlrev_b32 v20, 3, v50 :: v_dual_lshlrev_b32 v21, 3, v27
	s_lshl_b64 s[6:7], s[16:17], 3
	s_mov_b32 s5, 0
	s_delay_alu instid0(VALU_DEP_1)
	v_add3_u32 v29, v46, v20, v21
	s_branch .LBB505_294
.LBB505_292:                            ;   in Loop: Header=BB505_294 Depth=1
	s_or_b32 exec_lo, exec_lo, s23
.LBB505_293:                            ;   in Loop: Header=BB505_294 Depth=1
	s_delay_alu instid0(VALU_DEP_1) | instskip(NEXT) | instid1(VALU_DEP_1)
	v_dual_add_nc_u32 v20, 1, v30 :: v_dual_cndmask_b32 v28, v28, v30, s22
	v_cndmask_b32_e64 v24, v20, v24, s22
	s_delay_alu instid0(VALU_DEP_1) | instskip(SKIP_1) | instid1(SALU_CYCLE_1)
	v_cmp_ge_u32_e32 vcc_lo, v24, v28
	s_or_b32 s5, vcc_lo, s5
	s_and_not1_b32 exec_lo, exec_lo, s5
	s_cbranch_execz .LBB505_299
.LBB505_294:                            ; =>This Loop Header: Depth=1
                                        ;     Child Loop BB505_297 Depth 2
	v_add_nc_u32_e32 v20, v28, v24
	v_cmp_ne_u32_e32 vcc_lo, 1, v45
	s_mov_b32 s22, 0
	s_delay_alu instid0(VALU_DEP_2)
	v_lshrrev_b32_e32 v30, 1, v20
	s_cbranch_vccnz .LBB505_293
; %bb.295:                              ;   in Loop: Header=BB505_294 Depth=1
	s_delay_alu instid0(VALU_DEP_1) | instskip(SKIP_3) | instid1(VALU_DEP_2)
	v_not_b32_e32 v20, v30
	v_lshl_add_u32 v21, v30, 3, v25
	s_mov_b32 s23, 0
	s_mov_b64 s[14:15], s[16:17]
                                        ; implicit-def: $sgpr22
                                        ; implicit-def: $sgpr24
                                        ; implicit-def: $sgpr25
                                        ; implicit-def: $sgpr26
	v_lshl_add_u32 v20, v20, 3, v29
	ds_load_b64 v[32:33], v20
	ds_load_b64 v[34:35], v21
	s_wait_dscnt 0x1
	v_mad_nc_u64_u32 v[20:21], s6, v32, s[18:19]
	s_wait_dscnt 0x0
	v_mad_nc_u64_u32 v[22:23], s6, v34, s[18:19]
	s_delay_alu instid0(VALU_DEP_2) | instskip(NEXT) | instid1(VALU_DEP_2)
	v_mad_u32 v21, s7, v32, v21
	v_mad_u32 v23, s7, v34, v23
	s_delay_alu instid0(VALU_DEP_2) | instskip(NEXT) | instid1(VALU_DEP_2)
	v_mad_u32 v21, s6, v33, v21
	v_mad_u32 v23, s6, v35, v23
	s_branch .LBB505_297
.LBB505_296:                            ;   in Loop: Header=BB505_297 Depth=2
	s_or_b32 exec_lo, exec_lo, s27
	s_delay_alu instid0(SALU_CYCLE_1) | instskip(NEXT) | instid1(SALU_CYCLE_1)
	s_and_b32 s27, exec_lo, s24
	s_or_b32 s23, s27, s23
	s_and_not1_b32 s26, s26, exec_lo
	s_and_b32 s0, s0, exec_lo
	s_and_not1_b32 s22, s22, exec_lo
	s_and_b32 s27, s25, exec_lo
	s_or_b32 s26, s26, s0
	s_or_b32 s22, s22, s27
	s_and_not1_b32 exec_lo, exec_lo, s23
	s_cbranch_execz .LBB505_292
.LBB505_297:                            ;   Parent Loop BB505_294 Depth=1
                                        ; =>  This Inner Loop Header: Depth=2
	global_load_b64 v[32:33], v[20:21], off
	global_load_b64 v[34:35], v[22:23], off
	s_and_not1_b32 s25, s25, exec_lo
	s_or_b32 s24, s24, exec_lo
	s_wait_loadcnt 0x0
	v_cmp_le_i64_e32 vcc_lo, v[32:33], v[34:35]
	v_cmp_lt_i64_e64 s0, v[32:33], v[34:35]
	s_and_b32 s27, vcc_lo, s26
	s_delay_alu instid0(SALU_CYCLE_1) | instskip(NEXT) | instid1(SALU_CYCLE_1)
	s_or_b32 s0, s0, s27
	s_and_b32 s27, s0, exec_lo
	s_delay_alu instid0(SALU_CYCLE_1)
	s_or_b32 s25, s25, s27
	s_mov_b32 s27, exec_lo
	v_cmpx_eq_u64_e64 v[32:33], v[34:35]
	s_cbranch_execz .LBB505_296
; %bb.298:                              ;   in Loop: Header=BB505_297 Depth=2
	s_add_nc_u64 s[14:15], s[14:15], -1
	v_add_nc_u64_e32 v[20:21], 8, v[20:21]
	s_cmp_eq_u64 s[14:15], 0
	v_add_nc_u64_e32 v[22:23], 8, v[22:23]
	s_cselect_b32 s26, -1, 0
	s_and_not1_b32 s24, s24, exec_lo
	s_and_b32 s26, s26, exec_lo
	s_and_not1_b32 s25, s25, exec_lo
	s_or_b32 s24, s24, s26
                                        ; implicit-def: $sgpr26
	s_branch .LBB505_296
.LBB505_299:
	s_or_b32 exec_lo, exec_lo, s5
.LBB505_300:
	s_delay_alu instid0(SALU_CYCLE_1) | instskip(SKIP_1) | instid1(VALU_DEP_1)
	s_or_b32 exec_lo, exec_lo, s1
	v_dual_add_nc_u32 v21, v50, v27 :: v_dual_add_nc_u32 v20, v24, v26
	v_sub_nc_u32_e32 v21, v21, v24
	s_delay_alu instid0(VALU_DEP_2) | instskip(NEXT) | instid1(VALU_DEP_2)
	v_cmp_le_u32_e32 vcc_lo, v20, v50
	v_cmp_le_u32_e64 s0, v21, v51
	s_or_b32 s0, vcc_lo, s0
	s_delay_alu instid0(SALU_CYCLE_1)
	s_and_saveexec_b32 s1, s0
	s_cbranch_execz .LBB505_391
; %bb.301:
	s_mov_b32 s5, exec_lo
	v_cmp_ge_u32_e32 vcc_lo, v20, v50
                                        ; implicit-def: $vgpr2_vgpr3
	v_cmpx_lt_u32_e64 v20, v50
; %bb.302:
	v_lshl_add_u32 v2, v24, 3, v25
	ds_load_b64 v[2:3], v2
; %bb.303:
	s_or_b32 exec_lo, exec_lo, s5
	v_cmp_ge_u32_e64 s5, v21, v51
	s_mov_b32 s6, exec_lo
                                        ; implicit-def: $vgpr4_vgpr5
	v_cmpx_lt_u32_e64 v21, v51
; %bb.304:
	v_lshl_add_u32 v4, v21, 3, v46
	ds_load_b64 v[4:5], v4
; %bb.305:
	s_or_b32 exec_lo, exec_lo, s6
	s_nor_b32 s0, vcc_lo, s5
	s_delay_alu instid0(SALU_CYCLE_1)
	s_and_saveexec_b32 s14, s0
	s_cbranch_execz .LBB505_314
; %bb.306:
	v_cmp_ne_u32_e32 vcc_lo, 1, v45
	s_cbranch_vccnz .LBB505_312
; %bb.307:
	s_wait_dscnt 0x0
	v_mul_u64_e32 v[6:7], s[16:17], v[4:5]
	v_mul_u64_e32 v[8:9], s[16:17], v[2:3]
	s_mov_b32 s15, 0
	s_mov_b64 s[6:7], s[16:17]
                                        ; implicit-def: $sgpr22
                                        ; implicit-def: $sgpr23
                                        ; implicit-def: $sgpr24
                                        ; implicit-def: $sgpr25
	s_delay_alu instid0(VALU_DEP_2) | instskip(NEXT) | instid1(VALU_DEP_2)
	v_lshl_add_u64 v[6:7], v[6:7], 3, s[18:19]
	v_lshl_add_u64 v[8:9], v[8:9], 3, s[18:19]
	s_branch .LBB505_309
.LBB505_308:                            ;   in Loop: Header=BB505_309 Depth=1
	s_or_b32 exec_lo, exec_lo, s26
	s_delay_alu instid0(SALU_CYCLE_1) | instskip(NEXT) | instid1(SALU_CYCLE_1)
	s_and_b32 s26, exec_lo, s23
	s_or_b32 s15, s26, s15
	s_and_not1_b32 s25, s25, exec_lo
	s_and_b32 s0, s0, exec_lo
	s_and_not1_b32 s22, s22, exec_lo
	s_and_b32 s26, s24, exec_lo
	s_or_b32 s25, s25, s0
	s_or_b32 s22, s22, s26
	s_and_not1_b32 exec_lo, exec_lo, s15
	s_cbranch_execz .LBB505_311
.LBB505_309:                            ; =>This Inner Loop Header: Depth=1
	global_load_b64 v[10:11], v[6:7], off
	global_load_b64 v[12:13], v[8:9], off
	s_and_not1_b32 s24, s24, exec_lo
	s_or_b32 s23, s23, exec_lo
	s_wait_loadcnt 0x0
	v_cmp_le_i64_e32 vcc_lo, v[10:11], v[12:13]
	v_cmp_lt_i64_e64 s0, v[10:11], v[12:13]
	s_and_b32 s26, vcc_lo, s25
	s_delay_alu instid0(SALU_CYCLE_1) | instskip(NEXT) | instid1(SALU_CYCLE_1)
	s_or_b32 s0, s0, s26
	s_and_b32 s26, s0, exec_lo
	s_delay_alu instid0(SALU_CYCLE_1)
	s_or_b32 s24, s24, s26
	s_mov_b32 s26, exec_lo
	v_cmpx_eq_u64_e64 v[10:11], v[12:13]
	s_cbranch_execz .LBB505_308
; %bb.310:                              ;   in Loop: Header=BB505_309 Depth=1
	s_add_nc_u64 s[6:7], s[6:7], -1
	v_add_nc_u64_e32 v[6:7], 8, v[6:7]
	s_cmp_eq_u64 s[6:7], 0
	v_add_nc_u64_e32 v[8:9], 8, v[8:9]
	s_cselect_b32 s25, -1, 0
	s_and_not1_b32 s23, s23, exec_lo
	s_and_b32 s25, s25, exec_lo
	s_and_not1_b32 s24, s24, exec_lo
	s_or_b32 s23, s23, s25
                                        ; implicit-def: $sgpr25
	s_branch .LBB505_308
.LBB505_311:
	s_or_b32 exec_lo, exec_lo, s15
	s_xor_b32 s0, s22, -1
	s_branch .LBB505_313
.LBB505_312:
	s_mov_b32 s0, -1
.LBB505_313:
	s_and_not1_b32 s5, s5, exec_lo
	s_and_b32 s0, s0, exec_lo
	s_delay_alu instid0(SALU_CYCLE_1)
	s_or_b32 s5, s5, s0
.LBB505_314:
	s_or_b32 exec_lo, exec_lo, s14
	v_dual_cndmask_b32 v6, v21, v20, s5 :: v_dual_cndmask_b32 v7, v51, v50, s5
	s_mov_b32 s15, -1
	s_mov_b32 s14, -1
	s_mov_b32 s22, exec_lo
	s_delay_alu instid0(VALU_DEP_1) | instskip(NEXT) | instid1(VALU_DEP_1)
	v_add_nc_u32_e32 v8, 1, v6
	v_add_min_u32_e64 v6, v7, -1, v8
	s_delay_alu instid0(VALU_DEP_1)
	v_lshl_add_u32 v6, v6, 3, v46
	ds_load_b64 v[6:7], v6
	s_wait_dscnt 0x0
	v_cndmask_b32_e64 v15, v7, v5, s5
	v_dual_cndmask_b32 v10, v8, v21, s5 :: v_dual_cndmask_b32 v14, v6, v4, s5
	v_dual_cndmask_b32 v11, v20, v8, s5 :: v_dual_cndmask_b32 v17, v3, v7, s5
	v_cndmask_b32_e64 v16, v2, v6, s5
	s_delay_alu instid0(VALU_DEP_3)
	v_cmpx_lt_u32_e64 v10, v51
	s_cbranch_execz .LBB505_325
; %bb.315:
	s_mov_b32 s0, 0
	s_mov_b32 s14, exec_lo
	v_cmpx_lt_u32_e64 v11, v50
	s_cbranch_execz .LBB505_324
; %bb.316:
	v_cmp_ne_u32_e32 vcc_lo, 1, v45
	s_cbranch_vccnz .LBB505_322
; %bb.317:
	v_mul_u64_e32 v[6:7], s[16:17], v[14:15]
	v_mul_u64_e32 v[8:9], s[16:17], v[16:17]
	s_mov_b32 s23, 0
	s_mov_b64 s[6:7], s[16:17]
                                        ; implicit-def: $sgpr24
                                        ; implicit-def: $sgpr25
                                        ; implicit-def: $sgpr26
                                        ; implicit-def: $sgpr27
	s_delay_alu instid0(VALU_DEP_2) | instskip(NEXT) | instid1(VALU_DEP_2)
	v_lshl_add_u64 v[6:7], v[6:7], 3, s[18:19]
	v_lshl_add_u64 v[8:9], v[8:9], 3, s[18:19]
	s_branch .LBB505_319
.LBB505_318:                            ;   in Loop: Header=BB505_319 Depth=1
	s_or_b32 exec_lo, exec_lo, s28
	s_delay_alu instid0(SALU_CYCLE_1) | instskip(NEXT) | instid1(SALU_CYCLE_1)
	s_and_b32 s28, exec_lo, s25
	s_or_b32 s23, s28, s23
	s_and_not1_b32 s27, s27, exec_lo
	s_and_b32 s0, s0, exec_lo
	s_and_not1_b32 s24, s24, exec_lo
	s_and_b32 s28, s26, exec_lo
	s_or_b32 s27, s27, s0
	s_or_b32 s24, s24, s28
	s_and_not1_b32 exec_lo, exec_lo, s23
	s_cbranch_execz .LBB505_321
.LBB505_319:                            ; =>This Inner Loop Header: Depth=1
	global_load_b64 v[12:13], v[6:7], off
	global_load_b64 v[20:21], v[8:9], off
	s_and_not1_b32 s26, s26, exec_lo
	s_or_b32 s25, s25, exec_lo
	s_wait_loadcnt 0x0
	v_cmp_le_i64_e32 vcc_lo, v[12:13], v[20:21]
	v_cmp_lt_i64_e64 s0, v[12:13], v[20:21]
	s_and_b32 s28, vcc_lo, s27
	s_delay_alu instid0(SALU_CYCLE_1) | instskip(NEXT) | instid1(SALU_CYCLE_1)
	s_or_b32 s0, s0, s28
	s_and_b32 s28, s0, exec_lo
	s_delay_alu instid0(SALU_CYCLE_1)
	s_or_b32 s26, s26, s28
	s_mov_b32 s28, exec_lo
	v_cmpx_eq_u64_e64 v[12:13], v[20:21]
	s_cbranch_execz .LBB505_318
; %bb.320:                              ;   in Loop: Header=BB505_319 Depth=1
	s_add_nc_u64 s[6:7], s[6:7], -1
	v_add_nc_u64_e32 v[6:7], 8, v[6:7]
	s_cmp_eq_u64 s[6:7], 0
	v_add_nc_u64_e32 v[8:9], 8, v[8:9]
	s_cselect_b32 s27, -1, 0
	s_and_not1_b32 s25, s25, exec_lo
	s_and_b32 s27, s27, exec_lo
	s_and_not1_b32 s26, s26, exec_lo
	s_or_b32 s25, s25, s27
                                        ; implicit-def: $sgpr27
	s_branch .LBB505_318
.LBB505_321:
	s_or_b32 exec_lo, exec_lo, s23
	s_xor_b32 s0, s24, -1
	s_branch .LBB505_323
.LBB505_322:
	s_mov_b32 s0, -1
.LBB505_323:
	s_delay_alu instid0(SALU_CYCLE_1)
	s_and_b32 s0, s0, exec_lo
.LBB505_324:
	s_or_b32 exec_lo, exec_lo, s14
	s_delay_alu instid0(SALU_CYCLE_1)
	s_or_not1_b32 s14, s0, exec_lo
.LBB505_325:
	s_or_b32 exec_lo, exec_lo, s22
	v_dual_cndmask_b32 v6, v10, v11, s14 :: v_dual_cndmask_b32 v7, v51, v50, s14
	s_mov_b32 s22, exec_lo
	s_delay_alu instid0(VALU_DEP_1) | instskip(NEXT) | instid1(VALU_DEP_1)
	v_add_nc_u32_e32 v8, 1, v6
	v_add_min_u32_e64 v6, v7, -1, v8
	s_delay_alu instid0(VALU_DEP_1)
	v_lshl_add_u32 v6, v6, 3, v46
	ds_load_b64 v[6:7], v6
	v_cndmask_b32_e64 v13, v11, v8, s14
	s_wait_dscnt 0x0
	v_dual_cndmask_b32 v11, v7, v15, s14 :: v_dual_cndmask_b32 v12, v8, v10, s14
	v_dual_cndmask_b32 v21, v17, v7, s14 :: v_dual_cndmask_b32 v10, v6, v14, s14
	v_cndmask_b32_e64 v20, v16, v6, s14
	s_delay_alu instid0(VALU_DEP_3)
	v_cmpx_lt_u32_e64 v12, v51
	s_cbranch_execz .LBB505_336
; %bb.326:
	s_mov_b32 s0, 0
	s_mov_b32 s15, exec_lo
	v_cmpx_lt_u32_e64 v13, v50
	s_cbranch_execz .LBB505_335
; %bb.327:
	v_cmp_ne_u32_e32 vcc_lo, 1, v45
	s_cbranch_vccnz .LBB505_333
; %bb.328:
	v_mul_u64_e32 v[6:7], s[16:17], v[10:11]
	v_mul_u64_e32 v[8:9], s[16:17], v[20:21]
	s_mov_b32 s23, 0
	s_mov_b64 s[6:7], s[16:17]
                                        ; implicit-def: $sgpr24
                                        ; implicit-def: $sgpr25
                                        ; implicit-def: $sgpr26
                                        ; implicit-def: $sgpr27
	s_delay_alu instid0(VALU_DEP_2) | instskip(NEXT) | instid1(VALU_DEP_2)
	v_lshl_add_u64 v[6:7], v[6:7], 3, s[18:19]
	v_lshl_add_u64 v[8:9], v[8:9], 3, s[18:19]
	s_branch .LBB505_330
.LBB505_329:                            ;   in Loop: Header=BB505_330 Depth=1
	s_or_b32 exec_lo, exec_lo, s28
	s_delay_alu instid0(SALU_CYCLE_1) | instskip(NEXT) | instid1(SALU_CYCLE_1)
	s_and_b32 s28, exec_lo, s25
	s_or_b32 s23, s28, s23
	s_and_not1_b32 s27, s27, exec_lo
	s_and_b32 s0, s0, exec_lo
	s_and_not1_b32 s24, s24, exec_lo
	s_and_b32 s28, s26, exec_lo
	s_or_b32 s27, s27, s0
	s_or_b32 s24, s24, s28
	s_and_not1_b32 exec_lo, exec_lo, s23
	s_cbranch_execz .LBB505_332
.LBB505_330:                            ; =>This Inner Loop Header: Depth=1
	global_load_b64 v[22:23], v[6:7], off
	global_load_b64 v[24:25], v[8:9], off
	s_and_not1_b32 s26, s26, exec_lo
	s_or_b32 s25, s25, exec_lo
	s_wait_loadcnt 0x0
	v_cmp_le_i64_e32 vcc_lo, v[22:23], v[24:25]
	v_cmp_lt_i64_e64 s0, v[22:23], v[24:25]
	s_and_b32 s28, vcc_lo, s27
	s_delay_alu instid0(SALU_CYCLE_1) | instskip(NEXT) | instid1(SALU_CYCLE_1)
	s_or_b32 s0, s0, s28
	s_and_b32 s28, s0, exec_lo
	s_delay_alu instid0(SALU_CYCLE_1)
	s_or_b32 s26, s26, s28
	s_mov_b32 s28, exec_lo
	v_cmpx_eq_u64_e64 v[22:23], v[24:25]
	s_cbranch_execz .LBB505_329
; %bb.331:                              ;   in Loop: Header=BB505_330 Depth=1
	s_add_nc_u64 s[6:7], s[6:7], -1
	v_add_nc_u64_e32 v[6:7], 8, v[6:7]
	s_cmp_eq_u64 s[6:7], 0
	v_add_nc_u64_e32 v[8:9], 8, v[8:9]
	s_cselect_b32 s27, -1, 0
	s_and_not1_b32 s25, s25, exec_lo
	s_and_b32 s27, s27, exec_lo
	s_and_not1_b32 s26, s26, exec_lo
	s_or_b32 s25, s25, s27
                                        ; implicit-def: $sgpr27
	s_branch .LBB505_329
.LBB505_332:
	s_or_b32 exec_lo, exec_lo, s23
	s_xor_b32 s0, s24, -1
	s_branch .LBB505_334
.LBB505_333:
	s_mov_b32 s0, -1
.LBB505_334:
	s_delay_alu instid0(SALU_CYCLE_1)
	s_and_b32 s0, s0, exec_lo
.LBB505_335:
	s_or_b32 exec_lo, exec_lo, s15
	s_delay_alu instid0(SALU_CYCLE_1)
	s_or_not1_b32 s15, s0, exec_lo
.LBB505_336:
	s_or_b32 exec_lo, exec_lo, s22
	v_dual_cndmask_b32 v6, v12, v13, s15 :: v_dual_cndmask_b32 v7, v51, v50, s15
	s_mov_b32 s23, -1
	s_mov_b32 s22, -1
	s_mov_b32 s24, exec_lo
	s_delay_alu instid0(VALU_DEP_1) | instskip(NEXT) | instid1(VALU_DEP_1)
	v_add_nc_u32_e32 v8, 1, v6
	v_add_min_u32_e64 v6, v7, -1, v8
	s_delay_alu instid0(VALU_DEP_1)
	v_lshl_add_u32 v6, v6, 3, v46
	ds_load_b64 v[6:7], v6
	s_wait_dscnt 0x0
	v_dual_cndmask_b32 v25, v13, v8, s15 :: v_dual_cndmask_b32 v22, v20, v6, s15
	v_dual_cndmask_b32 v13, v7, v11, s15 :: v_dual_cndmask_b32 v24, v8, v12, s15
	;; [unrolled: 1-line block ×3, first 2 shown]
	s_delay_alu instid0(VALU_DEP_2)
	v_cmpx_lt_u32_e64 v24, v51
	s_cbranch_execz .LBB505_347
; %bb.337:
	s_mov_b32 s0, 0
	s_mov_b32 s22, exec_lo
	v_cmpx_lt_u32_e64 v25, v50
	s_cbranch_execz .LBB505_346
; %bb.338:
	v_cmp_ne_u32_e32 vcc_lo, 1, v45
	s_cbranch_vccnz .LBB505_344
; %bb.339:
	v_mul_u64_e32 v[6:7], s[16:17], v[12:13]
	v_mul_u64_e32 v[8:9], s[16:17], v[22:23]
	s_mov_b32 s25, 0
	s_mov_b64 s[6:7], s[16:17]
                                        ; implicit-def: $sgpr26
                                        ; implicit-def: $sgpr27
                                        ; implicit-def: $sgpr28
                                        ; implicit-def: $sgpr29
	s_delay_alu instid0(VALU_DEP_2) | instskip(NEXT) | instid1(VALU_DEP_2)
	v_lshl_add_u64 v[6:7], v[6:7], 3, s[18:19]
	v_lshl_add_u64 v[8:9], v[8:9], 3, s[18:19]
	s_branch .LBB505_341
.LBB505_340:                            ;   in Loop: Header=BB505_341 Depth=1
	s_or_b32 exec_lo, exec_lo, s30
	s_delay_alu instid0(SALU_CYCLE_1) | instskip(NEXT) | instid1(SALU_CYCLE_1)
	s_and_b32 s30, exec_lo, s27
	s_or_b32 s25, s30, s25
	s_and_not1_b32 s29, s29, exec_lo
	s_and_b32 s0, s0, exec_lo
	s_and_not1_b32 s26, s26, exec_lo
	s_and_b32 s30, s28, exec_lo
	s_or_b32 s29, s29, s0
	s_or_b32 s26, s26, s30
	s_and_not1_b32 exec_lo, exec_lo, s25
	s_cbranch_execz .LBB505_343
.LBB505_341:                            ; =>This Inner Loop Header: Depth=1
	global_load_b64 v[26:27], v[6:7], off
	global_load_b64 v[28:29], v[8:9], off
	s_and_not1_b32 s28, s28, exec_lo
	s_or_b32 s27, s27, exec_lo
	s_wait_loadcnt 0x0
	v_cmp_le_i64_e32 vcc_lo, v[26:27], v[28:29]
	v_cmp_lt_i64_e64 s0, v[26:27], v[28:29]
	s_and_b32 s30, vcc_lo, s29
	s_delay_alu instid0(SALU_CYCLE_1) | instskip(NEXT) | instid1(SALU_CYCLE_1)
	s_or_b32 s0, s0, s30
	s_and_b32 s30, s0, exec_lo
	s_delay_alu instid0(SALU_CYCLE_1)
	s_or_b32 s28, s28, s30
	s_mov_b32 s30, exec_lo
	v_cmpx_eq_u64_e64 v[26:27], v[28:29]
	s_cbranch_execz .LBB505_340
; %bb.342:                              ;   in Loop: Header=BB505_341 Depth=1
	s_add_nc_u64 s[6:7], s[6:7], -1
	v_add_nc_u64_e32 v[6:7], 8, v[6:7]
	s_cmp_eq_u64 s[6:7], 0
	v_add_nc_u64_e32 v[8:9], 8, v[8:9]
	s_cselect_b32 s29, -1, 0
	s_and_not1_b32 s27, s27, exec_lo
	s_and_b32 s29, s29, exec_lo
	s_and_not1_b32 s28, s28, exec_lo
	s_or_b32 s27, s27, s29
                                        ; implicit-def: $sgpr29
	s_branch .LBB505_340
.LBB505_343:
	s_or_b32 exec_lo, exec_lo, s25
	s_xor_b32 s0, s26, -1
	s_branch .LBB505_345
.LBB505_344:
	s_mov_b32 s0, -1
.LBB505_345:
	s_delay_alu instid0(SALU_CYCLE_1)
	s_and_b32 s0, s0, exec_lo
.LBB505_346:
	s_or_b32 exec_lo, exec_lo, s22
	s_delay_alu instid0(SALU_CYCLE_1)
	s_or_not1_b32 s22, s0, exec_lo
.LBB505_347:
	s_or_b32 exec_lo, exec_lo, s24
	v_dual_cndmask_b32 v6, v24, v25, s22 :: v_dual_cndmask_b32 v7, v51, v50, s22
	s_mov_b32 s24, exec_lo
	s_delay_alu instid0(VALU_DEP_1) | instskip(NEXT) | instid1(VALU_DEP_1)
	v_add_nc_u32_e32 v6, 1, v6
	v_add_min_u32_e64 v7, v7, -1, v6
	s_delay_alu instid0(VALU_DEP_1)
	v_lshl_add_u32 v7, v7, 3, v46
	ds_load_b64 v[8:9], v7
	s_wait_dscnt 0x0
	v_dual_cndmask_b32 v7, v9, v13, s22 :: v_dual_cndmask_b32 v28, v6, v24, s22
	v_dual_cndmask_b32 v29, v25, v6, s22 :: v_dual_cndmask_b32 v6, v8, v12, s22
	;; [unrolled: 1-line block ×3, first 2 shown]
	s_delay_alu instid0(VALU_DEP_3)
	v_cmpx_lt_u32_e64 v28, v51
	s_cbranch_execz .LBB505_358
; %bb.348:
	s_mov_b32 s0, 0
	s_mov_b32 s23, exec_lo
	v_cmpx_lt_u32_e64 v29, v50
	s_cbranch_execz .LBB505_357
; %bb.349:
	v_cmp_ne_u32_e32 vcc_lo, 1, v45
	s_cbranch_vccnz .LBB505_355
; %bb.350:
	v_mul_u64_e32 v[8:9], s[16:17], v[6:7]
	v_mul_u64_e32 v[26:27], s[16:17], v[24:25]
	s_mov_b32 s25, 0
	s_mov_b64 s[6:7], s[16:17]
                                        ; implicit-def: $sgpr26
                                        ; implicit-def: $sgpr27
                                        ; implicit-def: $sgpr28
                                        ; implicit-def: $sgpr29
	s_delay_alu instid0(VALU_DEP_2) | instskip(NEXT) | instid1(VALU_DEP_2)
	v_lshl_add_u64 v[8:9], v[8:9], 3, s[18:19]
	v_lshl_add_u64 v[26:27], v[26:27], 3, s[18:19]
	s_branch .LBB505_352
.LBB505_351:                            ;   in Loop: Header=BB505_352 Depth=1
	s_or_b32 exec_lo, exec_lo, s30
	s_delay_alu instid0(SALU_CYCLE_1) | instskip(NEXT) | instid1(SALU_CYCLE_1)
	s_and_b32 s30, exec_lo, s27
	s_or_b32 s25, s30, s25
	s_and_not1_b32 s29, s29, exec_lo
	s_and_b32 s0, s0, exec_lo
	s_and_not1_b32 s26, s26, exec_lo
	s_and_b32 s30, s28, exec_lo
	s_or_b32 s29, s29, s0
	s_or_b32 s26, s26, s30
	s_and_not1_b32 exec_lo, exec_lo, s25
	s_cbranch_execz .LBB505_354
.LBB505_352:                            ; =>This Inner Loop Header: Depth=1
	global_load_b64 v[30:31], v[8:9], off
	global_load_b64 v[32:33], v[26:27], off
	s_and_not1_b32 s28, s28, exec_lo
	s_or_b32 s27, s27, exec_lo
	s_wait_loadcnt 0x0
	v_cmp_le_i64_e32 vcc_lo, v[30:31], v[32:33]
	v_cmp_lt_i64_e64 s0, v[30:31], v[32:33]
	s_and_b32 s30, vcc_lo, s29
	s_delay_alu instid0(SALU_CYCLE_1) | instskip(NEXT) | instid1(SALU_CYCLE_1)
	s_or_b32 s0, s0, s30
	s_and_b32 s30, s0, exec_lo
	s_delay_alu instid0(SALU_CYCLE_1)
	s_or_b32 s28, s28, s30
	s_mov_b32 s30, exec_lo
	v_cmpx_eq_u64_e64 v[30:31], v[32:33]
	s_cbranch_execz .LBB505_351
; %bb.353:                              ;   in Loop: Header=BB505_352 Depth=1
	s_add_nc_u64 s[6:7], s[6:7], -1
	v_add_nc_u64_e32 v[8:9], 8, v[8:9]
	s_cmp_eq_u64 s[6:7], 0
	v_add_nc_u64_e32 v[26:27], 8, v[26:27]
	s_cselect_b32 s29, -1, 0
	s_and_not1_b32 s27, s27, exec_lo
	s_and_b32 s29, s29, exec_lo
	s_and_not1_b32 s28, s28, exec_lo
	s_or_b32 s27, s27, s29
                                        ; implicit-def: $sgpr29
	s_branch .LBB505_351
.LBB505_354:
	s_or_b32 exec_lo, exec_lo, s25
	s_xor_b32 s0, s26, -1
	s_branch .LBB505_356
.LBB505_355:
	s_mov_b32 s0, -1
.LBB505_356:
	s_delay_alu instid0(SALU_CYCLE_1)
	s_and_b32 s0, s0, exec_lo
.LBB505_357:
	s_or_b32 exec_lo, exec_lo, s23
	s_delay_alu instid0(SALU_CYCLE_1)
	s_or_not1_b32 s23, s0, exec_lo
.LBB505_358:
	s_or_b32 exec_lo, exec_lo, s24
	v_dual_cndmask_b32 v8, v28, v29, s23 :: v_dual_cndmask_b32 v9, v51, v50, s23
	s_mov_b32 s24, -1
	s_mov_b32 s25, -1
	s_mov_b32 s26, exec_lo
	s_delay_alu instid0(VALU_DEP_1) | instskip(NEXT) | instid1(VALU_DEP_1)
	v_add_nc_u32_e32 v8, 1, v8
	v_add_min_u32_e64 v9, v9, -1, v8
	s_delay_alu instid0(VALU_DEP_1)
	v_lshl_add_u32 v9, v9, 3, v46
	ds_load_b64 v[26:27], v9
	s_wait_dscnt 0x0
	v_dual_cndmask_b32 v9, v27, v7, s23 :: v_dual_cndmask_b32 v32, v8, v28, s23
	v_dual_cndmask_b32 v33, v29, v8, s23 :: v_dual_cndmask_b32 v8, v26, v6, s23
	;; [unrolled: 1-line block ×3, first 2 shown]
	s_delay_alu instid0(VALU_DEP_3)
	v_cmpx_lt_u32_e64 v32, v51
	s_cbranch_execz .LBB505_369
; %bb.359:
	s_mov_b32 s0, 0
	s_mov_b32 s25, exec_lo
	v_cmpx_lt_u32_e64 v33, v50
	s_cbranch_execz .LBB505_368
; %bb.360:
	v_cmp_ne_u32_e32 vcc_lo, 1, v45
	s_cbranch_vccnz .LBB505_366
; %bb.361:
	v_mul_u64_e32 v[28:29], s[16:17], v[8:9]
	v_mul_u64_e32 v[30:31], s[16:17], v[26:27]
	s_mov_b32 s27, 0
	s_mov_b64 s[6:7], s[16:17]
                                        ; implicit-def: $sgpr28
                                        ; implicit-def: $sgpr29
                                        ; implicit-def: $sgpr30
                                        ; implicit-def: $sgpr31
	s_delay_alu instid0(VALU_DEP_2) | instskip(NEXT) | instid1(VALU_DEP_2)
	v_lshl_add_u64 v[28:29], v[28:29], 3, s[18:19]
	v_lshl_add_u64 v[30:31], v[30:31], 3, s[18:19]
	s_branch .LBB505_363
.LBB505_362:                            ;   in Loop: Header=BB505_363 Depth=1
	s_or_b32 exec_lo, exec_lo, s33
	s_delay_alu instid0(SALU_CYCLE_1) | instskip(NEXT) | instid1(SALU_CYCLE_1)
	s_and_b32 s33, exec_lo, s29
	s_or_b32 s27, s33, s27
	s_and_not1_b32 s31, s31, exec_lo
	s_and_b32 s0, s0, exec_lo
	s_and_not1_b32 s28, s28, exec_lo
	s_and_b32 s33, s30, exec_lo
	s_or_b32 s31, s31, s0
	s_or_b32 s28, s28, s33
	s_and_not1_b32 exec_lo, exec_lo, s27
	s_cbranch_execz .LBB505_365
.LBB505_363:                            ; =>This Inner Loop Header: Depth=1
	global_load_b64 v[34:35], v[28:29], off
	global_load_b64 v[52:53], v[30:31], off
	s_and_not1_b32 s30, s30, exec_lo
	s_or_b32 s29, s29, exec_lo
	s_wait_loadcnt 0x0
	v_cmp_le_i64_e32 vcc_lo, v[34:35], v[52:53]
	v_cmp_lt_i64_e64 s0, v[34:35], v[52:53]
	s_and_b32 s33, vcc_lo, s31
	s_delay_alu instid0(SALU_CYCLE_1) | instskip(NEXT) | instid1(SALU_CYCLE_1)
	s_or_b32 s0, s0, s33
	s_and_b32 s33, s0, exec_lo
	s_delay_alu instid0(SALU_CYCLE_1)
	s_or_b32 s30, s30, s33
	s_mov_b32 s33, exec_lo
	v_cmpx_eq_u64_e64 v[34:35], v[52:53]
	s_cbranch_execz .LBB505_362
; %bb.364:                              ;   in Loop: Header=BB505_363 Depth=1
	s_add_nc_u64 s[6:7], s[6:7], -1
	v_add_nc_u64_e32 v[28:29], 8, v[28:29]
	s_cmp_eq_u64 s[6:7], 0
	v_add_nc_u64_e32 v[30:31], 8, v[30:31]
	s_cselect_b32 s31, -1, 0
	s_and_not1_b32 s29, s29, exec_lo
	s_and_b32 s31, s31, exec_lo
	s_and_not1_b32 s30, s30, exec_lo
	s_or_b32 s29, s29, s31
                                        ; implicit-def: $sgpr31
	s_branch .LBB505_362
.LBB505_365:
	s_or_b32 exec_lo, exec_lo, s27
	s_xor_b32 s0, s28, -1
	s_branch .LBB505_367
.LBB505_366:
	s_mov_b32 s0, -1
.LBB505_367:
	s_delay_alu instid0(SALU_CYCLE_1)
	s_and_b32 s0, s0, exec_lo
.LBB505_368:
	s_or_b32 exec_lo, exec_lo, s25
	s_delay_alu instid0(SALU_CYCLE_1)
	s_or_not1_b32 s25, s0, exec_lo
.LBB505_369:
	s_or_b32 exec_lo, exec_lo, s26
	v_dual_cndmask_b32 v28, v32, v33, s25 :: v_dual_cndmask_b32 v29, v51, v50, s25
	s_mov_b32 s26, exec_lo
	s_delay_alu instid0(VALU_DEP_1) | instskip(NEXT) | instid1(VALU_DEP_1)
	v_add_nc_u32_e32 v28, 1, v28
	v_add_min_u32_e64 v29, v29, -1, v28
	s_delay_alu instid0(VALU_DEP_1)
	v_lshl_add_u32 v29, v29, 3, v46
	ds_load_b64 v[30:31], v29
	s_wait_dscnt 0x0
	v_dual_cndmask_b32 v29, v31, v9, s25 :: v_dual_cndmask_b32 v53, v28, v32, s25
	v_dual_cndmask_b32 v31, v27, v31, s25 :: v_dual_cndmask_b32 v52, v33, v28, s25
	v_cndmask_b32_e64 v28, v30, v8, s25
	v_cndmask_b32_e64 v30, v26, v30, s25
	s_delay_alu instid0(VALU_DEP_4)
	v_cmpx_lt_u32_e64 v53, v51
	s_cbranch_execz .LBB505_380
; %bb.370:
	s_mov_b32 s0, 0
	s_mov_b32 s24, exec_lo
	v_cmpx_lt_u32_e64 v52, v50
	s_cbranch_execz .LBB505_379
; %bb.371:
	v_cmp_ne_u32_e32 vcc_lo, 1, v45
	s_cbranch_vccnz .LBB505_377
; %bb.372:
	v_mul_u64_e32 v[32:33], s[16:17], v[28:29]
	v_mul_u64_e32 v[34:35], s[16:17], v[30:31]
	s_mov_b32 s27, 0
	s_mov_b64 s[6:7], s[16:17]
                                        ; implicit-def: $sgpr28
                                        ; implicit-def: $sgpr29
                                        ; implicit-def: $sgpr30
                                        ; implicit-def: $sgpr31
	s_delay_alu instid0(VALU_DEP_2) | instskip(NEXT) | instid1(VALU_DEP_2)
	v_lshl_add_u64 v[32:33], v[32:33], 3, s[18:19]
	v_lshl_add_u64 v[34:35], v[34:35], 3, s[18:19]
	s_branch .LBB505_374
.LBB505_373:                            ;   in Loop: Header=BB505_374 Depth=1
	s_or_b32 exec_lo, exec_lo, s33
	s_delay_alu instid0(SALU_CYCLE_1) | instskip(NEXT) | instid1(SALU_CYCLE_1)
	s_and_b32 s33, exec_lo, s29
	s_or_b32 s27, s33, s27
	s_and_not1_b32 s31, s31, exec_lo
	s_and_b32 s0, s0, exec_lo
	s_and_not1_b32 s28, s28, exec_lo
	s_and_b32 s33, s30, exec_lo
	s_or_b32 s31, s31, s0
	s_or_b32 s28, s28, s33
	s_and_not1_b32 exec_lo, exec_lo, s27
	s_cbranch_execz .LBB505_376
.LBB505_374:                            ; =>This Inner Loop Header: Depth=1
	global_load_b64 v[54:55], v[32:33], off
	global_load_b64 v[56:57], v[34:35], off
	s_and_not1_b32 s30, s30, exec_lo
	s_or_b32 s29, s29, exec_lo
	s_wait_loadcnt 0x0
	v_cmp_le_i64_e32 vcc_lo, v[54:55], v[56:57]
	v_cmp_lt_i64_e64 s0, v[54:55], v[56:57]
	s_and_b32 s33, vcc_lo, s31
	s_delay_alu instid0(SALU_CYCLE_1) | instskip(NEXT) | instid1(SALU_CYCLE_1)
	s_or_b32 s0, s0, s33
	s_and_b32 s33, s0, exec_lo
	s_delay_alu instid0(SALU_CYCLE_1)
	s_or_b32 s30, s30, s33
	s_mov_b32 s33, exec_lo
	v_cmpx_eq_u64_e64 v[54:55], v[56:57]
	s_cbranch_execz .LBB505_373
; %bb.375:                              ;   in Loop: Header=BB505_374 Depth=1
	s_add_nc_u64 s[6:7], s[6:7], -1
	v_add_nc_u64_e32 v[32:33], 8, v[32:33]
	s_cmp_eq_u64 s[6:7], 0
	v_add_nc_u64_e32 v[34:35], 8, v[34:35]
	s_cselect_b32 s31, -1, 0
	s_and_not1_b32 s29, s29, exec_lo
	s_and_b32 s31, s31, exec_lo
	s_and_not1_b32 s30, s30, exec_lo
	s_or_b32 s29, s29, s31
                                        ; implicit-def: $sgpr31
	s_branch .LBB505_373
.LBB505_376:
	s_or_b32 exec_lo, exec_lo, s27
	s_xor_b32 s0, s28, -1
	s_branch .LBB505_378
.LBB505_377:
	s_mov_b32 s0, -1
.LBB505_378:
	s_delay_alu instid0(SALU_CYCLE_1)
	s_and_b32 s0, s0, exec_lo
.LBB505_379:
	s_or_b32 exec_lo, exec_lo, s24
	s_delay_alu instid0(SALU_CYCLE_1)
	s_or_not1_b32 s24, s0, exec_lo
.LBB505_380:
	s_or_b32 exec_lo, exec_lo, s26
	v_dual_cndmask_b32 v32, v53, v52, s24 :: v_dual_cndmask_b32 v33, v51, v50, s24
	v_dual_cndmask_b32 v8, v8, v26, s25 :: v_dual_cndmask_b32 v7, v7, v25, s23
	;; [unrolled: 1-line block ×3, first 2 shown]
	s_delay_alu instid0(VALU_DEP_3) | instskip(SKIP_2) | instid1(VALU_DEP_3)
	v_dual_add_nc_u32 v34, 1, v32 :: v_dual_cndmask_b32 v9, v9, v27, s25
	v_dual_cndmask_b32 v12, v12, v22, s22 :: v_dual_cndmask_b32 v11, v11, v21, s15
	v_dual_cndmask_b32 v10, v10, v20, s15 :: v_dual_cndmask_b32 v17, v15, v17, s14
	v_add_min_u32_e64 v32, v33, -1, v34
	v_dual_cndmask_b32 v16, v14, v16, s14 :: v_dual_cndmask_b32 v15, v5, v3, s5
	v_dual_cndmask_b32 v14, v4, v2, s5 :: v_dual_cndmask_b32 v20, v34, v53, s24
	s_delay_alu instid0(VALU_DEP_3)
	v_lshl_add_u32 v32, v32, 3, v46
	v_dual_cndmask_b32 v3, v29, v31, s24 :: v_dual_cndmask_b32 v2, v28, v30, s24
	s_mov_b32 s5, exec_lo
	ds_load_b64 v[32:33], v32
	s_wait_dscnt 0x0
	v_dual_cndmask_b32 v5, v31, v33, s24 :: v_dual_cndmask_b32 v4, v30, v32, s24
	v_cmpx_lt_u32_e64 v20, v51
	s_cbranch_execz .LBB505_390
; %bb.381:
	v_dual_cndmask_b32 v22, v52, v34, s24 :: v_dual_cndmask_b32 v21, v33, v29, s24
	v_cndmask_b32_e64 v20, v32, v28, s24
	s_mov_b32 s14, exec_lo
	s_delay_alu instid0(VALU_DEP_2)
	v_cmpx_lt_u32_e64 v22, v50
	s_cbranch_execz .LBB505_389
; %bb.382:
	v_cmp_ne_u32_e32 vcc_lo, 1, v45
	s_cbranch_vccnz .LBB505_388
; %bb.383:
	v_mul_u64_e32 v[22:23], s[16:17], v[20:21]
	v_mul_u64_e32 v[24:25], s[16:17], v[4:5]
	s_mov_b32 s15, 0
	s_mov_b64 s[6:7], s[16:17]
                                        ; implicit-def: $sgpr22
                                        ; implicit-def: $sgpr23
                                        ; implicit-def: $sgpr24
                                        ; implicit-def: $sgpr25
	s_delay_alu instid0(VALU_DEP_2) | instskip(NEXT) | instid1(VALU_DEP_2)
	v_lshl_add_u64 v[22:23], v[22:23], 3, s[18:19]
	v_lshl_add_u64 v[24:25], v[24:25], 3, s[18:19]
	s_branch .LBB505_385
.LBB505_384:                            ;   in Loop: Header=BB505_385 Depth=1
	s_or_b32 exec_lo, exec_lo, s26
	s_delay_alu instid0(SALU_CYCLE_1) | instskip(NEXT) | instid1(SALU_CYCLE_1)
	s_and_b32 s26, exec_lo, s23
	s_or_b32 s15, s26, s15
	s_and_not1_b32 s25, s25, exec_lo
	s_and_b32 s0, s0, exec_lo
	s_and_not1_b32 s22, s22, exec_lo
	s_and_b32 s26, s24, exec_lo
	s_or_b32 s25, s25, s0
	s_or_b32 s22, s22, s26
	s_and_not1_b32 exec_lo, exec_lo, s15
	s_cbranch_execz .LBB505_387
.LBB505_385:                            ; =>This Inner Loop Header: Depth=1
	global_load_b64 v[26:27], v[22:23], off
	global_load_b64 v[28:29], v[24:25], off
	s_and_not1_b32 s24, s24, exec_lo
	s_or_b32 s23, s23, exec_lo
	s_wait_loadcnt 0x0
	v_cmp_le_i64_e32 vcc_lo, v[26:27], v[28:29]
	v_cmp_lt_i64_e64 s0, v[26:27], v[28:29]
	s_and_b32 s26, vcc_lo, s25
	s_delay_alu instid0(SALU_CYCLE_1) | instskip(NEXT) | instid1(SALU_CYCLE_1)
	s_or_b32 s0, s0, s26
	s_and_b32 s26, s0, exec_lo
	s_delay_alu instid0(SALU_CYCLE_1)
	s_or_b32 s24, s24, s26
	s_mov_b32 s26, exec_lo
	v_cmpx_eq_u64_e64 v[26:27], v[28:29]
	s_cbranch_execz .LBB505_384
; %bb.386:                              ;   in Loop: Header=BB505_385 Depth=1
	s_add_nc_u64 s[6:7], s[6:7], -1
	v_add_nc_u64_e32 v[22:23], 8, v[22:23]
	s_cmp_eq_u64 s[6:7], 0
	v_add_nc_u64_e32 v[24:25], 8, v[24:25]
	s_cselect_b32 s25, -1, 0
	s_and_not1_b32 s23, s23, exec_lo
	s_and_b32 s25, s25, exec_lo
	s_and_not1_b32 s24, s24, exec_lo
	s_or_b32 s23, s23, s25
                                        ; implicit-def: $sgpr25
	s_branch .LBB505_384
.LBB505_387:
	s_or_b32 exec_lo, exec_lo, s15
	v_dual_cndmask_b32 v5, v5, v21, s22 :: v_dual_cndmask_b32 v4, v4, v20, s22
.LBB505_388:
	s_delay_alu instid0(VALU_DEP_1)
	v_mov_b64_e32 v[20:21], v[4:5]
.LBB505_389:
	s_or_b32 exec_lo, exec_lo, s14
	s_delay_alu instid0(VALU_DEP_1)
	v_mov_b64_e32 v[4:5], v[20:21]
.LBB505_390:
	s_or_b32 exec_lo, exec_lo, s5
.LBB505_391:
	s_delay_alu instid0(SALU_CYCLE_1)
	s_or_b32 exec_lo, exec_lo, s1
	v_and_b32_e32 v26, 0xc0, v48
	s_mov_b32 s1, exec_lo
	; wave barrier
	ds_store_b128 v49, v[14:17]
	ds_store_b128 v49, v[10:13] offset:16
	v_or_b32_e32 v20, 32, v26
	v_lshl_add_u32 v25, v26, 3, v46
	ds_store_b128 v49, v[6:9] offset:32
	ds_store_b128 v49, v[2:5] offset:48
	; wave barrier
	v_min_u32_e32 v50, v47, v20
	v_and_b32_e32 v20, 56, v48
	s_delay_alu instid0(VALU_DEP_2) | instskip(NEXT) | instid1(VALU_DEP_2)
	v_add_min_u32_e64 v51, v50, 32, v47
	v_min_u32_e32 v27, v47, v20
	v_sub_nc_u32_e32 v21, v50, v26
	s_delay_alu instid0(VALU_DEP_3) | instskip(NEXT) | instid1(VALU_DEP_2)
	v_sub_nc_u32_e32 v20, v51, v50
	v_min_u32_e32 v28, v27, v21
	s_delay_alu instid0(VALU_DEP_2) | instskip(NEXT) | instid1(VALU_DEP_1)
	v_sub_nc_u32_e64 v24, v27, v20 clamp
	v_cmpx_lt_u32_e64 v24, v28
	s_cbranch_execz .LBB505_401
; %bb.392:
	v_dual_lshlrev_b32 v20, 3, v50 :: v_dual_lshlrev_b32 v21, 3, v27
	s_lshl_b64 s[6:7], s[16:17], 3
	s_mov_b32 s5, 0
	s_delay_alu instid0(VALU_DEP_1)
	v_add3_u32 v29, v46, v20, v21
	s_branch .LBB505_395
.LBB505_393:                            ;   in Loop: Header=BB505_395 Depth=1
	s_or_b32 exec_lo, exec_lo, s23
.LBB505_394:                            ;   in Loop: Header=BB505_395 Depth=1
	s_delay_alu instid0(VALU_DEP_1) | instskip(NEXT) | instid1(VALU_DEP_1)
	v_dual_add_nc_u32 v20, 1, v30 :: v_dual_cndmask_b32 v28, v28, v30, s22
	v_cndmask_b32_e64 v24, v20, v24, s22
	s_delay_alu instid0(VALU_DEP_1) | instskip(SKIP_1) | instid1(SALU_CYCLE_1)
	v_cmp_ge_u32_e32 vcc_lo, v24, v28
	s_or_b32 s5, vcc_lo, s5
	s_and_not1_b32 exec_lo, exec_lo, s5
	s_cbranch_execz .LBB505_400
.LBB505_395:                            ; =>This Loop Header: Depth=1
                                        ;     Child Loop BB505_398 Depth 2
	v_add_nc_u32_e32 v20, v28, v24
	v_cmp_ne_u32_e32 vcc_lo, 1, v45
	s_mov_b32 s22, 0
	s_delay_alu instid0(VALU_DEP_2)
	v_lshrrev_b32_e32 v30, 1, v20
	s_cbranch_vccnz .LBB505_394
; %bb.396:                              ;   in Loop: Header=BB505_395 Depth=1
	s_delay_alu instid0(VALU_DEP_1) | instskip(SKIP_3) | instid1(VALU_DEP_2)
	v_not_b32_e32 v20, v30
	v_lshl_add_u32 v21, v30, 3, v25
	s_mov_b32 s23, 0
	s_mov_b64 s[14:15], s[16:17]
                                        ; implicit-def: $sgpr22
                                        ; implicit-def: $sgpr24
                                        ; implicit-def: $sgpr25
                                        ; implicit-def: $sgpr26
	v_lshl_add_u32 v20, v20, 3, v29
	ds_load_b64 v[32:33], v20
	ds_load_b64 v[34:35], v21
	s_wait_dscnt 0x1
	v_mad_nc_u64_u32 v[20:21], s6, v32, s[18:19]
	s_wait_dscnt 0x0
	v_mad_nc_u64_u32 v[22:23], s6, v34, s[18:19]
	s_delay_alu instid0(VALU_DEP_2) | instskip(NEXT) | instid1(VALU_DEP_2)
	v_mad_u32 v21, s7, v32, v21
	v_mad_u32 v23, s7, v34, v23
	s_delay_alu instid0(VALU_DEP_2) | instskip(NEXT) | instid1(VALU_DEP_2)
	v_mad_u32 v21, s6, v33, v21
	v_mad_u32 v23, s6, v35, v23
	s_branch .LBB505_398
.LBB505_397:                            ;   in Loop: Header=BB505_398 Depth=2
	s_or_b32 exec_lo, exec_lo, s27
	s_delay_alu instid0(SALU_CYCLE_1) | instskip(NEXT) | instid1(SALU_CYCLE_1)
	s_and_b32 s27, exec_lo, s24
	s_or_b32 s23, s27, s23
	s_and_not1_b32 s26, s26, exec_lo
	s_and_b32 s0, s0, exec_lo
	s_and_not1_b32 s22, s22, exec_lo
	s_and_b32 s27, s25, exec_lo
	s_or_b32 s26, s26, s0
	s_or_b32 s22, s22, s27
	s_and_not1_b32 exec_lo, exec_lo, s23
	s_cbranch_execz .LBB505_393
.LBB505_398:                            ;   Parent Loop BB505_395 Depth=1
                                        ; =>  This Inner Loop Header: Depth=2
	global_load_b64 v[32:33], v[20:21], off
	global_load_b64 v[34:35], v[22:23], off
	s_and_not1_b32 s25, s25, exec_lo
	s_or_b32 s24, s24, exec_lo
	s_wait_loadcnt 0x0
	v_cmp_le_i64_e32 vcc_lo, v[32:33], v[34:35]
	v_cmp_lt_i64_e64 s0, v[32:33], v[34:35]
	s_and_b32 s27, vcc_lo, s26
	s_delay_alu instid0(SALU_CYCLE_1) | instskip(NEXT) | instid1(SALU_CYCLE_1)
	s_or_b32 s0, s0, s27
	s_and_b32 s27, s0, exec_lo
	s_delay_alu instid0(SALU_CYCLE_1)
	s_or_b32 s25, s25, s27
	s_mov_b32 s27, exec_lo
	v_cmpx_eq_u64_e64 v[32:33], v[34:35]
	s_cbranch_execz .LBB505_397
; %bb.399:                              ;   in Loop: Header=BB505_398 Depth=2
	s_add_nc_u64 s[14:15], s[14:15], -1
	v_add_nc_u64_e32 v[20:21], 8, v[20:21]
	s_cmp_eq_u64 s[14:15], 0
	v_add_nc_u64_e32 v[22:23], 8, v[22:23]
	s_cselect_b32 s26, -1, 0
	s_and_not1_b32 s24, s24, exec_lo
	s_and_b32 s26, s26, exec_lo
	s_and_not1_b32 s25, s25, exec_lo
	s_or_b32 s24, s24, s26
                                        ; implicit-def: $sgpr26
	s_branch .LBB505_397
.LBB505_400:
	s_or_b32 exec_lo, exec_lo, s5
.LBB505_401:
	s_delay_alu instid0(SALU_CYCLE_1) | instskip(SKIP_1) | instid1(VALU_DEP_1)
	s_or_b32 exec_lo, exec_lo, s1
	v_dual_add_nc_u32 v21, v50, v27 :: v_dual_add_nc_u32 v20, v24, v26
	v_sub_nc_u32_e32 v21, v21, v24
	s_delay_alu instid0(VALU_DEP_2) | instskip(NEXT) | instid1(VALU_DEP_2)
	v_cmp_le_u32_e32 vcc_lo, v20, v50
	v_cmp_le_u32_e64 s0, v21, v51
	s_or_b32 s0, vcc_lo, s0
	s_delay_alu instid0(SALU_CYCLE_1)
	s_and_saveexec_b32 s1, s0
	s_cbranch_execz .LBB505_492
; %bb.402:
	s_mov_b32 s5, exec_lo
	v_cmp_ge_u32_e32 vcc_lo, v20, v50
                                        ; implicit-def: $vgpr2_vgpr3
	v_cmpx_lt_u32_e64 v20, v50
; %bb.403:
	v_lshl_add_u32 v2, v24, 3, v25
	ds_load_b64 v[2:3], v2
; %bb.404:
	s_or_b32 exec_lo, exec_lo, s5
	v_cmp_ge_u32_e64 s5, v21, v51
	s_mov_b32 s6, exec_lo
                                        ; implicit-def: $vgpr4_vgpr5
	v_cmpx_lt_u32_e64 v21, v51
; %bb.405:
	v_lshl_add_u32 v4, v21, 3, v46
	ds_load_b64 v[4:5], v4
; %bb.406:
	s_or_b32 exec_lo, exec_lo, s6
	s_nor_b32 s0, vcc_lo, s5
	s_delay_alu instid0(SALU_CYCLE_1)
	s_and_saveexec_b32 s14, s0
	s_cbranch_execz .LBB505_415
; %bb.407:
	v_cmp_ne_u32_e32 vcc_lo, 1, v45
	s_cbranch_vccnz .LBB505_413
; %bb.408:
	s_wait_dscnt 0x0
	v_mul_u64_e32 v[6:7], s[16:17], v[4:5]
	v_mul_u64_e32 v[8:9], s[16:17], v[2:3]
	s_mov_b32 s15, 0
	s_mov_b64 s[6:7], s[16:17]
                                        ; implicit-def: $sgpr22
                                        ; implicit-def: $sgpr23
                                        ; implicit-def: $sgpr24
                                        ; implicit-def: $sgpr25
	s_delay_alu instid0(VALU_DEP_2) | instskip(NEXT) | instid1(VALU_DEP_2)
	v_lshl_add_u64 v[6:7], v[6:7], 3, s[18:19]
	v_lshl_add_u64 v[8:9], v[8:9], 3, s[18:19]
	s_branch .LBB505_410
.LBB505_409:                            ;   in Loop: Header=BB505_410 Depth=1
	s_or_b32 exec_lo, exec_lo, s26
	s_delay_alu instid0(SALU_CYCLE_1) | instskip(NEXT) | instid1(SALU_CYCLE_1)
	s_and_b32 s26, exec_lo, s23
	s_or_b32 s15, s26, s15
	s_and_not1_b32 s25, s25, exec_lo
	s_and_b32 s0, s0, exec_lo
	s_and_not1_b32 s22, s22, exec_lo
	s_and_b32 s26, s24, exec_lo
	s_or_b32 s25, s25, s0
	s_or_b32 s22, s22, s26
	s_and_not1_b32 exec_lo, exec_lo, s15
	s_cbranch_execz .LBB505_412
.LBB505_410:                            ; =>This Inner Loop Header: Depth=1
	global_load_b64 v[10:11], v[6:7], off
	global_load_b64 v[12:13], v[8:9], off
	s_and_not1_b32 s24, s24, exec_lo
	s_or_b32 s23, s23, exec_lo
	s_wait_loadcnt 0x0
	v_cmp_le_i64_e32 vcc_lo, v[10:11], v[12:13]
	v_cmp_lt_i64_e64 s0, v[10:11], v[12:13]
	s_and_b32 s26, vcc_lo, s25
	s_delay_alu instid0(SALU_CYCLE_1) | instskip(NEXT) | instid1(SALU_CYCLE_1)
	s_or_b32 s0, s0, s26
	s_and_b32 s26, s0, exec_lo
	s_delay_alu instid0(SALU_CYCLE_1)
	s_or_b32 s24, s24, s26
	s_mov_b32 s26, exec_lo
	v_cmpx_eq_u64_e64 v[10:11], v[12:13]
	s_cbranch_execz .LBB505_409
; %bb.411:                              ;   in Loop: Header=BB505_410 Depth=1
	s_add_nc_u64 s[6:7], s[6:7], -1
	v_add_nc_u64_e32 v[6:7], 8, v[6:7]
	s_cmp_eq_u64 s[6:7], 0
	v_add_nc_u64_e32 v[8:9], 8, v[8:9]
	s_cselect_b32 s25, -1, 0
	s_and_not1_b32 s23, s23, exec_lo
	s_and_b32 s25, s25, exec_lo
	s_and_not1_b32 s24, s24, exec_lo
	s_or_b32 s23, s23, s25
                                        ; implicit-def: $sgpr25
	s_branch .LBB505_409
.LBB505_412:
	s_or_b32 exec_lo, exec_lo, s15
	s_xor_b32 s0, s22, -1
	s_branch .LBB505_414
.LBB505_413:
	s_mov_b32 s0, -1
.LBB505_414:
	s_and_not1_b32 s5, s5, exec_lo
	s_and_b32 s0, s0, exec_lo
	s_delay_alu instid0(SALU_CYCLE_1)
	s_or_b32 s5, s5, s0
.LBB505_415:
	s_or_b32 exec_lo, exec_lo, s14
	v_dual_cndmask_b32 v6, v21, v20, s5 :: v_dual_cndmask_b32 v7, v51, v50, s5
	s_mov_b32 s15, -1
	s_mov_b32 s14, -1
	s_mov_b32 s22, exec_lo
	s_delay_alu instid0(VALU_DEP_1) | instskip(NEXT) | instid1(VALU_DEP_1)
	v_add_nc_u32_e32 v8, 1, v6
	v_add_min_u32_e64 v6, v7, -1, v8
	s_delay_alu instid0(VALU_DEP_1)
	v_lshl_add_u32 v6, v6, 3, v46
	ds_load_b64 v[6:7], v6
	s_wait_dscnt 0x0
	v_cndmask_b32_e64 v15, v7, v5, s5
	v_dual_cndmask_b32 v10, v8, v21, s5 :: v_dual_cndmask_b32 v14, v6, v4, s5
	v_dual_cndmask_b32 v11, v20, v8, s5 :: v_dual_cndmask_b32 v17, v3, v7, s5
	v_cndmask_b32_e64 v16, v2, v6, s5
	s_delay_alu instid0(VALU_DEP_3)
	v_cmpx_lt_u32_e64 v10, v51
	s_cbranch_execz .LBB505_426
; %bb.416:
	s_mov_b32 s0, 0
	s_mov_b32 s14, exec_lo
	v_cmpx_lt_u32_e64 v11, v50
	s_cbranch_execz .LBB505_425
; %bb.417:
	v_cmp_ne_u32_e32 vcc_lo, 1, v45
	s_cbranch_vccnz .LBB505_423
; %bb.418:
	v_mul_u64_e32 v[6:7], s[16:17], v[14:15]
	v_mul_u64_e32 v[8:9], s[16:17], v[16:17]
	s_mov_b32 s23, 0
	s_mov_b64 s[6:7], s[16:17]
                                        ; implicit-def: $sgpr24
                                        ; implicit-def: $sgpr25
                                        ; implicit-def: $sgpr26
                                        ; implicit-def: $sgpr27
	s_delay_alu instid0(VALU_DEP_2) | instskip(NEXT) | instid1(VALU_DEP_2)
	v_lshl_add_u64 v[6:7], v[6:7], 3, s[18:19]
	v_lshl_add_u64 v[8:9], v[8:9], 3, s[18:19]
	s_branch .LBB505_420
.LBB505_419:                            ;   in Loop: Header=BB505_420 Depth=1
	s_or_b32 exec_lo, exec_lo, s28
	s_delay_alu instid0(SALU_CYCLE_1) | instskip(NEXT) | instid1(SALU_CYCLE_1)
	s_and_b32 s28, exec_lo, s25
	s_or_b32 s23, s28, s23
	s_and_not1_b32 s27, s27, exec_lo
	s_and_b32 s0, s0, exec_lo
	s_and_not1_b32 s24, s24, exec_lo
	s_and_b32 s28, s26, exec_lo
	s_or_b32 s27, s27, s0
	s_or_b32 s24, s24, s28
	s_and_not1_b32 exec_lo, exec_lo, s23
	s_cbranch_execz .LBB505_422
.LBB505_420:                            ; =>This Inner Loop Header: Depth=1
	global_load_b64 v[12:13], v[6:7], off
	global_load_b64 v[20:21], v[8:9], off
	s_and_not1_b32 s26, s26, exec_lo
	s_or_b32 s25, s25, exec_lo
	s_wait_loadcnt 0x0
	v_cmp_le_i64_e32 vcc_lo, v[12:13], v[20:21]
	v_cmp_lt_i64_e64 s0, v[12:13], v[20:21]
	s_and_b32 s28, vcc_lo, s27
	s_delay_alu instid0(SALU_CYCLE_1) | instskip(NEXT) | instid1(SALU_CYCLE_1)
	s_or_b32 s0, s0, s28
	s_and_b32 s28, s0, exec_lo
	s_delay_alu instid0(SALU_CYCLE_1)
	s_or_b32 s26, s26, s28
	s_mov_b32 s28, exec_lo
	v_cmpx_eq_u64_e64 v[12:13], v[20:21]
	s_cbranch_execz .LBB505_419
; %bb.421:                              ;   in Loop: Header=BB505_420 Depth=1
	s_add_nc_u64 s[6:7], s[6:7], -1
	v_add_nc_u64_e32 v[6:7], 8, v[6:7]
	s_cmp_eq_u64 s[6:7], 0
	v_add_nc_u64_e32 v[8:9], 8, v[8:9]
	s_cselect_b32 s27, -1, 0
	s_and_not1_b32 s25, s25, exec_lo
	s_and_b32 s27, s27, exec_lo
	s_and_not1_b32 s26, s26, exec_lo
	s_or_b32 s25, s25, s27
                                        ; implicit-def: $sgpr27
	s_branch .LBB505_419
.LBB505_422:
	s_or_b32 exec_lo, exec_lo, s23
	s_xor_b32 s0, s24, -1
	s_branch .LBB505_424
.LBB505_423:
	s_mov_b32 s0, -1
.LBB505_424:
	s_delay_alu instid0(SALU_CYCLE_1)
	s_and_b32 s0, s0, exec_lo
.LBB505_425:
	s_or_b32 exec_lo, exec_lo, s14
	s_delay_alu instid0(SALU_CYCLE_1)
	s_or_not1_b32 s14, s0, exec_lo
.LBB505_426:
	s_or_b32 exec_lo, exec_lo, s22
	v_dual_cndmask_b32 v6, v10, v11, s14 :: v_dual_cndmask_b32 v7, v51, v50, s14
	s_mov_b32 s22, exec_lo
	s_delay_alu instid0(VALU_DEP_1) | instskip(NEXT) | instid1(VALU_DEP_1)
	v_add_nc_u32_e32 v8, 1, v6
	v_add_min_u32_e64 v6, v7, -1, v8
	s_delay_alu instid0(VALU_DEP_1)
	v_lshl_add_u32 v6, v6, 3, v46
	ds_load_b64 v[6:7], v6
	v_cndmask_b32_e64 v13, v11, v8, s14
	s_wait_dscnt 0x0
	v_dual_cndmask_b32 v11, v7, v15, s14 :: v_dual_cndmask_b32 v12, v8, v10, s14
	v_dual_cndmask_b32 v21, v17, v7, s14 :: v_dual_cndmask_b32 v10, v6, v14, s14
	v_cndmask_b32_e64 v20, v16, v6, s14
	s_delay_alu instid0(VALU_DEP_3)
	v_cmpx_lt_u32_e64 v12, v51
	s_cbranch_execz .LBB505_437
; %bb.427:
	s_mov_b32 s0, 0
	s_mov_b32 s15, exec_lo
	v_cmpx_lt_u32_e64 v13, v50
	s_cbranch_execz .LBB505_436
; %bb.428:
	v_cmp_ne_u32_e32 vcc_lo, 1, v45
	s_cbranch_vccnz .LBB505_434
; %bb.429:
	v_mul_u64_e32 v[6:7], s[16:17], v[10:11]
	v_mul_u64_e32 v[8:9], s[16:17], v[20:21]
	s_mov_b32 s23, 0
	s_mov_b64 s[6:7], s[16:17]
                                        ; implicit-def: $sgpr24
                                        ; implicit-def: $sgpr25
                                        ; implicit-def: $sgpr26
                                        ; implicit-def: $sgpr27
	s_delay_alu instid0(VALU_DEP_2) | instskip(NEXT) | instid1(VALU_DEP_2)
	v_lshl_add_u64 v[6:7], v[6:7], 3, s[18:19]
	v_lshl_add_u64 v[8:9], v[8:9], 3, s[18:19]
	s_branch .LBB505_431
.LBB505_430:                            ;   in Loop: Header=BB505_431 Depth=1
	s_or_b32 exec_lo, exec_lo, s28
	s_delay_alu instid0(SALU_CYCLE_1) | instskip(NEXT) | instid1(SALU_CYCLE_1)
	s_and_b32 s28, exec_lo, s25
	s_or_b32 s23, s28, s23
	s_and_not1_b32 s27, s27, exec_lo
	s_and_b32 s0, s0, exec_lo
	s_and_not1_b32 s24, s24, exec_lo
	s_and_b32 s28, s26, exec_lo
	s_or_b32 s27, s27, s0
	s_or_b32 s24, s24, s28
	s_and_not1_b32 exec_lo, exec_lo, s23
	s_cbranch_execz .LBB505_433
.LBB505_431:                            ; =>This Inner Loop Header: Depth=1
	global_load_b64 v[22:23], v[6:7], off
	global_load_b64 v[24:25], v[8:9], off
	s_and_not1_b32 s26, s26, exec_lo
	s_or_b32 s25, s25, exec_lo
	s_wait_loadcnt 0x0
	v_cmp_le_i64_e32 vcc_lo, v[22:23], v[24:25]
	v_cmp_lt_i64_e64 s0, v[22:23], v[24:25]
	s_and_b32 s28, vcc_lo, s27
	s_delay_alu instid0(SALU_CYCLE_1) | instskip(NEXT) | instid1(SALU_CYCLE_1)
	s_or_b32 s0, s0, s28
	s_and_b32 s28, s0, exec_lo
	s_delay_alu instid0(SALU_CYCLE_1)
	s_or_b32 s26, s26, s28
	s_mov_b32 s28, exec_lo
	v_cmpx_eq_u64_e64 v[22:23], v[24:25]
	s_cbranch_execz .LBB505_430
; %bb.432:                              ;   in Loop: Header=BB505_431 Depth=1
	s_add_nc_u64 s[6:7], s[6:7], -1
	v_add_nc_u64_e32 v[6:7], 8, v[6:7]
	s_cmp_eq_u64 s[6:7], 0
	v_add_nc_u64_e32 v[8:9], 8, v[8:9]
	s_cselect_b32 s27, -1, 0
	s_and_not1_b32 s25, s25, exec_lo
	s_and_b32 s27, s27, exec_lo
	s_and_not1_b32 s26, s26, exec_lo
	s_or_b32 s25, s25, s27
                                        ; implicit-def: $sgpr27
	s_branch .LBB505_430
.LBB505_433:
	s_or_b32 exec_lo, exec_lo, s23
	s_xor_b32 s0, s24, -1
	s_branch .LBB505_435
.LBB505_434:
	s_mov_b32 s0, -1
.LBB505_435:
	s_delay_alu instid0(SALU_CYCLE_1)
	s_and_b32 s0, s0, exec_lo
.LBB505_436:
	s_or_b32 exec_lo, exec_lo, s15
	s_delay_alu instid0(SALU_CYCLE_1)
	s_or_not1_b32 s15, s0, exec_lo
.LBB505_437:
	s_or_b32 exec_lo, exec_lo, s22
	v_dual_cndmask_b32 v6, v12, v13, s15 :: v_dual_cndmask_b32 v7, v51, v50, s15
	s_mov_b32 s23, -1
	s_mov_b32 s22, -1
	s_mov_b32 s24, exec_lo
	s_delay_alu instid0(VALU_DEP_1) | instskip(NEXT) | instid1(VALU_DEP_1)
	v_add_nc_u32_e32 v8, 1, v6
	v_add_min_u32_e64 v6, v7, -1, v8
	s_delay_alu instid0(VALU_DEP_1)
	v_lshl_add_u32 v6, v6, 3, v46
	ds_load_b64 v[6:7], v6
	s_wait_dscnt 0x0
	v_dual_cndmask_b32 v25, v13, v8, s15 :: v_dual_cndmask_b32 v22, v20, v6, s15
	v_dual_cndmask_b32 v13, v7, v11, s15 :: v_dual_cndmask_b32 v24, v8, v12, s15
	;; [unrolled: 1-line block ×3, first 2 shown]
	s_delay_alu instid0(VALU_DEP_2)
	v_cmpx_lt_u32_e64 v24, v51
	s_cbranch_execz .LBB505_448
; %bb.438:
	s_mov_b32 s0, 0
	s_mov_b32 s22, exec_lo
	v_cmpx_lt_u32_e64 v25, v50
	s_cbranch_execz .LBB505_447
; %bb.439:
	v_cmp_ne_u32_e32 vcc_lo, 1, v45
	s_cbranch_vccnz .LBB505_445
; %bb.440:
	v_mul_u64_e32 v[6:7], s[16:17], v[12:13]
	v_mul_u64_e32 v[8:9], s[16:17], v[22:23]
	s_mov_b32 s25, 0
	s_mov_b64 s[6:7], s[16:17]
                                        ; implicit-def: $sgpr26
                                        ; implicit-def: $sgpr27
                                        ; implicit-def: $sgpr28
                                        ; implicit-def: $sgpr29
	s_delay_alu instid0(VALU_DEP_2) | instskip(NEXT) | instid1(VALU_DEP_2)
	v_lshl_add_u64 v[6:7], v[6:7], 3, s[18:19]
	v_lshl_add_u64 v[8:9], v[8:9], 3, s[18:19]
	s_branch .LBB505_442
.LBB505_441:                            ;   in Loop: Header=BB505_442 Depth=1
	s_or_b32 exec_lo, exec_lo, s30
	s_delay_alu instid0(SALU_CYCLE_1) | instskip(NEXT) | instid1(SALU_CYCLE_1)
	s_and_b32 s30, exec_lo, s27
	s_or_b32 s25, s30, s25
	s_and_not1_b32 s29, s29, exec_lo
	s_and_b32 s0, s0, exec_lo
	s_and_not1_b32 s26, s26, exec_lo
	s_and_b32 s30, s28, exec_lo
	s_or_b32 s29, s29, s0
	s_or_b32 s26, s26, s30
	s_and_not1_b32 exec_lo, exec_lo, s25
	s_cbranch_execz .LBB505_444
.LBB505_442:                            ; =>This Inner Loop Header: Depth=1
	global_load_b64 v[26:27], v[6:7], off
	global_load_b64 v[28:29], v[8:9], off
	s_and_not1_b32 s28, s28, exec_lo
	s_or_b32 s27, s27, exec_lo
	s_wait_loadcnt 0x0
	v_cmp_le_i64_e32 vcc_lo, v[26:27], v[28:29]
	v_cmp_lt_i64_e64 s0, v[26:27], v[28:29]
	s_and_b32 s30, vcc_lo, s29
	s_delay_alu instid0(SALU_CYCLE_1) | instskip(NEXT) | instid1(SALU_CYCLE_1)
	s_or_b32 s0, s0, s30
	s_and_b32 s30, s0, exec_lo
	s_delay_alu instid0(SALU_CYCLE_1)
	s_or_b32 s28, s28, s30
	s_mov_b32 s30, exec_lo
	v_cmpx_eq_u64_e64 v[26:27], v[28:29]
	s_cbranch_execz .LBB505_441
; %bb.443:                              ;   in Loop: Header=BB505_442 Depth=1
	s_add_nc_u64 s[6:7], s[6:7], -1
	v_add_nc_u64_e32 v[6:7], 8, v[6:7]
	s_cmp_eq_u64 s[6:7], 0
	v_add_nc_u64_e32 v[8:9], 8, v[8:9]
	s_cselect_b32 s29, -1, 0
	s_and_not1_b32 s27, s27, exec_lo
	s_and_b32 s29, s29, exec_lo
	s_and_not1_b32 s28, s28, exec_lo
	s_or_b32 s27, s27, s29
                                        ; implicit-def: $sgpr29
	s_branch .LBB505_441
.LBB505_444:
	s_or_b32 exec_lo, exec_lo, s25
	s_xor_b32 s0, s26, -1
	s_branch .LBB505_446
.LBB505_445:
	s_mov_b32 s0, -1
.LBB505_446:
	s_delay_alu instid0(SALU_CYCLE_1)
	s_and_b32 s0, s0, exec_lo
.LBB505_447:
	s_or_b32 exec_lo, exec_lo, s22
	s_delay_alu instid0(SALU_CYCLE_1)
	s_or_not1_b32 s22, s0, exec_lo
.LBB505_448:
	s_or_b32 exec_lo, exec_lo, s24
	v_dual_cndmask_b32 v6, v24, v25, s22 :: v_dual_cndmask_b32 v7, v51, v50, s22
	s_mov_b32 s24, exec_lo
	s_delay_alu instid0(VALU_DEP_1) | instskip(NEXT) | instid1(VALU_DEP_1)
	v_add_nc_u32_e32 v6, 1, v6
	v_add_min_u32_e64 v7, v7, -1, v6
	s_delay_alu instid0(VALU_DEP_1)
	v_lshl_add_u32 v7, v7, 3, v46
	ds_load_b64 v[8:9], v7
	s_wait_dscnt 0x0
	v_dual_cndmask_b32 v7, v9, v13, s22 :: v_dual_cndmask_b32 v28, v6, v24, s22
	v_dual_cndmask_b32 v29, v25, v6, s22 :: v_dual_cndmask_b32 v6, v8, v12, s22
	;; [unrolled: 1-line block ×3, first 2 shown]
	s_delay_alu instid0(VALU_DEP_3)
	v_cmpx_lt_u32_e64 v28, v51
	s_cbranch_execz .LBB505_459
; %bb.449:
	s_mov_b32 s0, 0
	s_mov_b32 s23, exec_lo
	v_cmpx_lt_u32_e64 v29, v50
	s_cbranch_execz .LBB505_458
; %bb.450:
	v_cmp_ne_u32_e32 vcc_lo, 1, v45
	s_cbranch_vccnz .LBB505_456
; %bb.451:
	v_mul_u64_e32 v[8:9], s[16:17], v[6:7]
	v_mul_u64_e32 v[26:27], s[16:17], v[24:25]
	s_mov_b32 s25, 0
	s_mov_b64 s[6:7], s[16:17]
                                        ; implicit-def: $sgpr26
                                        ; implicit-def: $sgpr27
                                        ; implicit-def: $sgpr28
                                        ; implicit-def: $sgpr29
	s_delay_alu instid0(VALU_DEP_2) | instskip(NEXT) | instid1(VALU_DEP_2)
	v_lshl_add_u64 v[8:9], v[8:9], 3, s[18:19]
	v_lshl_add_u64 v[26:27], v[26:27], 3, s[18:19]
	s_branch .LBB505_453
.LBB505_452:                            ;   in Loop: Header=BB505_453 Depth=1
	s_or_b32 exec_lo, exec_lo, s30
	s_delay_alu instid0(SALU_CYCLE_1) | instskip(NEXT) | instid1(SALU_CYCLE_1)
	s_and_b32 s30, exec_lo, s27
	s_or_b32 s25, s30, s25
	s_and_not1_b32 s29, s29, exec_lo
	s_and_b32 s0, s0, exec_lo
	s_and_not1_b32 s26, s26, exec_lo
	s_and_b32 s30, s28, exec_lo
	s_or_b32 s29, s29, s0
	s_or_b32 s26, s26, s30
	s_and_not1_b32 exec_lo, exec_lo, s25
	s_cbranch_execz .LBB505_455
.LBB505_453:                            ; =>This Inner Loop Header: Depth=1
	global_load_b64 v[30:31], v[8:9], off
	global_load_b64 v[32:33], v[26:27], off
	s_and_not1_b32 s28, s28, exec_lo
	s_or_b32 s27, s27, exec_lo
	s_wait_loadcnt 0x0
	v_cmp_le_i64_e32 vcc_lo, v[30:31], v[32:33]
	v_cmp_lt_i64_e64 s0, v[30:31], v[32:33]
	s_and_b32 s30, vcc_lo, s29
	s_delay_alu instid0(SALU_CYCLE_1) | instskip(NEXT) | instid1(SALU_CYCLE_1)
	s_or_b32 s0, s0, s30
	s_and_b32 s30, s0, exec_lo
	s_delay_alu instid0(SALU_CYCLE_1)
	s_or_b32 s28, s28, s30
	s_mov_b32 s30, exec_lo
	v_cmpx_eq_u64_e64 v[30:31], v[32:33]
	s_cbranch_execz .LBB505_452
; %bb.454:                              ;   in Loop: Header=BB505_453 Depth=1
	s_add_nc_u64 s[6:7], s[6:7], -1
	v_add_nc_u64_e32 v[8:9], 8, v[8:9]
	s_cmp_eq_u64 s[6:7], 0
	v_add_nc_u64_e32 v[26:27], 8, v[26:27]
	s_cselect_b32 s29, -1, 0
	s_and_not1_b32 s27, s27, exec_lo
	s_and_b32 s29, s29, exec_lo
	s_and_not1_b32 s28, s28, exec_lo
	s_or_b32 s27, s27, s29
                                        ; implicit-def: $sgpr29
	s_branch .LBB505_452
.LBB505_455:
	s_or_b32 exec_lo, exec_lo, s25
	s_xor_b32 s0, s26, -1
	s_branch .LBB505_457
.LBB505_456:
	s_mov_b32 s0, -1
.LBB505_457:
	s_delay_alu instid0(SALU_CYCLE_1)
	s_and_b32 s0, s0, exec_lo
.LBB505_458:
	s_or_b32 exec_lo, exec_lo, s23
	s_delay_alu instid0(SALU_CYCLE_1)
	s_or_not1_b32 s23, s0, exec_lo
.LBB505_459:
	s_or_b32 exec_lo, exec_lo, s24
	v_dual_cndmask_b32 v8, v28, v29, s23 :: v_dual_cndmask_b32 v9, v51, v50, s23
	s_mov_b32 s24, -1
	s_mov_b32 s25, -1
	s_mov_b32 s26, exec_lo
	s_delay_alu instid0(VALU_DEP_1) | instskip(NEXT) | instid1(VALU_DEP_1)
	v_add_nc_u32_e32 v8, 1, v8
	v_add_min_u32_e64 v9, v9, -1, v8
	s_delay_alu instid0(VALU_DEP_1)
	v_lshl_add_u32 v9, v9, 3, v46
	ds_load_b64 v[26:27], v9
	s_wait_dscnt 0x0
	v_dual_cndmask_b32 v9, v27, v7, s23 :: v_dual_cndmask_b32 v32, v8, v28, s23
	v_dual_cndmask_b32 v33, v29, v8, s23 :: v_dual_cndmask_b32 v8, v26, v6, s23
	;; [unrolled: 1-line block ×3, first 2 shown]
	s_delay_alu instid0(VALU_DEP_3)
	v_cmpx_lt_u32_e64 v32, v51
	s_cbranch_execz .LBB505_470
; %bb.460:
	s_mov_b32 s0, 0
	s_mov_b32 s25, exec_lo
	v_cmpx_lt_u32_e64 v33, v50
	s_cbranch_execz .LBB505_469
; %bb.461:
	v_cmp_ne_u32_e32 vcc_lo, 1, v45
	s_cbranch_vccnz .LBB505_467
; %bb.462:
	v_mul_u64_e32 v[28:29], s[16:17], v[8:9]
	v_mul_u64_e32 v[30:31], s[16:17], v[26:27]
	s_mov_b32 s27, 0
	s_mov_b64 s[6:7], s[16:17]
                                        ; implicit-def: $sgpr28
                                        ; implicit-def: $sgpr29
                                        ; implicit-def: $sgpr30
                                        ; implicit-def: $sgpr31
	s_delay_alu instid0(VALU_DEP_2) | instskip(NEXT) | instid1(VALU_DEP_2)
	v_lshl_add_u64 v[28:29], v[28:29], 3, s[18:19]
	v_lshl_add_u64 v[30:31], v[30:31], 3, s[18:19]
	s_branch .LBB505_464
.LBB505_463:                            ;   in Loop: Header=BB505_464 Depth=1
	s_or_b32 exec_lo, exec_lo, s33
	s_delay_alu instid0(SALU_CYCLE_1) | instskip(NEXT) | instid1(SALU_CYCLE_1)
	s_and_b32 s33, exec_lo, s29
	s_or_b32 s27, s33, s27
	s_and_not1_b32 s31, s31, exec_lo
	s_and_b32 s0, s0, exec_lo
	s_and_not1_b32 s28, s28, exec_lo
	s_and_b32 s33, s30, exec_lo
	s_or_b32 s31, s31, s0
	s_or_b32 s28, s28, s33
	s_and_not1_b32 exec_lo, exec_lo, s27
	s_cbranch_execz .LBB505_466
.LBB505_464:                            ; =>This Inner Loop Header: Depth=1
	global_load_b64 v[34:35], v[28:29], off
	global_load_b64 v[52:53], v[30:31], off
	s_and_not1_b32 s30, s30, exec_lo
	s_or_b32 s29, s29, exec_lo
	s_wait_loadcnt 0x0
	v_cmp_le_i64_e32 vcc_lo, v[34:35], v[52:53]
	v_cmp_lt_i64_e64 s0, v[34:35], v[52:53]
	s_and_b32 s33, vcc_lo, s31
	s_delay_alu instid0(SALU_CYCLE_1) | instskip(NEXT) | instid1(SALU_CYCLE_1)
	s_or_b32 s0, s0, s33
	s_and_b32 s33, s0, exec_lo
	s_delay_alu instid0(SALU_CYCLE_1)
	s_or_b32 s30, s30, s33
	s_mov_b32 s33, exec_lo
	v_cmpx_eq_u64_e64 v[34:35], v[52:53]
	s_cbranch_execz .LBB505_463
; %bb.465:                              ;   in Loop: Header=BB505_464 Depth=1
	s_add_nc_u64 s[6:7], s[6:7], -1
	v_add_nc_u64_e32 v[28:29], 8, v[28:29]
	s_cmp_eq_u64 s[6:7], 0
	v_add_nc_u64_e32 v[30:31], 8, v[30:31]
	s_cselect_b32 s31, -1, 0
	s_and_not1_b32 s29, s29, exec_lo
	s_and_b32 s31, s31, exec_lo
	s_and_not1_b32 s30, s30, exec_lo
	s_or_b32 s29, s29, s31
                                        ; implicit-def: $sgpr31
	s_branch .LBB505_463
.LBB505_466:
	s_or_b32 exec_lo, exec_lo, s27
	s_xor_b32 s0, s28, -1
	s_branch .LBB505_468
.LBB505_467:
	s_mov_b32 s0, -1
.LBB505_468:
	s_delay_alu instid0(SALU_CYCLE_1)
	s_and_b32 s0, s0, exec_lo
.LBB505_469:
	s_or_b32 exec_lo, exec_lo, s25
	s_delay_alu instid0(SALU_CYCLE_1)
	s_or_not1_b32 s25, s0, exec_lo
.LBB505_470:
	s_or_b32 exec_lo, exec_lo, s26
	v_dual_cndmask_b32 v28, v32, v33, s25 :: v_dual_cndmask_b32 v29, v51, v50, s25
	s_mov_b32 s26, exec_lo
	s_delay_alu instid0(VALU_DEP_1) | instskip(NEXT) | instid1(VALU_DEP_1)
	v_add_nc_u32_e32 v28, 1, v28
	v_add_min_u32_e64 v29, v29, -1, v28
	s_delay_alu instid0(VALU_DEP_1)
	v_lshl_add_u32 v29, v29, 3, v46
	ds_load_b64 v[30:31], v29
	s_wait_dscnt 0x0
	v_dual_cndmask_b32 v29, v31, v9, s25 :: v_dual_cndmask_b32 v53, v28, v32, s25
	v_dual_cndmask_b32 v31, v27, v31, s25 :: v_dual_cndmask_b32 v52, v33, v28, s25
	v_cndmask_b32_e64 v28, v30, v8, s25
	v_cndmask_b32_e64 v30, v26, v30, s25
	s_delay_alu instid0(VALU_DEP_4)
	v_cmpx_lt_u32_e64 v53, v51
	s_cbranch_execz .LBB505_481
; %bb.471:
	s_mov_b32 s0, 0
	s_mov_b32 s24, exec_lo
	v_cmpx_lt_u32_e64 v52, v50
	s_cbranch_execz .LBB505_480
; %bb.472:
	v_cmp_ne_u32_e32 vcc_lo, 1, v45
	s_cbranch_vccnz .LBB505_478
; %bb.473:
	v_mul_u64_e32 v[32:33], s[16:17], v[28:29]
	v_mul_u64_e32 v[34:35], s[16:17], v[30:31]
	s_mov_b32 s27, 0
	s_mov_b64 s[6:7], s[16:17]
                                        ; implicit-def: $sgpr28
                                        ; implicit-def: $sgpr29
                                        ; implicit-def: $sgpr30
                                        ; implicit-def: $sgpr31
	s_delay_alu instid0(VALU_DEP_2) | instskip(NEXT) | instid1(VALU_DEP_2)
	v_lshl_add_u64 v[32:33], v[32:33], 3, s[18:19]
	v_lshl_add_u64 v[34:35], v[34:35], 3, s[18:19]
	s_branch .LBB505_475
.LBB505_474:                            ;   in Loop: Header=BB505_475 Depth=1
	s_or_b32 exec_lo, exec_lo, s33
	s_delay_alu instid0(SALU_CYCLE_1) | instskip(NEXT) | instid1(SALU_CYCLE_1)
	s_and_b32 s33, exec_lo, s29
	s_or_b32 s27, s33, s27
	s_and_not1_b32 s31, s31, exec_lo
	s_and_b32 s0, s0, exec_lo
	s_and_not1_b32 s28, s28, exec_lo
	s_and_b32 s33, s30, exec_lo
	s_or_b32 s31, s31, s0
	s_or_b32 s28, s28, s33
	s_and_not1_b32 exec_lo, exec_lo, s27
	s_cbranch_execz .LBB505_477
.LBB505_475:                            ; =>This Inner Loop Header: Depth=1
	global_load_b64 v[54:55], v[32:33], off
	global_load_b64 v[56:57], v[34:35], off
	s_and_not1_b32 s30, s30, exec_lo
	s_or_b32 s29, s29, exec_lo
	s_wait_loadcnt 0x0
	v_cmp_le_i64_e32 vcc_lo, v[54:55], v[56:57]
	v_cmp_lt_i64_e64 s0, v[54:55], v[56:57]
	s_and_b32 s33, vcc_lo, s31
	s_delay_alu instid0(SALU_CYCLE_1) | instskip(NEXT) | instid1(SALU_CYCLE_1)
	s_or_b32 s0, s0, s33
	s_and_b32 s33, s0, exec_lo
	s_delay_alu instid0(SALU_CYCLE_1)
	s_or_b32 s30, s30, s33
	s_mov_b32 s33, exec_lo
	v_cmpx_eq_u64_e64 v[54:55], v[56:57]
	s_cbranch_execz .LBB505_474
; %bb.476:                              ;   in Loop: Header=BB505_475 Depth=1
	s_add_nc_u64 s[6:7], s[6:7], -1
	v_add_nc_u64_e32 v[32:33], 8, v[32:33]
	s_cmp_eq_u64 s[6:7], 0
	v_add_nc_u64_e32 v[34:35], 8, v[34:35]
	s_cselect_b32 s31, -1, 0
	s_and_not1_b32 s29, s29, exec_lo
	s_and_b32 s31, s31, exec_lo
	s_and_not1_b32 s30, s30, exec_lo
	s_or_b32 s29, s29, s31
                                        ; implicit-def: $sgpr31
	s_branch .LBB505_474
.LBB505_477:
	s_or_b32 exec_lo, exec_lo, s27
	s_xor_b32 s0, s28, -1
	s_branch .LBB505_479
.LBB505_478:
	s_mov_b32 s0, -1
.LBB505_479:
	s_delay_alu instid0(SALU_CYCLE_1)
	s_and_b32 s0, s0, exec_lo
.LBB505_480:
	s_or_b32 exec_lo, exec_lo, s24
	s_delay_alu instid0(SALU_CYCLE_1)
	s_or_not1_b32 s24, s0, exec_lo
.LBB505_481:
	s_or_b32 exec_lo, exec_lo, s26
	v_dual_cndmask_b32 v32, v53, v52, s24 :: v_dual_cndmask_b32 v33, v51, v50, s24
	v_dual_cndmask_b32 v8, v8, v26, s25 :: v_dual_cndmask_b32 v7, v7, v25, s23
	;; [unrolled: 1-line block ×3, first 2 shown]
	s_delay_alu instid0(VALU_DEP_3) | instskip(SKIP_2) | instid1(VALU_DEP_3)
	v_dual_add_nc_u32 v34, 1, v32 :: v_dual_cndmask_b32 v9, v9, v27, s25
	v_dual_cndmask_b32 v12, v12, v22, s22 :: v_dual_cndmask_b32 v11, v11, v21, s15
	v_dual_cndmask_b32 v10, v10, v20, s15 :: v_dual_cndmask_b32 v17, v15, v17, s14
	v_add_min_u32_e64 v32, v33, -1, v34
	v_dual_cndmask_b32 v16, v14, v16, s14 :: v_dual_cndmask_b32 v15, v5, v3, s5
	v_dual_cndmask_b32 v14, v4, v2, s5 :: v_dual_cndmask_b32 v20, v34, v53, s24
	s_delay_alu instid0(VALU_DEP_3)
	v_lshl_add_u32 v32, v32, 3, v46
	v_dual_cndmask_b32 v3, v29, v31, s24 :: v_dual_cndmask_b32 v2, v28, v30, s24
	s_mov_b32 s5, exec_lo
	ds_load_b64 v[32:33], v32
	s_wait_dscnt 0x0
	v_dual_cndmask_b32 v5, v31, v33, s24 :: v_dual_cndmask_b32 v4, v30, v32, s24
	v_cmpx_lt_u32_e64 v20, v51
	s_cbranch_execz .LBB505_491
; %bb.482:
	v_dual_cndmask_b32 v22, v52, v34, s24 :: v_dual_cndmask_b32 v21, v33, v29, s24
	v_cndmask_b32_e64 v20, v32, v28, s24
	s_mov_b32 s14, exec_lo
	s_delay_alu instid0(VALU_DEP_2)
	v_cmpx_lt_u32_e64 v22, v50
	s_cbranch_execz .LBB505_490
; %bb.483:
	v_cmp_ne_u32_e32 vcc_lo, 1, v45
	s_cbranch_vccnz .LBB505_489
; %bb.484:
	v_mul_u64_e32 v[22:23], s[16:17], v[20:21]
	v_mul_u64_e32 v[24:25], s[16:17], v[4:5]
	s_mov_b32 s15, 0
	s_mov_b64 s[6:7], s[16:17]
                                        ; implicit-def: $sgpr22
                                        ; implicit-def: $sgpr23
                                        ; implicit-def: $sgpr24
                                        ; implicit-def: $sgpr25
	s_delay_alu instid0(VALU_DEP_2) | instskip(NEXT) | instid1(VALU_DEP_2)
	v_lshl_add_u64 v[22:23], v[22:23], 3, s[18:19]
	v_lshl_add_u64 v[24:25], v[24:25], 3, s[18:19]
	s_branch .LBB505_486
.LBB505_485:                            ;   in Loop: Header=BB505_486 Depth=1
	s_or_b32 exec_lo, exec_lo, s26
	s_delay_alu instid0(SALU_CYCLE_1) | instskip(NEXT) | instid1(SALU_CYCLE_1)
	s_and_b32 s26, exec_lo, s23
	s_or_b32 s15, s26, s15
	s_and_not1_b32 s25, s25, exec_lo
	s_and_b32 s0, s0, exec_lo
	s_and_not1_b32 s22, s22, exec_lo
	s_and_b32 s26, s24, exec_lo
	s_or_b32 s25, s25, s0
	s_or_b32 s22, s22, s26
	s_and_not1_b32 exec_lo, exec_lo, s15
	s_cbranch_execz .LBB505_488
.LBB505_486:                            ; =>This Inner Loop Header: Depth=1
	global_load_b64 v[26:27], v[22:23], off
	global_load_b64 v[28:29], v[24:25], off
	s_and_not1_b32 s24, s24, exec_lo
	s_or_b32 s23, s23, exec_lo
	s_wait_loadcnt 0x0
	v_cmp_le_i64_e32 vcc_lo, v[26:27], v[28:29]
	v_cmp_lt_i64_e64 s0, v[26:27], v[28:29]
	s_and_b32 s26, vcc_lo, s25
	s_delay_alu instid0(SALU_CYCLE_1) | instskip(NEXT) | instid1(SALU_CYCLE_1)
	s_or_b32 s0, s0, s26
	s_and_b32 s26, s0, exec_lo
	s_delay_alu instid0(SALU_CYCLE_1)
	s_or_b32 s24, s24, s26
	s_mov_b32 s26, exec_lo
	v_cmpx_eq_u64_e64 v[26:27], v[28:29]
	s_cbranch_execz .LBB505_485
; %bb.487:                              ;   in Loop: Header=BB505_486 Depth=1
	s_add_nc_u64 s[6:7], s[6:7], -1
	v_add_nc_u64_e32 v[22:23], 8, v[22:23]
	s_cmp_eq_u64 s[6:7], 0
	v_add_nc_u64_e32 v[24:25], 8, v[24:25]
	s_cselect_b32 s25, -1, 0
	s_and_not1_b32 s23, s23, exec_lo
	s_and_b32 s25, s25, exec_lo
	s_and_not1_b32 s24, s24, exec_lo
	s_or_b32 s23, s23, s25
                                        ; implicit-def: $sgpr25
	s_branch .LBB505_485
.LBB505_488:
	s_or_b32 exec_lo, exec_lo, s15
	v_dual_cndmask_b32 v5, v5, v21, s22 :: v_dual_cndmask_b32 v4, v4, v20, s22
.LBB505_489:
	s_delay_alu instid0(VALU_DEP_1)
	v_mov_b64_e32 v[20:21], v[4:5]
.LBB505_490:
	s_or_b32 exec_lo, exec_lo, s14
	s_delay_alu instid0(VALU_DEP_1)
	v_mov_b64_e32 v[4:5], v[20:21]
.LBB505_491:
	s_or_b32 exec_lo, exec_lo, s5
.LBB505_492:
	s_delay_alu instid0(SALU_CYCLE_1)
	s_or_b32 exec_lo, exec_lo, s1
	v_and_b32_e32 v26, 0x80, v48
	s_mov_b32 s1, exec_lo
	; wave barrier
	ds_store_b128 v49, v[14:17]
	ds_store_b128 v49, v[10:13] offset:16
	v_or_b32_e32 v20, 64, v26
	v_lshl_add_u32 v25, v26, 3, v46
	ds_store_b128 v49, v[6:9] offset:32
	ds_store_b128 v49, v[2:5] offset:48
	; wave barrier
	v_min_u32_e32 v50, v47, v20
	v_and_b32_e32 v20, 0x78, v48
	s_delay_alu instid0(VALU_DEP_2) | instskip(NEXT) | instid1(VALU_DEP_2)
	v_add_min_u32_e64 v48, v50, 64, v47
	v_min_u32_e32 v27, v47, v20
	v_sub_nc_u32_e32 v21, v50, v26
	s_delay_alu instid0(VALU_DEP_3) | instskip(NEXT) | instid1(VALU_DEP_2)
	v_sub_nc_u32_e32 v20, v48, v50
	v_min_u32_e32 v28, v27, v21
	s_delay_alu instid0(VALU_DEP_2) | instskip(NEXT) | instid1(VALU_DEP_1)
	v_sub_nc_u32_e64 v24, v27, v20 clamp
	v_cmpx_lt_u32_e64 v24, v28
	s_cbranch_execz .LBB505_502
; %bb.493:
	v_dual_lshlrev_b32 v20, 3, v50 :: v_dual_lshlrev_b32 v21, 3, v27
	s_lshl_b64 s[6:7], s[16:17], 3
	s_mov_b32 s5, 0
	s_delay_alu instid0(VALU_DEP_1)
	v_add3_u32 v29, v46, v20, v21
	s_branch .LBB505_496
.LBB505_494:                            ;   in Loop: Header=BB505_496 Depth=1
	s_or_b32 exec_lo, exec_lo, s23
.LBB505_495:                            ;   in Loop: Header=BB505_496 Depth=1
	s_delay_alu instid0(VALU_DEP_1) | instskip(NEXT) | instid1(VALU_DEP_1)
	v_dual_add_nc_u32 v20, 1, v30 :: v_dual_cndmask_b32 v28, v28, v30, s22
	v_cndmask_b32_e64 v24, v20, v24, s22
	s_delay_alu instid0(VALU_DEP_1) | instskip(SKIP_1) | instid1(SALU_CYCLE_1)
	v_cmp_ge_u32_e32 vcc_lo, v24, v28
	s_or_b32 s5, vcc_lo, s5
	s_and_not1_b32 exec_lo, exec_lo, s5
	s_cbranch_execz .LBB505_501
.LBB505_496:                            ; =>This Loop Header: Depth=1
                                        ;     Child Loop BB505_499 Depth 2
	v_add_nc_u32_e32 v20, v28, v24
	v_cmp_ne_u32_e32 vcc_lo, 1, v45
	s_mov_b32 s22, 0
	s_delay_alu instid0(VALU_DEP_2)
	v_lshrrev_b32_e32 v30, 1, v20
	s_cbranch_vccnz .LBB505_495
; %bb.497:                              ;   in Loop: Header=BB505_496 Depth=1
	s_delay_alu instid0(VALU_DEP_1) | instskip(SKIP_3) | instid1(VALU_DEP_2)
	v_not_b32_e32 v20, v30
	v_lshl_add_u32 v21, v30, 3, v25
	s_mov_b32 s23, 0
	s_mov_b64 s[14:15], s[16:17]
                                        ; implicit-def: $sgpr22
                                        ; implicit-def: $sgpr24
                                        ; implicit-def: $sgpr25
                                        ; implicit-def: $sgpr26
	v_lshl_add_u32 v20, v20, 3, v29
	ds_load_b64 v[32:33], v20
	ds_load_b64 v[34:35], v21
	s_wait_dscnt 0x1
	v_mad_nc_u64_u32 v[20:21], s6, v32, s[18:19]
	s_wait_dscnt 0x0
	v_mad_nc_u64_u32 v[22:23], s6, v34, s[18:19]
	s_delay_alu instid0(VALU_DEP_2) | instskip(NEXT) | instid1(VALU_DEP_2)
	v_mad_u32 v21, s7, v32, v21
	v_mad_u32 v23, s7, v34, v23
	s_delay_alu instid0(VALU_DEP_2) | instskip(NEXT) | instid1(VALU_DEP_2)
	v_mad_u32 v21, s6, v33, v21
	v_mad_u32 v23, s6, v35, v23
	s_branch .LBB505_499
.LBB505_498:                            ;   in Loop: Header=BB505_499 Depth=2
	s_or_b32 exec_lo, exec_lo, s27
	s_delay_alu instid0(SALU_CYCLE_1) | instskip(NEXT) | instid1(SALU_CYCLE_1)
	s_and_b32 s27, exec_lo, s24
	s_or_b32 s23, s27, s23
	s_and_not1_b32 s26, s26, exec_lo
	s_and_b32 s0, s0, exec_lo
	s_and_not1_b32 s22, s22, exec_lo
	s_and_b32 s27, s25, exec_lo
	s_or_b32 s26, s26, s0
	s_or_b32 s22, s22, s27
	s_and_not1_b32 exec_lo, exec_lo, s23
	s_cbranch_execz .LBB505_494
.LBB505_499:                            ;   Parent Loop BB505_496 Depth=1
                                        ; =>  This Inner Loop Header: Depth=2
	global_load_b64 v[32:33], v[20:21], off
	global_load_b64 v[34:35], v[22:23], off
	s_and_not1_b32 s25, s25, exec_lo
	s_or_b32 s24, s24, exec_lo
	s_wait_loadcnt 0x0
	v_cmp_le_i64_e32 vcc_lo, v[32:33], v[34:35]
	v_cmp_lt_i64_e64 s0, v[32:33], v[34:35]
	s_and_b32 s27, vcc_lo, s26
	s_delay_alu instid0(SALU_CYCLE_1) | instskip(NEXT) | instid1(SALU_CYCLE_1)
	s_or_b32 s0, s0, s27
	s_and_b32 s27, s0, exec_lo
	s_delay_alu instid0(SALU_CYCLE_1)
	s_or_b32 s25, s25, s27
	s_mov_b32 s27, exec_lo
	v_cmpx_eq_u64_e64 v[32:33], v[34:35]
	s_cbranch_execz .LBB505_498
; %bb.500:                              ;   in Loop: Header=BB505_499 Depth=2
	s_add_nc_u64 s[14:15], s[14:15], -1
	v_add_nc_u64_e32 v[20:21], 8, v[20:21]
	s_cmp_eq_u64 s[14:15], 0
	v_add_nc_u64_e32 v[22:23], 8, v[22:23]
	s_cselect_b32 s26, -1, 0
	s_and_not1_b32 s24, s24, exec_lo
	s_and_b32 s26, s26, exec_lo
	s_and_not1_b32 s25, s25, exec_lo
	s_or_b32 s24, s24, s26
                                        ; implicit-def: $sgpr26
	s_branch .LBB505_498
.LBB505_501:
	s_or_b32 exec_lo, exec_lo, s5
.LBB505_502:
	s_delay_alu instid0(SALU_CYCLE_1) | instskip(SKIP_1) | instid1(VALU_DEP_1)
	s_or_b32 exec_lo, exec_lo, s1
	v_dual_add_nc_u32 v21, v50, v27 :: v_dual_add_nc_u32 v20, v24, v26
	v_sub_nc_u32_e32 v21, v21, v24
	s_delay_alu instid0(VALU_DEP_2) | instskip(NEXT) | instid1(VALU_DEP_2)
	v_cmp_le_u32_e32 vcc_lo, v20, v50
	v_cmp_le_u32_e64 s0, v21, v48
	s_or_b32 s0, vcc_lo, s0
	s_delay_alu instid0(SALU_CYCLE_1)
	s_and_saveexec_b32 s1, s0
	s_cbranch_execz .LBB505_593
; %bb.503:
	s_mov_b32 s5, exec_lo
	v_cmp_ge_u32_e32 vcc_lo, v20, v50
                                        ; implicit-def: $vgpr2_vgpr3
	v_cmpx_lt_u32_e64 v20, v50
; %bb.504:
	v_lshl_add_u32 v2, v24, 3, v25
	ds_load_b64 v[2:3], v2
; %bb.505:
	s_or_b32 exec_lo, exec_lo, s5
	v_cmp_ge_u32_e64 s5, v21, v48
	s_mov_b32 s6, exec_lo
                                        ; implicit-def: $vgpr4_vgpr5
	v_cmpx_lt_u32_e64 v21, v48
; %bb.506:
	v_lshl_add_u32 v4, v21, 3, v46
	ds_load_b64 v[4:5], v4
; %bb.507:
	s_or_b32 exec_lo, exec_lo, s6
	s_nor_b32 s0, vcc_lo, s5
	s_delay_alu instid0(SALU_CYCLE_1)
	s_and_saveexec_b32 s14, s0
	s_cbranch_execz .LBB505_516
; %bb.508:
	v_cmp_ne_u32_e32 vcc_lo, 1, v45
	s_cbranch_vccnz .LBB505_514
; %bb.509:
	s_wait_dscnt 0x0
	v_mul_u64_e32 v[6:7], s[16:17], v[4:5]
	v_mul_u64_e32 v[8:9], s[16:17], v[2:3]
	s_mov_b32 s15, 0
	s_mov_b64 s[6:7], s[16:17]
                                        ; implicit-def: $sgpr22
                                        ; implicit-def: $sgpr23
                                        ; implicit-def: $sgpr24
                                        ; implicit-def: $sgpr25
	s_delay_alu instid0(VALU_DEP_2) | instskip(NEXT) | instid1(VALU_DEP_2)
	v_lshl_add_u64 v[6:7], v[6:7], 3, s[18:19]
	v_lshl_add_u64 v[8:9], v[8:9], 3, s[18:19]
	s_branch .LBB505_511
.LBB505_510:                            ;   in Loop: Header=BB505_511 Depth=1
	s_or_b32 exec_lo, exec_lo, s26
	s_delay_alu instid0(SALU_CYCLE_1) | instskip(NEXT) | instid1(SALU_CYCLE_1)
	s_and_b32 s26, exec_lo, s23
	s_or_b32 s15, s26, s15
	s_and_not1_b32 s25, s25, exec_lo
	s_and_b32 s0, s0, exec_lo
	s_and_not1_b32 s22, s22, exec_lo
	s_and_b32 s26, s24, exec_lo
	s_or_b32 s25, s25, s0
	s_or_b32 s22, s22, s26
	s_and_not1_b32 exec_lo, exec_lo, s15
	s_cbranch_execz .LBB505_513
.LBB505_511:                            ; =>This Inner Loop Header: Depth=1
	global_load_b64 v[10:11], v[6:7], off
	global_load_b64 v[12:13], v[8:9], off
	s_and_not1_b32 s24, s24, exec_lo
	s_or_b32 s23, s23, exec_lo
	s_wait_loadcnt 0x0
	v_cmp_le_i64_e32 vcc_lo, v[10:11], v[12:13]
	v_cmp_lt_i64_e64 s0, v[10:11], v[12:13]
	s_and_b32 s26, vcc_lo, s25
	s_delay_alu instid0(SALU_CYCLE_1) | instskip(NEXT) | instid1(SALU_CYCLE_1)
	s_or_b32 s0, s0, s26
	s_and_b32 s26, s0, exec_lo
	s_delay_alu instid0(SALU_CYCLE_1)
	s_or_b32 s24, s24, s26
	s_mov_b32 s26, exec_lo
	v_cmpx_eq_u64_e64 v[10:11], v[12:13]
	s_cbranch_execz .LBB505_510
; %bb.512:                              ;   in Loop: Header=BB505_511 Depth=1
	s_add_nc_u64 s[6:7], s[6:7], -1
	v_add_nc_u64_e32 v[6:7], 8, v[6:7]
	s_cmp_eq_u64 s[6:7], 0
	v_add_nc_u64_e32 v[8:9], 8, v[8:9]
	s_cselect_b32 s25, -1, 0
	s_and_not1_b32 s23, s23, exec_lo
	s_and_b32 s25, s25, exec_lo
	s_and_not1_b32 s24, s24, exec_lo
	s_or_b32 s23, s23, s25
                                        ; implicit-def: $sgpr25
	s_branch .LBB505_510
.LBB505_513:
	s_or_b32 exec_lo, exec_lo, s15
	s_xor_b32 s0, s22, -1
	s_branch .LBB505_515
.LBB505_514:
	s_mov_b32 s0, -1
.LBB505_515:
	s_and_not1_b32 s5, s5, exec_lo
	s_and_b32 s0, s0, exec_lo
	s_delay_alu instid0(SALU_CYCLE_1)
	s_or_b32 s5, s5, s0
.LBB505_516:
	s_or_b32 exec_lo, exec_lo, s14
	v_dual_cndmask_b32 v6, v21, v20, s5 :: v_dual_cndmask_b32 v7, v48, v50, s5
	s_mov_b32 s15, -1
	s_mov_b32 s14, -1
	s_mov_b32 s22, exec_lo
	s_delay_alu instid0(VALU_DEP_1) | instskip(NEXT) | instid1(VALU_DEP_1)
	v_add_nc_u32_e32 v8, 1, v6
	v_add_min_u32_e64 v6, v7, -1, v8
	s_delay_alu instid0(VALU_DEP_1)
	v_lshl_add_u32 v6, v6, 3, v46
	ds_load_b64 v[6:7], v6
	s_wait_dscnt 0x0
	v_cndmask_b32_e64 v15, v7, v5, s5
	v_dual_cndmask_b32 v10, v8, v21, s5 :: v_dual_cndmask_b32 v14, v6, v4, s5
	v_dual_cndmask_b32 v11, v20, v8, s5 :: v_dual_cndmask_b32 v17, v3, v7, s5
	v_cndmask_b32_e64 v16, v2, v6, s5
	s_delay_alu instid0(VALU_DEP_3)
	v_cmpx_lt_u32_e64 v10, v48
	s_cbranch_execz .LBB505_527
; %bb.517:
	s_mov_b32 s0, 0
	s_mov_b32 s14, exec_lo
	v_cmpx_lt_u32_e64 v11, v50
	s_cbranch_execz .LBB505_526
; %bb.518:
	v_cmp_ne_u32_e32 vcc_lo, 1, v45
	s_cbranch_vccnz .LBB505_524
; %bb.519:
	v_mul_u64_e32 v[6:7], s[16:17], v[14:15]
	v_mul_u64_e32 v[8:9], s[16:17], v[16:17]
	s_mov_b32 s23, 0
	s_mov_b64 s[6:7], s[16:17]
                                        ; implicit-def: $sgpr24
                                        ; implicit-def: $sgpr25
                                        ; implicit-def: $sgpr26
                                        ; implicit-def: $sgpr27
	s_delay_alu instid0(VALU_DEP_2) | instskip(NEXT) | instid1(VALU_DEP_2)
	v_lshl_add_u64 v[6:7], v[6:7], 3, s[18:19]
	v_lshl_add_u64 v[8:9], v[8:9], 3, s[18:19]
	s_branch .LBB505_521
.LBB505_520:                            ;   in Loop: Header=BB505_521 Depth=1
	s_or_b32 exec_lo, exec_lo, s28
	s_delay_alu instid0(SALU_CYCLE_1) | instskip(NEXT) | instid1(SALU_CYCLE_1)
	s_and_b32 s28, exec_lo, s25
	s_or_b32 s23, s28, s23
	s_and_not1_b32 s27, s27, exec_lo
	s_and_b32 s0, s0, exec_lo
	s_and_not1_b32 s24, s24, exec_lo
	s_and_b32 s28, s26, exec_lo
	s_or_b32 s27, s27, s0
	s_or_b32 s24, s24, s28
	s_and_not1_b32 exec_lo, exec_lo, s23
	s_cbranch_execz .LBB505_523
.LBB505_521:                            ; =>This Inner Loop Header: Depth=1
	global_load_b64 v[12:13], v[6:7], off
	global_load_b64 v[20:21], v[8:9], off
	s_and_not1_b32 s26, s26, exec_lo
	s_or_b32 s25, s25, exec_lo
	s_wait_loadcnt 0x0
	v_cmp_le_i64_e32 vcc_lo, v[12:13], v[20:21]
	v_cmp_lt_i64_e64 s0, v[12:13], v[20:21]
	s_and_b32 s28, vcc_lo, s27
	s_delay_alu instid0(SALU_CYCLE_1) | instskip(NEXT) | instid1(SALU_CYCLE_1)
	s_or_b32 s0, s0, s28
	s_and_b32 s28, s0, exec_lo
	s_delay_alu instid0(SALU_CYCLE_1)
	s_or_b32 s26, s26, s28
	s_mov_b32 s28, exec_lo
	v_cmpx_eq_u64_e64 v[12:13], v[20:21]
	s_cbranch_execz .LBB505_520
; %bb.522:                              ;   in Loop: Header=BB505_521 Depth=1
	s_add_nc_u64 s[6:7], s[6:7], -1
	v_add_nc_u64_e32 v[6:7], 8, v[6:7]
	s_cmp_eq_u64 s[6:7], 0
	v_add_nc_u64_e32 v[8:9], 8, v[8:9]
	s_cselect_b32 s27, -1, 0
	s_and_not1_b32 s25, s25, exec_lo
	s_and_b32 s27, s27, exec_lo
	s_and_not1_b32 s26, s26, exec_lo
	s_or_b32 s25, s25, s27
                                        ; implicit-def: $sgpr27
	s_branch .LBB505_520
.LBB505_523:
	s_or_b32 exec_lo, exec_lo, s23
	s_xor_b32 s0, s24, -1
	s_branch .LBB505_525
.LBB505_524:
	s_mov_b32 s0, -1
.LBB505_525:
	s_delay_alu instid0(SALU_CYCLE_1)
	s_and_b32 s0, s0, exec_lo
.LBB505_526:
	s_or_b32 exec_lo, exec_lo, s14
	s_delay_alu instid0(SALU_CYCLE_1)
	s_or_not1_b32 s14, s0, exec_lo
.LBB505_527:
	s_or_b32 exec_lo, exec_lo, s22
	v_dual_cndmask_b32 v6, v10, v11, s14 :: v_dual_cndmask_b32 v7, v48, v50, s14
	s_mov_b32 s22, exec_lo
	s_delay_alu instid0(VALU_DEP_1) | instskip(NEXT) | instid1(VALU_DEP_1)
	v_add_nc_u32_e32 v8, 1, v6
	v_add_min_u32_e64 v6, v7, -1, v8
	s_delay_alu instid0(VALU_DEP_1)
	v_lshl_add_u32 v6, v6, 3, v46
	ds_load_b64 v[6:7], v6
	v_cndmask_b32_e64 v13, v11, v8, s14
	s_wait_dscnt 0x0
	v_dual_cndmask_b32 v11, v7, v15, s14 :: v_dual_cndmask_b32 v12, v8, v10, s14
	v_dual_cndmask_b32 v21, v17, v7, s14 :: v_dual_cndmask_b32 v10, v6, v14, s14
	v_cndmask_b32_e64 v20, v16, v6, s14
	s_delay_alu instid0(VALU_DEP_3)
	v_cmpx_lt_u32_e64 v12, v48
	s_cbranch_execz .LBB505_538
; %bb.528:
	s_mov_b32 s0, 0
	s_mov_b32 s15, exec_lo
	v_cmpx_lt_u32_e64 v13, v50
	s_cbranch_execz .LBB505_537
; %bb.529:
	v_cmp_ne_u32_e32 vcc_lo, 1, v45
	s_cbranch_vccnz .LBB505_535
; %bb.530:
	v_mul_u64_e32 v[6:7], s[16:17], v[10:11]
	v_mul_u64_e32 v[8:9], s[16:17], v[20:21]
	s_mov_b32 s23, 0
	s_mov_b64 s[6:7], s[16:17]
                                        ; implicit-def: $sgpr24
                                        ; implicit-def: $sgpr25
                                        ; implicit-def: $sgpr26
                                        ; implicit-def: $sgpr27
	s_delay_alu instid0(VALU_DEP_2) | instskip(NEXT) | instid1(VALU_DEP_2)
	v_lshl_add_u64 v[6:7], v[6:7], 3, s[18:19]
	v_lshl_add_u64 v[8:9], v[8:9], 3, s[18:19]
	s_branch .LBB505_532
.LBB505_531:                            ;   in Loop: Header=BB505_532 Depth=1
	s_or_b32 exec_lo, exec_lo, s28
	s_delay_alu instid0(SALU_CYCLE_1) | instskip(NEXT) | instid1(SALU_CYCLE_1)
	s_and_b32 s28, exec_lo, s25
	s_or_b32 s23, s28, s23
	s_and_not1_b32 s27, s27, exec_lo
	s_and_b32 s0, s0, exec_lo
	s_and_not1_b32 s24, s24, exec_lo
	s_and_b32 s28, s26, exec_lo
	s_or_b32 s27, s27, s0
	s_or_b32 s24, s24, s28
	s_and_not1_b32 exec_lo, exec_lo, s23
	s_cbranch_execz .LBB505_534
.LBB505_532:                            ; =>This Inner Loop Header: Depth=1
	global_load_b64 v[22:23], v[6:7], off
	global_load_b64 v[24:25], v[8:9], off
	s_and_not1_b32 s26, s26, exec_lo
	s_or_b32 s25, s25, exec_lo
	s_wait_loadcnt 0x0
	v_cmp_le_i64_e32 vcc_lo, v[22:23], v[24:25]
	v_cmp_lt_i64_e64 s0, v[22:23], v[24:25]
	s_and_b32 s28, vcc_lo, s27
	s_delay_alu instid0(SALU_CYCLE_1) | instskip(NEXT) | instid1(SALU_CYCLE_1)
	s_or_b32 s0, s0, s28
	s_and_b32 s28, s0, exec_lo
	s_delay_alu instid0(SALU_CYCLE_1)
	s_or_b32 s26, s26, s28
	s_mov_b32 s28, exec_lo
	v_cmpx_eq_u64_e64 v[22:23], v[24:25]
	s_cbranch_execz .LBB505_531
; %bb.533:                              ;   in Loop: Header=BB505_532 Depth=1
	s_add_nc_u64 s[6:7], s[6:7], -1
	v_add_nc_u64_e32 v[6:7], 8, v[6:7]
	s_cmp_eq_u64 s[6:7], 0
	v_add_nc_u64_e32 v[8:9], 8, v[8:9]
	s_cselect_b32 s27, -1, 0
	s_and_not1_b32 s25, s25, exec_lo
	s_and_b32 s27, s27, exec_lo
	s_and_not1_b32 s26, s26, exec_lo
	s_or_b32 s25, s25, s27
                                        ; implicit-def: $sgpr27
	s_branch .LBB505_531
.LBB505_534:
	s_or_b32 exec_lo, exec_lo, s23
	s_xor_b32 s0, s24, -1
	s_branch .LBB505_536
.LBB505_535:
	s_mov_b32 s0, -1
.LBB505_536:
	s_delay_alu instid0(SALU_CYCLE_1)
	s_and_b32 s0, s0, exec_lo
.LBB505_537:
	s_or_b32 exec_lo, exec_lo, s15
	s_delay_alu instid0(SALU_CYCLE_1)
	s_or_not1_b32 s15, s0, exec_lo
.LBB505_538:
	s_or_b32 exec_lo, exec_lo, s22
	v_cndmask_b32_e64 v6, v12, v13, s15
	v_cndmask_b32_e64 v7, v48, v50, s15
	s_mov_b32 s23, -1
	s_mov_b32 s22, -1
	s_mov_b32 s24, exec_lo
	v_add_nc_u32_e32 v8, 1, v6
	s_delay_alu instid0(VALU_DEP_1) | instskip(SKIP_1) | instid1(VALU_DEP_2)
	v_add_min_u32_e64 v6, v7, -1, v8
	v_cndmask_b32_e64 v25, v13, v8, s15
	v_lshl_add_u32 v6, v6, 3, v46
	ds_load_b64 v[6:7], v6
	s_wait_dscnt 0x0
	v_dual_cndmask_b32 v13, v7, v11, s15 :: v_dual_cndmask_b32 v24, v8, v12, s15
	v_dual_cndmask_b32 v12, v6, v10, s15 :: v_dual_cndmask_b32 v23, v21, v7, s15
	v_cndmask_b32_e64 v22, v20, v6, s15
	s_delay_alu instid0(VALU_DEP_3)
	v_cmpx_lt_u32_e64 v24, v48
	s_cbranch_execz .LBB505_549
; %bb.539:
	s_mov_b32 s0, 0
	s_mov_b32 s22, exec_lo
	v_cmpx_lt_u32_e64 v25, v50
	s_cbranch_execz .LBB505_548
; %bb.540:
	v_cmp_ne_u32_e32 vcc_lo, 1, v45
	s_cbranch_vccnz .LBB505_546
; %bb.541:
	v_mul_u64_e32 v[6:7], s[16:17], v[12:13]
	v_mul_u64_e32 v[8:9], s[16:17], v[22:23]
	s_mov_b32 s25, 0
	s_mov_b64 s[6:7], s[16:17]
                                        ; implicit-def: $sgpr26
                                        ; implicit-def: $sgpr27
                                        ; implicit-def: $sgpr28
                                        ; implicit-def: $sgpr29
	s_delay_alu instid0(VALU_DEP_2) | instskip(NEXT) | instid1(VALU_DEP_2)
	v_lshl_add_u64 v[6:7], v[6:7], 3, s[18:19]
	v_lshl_add_u64 v[8:9], v[8:9], 3, s[18:19]
	s_branch .LBB505_543
.LBB505_542:                            ;   in Loop: Header=BB505_543 Depth=1
	s_or_b32 exec_lo, exec_lo, s30
	s_delay_alu instid0(SALU_CYCLE_1) | instskip(NEXT) | instid1(SALU_CYCLE_1)
	s_and_b32 s30, exec_lo, s27
	s_or_b32 s25, s30, s25
	s_and_not1_b32 s29, s29, exec_lo
	s_and_b32 s0, s0, exec_lo
	s_and_not1_b32 s26, s26, exec_lo
	s_and_b32 s30, s28, exec_lo
	s_or_b32 s29, s29, s0
	s_or_b32 s26, s26, s30
	s_and_not1_b32 exec_lo, exec_lo, s25
	s_cbranch_execz .LBB505_545
.LBB505_543:                            ; =>This Inner Loop Header: Depth=1
	global_load_b64 v[26:27], v[6:7], off
	global_load_b64 v[28:29], v[8:9], off
	s_and_not1_b32 s28, s28, exec_lo
	s_or_b32 s27, s27, exec_lo
	s_wait_loadcnt 0x0
	v_cmp_le_i64_e32 vcc_lo, v[26:27], v[28:29]
	v_cmp_lt_i64_e64 s0, v[26:27], v[28:29]
	s_and_b32 s30, vcc_lo, s29
	s_delay_alu instid0(SALU_CYCLE_1) | instskip(NEXT) | instid1(SALU_CYCLE_1)
	s_or_b32 s0, s0, s30
	s_and_b32 s30, s0, exec_lo
	s_delay_alu instid0(SALU_CYCLE_1)
	s_or_b32 s28, s28, s30
	s_mov_b32 s30, exec_lo
	v_cmpx_eq_u64_e64 v[26:27], v[28:29]
	s_cbranch_execz .LBB505_542
; %bb.544:                              ;   in Loop: Header=BB505_543 Depth=1
	s_add_nc_u64 s[6:7], s[6:7], -1
	v_add_nc_u64_e32 v[6:7], 8, v[6:7]
	s_cmp_eq_u64 s[6:7], 0
	v_add_nc_u64_e32 v[8:9], 8, v[8:9]
	s_cselect_b32 s29, -1, 0
	s_and_not1_b32 s27, s27, exec_lo
	s_and_b32 s29, s29, exec_lo
	s_and_not1_b32 s28, s28, exec_lo
	s_or_b32 s27, s27, s29
                                        ; implicit-def: $sgpr29
	s_branch .LBB505_542
.LBB505_545:
	s_or_b32 exec_lo, exec_lo, s25
	s_xor_b32 s0, s26, -1
	s_branch .LBB505_547
.LBB505_546:
	s_mov_b32 s0, -1
.LBB505_547:
	s_delay_alu instid0(SALU_CYCLE_1)
	s_and_b32 s0, s0, exec_lo
.LBB505_548:
	s_or_b32 exec_lo, exec_lo, s22
	s_delay_alu instid0(SALU_CYCLE_1)
	s_or_not1_b32 s22, s0, exec_lo
.LBB505_549:
	s_or_b32 exec_lo, exec_lo, s24
	v_cndmask_b32_e64 v6, v24, v25, s22
	s_mov_b32 s24, exec_lo
	s_delay_alu instid0(VALU_DEP_1) | instskip(NEXT) | instid1(VALU_DEP_1)
	v_add_nc_u32_e32 v6, 1, v6
	v_dual_cndmask_b32 v7, v48, v50, s22 :: v_dual_cndmask_b32 v28, v6, v24, s22
	s_delay_alu instid0(VALU_DEP_1) | instskip(NEXT) | instid1(VALU_DEP_1)
	v_add_min_u32_e64 v7, v7, -1, v6
	v_lshl_add_u32 v7, v7, 3, v46
	ds_load_b64 v[8:9], v7
	s_wait_dscnt 0x0
	v_cndmask_b32_e64 v7, v9, v13, s22
	v_dual_cndmask_b32 v29, v25, v6, s22 :: v_dual_cndmask_b32 v6, v8, v12, s22
	v_dual_cndmask_b32 v25, v23, v9, s22 :: v_dual_cndmask_b32 v24, v22, v8, s22
	v_cmpx_lt_u32_e64 v28, v48
	s_cbranch_execz .LBB505_560
; %bb.550:
	s_mov_b32 s0, 0
	s_mov_b32 s23, exec_lo
	v_cmpx_lt_u32_e64 v29, v50
	s_cbranch_execz .LBB505_559
; %bb.551:
	v_cmp_ne_u32_e32 vcc_lo, 1, v45
	s_cbranch_vccnz .LBB505_557
; %bb.552:
	v_mul_u64_e32 v[8:9], s[16:17], v[6:7]
	v_mul_u64_e32 v[26:27], s[16:17], v[24:25]
	s_mov_b32 s25, 0
	s_mov_b64 s[6:7], s[16:17]
                                        ; implicit-def: $sgpr26
                                        ; implicit-def: $sgpr27
                                        ; implicit-def: $sgpr28
                                        ; implicit-def: $sgpr29
	s_delay_alu instid0(VALU_DEP_2) | instskip(NEXT) | instid1(VALU_DEP_2)
	v_lshl_add_u64 v[8:9], v[8:9], 3, s[18:19]
	v_lshl_add_u64 v[26:27], v[26:27], 3, s[18:19]
	s_branch .LBB505_554
.LBB505_553:                            ;   in Loop: Header=BB505_554 Depth=1
	s_or_b32 exec_lo, exec_lo, s30
	s_delay_alu instid0(SALU_CYCLE_1) | instskip(NEXT) | instid1(SALU_CYCLE_1)
	s_and_b32 s30, exec_lo, s27
	s_or_b32 s25, s30, s25
	s_and_not1_b32 s29, s29, exec_lo
	s_and_b32 s0, s0, exec_lo
	s_and_not1_b32 s26, s26, exec_lo
	s_and_b32 s30, s28, exec_lo
	s_or_b32 s29, s29, s0
	s_or_b32 s26, s26, s30
	s_and_not1_b32 exec_lo, exec_lo, s25
	s_cbranch_execz .LBB505_556
.LBB505_554:                            ; =>This Inner Loop Header: Depth=1
	global_load_b64 v[30:31], v[8:9], off
	global_load_b64 v[32:33], v[26:27], off
	s_and_not1_b32 s28, s28, exec_lo
	s_or_b32 s27, s27, exec_lo
	s_wait_loadcnt 0x0
	v_cmp_le_i64_e32 vcc_lo, v[30:31], v[32:33]
	v_cmp_lt_i64_e64 s0, v[30:31], v[32:33]
	s_and_b32 s30, vcc_lo, s29
	s_delay_alu instid0(SALU_CYCLE_1) | instskip(NEXT) | instid1(SALU_CYCLE_1)
	s_or_b32 s0, s0, s30
	s_and_b32 s30, s0, exec_lo
	s_delay_alu instid0(SALU_CYCLE_1)
	s_or_b32 s28, s28, s30
	s_mov_b32 s30, exec_lo
	v_cmpx_eq_u64_e64 v[30:31], v[32:33]
	s_cbranch_execz .LBB505_553
; %bb.555:                              ;   in Loop: Header=BB505_554 Depth=1
	s_add_nc_u64 s[6:7], s[6:7], -1
	v_add_nc_u64_e32 v[8:9], 8, v[8:9]
	s_cmp_eq_u64 s[6:7], 0
	v_add_nc_u64_e32 v[26:27], 8, v[26:27]
	s_cselect_b32 s29, -1, 0
	s_and_not1_b32 s27, s27, exec_lo
	s_and_b32 s29, s29, exec_lo
	s_and_not1_b32 s28, s28, exec_lo
	s_or_b32 s27, s27, s29
                                        ; implicit-def: $sgpr29
	s_branch .LBB505_553
.LBB505_556:
	s_or_b32 exec_lo, exec_lo, s25
	s_xor_b32 s0, s26, -1
	s_branch .LBB505_558
.LBB505_557:
	s_mov_b32 s0, -1
.LBB505_558:
	s_delay_alu instid0(SALU_CYCLE_1)
	s_and_b32 s0, s0, exec_lo
.LBB505_559:
	s_or_b32 exec_lo, exec_lo, s23
	s_delay_alu instid0(SALU_CYCLE_1)
	s_or_not1_b32 s23, s0, exec_lo
.LBB505_560:
	s_or_b32 exec_lo, exec_lo, s24
	v_cndmask_b32_e64 v8, v28, v29, s23
	v_cndmask_b32_e64 v9, v48, v50, s23
	s_mov_b32 s24, -1
	s_mov_b32 s25, -1
	s_mov_b32 s26, exec_lo
	v_add_nc_u32_e32 v8, 1, v8
	s_delay_alu instid0(VALU_DEP_1) | instskip(NEXT) | instid1(VALU_DEP_1)
	v_add_min_u32_e64 v9, v9, -1, v8
	v_lshl_add_u32 v9, v9, 3, v46
	ds_load_b64 v[26:27], v9
	v_cndmask_b32_e64 v32, v8, v28, s23
	s_wait_dscnt 0x0
	v_dual_cndmask_b32 v33, v29, v8, s23 :: v_dual_cndmask_b32 v9, v27, v7, s23
	v_dual_cndmask_b32 v8, v26, v6, s23 :: v_dual_cndmask_b32 v27, v25, v27, s23
	v_cndmask_b32_e64 v26, v24, v26, s23
	v_cmpx_lt_u32_e64 v32, v48
	s_cbranch_execz .LBB505_571
; %bb.561:
	s_mov_b32 s0, 0
	s_mov_b32 s25, exec_lo
	v_cmpx_lt_u32_e64 v33, v50
	s_cbranch_execz .LBB505_570
; %bb.562:
	v_cmp_ne_u32_e32 vcc_lo, 1, v45
	s_cbranch_vccnz .LBB505_568
; %bb.563:
	v_mul_u64_e32 v[28:29], s[16:17], v[8:9]
	v_mul_u64_e32 v[30:31], s[16:17], v[26:27]
	s_mov_b32 s27, 0
	s_mov_b64 s[6:7], s[16:17]
                                        ; implicit-def: $sgpr28
                                        ; implicit-def: $sgpr29
                                        ; implicit-def: $sgpr30
                                        ; implicit-def: $sgpr31
	s_delay_alu instid0(VALU_DEP_2) | instskip(NEXT) | instid1(VALU_DEP_2)
	v_lshl_add_u64 v[28:29], v[28:29], 3, s[18:19]
	v_lshl_add_u64 v[30:31], v[30:31], 3, s[18:19]
	s_branch .LBB505_565
.LBB505_564:                            ;   in Loop: Header=BB505_565 Depth=1
	s_or_b32 exec_lo, exec_lo, s33
	s_delay_alu instid0(SALU_CYCLE_1) | instskip(NEXT) | instid1(SALU_CYCLE_1)
	s_and_b32 s33, exec_lo, s29
	s_or_b32 s27, s33, s27
	s_and_not1_b32 s31, s31, exec_lo
	s_and_b32 s0, s0, exec_lo
	s_and_not1_b32 s28, s28, exec_lo
	s_and_b32 s33, s30, exec_lo
	s_or_b32 s31, s31, s0
	s_or_b32 s28, s28, s33
	s_and_not1_b32 exec_lo, exec_lo, s27
	s_cbranch_execz .LBB505_567
.LBB505_565:                            ; =>This Inner Loop Header: Depth=1
	global_load_b64 v[34:35], v[28:29], off
	global_load_b64 v[52:53], v[30:31], off
	s_and_not1_b32 s30, s30, exec_lo
	s_or_b32 s29, s29, exec_lo
	s_wait_loadcnt 0x0
	v_cmp_le_i64_e32 vcc_lo, v[34:35], v[52:53]
	v_cmp_lt_i64_e64 s0, v[34:35], v[52:53]
	s_and_b32 s33, vcc_lo, s31
	s_delay_alu instid0(SALU_CYCLE_1) | instskip(NEXT) | instid1(SALU_CYCLE_1)
	s_or_b32 s0, s0, s33
	s_and_b32 s33, s0, exec_lo
	s_delay_alu instid0(SALU_CYCLE_1)
	s_or_b32 s30, s30, s33
	s_mov_b32 s33, exec_lo
	v_cmpx_eq_u64_e64 v[34:35], v[52:53]
	s_cbranch_execz .LBB505_564
; %bb.566:                              ;   in Loop: Header=BB505_565 Depth=1
	s_add_nc_u64 s[6:7], s[6:7], -1
	v_add_nc_u64_e32 v[28:29], 8, v[28:29]
	s_cmp_eq_u64 s[6:7], 0
	v_add_nc_u64_e32 v[30:31], 8, v[30:31]
	s_cselect_b32 s31, -1, 0
	s_and_not1_b32 s29, s29, exec_lo
	s_and_b32 s31, s31, exec_lo
	s_and_not1_b32 s30, s30, exec_lo
	s_or_b32 s29, s29, s31
                                        ; implicit-def: $sgpr31
	s_branch .LBB505_564
.LBB505_567:
	s_or_b32 exec_lo, exec_lo, s27
	s_xor_b32 s0, s28, -1
	s_branch .LBB505_569
.LBB505_568:
	s_mov_b32 s0, -1
.LBB505_569:
	s_delay_alu instid0(SALU_CYCLE_1)
	s_and_b32 s0, s0, exec_lo
.LBB505_570:
	s_or_b32 exec_lo, exec_lo, s25
	s_delay_alu instid0(SALU_CYCLE_1)
	s_or_not1_b32 s25, s0, exec_lo
.LBB505_571:
	s_or_b32 exec_lo, exec_lo, s26
	v_cndmask_b32_e64 v28, v32, v33, s25
	v_cndmask_b32_e64 v29, v48, v50, s25
	s_mov_b32 s26, exec_lo
	s_delay_alu instid0(VALU_DEP_2) | instskip(NEXT) | instid1(VALU_DEP_1)
	v_add_nc_u32_e32 v28, 1, v28
	v_add_min_u32_e64 v29, v29, -1, v28
	s_delay_alu instid0(VALU_DEP_1)
	v_lshl_add_u32 v29, v29, 3, v46
	ds_load_b64 v[30:31], v29
	v_cndmask_b32_e64 v49, v28, v32, s25
	s_wait_dscnt 0x0
	v_dual_cndmask_b32 v47, v33, v28, s25 :: v_dual_cndmask_b32 v29, v31, v9, s25
	v_dual_cndmask_b32 v28, v30, v8, s25 :: v_dual_cndmask_b32 v31, v27, v31, s25
	v_cndmask_b32_e64 v30, v26, v30, s25
	v_cmpx_lt_u32_e64 v49, v48
	s_cbranch_execz .LBB505_582
; %bb.572:
	s_mov_b32 s0, 0
	s_mov_b32 s24, exec_lo
	v_cmpx_lt_u32_e64 v47, v50
	s_cbranch_execz .LBB505_581
; %bb.573:
	v_cmp_ne_u32_e32 vcc_lo, 1, v45
	s_cbranch_vccnz .LBB505_579
; %bb.574:
	v_mul_u64_e32 v[32:33], s[16:17], v[28:29]
	v_mul_u64_e32 v[34:35], s[16:17], v[30:31]
	s_mov_b32 s27, 0
	s_mov_b64 s[6:7], s[16:17]
                                        ; implicit-def: $sgpr28
                                        ; implicit-def: $sgpr29
                                        ; implicit-def: $sgpr30
                                        ; implicit-def: $sgpr31
	s_delay_alu instid0(VALU_DEP_2) | instskip(NEXT) | instid1(VALU_DEP_2)
	v_lshl_add_u64 v[32:33], v[32:33], 3, s[18:19]
	v_lshl_add_u64 v[34:35], v[34:35], 3, s[18:19]
	s_branch .LBB505_576
.LBB505_575:                            ;   in Loop: Header=BB505_576 Depth=1
	s_or_b32 exec_lo, exec_lo, s33
	s_delay_alu instid0(SALU_CYCLE_1) | instskip(NEXT) | instid1(SALU_CYCLE_1)
	s_and_b32 s33, exec_lo, s29
	s_or_b32 s27, s33, s27
	s_and_not1_b32 s31, s31, exec_lo
	s_and_b32 s0, s0, exec_lo
	s_and_not1_b32 s28, s28, exec_lo
	s_and_b32 s33, s30, exec_lo
	s_or_b32 s31, s31, s0
	s_or_b32 s28, s28, s33
	s_and_not1_b32 exec_lo, exec_lo, s27
	s_cbranch_execz .LBB505_578
.LBB505_576:                            ; =>This Inner Loop Header: Depth=1
	global_load_b64 v[52:53], v[32:33], off
	global_load_b64 v[54:55], v[34:35], off
	s_and_not1_b32 s30, s30, exec_lo
	s_or_b32 s29, s29, exec_lo
	s_wait_loadcnt 0x0
	v_cmp_le_i64_e32 vcc_lo, v[52:53], v[54:55]
	v_cmp_lt_i64_e64 s0, v[52:53], v[54:55]
	s_and_b32 s33, vcc_lo, s31
	s_delay_alu instid0(SALU_CYCLE_1) | instskip(NEXT) | instid1(SALU_CYCLE_1)
	s_or_b32 s0, s0, s33
	s_and_b32 s33, s0, exec_lo
	s_delay_alu instid0(SALU_CYCLE_1)
	s_or_b32 s30, s30, s33
	s_mov_b32 s33, exec_lo
	v_cmpx_eq_u64_e64 v[52:53], v[54:55]
	s_cbranch_execz .LBB505_575
; %bb.577:                              ;   in Loop: Header=BB505_576 Depth=1
	s_add_nc_u64 s[6:7], s[6:7], -1
	v_add_nc_u64_e32 v[32:33], 8, v[32:33]
	s_cmp_eq_u64 s[6:7], 0
	v_add_nc_u64_e32 v[34:35], 8, v[34:35]
	s_cselect_b32 s31, -1, 0
	s_and_not1_b32 s29, s29, exec_lo
	s_and_b32 s31, s31, exec_lo
	s_and_not1_b32 s30, s30, exec_lo
	s_or_b32 s29, s29, s31
                                        ; implicit-def: $sgpr31
	s_branch .LBB505_575
.LBB505_578:
	s_or_b32 exec_lo, exec_lo, s27
	s_xor_b32 s0, s28, -1
	s_branch .LBB505_580
.LBB505_579:
	s_mov_b32 s0, -1
.LBB505_580:
	s_delay_alu instid0(SALU_CYCLE_1)
	s_and_b32 s0, s0, exec_lo
.LBB505_581:
	s_or_b32 exec_lo, exec_lo, s24
	s_delay_alu instid0(SALU_CYCLE_1)
	s_or_not1_b32 s24, s0, exec_lo
.LBB505_582:
	s_or_b32 exec_lo, exec_lo, s26
	v_dual_cndmask_b32 v32, v49, v47, s24 :: v_dual_cndmask_b32 v33, v48, v50, s24
	v_dual_cndmask_b32 v8, v8, v26, s25 :: v_dual_cndmask_b32 v7, v7, v25, s23
	;; [unrolled: 1-line block ×3, first 2 shown]
	s_delay_alu instid0(VALU_DEP_3) | instskip(SKIP_2) | instid1(VALU_DEP_3)
	v_dual_add_nc_u32 v34, 1, v32 :: v_dual_cndmask_b32 v9, v9, v27, s25
	v_dual_cndmask_b32 v12, v12, v22, s22 :: v_dual_cndmask_b32 v11, v11, v21, s15
	v_dual_cndmask_b32 v10, v10, v20, s15 :: v_dual_cndmask_b32 v17, v15, v17, s14
	v_add_min_u32_e64 v32, v33, -1, v34
	v_dual_cndmask_b32 v16, v14, v16, s14 :: v_dual_cndmask_b32 v15, v5, v3, s5
	v_dual_cndmask_b32 v14, v4, v2, s5 :: v_dual_cndmask_b32 v20, v34, v49, s24
	s_delay_alu instid0(VALU_DEP_3)
	v_lshl_add_u32 v32, v32, 3, v46
	v_dual_cndmask_b32 v3, v29, v31, s24 :: v_dual_cndmask_b32 v2, v28, v30, s24
	s_mov_b32 s5, exec_lo
	ds_load_b64 v[32:33], v32
	s_wait_dscnt 0x0
	v_dual_cndmask_b32 v5, v31, v33, s24 :: v_dual_cndmask_b32 v4, v30, v32, s24
	v_cmpx_lt_u32_e64 v20, v48
	s_cbranch_execz .LBB505_592
; %bb.583:
	v_dual_cndmask_b32 v22, v47, v34, s24 :: v_dual_cndmask_b32 v21, v33, v29, s24
	v_cndmask_b32_e64 v20, v32, v28, s24
	s_mov_b32 s14, exec_lo
	s_delay_alu instid0(VALU_DEP_2)
	v_cmpx_lt_u32_e64 v22, v50
	s_cbranch_execz .LBB505_591
; %bb.584:
	v_cmp_ne_u32_e32 vcc_lo, 1, v45
	s_cbranch_vccnz .LBB505_590
; %bb.585:
	v_mul_u64_e32 v[22:23], s[16:17], v[20:21]
	v_mul_u64_e32 v[24:25], s[16:17], v[4:5]
	s_mov_b32 s15, 0
	s_mov_b64 s[6:7], s[16:17]
                                        ; implicit-def: $sgpr22
                                        ; implicit-def: $sgpr23
                                        ; implicit-def: $sgpr24
                                        ; implicit-def: $sgpr25
	s_delay_alu instid0(VALU_DEP_2) | instskip(NEXT) | instid1(VALU_DEP_2)
	v_lshl_add_u64 v[22:23], v[22:23], 3, s[18:19]
	v_lshl_add_u64 v[24:25], v[24:25], 3, s[18:19]
	s_branch .LBB505_587
.LBB505_586:                            ;   in Loop: Header=BB505_587 Depth=1
	s_or_b32 exec_lo, exec_lo, s26
	s_delay_alu instid0(SALU_CYCLE_1) | instskip(NEXT) | instid1(SALU_CYCLE_1)
	s_and_b32 s26, exec_lo, s23
	s_or_b32 s15, s26, s15
	s_and_not1_b32 s25, s25, exec_lo
	s_and_b32 s0, s0, exec_lo
	s_and_not1_b32 s22, s22, exec_lo
	s_and_b32 s26, s24, exec_lo
	s_or_b32 s25, s25, s0
	s_or_b32 s22, s22, s26
	s_and_not1_b32 exec_lo, exec_lo, s15
	s_cbranch_execz .LBB505_589
.LBB505_587:                            ; =>This Inner Loop Header: Depth=1
	global_load_b64 v[26:27], v[22:23], off
	global_load_b64 v[28:29], v[24:25], off
	s_and_not1_b32 s24, s24, exec_lo
	s_or_b32 s23, s23, exec_lo
	s_wait_loadcnt 0x0
	v_cmp_le_i64_e32 vcc_lo, v[26:27], v[28:29]
	v_cmp_lt_i64_e64 s0, v[26:27], v[28:29]
	s_and_b32 s26, vcc_lo, s25
	s_delay_alu instid0(SALU_CYCLE_1) | instskip(NEXT) | instid1(SALU_CYCLE_1)
	s_or_b32 s0, s0, s26
	s_and_b32 s26, s0, exec_lo
	s_delay_alu instid0(SALU_CYCLE_1)
	s_or_b32 s24, s24, s26
	s_mov_b32 s26, exec_lo
	v_cmpx_eq_u64_e64 v[26:27], v[28:29]
	s_cbranch_execz .LBB505_586
; %bb.588:                              ;   in Loop: Header=BB505_587 Depth=1
	s_add_nc_u64 s[6:7], s[6:7], -1
	v_add_nc_u64_e32 v[22:23], 8, v[22:23]
	s_cmp_eq_u64 s[6:7], 0
	v_add_nc_u64_e32 v[24:25], 8, v[24:25]
	s_cselect_b32 s25, -1, 0
	s_and_not1_b32 s23, s23, exec_lo
	s_and_b32 s25, s25, exec_lo
	s_and_not1_b32 s24, s24, exec_lo
	s_or_b32 s23, s23, s25
                                        ; implicit-def: $sgpr25
	s_branch .LBB505_586
.LBB505_589:
	s_or_b32 exec_lo, exec_lo, s15
	v_dual_cndmask_b32 v5, v5, v21, s22 :: v_dual_cndmask_b32 v4, v4, v20, s22
.LBB505_590:
	s_delay_alu instid0(VALU_DEP_1)
	v_mov_b64_e32 v[20:21], v[4:5]
.LBB505_591:
	s_or_b32 exec_lo, exec_lo, s14
	s_delay_alu instid0(VALU_DEP_1)
	v_mov_b64_e32 v[4:5], v[20:21]
.LBB505_592:
	s_or_b32 exec_lo, exec_lo, s5
.LBB505_593:
	s_delay_alu instid0(SALU_CYCLE_1)
	s_or_b32 exec_lo, exec_lo, s1
	v_lshlrev_b32_e32 v24, 3, v1
	s_lshl_b64 s[6:7], s[16:17], 3
	s_movk_i32 s1, 0x80
	; wave barrier
	s_wait_dscnt 0x0
	s_barrier_signal -1
	s_barrier_wait -1
.LBB505_594:                            ; =>This Loop Header: Depth=1
                                        ;     Child Loop BB505_598 Depth 2
                                        ;       Child Loop BB505_601 Depth 3
                                        ;     Child Loop BB505_613 Depth 2
                                        ;     Child Loop BB505_623 Depth 2
	;; [unrolled: 1-line block ×8, first 2 shown]
	s_lshl_b32 s5, s1, 1
	s_mov_b32 s22, exec_lo
	s_sub_co_i32 s0, 0, s5
	ds_store_b128 v24, v[14:17]
	ds_store_b128 v24, v[10:13] offset:16
	ds_store_b128 v24, v[6:9] offset:32
	;; [unrolled: 1-line block ×3, first 2 shown]
	v_and_b32_e32 v29, s0, v1
	s_add_co_i32 s0, s5, -1
	s_wait_dscnt 0x0
	v_and_b32_e32 v20, s0, v1
	s_barrier_signal -1
	v_add_min_u32_e64 v25, v29, s1, 0x800
	s_barrier_wait -1
	s_delay_alu instid0(VALU_DEP_2) | instskip(NEXT) | instid1(VALU_DEP_2)
	v_min_u32_e32 v30, 0x800, v20
	v_dual_lshlrev_b32 v28, 3, v29 :: v_dual_sub_nc_u32 v20, v25, v29
	v_add_min_u32_e64 v26, v25, s1, 0x800
	s_delay_alu instid0(VALU_DEP_2) | instskip(NEXT) | instid1(VALU_DEP_2)
	v_min_u32_e32 v31, v30, v20
	v_sub_nc_u32_e32 v21, v26, v25
	s_delay_alu instid0(VALU_DEP_1) | instskip(NEXT) | instid1(VALU_DEP_1)
	v_sub_nc_u32_e64 v27, v30, v21 clamp
	v_cmpx_lt_u32_e64 v27, v31
	s_cbranch_execz .LBB505_604
; %bb.595:                              ;   in Loop: Header=BB505_594 Depth=1
	v_lshlrev_b32_e32 v20, 3, v30
	s_mov_b32 s23, 0
	s_delay_alu instid0(VALU_DEP_1)
	v_lshl_add_u32 v32, v25, 3, v20
	s_branch .LBB505_598
.LBB505_596:                            ;   in Loop: Header=BB505_598 Depth=2
	s_or_b32 exec_lo, exec_lo, s25
.LBB505_597:                            ;   in Loop: Header=BB505_598 Depth=2
	s_delay_alu instid0(VALU_DEP_1) | instskip(NEXT) | instid1(VALU_DEP_1)
	v_dual_add_nc_u32 v20, 1, v33 :: v_dual_cndmask_b32 v31, v31, v33, s24
	v_cndmask_b32_e64 v27, v20, v27, s24
	s_delay_alu instid0(VALU_DEP_1) | instskip(SKIP_1) | instid1(SALU_CYCLE_1)
	v_cmp_ge_u32_e32 vcc_lo, v27, v31
	s_or_b32 s23, vcc_lo, s23
	s_and_not1_b32 exec_lo, exec_lo, s23
	s_cbranch_execz .LBB505_603
.LBB505_598:                            ;   Parent Loop BB505_594 Depth=1
                                        ; =>  This Loop Header: Depth=2
                                        ;       Child Loop BB505_601 Depth 3
	v_add_nc_u32_e32 v20, v31, v27
	v_cmp_ne_u32_e32 vcc_lo, 1, v45
	s_mov_b32 s24, 0
	s_delay_alu instid0(VALU_DEP_2)
	v_lshrrev_b32_e32 v33, 1, v20
	s_cbranch_vccnz .LBB505_597
; %bb.599:                              ;   in Loop: Header=BB505_598 Depth=2
	s_delay_alu instid0(VALU_DEP_1) | instskip(SKIP_3) | instid1(VALU_DEP_2)
	v_not_b32_e32 v20, v33
	v_lshl_add_u32 v21, v33, 3, v28
	s_mov_b32 s25, 0
	s_mov_b64 s[14:15], s[16:17]
                                        ; implicit-def: $sgpr24
                                        ; implicit-def: $sgpr26
                                        ; implicit-def: $sgpr27
                                        ; implicit-def: $sgpr28
	v_lshl_add_u32 v20, v20, 3, v32
	ds_load_b64 v[34:35], v20
	ds_load_b64 v[46:47], v21
	s_wait_dscnt 0x1
	v_mad_nc_u64_u32 v[20:21], s6, v34, s[18:19]
	s_wait_dscnt 0x0
	v_mad_nc_u64_u32 v[22:23], s6, v46, s[18:19]
	s_delay_alu instid0(VALU_DEP_2) | instskip(NEXT) | instid1(VALU_DEP_2)
	v_mad_u32 v21, s7, v34, v21
	v_mad_u32 v23, s7, v46, v23
	s_delay_alu instid0(VALU_DEP_2) | instskip(NEXT) | instid1(VALU_DEP_2)
	v_mad_u32 v21, s6, v35, v21
	v_mad_u32 v23, s6, v47, v23
	s_branch .LBB505_601
.LBB505_600:                            ;   in Loop: Header=BB505_601 Depth=3
	s_or_b32 exec_lo, exec_lo, s29
	s_delay_alu instid0(SALU_CYCLE_1) | instskip(NEXT) | instid1(SALU_CYCLE_1)
	s_and_b32 s29, exec_lo, s26
	s_or_b32 s25, s29, s25
	s_and_not1_b32 s28, s28, exec_lo
	s_and_b32 s0, s0, exec_lo
	s_and_not1_b32 s24, s24, exec_lo
	s_and_b32 s29, s27, exec_lo
	s_or_b32 s28, s28, s0
	s_or_b32 s24, s24, s29
	s_and_not1_b32 exec_lo, exec_lo, s25
	s_cbranch_execz .LBB505_596
.LBB505_601:                            ;   Parent Loop BB505_594 Depth=1
                                        ;     Parent Loop BB505_598 Depth=2
                                        ; =>    This Inner Loop Header: Depth=3
	global_load_b64 v[34:35], v[20:21], off
	global_load_b64 v[46:47], v[22:23], off
	s_and_not1_b32 s27, s27, exec_lo
	s_or_b32 s26, s26, exec_lo
	s_wait_loadcnt 0x0
	v_cmp_le_i64_e32 vcc_lo, v[34:35], v[46:47]
	v_cmp_lt_i64_e64 s0, v[34:35], v[46:47]
	s_and_b32 s29, vcc_lo, s28
	s_delay_alu instid0(SALU_CYCLE_1) | instskip(NEXT) | instid1(SALU_CYCLE_1)
	s_or_b32 s0, s0, s29
	s_and_b32 s29, s0, exec_lo
	s_delay_alu instid0(SALU_CYCLE_1)
	s_or_b32 s27, s27, s29
	s_mov_b32 s29, exec_lo
	v_cmpx_eq_u64_e64 v[34:35], v[46:47]
	s_cbranch_execz .LBB505_600
; %bb.602:                              ;   in Loop: Header=BB505_601 Depth=3
	s_add_nc_u64 s[14:15], s[14:15], -1
	v_add_nc_u64_e32 v[20:21], 8, v[20:21]
	s_cmp_eq_u64 s[14:15], 0
	v_add_nc_u64_e32 v[22:23], 8, v[22:23]
	s_cselect_b32 s28, -1, 0
	s_and_not1_b32 s26, s26, exec_lo
	s_and_b32 s28, s28, exec_lo
	s_and_not1_b32 s27, s27, exec_lo
	s_or_b32 s26, s26, s28
                                        ; implicit-def: $sgpr28
	s_branch .LBB505_600
.LBB505_603:                            ;   in Loop: Header=BB505_594 Depth=1
	s_or_b32 exec_lo, exec_lo, s23
.LBB505_604:                            ;   in Loop: Header=BB505_594 Depth=1
	s_delay_alu instid0(SALU_CYCLE_1) | instskip(SKIP_1) | instid1(VALU_DEP_1)
	s_or_b32 exec_lo, exec_lo, s22
	v_dual_sub_nc_u32 v21, v30, v27 :: v_dual_add_nc_u32 v20, v27, v29
	v_add_nc_u32_e32 v21, v21, v25
	s_delay_alu instid0(VALU_DEP_2) | instskip(NEXT) | instid1(VALU_DEP_2)
	v_cmp_le_u32_e32 vcc_lo, v20, v25
	v_cmp_le_u32_e64 s0, v21, v26
	s_or_b32 s0, vcc_lo, s0
	s_delay_alu instid0(SALU_CYCLE_1)
	s_and_saveexec_b32 s22, s0
	s_cbranch_execz .LBB505_695
; %bb.605:                              ;   in Loop: Header=BB505_594 Depth=1
	s_mov_b32 s14, exec_lo
	v_cmp_ge_u32_e32 vcc_lo, v20, v25
                                        ; implicit-def: $vgpr2_vgpr3
	v_cmpx_lt_u32_e64 v20, v25
; %bb.606:                              ;   in Loop: Header=BB505_594 Depth=1
	v_lshl_add_u32 v2, v27, 3, v28
	ds_load_b64 v[2:3], v2
; %bb.607:                              ;   in Loop: Header=BB505_594 Depth=1
	s_or_b32 exec_lo, exec_lo, s14
	v_cmp_ge_u32_e64 s23, v21, v26
	s_mov_b32 s14, exec_lo
                                        ; implicit-def: $vgpr14_vgpr15
	v_cmpx_lt_u32_e64 v21, v26
; %bb.608:                              ;   in Loop: Header=BB505_594 Depth=1
	v_lshlrev_b32_e32 v4, 3, v21
	ds_load_b64 v[14:15], v4
; %bb.609:                              ;   in Loop: Header=BB505_594 Depth=1
	s_or_b32 exec_lo, exec_lo, s14
	s_nor_b32 s0, vcc_lo, s23
	s_delay_alu instid0(SALU_CYCLE_1)
	s_and_saveexec_b32 s24, s0
	s_cbranch_execz .LBB505_618
; %bb.610:                              ;   in Loop: Header=BB505_594 Depth=1
	v_cmp_ne_u32_e32 vcc_lo, 1, v45
	s_cbranch_vccnz .LBB505_616
; %bb.611:                              ;   in Loop: Header=BB505_594 Depth=1
	s_wait_dscnt 0x0
	v_mad_nc_u64_u32 v[4:5], s6, v14, s[18:19]
	v_mad_nc_u64_u32 v[6:7], s6, v2, s[18:19]
	s_mov_b32 s25, 0
	s_mov_b64 s[14:15], s[16:17]
                                        ; implicit-def: $sgpr26
                                        ; implicit-def: $sgpr27
                                        ; implicit-def: $sgpr28
                                        ; implicit-def: $sgpr29
	s_delay_alu instid0(VALU_DEP_2) | instskip(NEXT) | instid1(VALU_DEP_2)
	v_mad_u32 v5, s7, v14, v5
	v_mad_u32 v7, s7, v2, v7
	s_delay_alu instid0(VALU_DEP_2) | instskip(NEXT) | instid1(VALU_DEP_2)
	v_mad_u32 v5, s6, v15, v5
	v_mad_u32 v7, s6, v3, v7
	s_branch .LBB505_613
.LBB505_612:                            ;   in Loop: Header=BB505_613 Depth=2
	s_or_b32 exec_lo, exec_lo, s30
	s_delay_alu instid0(SALU_CYCLE_1) | instskip(NEXT) | instid1(SALU_CYCLE_1)
	s_and_b32 s30, exec_lo, s27
	s_or_b32 s25, s30, s25
	s_and_not1_b32 s29, s29, exec_lo
	s_and_b32 s0, s0, exec_lo
	s_and_not1_b32 s26, s26, exec_lo
	s_and_b32 s30, s28, exec_lo
	s_or_b32 s29, s29, s0
	s_or_b32 s26, s26, s30
	s_and_not1_b32 exec_lo, exec_lo, s25
	s_cbranch_execz .LBB505_615
.LBB505_613:                            ;   Parent Loop BB505_594 Depth=1
                                        ; =>  This Inner Loop Header: Depth=2
	global_load_b64 v[8:9], v[4:5], off
	global_load_b64 v[10:11], v[6:7], off
	s_and_not1_b32 s28, s28, exec_lo
	s_or_b32 s27, s27, exec_lo
	s_wait_loadcnt 0x0
	v_cmp_le_i64_e32 vcc_lo, v[8:9], v[10:11]
	v_cmp_lt_i64_e64 s0, v[8:9], v[10:11]
	s_and_b32 s30, vcc_lo, s29
	s_delay_alu instid0(SALU_CYCLE_1) | instskip(NEXT) | instid1(SALU_CYCLE_1)
	s_or_b32 s0, s0, s30
	s_and_b32 s30, s0, exec_lo
	s_delay_alu instid0(SALU_CYCLE_1)
	s_or_b32 s28, s28, s30
	s_mov_b32 s30, exec_lo
	v_cmpx_eq_u64_e64 v[8:9], v[10:11]
	s_cbranch_execz .LBB505_612
; %bb.614:                              ;   in Loop: Header=BB505_613 Depth=2
	s_add_nc_u64 s[14:15], s[14:15], -1
	v_add_nc_u64_e32 v[4:5], 8, v[4:5]
	s_cmp_eq_u64 s[14:15], 0
	v_add_nc_u64_e32 v[6:7], 8, v[6:7]
	s_cselect_b32 s29, -1, 0
	s_and_not1_b32 s27, s27, exec_lo
	s_and_b32 s29, s29, exec_lo
	s_and_not1_b32 s28, s28, exec_lo
	s_or_b32 s27, s27, s29
                                        ; implicit-def: $sgpr29
	s_branch .LBB505_612
.LBB505_615:                            ;   in Loop: Header=BB505_594 Depth=1
	s_or_b32 exec_lo, exec_lo, s25
	s_xor_b32 s0, s26, -1
	s_branch .LBB505_617
.LBB505_616:                            ;   in Loop: Header=BB505_594 Depth=1
	s_mov_b32 s0, -1
.LBB505_617:                            ;   in Loop: Header=BB505_594 Depth=1
	s_and_not1_b32 s14, s23, exec_lo
	s_and_b32 s0, s0, exec_lo
	s_delay_alu instid0(SALU_CYCLE_1)
	s_or_b32 s23, s14, s0
.LBB505_618:                            ;   in Loop: Header=BB505_594 Depth=1
	s_or_b32 exec_lo, exec_lo, s24
	v_dual_cndmask_b32 v4, v21, v20, s23 :: v_dual_cndmask_b32 v5, v26, v25, s23
	s_mov_b32 s25, -1
	s_mov_b32 s24, -1
	s_mov_b32 s26, exec_lo
	s_delay_alu instid0(VALU_DEP_1) | instskip(NEXT) | instid1(VALU_DEP_1)
	v_add_nc_u32_e32 v6, 1, v4
	v_add_min_u32_e64 v4, v5, -1, v6
	s_delay_alu instid0(VALU_DEP_1)
	v_dual_lshlrev_b32 v4, 3, v4 :: v_dual_cndmask_b32 v8, v6, v21, s23
	v_cndmask_b32_e64 v9, v20, v6, s23
	ds_load_b64 v[4:5], v4
	s_wait_dscnt 0x0
	v_dual_cndmask_b32 v16, v5, v15, s23 :: v_dual_cndmask_b32 v20, v4, v14, s23
	v_dual_cndmask_b32 v17, v3, v5, s23 :: v_dual_cndmask_b32 v21, v2, v4, s23
	v_cmpx_lt_u32_e64 v8, v26
	s_cbranch_execz .LBB505_629
; %bb.619:                              ;   in Loop: Header=BB505_594 Depth=1
	s_mov_b32 s0, 0
	s_mov_b32 s24, exec_lo
	v_cmpx_lt_u32_e64 v9, v25
	s_cbranch_execz .LBB505_628
; %bb.620:                              ;   in Loop: Header=BB505_594 Depth=1
	v_cmp_ne_u32_e32 vcc_lo, 1, v45
	s_cbranch_vccnz .LBB505_626
; %bb.621:                              ;   in Loop: Header=BB505_594 Depth=1
	v_mad_nc_u64_u32 v[4:5], s6, v20, s[18:19]
	v_mad_nc_u64_u32 v[6:7], s6, v21, s[18:19]
	s_mov_b32 s27, 0
	s_mov_b64 s[14:15], s[16:17]
                                        ; implicit-def: $sgpr28
                                        ; implicit-def: $sgpr29
                                        ; implicit-def: $sgpr30
                                        ; implicit-def: $sgpr31
	s_delay_alu instid0(VALU_DEP_2) | instskip(NEXT) | instid1(VALU_DEP_2)
	v_mad_u32 v5, s7, v20, v5
	v_mad_u32 v7, s7, v21, v7
	s_delay_alu instid0(VALU_DEP_2) | instskip(NEXT) | instid1(VALU_DEP_2)
	v_mad_u32 v5, s6, v16, v5
	v_mad_u32 v7, s6, v17, v7
	s_branch .LBB505_623
.LBB505_622:                            ;   in Loop: Header=BB505_623 Depth=2
	s_or_b32 exec_lo, exec_lo, s33
	s_delay_alu instid0(SALU_CYCLE_1) | instskip(NEXT) | instid1(SALU_CYCLE_1)
	s_and_b32 s33, exec_lo, s29
	s_or_b32 s27, s33, s27
	s_and_not1_b32 s31, s31, exec_lo
	s_and_b32 s0, s0, exec_lo
	s_and_not1_b32 s28, s28, exec_lo
	s_and_b32 s33, s30, exec_lo
	s_or_b32 s31, s31, s0
	s_or_b32 s28, s28, s33
	s_and_not1_b32 exec_lo, exec_lo, s27
	s_cbranch_execz .LBB505_625
.LBB505_623:                            ;   Parent Loop BB505_594 Depth=1
                                        ; =>  This Inner Loop Header: Depth=2
	global_load_b64 v[10:11], v[4:5], off
	global_load_b64 v[12:13], v[6:7], off
	s_and_not1_b32 s30, s30, exec_lo
	s_or_b32 s29, s29, exec_lo
	s_wait_loadcnt 0x0
	v_cmp_le_i64_e32 vcc_lo, v[10:11], v[12:13]
	v_cmp_lt_i64_e64 s0, v[10:11], v[12:13]
	s_and_b32 s33, vcc_lo, s31
	s_delay_alu instid0(SALU_CYCLE_1) | instskip(NEXT) | instid1(SALU_CYCLE_1)
	s_or_b32 s0, s0, s33
	s_and_b32 s33, s0, exec_lo
	s_delay_alu instid0(SALU_CYCLE_1)
	s_or_b32 s30, s30, s33
	s_mov_b32 s33, exec_lo
	v_cmpx_eq_u64_e64 v[10:11], v[12:13]
	s_cbranch_execz .LBB505_622
; %bb.624:                              ;   in Loop: Header=BB505_623 Depth=2
	s_add_nc_u64 s[14:15], s[14:15], -1
	v_add_nc_u64_e32 v[4:5], 8, v[4:5]
	s_cmp_eq_u64 s[14:15], 0
	v_add_nc_u64_e32 v[6:7], 8, v[6:7]
	s_cselect_b32 s31, -1, 0
	s_and_not1_b32 s29, s29, exec_lo
	s_and_b32 s31, s31, exec_lo
	s_and_not1_b32 s30, s30, exec_lo
	s_or_b32 s29, s29, s31
                                        ; implicit-def: $sgpr31
	s_branch .LBB505_622
.LBB505_625:                            ;   in Loop: Header=BB505_594 Depth=1
	s_or_b32 exec_lo, exec_lo, s27
	s_xor_b32 s0, s28, -1
	s_branch .LBB505_627
.LBB505_626:                            ;   in Loop: Header=BB505_594 Depth=1
	s_mov_b32 s0, -1
.LBB505_627:                            ;   in Loop: Header=BB505_594 Depth=1
	s_delay_alu instid0(SALU_CYCLE_1)
	s_and_b32 s0, s0, exec_lo
.LBB505_628:                            ;   in Loop: Header=BB505_594 Depth=1
	s_or_b32 exec_lo, exec_lo, s24
	s_delay_alu instid0(SALU_CYCLE_1)
	s_or_not1_b32 s24, s0, exec_lo
.LBB505_629:                            ;   in Loop: Header=BB505_594 Depth=1
	s_or_b32 exec_lo, exec_lo, s26
	v_cndmask_b32_e64 v4, v8, v9, s24
	v_cndmask_b32_e64 v5, v26, v25, s24
	s_mov_b32 s26, exec_lo
	s_delay_alu instid0(VALU_DEP_2) | instskip(NEXT) | instid1(VALU_DEP_1)
	v_add_nc_u32_e32 v6, 1, v4
	v_add_min_u32_e64 v4, v5, -1, v6
	v_dual_cndmask_b32 v8, v6, v8, s24 :: v_dual_cndmask_b32 v9, v9, v6, s24
	s_delay_alu instid0(VALU_DEP_2)
	v_lshlrev_b32_e32 v4, 3, v4
	ds_load_b64 v[4:5], v4
	s_wait_dscnt 0x0
	v_cndmask_b32_e64 v22, v5, v16, s24
	v_dual_cndmask_b32 v23, v4, v20, s24 :: v_dual_cndmask_b32 v27, v17, v5, s24
	v_cndmask_b32_e64 v28, v21, v4, s24
	v_cmpx_lt_u32_e64 v8, v26
	s_cbranch_execz .LBB505_640
; %bb.630:                              ;   in Loop: Header=BB505_594 Depth=1
	s_mov_b32 s0, 0
	s_mov_b32 s25, exec_lo
	v_cmpx_lt_u32_e64 v9, v25
	s_cbranch_execz .LBB505_639
; %bb.631:                              ;   in Loop: Header=BB505_594 Depth=1
	v_cmp_ne_u32_e32 vcc_lo, 1, v45
	s_cbranch_vccnz .LBB505_637
; %bb.632:                              ;   in Loop: Header=BB505_594 Depth=1
	v_mad_nc_u64_u32 v[4:5], s6, v23, s[18:19]
	v_mad_nc_u64_u32 v[6:7], s6, v28, s[18:19]
	s_mov_b32 s27, 0
	s_mov_b64 s[14:15], s[16:17]
                                        ; implicit-def: $sgpr28
                                        ; implicit-def: $sgpr29
                                        ; implicit-def: $sgpr30
                                        ; implicit-def: $sgpr31
	s_delay_alu instid0(VALU_DEP_2) | instskip(NEXT) | instid1(VALU_DEP_2)
	v_mad_u32 v5, s7, v23, v5
	v_mad_u32 v7, s7, v28, v7
	s_delay_alu instid0(VALU_DEP_2) | instskip(NEXT) | instid1(VALU_DEP_2)
	v_mad_u32 v5, s6, v22, v5
	v_mad_u32 v7, s6, v27, v7
	s_branch .LBB505_634
.LBB505_633:                            ;   in Loop: Header=BB505_634 Depth=2
	s_or_b32 exec_lo, exec_lo, s33
	s_delay_alu instid0(SALU_CYCLE_1) | instskip(NEXT) | instid1(SALU_CYCLE_1)
	s_and_b32 s33, exec_lo, s29
	s_or_b32 s27, s33, s27
	s_and_not1_b32 s31, s31, exec_lo
	s_and_b32 s0, s0, exec_lo
	s_and_not1_b32 s28, s28, exec_lo
	s_and_b32 s33, s30, exec_lo
	s_or_b32 s31, s31, s0
	s_or_b32 s28, s28, s33
	s_and_not1_b32 exec_lo, exec_lo, s27
	s_cbranch_execz .LBB505_636
.LBB505_634:                            ;   Parent Loop BB505_594 Depth=1
                                        ; =>  This Inner Loop Header: Depth=2
	global_load_b64 v[10:11], v[4:5], off
	global_load_b64 v[12:13], v[6:7], off
	s_and_not1_b32 s30, s30, exec_lo
	s_or_b32 s29, s29, exec_lo
	s_wait_loadcnt 0x0
	v_cmp_le_i64_e32 vcc_lo, v[10:11], v[12:13]
	v_cmp_lt_i64_e64 s0, v[10:11], v[12:13]
	s_and_b32 s33, vcc_lo, s31
	s_delay_alu instid0(SALU_CYCLE_1) | instskip(NEXT) | instid1(SALU_CYCLE_1)
	s_or_b32 s0, s0, s33
	s_and_b32 s33, s0, exec_lo
	s_delay_alu instid0(SALU_CYCLE_1)
	s_or_b32 s30, s30, s33
	s_mov_b32 s33, exec_lo
	v_cmpx_eq_u64_e64 v[10:11], v[12:13]
	s_cbranch_execz .LBB505_633
; %bb.635:                              ;   in Loop: Header=BB505_634 Depth=2
	s_add_nc_u64 s[14:15], s[14:15], -1
	v_add_nc_u64_e32 v[4:5], 8, v[4:5]
	s_cmp_eq_u64 s[14:15], 0
	v_add_nc_u64_e32 v[6:7], 8, v[6:7]
	s_cselect_b32 s31, -1, 0
	s_and_not1_b32 s29, s29, exec_lo
	s_and_b32 s31, s31, exec_lo
	s_and_not1_b32 s30, s30, exec_lo
	s_or_b32 s29, s29, s31
                                        ; implicit-def: $sgpr31
	s_branch .LBB505_633
.LBB505_636:                            ;   in Loop: Header=BB505_594 Depth=1
	s_or_b32 exec_lo, exec_lo, s27
	s_xor_b32 s0, s28, -1
	s_branch .LBB505_638
.LBB505_637:                            ;   in Loop: Header=BB505_594 Depth=1
	s_mov_b32 s0, -1
.LBB505_638:                            ;   in Loop: Header=BB505_594 Depth=1
	s_delay_alu instid0(SALU_CYCLE_1)
	s_and_b32 s0, s0, exec_lo
.LBB505_639:                            ;   in Loop: Header=BB505_594 Depth=1
	s_or_b32 exec_lo, exec_lo, s25
	s_delay_alu instid0(SALU_CYCLE_1)
	s_or_not1_b32 s25, s0, exec_lo
.LBB505_640:                            ;   in Loop: Header=BB505_594 Depth=1
	s_or_b32 exec_lo, exec_lo, s26
	v_cndmask_b32_e64 v4, v8, v9, s25
	v_cndmask_b32_e64 v5, v26, v25, s25
	s_mov_b32 s27, -1
	s_mov_b32 s26, -1
	s_mov_b32 s28, exec_lo
	v_add_nc_u32_e32 v6, 1, v4
	s_delay_alu instid0(VALU_DEP_1) | instskip(SKIP_1) | instid1(VALU_DEP_2)
	v_add_min_u32_e64 v4, v5, -1, v6
	v_dual_cndmask_b32 v8, v6, v8, s25 :: v_dual_cndmask_b32 v9, v9, v6, s25
	v_lshlrev_b32_e32 v4, 3, v4
	ds_load_b64 v[4:5], v4
	s_wait_dscnt 0x0
	v_dual_cndmask_b32 v12, v5, v22, s25 :: v_dual_cndmask_b32 v29, v4, v23, s25
	v_dual_cndmask_b32 v13, v27, v5, s25 :: v_dual_cndmask_b32 v30, v28, v4, s25
	v_cmpx_lt_u32_e64 v8, v26
	s_cbranch_execz .LBB505_651
; %bb.641:                              ;   in Loop: Header=BB505_594 Depth=1
	s_mov_b32 s0, 0
	s_mov_b32 s26, exec_lo
	v_cmpx_lt_u32_e64 v9, v25
	s_cbranch_execz .LBB505_650
; %bb.642:                              ;   in Loop: Header=BB505_594 Depth=1
	v_cmp_ne_u32_e32 vcc_lo, 1, v45
	s_cbranch_vccnz .LBB505_648
; %bb.643:                              ;   in Loop: Header=BB505_594 Depth=1
	v_mad_nc_u64_u32 v[4:5], s6, v29, s[18:19]
	v_mad_nc_u64_u32 v[6:7], s6, v30, s[18:19]
	s_mov_b32 s29, 0
	s_mov_b64 s[14:15], s[16:17]
                                        ; implicit-def: $sgpr30
                                        ; implicit-def: $sgpr31
                                        ; implicit-def: $sgpr33
                                        ; implicit-def: $sgpr34
	s_delay_alu instid0(VALU_DEP_2) | instskip(NEXT) | instid1(VALU_DEP_2)
	v_mad_u32 v5, s7, v29, v5
	v_mad_u32 v7, s7, v30, v7
	s_delay_alu instid0(VALU_DEP_2) | instskip(NEXT) | instid1(VALU_DEP_2)
	v_mad_u32 v5, s6, v12, v5
	v_mad_u32 v7, s6, v13, v7
	s_branch .LBB505_645
.LBB505_644:                            ;   in Loop: Header=BB505_645 Depth=2
	s_or_b32 exec_lo, exec_lo, s35
	s_delay_alu instid0(SALU_CYCLE_1) | instskip(NEXT) | instid1(SALU_CYCLE_1)
	s_and_b32 s35, exec_lo, s31
	s_or_b32 s29, s35, s29
	s_and_not1_b32 s34, s34, exec_lo
	s_and_b32 s0, s0, exec_lo
	s_and_not1_b32 s30, s30, exec_lo
	s_and_b32 s35, s33, exec_lo
	s_or_b32 s34, s34, s0
	s_or_b32 s30, s30, s35
	s_and_not1_b32 exec_lo, exec_lo, s29
	s_cbranch_execz .LBB505_647
.LBB505_645:                            ;   Parent Loop BB505_594 Depth=1
                                        ; =>  This Inner Loop Header: Depth=2
	global_load_b64 v[10:11], v[4:5], off
	global_load_b64 v[32:33], v[6:7], off
	s_and_not1_b32 s33, s33, exec_lo
	s_or_b32 s31, s31, exec_lo
	s_wait_loadcnt 0x0
	v_cmp_le_i64_e32 vcc_lo, v[10:11], v[32:33]
	v_cmp_lt_i64_e64 s0, v[10:11], v[32:33]
	s_and_b32 s35, vcc_lo, s34
	s_delay_alu instid0(SALU_CYCLE_1) | instskip(NEXT) | instid1(SALU_CYCLE_1)
	s_or_b32 s0, s0, s35
	s_and_b32 s35, s0, exec_lo
	s_delay_alu instid0(SALU_CYCLE_1)
	s_or_b32 s33, s33, s35
	s_mov_b32 s35, exec_lo
	v_cmpx_eq_u64_e64 v[10:11], v[32:33]
	s_cbranch_execz .LBB505_644
; %bb.646:                              ;   in Loop: Header=BB505_645 Depth=2
	s_add_nc_u64 s[14:15], s[14:15], -1
	v_add_nc_u64_e32 v[4:5], 8, v[4:5]
	s_cmp_eq_u64 s[14:15], 0
	v_add_nc_u64_e32 v[6:7], 8, v[6:7]
	s_cselect_b32 s34, -1, 0
	s_and_not1_b32 s31, s31, exec_lo
	s_and_b32 s34, s34, exec_lo
	s_and_not1_b32 s33, s33, exec_lo
	s_or_b32 s31, s31, s34
                                        ; implicit-def: $sgpr34
	s_branch .LBB505_644
.LBB505_647:                            ;   in Loop: Header=BB505_594 Depth=1
	s_or_b32 exec_lo, exec_lo, s29
	s_xor_b32 s0, s30, -1
	s_branch .LBB505_649
.LBB505_648:                            ;   in Loop: Header=BB505_594 Depth=1
	s_mov_b32 s0, -1
.LBB505_649:                            ;   in Loop: Header=BB505_594 Depth=1
	s_delay_alu instid0(SALU_CYCLE_1)
	s_and_b32 s0, s0, exec_lo
.LBB505_650:                            ;   in Loop: Header=BB505_594 Depth=1
	s_or_b32 exec_lo, exec_lo, s26
	s_delay_alu instid0(SALU_CYCLE_1)
	s_or_not1_b32 s26, s0, exec_lo
.LBB505_651:                            ;   in Loop: Header=BB505_594 Depth=1
	s_or_b32 exec_lo, exec_lo, s28
	v_cndmask_b32_e64 v4, v8, v9, s26
	v_cndmask_b32_e64 v5, v26, v25, s26
	s_mov_b32 s28, exec_lo
	s_delay_alu instid0(VALU_DEP_2) | instskip(NEXT) | instid1(VALU_DEP_1)
	v_add_nc_u32_e32 v6, 1, v4
	v_add_min_u32_e64 v4, v5, -1, v6
	v_dual_cndmask_b32 v8, v6, v8, s26 :: v_dual_cndmask_b32 v9, v9, v6, s26
	s_delay_alu instid0(VALU_DEP_2)
	v_lshlrev_b32_e32 v4, 3, v4
	ds_load_b64 v[4:5], v4
	s_wait_dscnt 0x0
	v_dual_cndmask_b32 v31, v5, v12, s26 :: v_dual_cndmask_b32 v32, v4, v29, s26
	v_dual_cndmask_b32 v33, v13, v5, s26 :: v_dual_cndmask_b32 v34, v30, v4, s26
	v_cmpx_lt_u32_e64 v8, v26
	s_cbranch_execz .LBB505_662
; %bb.652:                              ;   in Loop: Header=BB505_594 Depth=1
	s_mov_b32 s0, 0
	s_mov_b32 s27, exec_lo
	v_cmpx_lt_u32_e64 v9, v25
	s_cbranch_execz .LBB505_661
; %bb.653:                              ;   in Loop: Header=BB505_594 Depth=1
	v_cmp_ne_u32_e32 vcc_lo, 1, v45
	s_cbranch_vccnz .LBB505_659
; %bb.654:                              ;   in Loop: Header=BB505_594 Depth=1
	v_mad_nc_u64_u32 v[4:5], s6, v32, s[18:19]
	v_mad_nc_u64_u32 v[6:7], s6, v34, s[18:19]
	s_mov_b32 s29, 0
	s_mov_b64 s[14:15], s[16:17]
                                        ; implicit-def: $sgpr30
                                        ; implicit-def: $sgpr31
                                        ; implicit-def: $sgpr33
                                        ; implicit-def: $sgpr34
	s_delay_alu instid0(VALU_DEP_2) | instskip(NEXT) | instid1(VALU_DEP_2)
	v_mad_u32 v5, s7, v32, v5
	v_mad_u32 v7, s7, v34, v7
	s_delay_alu instid0(VALU_DEP_2) | instskip(NEXT) | instid1(VALU_DEP_2)
	v_mad_u32 v5, s6, v31, v5
	v_mad_u32 v7, s6, v33, v7
	s_branch .LBB505_656
.LBB505_655:                            ;   in Loop: Header=BB505_656 Depth=2
	s_or_b32 exec_lo, exec_lo, s35
	s_delay_alu instid0(SALU_CYCLE_1) | instskip(NEXT) | instid1(SALU_CYCLE_1)
	s_and_b32 s35, exec_lo, s31
	s_or_b32 s29, s35, s29
	s_and_not1_b32 s34, s34, exec_lo
	s_and_b32 s0, s0, exec_lo
	s_and_not1_b32 s30, s30, exec_lo
	s_and_b32 s35, s33, exec_lo
	s_or_b32 s34, s34, s0
	s_or_b32 s30, s30, s35
	s_and_not1_b32 exec_lo, exec_lo, s29
	s_cbranch_execz .LBB505_658
.LBB505_656:                            ;   Parent Loop BB505_594 Depth=1
                                        ; =>  This Inner Loop Header: Depth=2
	global_load_b64 v[10:11], v[4:5], off
	global_load_b64 v[46:47], v[6:7], off
	s_and_not1_b32 s33, s33, exec_lo
	s_or_b32 s31, s31, exec_lo
	s_wait_loadcnt 0x0
	v_cmp_le_i64_e32 vcc_lo, v[10:11], v[46:47]
	v_cmp_lt_i64_e64 s0, v[10:11], v[46:47]
	s_and_b32 s35, vcc_lo, s34
	s_delay_alu instid0(SALU_CYCLE_1) | instskip(NEXT) | instid1(SALU_CYCLE_1)
	s_or_b32 s0, s0, s35
	s_and_b32 s35, s0, exec_lo
	s_delay_alu instid0(SALU_CYCLE_1)
	s_or_b32 s33, s33, s35
	s_mov_b32 s35, exec_lo
	v_cmpx_eq_u64_e64 v[10:11], v[46:47]
	s_cbranch_execz .LBB505_655
; %bb.657:                              ;   in Loop: Header=BB505_656 Depth=2
	s_add_nc_u64 s[14:15], s[14:15], -1
	v_add_nc_u64_e32 v[4:5], 8, v[4:5]
	s_cmp_eq_u64 s[14:15], 0
	v_add_nc_u64_e32 v[6:7], 8, v[6:7]
	s_cselect_b32 s34, -1, 0
	s_and_not1_b32 s31, s31, exec_lo
	s_and_b32 s34, s34, exec_lo
	s_and_not1_b32 s33, s33, exec_lo
	s_or_b32 s31, s31, s34
                                        ; implicit-def: $sgpr34
	s_branch .LBB505_655
.LBB505_658:                            ;   in Loop: Header=BB505_594 Depth=1
	s_or_b32 exec_lo, exec_lo, s29
	s_xor_b32 s0, s30, -1
	s_branch .LBB505_660
.LBB505_659:                            ;   in Loop: Header=BB505_594 Depth=1
	s_mov_b32 s0, -1
.LBB505_660:                            ;   in Loop: Header=BB505_594 Depth=1
	s_delay_alu instid0(SALU_CYCLE_1)
	s_and_b32 s0, s0, exec_lo
.LBB505_661:                            ;   in Loop: Header=BB505_594 Depth=1
	s_or_b32 exec_lo, exec_lo, s27
	s_delay_alu instid0(SALU_CYCLE_1)
	s_or_not1_b32 s27, s0, exec_lo
.LBB505_662:                            ;   in Loop: Header=BB505_594 Depth=1
	s_or_b32 exec_lo, exec_lo, s28
	v_cndmask_b32_e64 v4, v8, v9, s27
	v_cndmask_b32_e64 v5, v26, v25, s27
	s_mov_b32 s28, -1
	s_mov_b32 s29, -1
	s_mov_b32 s30, exec_lo
	v_add_nc_u32_e32 v6, 1, v4
	s_delay_alu instid0(VALU_DEP_1) | instskip(SKIP_1) | instid1(VALU_DEP_2)
	v_add_min_u32_e64 v4, v5, -1, v6
	v_dual_cndmask_b32 v8, v6, v8, s27 :: v_dual_cndmask_b32 v9, v9, v6, s27
	v_lshlrev_b32_e32 v4, 3, v4
	ds_load_b64 v[4:5], v4
	s_wait_dscnt 0x0
	v_dual_cndmask_b32 v35, v5, v31, s27 :: v_dual_cndmask_b32 v46, v4, v32, s27
	v_dual_cndmask_b32 v47, v33, v5, s27 :: v_dual_cndmask_b32 v48, v34, v4, s27
	v_cmpx_lt_u32_e64 v8, v26
	s_cbranch_execz .LBB505_673
; %bb.663:                              ;   in Loop: Header=BB505_594 Depth=1
	s_mov_b32 s0, 0
	s_mov_b32 s29, exec_lo
	v_cmpx_lt_u32_e64 v9, v25
	s_cbranch_execz .LBB505_672
; %bb.664:                              ;   in Loop: Header=BB505_594 Depth=1
	v_cmp_ne_u32_e32 vcc_lo, 1, v45
	s_cbranch_vccnz .LBB505_670
; %bb.665:                              ;   in Loop: Header=BB505_594 Depth=1
	v_mad_nc_u64_u32 v[4:5], s6, v46, s[18:19]
	v_mad_nc_u64_u32 v[6:7], s6, v48, s[18:19]
	s_mov_b32 s31, 0
	s_mov_b64 s[14:15], s[16:17]
                                        ; implicit-def: $sgpr33
                                        ; implicit-def: $sgpr34
                                        ; implicit-def: $sgpr35
                                        ; implicit-def: $sgpr36
	s_delay_alu instid0(VALU_DEP_2) | instskip(NEXT) | instid1(VALU_DEP_2)
	v_mad_u32 v5, s7, v46, v5
	v_mad_u32 v7, s7, v48, v7
	s_delay_alu instid0(VALU_DEP_2) | instskip(NEXT) | instid1(VALU_DEP_2)
	v_mad_u32 v5, s6, v35, v5
	v_mad_u32 v7, s6, v47, v7
	s_branch .LBB505_667
.LBB505_666:                            ;   in Loop: Header=BB505_667 Depth=2
	s_or_b32 exec_lo, exec_lo, s37
	s_delay_alu instid0(SALU_CYCLE_1) | instskip(NEXT) | instid1(SALU_CYCLE_1)
	s_and_b32 s37, exec_lo, s34
	s_or_b32 s31, s37, s31
	s_and_not1_b32 s36, s36, exec_lo
	s_and_b32 s0, s0, exec_lo
	s_and_not1_b32 s33, s33, exec_lo
	s_and_b32 s37, s35, exec_lo
	s_or_b32 s36, s36, s0
	s_or_b32 s33, s33, s37
	s_and_not1_b32 exec_lo, exec_lo, s31
	s_cbranch_execz .LBB505_669
.LBB505_667:                            ;   Parent Loop BB505_594 Depth=1
                                        ; =>  This Inner Loop Header: Depth=2
	global_load_b64 v[10:11], v[4:5], off
	global_load_b64 v[50:51], v[6:7], off
	s_and_not1_b32 s35, s35, exec_lo
	s_or_b32 s34, s34, exec_lo
	s_wait_loadcnt 0x0
	v_cmp_le_i64_e32 vcc_lo, v[10:11], v[50:51]
	v_cmp_lt_i64_e64 s0, v[10:11], v[50:51]
	s_and_b32 s37, vcc_lo, s36
	s_delay_alu instid0(SALU_CYCLE_1) | instskip(NEXT) | instid1(SALU_CYCLE_1)
	s_or_b32 s0, s0, s37
	s_and_b32 s37, s0, exec_lo
	s_delay_alu instid0(SALU_CYCLE_1)
	s_or_b32 s35, s35, s37
	s_mov_b32 s37, exec_lo
	v_cmpx_eq_u64_e64 v[10:11], v[50:51]
	s_cbranch_execz .LBB505_666
; %bb.668:                              ;   in Loop: Header=BB505_667 Depth=2
	s_add_nc_u64 s[14:15], s[14:15], -1
	v_add_nc_u64_e32 v[4:5], 8, v[4:5]
	s_cmp_eq_u64 s[14:15], 0
	v_add_nc_u64_e32 v[6:7], 8, v[6:7]
	s_cselect_b32 s36, -1, 0
	s_and_not1_b32 s34, s34, exec_lo
	s_and_b32 s36, s36, exec_lo
	s_and_not1_b32 s35, s35, exec_lo
	s_or_b32 s34, s34, s36
                                        ; implicit-def: $sgpr36
	s_branch .LBB505_666
.LBB505_669:                            ;   in Loop: Header=BB505_594 Depth=1
	s_or_b32 exec_lo, exec_lo, s31
	s_xor_b32 s0, s33, -1
	s_branch .LBB505_671
.LBB505_670:                            ;   in Loop: Header=BB505_594 Depth=1
	s_mov_b32 s0, -1
.LBB505_671:                            ;   in Loop: Header=BB505_594 Depth=1
	s_delay_alu instid0(SALU_CYCLE_1)
	s_and_b32 s0, s0, exec_lo
.LBB505_672:                            ;   in Loop: Header=BB505_594 Depth=1
	s_or_b32 exec_lo, exec_lo, s29
	s_delay_alu instid0(SALU_CYCLE_1)
	s_or_not1_b32 s29, s0, exec_lo
.LBB505_673:                            ;   in Loop: Header=BB505_594 Depth=1
	s_or_b32 exec_lo, exec_lo, s30
	v_cndmask_b32_e64 v4, v8, v9, s29
	v_cndmask_b32_e64 v5, v26, v25, s29
	s_mov_b32 s30, exec_lo
	s_delay_alu instid0(VALU_DEP_2) | instskip(NEXT) | instid1(VALU_DEP_1)
	v_add_nc_u32_e32 v6, 1, v4
	v_add_min_u32_e64 v4, v5, -1, v6
	v_dual_cndmask_b32 v10, v6, v8, s29 :: v_dual_cndmask_b32 v8, v9, v6, s29
	s_delay_alu instid0(VALU_DEP_2)
	v_lshlrev_b32_e32 v4, 3, v4
	ds_load_b64 v[4:5], v4
	s_wait_dscnt 0x0
	v_dual_cndmask_b32 v49, v5, v35, s29 :: v_dual_cndmask_b32 v50, v4, v46, s29
	v_dual_cndmask_b32 v51, v47, v5, s29 :: v_dual_cndmask_b32 v52, v48, v4, s29
	v_cmpx_lt_u32_e64 v10, v26
	s_cbranch_execz .LBB505_684
; %bb.674:                              ;   in Loop: Header=BB505_594 Depth=1
	s_mov_b32 s0, 0
	s_mov_b32 s28, exec_lo
	v_cmpx_lt_u32_e64 v8, v25
	s_cbranch_execz .LBB505_683
; %bb.675:                              ;   in Loop: Header=BB505_594 Depth=1
	v_cmp_ne_u32_e32 vcc_lo, 1, v45
	s_cbranch_vccnz .LBB505_681
; %bb.676:                              ;   in Loop: Header=BB505_594 Depth=1
	v_mad_nc_u64_u32 v[4:5], s6, v50, s[18:19]
	v_mad_nc_u64_u32 v[6:7], s6, v52, s[18:19]
	s_mov_b32 s31, 0
	s_mov_b64 s[14:15], s[16:17]
                                        ; implicit-def: $sgpr33
                                        ; implicit-def: $sgpr34
                                        ; implicit-def: $sgpr35
                                        ; implicit-def: $sgpr36
	s_delay_alu instid0(VALU_DEP_2) | instskip(NEXT) | instid1(VALU_DEP_2)
	v_mad_u32 v5, s7, v50, v5
	v_mad_u32 v7, s7, v52, v7
	s_delay_alu instid0(VALU_DEP_2) | instskip(NEXT) | instid1(VALU_DEP_2)
	v_mad_u32 v5, s6, v49, v5
	v_mad_u32 v7, s6, v51, v7
	s_branch .LBB505_678
.LBB505_677:                            ;   in Loop: Header=BB505_678 Depth=2
	s_or_b32 exec_lo, exec_lo, s37
	s_delay_alu instid0(SALU_CYCLE_1) | instskip(NEXT) | instid1(SALU_CYCLE_1)
	s_and_b32 s37, exec_lo, s34
	s_or_b32 s31, s37, s31
	s_and_not1_b32 s36, s36, exec_lo
	s_and_b32 s0, s0, exec_lo
	s_and_not1_b32 s33, s33, exec_lo
	s_and_b32 s37, s35, exec_lo
	s_or_b32 s36, s36, s0
	s_or_b32 s33, s33, s37
	s_and_not1_b32 exec_lo, exec_lo, s31
	s_cbranch_execz .LBB505_680
.LBB505_678:                            ;   Parent Loop BB505_594 Depth=1
                                        ; =>  This Inner Loop Header: Depth=2
	global_load_b64 v[54:55], v[4:5], off
	global_load_b64 v[56:57], v[6:7], off
	s_and_not1_b32 s35, s35, exec_lo
	s_or_b32 s34, s34, exec_lo
	s_wait_loadcnt 0x0
	v_cmp_le_i64_e32 vcc_lo, v[54:55], v[56:57]
	v_cmp_lt_i64_e64 s0, v[54:55], v[56:57]
	s_and_b32 s37, vcc_lo, s36
	s_delay_alu instid0(SALU_CYCLE_1) | instskip(NEXT) | instid1(SALU_CYCLE_1)
	s_or_b32 s0, s0, s37
	s_and_b32 s37, s0, exec_lo
	s_delay_alu instid0(SALU_CYCLE_1)
	s_or_b32 s35, s35, s37
	s_mov_b32 s37, exec_lo
	v_cmpx_eq_u64_e64 v[54:55], v[56:57]
	s_cbranch_execz .LBB505_677
; %bb.679:                              ;   in Loop: Header=BB505_678 Depth=2
	s_add_nc_u64 s[14:15], s[14:15], -1
	v_add_nc_u64_e32 v[4:5], 8, v[4:5]
	s_cmp_eq_u64 s[14:15], 0
	v_add_nc_u64_e32 v[6:7], 8, v[6:7]
	s_cselect_b32 s36, -1, 0
	s_and_not1_b32 s34, s34, exec_lo
	s_and_b32 s36, s36, exec_lo
	s_and_not1_b32 s35, s35, exec_lo
	s_or_b32 s34, s34, s36
                                        ; implicit-def: $sgpr36
	s_branch .LBB505_677
.LBB505_680:                            ;   in Loop: Header=BB505_594 Depth=1
	s_or_b32 exec_lo, exec_lo, s31
	s_xor_b32 s0, s33, -1
	s_branch .LBB505_682
.LBB505_681:                            ;   in Loop: Header=BB505_594 Depth=1
	s_mov_b32 s0, -1
.LBB505_682:                            ;   in Loop: Header=BB505_594 Depth=1
	s_delay_alu instid0(SALU_CYCLE_1)
	s_and_b32 s0, s0, exec_lo
.LBB505_683:                            ;   in Loop: Header=BB505_594 Depth=1
	s_or_b32 exec_lo, exec_lo, s28
	s_delay_alu instid0(SALU_CYCLE_1)
	s_or_not1_b32 s28, s0, exec_lo
.LBB505_684:                            ;   in Loop: Header=BB505_594 Depth=1
	s_or_b32 exec_lo, exec_lo, s30
	v_cndmask_b32_e64 v4, v10, v8, s28
	v_cndmask_b32_e64 v5, v26, v25, s28
	s_mov_b32 s30, exec_lo
	s_delay_alu instid0(VALU_DEP_2) | instskip(NEXT) | instid1(VALU_DEP_1)
	v_add_nc_u32_e32 v9, 1, v4
	v_add_min_u32_e64 v4, v5, -1, v9
	s_delay_alu instid0(VALU_DEP_1)
	v_dual_cndmask_b32 v10, v9, v10, s28 :: v_dual_lshlrev_b32 v4, 3, v4
	ds_load_b64 v[6:7], v4
	s_wait_dscnt 0x0
	v_dual_cndmask_b32 v5, v51, v7, s28 :: v_dual_cndmask_b32 v4, v52, v6, s28
	v_cmpx_lt_u32_e64 v10, v26
	s_cbranch_execz .LBB505_694
; %bb.685:                              ;   in Loop: Header=BB505_594 Depth=1
	v_dual_cndmask_b32 v8, v8, v9, s28 :: v_dual_cndmask_b32 v6, v6, v50, s28
	v_cndmask_b32_e64 v7, v7, v49, s28
	s_mov_b32 s31, exec_lo
	s_delay_alu instid0(VALU_DEP_2)
	v_cmpx_lt_u32_e64 v8, v25
	s_cbranch_execz .LBB505_693
; %bb.686:                              ;   in Loop: Header=BB505_594 Depth=1
	v_cmp_ne_u32_e32 vcc_lo, 1, v45
	s_cbranch_vccnz .LBB505_692
; %bb.687:                              ;   in Loop: Header=BB505_594 Depth=1
	v_mad_nc_u64_u32 v[8:9], s6, v6, s[18:19]
	v_mad_nc_u64_u32 v[10:11], s6, v4, s[18:19]
	s_mov_b32 s33, 0
	s_mov_b64 s[14:15], s[16:17]
                                        ; implicit-def: $sgpr34
                                        ; implicit-def: $sgpr35
                                        ; implicit-def: $sgpr36
                                        ; implicit-def: $sgpr37
	s_delay_alu instid0(VALU_DEP_2) | instskip(NEXT) | instid1(VALU_DEP_2)
	v_mad_u32 v9, s7, v6, v9
	v_mad_u32 v11, s7, v4, v11
	s_delay_alu instid0(VALU_DEP_2) | instskip(NEXT) | instid1(VALU_DEP_2)
	v_mad_u32 v9, s6, v7, v9
	v_mad_u32 v11, s6, v5, v11
	s_branch .LBB505_689
.LBB505_688:                            ;   in Loop: Header=BB505_689 Depth=2
	s_or_b32 exec_lo, exec_lo, s38
	s_delay_alu instid0(SALU_CYCLE_1) | instskip(NEXT) | instid1(SALU_CYCLE_1)
	s_and_b32 s38, exec_lo, s35
	s_or_b32 s33, s38, s33
	s_and_not1_b32 s37, s37, exec_lo
	s_and_b32 s0, s0, exec_lo
	s_and_not1_b32 s34, s34, exec_lo
	s_and_b32 s38, s36, exec_lo
	s_or_b32 s37, s37, s0
	s_or_b32 s34, s34, s38
	s_and_not1_b32 exec_lo, exec_lo, s33
	s_cbranch_execz .LBB505_691
.LBB505_689:                            ;   Parent Loop BB505_594 Depth=1
                                        ; =>  This Inner Loop Header: Depth=2
	global_load_b64 v[54:55], v[8:9], off
	global_load_b64 v[56:57], v[10:11], off
	s_and_not1_b32 s36, s36, exec_lo
	s_or_b32 s35, s35, exec_lo
	s_wait_loadcnt 0x0
	v_cmp_le_i64_e32 vcc_lo, v[54:55], v[56:57]
	v_cmp_lt_i64_e64 s0, v[54:55], v[56:57]
	s_and_b32 s38, vcc_lo, s37
	s_delay_alu instid0(SALU_CYCLE_1) | instskip(NEXT) | instid1(SALU_CYCLE_1)
	s_or_b32 s0, s0, s38
	s_and_b32 s38, s0, exec_lo
	s_delay_alu instid0(SALU_CYCLE_1)
	s_or_b32 s36, s36, s38
	s_mov_b32 s38, exec_lo
	v_cmpx_eq_u64_e64 v[54:55], v[56:57]
	s_cbranch_execz .LBB505_688
; %bb.690:                              ;   in Loop: Header=BB505_689 Depth=2
	s_add_nc_u64 s[14:15], s[14:15], -1
	v_add_nc_u64_e32 v[8:9], 8, v[8:9]
	s_cmp_eq_u64 s[14:15], 0
	v_add_nc_u64_e32 v[10:11], 8, v[10:11]
	s_cselect_b32 s37, -1, 0
	s_and_not1_b32 s35, s35, exec_lo
	s_and_b32 s37, s37, exec_lo
	s_and_not1_b32 s36, s36, exec_lo
	s_or_b32 s35, s35, s37
                                        ; implicit-def: $sgpr37
	s_branch .LBB505_688
.LBB505_691:                            ;   in Loop: Header=BB505_594 Depth=1
	s_or_b32 exec_lo, exec_lo, s33
	v_dual_cndmask_b32 v5, v5, v7, s34 :: v_dual_cndmask_b32 v4, v4, v6, s34
.LBB505_692:                            ;   in Loop: Header=BB505_594 Depth=1
	s_delay_alu instid0(VALU_DEP_1)
	v_mov_b64_e32 v[6:7], v[4:5]
.LBB505_693:                            ;   in Loop: Header=BB505_594 Depth=1
	s_or_b32 exec_lo, exec_lo, s31
	s_delay_alu instid0(VALU_DEP_1)
	v_mov_b64_e32 v[4:5], v[6:7]
.LBB505_694:                            ;   in Loop: Header=BB505_594 Depth=1
	s_or_b32 exec_lo, exec_lo, s30
	v_dual_cndmask_b32 v9, v35, v47, s29 :: v_dual_cndmask_b32 v8, v46, v48, s29
	v_dual_cndmask_b32 v7, v31, v33, s27 :: v_dual_cndmask_b32 v6, v32, v34, s27
	;; [unrolled: 1-line block ×7, first 2 shown]
.LBB505_695:                            ;   in Loop: Header=BB505_594 Depth=1
	s_or_b32 exec_lo, exec_lo, s22
	s_cmp_lt_u32 s1, 0x400
	s_barrier_signal -1
	s_barrier_wait -1
	s_cbranch_scc0 .LBB505_697
; %bb.696:                              ;   in Loop: Header=BB505_594 Depth=1
	s_mov_b32 s1, s5
	s_branch .LBB505_594
.LBB505_697:
	s_barrier_signal -1
	s_barrier_wait -1
	ds_store_2addr_b64 v44, v[14:15], v[16:17] offset1:1
	ds_store_2addr_b64 v44, v[10:11], v[12:13] offset0:2 offset1:3
	ds_store_2addr_b64 v44, v[6:7], v[8:9] offset0:4 offset1:5
	;; [unrolled: 1-line block ×3, first 2 shown]
	s_wait_dscnt 0x0
	s_barrier_signal -1
	s_barrier_wait -1
	ds_load_b64 v[4:5], v36
	ds_load_b64 v[6:7], v37 offset:2048
	ds_load_b64 v[8:9], v38 offset:4096
	;; [unrolled: 1-line block ×7, first 2 shown]
	s_mov_b32 s24, -1
	s_wait_dscnt 0x7
	global_store_b64 v18, v[4:5], s[20:21] scale_offset
	s_wait_dscnt 0x6
	global_store_b64 v18, v[6:7], s[20:21] offset:2048 scale_offset
	s_wait_dscnt 0x5
	global_store_b64 v18, v[8:9], s[20:21] offset:4096 scale_offset
	;; [unrolled: 2-line block ×6, first 2 shown]
	s_branch .LBB505_1484
.LBB505_698:
	s_lshl_b64 s[0:1], s[2:3], 11
                                        ; implicit-def: $vgpr2_vgpr3
	s_delay_alu instid0(SALU_CYCLE_1) | instskip(NEXT) | instid1(SALU_CYCLE_1)
	s_sub_co_i32 s25, s4, s0
	v_cmp_gt_u32_e64 s0, s25, v18
	s_wait_xcnt 0x0
	s_and_saveexec_b32 s1, s0
	s_cbranch_execz .LBB505_700
; %bb.699:
	s_wait_dscnt 0x0
	global_load_b64 v[2:3], v18, s[12:13] scale_offset
.LBB505_700:
	s_wait_xcnt 0x0
	s_or_b32 exec_lo, exec_lo, s1
	v_add_nc_u32_e32 v1, 0x100, v18
                                        ; implicit-def: $vgpr4_vgpr5
	s_delay_alu instid0(VALU_DEP_1)
	v_cmp_gt_u32_e64 s1, s25, v1
	s_and_saveexec_b32 s2, s1
	s_cbranch_execz .LBB505_702
; %bb.701:
	global_load_b64 v[4:5], v18, s[12:13] offset:2048 scale_offset
.LBB505_702:
	s_wait_xcnt 0x0
	s_or_b32 exec_lo, exec_lo, s2
	v_add_nc_u32_e32 v19, 0x200, v18
                                        ; implicit-def: $vgpr6_vgpr7
	s_delay_alu instid0(VALU_DEP_1)
	v_cmp_gt_u32_e64 s2, s25, v19
	s_and_saveexec_b32 s3, s2
	s_cbranch_execz .LBB505_704
; %bb.703:
	global_load_b64 v[6:7], v18, s[12:13] offset:4096 scale_offset
.LBB505_704:
	s_wait_xcnt 0x0
	s_or_b32 exec_lo, exec_lo, s3
	v_add_nc_u32_e32 v20, 0x300, v18
                                        ; implicit-def: $vgpr10_vgpr11
	s_delay_alu instid0(VALU_DEP_1)
	v_cmp_gt_u32_e64 s3, s25, v20
	s_and_saveexec_b32 s4, s3
	s_cbranch_execz .LBB505_706
; %bb.705:
	global_load_b64 v[10:11], v18, s[12:13] offset:6144 scale_offset
.LBB505_706:
	s_wait_xcnt 0x0
	s_or_b32 exec_lo, exec_lo, s4
	v_or_b32_e32 v22, 0x400, v18
                                        ; implicit-def: $vgpr8_vgpr9
	s_delay_alu instid0(VALU_DEP_1)
	v_cmp_gt_u32_e64 s4, s25, v22
	s_and_saveexec_b32 s5, s4
	s_cbranch_execz .LBB505_708
; %bb.707:
	global_load_b64 v[8:9], v18, s[12:13] offset:8192 scale_offset
.LBB505_708:
	s_wait_xcnt 0x0
	s_or_b32 exec_lo, exec_lo, s5
	v_add_nc_u32_e32 v23, 0x500, v18
                                        ; implicit-def: $vgpr12_vgpr13
	s_delay_alu instid0(VALU_DEP_1)
	v_cmp_gt_u32_e64 s5, s25, v23
	s_and_saveexec_b32 s6, s5
	s_cbranch_execz .LBB505_710
; %bb.709:
	global_load_b64 v[12:13], v18, s[12:13] offset:10240 scale_offset
.LBB505_710:
	s_wait_xcnt 0x0
	s_or_b32 exec_lo, exec_lo, s6
	v_add_nc_u32_e32 v24, 0x600, v18
                                        ; implicit-def: $vgpr14_vgpr15
	s_delay_alu instid0(VALU_DEP_1)
	v_cmp_gt_u32_e64 s6, s25, v24
	s_and_saveexec_b32 s7, s6
	s_cbranch_execz .LBB505_712
; %bb.711:
	global_load_b64 v[14:15], v18, s[12:13] offset:12288 scale_offset
.LBB505_712:
	s_wait_xcnt 0x0
	s_or_b32 exec_lo, exec_lo, s7
	v_add_nc_u32_e32 v25, 0x700, v18
                                        ; implicit-def: $vgpr16_vgpr17
	s_delay_alu instid0(VALU_DEP_1)
	v_cmp_gt_u32_e64 s24, s25, v25
	s_and_saveexec_b32 s7, s24
	s_cbranch_execz .LBB505_714
; %bb.713:
	global_load_b64 v[16:17], v18, s[12:13] offset:14336 scale_offset
.LBB505_714:
	s_wait_xcnt 0x0
	s_or_b32 exec_lo, exec_lo, s7
	v_dual_lshrrev_b32 v21, 2, v18 :: v_dual_lshrrev_b32 v1, 2, v1
	v_dual_lshrrev_b32 v19, 2, v19 :: v_dual_lshrrev_b32 v26, 2, v20
	v_lshlrev_b32_e32 v20, 3, v18
	s_delay_alu instid0(VALU_DEP_3) | instskip(NEXT) | instid1(VALU_DEP_4)
	v_and_b32_e32 v21, 0xf8, v21
	v_and_b32_e32 v1, 0x1f8, v1
	s_delay_alu instid0(VALU_DEP_4)
	v_and_b32_e32 v27, 0x1f8, v19
	v_and_b32_e32 v26, 0x1f8, v26
	s_cmp_lt_u32 s9, s8
	v_add_nc_u32_e32 v19, v21, v20
	v_dual_add_nc_u32 v21, v1, v20 :: v_dual_lshrrev_b32 v1, 2, v22
	v_dual_lshrrev_b32 v22, 2, v23 :: v_dual_add_nc_u32 v36, v27, v20
	v_add_nc_u32_e32 v37, v26, v20
	v_dual_lshrrev_b32 v23, 2, v24 :: v_dual_lshrrev_b32 v24, 2, v25
	s_wait_loadcnt_dscnt 0x0
	ds_store_b64 v19, v[2:3]
	ds_store_b64 v21, v[4:5] offset:2048
	ds_store_b64 v36, v[6:7] offset:4096
	;; [unrolled: 1-line block ×3, first 2 shown]
	v_and_b32_e32 v1, 0x1f8, v1
	v_lshlrev_b32_e32 v5, 1, v18
	v_and_b32_e32 v2, 0x3f8, v22
	v_and_b32_e32 v3, 0x3f8, v23
	;; [unrolled: 1-line block ×3, first 2 shown]
	v_add_nc_u32_e32 v38, v1, v20
	v_and_b32_e32 v1, 0x7f8, v5
	s_delay_alu instid0(VALU_DEP_4) | instskip(NEXT) | instid1(VALU_DEP_4)
	v_dual_add_nc_u32 v39, v2, v20 :: v_dual_add_nc_u32 v40, v3, v20
	v_add_nc_u32_e32 v41, v4, v20
	ds_store_b64 v38, v[8:9] offset:8192
	ds_store_b64 v39, v[12:13] offset:10240
	;; [unrolled: 1-line block ×4, first 2 shown]
	v_lshl_add_u32 v42, v18, 6, v1
	s_wait_storecnt_dscnt 0x0
	s_barrier_signal -1
	s_barrier_wait -1
	ds_load_2addr_b64 v[14:17], v42 offset1:1
	ds_load_2addr_b64 v[10:13], v42 offset0:2 offset1:3
	ds_load_2addr_b64 v[6:9], v42 offset0:4 offset1:5
	;; [unrolled: 1-line block ×3, first 2 shown]
	s_wait_dscnt 0x0
	s_barrier_signal -1
	s_barrier_wait -1
	s_load_u16 s7, s[10:11], 0xe
	s_cselect_b32 s8, 12, 18
	s_mov_b32 s9, 0
	v_bfe_u32 v1, v0, 10, 10
	s_add_nc_u64 s[8:9], s[10:11], s[8:9]
	v_bfe_u32 v0, v0, 20, 10
	s_load_u16 s8, s[8:9], 0x0
	v_cmp_gt_i64_e64 s26, s[16:17], 0
	s_wait_kmcnt 0x0
	s_delay_alu instid0(VALU_DEP_2) | instskip(NEXT) | instid1(VALU_DEP_1)
	v_mad_u32_u24 v0, v0, s7, v1
	v_mul_lo_u32 v0, v0, s8
	s_delay_alu instid0(VALU_DEP_1) | instskip(NEXT) | instid1(VALU_DEP_1)
	v_add_lshl_u32 v24, v0, v18, 3
	v_sub_nc_u32_e64 v25, s25, v24 clamp
	s_delay_alu instid0(VALU_DEP_1)
	v_cmp_lt_u32_e64 s7, 1, v25
	s_and_saveexec_b32 s12, s7
	s_cbranch_execz .LBB505_723
; %bb.715:
	s_and_not1_b32 vcc_lo, exec_lo, s26
	s_cbranch_vccnz .LBB505_723
; %bb.716:
	v_mul_u64_e32 v[0:1], s[16:17], v[16:17]
	v_mul_u64_e32 v[22:23], s[16:17], v[14:15]
	s_mov_b32 s14, 0
	s_mov_b64 s[10:11], s[16:17]
                                        ; implicit-def: $sgpr13
                                        ; implicit-def: $sgpr15
                                        ; implicit-def: $sgpr23
                                        ; implicit-def: $sgpr22
                                        ; implicit-def: $sgpr27
	s_delay_alu instid0(VALU_DEP_2) | instskip(NEXT) | instid1(VALU_DEP_2)
	v_lshl_add_u64 v[0:1], v[0:1], 3, s[18:19]
	v_lshl_add_u64 v[22:23], v[22:23], 3, s[18:19]
	s_branch .LBB505_718
.LBB505_717:                            ;   in Loop: Header=BB505_718 Depth=1
	s_or_b32 exec_lo, exec_lo, s28
	s_and_b32 s8, s8, s27
	s_delay_alu instid0(SALU_CYCLE_1) | instskip(SKIP_1) | instid1(SALU_CYCLE_1)
	s_or_b32 s8, vcc_lo, s8
	s_and_b32 s9, exec_lo, s23
	s_or_b32 s14, s9, s14
	s_and_not1_b32 s9, s27, exec_lo
	s_and_b32 s8, s8, exec_lo
	s_and_not1_b32 s15, s15, exec_lo
	s_and_b32 s28, s22, exec_lo
	s_or_b32 s27, s9, s8
	s_and_not1_b32 s9, s13, exec_lo
	s_or_b32 s15, s15, s28
	s_or_b32 s13, s9, s8
	s_and_not1_b32 exec_lo, exec_lo, s14
	s_cbranch_execz .LBB505_720
.LBB505_718:                            ; =>This Inner Loop Header: Depth=1
	global_load_b64 v[26:27], v[0:1], off
	global_load_b64 v[28:29], v[22:23], off
	s_or_b32 s22, s22, exec_lo
	s_or_b32 s23, s23, exec_lo
	s_mov_b32 s28, exec_lo
	s_wait_loadcnt 0x0
	v_cmp_le_i64_e64 s8, v[26:27], v[28:29]
	v_cmp_lt_i64_e32 vcc_lo, v[26:27], v[28:29]
	v_cmpx_eq_u64_e64 v[26:27], v[28:29]
	s_cbranch_execz .LBB505_717
; %bb.719:                              ;   in Loop: Header=BB505_718 Depth=1
	s_add_nc_u64 s[10:11], s[10:11], -1
	v_add_nc_u64_e32 v[0:1], 8, v[0:1]
	s_cmp_eq_u64 s[10:11], 0
	v_add_nc_u64_e32 v[22:23], 8, v[22:23]
	s_cselect_b32 s9, -1, 0
	s_and_not1_b32 s23, s23, exec_lo
	s_and_b32 s9, s9, exec_lo
	s_and_not1_b32 s22, s22, exec_lo
	s_or_b32 s23, s23, s9
	s_branch .LBB505_717
.LBB505_720:
	s_or_b32 exec_lo, exec_lo, s14
	s_and_saveexec_b32 s8, s15
	s_delay_alu instid0(SALU_CYCLE_1)
	s_xor_b32 s8, exec_lo, s8
; %bb.721:
	v_dual_cndmask_b32 v1, v17, v15, s13 :: v_dual_cndmask_b32 v0, v16, v14, s13
	v_dual_cndmask_b32 v15, v15, v17, s13 :: v_dual_cndmask_b32 v14, v14, v16, s13
	s_delay_alu instid0(VALU_DEP_2)
	v_mov_b64_e32 v[16:17], v[0:1]
; %bb.722:
	s_or_b32 exec_lo, exec_lo, s8
.LBB505_723:
	s_delay_alu instid0(SALU_CYCLE_1)
	s_or_b32 exec_lo, exec_lo, s12
	v_cmp_lt_u32_e64 s8, 3, v25
	s_and_saveexec_b32 s11, s8
	s_cbranch_execz .LBB505_732
; %bb.724:
	s_and_not1_b32 vcc_lo, exec_lo, s26
	s_cbranch_vccnz .LBB505_732
; %bb.725:
	v_mul_u64_e32 v[0:1], s[16:17], v[12:13]
	v_mul_u64_e32 v[22:23], s[16:17], v[10:11]
	s_mov_b32 s15, 0
	s_mov_b64 s[12:13], s[16:17]
                                        ; implicit-def: $sgpr14
                                        ; implicit-def: $sgpr22
                                        ; implicit-def: $sgpr27
                                        ; implicit-def: $sgpr23
                                        ; implicit-def: $sgpr28
	s_delay_alu instid0(VALU_DEP_2) | instskip(NEXT) | instid1(VALU_DEP_2)
	v_lshl_add_u64 v[0:1], v[0:1], 3, s[18:19]
	v_lshl_add_u64 v[22:23], v[22:23], 3, s[18:19]
	s_branch .LBB505_727
.LBB505_726:                            ;   in Loop: Header=BB505_727 Depth=1
	s_or_b32 exec_lo, exec_lo, s29
	s_and_b32 s9, s9, s28
	s_delay_alu instid0(SALU_CYCLE_1) | instskip(SKIP_1) | instid1(SALU_CYCLE_1)
	s_or_b32 s9, vcc_lo, s9
	s_and_b32 s10, exec_lo, s27
	s_or_b32 s15, s10, s15
	s_and_not1_b32 s10, s28, exec_lo
	s_and_b32 s9, s9, exec_lo
	s_and_not1_b32 s22, s22, exec_lo
	s_and_b32 s29, s23, exec_lo
	s_or_b32 s28, s10, s9
	s_and_not1_b32 s10, s14, exec_lo
	s_or_b32 s22, s22, s29
	s_or_b32 s14, s10, s9
	s_and_not1_b32 exec_lo, exec_lo, s15
	s_cbranch_execz .LBB505_729
.LBB505_727:                            ; =>This Inner Loop Header: Depth=1
	global_load_b64 v[26:27], v[0:1], off
	global_load_b64 v[28:29], v[22:23], off
	s_or_b32 s23, s23, exec_lo
	s_or_b32 s27, s27, exec_lo
	s_mov_b32 s29, exec_lo
	s_wait_loadcnt 0x0
	v_cmp_le_i64_e64 s9, v[26:27], v[28:29]
	v_cmp_lt_i64_e32 vcc_lo, v[26:27], v[28:29]
	v_cmpx_eq_u64_e64 v[26:27], v[28:29]
	s_cbranch_execz .LBB505_726
; %bb.728:                              ;   in Loop: Header=BB505_727 Depth=1
	s_add_nc_u64 s[12:13], s[12:13], -1
	v_add_nc_u64_e32 v[0:1], 8, v[0:1]
	s_cmp_eq_u64 s[12:13], 0
	v_add_nc_u64_e32 v[22:23], 8, v[22:23]
	s_cselect_b32 s10, -1, 0
	s_and_not1_b32 s27, s27, exec_lo
	s_and_b32 s10, s10, exec_lo
	s_and_not1_b32 s23, s23, exec_lo
	s_or_b32 s27, s27, s10
	s_branch .LBB505_726
.LBB505_729:
	s_or_b32 exec_lo, exec_lo, s15
	s_and_saveexec_b32 s9, s22
	s_delay_alu instid0(SALU_CYCLE_1)
	s_xor_b32 s9, exec_lo, s9
; %bb.730:
	v_dual_cndmask_b32 v1, v11, v13, s14 :: v_dual_cndmask_b32 v0, v10, v12, s14
	v_dual_cndmask_b32 v13, v13, v11, s14 :: v_dual_cndmask_b32 v12, v12, v10, s14
	s_delay_alu instid0(VALU_DEP_2)
	v_mov_b64_e32 v[10:11], v[0:1]
; %bb.731:
	s_or_b32 exec_lo, exec_lo, s9
.LBB505_732:
	s_delay_alu instid0(SALU_CYCLE_1)
	s_or_b32 exec_lo, exec_lo, s11
	v_cmp_lt_u32_e64 s9, 5, v25
	s_and_saveexec_b32 s14, s9
	s_cbranch_execz .LBB505_741
; %bb.733:
	s_and_not1_b32 vcc_lo, exec_lo, s26
	s_cbranch_vccnz .LBB505_741
; %bb.734:
	v_mul_u64_e32 v[0:1], s[16:17], v[8:9]
	v_mul_u64_e32 v[22:23], s[16:17], v[6:7]
	s_mov_b32 s22, 0
	s_mov_b64 s[12:13], s[16:17]
                                        ; implicit-def: $sgpr15
                                        ; implicit-def: $sgpr23
                                        ; implicit-def: $sgpr28
                                        ; implicit-def: $sgpr27
                                        ; implicit-def: $sgpr29
	s_delay_alu instid0(VALU_DEP_2) | instskip(NEXT) | instid1(VALU_DEP_2)
	v_lshl_add_u64 v[0:1], v[0:1], 3, s[18:19]
	v_lshl_add_u64 v[22:23], v[22:23], 3, s[18:19]
	s_branch .LBB505_736
.LBB505_735:                            ;   in Loop: Header=BB505_736 Depth=1
	s_or_b32 exec_lo, exec_lo, s30
	s_and_b32 s10, s10, s29
	s_delay_alu instid0(SALU_CYCLE_1) | instskip(SKIP_1) | instid1(SALU_CYCLE_1)
	s_or_b32 s10, vcc_lo, s10
	s_and_b32 s11, exec_lo, s28
	s_or_b32 s22, s11, s22
	s_and_not1_b32 s11, s29, exec_lo
	s_and_b32 s10, s10, exec_lo
	s_and_not1_b32 s23, s23, exec_lo
	s_and_b32 s30, s27, exec_lo
	s_or_b32 s29, s11, s10
	s_and_not1_b32 s11, s15, exec_lo
	s_or_b32 s23, s23, s30
	s_or_b32 s15, s11, s10
	s_and_not1_b32 exec_lo, exec_lo, s22
	s_cbranch_execz .LBB505_738
.LBB505_736:                            ; =>This Inner Loop Header: Depth=1
	global_load_b64 v[26:27], v[0:1], off
	global_load_b64 v[28:29], v[22:23], off
	s_or_b32 s27, s27, exec_lo
	s_or_b32 s28, s28, exec_lo
	s_mov_b32 s30, exec_lo
	s_wait_loadcnt 0x0
	v_cmp_le_i64_e64 s10, v[26:27], v[28:29]
	v_cmp_lt_i64_e32 vcc_lo, v[26:27], v[28:29]
	v_cmpx_eq_u64_e64 v[26:27], v[28:29]
	s_cbranch_execz .LBB505_735
; %bb.737:                              ;   in Loop: Header=BB505_736 Depth=1
	s_add_nc_u64 s[12:13], s[12:13], -1
	v_add_nc_u64_e32 v[0:1], 8, v[0:1]
	s_cmp_eq_u64 s[12:13], 0
	v_add_nc_u64_e32 v[22:23], 8, v[22:23]
	s_cselect_b32 s11, -1, 0
	s_and_not1_b32 s28, s28, exec_lo
	s_and_b32 s11, s11, exec_lo
	s_and_not1_b32 s27, s27, exec_lo
	s_or_b32 s28, s28, s11
	s_branch .LBB505_735
.LBB505_738:
	s_or_b32 exec_lo, exec_lo, s22
	s_and_saveexec_b32 s10, s23
	s_delay_alu instid0(SALU_CYCLE_1)
	s_xor_b32 s10, exec_lo, s10
; %bb.739:
	v_dual_cndmask_b32 v1, v7, v9, s15 :: v_dual_cndmask_b32 v0, v6, v8, s15
	v_dual_cndmask_b32 v9, v9, v7, s15 :: v_dual_cndmask_b32 v8, v8, v6, s15
	s_delay_alu instid0(VALU_DEP_2)
	v_mov_b64_e32 v[6:7], v[0:1]
; %bb.740:
	s_or_b32 exec_lo, exec_lo, s10
.LBB505_741:
	s_delay_alu instid0(SALU_CYCLE_1)
	s_or_b32 exec_lo, exec_lo, s14
	v_cmp_lt_u32_e64 s10, 7, v25
	s_and_saveexec_b32 s13, s10
	s_cbranch_execz .LBB505_750
; %bb.742:
	s_and_not1_b32 vcc_lo, exec_lo, s26
	s_cbranch_vccnz .LBB505_750
; %bb.743:
	v_mul_u64_e32 v[0:1], s[16:17], v[4:5]
	v_mul_u64_e32 v[22:23], s[16:17], v[2:3]
	s_mov_b32 s23, 0
	s_mov_b64 s[14:15], s[16:17]
                                        ; implicit-def: $sgpr22
                                        ; implicit-def: $sgpr27
                                        ; implicit-def: $sgpr29
                                        ; implicit-def: $sgpr28
                                        ; implicit-def: $sgpr30
	s_delay_alu instid0(VALU_DEP_2) | instskip(NEXT) | instid1(VALU_DEP_2)
	v_lshl_add_u64 v[0:1], v[0:1], 3, s[18:19]
	v_lshl_add_u64 v[22:23], v[22:23], 3, s[18:19]
	s_branch .LBB505_745
.LBB505_744:                            ;   in Loop: Header=BB505_745 Depth=1
	s_or_b32 exec_lo, exec_lo, s31
	s_and_b32 s11, s11, s30
	s_delay_alu instid0(SALU_CYCLE_1) | instskip(SKIP_1) | instid1(SALU_CYCLE_1)
	s_or_b32 s11, vcc_lo, s11
	s_and_b32 s12, exec_lo, s29
	s_or_b32 s23, s12, s23
	s_and_not1_b32 s12, s30, exec_lo
	s_and_b32 s11, s11, exec_lo
	s_and_not1_b32 s27, s27, exec_lo
	s_and_b32 s31, s28, exec_lo
	s_or_b32 s30, s12, s11
	s_and_not1_b32 s12, s22, exec_lo
	s_or_b32 s27, s27, s31
	s_or_b32 s22, s12, s11
	s_and_not1_b32 exec_lo, exec_lo, s23
	s_cbranch_execz .LBB505_747
.LBB505_745:                            ; =>This Inner Loop Header: Depth=1
	global_load_b64 v[26:27], v[0:1], off
	global_load_b64 v[28:29], v[22:23], off
	s_or_b32 s28, s28, exec_lo
	s_or_b32 s29, s29, exec_lo
	s_mov_b32 s31, exec_lo
	s_wait_loadcnt 0x0
	v_cmp_le_i64_e64 s11, v[26:27], v[28:29]
	v_cmp_lt_i64_e32 vcc_lo, v[26:27], v[28:29]
	v_cmpx_eq_u64_e64 v[26:27], v[28:29]
	s_cbranch_execz .LBB505_744
; %bb.746:                              ;   in Loop: Header=BB505_745 Depth=1
	s_add_nc_u64 s[14:15], s[14:15], -1
	v_add_nc_u64_e32 v[0:1], 8, v[0:1]
	s_cmp_eq_u64 s[14:15], 0
	v_add_nc_u64_e32 v[22:23], 8, v[22:23]
	s_cselect_b32 s12, -1, 0
	s_and_not1_b32 s29, s29, exec_lo
	s_and_b32 s12, s12, exec_lo
	s_and_not1_b32 s28, s28, exec_lo
	s_or_b32 s29, s29, s12
	s_branch .LBB505_744
.LBB505_747:
	s_or_b32 exec_lo, exec_lo, s23
	s_and_saveexec_b32 s11, s27
	s_delay_alu instid0(SALU_CYCLE_1)
	s_xor_b32 s11, exec_lo, s11
; %bb.748:
	v_dual_cndmask_b32 v1, v3, v5, s22 :: v_dual_cndmask_b32 v0, v2, v4, s22
	v_dual_cndmask_b32 v5, v5, v3, s22 :: v_dual_cndmask_b32 v4, v4, v2, s22
	s_delay_alu instid0(VALU_DEP_2)
	v_mov_b64_e32 v[2:3], v[0:1]
; %bb.749:
	s_or_b32 exec_lo, exec_lo, s11
.LBB505_750:
	s_delay_alu instid0(SALU_CYCLE_1) | instskip(SKIP_2) | instid1(SALU_CYCLE_1)
	s_or_b32 exec_lo, exec_lo, s13
	v_cmp_lt_u32_e64 s11, 2, v25
	s_and_saveexec_b32 s12, s11
	s_xor_b32 s22, exec_lo, s12
	s_cbranch_execz .LBB505_759
; %bb.751:
	s_and_not1_b32 vcc_lo, exec_lo, s26
	s_cbranch_vccnz .LBB505_759
; %bb.752:
	v_mul_u64_e32 v[0:1], s[16:17], v[10:11]
	v_mul_u64_e32 v[22:23], s[16:17], v[16:17]
	s_mov_b32 s27, 0
	s_mov_b64 s[14:15], s[16:17]
                                        ; implicit-def: $sgpr23
                                        ; implicit-def: $sgpr28
                                        ; implicit-def: $sgpr30
                                        ; implicit-def: $sgpr29
                                        ; implicit-def: $sgpr31
	s_delay_alu instid0(VALU_DEP_2) | instskip(NEXT) | instid1(VALU_DEP_2)
	v_lshl_add_u64 v[0:1], v[0:1], 3, s[18:19]
	v_lshl_add_u64 v[22:23], v[22:23], 3, s[18:19]
	s_branch .LBB505_754
.LBB505_753:                            ;   in Loop: Header=BB505_754 Depth=1
	s_or_b32 exec_lo, exec_lo, s33
	s_and_b32 s12, s12, s31
	s_delay_alu instid0(SALU_CYCLE_1) | instskip(SKIP_1) | instid1(SALU_CYCLE_1)
	s_or_b32 s12, vcc_lo, s12
	s_and_b32 s13, exec_lo, s30
	s_or_b32 s27, s13, s27
	s_and_not1_b32 s13, s31, exec_lo
	s_and_b32 s12, s12, exec_lo
	s_and_not1_b32 s28, s28, exec_lo
	s_and_b32 s33, s29, exec_lo
	s_or_b32 s31, s13, s12
	s_and_not1_b32 s13, s23, exec_lo
	s_or_b32 s28, s28, s33
	s_or_b32 s23, s13, s12
	s_and_not1_b32 exec_lo, exec_lo, s27
	s_cbranch_execz .LBB505_756
.LBB505_754:                            ; =>This Inner Loop Header: Depth=1
	global_load_b64 v[26:27], v[0:1], off
	global_load_b64 v[28:29], v[22:23], off
	s_or_b32 s29, s29, exec_lo
	s_or_b32 s30, s30, exec_lo
	s_mov_b32 s33, exec_lo
	s_wait_loadcnt 0x0
	v_cmp_le_i64_e64 s12, v[26:27], v[28:29]
	v_cmp_lt_i64_e32 vcc_lo, v[26:27], v[28:29]
	v_cmpx_eq_u64_e64 v[26:27], v[28:29]
	s_cbranch_execz .LBB505_753
; %bb.755:                              ;   in Loop: Header=BB505_754 Depth=1
	s_add_nc_u64 s[14:15], s[14:15], -1
	v_add_nc_u64_e32 v[0:1], 8, v[0:1]
	s_cmp_eq_u64 s[14:15], 0
	v_add_nc_u64_e32 v[22:23], 8, v[22:23]
	s_cselect_b32 s13, -1, 0
	s_and_not1_b32 s30, s30, exec_lo
	s_and_b32 s13, s13, exec_lo
	s_and_not1_b32 s29, s29, exec_lo
	s_or_b32 s30, s30, s13
	s_branch .LBB505_753
.LBB505_756:
	s_or_b32 exec_lo, exec_lo, s27
	s_and_saveexec_b32 s12, s28
	s_delay_alu instid0(SALU_CYCLE_1)
	s_xor_b32 s12, exec_lo, s12
; %bb.757:
	v_dual_cndmask_b32 v1, v17, v11, s23 :: v_dual_cndmask_b32 v0, v16, v10, s23
	v_dual_cndmask_b32 v11, v11, v17, s23 :: v_dual_cndmask_b32 v10, v10, v16, s23
	s_delay_alu instid0(VALU_DEP_2)
	v_mov_b64_e32 v[16:17], v[0:1]
; %bb.758:
	s_or_b32 exec_lo, exec_lo, s12
.LBB505_759:
	s_delay_alu instid0(SALU_CYCLE_1)
	s_or_b32 exec_lo, exec_lo, s22
	v_cmp_lt_u32_e64 s12, 4, v25
	s_and_saveexec_b32 s15, s12
	s_cbranch_execz .LBB505_768
; %bb.760:
	s_and_not1_b32 vcc_lo, exec_lo, s26
	s_cbranch_vccnz .LBB505_768
; %bb.761:
	v_mul_u64_e32 v[0:1], s[16:17], v[6:7]
	v_mul_u64_e32 v[22:23], s[16:17], v[12:13]
	s_mov_b32 s28, 0
	s_mov_b64 s[22:23], s[16:17]
                                        ; implicit-def: $sgpr27
                                        ; implicit-def: $sgpr29
                                        ; implicit-def: $sgpr31
                                        ; implicit-def: $sgpr30
                                        ; implicit-def: $sgpr33
	s_delay_alu instid0(VALU_DEP_2) | instskip(NEXT) | instid1(VALU_DEP_2)
	v_lshl_add_u64 v[0:1], v[0:1], 3, s[18:19]
	v_lshl_add_u64 v[22:23], v[22:23], 3, s[18:19]
	s_branch .LBB505_763
.LBB505_762:                            ;   in Loop: Header=BB505_763 Depth=1
	s_or_b32 exec_lo, exec_lo, s34
	s_and_b32 s13, s13, s33
	s_delay_alu instid0(SALU_CYCLE_1) | instskip(SKIP_1) | instid1(SALU_CYCLE_1)
	s_or_b32 s13, vcc_lo, s13
	s_and_b32 s14, exec_lo, s31
	s_or_b32 s28, s14, s28
	s_and_not1_b32 s14, s33, exec_lo
	s_and_b32 s13, s13, exec_lo
	s_and_not1_b32 s29, s29, exec_lo
	s_and_b32 s34, s30, exec_lo
	s_or_b32 s33, s14, s13
	s_and_not1_b32 s14, s27, exec_lo
	s_or_b32 s29, s29, s34
	s_or_b32 s27, s14, s13
	s_and_not1_b32 exec_lo, exec_lo, s28
	s_cbranch_execz .LBB505_765
.LBB505_763:                            ; =>This Inner Loop Header: Depth=1
	global_load_b64 v[26:27], v[0:1], off
	global_load_b64 v[28:29], v[22:23], off
	s_or_b32 s30, s30, exec_lo
	s_or_b32 s31, s31, exec_lo
	s_mov_b32 s34, exec_lo
	s_wait_loadcnt 0x0
	v_cmp_le_i64_e64 s13, v[26:27], v[28:29]
	v_cmp_lt_i64_e32 vcc_lo, v[26:27], v[28:29]
	v_cmpx_eq_u64_e64 v[26:27], v[28:29]
	s_cbranch_execz .LBB505_762
; %bb.764:                              ;   in Loop: Header=BB505_763 Depth=1
	s_add_nc_u64 s[22:23], s[22:23], -1
	v_add_nc_u64_e32 v[0:1], 8, v[0:1]
	s_cmp_eq_u64 s[22:23], 0
	v_add_nc_u64_e32 v[22:23], 8, v[22:23]
	s_cselect_b32 s14, -1, 0
	s_and_not1_b32 s31, s31, exec_lo
	s_and_b32 s14, s14, exec_lo
	s_and_not1_b32 s30, s30, exec_lo
	s_or_b32 s31, s31, s14
	s_branch .LBB505_762
.LBB505_765:
	s_or_b32 exec_lo, exec_lo, s28
	s_and_saveexec_b32 s13, s29
	s_delay_alu instid0(SALU_CYCLE_1)
	s_xor_b32 s13, exec_lo, s13
; %bb.766:
	v_dual_cndmask_b32 v1, v13, v7, s27 :: v_dual_cndmask_b32 v0, v12, v6, s27
	v_dual_cndmask_b32 v7, v7, v13, s27 :: v_dual_cndmask_b32 v6, v6, v12, s27
	s_delay_alu instid0(VALU_DEP_2)
	v_mov_b64_e32 v[12:13], v[0:1]
; %bb.767:
	s_or_b32 exec_lo, exec_lo, s13
.LBB505_768:
	s_delay_alu instid0(SALU_CYCLE_1)
	s_or_b32 exec_lo, exec_lo, s15
	v_cmp_lt_u32_e64 s13, 6, v25
	s_and_saveexec_b32 s27, s13
	s_cbranch_execz .LBB505_777
; %bb.769:
	s_and_not1_b32 vcc_lo, exec_lo, s26
	s_cbranch_vccnz .LBB505_777
; %bb.770:
	v_mul_u64_e32 v[0:1], s[16:17], v[2:3]
	v_mul_u64_e32 v[22:23], s[16:17], v[8:9]
	s_mov_b32 s29, 0
	s_mov_b64 s[22:23], s[16:17]
                                        ; implicit-def: $sgpr28
                                        ; implicit-def: $sgpr30
                                        ; implicit-def: $sgpr33
                                        ; implicit-def: $sgpr31
                                        ; implicit-def: $sgpr34
	s_delay_alu instid0(VALU_DEP_2) | instskip(NEXT) | instid1(VALU_DEP_2)
	v_lshl_add_u64 v[0:1], v[0:1], 3, s[18:19]
	v_lshl_add_u64 v[22:23], v[22:23], 3, s[18:19]
	s_branch .LBB505_772
.LBB505_771:                            ;   in Loop: Header=BB505_772 Depth=1
	s_or_b32 exec_lo, exec_lo, s35
	s_and_b32 s14, s14, s34
	s_delay_alu instid0(SALU_CYCLE_1) | instskip(SKIP_1) | instid1(SALU_CYCLE_1)
	s_or_b32 s14, vcc_lo, s14
	s_and_b32 s15, exec_lo, s33
	s_or_b32 s29, s15, s29
	s_and_not1_b32 s15, s34, exec_lo
	s_and_b32 s14, s14, exec_lo
	s_and_not1_b32 s30, s30, exec_lo
	s_and_b32 s35, s31, exec_lo
	s_or_b32 s34, s15, s14
	s_and_not1_b32 s15, s28, exec_lo
	s_or_b32 s30, s30, s35
	s_or_b32 s28, s15, s14
	s_and_not1_b32 exec_lo, exec_lo, s29
	s_cbranch_execz .LBB505_774
.LBB505_772:                            ; =>This Inner Loop Header: Depth=1
	global_load_b64 v[26:27], v[0:1], off
	global_load_b64 v[28:29], v[22:23], off
	s_or_b32 s31, s31, exec_lo
	s_or_b32 s33, s33, exec_lo
	s_mov_b32 s35, exec_lo
	s_wait_loadcnt 0x0
	v_cmp_le_i64_e64 s14, v[26:27], v[28:29]
	v_cmp_lt_i64_e32 vcc_lo, v[26:27], v[28:29]
	v_cmpx_eq_u64_e64 v[26:27], v[28:29]
	s_cbranch_execz .LBB505_771
; %bb.773:                              ;   in Loop: Header=BB505_772 Depth=1
	s_add_nc_u64 s[22:23], s[22:23], -1
	v_add_nc_u64_e32 v[0:1], 8, v[0:1]
	s_cmp_eq_u64 s[22:23], 0
	v_add_nc_u64_e32 v[22:23], 8, v[22:23]
	s_cselect_b32 s15, -1, 0
	s_and_not1_b32 s33, s33, exec_lo
	s_and_b32 s15, s15, exec_lo
	s_and_not1_b32 s31, s31, exec_lo
	s_or_b32 s33, s33, s15
	s_branch .LBB505_771
.LBB505_774:
	s_or_b32 exec_lo, exec_lo, s29
	s_and_saveexec_b32 s14, s30
	s_delay_alu instid0(SALU_CYCLE_1)
	s_xor_b32 s14, exec_lo, s14
; %bb.775:
	v_dual_cndmask_b32 v1, v9, v3, s28 :: v_dual_cndmask_b32 v0, v8, v2, s28
	v_dual_cndmask_b32 v3, v3, v9, s28 :: v_dual_cndmask_b32 v2, v2, v8, s28
	s_delay_alu instid0(VALU_DEP_2)
	v_mov_b64_e32 v[8:9], v[0:1]
; %bb.776:
	s_or_b32 exec_lo, exec_lo, s14
.LBB505_777:
	s_delay_alu instid0(SALU_CYCLE_1)
	s_or_b32 exec_lo, exec_lo, s27
	s_and_saveexec_b32 s27, s7
	s_cbranch_execz .LBB505_786
; %bb.778:
	s_and_not1_b32 vcc_lo, exec_lo, s26
	s_cbranch_vccnz .LBB505_786
; %bb.779:
	v_mul_u64_e32 v[0:1], s[16:17], v[16:17]
	v_mul_u64_e32 v[22:23], s[16:17], v[14:15]
	s_mov_b32 s29, 0
	s_mov_b64 s[22:23], s[16:17]
                                        ; implicit-def: $sgpr28
                                        ; implicit-def: $sgpr30
                                        ; implicit-def: $sgpr33
                                        ; implicit-def: $sgpr31
                                        ; implicit-def: $sgpr34
	s_delay_alu instid0(VALU_DEP_2) | instskip(NEXT) | instid1(VALU_DEP_2)
	v_lshl_add_u64 v[0:1], v[0:1], 3, s[18:19]
	v_lshl_add_u64 v[22:23], v[22:23], 3, s[18:19]
	s_branch .LBB505_781
.LBB505_780:                            ;   in Loop: Header=BB505_781 Depth=1
	s_or_b32 exec_lo, exec_lo, s35
	s_and_b32 s14, s14, s34
	s_delay_alu instid0(SALU_CYCLE_1) | instskip(SKIP_1) | instid1(SALU_CYCLE_1)
	s_or_b32 s14, vcc_lo, s14
	s_and_b32 s15, exec_lo, s33
	s_or_b32 s29, s15, s29
	s_and_not1_b32 s15, s34, exec_lo
	s_and_b32 s14, s14, exec_lo
	s_and_not1_b32 s30, s30, exec_lo
	s_and_b32 s35, s31, exec_lo
	s_or_b32 s34, s15, s14
	s_and_not1_b32 s15, s28, exec_lo
	s_or_b32 s30, s30, s35
	s_or_b32 s28, s15, s14
	s_and_not1_b32 exec_lo, exec_lo, s29
	s_cbranch_execz .LBB505_783
.LBB505_781:                            ; =>This Inner Loop Header: Depth=1
	global_load_b64 v[26:27], v[0:1], off
	global_load_b64 v[28:29], v[22:23], off
	s_or_b32 s31, s31, exec_lo
	s_or_b32 s33, s33, exec_lo
	s_mov_b32 s35, exec_lo
	s_wait_loadcnt 0x0
	v_cmp_le_i64_e64 s14, v[26:27], v[28:29]
	v_cmp_lt_i64_e32 vcc_lo, v[26:27], v[28:29]
	v_cmpx_eq_u64_e64 v[26:27], v[28:29]
	s_cbranch_execz .LBB505_780
; %bb.782:                              ;   in Loop: Header=BB505_781 Depth=1
	s_add_nc_u64 s[22:23], s[22:23], -1
	v_add_nc_u64_e32 v[0:1], 8, v[0:1]
	s_cmp_eq_u64 s[22:23], 0
	v_add_nc_u64_e32 v[22:23], 8, v[22:23]
	s_cselect_b32 s15, -1, 0
	s_and_not1_b32 s33, s33, exec_lo
	s_and_b32 s15, s15, exec_lo
	s_and_not1_b32 s31, s31, exec_lo
	s_or_b32 s33, s33, s15
	s_branch .LBB505_780
.LBB505_783:
	s_or_b32 exec_lo, exec_lo, s29
	s_and_saveexec_b32 s14, s30
	s_delay_alu instid0(SALU_CYCLE_1)
	s_xor_b32 s14, exec_lo, s14
; %bb.784:
	v_dual_cndmask_b32 v1, v17, v15, s28 :: v_dual_cndmask_b32 v0, v16, v14, s28
	v_dual_cndmask_b32 v15, v15, v17, s28 :: v_dual_cndmask_b32 v14, v14, v16, s28
	s_delay_alu instid0(VALU_DEP_2)
	v_mov_b64_e32 v[16:17], v[0:1]
; %bb.785:
	s_or_b32 exec_lo, exec_lo, s14
.LBB505_786:
	s_delay_alu instid0(SALU_CYCLE_1)
	s_or_b32 exec_lo, exec_lo, s27
	s_and_saveexec_b32 s27, s8
	s_cbranch_execz .LBB505_795
; %bb.787:
	s_and_not1_b32 vcc_lo, exec_lo, s26
	s_cbranch_vccnz .LBB505_795
; %bb.788:
	v_mul_u64_e32 v[0:1], s[16:17], v[12:13]
	v_mul_u64_e32 v[22:23], s[16:17], v[10:11]
	s_mov_b32 s29, 0
	s_mov_b64 s[22:23], s[16:17]
                                        ; implicit-def: $sgpr28
                                        ; implicit-def: $sgpr30
                                        ; implicit-def: $sgpr33
                                        ; implicit-def: $sgpr31
                                        ; implicit-def: $sgpr34
	s_delay_alu instid0(VALU_DEP_2) | instskip(NEXT) | instid1(VALU_DEP_2)
	v_lshl_add_u64 v[0:1], v[0:1], 3, s[18:19]
	v_lshl_add_u64 v[22:23], v[22:23], 3, s[18:19]
	s_branch .LBB505_790
.LBB505_789:                            ;   in Loop: Header=BB505_790 Depth=1
	s_or_b32 exec_lo, exec_lo, s35
	s_and_b32 s14, s14, s34
	s_delay_alu instid0(SALU_CYCLE_1) | instskip(SKIP_1) | instid1(SALU_CYCLE_1)
	s_or_b32 s14, vcc_lo, s14
	s_and_b32 s15, exec_lo, s33
	s_or_b32 s29, s15, s29
	s_and_not1_b32 s15, s34, exec_lo
	s_and_b32 s14, s14, exec_lo
	s_and_not1_b32 s30, s30, exec_lo
	s_and_b32 s35, s31, exec_lo
	s_or_b32 s34, s15, s14
	s_and_not1_b32 s15, s28, exec_lo
	s_or_b32 s30, s30, s35
	s_or_b32 s28, s15, s14
	s_and_not1_b32 exec_lo, exec_lo, s29
	s_cbranch_execz .LBB505_792
.LBB505_790:                            ; =>This Inner Loop Header: Depth=1
	global_load_b64 v[26:27], v[0:1], off
	global_load_b64 v[28:29], v[22:23], off
	s_or_b32 s31, s31, exec_lo
	s_or_b32 s33, s33, exec_lo
	s_mov_b32 s35, exec_lo
	s_wait_loadcnt 0x0
	v_cmp_le_i64_e64 s14, v[26:27], v[28:29]
	v_cmp_lt_i64_e32 vcc_lo, v[26:27], v[28:29]
	v_cmpx_eq_u64_e64 v[26:27], v[28:29]
	s_cbranch_execz .LBB505_789
; %bb.791:                              ;   in Loop: Header=BB505_790 Depth=1
	s_add_nc_u64 s[22:23], s[22:23], -1
	v_add_nc_u64_e32 v[0:1], 8, v[0:1]
	s_cmp_eq_u64 s[22:23], 0
	v_add_nc_u64_e32 v[22:23], 8, v[22:23]
	s_cselect_b32 s15, -1, 0
	s_and_not1_b32 s33, s33, exec_lo
	s_and_b32 s15, s15, exec_lo
	s_and_not1_b32 s31, s31, exec_lo
	s_or_b32 s33, s33, s15
	s_branch .LBB505_789
.LBB505_792:
	s_or_b32 exec_lo, exec_lo, s29
	s_and_saveexec_b32 s14, s30
	s_delay_alu instid0(SALU_CYCLE_1)
	s_xor_b32 s14, exec_lo, s14
; %bb.793:
	v_dual_cndmask_b32 v1, v11, v13, s28 :: v_dual_cndmask_b32 v0, v10, v12, s28
	v_dual_cndmask_b32 v13, v13, v11, s28 :: v_dual_cndmask_b32 v12, v12, v10, s28
	s_delay_alu instid0(VALU_DEP_2)
	v_mov_b64_e32 v[10:11], v[0:1]
; %bb.794:
	s_or_b32 exec_lo, exec_lo, s14
.LBB505_795:
	s_delay_alu instid0(SALU_CYCLE_1)
	s_or_b32 exec_lo, exec_lo, s27
	s_and_saveexec_b32 s27, s9
	s_cbranch_execz .LBB505_804
; %bb.796:
	s_and_not1_b32 vcc_lo, exec_lo, s26
	s_cbranch_vccnz .LBB505_804
; %bb.797:
	v_mul_u64_e32 v[0:1], s[16:17], v[8:9]
	v_mul_u64_e32 v[22:23], s[16:17], v[6:7]
	s_mov_b32 s29, 0
	s_mov_b64 s[22:23], s[16:17]
                                        ; implicit-def: $sgpr28
                                        ; implicit-def: $sgpr30
                                        ; implicit-def: $sgpr33
                                        ; implicit-def: $sgpr31
                                        ; implicit-def: $sgpr34
	s_delay_alu instid0(VALU_DEP_2) | instskip(NEXT) | instid1(VALU_DEP_2)
	v_lshl_add_u64 v[0:1], v[0:1], 3, s[18:19]
	v_lshl_add_u64 v[22:23], v[22:23], 3, s[18:19]
	s_branch .LBB505_799
.LBB505_798:                            ;   in Loop: Header=BB505_799 Depth=1
	s_or_b32 exec_lo, exec_lo, s35
	s_and_b32 s14, s14, s34
	s_delay_alu instid0(SALU_CYCLE_1) | instskip(SKIP_1) | instid1(SALU_CYCLE_1)
	s_or_b32 s14, vcc_lo, s14
	s_and_b32 s15, exec_lo, s33
	s_or_b32 s29, s15, s29
	s_and_not1_b32 s15, s34, exec_lo
	s_and_b32 s14, s14, exec_lo
	s_and_not1_b32 s30, s30, exec_lo
	s_and_b32 s35, s31, exec_lo
	s_or_b32 s34, s15, s14
	s_and_not1_b32 s15, s28, exec_lo
	s_or_b32 s30, s30, s35
	s_or_b32 s28, s15, s14
	s_and_not1_b32 exec_lo, exec_lo, s29
	s_cbranch_execz .LBB505_801
.LBB505_799:                            ; =>This Inner Loop Header: Depth=1
	global_load_b64 v[26:27], v[0:1], off
	global_load_b64 v[28:29], v[22:23], off
	s_or_b32 s31, s31, exec_lo
	s_or_b32 s33, s33, exec_lo
	s_mov_b32 s35, exec_lo
	s_wait_loadcnt 0x0
	v_cmp_le_i64_e64 s14, v[26:27], v[28:29]
	v_cmp_lt_i64_e32 vcc_lo, v[26:27], v[28:29]
	v_cmpx_eq_u64_e64 v[26:27], v[28:29]
	s_cbranch_execz .LBB505_798
; %bb.800:                              ;   in Loop: Header=BB505_799 Depth=1
	s_add_nc_u64 s[22:23], s[22:23], -1
	v_add_nc_u64_e32 v[0:1], 8, v[0:1]
	s_cmp_eq_u64 s[22:23], 0
	v_add_nc_u64_e32 v[22:23], 8, v[22:23]
	s_cselect_b32 s15, -1, 0
	s_and_not1_b32 s33, s33, exec_lo
	s_and_b32 s15, s15, exec_lo
	s_and_not1_b32 s31, s31, exec_lo
	s_or_b32 s33, s33, s15
	s_branch .LBB505_798
.LBB505_801:
	s_or_b32 exec_lo, exec_lo, s29
	s_and_saveexec_b32 s14, s30
	s_delay_alu instid0(SALU_CYCLE_1)
	s_xor_b32 s14, exec_lo, s14
; %bb.802:
	v_dual_cndmask_b32 v1, v7, v9, s28 :: v_dual_cndmask_b32 v0, v6, v8, s28
	v_dual_cndmask_b32 v9, v9, v7, s28 :: v_dual_cndmask_b32 v8, v8, v6, s28
	s_delay_alu instid0(VALU_DEP_2)
	v_mov_b64_e32 v[6:7], v[0:1]
; %bb.803:
	s_or_b32 exec_lo, exec_lo, s14
.LBB505_804:
	s_delay_alu instid0(SALU_CYCLE_1)
	s_or_b32 exec_lo, exec_lo, s27
	s_and_saveexec_b32 s27, s10
	s_cbranch_execz .LBB505_813
; %bb.805:
	s_and_not1_b32 vcc_lo, exec_lo, s26
	s_cbranch_vccnz .LBB505_813
; %bb.806:
	v_mul_u64_e32 v[0:1], s[16:17], v[4:5]
	v_mul_u64_e32 v[22:23], s[16:17], v[2:3]
	s_mov_b32 s29, 0
	s_mov_b64 s[22:23], s[16:17]
                                        ; implicit-def: $sgpr28
                                        ; implicit-def: $sgpr30
                                        ; implicit-def: $sgpr33
                                        ; implicit-def: $sgpr31
                                        ; implicit-def: $sgpr34
	s_delay_alu instid0(VALU_DEP_2) | instskip(NEXT) | instid1(VALU_DEP_2)
	v_lshl_add_u64 v[0:1], v[0:1], 3, s[18:19]
	v_lshl_add_u64 v[22:23], v[22:23], 3, s[18:19]
	s_branch .LBB505_808
.LBB505_807:                            ;   in Loop: Header=BB505_808 Depth=1
	s_or_b32 exec_lo, exec_lo, s35
	s_and_b32 s14, s14, s34
	s_delay_alu instid0(SALU_CYCLE_1) | instskip(SKIP_1) | instid1(SALU_CYCLE_1)
	s_or_b32 s14, vcc_lo, s14
	s_and_b32 s15, exec_lo, s33
	s_or_b32 s29, s15, s29
	s_and_not1_b32 s15, s34, exec_lo
	s_and_b32 s14, s14, exec_lo
	s_and_not1_b32 s30, s30, exec_lo
	s_and_b32 s35, s31, exec_lo
	s_or_b32 s34, s15, s14
	s_and_not1_b32 s15, s28, exec_lo
	s_or_b32 s30, s30, s35
	s_or_b32 s28, s15, s14
	s_and_not1_b32 exec_lo, exec_lo, s29
	s_cbranch_execz .LBB505_810
.LBB505_808:                            ; =>This Inner Loop Header: Depth=1
	global_load_b64 v[26:27], v[0:1], off
	global_load_b64 v[28:29], v[22:23], off
	s_or_b32 s31, s31, exec_lo
	s_or_b32 s33, s33, exec_lo
	s_mov_b32 s35, exec_lo
	s_wait_loadcnt 0x0
	v_cmp_le_i64_e64 s14, v[26:27], v[28:29]
	v_cmp_lt_i64_e32 vcc_lo, v[26:27], v[28:29]
	v_cmpx_eq_u64_e64 v[26:27], v[28:29]
	s_cbranch_execz .LBB505_807
; %bb.809:                              ;   in Loop: Header=BB505_808 Depth=1
	s_add_nc_u64 s[22:23], s[22:23], -1
	v_add_nc_u64_e32 v[0:1], 8, v[0:1]
	s_cmp_eq_u64 s[22:23], 0
	v_add_nc_u64_e32 v[22:23], 8, v[22:23]
	s_cselect_b32 s15, -1, 0
	s_and_not1_b32 s33, s33, exec_lo
	s_and_b32 s15, s15, exec_lo
	s_and_not1_b32 s31, s31, exec_lo
	s_or_b32 s33, s33, s15
	s_branch .LBB505_807
.LBB505_810:
	s_or_b32 exec_lo, exec_lo, s29
	s_and_saveexec_b32 s14, s30
	s_delay_alu instid0(SALU_CYCLE_1)
	s_xor_b32 s14, exec_lo, s14
; %bb.811:
	v_dual_cndmask_b32 v1, v3, v5, s28 :: v_dual_cndmask_b32 v0, v2, v4, s28
	v_dual_cndmask_b32 v5, v5, v3, s28 :: v_dual_cndmask_b32 v4, v4, v2, s28
	s_delay_alu instid0(VALU_DEP_2)
	v_mov_b64_e32 v[2:3], v[0:1]
; %bb.812:
	s_or_b32 exec_lo, exec_lo, s14
.LBB505_813:
	s_delay_alu instid0(SALU_CYCLE_1)
	s_or_b32 exec_lo, exec_lo, s27
	s_and_saveexec_b32 s27, s11
	s_cbranch_execz .LBB505_822
; %bb.814:
	s_and_not1_b32 vcc_lo, exec_lo, s26
	s_cbranch_vccnz .LBB505_822
; %bb.815:
	v_mul_u64_e32 v[0:1], s[16:17], v[10:11]
	v_mul_u64_e32 v[22:23], s[16:17], v[16:17]
	s_mov_b32 s29, 0
	s_mov_b64 s[22:23], s[16:17]
                                        ; implicit-def: $sgpr28
                                        ; implicit-def: $sgpr30
                                        ; implicit-def: $sgpr33
                                        ; implicit-def: $sgpr31
                                        ; implicit-def: $sgpr34
	s_delay_alu instid0(VALU_DEP_2) | instskip(NEXT) | instid1(VALU_DEP_2)
	v_lshl_add_u64 v[0:1], v[0:1], 3, s[18:19]
	v_lshl_add_u64 v[22:23], v[22:23], 3, s[18:19]
	s_branch .LBB505_817
.LBB505_816:                            ;   in Loop: Header=BB505_817 Depth=1
	s_or_b32 exec_lo, exec_lo, s35
	s_and_b32 s14, s14, s34
	s_delay_alu instid0(SALU_CYCLE_1) | instskip(SKIP_1) | instid1(SALU_CYCLE_1)
	s_or_b32 s14, vcc_lo, s14
	s_and_b32 s15, exec_lo, s33
	s_or_b32 s29, s15, s29
	s_and_not1_b32 s15, s34, exec_lo
	s_and_b32 s14, s14, exec_lo
	s_and_not1_b32 s30, s30, exec_lo
	s_and_b32 s35, s31, exec_lo
	s_or_b32 s34, s15, s14
	s_and_not1_b32 s15, s28, exec_lo
	s_or_b32 s30, s30, s35
	s_or_b32 s28, s15, s14
	s_and_not1_b32 exec_lo, exec_lo, s29
	s_cbranch_execz .LBB505_819
.LBB505_817:                            ; =>This Inner Loop Header: Depth=1
	global_load_b64 v[26:27], v[0:1], off
	global_load_b64 v[28:29], v[22:23], off
	s_or_b32 s31, s31, exec_lo
	s_or_b32 s33, s33, exec_lo
	s_mov_b32 s35, exec_lo
	s_wait_loadcnt 0x0
	v_cmp_le_i64_e64 s14, v[26:27], v[28:29]
	v_cmp_lt_i64_e32 vcc_lo, v[26:27], v[28:29]
	v_cmpx_eq_u64_e64 v[26:27], v[28:29]
	s_cbranch_execz .LBB505_816
; %bb.818:                              ;   in Loop: Header=BB505_817 Depth=1
	s_add_nc_u64 s[22:23], s[22:23], -1
	v_add_nc_u64_e32 v[0:1], 8, v[0:1]
	s_cmp_eq_u64 s[22:23], 0
	v_add_nc_u64_e32 v[22:23], 8, v[22:23]
	s_cselect_b32 s15, -1, 0
	s_and_not1_b32 s33, s33, exec_lo
	s_and_b32 s15, s15, exec_lo
	s_and_not1_b32 s31, s31, exec_lo
	s_or_b32 s33, s33, s15
	s_branch .LBB505_816
.LBB505_819:
	s_or_b32 exec_lo, exec_lo, s29
	s_and_saveexec_b32 s14, s30
	s_delay_alu instid0(SALU_CYCLE_1)
	s_xor_b32 s14, exec_lo, s14
; %bb.820:
	v_dual_cndmask_b32 v1, v17, v11, s28 :: v_dual_cndmask_b32 v0, v16, v10, s28
	v_dual_cndmask_b32 v11, v11, v17, s28 :: v_dual_cndmask_b32 v10, v10, v16, s28
	s_delay_alu instid0(VALU_DEP_2)
	v_mov_b64_e32 v[16:17], v[0:1]
; %bb.821:
	s_or_b32 exec_lo, exec_lo, s14
.LBB505_822:
	s_delay_alu instid0(SALU_CYCLE_1)
	s_or_b32 exec_lo, exec_lo, s27
	s_and_saveexec_b32 s27, s12
	s_cbranch_execz .LBB505_831
; %bb.823:
	s_and_not1_b32 vcc_lo, exec_lo, s26
	s_cbranch_vccnz .LBB505_831
; %bb.824:
	v_mul_u64_e32 v[0:1], s[16:17], v[6:7]
	v_mul_u64_e32 v[22:23], s[16:17], v[12:13]
	s_mov_b32 s29, 0
	s_mov_b64 s[22:23], s[16:17]
                                        ; implicit-def: $sgpr28
                                        ; implicit-def: $sgpr30
                                        ; implicit-def: $sgpr33
                                        ; implicit-def: $sgpr31
                                        ; implicit-def: $sgpr34
	s_delay_alu instid0(VALU_DEP_2) | instskip(NEXT) | instid1(VALU_DEP_2)
	v_lshl_add_u64 v[0:1], v[0:1], 3, s[18:19]
	v_lshl_add_u64 v[22:23], v[22:23], 3, s[18:19]
	s_branch .LBB505_826
.LBB505_825:                            ;   in Loop: Header=BB505_826 Depth=1
	s_or_b32 exec_lo, exec_lo, s35
	s_and_b32 s14, s14, s34
	s_delay_alu instid0(SALU_CYCLE_1) | instskip(SKIP_1) | instid1(SALU_CYCLE_1)
	s_or_b32 s14, vcc_lo, s14
	s_and_b32 s15, exec_lo, s33
	s_or_b32 s29, s15, s29
	s_and_not1_b32 s15, s34, exec_lo
	s_and_b32 s14, s14, exec_lo
	s_and_not1_b32 s30, s30, exec_lo
	s_and_b32 s35, s31, exec_lo
	s_or_b32 s34, s15, s14
	s_and_not1_b32 s15, s28, exec_lo
	s_or_b32 s30, s30, s35
	s_or_b32 s28, s15, s14
	s_and_not1_b32 exec_lo, exec_lo, s29
	s_cbranch_execz .LBB505_828
.LBB505_826:                            ; =>This Inner Loop Header: Depth=1
	global_load_b64 v[26:27], v[0:1], off
	global_load_b64 v[28:29], v[22:23], off
	s_or_b32 s31, s31, exec_lo
	s_or_b32 s33, s33, exec_lo
	s_mov_b32 s35, exec_lo
	s_wait_loadcnt 0x0
	v_cmp_le_i64_e64 s14, v[26:27], v[28:29]
	v_cmp_lt_i64_e32 vcc_lo, v[26:27], v[28:29]
	v_cmpx_eq_u64_e64 v[26:27], v[28:29]
	s_cbranch_execz .LBB505_825
; %bb.827:                              ;   in Loop: Header=BB505_826 Depth=1
	s_add_nc_u64 s[22:23], s[22:23], -1
	v_add_nc_u64_e32 v[0:1], 8, v[0:1]
	s_cmp_eq_u64 s[22:23], 0
	v_add_nc_u64_e32 v[22:23], 8, v[22:23]
	s_cselect_b32 s15, -1, 0
	s_and_not1_b32 s33, s33, exec_lo
	s_and_b32 s15, s15, exec_lo
	s_and_not1_b32 s31, s31, exec_lo
	s_or_b32 s33, s33, s15
	s_branch .LBB505_825
.LBB505_828:
	s_or_b32 exec_lo, exec_lo, s29
	s_and_saveexec_b32 s14, s30
	s_delay_alu instid0(SALU_CYCLE_1)
	s_xor_b32 s14, exec_lo, s14
; %bb.829:
	v_dual_cndmask_b32 v1, v13, v7, s28 :: v_dual_cndmask_b32 v0, v12, v6, s28
	v_dual_cndmask_b32 v7, v7, v13, s28 :: v_dual_cndmask_b32 v6, v6, v12, s28
	s_delay_alu instid0(VALU_DEP_2)
	v_mov_b64_e32 v[12:13], v[0:1]
; %bb.830:
	s_or_b32 exec_lo, exec_lo, s14
.LBB505_831:
	s_delay_alu instid0(SALU_CYCLE_1)
	s_or_b32 exec_lo, exec_lo, s27
	s_and_saveexec_b32 s27, s13
	s_cbranch_execz .LBB505_840
; %bb.832:
	s_and_not1_b32 vcc_lo, exec_lo, s26
	s_cbranch_vccnz .LBB505_840
; %bb.833:
	v_mul_u64_e32 v[0:1], s[16:17], v[2:3]
	v_mul_u64_e32 v[22:23], s[16:17], v[8:9]
	s_mov_b32 s29, 0
	s_mov_b64 s[22:23], s[16:17]
                                        ; implicit-def: $sgpr28
                                        ; implicit-def: $sgpr30
                                        ; implicit-def: $sgpr33
                                        ; implicit-def: $sgpr31
                                        ; implicit-def: $sgpr34
	s_delay_alu instid0(VALU_DEP_2) | instskip(NEXT) | instid1(VALU_DEP_2)
	v_lshl_add_u64 v[0:1], v[0:1], 3, s[18:19]
	v_lshl_add_u64 v[22:23], v[22:23], 3, s[18:19]
	s_branch .LBB505_835
.LBB505_834:                            ;   in Loop: Header=BB505_835 Depth=1
	s_or_b32 exec_lo, exec_lo, s35
	s_and_b32 s14, s14, s34
	s_delay_alu instid0(SALU_CYCLE_1) | instskip(SKIP_1) | instid1(SALU_CYCLE_1)
	s_or_b32 s14, vcc_lo, s14
	s_and_b32 s15, exec_lo, s33
	s_or_b32 s29, s15, s29
	s_and_not1_b32 s15, s34, exec_lo
	s_and_b32 s14, s14, exec_lo
	s_and_not1_b32 s30, s30, exec_lo
	s_and_b32 s35, s31, exec_lo
	s_or_b32 s34, s15, s14
	s_and_not1_b32 s15, s28, exec_lo
	s_or_b32 s30, s30, s35
	s_or_b32 s28, s15, s14
	s_and_not1_b32 exec_lo, exec_lo, s29
	s_cbranch_execz .LBB505_837
.LBB505_835:                            ; =>This Inner Loop Header: Depth=1
	global_load_b64 v[26:27], v[0:1], off
	global_load_b64 v[28:29], v[22:23], off
	s_or_b32 s31, s31, exec_lo
	s_or_b32 s33, s33, exec_lo
	s_mov_b32 s35, exec_lo
	s_wait_loadcnt 0x0
	v_cmp_le_i64_e64 s14, v[26:27], v[28:29]
	v_cmp_lt_i64_e32 vcc_lo, v[26:27], v[28:29]
	v_cmpx_eq_u64_e64 v[26:27], v[28:29]
	s_cbranch_execz .LBB505_834
; %bb.836:                              ;   in Loop: Header=BB505_835 Depth=1
	s_add_nc_u64 s[22:23], s[22:23], -1
	v_add_nc_u64_e32 v[0:1], 8, v[0:1]
	s_cmp_eq_u64 s[22:23], 0
	v_add_nc_u64_e32 v[22:23], 8, v[22:23]
	s_cselect_b32 s15, -1, 0
	s_and_not1_b32 s33, s33, exec_lo
	s_and_b32 s15, s15, exec_lo
	s_and_not1_b32 s31, s31, exec_lo
	s_or_b32 s33, s33, s15
	s_branch .LBB505_834
.LBB505_837:
	s_or_b32 exec_lo, exec_lo, s29
	s_and_saveexec_b32 s14, s30
	s_delay_alu instid0(SALU_CYCLE_1)
	s_xor_b32 s14, exec_lo, s14
; %bb.838:
	v_dual_cndmask_b32 v1, v9, v3, s28 :: v_dual_cndmask_b32 v0, v8, v2, s28
	v_dual_cndmask_b32 v3, v3, v9, s28 :: v_dual_cndmask_b32 v2, v2, v8, s28
	s_delay_alu instid0(VALU_DEP_2)
	v_mov_b64_e32 v[8:9], v[0:1]
; %bb.839:
	s_or_b32 exec_lo, exec_lo, s14
.LBB505_840:
	s_delay_alu instid0(SALU_CYCLE_1)
	s_or_b32 exec_lo, exec_lo, s27
	s_and_saveexec_b32 s27, s7
	s_cbranch_execz .LBB505_849
; %bb.841:
	s_and_not1_b32 vcc_lo, exec_lo, s26
	s_cbranch_vccnz .LBB505_849
; %bb.842:
	v_mul_u64_e32 v[0:1], s[16:17], v[16:17]
	v_mul_u64_e32 v[22:23], s[16:17], v[14:15]
	s_mov_b32 s29, 0
	s_mov_b64 s[22:23], s[16:17]
                                        ; implicit-def: $sgpr28
                                        ; implicit-def: $sgpr30
                                        ; implicit-def: $sgpr33
                                        ; implicit-def: $sgpr31
                                        ; implicit-def: $sgpr34
	s_delay_alu instid0(VALU_DEP_2) | instskip(NEXT) | instid1(VALU_DEP_2)
	v_lshl_add_u64 v[0:1], v[0:1], 3, s[18:19]
	v_lshl_add_u64 v[22:23], v[22:23], 3, s[18:19]
	s_branch .LBB505_844
.LBB505_843:                            ;   in Loop: Header=BB505_844 Depth=1
	s_or_b32 exec_lo, exec_lo, s35
	s_and_b32 s14, s14, s34
	s_delay_alu instid0(SALU_CYCLE_1) | instskip(SKIP_1) | instid1(SALU_CYCLE_1)
	s_or_b32 s14, vcc_lo, s14
	s_and_b32 s15, exec_lo, s33
	s_or_b32 s29, s15, s29
	s_and_not1_b32 s15, s34, exec_lo
	s_and_b32 s14, s14, exec_lo
	s_and_not1_b32 s30, s30, exec_lo
	s_and_b32 s35, s31, exec_lo
	s_or_b32 s34, s15, s14
	s_and_not1_b32 s15, s28, exec_lo
	s_or_b32 s30, s30, s35
	s_or_b32 s28, s15, s14
	s_and_not1_b32 exec_lo, exec_lo, s29
	s_cbranch_execz .LBB505_846
.LBB505_844:                            ; =>This Inner Loop Header: Depth=1
	global_load_b64 v[26:27], v[0:1], off
	global_load_b64 v[28:29], v[22:23], off
	s_or_b32 s31, s31, exec_lo
	s_or_b32 s33, s33, exec_lo
	s_mov_b32 s35, exec_lo
	s_wait_loadcnt 0x0
	v_cmp_le_i64_e64 s14, v[26:27], v[28:29]
	v_cmp_lt_i64_e32 vcc_lo, v[26:27], v[28:29]
	v_cmpx_eq_u64_e64 v[26:27], v[28:29]
	s_cbranch_execz .LBB505_843
; %bb.845:                              ;   in Loop: Header=BB505_844 Depth=1
	s_add_nc_u64 s[22:23], s[22:23], -1
	v_add_nc_u64_e32 v[0:1], 8, v[0:1]
	s_cmp_eq_u64 s[22:23], 0
	v_add_nc_u64_e32 v[22:23], 8, v[22:23]
	s_cselect_b32 s15, -1, 0
	s_and_not1_b32 s33, s33, exec_lo
	s_and_b32 s15, s15, exec_lo
	s_and_not1_b32 s31, s31, exec_lo
	s_or_b32 s33, s33, s15
	s_branch .LBB505_843
.LBB505_846:
	s_or_b32 exec_lo, exec_lo, s29
	s_and_saveexec_b32 s14, s30
	s_delay_alu instid0(SALU_CYCLE_1)
	s_xor_b32 s14, exec_lo, s14
; %bb.847:
	v_dual_cndmask_b32 v1, v17, v15, s28 :: v_dual_cndmask_b32 v0, v16, v14, s28
	v_dual_cndmask_b32 v15, v15, v17, s28 :: v_dual_cndmask_b32 v14, v14, v16, s28
	s_delay_alu instid0(VALU_DEP_2)
	v_mov_b64_e32 v[16:17], v[0:1]
; %bb.848:
	s_or_b32 exec_lo, exec_lo, s14
.LBB505_849:
	s_delay_alu instid0(SALU_CYCLE_1)
	s_or_b32 exec_lo, exec_lo, s27
	s_and_saveexec_b32 s27, s8
	s_cbranch_execz .LBB505_858
; %bb.850:
	s_and_not1_b32 vcc_lo, exec_lo, s26
	s_cbranch_vccnz .LBB505_858
; %bb.851:
	v_mul_u64_e32 v[0:1], s[16:17], v[12:13]
	v_mul_u64_e32 v[22:23], s[16:17], v[10:11]
	s_mov_b32 s29, 0
	s_mov_b64 s[22:23], s[16:17]
                                        ; implicit-def: $sgpr28
                                        ; implicit-def: $sgpr30
                                        ; implicit-def: $sgpr33
                                        ; implicit-def: $sgpr31
                                        ; implicit-def: $sgpr34
	s_delay_alu instid0(VALU_DEP_2) | instskip(NEXT) | instid1(VALU_DEP_2)
	v_lshl_add_u64 v[0:1], v[0:1], 3, s[18:19]
	v_lshl_add_u64 v[22:23], v[22:23], 3, s[18:19]
	s_branch .LBB505_853
.LBB505_852:                            ;   in Loop: Header=BB505_853 Depth=1
	s_or_b32 exec_lo, exec_lo, s35
	s_and_b32 s14, s14, s34
	s_delay_alu instid0(SALU_CYCLE_1) | instskip(SKIP_1) | instid1(SALU_CYCLE_1)
	s_or_b32 s14, vcc_lo, s14
	s_and_b32 s15, exec_lo, s33
	s_or_b32 s29, s15, s29
	s_and_not1_b32 s15, s34, exec_lo
	s_and_b32 s14, s14, exec_lo
	s_and_not1_b32 s30, s30, exec_lo
	s_and_b32 s35, s31, exec_lo
	s_or_b32 s34, s15, s14
	s_and_not1_b32 s15, s28, exec_lo
	s_or_b32 s30, s30, s35
	s_or_b32 s28, s15, s14
	s_and_not1_b32 exec_lo, exec_lo, s29
	s_cbranch_execz .LBB505_855
.LBB505_853:                            ; =>This Inner Loop Header: Depth=1
	global_load_b64 v[26:27], v[0:1], off
	global_load_b64 v[28:29], v[22:23], off
	s_or_b32 s31, s31, exec_lo
	s_or_b32 s33, s33, exec_lo
	s_mov_b32 s35, exec_lo
	s_wait_loadcnt 0x0
	v_cmp_le_i64_e64 s14, v[26:27], v[28:29]
	v_cmp_lt_i64_e32 vcc_lo, v[26:27], v[28:29]
	v_cmpx_eq_u64_e64 v[26:27], v[28:29]
	s_cbranch_execz .LBB505_852
; %bb.854:                              ;   in Loop: Header=BB505_853 Depth=1
	s_add_nc_u64 s[22:23], s[22:23], -1
	v_add_nc_u64_e32 v[0:1], 8, v[0:1]
	s_cmp_eq_u64 s[22:23], 0
	v_add_nc_u64_e32 v[22:23], 8, v[22:23]
	s_cselect_b32 s15, -1, 0
	s_and_not1_b32 s33, s33, exec_lo
	s_and_b32 s15, s15, exec_lo
	s_and_not1_b32 s31, s31, exec_lo
	s_or_b32 s33, s33, s15
	s_branch .LBB505_852
.LBB505_855:
	s_or_b32 exec_lo, exec_lo, s29
	s_and_saveexec_b32 s14, s30
	s_delay_alu instid0(SALU_CYCLE_1)
	s_xor_b32 s14, exec_lo, s14
; %bb.856:
	v_dual_cndmask_b32 v1, v11, v13, s28 :: v_dual_cndmask_b32 v0, v10, v12, s28
	v_dual_cndmask_b32 v13, v13, v11, s28 :: v_dual_cndmask_b32 v12, v12, v10, s28
	s_delay_alu instid0(VALU_DEP_2)
	v_mov_b64_e32 v[10:11], v[0:1]
; %bb.857:
	s_or_b32 exec_lo, exec_lo, s14
.LBB505_858:
	s_delay_alu instid0(SALU_CYCLE_1)
	s_or_b32 exec_lo, exec_lo, s27
	s_and_saveexec_b32 s27, s9
	s_cbranch_execz .LBB505_867
; %bb.859:
	s_and_not1_b32 vcc_lo, exec_lo, s26
	s_cbranch_vccnz .LBB505_867
; %bb.860:
	v_mul_u64_e32 v[0:1], s[16:17], v[8:9]
	v_mul_u64_e32 v[22:23], s[16:17], v[6:7]
	s_mov_b32 s29, 0
	s_mov_b64 s[22:23], s[16:17]
                                        ; implicit-def: $sgpr28
                                        ; implicit-def: $sgpr30
                                        ; implicit-def: $sgpr33
                                        ; implicit-def: $sgpr31
                                        ; implicit-def: $sgpr34
	s_delay_alu instid0(VALU_DEP_2) | instskip(NEXT) | instid1(VALU_DEP_2)
	v_lshl_add_u64 v[0:1], v[0:1], 3, s[18:19]
	v_lshl_add_u64 v[22:23], v[22:23], 3, s[18:19]
	s_branch .LBB505_862
.LBB505_861:                            ;   in Loop: Header=BB505_862 Depth=1
	s_or_b32 exec_lo, exec_lo, s35
	s_and_b32 s14, s14, s34
	s_delay_alu instid0(SALU_CYCLE_1) | instskip(SKIP_1) | instid1(SALU_CYCLE_1)
	s_or_b32 s14, vcc_lo, s14
	s_and_b32 s15, exec_lo, s33
	s_or_b32 s29, s15, s29
	s_and_not1_b32 s15, s34, exec_lo
	s_and_b32 s14, s14, exec_lo
	s_and_not1_b32 s30, s30, exec_lo
	s_and_b32 s35, s31, exec_lo
	s_or_b32 s34, s15, s14
	s_and_not1_b32 s15, s28, exec_lo
	s_or_b32 s30, s30, s35
	s_or_b32 s28, s15, s14
	s_and_not1_b32 exec_lo, exec_lo, s29
	s_cbranch_execz .LBB505_864
.LBB505_862:                            ; =>This Inner Loop Header: Depth=1
	global_load_b64 v[26:27], v[0:1], off
	global_load_b64 v[28:29], v[22:23], off
	s_or_b32 s31, s31, exec_lo
	s_or_b32 s33, s33, exec_lo
	s_mov_b32 s35, exec_lo
	s_wait_loadcnt 0x0
	v_cmp_le_i64_e64 s14, v[26:27], v[28:29]
	v_cmp_lt_i64_e32 vcc_lo, v[26:27], v[28:29]
	v_cmpx_eq_u64_e64 v[26:27], v[28:29]
	s_cbranch_execz .LBB505_861
; %bb.863:                              ;   in Loop: Header=BB505_862 Depth=1
	s_add_nc_u64 s[22:23], s[22:23], -1
	v_add_nc_u64_e32 v[0:1], 8, v[0:1]
	s_cmp_eq_u64 s[22:23], 0
	v_add_nc_u64_e32 v[22:23], 8, v[22:23]
	s_cselect_b32 s15, -1, 0
	s_and_not1_b32 s33, s33, exec_lo
	s_and_b32 s15, s15, exec_lo
	s_and_not1_b32 s31, s31, exec_lo
	s_or_b32 s33, s33, s15
	s_branch .LBB505_861
.LBB505_864:
	s_or_b32 exec_lo, exec_lo, s29
	s_and_saveexec_b32 s14, s30
	s_delay_alu instid0(SALU_CYCLE_1)
	s_xor_b32 s14, exec_lo, s14
; %bb.865:
	v_dual_cndmask_b32 v1, v7, v9, s28 :: v_dual_cndmask_b32 v0, v6, v8, s28
	v_dual_cndmask_b32 v9, v9, v7, s28 :: v_dual_cndmask_b32 v8, v8, v6, s28
	s_delay_alu instid0(VALU_DEP_2)
	v_mov_b64_e32 v[6:7], v[0:1]
; %bb.866:
	s_or_b32 exec_lo, exec_lo, s14
.LBB505_867:
	s_delay_alu instid0(SALU_CYCLE_1)
	s_or_b32 exec_lo, exec_lo, s27
	s_and_saveexec_b32 s27, s10
	s_cbranch_execz .LBB505_876
; %bb.868:
	s_and_not1_b32 vcc_lo, exec_lo, s26
	s_cbranch_vccnz .LBB505_876
; %bb.869:
	v_mul_u64_e32 v[0:1], s[16:17], v[4:5]
	v_mul_u64_e32 v[22:23], s[16:17], v[2:3]
	s_mov_b32 s29, 0
	s_mov_b64 s[22:23], s[16:17]
                                        ; implicit-def: $sgpr28
                                        ; implicit-def: $sgpr30
                                        ; implicit-def: $sgpr33
                                        ; implicit-def: $sgpr31
                                        ; implicit-def: $sgpr34
	s_delay_alu instid0(VALU_DEP_2) | instskip(NEXT) | instid1(VALU_DEP_2)
	v_lshl_add_u64 v[0:1], v[0:1], 3, s[18:19]
	v_lshl_add_u64 v[22:23], v[22:23], 3, s[18:19]
	s_branch .LBB505_871
.LBB505_870:                            ;   in Loop: Header=BB505_871 Depth=1
	s_or_b32 exec_lo, exec_lo, s35
	s_and_b32 s14, s14, s34
	s_delay_alu instid0(SALU_CYCLE_1) | instskip(SKIP_1) | instid1(SALU_CYCLE_1)
	s_or_b32 s14, vcc_lo, s14
	s_and_b32 s15, exec_lo, s33
	s_or_b32 s29, s15, s29
	s_and_not1_b32 s15, s34, exec_lo
	s_and_b32 s14, s14, exec_lo
	s_and_not1_b32 s30, s30, exec_lo
	s_and_b32 s35, s31, exec_lo
	s_or_b32 s34, s15, s14
	s_and_not1_b32 s15, s28, exec_lo
	s_or_b32 s30, s30, s35
	s_or_b32 s28, s15, s14
	s_and_not1_b32 exec_lo, exec_lo, s29
	s_cbranch_execz .LBB505_873
.LBB505_871:                            ; =>This Inner Loop Header: Depth=1
	global_load_b64 v[26:27], v[0:1], off
	global_load_b64 v[28:29], v[22:23], off
	s_or_b32 s31, s31, exec_lo
	s_or_b32 s33, s33, exec_lo
	s_mov_b32 s35, exec_lo
	s_wait_loadcnt 0x0
	v_cmp_le_i64_e64 s14, v[26:27], v[28:29]
	v_cmp_lt_i64_e32 vcc_lo, v[26:27], v[28:29]
	v_cmpx_eq_u64_e64 v[26:27], v[28:29]
	s_cbranch_execz .LBB505_870
; %bb.872:                              ;   in Loop: Header=BB505_871 Depth=1
	s_add_nc_u64 s[22:23], s[22:23], -1
	v_add_nc_u64_e32 v[0:1], 8, v[0:1]
	s_cmp_eq_u64 s[22:23], 0
	v_add_nc_u64_e32 v[22:23], 8, v[22:23]
	s_cselect_b32 s15, -1, 0
	s_and_not1_b32 s33, s33, exec_lo
	s_and_b32 s15, s15, exec_lo
	s_and_not1_b32 s31, s31, exec_lo
	s_or_b32 s33, s33, s15
	s_branch .LBB505_870
.LBB505_873:
	s_or_b32 exec_lo, exec_lo, s29
	s_and_saveexec_b32 s14, s30
	s_delay_alu instid0(SALU_CYCLE_1)
	s_xor_b32 s14, exec_lo, s14
; %bb.874:
	v_dual_cndmask_b32 v1, v3, v5, s28 :: v_dual_cndmask_b32 v0, v2, v4, s28
	v_dual_cndmask_b32 v5, v5, v3, s28 :: v_dual_cndmask_b32 v4, v4, v2, s28
	s_delay_alu instid0(VALU_DEP_2)
	v_mov_b64_e32 v[2:3], v[0:1]
; %bb.875:
	s_or_b32 exec_lo, exec_lo, s14
.LBB505_876:
	s_delay_alu instid0(SALU_CYCLE_1)
	s_or_b32 exec_lo, exec_lo, s27
	s_and_saveexec_b32 s27, s11
	s_cbranch_execz .LBB505_885
; %bb.877:
	s_and_not1_b32 vcc_lo, exec_lo, s26
	s_cbranch_vccnz .LBB505_885
; %bb.878:
	v_mul_u64_e32 v[0:1], s[16:17], v[10:11]
	v_mul_u64_e32 v[22:23], s[16:17], v[16:17]
	s_mov_b32 s29, 0
	s_mov_b64 s[22:23], s[16:17]
                                        ; implicit-def: $sgpr28
                                        ; implicit-def: $sgpr30
                                        ; implicit-def: $sgpr33
                                        ; implicit-def: $sgpr31
                                        ; implicit-def: $sgpr34
	s_delay_alu instid0(VALU_DEP_2) | instskip(NEXT) | instid1(VALU_DEP_2)
	v_lshl_add_u64 v[0:1], v[0:1], 3, s[18:19]
	v_lshl_add_u64 v[22:23], v[22:23], 3, s[18:19]
	s_branch .LBB505_880
.LBB505_879:                            ;   in Loop: Header=BB505_880 Depth=1
	s_or_b32 exec_lo, exec_lo, s35
	s_and_b32 s14, s14, s34
	s_delay_alu instid0(SALU_CYCLE_1) | instskip(SKIP_1) | instid1(SALU_CYCLE_1)
	s_or_b32 s14, vcc_lo, s14
	s_and_b32 s15, exec_lo, s33
	s_or_b32 s29, s15, s29
	s_and_not1_b32 s15, s34, exec_lo
	s_and_b32 s14, s14, exec_lo
	s_and_not1_b32 s30, s30, exec_lo
	s_and_b32 s35, s31, exec_lo
	s_or_b32 s34, s15, s14
	s_and_not1_b32 s15, s28, exec_lo
	s_or_b32 s30, s30, s35
	s_or_b32 s28, s15, s14
	s_and_not1_b32 exec_lo, exec_lo, s29
	s_cbranch_execz .LBB505_882
.LBB505_880:                            ; =>This Inner Loop Header: Depth=1
	global_load_b64 v[26:27], v[0:1], off
	global_load_b64 v[28:29], v[22:23], off
	s_or_b32 s31, s31, exec_lo
	s_or_b32 s33, s33, exec_lo
	s_mov_b32 s35, exec_lo
	s_wait_loadcnt 0x0
	v_cmp_le_i64_e64 s14, v[26:27], v[28:29]
	v_cmp_lt_i64_e32 vcc_lo, v[26:27], v[28:29]
	v_cmpx_eq_u64_e64 v[26:27], v[28:29]
	s_cbranch_execz .LBB505_879
; %bb.881:                              ;   in Loop: Header=BB505_880 Depth=1
	s_add_nc_u64 s[22:23], s[22:23], -1
	v_add_nc_u64_e32 v[0:1], 8, v[0:1]
	s_cmp_eq_u64 s[22:23], 0
	v_add_nc_u64_e32 v[22:23], 8, v[22:23]
	s_cselect_b32 s15, -1, 0
	s_and_not1_b32 s33, s33, exec_lo
	s_and_b32 s15, s15, exec_lo
	s_and_not1_b32 s31, s31, exec_lo
	s_or_b32 s33, s33, s15
	s_branch .LBB505_879
.LBB505_882:
	s_or_b32 exec_lo, exec_lo, s29
	s_and_saveexec_b32 s14, s30
	s_delay_alu instid0(SALU_CYCLE_1)
	s_xor_b32 s14, exec_lo, s14
; %bb.883:
	v_dual_cndmask_b32 v1, v17, v11, s28 :: v_dual_cndmask_b32 v0, v16, v10, s28
	v_dual_cndmask_b32 v11, v11, v17, s28 :: v_dual_cndmask_b32 v10, v10, v16, s28
	s_delay_alu instid0(VALU_DEP_2)
	v_mov_b64_e32 v[16:17], v[0:1]
; %bb.884:
	s_or_b32 exec_lo, exec_lo, s14
.LBB505_885:
	s_delay_alu instid0(SALU_CYCLE_1)
	s_or_b32 exec_lo, exec_lo, s27
	s_and_saveexec_b32 s27, s12
	s_cbranch_execz .LBB505_894
; %bb.886:
	s_and_not1_b32 vcc_lo, exec_lo, s26
	s_cbranch_vccnz .LBB505_894
; %bb.887:
	v_mul_u64_e32 v[0:1], s[16:17], v[6:7]
	v_mul_u64_e32 v[22:23], s[16:17], v[12:13]
	s_mov_b32 s29, 0
	s_mov_b64 s[22:23], s[16:17]
                                        ; implicit-def: $sgpr28
                                        ; implicit-def: $sgpr30
                                        ; implicit-def: $sgpr33
                                        ; implicit-def: $sgpr31
                                        ; implicit-def: $sgpr34
	s_delay_alu instid0(VALU_DEP_2) | instskip(NEXT) | instid1(VALU_DEP_2)
	v_lshl_add_u64 v[0:1], v[0:1], 3, s[18:19]
	v_lshl_add_u64 v[22:23], v[22:23], 3, s[18:19]
	s_branch .LBB505_889
.LBB505_888:                            ;   in Loop: Header=BB505_889 Depth=1
	s_or_b32 exec_lo, exec_lo, s35
	s_and_b32 s14, s14, s34
	s_delay_alu instid0(SALU_CYCLE_1) | instskip(SKIP_1) | instid1(SALU_CYCLE_1)
	s_or_b32 s14, vcc_lo, s14
	s_and_b32 s15, exec_lo, s33
	s_or_b32 s29, s15, s29
	s_and_not1_b32 s15, s34, exec_lo
	s_and_b32 s14, s14, exec_lo
	s_and_not1_b32 s30, s30, exec_lo
	s_and_b32 s35, s31, exec_lo
	s_or_b32 s34, s15, s14
	s_and_not1_b32 s15, s28, exec_lo
	s_or_b32 s30, s30, s35
	s_or_b32 s28, s15, s14
	s_and_not1_b32 exec_lo, exec_lo, s29
	s_cbranch_execz .LBB505_891
.LBB505_889:                            ; =>This Inner Loop Header: Depth=1
	global_load_b64 v[26:27], v[0:1], off
	global_load_b64 v[28:29], v[22:23], off
	s_or_b32 s31, s31, exec_lo
	s_or_b32 s33, s33, exec_lo
	s_mov_b32 s35, exec_lo
	s_wait_loadcnt 0x0
	v_cmp_le_i64_e64 s14, v[26:27], v[28:29]
	v_cmp_lt_i64_e32 vcc_lo, v[26:27], v[28:29]
	v_cmpx_eq_u64_e64 v[26:27], v[28:29]
	s_cbranch_execz .LBB505_888
; %bb.890:                              ;   in Loop: Header=BB505_889 Depth=1
	s_add_nc_u64 s[22:23], s[22:23], -1
	v_add_nc_u64_e32 v[0:1], 8, v[0:1]
	s_cmp_eq_u64 s[22:23], 0
	v_add_nc_u64_e32 v[22:23], 8, v[22:23]
	s_cselect_b32 s15, -1, 0
	s_and_not1_b32 s33, s33, exec_lo
	s_and_b32 s15, s15, exec_lo
	s_and_not1_b32 s31, s31, exec_lo
	s_or_b32 s33, s33, s15
	s_branch .LBB505_888
.LBB505_891:
	s_or_b32 exec_lo, exec_lo, s29
	s_and_saveexec_b32 s14, s30
	s_delay_alu instid0(SALU_CYCLE_1)
	s_xor_b32 s14, exec_lo, s14
; %bb.892:
	v_dual_cndmask_b32 v1, v13, v7, s28 :: v_dual_cndmask_b32 v0, v12, v6, s28
	v_dual_cndmask_b32 v7, v7, v13, s28 :: v_dual_cndmask_b32 v6, v6, v12, s28
	s_delay_alu instid0(VALU_DEP_2)
	v_mov_b64_e32 v[12:13], v[0:1]
; %bb.893:
	s_or_b32 exec_lo, exec_lo, s14
.LBB505_894:
	s_delay_alu instid0(SALU_CYCLE_1)
	s_or_b32 exec_lo, exec_lo, s27
	s_and_saveexec_b32 s27, s13
	s_cbranch_execz .LBB505_903
; %bb.895:
	s_and_not1_b32 vcc_lo, exec_lo, s26
	s_cbranch_vccnz .LBB505_903
; %bb.896:
	v_mul_u64_e32 v[0:1], s[16:17], v[2:3]
	v_mul_u64_e32 v[22:23], s[16:17], v[8:9]
	s_mov_b32 s29, 0
	s_mov_b64 s[22:23], s[16:17]
                                        ; implicit-def: $sgpr28
                                        ; implicit-def: $sgpr30
                                        ; implicit-def: $sgpr33
                                        ; implicit-def: $sgpr31
                                        ; implicit-def: $sgpr34
	s_delay_alu instid0(VALU_DEP_2) | instskip(NEXT) | instid1(VALU_DEP_2)
	v_lshl_add_u64 v[0:1], v[0:1], 3, s[18:19]
	v_lshl_add_u64 v[22:23], v[22:23], 3, s[18:19]
	s_branch .LBB505_898
.LBB505_897:                            ;   in Loop: Header=BB505_898 Depth=1
	s_or_b32 exec_lo, exec_lo, s35
	s_and_b32 s14, s14, s34
	s_delay_alu instid0(SALU_CYCLE_1) | instskip(SKIP_1) | instid1(SALU_CYCLE_1)
	s_or_b32 s14, vcc_lo, s14
	s_and_b32 s15, exec_lo, s33
	s_or_b32 s29, s15, s29
	s_and_not1_b32 s15, s34, exec_lo
	s_and_b32 s14, s14, exec_lo
	s_and_not1_b32 s30, s30, exec_lo
	s_and_b32 s35, s31, exec_lo
	s_or_b32 s34, s15, s14
	s_and_not1_b32 s15, s28, exec_lo
	s_or_b32 s30, s30, s35
	s_or_b32 s28, s15, s14
	s_and_not1_b32 exec_lo, exec_lo, s29
	s_cbranch_execz .LBB505_900
.LBB505_898:                            ; =>This Inner Loop Header: Depth=1
	global_load_b64 v[26:27], v[0:1], off
	global_load_b64 v[28:29], v[22:23], off
	s_or_b32 s31, s31, exec_lo
	s_or_b32 s33, s33, exec_lo
	s_mov_b32 s35, exec_lo
	s_wait_loadcnt 0x0
	v_cmp_le_i64_e64 s14, v[26:27], v[28:29]
	v_cmp_lt_i64_e32 vcc_lo, v[26:27], v[28:29]
	v_cmpx_eq_u64_e64 v[26:27], v[28:29]
	s_cbranch_execz .LBB505_897
; %bb.899:                              ;   in Loop: Header=BB505_898 Depth=1
	s_add_nc_u64 s[22:23], s[22:23], -1
	v_add_nc_u64_e32 v[0:1], 8, v[0:1]
	s_cmp_eq_u64 s[22:23], 0
	v_add_nc_u64_e32 v[22:23], 8, v[22:23]
	s_cselect_b32 s15, -1, 0
	s_and_not1_b32 s33, s33, exec_lo
	s_and_b32 s15, s15, exec_lo
	s_and_not1_b32 s31, s31, exec_lo
	s_or_b32 s33, s33, s15
	s_branch .LBB505_897
.LBB505_900:
	s_or_b32 exec_lo, exec_lo, s29
	s_and_saveexec_b32 s14, s30
	s_delay_alu instid0(SALU_CYCLE_1)
	s_xor_b32 s14, exec_lo, s14
; %bb.901:
	v_dual_cndmask_b32 v1, v9, v3, s28 :: v_dual_cndmask_b32 v0, v8, v2, s28
	v_dual_cndmask_b32 v3, v3, v9, s28 :: v_dual_cndmask_b32 v2, v2, v8, s28
	s_delay_alu instid0(VALU_DEP_2)
	v_mov_b64_e32 v[8:9], v[0:1]
; %bb.902:
	s_or_b32 exec_lo, exec_lo, s14
.LBB505_903:
	s_delay_alu instid0(SALU_CYCLE_1)
	s_or_b32 exec_lo, exec_lo, s27
	s_and_saveexec_b32 s15, s7
	s_cbranch_execz .LBB505_912
; %bb.904:
	s_and_not1_b32 vcc_lo, exec_lo, s26
	s_cbranch_vccnz .LBB505_912
; %bb.905:
	v_mul_u64_e32 v[0:1], s[16:17], v[16:17]
	v_mul_u64_e32 v[22:23], s[16:17], v[14:15]
	s_mov_b32 s28, 0
	s_mov_b64 s[22:23], s[16:17]
                                        ; implicit-def: $sgpr27
                                        ; implicit-def: $sgpr29
                                        ; implicit-def: $sgpr31
                                        ; implicit-def: $sgpr30
                                        ; implicit-def: $sgpr33
	s_delay_alu instid0(VALU_DEP_2) | instskip(NEXT) | instid1(VALU_DEP_2)
	v_lshl_add_u64 v[0:1], v[0:1], 3, s[18:19]
	v_lshl_add_u64 v[22:23], v[22:23], 3, s[18:19]
	s_branch .LBB505_907
.LBB505_906:                            ;   in Loop: Header=BB505_907 Depth=1
	s_or_b32 exec_lo, exec_lo, s34
	s_and_b32 s7, s7, s33
	s_delay_alu instid0(SALU_CYCLE_1) | instskip(SKIP_1) | instid1(SALU_CYCLE_1)
	s_or_b32 s7, vcc_lo, s7
	s_and_b32 s14, exec_lo, s31
	s_or_b32 s28, s14, s28
	s_and_not1_b32 s14, s33, exec_lo
	s_and_b32 s7, s7, exec_lo
	s_and_not1_b32 s29, s29, exec_lo
	s_and_b32 s34, s30, exec_lo
	s_or_b32 s33, s14, s7
	s_and_not1_b32 s14, s27, exec_lo
	s_or_b32 s29, s29, s34
	s_or_b32 s27, s14, s7
	s_and_not1_b32 exec_lo, exec_lo, s28
	s_cbranch_execz .LBB505_909
.LBB505_907:                            ; =>This Inner Loop Header: Depth=1
	global_load_b64 v[26:27], v[0:1], off
	global_load_b64 v[28:29], v[22:23], off
	s_or_b32 s30, s30, exec_lo
	s_or_b32 s31, s31, exec_lo
	s_mov_b32 s34, exec_lo
	s_wait_loadcnt 0x0
	v_cmp_le_i64_e64 s7, v[26:27], v[28:29]
	v_cmp_lt_i64_e32 vcc_lo, v[26:27], v[28:29]
	v_cmpx_eq_u64_e64 v[26:27], v[28:29]
	s_cbranch_execz .LBB505_906
; %bb.908:                              ;   in Loop: Header=BB505_907 Depth=1
	s_add_nc_u64 s[22:23], s[22:23], -1
	v_add_nc_u64_e32 v[0:1], 8, v[0:1]
	s_cmp_eq_u64 s[22:23], 0
	v_add_nc_u64_e32 v[22:23], 8, v[22:23]
	s_cselect_b32 s14, -1, 0
	s_and_not1_b32 s31, s31, exec_lo
	s_and_b32 s14, s14, exec_lo
	s_and_not1_b32 s30, s30, exec_lo
	s_or_b32 s31, s31, s14
	s_branch .LBB505_906
.LBB505_909:
	s_or_b32 exec_lo, exec_lo, s28
	s_and_saveexec_b32 s7, s29
	s_delay_alu instid0(SALU_CYCLE_1)
	s_xor_b32 s7, exec_lo, s7
; %bb.910:
	v_dual_cndmask_b32 v1, v17, v15, s27 :: v_dual_cndmask_b32 v0, v16, v14, s27
	v_dual_cndmask_b32 v15, v15, v17, s27 :: v_dual_cndmask_b32 v14, v14, v16, s27
	s_delay_alu instid0(VALU_DEP_2)
	v_mov_b64_e32 v[16:17], v[0:1]
; %bb.911:
	s_or_b32 exec_lo, exec_lo, s7
.LBB505_912:
	s_delay_alu instid0(SALU_CYCLE_1)
	s_or_b32 exec_lo, exec_lo, s15
	s_and_saveexec_b32 s22, s8
	s_cbranch_execz .LBB505_921
; %bb.913:
	s_and_not1_b32 vcc_lo, exec_lo, s26
	s_cbranch_vccnz .LBB505_921
; %bb.914:
	v_mul_u64_e32 v[0:1], s[16:17], v[12:13]
	v_mul_u64_e32 v[22:23], s[16:17], v[10:11]
	s_mov_b32 s27, 0
	s_mov_b64 s[14:15], s[16:17]
                                        ; implicit-def: $sgpr23
                                        ; implicit-def: $sgpr28
                                        ; implicit-def: $sgpr30
                                        ; implicit-def: $sgpr29
                                        ; implicit-def: $sgpr31
	s_delay_alu instid0(VALU_DEP_2) | instskip(NEXT) | instid1(VALU_DEP_2)
	v_lshl_add_u64 v[0:1], v[0:1], 3, s[18:19]
	v_lshl_add_u64 v[22:23], v[22:23], 3, s[18:19]
	s_branch .LBB505_916
.LBB505_915:                            ;   in Loop: Header=BB505_916 Depth=1
	s_or_b32 exec_lo, exec_lo, s33
	s_and_b32 s7, s7, s31
	s_delay_alu instid0(SALU_CYCLE_1) | instskip(SKIP_1) | instid1(SALU_CYCLE_1)
	s_or_b32 s7, vcc_lo, s7
	s_and_b32 s8, exec_lo, s30
	s_or_b32 s27, s8, s27
	s_and_not1_b32 s8, s31, exec_lo
	s_and_b32 s7, s7, exec_lo
	s_and_not1_b32 s28, s28, exec_lo
	s_and_b32 s33, s29, exec_lo
	s_or_b32 s31, s8, s7
	s_and_not1_b32 s8, s23, exec_lo
	s_or_b32 s28, s28, s33
	s_or_b32 s23, s8, s7
	s_and_not1_b32 exec_lo, exec_lo, s27
	s_cbranch_execz .LBB505_918
.LBB505_916:                            ; =>This Inner Loop Header: Depth=1
	global_load_b64 v[26:27], v[0:1], off
	global_load_b64 v[28:29], v[22:23], off
	s_or_b32 s29, s29, exec_lo
	s_or_b32 s30, s30, exec_lo
	s_mov_b32 s33, exec_lo
	s_wait_loadcnt 0x0
	v_cmp_le_i64_e64 s7, v[26:27], v[28:29]
	v_cmp_lt_i64_e32 vcc_lo, v[26:27], v[28:29]
	v_cmpx_eq_u64_e64 v[26:27], v[28:29]
	s_cbranch_execz .LBB505_915
; %bb.917:                              ;   in Loop: Header=BB505_916 Depth=1
	s_add_nc_u64 s[14:15], s[14:15], -1
	v_add_nc_u64_e32 v[0:1], 8, v[0:1]
	s_cmp_eq_u64 s[14:15], 0
	v_add_nc_u64_e32 v[22:23], 8, v[22:23]
	s_cselect_b32 s8, -1, 0
	s_and_not1_b32 s30, s30, exec_lo
	s_and_b32 s8, s8, exec_lo
	s_and_not1_b32 s29, s29, exec_lo
	s_or_b32 s30, s30, s8
	s_branch .LBB505_915
.LBB505_918:
	s_or_b32 exec_lo, exec_lo, s27
	s_and_saveexec_b32 s7, s28
	s_delay_alu instid0(SALU_CYCLE_1)
	s_xor_b32 s7, exec_lo, s7
; %bb.919:
	v_dual_cndmask_b32 v1, v11, v13, s23 :: v_dual_cndmask_b32 v0, v10, v12, s23
	v_dual_cndmask_b32 v13, v13, v11, s23 :: v_dual_cndmask_b32 v12, v12, v10, s23
	s_delay_alu instid0(VALU_DEP_2)
	v_mov_b64_e32 v[10:11], v[0:1]
; %bb.920:
	s_or_b32 exec_lo, exec_lo, s7
.LBB505_921:
	s_delay_alu instid0(SALU_CYCLE_1)
	s_or_b32 exec_lo, exec_lo, s22
	s_and_saveexec_b32 s22, s9
	s_cbranch_execz .LBB505_930
; %bb.922:
	s_and_not1_b32 vcc_lo, exec_lo, s26
	s_cbranch_vccnz .LBB505_930
; %bb.923:
	v_mul_u64_e32 v[0:1], s[16:17], v[8:9]
	v_mul_u64_e32 v[22:23], s[16:17], v[6:7]
	s_mov_b32 s23, 0
	s_mov_b64 s[14:15], s[16:17]
                                        ; implicit-def: $sgpr9
                                        ; implicit-def: $sgpr27
                                        ; implicit-def: $sgpr29
                                        ; implicit-def: $sgpr28
                                        ; implicit-def: $sgpr30
	s_delay_alu instid0(VALU_DEP_2) | instskip(NEXT) | instid1(VALU_DEP_2)
	v_lshl_add_u64 v[0:1], v[0:1], 3, s[18:19]
	v_lshl_add_u64 v[22:23], v[22:23], 3, s[18:19]
	s_branch .LBB505_925
.LBB505_924:                            ;   in Loop: Header=BB505_925 Depth=1
	s_or_b32 exec_lo, exec_lo, s31
	s_and_b32 s7, s7, s30
	s_delay_alu instid0(SALU_CYCLE_1) | instskip(SKIP_1) | instid1(SALU_CYCLE_1)
	s_or_b32 s7, vcc_lo, s7
	s_and_b32 s8, exec_lo, s29
	s_or_b32 s23, s8, s23
	s_and_not1_b32 s8, s30, exec_lo
	s_and_b32 s7, s7, exec_lo
	s_and_not1_b32 s27, s27, exec_lo
	s_and_b32 s31, s28, exec_lo
	s_or_b32 s30, s8, s7
	s_and_not1_b32 s8, s9, exec_lo
	s_or_b32 s27, s27, s31
	s_or_b32 s9, s8, s7
	s_and_not1_b32 exec_lo, exec_lo, s23
	s_cbranch_execz .LBB505_927
.LBB505_925:                            ; =>This Inner Loop Header: Depth=1
	global_load_b64 v[26:27], v[0:1], off
	global_load_b64 v[28:29], v[22:23], off
	s_or_b32 s28, s28, exec_lo
	s_or_b32 s29, s29, exec_lo
	s_mov_b32 s31, exec_lo
	s_wait_loadcnt 0x0
	v_cmp_le_i64_e64 s7, v[26:27], v[28:29]
	v_cmp_lt_i64_e32 vcc_lo, v[26:27], v[28:29]
	v_cmpx_eq_u64_e64 v[26:27], v[28:29]
	s_cbranch_execz .LBB505_924
; %bb.926:                              ;   in Loop: Header=BB505_925 Depth=1
	s_add_nc_u64 s[14:15], s[14:15], -1
	v_add_nc_u64_e32 v[0:1], 8, v[0:1]
	s_cmp_eq_u64 s[14:15], 0
	v_add_nc_u64_e32 v[22:23], 8, v[22:23]
	s_cselect_b32 s8, -1, 0
	s_and_not1_b32 s29, s29, exec_lo
	s_and_b32 s8, s8, exec_lo
	s_and_not1_b32 s28, s28, exec_lo
	s_or_b32 s29, s29, s8
	s_branch .LBB505_924
.LBB505_927:
	s_or_b32 exec_lo, exec_lo, s23
	s_and_saveexec_b32 s7, s27
	s_delay_alu instid0(SALU_CYCLE_1)
	s_xor_b32 s7, exec_lo, s7
; %bb.928:
	v_dual_cndmask_b32 v1, v7, v9, s9 :: v_dual_cndmask_b32 v0, v6, v8, s9
	v_dual_cndmask_b32 v9, v9, v7, s9 :: v_dual_cndmask_b32 v8, v8, v6, s9
	s_delay_alu instid0(VALU_DEP_2)
	v_mov_b64_e32 v[6:7], v[0:1]
; %bb.929:
	s_or_b32 exec_lo, exec_lo, s7
.LBB505_930:
	s_delay_alu instid0(SALU_CYCLE_1)
	s_or_b32 exec_lo, exec_lo, s22
	s_and_saveexec_b32 s9, s10
	s_cbranch_execz .LBB505_939
; %bb.931:
	s_and_not1_b32 vcc_lo, exec_lo, s26
	s_cbranch_vccnz .LBB505_939
; %bb.932:
	v_mul_u64_e32 v[0:1], s[16:17], v[4:5]
	v_mul_u64_e32 v[22:23], s[16:17], v[2:3]
	s_mov_b32 s22, 0
	s_mov_b64 s[14:15], s[16:17]
                                        ; implicit-def: $sgpr10
                                        ; implicit-def: $sgpr23
                                        ; implicit-def: $sgpr28
                                        ; implicit-def: $sgpr27
                                        ; implicit-def: $sgpr29
	s_delay_alu instid0(VALU_DEP_2) | instskip(NEXT) | instid1(VALU_DEP_2)
	v_lshl_add_u64 v[0:1], v[0:1], 3, s[18:19]
	v_lshl_add_u64 v[22:23], v[22:23], 3, s[18:19]
	s_branch .LBB505_934
.LBB505_933:                            ;   in Loop: Header=BB505_934 Depth=1
	s_or_b32 exec_lo, exec_lo, s30
	s_and_b32 s7, s7, s29
	s_delay_alu instid0(SALU_CYCLE_1) | instskip(SKIP_1) | instid1(SALU_CYCLE_1)
	s_or_b32 s7, vcc_lo, s7
	s_and_b32 s8, exec_lo, s28
	s_or_b32 s22, s8, s22
	s_and_not1_b32 s8, s29, exec_lo
	s_and_b32 s7, s7, exec_lo
	s_and_not1_b32 s23, s23, exec_lo
	s_and_b32 s30, s27, exec_lo
	s_or_b32 s29, s8, s7
	s_and_not1_b32 s8, s10, exec_lo
	s_or_b32 s23, s23, s30
	s_or_b32 s10, s8, s7
	s_and_not1_b32 exec_lo, exec_lo, s22
	s_cbranch_execz .LBB505_936
.LBB505_934:                            ; =>This Inner Loop Header: Depth=1
	global_load_b64 v[26:27], v[0:1], off
	global_load_b64 v[28:29], v[22:23], off
	s_or_b32 s27, s27, exec_lo
	s_or_b32 s28, s28, exec_lo
	s_mov_b32 s30, exec_lo
	s_wait_loadcnt 0x0
	v_cmp_le_i64_e64 s7, v[26:27], v[28:29]
	v_cmp_lt_i64_e32 vcc_lo, v[26:27], v[28:29]
	v_cmpx_eq_u64_e64 v[26:27], v[28:29]
	s_cbranch_execz .LBB505_933
; %bb.935:                              ;   in Loop: Header=BB505_934 Depth=1
	s_add_nc_u64 s[14:15], s[14:15], -1
	v_add_nc_u64_e32 v[0:1], 8, v[0:1]
	s_cmp_eq_u64 s[14:15], 0
	v_add_nc_u64_e32 v[22:23], 8, v[22:23]
	s_cselect_b32 s8, -1, 0
	s_and_not1_b32 s28, s28, exec_lo
	s_and_b32 s8, s8, exec_lo
	s_and_not1_b32 s27, s27, exec_lo
	s_or_b32 s28, s28, s8
	s_branch .LBB505_933
.LBB505_936:
	s_or_b32 exec_lo, exec_lo, s22
	s_and_saveexec_b32 s7, s23
	s_delay_alu instid0(SALU_CYCLE_1)
	s_xor_b32 s7, exec_lo, s7
; %bb.937:
	v_dual_cndmask_b32 v1, v3, v5, s10 :: v_dual_cndmask_b32 v0, v2, v4, s10
	v_dual_cndmask_b32 v5, v5, v3, s10 :: v_dual_cndmask_b32 v4, v4, v2, s10
	s_delay_alu instid0(VALU_DEP_2)
	v_mov_b64_e32 v[2:3], v[0:1]
; %bb.938:
	s_or_b32 exec_lo, exec_lo, s7
.LBB505_939:
	s_delay_alu instid0(SALU_CYCLE_1)
	s_or_b32 exec_lo, exec_lo, s9
	s_and_saveexec_b32 s9, s11
	s_cbranch_execz .LBB505_948
; %bb.940:
	s_and_not1_b32 vcc_lo, exec_lo, s26
	s_cbranch_vccnz .LBB505_948
; %bb.941:
	v_mul_u64_e32 v[0:1], s[16:17], v[10:11]
	v_mul_u64_e32 v[22:23], s[16:17], v[16:17]
	s_mov_b32 s15, 0
	s_mov_b64 s[10:11], s[16:17]
                                        ; implicit-def: $sgpr14
                                        ; implicit-def: $sgpr22
                                        ; implicit-def: $sgpr27
                                        ; implicit-def: $sgpr23
                                        ; implicit-def: $sgpr28
	s_delay_alu instid0(VALU_DEP_2) | instskip(NEXT) | instid1(VALU_DEP_2)
	v_lshl_add_u64 v[0:1], v[0:1], 3, s[18:19]
	v_lshl_add_u64 v[22:23], v[22:23], 3, s[18:19]
	s_branch .LBB505_943
.LBB505_942:                            ;   in Loop: Header=BB505_943 Depth=1
	s_or_b32 exec_lo, exec_lo, s29
	s_and_b32 s7, s7, s28
	s_delay_alu instid0(SALU_CYCLE_1) | instskip(SKIP_1) | instid1(SALU_CYCLE_1)
	s_or_b32 s7, vcc_lo, s7
	s_and_b32 s8, exec_lo, s27
	s_or_b32 s15, s8, s15
	s_and_not1_b32 s8, s28, exec_lo
	s_and_b32 s7, s7, exec_lo
	s_and_not1_b32 s22, s22, exec_lo
	s_and_b32 s29, s23, exec_lo
	s_or_b32 s28, s8, s7
	s_and_not1_b32 s8, s14, exec_lo
	s_or_b32 s22, s22, s29
	s_or_b32 s14, s8, s7
	s_and_not1_b32 exec_lo, exec_lo, s15
	s_cbranch_execz .LBB505_945
.LBB505_943:                            ; =>This Inner Loop Header: Depth=1
	global_load_b64 v[26:27], v[0:1], off
	global_load_b64 v[28:29], v[22:23], off
	s_or_b32 s23, s23, exec_lo
	s_or_b32 s27, s27, exec_lo
	s_mov_b32 s29, exec_lo
	s_wait_loadcnt 0x0
	v_cmp_le_i64_e64 s7, v[26:27], v[28:29]
	v_cmp_lt_i64_e32 vcc_lo, v[26:27], v[28:29]
	v_cmpx_eq_u64_e64 v[26:27], v[28:29]
	s_cbranch_execz .LBB505_942
; %bb.944:                              ;   in Loop: Header=BB505_943 Depth=1
	s_add_nc_u64 s[10:11], s[10:11], -1
	v_add_nc_u64_e32 v[0:1], 8, v[0:1]
	s_cmp_eq_u64 s[10:11], 0
	v_add_nc_u64_e32 v[22:23], 8, v[22:23]
	s_cselect_b32 s8, -1, 0
	s_and_not1_b32 s27, s27, exec_lo
	s_and_b32 s8, s8, exec_lo
	s_and_not1_b32 s23, s23, exec_lo
	s_or_b32 s27, s27, s8
	s_branch .LBB505_942
.LBB505_945:
	s_or_b32 exec_lo, exec_lo, s15
	s_and_saveexec_b32 s7, s22
	s_delay_alu instid0(SALU_CYCLE_1)
	s_xor_b32 s7, exec_lo, s7
; %bb.946:
	v_dual_cndmask_b32 v1, v17, v11, s14 :: v_dual_cndmask_b32 v0, v16, v10, s14
	v_dual_cndmask_b32 v11, v11, v17, s14 :: v_dual_cndmask_b32 v10, v10, v16, s14
	s_delay_alu instid0(VALU_DEP_2)
	v_mov_b64_e32 v[16:17], v[0:1]
; %bb.947:
	s_or_b32 exec_lo, exec_lo, s7
.LBB505_948:
	s_delay_alu instid0(SALU_CYCLE_1)
	s_or_b32 exec_lo, exec_lo, s9
	s_and_saveexec_b32 s9, s12
	s_cbranch_execz .LBB505_957
; %bb.949:
	s_and_not1_b32 vcc_lo, exec_lo, s26
	s_cbranch_vccnz .LBB505_957
; %bb.950:
	v_mul_u64_e32 v[0:1], s[16:17], v[6:7]
	v_mul_u64_e32 v[22:23], s[16:17], v[12:13]
	s_mov_b32 s14, 0
	s_mov_b64 s[10:11], s[16:17]
                                        ; implicit-def: $sgpr12
                                        ; implicit-def: $sgpr15
                                        ; implicit-def: $sgpr23
                                        ; implicit-def: $sgpr22
                                        ; implicit-def: $sgpr27
	s_delay_alu instid0(VALU_DEP_2) | instskip(NEXT) | instid1(VALU_DEP_2)
	v_lshl_add_u64 v[0:1], v[0:1], 3, s[18:19]
	v_lshl_add_u64 v[22:23], v[22:23], 3, s[18:19]
	s_branch .LBB505_952
.LBB505_951:                            ;   in Loop: Header=BB505_952 Depth=1
	s_or_b32 exec_lo, exec_lo, s28
	s_and_b32 s7, s7, s27
	s_delay_alu instid0(SALU_CYCLE_1) | instskip(SKIP_1) | instid1(SALU_CYCLE_1)
	s_or_b32 s7, vcc_lo, s7
	s_and_b32 s8, exec_lo, s23
	s_or_b32 s14, s8, s14
	s_and_not1_b32 s8, s27, exec_lo
	s_and_b32 s7, s7, exec_lo
	s_and_not1_b32 s15, s15, exec_lo
	s_and_b32 s28, s22, exec_lo
	s_or_b32 s27, s8, s7
	s_and_not1_b32 s8, s12, exec_lo
	s_or_b32 s15, s15, s28
	s_or_b32 s12, s8, s7
	s_and_not1_b32 exec_lo, exec_lo, s14
	s_cbranch_execz .LBB505_954
.LBB505_952:                            ; =>This Inner Loop Header: Depth=1
	global_load_b64 v[26:27], v[0:1], off
	global_load_b64 v[28:29], v[22:23], off
	s_or_b32 s22, s22, exec_lo
	s_or_b32 s23, s23, exec_lo
	s_mov_b32 s28, exec_lo
	s_wait_loadcnt 0x0
	v_cmp_le_i64_e64 s7, v[26:27], v[28:29]
	v_cmp_lt_i64_e32 vcc_lo, v[26:27], v[28:29]
	v_cmpx_eq_u64_e64 v[26:27], v[28:29]
	s_cbranch_execz .LBB505_951
; %bb.953:                              ;   in Loop: Header=BB505_952 Depth=1
	s_add_nc_u64 s[10:11], s[10:11], -1
	v_add_nc_u64_e32 v[0:1], 8, v[0:1]
	s_cmp_eq_u64 s[10:11], 0
	v_add_nc_u64_e32 v[22:23], 8, v[22:23]
	s_cselect_b32 s8, -1, 0
	s_and_not1_b32 s23, s23, exec_lo
	s_and_b32 s8, s8, exec_lo
	s_and_not1_b32 s22, s22, exec_lo
	s_or_b32 s23, s23, s8
	s_branch .LBB505_951
.LBB505_954:
	s_or_b32 exec_lo, exec_lo, s14
	s_and_saveexec_b32 s7, s15
	s_delay_alu instid0(SALU_CYCLE_1)
	s_xor_b32 s7, exec_lo, s7
; %bb.955:
	v_dual_cndmask_b32 v1, v13, v7, s12 :: v_dual_cndmask_b32 v0, v12, v6, s12
	v_dual_cndmask_b32 v7, v7, v13, s12 :: v_dual_cndmask_b32 v6, v6, v12, s12
	s_delay_alu instid0(VALU_DEP_2)
	v_mov_b64_e32 v[12:13], v[0:1]
; %bb.956:
	s_or_b32 exec_lo, exec_lo, s7
.LBB505_957:
	s_delay_alu instid0(SALU_CYCLE_1)
	s_or_b32 exec_lo, exec_lo, s9
	s_and_saveexec_b32 s9, s13
	s_cbranch_execz .LBB505_966
; %bb.958:
	s_and_not1_b32 vcc_lo, exec_lo, s26
	s_cbranch_vccnz .LBB505_966
; %bb.959:
	v_mul_u64_e32 v[0:1], s[16:17], v[2:3]
	v_mul_u64_e32 v[22:23], s[16:17], v[8:9]
	s_mov_b32 s13, 0
	s_mov_b64 s[10:11], s[16:17]
                                        ; implicit-def: $sgpr12
                                        ; implicit-def: $sgpr14
                                        ; implicit-def: $sgpr22
                                        ; implicit-def: $sgpr15
                                        ; implicit-def: $sgpr23
	s_delay_alu instid0(VALU_DEP_2) | instskip(NEXT) | instid1(VALU_DEP_2)
	v_lshl_add_u64 v[0:1], v[0:1], 3, s[18:19]
	v_lshl_add_u64 v[22:23], v[22:23], 3, s[18:19]
	s_branch .LBB505_961
.LBB505_960:                            ;   in Loop: Header=BB505_961 Depth=1
	s_or_b32 exec_lo, exec_lo, s27
	s_and_b32 s7, s7, s23
	s_delay_alu instid0(SALU_CYCLE_1) | instskip(SKIP_1) | instid1(SALU_CYCLE_1)
	s_or_b32 s7, vcc_lo, s7
	s_and_b32 s8, exec_lo, s22
	s_or_b32 s13, s8, s13
	s_and_not1_b32 s8, s23, exec_lo
	s_and_b32 s7, s7, exec_lo
	s_and_not1_b32 s14, s14, exec_lo
	s_and_b32 s27, s15, exec_lo
	s_or_b32 s23, s8, s7
	s_and_not1_b32 s8, s12, exec_lo
	s_or_b32 s14, s14, s27
	s_or_b32 s12, s8, s7
	s_and_not1_b32 exec_lo, exec_lo, s13
	s_cbranch_execz .LBB505_963
.LBB505_961:                            ; =>This Inner Loop Header: Depth=1
	global_load_b64 v[26:27], v[0:1], off
	global_load_b64 v[28:29], v[22:23], off
	s_or_b32 s15, s15, exec_lo
	s_or_b32 s22, s22, exec_lo
	s_mov_b32 s27, exec_lo
	s_wait_loadcnt 0x0
	v_cmp_le_i64_e64 s7, v[26:27], v[28:29]
	v_cmp_lt_i64_e32 vcc_lo, v[26:27], v[28:29]
	v_cmpx_eq_u64_e64 v[26:27], v[28:29]
	s_cbranch_execz .LBB505_960
; %bb.962:                              ;   in Loop: Header=BB505_961 Depth=1
	s_add_nc_u64 s[10:11], s[10:11], -1
	v_add_nc_u64_e32 v[0:1], 8, v[0:1]
	s_cmp_eq_u64 s[10:11], 0
	v_add_nc_u64_e32 v[22:23], 8, v[22:23]
	s_cselect_b32 s8, -1, 0
	s_and_not1_b32 s22, s22, exec_lo
	s_and_b32 s8, s8, exec_lo
	s_and_not1_b32 s15, s15, exec_lo
	s_or_b32 s22, s22, s8
	s_branch .LBB505_960
.LBB505_963:
	s_or_b32 exec_lo, exec_lo, s13
	s_and_saveexec_b32 s7, s14
	s_delay_alu instid0(SALU_CYCLE_1)
	s_xor_b32 s7, exec_lo, s7
; %bb.964:
	v_dual_cndmask_b32 v1, v9, v3, s12 :: v_dual_cndmask_b32 v0, v8, v2, s12
	v_dual_cndmask_b32 v3, v3, v9, s12 :: v_dual_cndmask_b32 v2, v2, v8, s12
	s_delay_alu instid0(VALU_DEP_2)
	v_mov_b64_e32 v[8:9], v[0:1]
; %bb.965:
	s_or_b32 exec_lo, exec_lo, s7
.LBB505_966:
	s_delay_alu instid0(SALU_CYCLE_1) | instskip(SKIP_4) | instid1(VALU_DEP_1)
	s_or_b32 exec_lo, exec_lo, s9
	v_mbcnt_lo_u32_b32 v0, -1, 0
	v_and_b32_e32 v1, 0xffffff00, v24
	s_mov_b32 s12, 0
	s_mov_b32 s13, exec_lo
	v_dual_lshlrev_b32 v45, 3, v0 :: v_dual_lshlrev_b32 v43, 3, v1
	v_sub_nc_u32_e64 v44, s25, v1 clamp
	s_delay_alu instid0(VALU_DEP_2) | instskip(SKIP_1) | instid1(VALU_DEP_4)
	v_or_b32_e32 v22, 8, v45
	v_and_b32_e32 v26, 0xf0, v45
	v_lshl_or_b32 v46, v0, 6, v43
	ds_store_b128 v46, v[14:17]
	ds_store_b128 v46, v[10:13] offset:16
	v_min_u32_e32 v47, v44, v22
	v_and_b32_e32 v22, 8, v45
	v_lshl_or_b32 v25, v26, 3, v43
	ds_store_b128 v46, v[6:9] offset:32
	ds_store_b128 v46, v[2:5] offset:48
	v_add_min_u32_e64 v48, v47, 8, v44
	v_min_u32_e32 v27, v44, v22
	v_sub_nc_u32_e32 v22, v47, v26
	; wave barrier
	s_delay_alu instid0(VALU_DEP_3) | instskip(NEXT) | instid1(VALU_DEP_2)
	v_sub_nc_u32_e32 v1, v48, v47
	v_min_u32_e32 v28, v27, v22
	s_delay_alu instid0(VALU_DEP_2) | instskip(NEXT) | instid1(VALU_DEP_1)
	v_sub_nc_u32_e64 v24, v27, v1 clamp
	v_cmpx_lt_u32_e64 v24, v28
	s_cbranch_execz .LBB505_977
; %bb.967:
	v_lshlrev_b32_e32 v0, 3, v47
	v_lshlrev_b32_e32 v1, 3, v27
	s_lshl_b64 s[8:9], s[16:17], 3
	s_delay_alu instid0(VALU_DEP_1)
	v_add3_u32 v29, v43, v0, v1
	s_branch .LBB505_970
.LBB505_968:                            ;   in Loop: Header=BB505_970 Depth=1
	s_or_b32 exec_lo, exec_lo, s15
.LBB505_969:                            ;   in Loop: Header=BB505_970 Depth=1
	s_delay_alu instid0(VALU_DEP_1) | instskip(NEXT) | instid1(VALU_DEP_1)
	v_dual_add_nc_u32 v0, 1, v30 :: v_dual_cndmask_b32 v28, v28, v30, s14
	v_cndmask_b32_e64 v24, v0, v24, s14
	s_delay_alu instid0(VALU_DEP_1) | instskip(SKIP_1) | instid1(SALU_CYCLE_1)
	v_cmp_ge_u32_e32 vcc_lo, v24, v28
	s_or_b32 s12, vcc_lo, s12
	s_and_not1_b32 exec_lo, exec_lo, s12
	s_cbranch_execz .LBB505_976
.LBB505_970:                            ; =>This Loop Header: Depth=1
                                        ;     Child Loop BB505_973 Depth 2
	v_add_nc_u32_e32 v0, v28, v24
	s_and_not1_b32 vcc_lo, exec_lo, s26
	s_delay_alu instid0(VALU_DEP_1)
	v_lshrrev_b32_e32 v30, 1, v0
	s_cbranch_vccnz .LBB505_975
; %bb.971:                              ;   in Loop: Header=BB505_970 Depth=1
	s_delay_alu instid0(VALU_DEP_1) | instskip(SKIP_3) | instid1(VALU_DEP_2)
	v_not_b32_e32 v0, v30
	v_lshl_add_u32 v1, v30, 3, v25
	s_mov_b32 s15, 0
	s_mov_b64 s[10:11], s[16:17]
                                        ; implicit-def: $sgpr14
                                        ; implicit-def: $sgpr22
                                        ; implicit-def: $sgpr23
                                        ; implicit-def: $sgpr27
	v_lshl_add_u32 v0, v0, 3, v29
	ds_load_b64 v[32:33], v0
	ds_load_b64 v[34:35], v1
	s_wait_dscnt 0x1
	v_mad_nc_u64_u32 v[0:1], s8, v32, s[18:19]
	s_wait_dscnt 0x0
	v_mad_nc_u64_u32 v[22:23], s8, v34, s[18:19]
	s_delay_alu instid0(VALU_DEP_2) | instskip(NEXT) | instid1(VALU_DEP_2)
	v_mad_u32 v1, s9, v32, v1
	v_mad_u32 v23, s9, v34, v23
	s_delay_alu instid0(VALU_DEP_2) | instskip(NEXT) | instid1(VALU_DEP_2)
	v_mad_u32 v1, s8, v33, v1
	v_mad_u32 v23, s8, v35, v23
	s_branch .LBB505_973
.LBB505_972:                            ;   in Loop: Header=BB505_973 Depth=2
	s_or_b32 exec_lo, exec_lo, s28
	s_delay_alu instid0(SALU_CYCLE_1) | instskip(NEXT) | instid1(SALU_CYCLE_1)
	s_and_b32 s28, exec_lo, s22
	s_or_b32 s15, s28, s15
	s_and_not1_b32 s27, s27, exec_lo
	s_and_b32 s7, s7, exec_lo
	s_and_not1_b32 s14, s14, exec_lo
	s_and_b32 s28, s23, exec_lo
	s_or_b32 s27, s27, s7
	s_or_b32 s14, s14, s28
	s_and_not1_b32 exec_lo, exec_lo, s15
	s_cbranch_execz .LBB505_968
.LBB505_973:                            ;   Parent Loop BB505_970 Depth=1
                                        ; =>  This Inner Loop Header: Depth=2
	global_load_b64 v[32:33], v[0:1], off
	global_load_b64 v[34:35], v[22:23], off
	s_and_not1_b32 s23, s23, exec_lo
	s_or_b32 s22, s22, exec_lo
	s_wait_loadcnt 0x0
	v_cmp_le_i64_e32 vcc_lo, v[32:33], v[34:35]
	v_cmp_lt_i64_e64 s7, v[32:33], v[34:35]
	s_and_b32 s28, vcc_lo, s27
	s_delay_alu instid0(SALU_CYCLE_1) | instskip(NEXT) | instid1(SALU_CYCLE_1)
	s_or_b32 s7, s7, s28
	s_and_b32 s28, s7, exec_lo
	s_delay_alu instid0(SALU_CYCLE_1)
	s_or_b32 s23, s23, s28
	s_mov_b32 s28, exec_lo
	v_cmpx_eq_u64_e64 v[32:33], v[34:35]
	s_cbranch_execz .LBB505_972
; %bb.974:                              ;   in Loop: Header=BB505_973 Depth=2
	s_add_nc_u64 s[10:11], s[10:11], -1
	v_add_nc_u64_e32 v[0:1], 8, v[0:1]
	s_cmp_eq_u64 s[10:11], 0
	v_add_nc_u64_e32 v[22:23], 8, v[22:23]
	s_cselect_b32 s27, -1, 0
	s_and_not1_b32 s22, s22, exec_lo
	s_and_b32 s27, s27, exec_lo
	s_and_not1_b32 s23, s23, exec_lo
	s_or_b32 s22, s22, s27
                                        ; implicit-def: $sgpr27
	s_branch .LBB505_972
.LBB505_975:                            ;   in Loop: Header=BB505_970 Depth=1
	s_mov_b32 s14, 0
	s_branch .LBB505_969
.LBB505_976:
	s_or_b32 exec_lo, exec_lo, s12
.LBB505_977:
	s_delay_alu instid0(SALU_CYCLE_1) | instskip(SKIP_1) | instid1(VALU_DEP_1)
	s_or_b32 exec_lo, exec_lo, s13
	v_dual_add_nc_u32 v0, v47, v27 :: v_dual_add_nc_u32 v22, v24, v26
	v_sub_nc_u32_e32 v23, v0, v24
	s_delay_alu instid0(VALU_DEP_2) | instskip(NEXT) | instid1(VALU_DEP_2)
	v_cmp_le_u32_e32 vcc_lo, v22, v47
	v_cmp_le_u32_e64 s7, v23, v48
	s_or_b32 s7, vcc_lo, s7
	s_delay_alu instid0(SALU_CYCLE_1)
	s_and_saveexec_b32 s10, s7
	s_cbranch_execz .LBB505_1068
; %bb.978:
	s_mov_b32 s8, exec_lo
	v_cmp_ge_u32_e32 vcc_lo, v22, v47
                                        ; implicit-def: $vgpr0_vgpr1
	v_cmpx_lt_u32_e64 v22, v47
; %bb.979:
	v_lshl_add_u32 v0, v24, 3, v25
	ds_load_b64 v[0:1], v0
; %bb.980:
	s_or_b32 exec_lo, exec_lo, s8
	v_cmp_ge_u32_e64 s11, v23, v48
	s_mov_b32 s8, exec_lo
                                        ; implicit-def: $vgpr2_vgpr3
	v_cmpx_lt_u32_e64 v23, v48
; %bb.981:
	v_lshl_add_u32 v2, v23, 3, v43
	ds_load_b64 v[2:3], v2
; %bb.982:
	s_or_b32 exec_lo, exec_lo, s8
	s_nor_b32 s7, vcc_lo, s11
	s_delay_alu instid0(SALU_CYCLE_1)
	s_and_saveexec_b32 s12, s7
	s_cbranch_execz .LBB505_991
; %bb.983:
	s_and_not1_b32 vcc_lo, exec_lo, s26
	s_cbranch_vccnz .LBB505_989
; %bb.984:
	s_wait_dscnt 0x0
	v_mul_u64_e32 v[4:5], s[16:17], v[2:3]
	v_mul_u64_e32 v[6:7], s[16:17], v[0:1]
	s_mov_b32 s13, 0
	s_mov_b64 s[8:9], s[16:17]
                                        ; implicit-def: $sgpr14
                                        ; implicit-def: $sgpr15
                                        ; implicit-def: $sgpr22
                                        ; implicit-def: $sgpr23
	s_delay_alu instid0(VALU_DEP_2) | instskip(NEXT) | instid1(VALU_DEP_2)
	v_lshl_add_u64 v[4:5], v[4:5], 3, s[18:19]
	v_lshl_add_u64 v[6:7], v[6:7], 3, s[18:19]
	s_branch .LBB505_986
.LBB505_985:                            ;   in Loop: Header=BB505_986 Depth=1
	s_or_b32 exec_lo, exec_lo, s27
	s_delay_alu instid0(SALU_CYCLE_1) | instskip(NEXT) | instid1(SALU_CYCLE_1)
	s_and_b32 s27, exec_lo, s15
	s_or_b32 s13, s27, s13
	s_and_not1_b32 s23, s23, exec_lo
	s_and_b32 s7, s7, exec_lo
	s_and_not1_b32 s14, s14, exec_lo
	s_and_b32 s27, s22, exec_lo
	s_or_b32 s23, s23, s7
	s_or_b32 s14, s14, s27
	s_and_not1_b32 exec_lo, exec_lo, s13
	s_cbranch_execz .LBB505_988
.LBB505_986:                            ; =>This Inner Loop Header: Depth=1
	global_load_b64 v[8:9], v[4:5], off
	global_load_b64 v[10:11], v[6:7], off
	s_and_not1_b32 s22, s22, exec_lo
	s_or_b32 s15, s15, exec_lo
	s_wait_loadcnt 0x0
	v_cmp_le_i64_e32 vcc_lo, v[8:9], v[10:11]
	v_cmp_lt_i64_e64 s7, v[8:9], v[10:11]
	s_and_b32 s27, vcc_lo, s23
	s_delay_alu instid0(SALU_CYCLE_1) | instskip(NEXT) | instid1(SALU_CYCLE_1)
	s_or_b32 s7, s7, s27
	s_and_b32 s27, s7, exec_lo
	s_delay_alu instid0(SALU_CYCLE_1)
	s_or_b32 s22, s22, s27
	s_mov_b32 s27, exec_lo
	v_cmpx_eq_u64_e64 v[8:9], v[10:11]
	s_cbranch_execz .LBB505_985
; %bb.987:                              ;   in Loop: Header=BB505_986 Depth=1
	s_add_nc_u64 s[8:9], s[8:9], -1
	v_add_nc_u64_e32 v[4:5], 8, v[4:5]
	s_cmp_eq_u64 s[8:9], 0
	v_add_nc_u64_e32 v[6:7], 8, v[6:7]
	s_cselect_b32 s23, -1, 0
	s_and_not1_b32 s15, s15, exec_lo
	s_and_b32 s23, s23, exec_lo
	s_and_not1_b32 s22, s22, exec_lo
	s_or_b32 s15, s15, s23
                                        ; implicit-def: $sgpr23
	s_branch .LBB505_985
.LBB505_988:
	s_or_b32 exec_lo, exec_lo, s13
	s_xor_b32 s7, s14, -1
	s_branch .LBB505_990
.LBB505_989:
	s_mov_b32 s7, -1
.LBB505_990:
	s_and_not1_b32 s8, s11, exec_lo
	s_and_b32 s7, s7, exec_lo
	s_delay_alu instid0(SALU_CYCLE_1)
	s_or_b32 s11, s8, s7
.LBB505_991:
	s_or_b32 exec_lo, exec_lo, s12
	v_dual_cndmask_b32 v4, v23, v22, s11 :: v_dual_cndmask_b32 v5, v48, v47, s11
	s_mov_b32 s13, -1
	s_mov_b32 s12, -1
	s_mov_b32 s14, exec_lo
	s_delay_alu instid0(VALU_DEP_1) | instskip(NEXT) | instid1(VALU_DEP_1)
	v_add_nc_u32_e32 v4, 1, v4
	v_add_min_u32_e64 v5, v5, -1, v4
	s_delay_alu instid0(VALU_DEP_1)
	v_lshl_add_u32 v5, v5, 3, v43
	ds_load_b64 v[6:7], v5
	s_wait_dscnt 0x0
	v_cndmask_b32_e64 v5, v7, v3, s11
	v_dual_cndmask_b32 v10, v4, v23, s11 :: v_dual_cndmask_b32 v11, v22, v4, s11
	v_dual_cndmask_b32 v4, v6, v2, s11 :: v_dual_cndmask_b32 v15, v1, v7, s11
	v_cndmask_b32_e64 v14, v0, v6, s11
	s_delay_alu instid0(VALU_DEP_3)
	v_cmpx_lt_u32_e64 v10, v48
	s_cbranch_execz .LBB505_1002
; %bb.992:
	s_mov_b32 s7, 0
	s_mov_b32 s12, exec_lo
	v_cmpx_lt_u32_e64 v11, v47
	s_cbranch_execz .LBB505_1001
; %bb.993:
	s_and_not1_b32 vcc_lo, exec_lo, s26
	s_cbranch_vccnz .LBB505_999
; %bb.994:
	v_mul_u64_e32 v[6:7], s[16:17], v[4:5]
	v_mul_u64_e32 v[8:9], s[16:17], v[14:15]
	s_mov_b32 s15, 0
	s_mov_b64 s[8:9], s[16:17]
                                        ; implicit-def: $sgpr22
                                        ; implicit-def: $sgpr23
                                        ; implicit-def: $sgpr27
                                        ; implicit-def: $sgpr28
	s_delay_alu instid0(VALU_DEP_2) | instskip(NEXT) | instid1(VALU_DEP_2)
	v_lshl_add_u64 v[6:7], v[6:7], 3, s[18:19]
	v_lshl_add_u64 v[8:9], v[8:9], 3, s[18:19]
	s_branch .LBB505_996
.LBB505_995:                            ;   in Loop: Header=BB505_996 Depth=1
	s_or_b32 exec_lo, exec_lo, s29
	s_delay_alu instid0(SALU_CYCLE_1) | instskip(NEXT) | instid1(SALU_CYCLE_1)
	s_and_b32 s29, exec_lo, s23
	s_or_b32 s15, s29, s15
	s_and_not1_b32 s28, s28, exec_lo
	s_and_b32 s7, s7, exec_lo
	s_and_not1_b32 s22, s22, exec_lo
	s_and_b32 s29, s27, exec_lo
	s_or_b32 s28, s28, s7
	s_or_b32 s22, s22, s29
	s_and_not1_b32 exec_lo, exec_lo, s15
	s_cbranch_execz .LBB505_998
.LBB505_996:                            ; =>This Inner Loop Header: Depth=1
	global_load_b64 v[12:13], v[6:7], off
	global_load_b64 v[16:17], v[8:9], off
	s_and_not1_b32 s27, s27, exec_lo
	s_or_b32 s23, s23, exec_lo
	s_wait_loadcnt 0x0
	v_cmp_le_i64_e32 vcc_lo, v[12:13], v[16:17]
	v_cmp_lt_i64_e64 s7, v[12:13], v[16:17]
	s_and_b32 s29, vcc_lo, s28
	s_delay_alu instid0(SALU_CYCLE_1) | instskip(NEXT) | instid1(SALU_CYCLE_1)
	s_or_b32 s7, s7, s29
	s_and_b32 s29, s7, exec_lo
	s_delay_alu instid0(SALU_CYCLE_1)
	s_or_b32 s27, s27, s29
	s_mov_b32 s29, exec_lo
	v_cmpx_eq_u64_e64 v[12:13], v[16:17]
	s_cbranch_execz .LBB505_995
; %bb.997:                              ;   in Loop: Header=BB505_996 Depth=1
	s_add_nc_u64 s[8:9], s[8:9], -1
	v_add_nc_u64_e32 v[6:7], 8, v[6:7]
	s_cmp_eq_u64 s[8:9], 0
	v_add_nc_u64_e32 v[8:9], 8, v[8:9]
	s_cselect_b32 s28, -1, 0
	s_and_not1_b32 s23, s23, exec_lo
	s_and_b32 s28, s28, exec_lo
	s_and_not1_b32 s27, s27, exec_lo
	s_or_b32 s23, s23, s28
                                        ; implicit-def: $sgpr28
	s_branch .LBB505_995
.LBB505_998:
	s_or_b32 exec_lo, exec_lo, s15
	s_xor_b32 s7, s22, -1
	s_branch .LBB505_1000
.LBB505_999:
	s_mov_b32 s7, -1
.LBB505_1000:
	s_delay_alu instid0(SALU_CYCLE_1)
	s_and_b32 s7, s7, exec_lo
.LBB505_1001:
	s_or_b32 exec_lo, exec_lo, s12
	s_delay_alu instid0(SALU_CYCLE_1)
	s_or_not1_b32 s12, s7, exec_lo
.LBB505_1002:
	s_or_b32 exec_lo, exec_lo, s14
	v_cndmask_b32_e64 v6, v10, v11, s12
	v_cndmask_b32_e64 v7, v48, v47, s12
	s_mov_b32 s14, exec_lo
	s_delay_alu instid0(VALU_DEP_2) | instskip(NEXT) | instid1(VALU_DEP_1)
	v_add_nc_u32_e32 v8, 1, v6
	v_add_min_u32_e64 v6, v7, -1, v8
	v_cndmask_b32_e64 v12, v8, v10, s12
	s_delay_alu instid0(VALU_DEP_2)
	v_lshl_add_u32 v6, v6, 3, v43
	ds_load_b64 v[6:7], v6
	s_wait_dscnt 0x0
	v_dual_cndmask_b32 v13, v11, v8, s12 :: v_dual_cndmask_b32 v16, v14, v6, s12
	v_dual_cndmask_b32 v11, v7, v5, s12 :: v_dual_cndmask_b32 v10, v6, v4, s12
	v_cndmask_b32_e64 v17, v15, v7, s12
	v_cmpx_lt_u32_e64 v12, v48
	s_cbranch_execz .LBB505_1013
; %bb.1003:
	s_mov_b32 s7, 0
	s_mov_b32 s13, exec_lo
	v_cmpx_lt_u32_e64 v13, v47
	s_cbranch_execz .LBB505_1012
; %bb.1004:
	s_and_not1_b32 vcc_lo, exec_lo, s26
	s_cbranch_vccnz .LBB505_1010
; %bb.1005:
	v_mul_u64_e32 v[6:7], s[16:17], v[10:11]
	v_mul_u64_e32 v[8:9], s[16:17], v[16:17]
	s_mov_b32 s15, 0
	s_mov_b64 s[8:9], s[16:17]
                                        ; implicit-def: $sgpr22
                                        ; implicit-def: $sgpr23
                                        ; implicit-def: $sgpr27
                                        ; implicit-def: $sgpr28
	s_delay_alu instid0(VALU_DEP_2) | instskip(NEXT) | instid1(VALU_DEP_2)
	v_lshl_add_u64 v[6:7], v[6:7], 3, s[18:19]
	v_lshl_add_u64 v[8:9], v[8:9], 3, s[18:19]
	s_branch .LBB505_1007
.LBB505_1006:                           ;   in Loop: Header=BB505_1007 Depth=1
	s_or_b32 exec_lo, exec_lo, s29
	s_delay_alu instid0(SALU_CYCLE_1) | instskip(NEXT) | instid1(SALU_CYCLE_1)
	s_and_b32 s29, exec_lo, s23
	s_or_b32 s15, s29, s15
	s_and_not1_b32 s28, s28, exec_lo
	s_and_b32 s7, s7, exec_lo
	s_and_not1_b32 s22, s22, exec_lo
	s_and_b32 s29, s27, exec_lo
	s_or_b32 s28, s28, s7
	s_or_b32 s22, s22, s29
	s_and_not1_b32 exec_lo, exec_lo, s15
	s_cbranch_execz .LBB505_1009
.LBB505_1007:                           ; =>This Inner Loop Header: Depth=1
	global_load_b64 v[22:23], v[6:7], off
	global_load_b64 v[24:25], v[8:9], off
	s_and_not1_b32 s27, s27, exec_lo
	s_or_b32 s23, s23, exec_lo
	s_wait_loadcnt 0x0
	v_cmp_le_i64_e32 vcc_lo, v[22:23], v[24:25]
	v_cmp_lt_i64_e64 s7, v[22:23], v[24:25]
	s_and_b32 s29, vcc_lo, s28
	s_delay_alu instid0(SALU_CYCLE_1) | instskip(NEXT) | instid1(SALU_CYCLE_1)
	s_or_b32 s7, s7, s29
	s_and_b32 s29, s7, exec_lo
	s_delay_alu instid0(SALU_CYCLE_1)
	s_or_b32 s27, s27, s29
	s_mov_b32 s29, exec_lo
	v_cmpx_eq_u64_e64 v[22:23], v[24:25]
	s_cbranch_execz .LBB505_1006
; %bb.1008:                             ;   in Loop: Header=BB505_1007 Depth=1
	s_add_nc_u64 s[8:9], s[8:9], -1
	v_add_nc_u64_e32 v[6:7], 8, v[6:7]
	s_cmp_eq_u64 s[8:9], 0
	v_add_nc_u64_e32 v[8:9], 8, v[8:9]
	s_cselect_b32 s28, -1, 0
	s_and_not1_b32 s23, s23, exec_lo
	s_and_b32 s28, s28, exec_lo
	s_and_not1_b32 s27, s27, exec_lo
	s_or_b32 s23, s23, s28
                                        ; implicit-def: $sgpr28
	s_branch .LBB505_1006
.LBB505_1009:
	s_or_b32 exec_lo, exec_lo, s15
	s_xor_b32 s7, s22, -1
	s_branch .LBB505_1011
.LBB505_1010:
	s_mov_b32 s7, -1
.LBB505_1011:
	s_delay_alu instid0(SALU_CYCLE_1)
	s_and_b32 s7, s7, exec_lo
.LBB505_1012:
	s_or_b32 exec_lo, exec_lo, s13
	s_delay_alu instid0(SALU_CYCLE_1)
	s_or_not1_b32 s13, s7, exec_lo
.LBB505_1013:
	s_or_b32 exec_lo, exec_lo, s14
	v_cndmask_b32_e64 v6, v12, v13, s13
	v_cndmask_b32_e64 v7, v48, v47, s13
	s_mov_b32 s15, -1
	s_mov_b32 s14, -1
	s_mov_b32 s22, exec_lo
	v_add_nc_u32_e32 v8, 1, v6
	s_delay_alu instid0(VALU_DEP_1) | instskip(SKIP_1) | instid1(VALU_DEP_2)
	v_add_min_u32_e64 v6, v7, -1, v8
	v_cndmask_b32_e64 v25, v13, v8, s13
	v_lshl_add_u32 v6, v6, 3, v43
	ds_load_b64 v[6:7], v6
	s_wait_dscnt 0x0
	v_dual_cndmask_b32 v24, v8, v12, s13 :: v_dual_cndmask_b32 v13, v7, v11, s13
	v_dual_cndmask_b32 v12, v6, v10, s13 :: v_dual_cndmask_b32 v23, v17, v7, s13
	v_cndmask_b32_e64 v22, v16, v6, s13
	s_delay_alu instid0(VALU_DEP_3)
	v_cmpx_lt_u32_e64 v24, v48
	s_cbranch_execz .LBB505_1024
; %bb.1014:
	s_mov_b32 s7, 0
	s_mov_b32 s14, exec_lo
	v_cmpx_lt_u32_e64 v25, v47
	s_cbranch_execz .LBB505_1023
; %bb.1015:
	s_and_not1_b32 vcc_lo, exec_lo, s26
	s_cbranch_vccnz .LBB505_1021
; %bb.1016:
	v_mul_u64_e32 v[6:7], s[16:17], v[12:13]
	v_mul_u64_e32 v[8:9], s[16:17], v[22:23]
	s_mov_b32 s23, 0
	s_mov_b64 s[8:9], s[16:17]
                                        ; implicit-def: $sgpr27
                                        ; implicit-def: $sgpr28
                                        ; implicit-def: $sgpr29
                                        ; implicit-def: $sgpr30
	s_delay_alu instid0(VALU_DEP_2) | instskip(NEXT) | instid1(VALU_DEP_2)
	v_lshl_add_u64 v[6:7], v[6:7], 3, s[18:19]
	v_lshl_add_u64 v[8:9], v[8:9], 3, s[18:19]
	s_branch .LBB505_1018
.LBB505_1017:                           ;   in Loop: Header=BB505_1018 Depth=1
	s_or_b32 exec_lo, exec_lo, s31
	s_delay_alu instid0(SALU_CYCLE_1) | instskip(NEXT) | instid1(SALU_CYCLE_1)
	s_and_b32 s31, exec_lo, s28
	s_or_b32 s23, s31, s23
	s_and_not1_b32 s30, s30, exec_lo
	s_and_b32 s7, s7, exec_lo
	s_and_not1_b32 s27, s27, exec_lo
	s_and_b32 s31, s29, exec_lo
	s_or_b32 s30, s30, s7
	s_or_b32 s27, s27, s31
	s_and_not1_b32 exec_lo, exec_lo, s23
	s_cbranch_execz .LBB505_1020
.LBB505_1018:                           ; =>This Inner Loop Header: Depth=1
	global_load_b64 v[26:27], v[6:7], off
	global_load_b64 v[28:29], v[8:9], off
	s_and_not1_b32 s29, s29, exec_lo
	s_or_b32 s28, s28, exec_lo
	s_wait_loadcnt 0x0
	v_cmp_le_i64_e32 vcc_lo, v[26:27], v[28:29]
	v_cmp_lt_i64_e64 s7, v[26:27], v[28:29]
	s_and_b32 s31, vcc_lo, s30
	s_delay_alu instid0(SALU_CYCLE_1) | instskip(NEXT) | instid1(SALU_CYCLE_1)
	s_or_b32 s7, s7, s31
	s_and_b32 s31, s7, exec_lo
	s_delay_alu instid0(SALU_CYCLE_1)
	s_or_b32 s29, s29, s31
	s_mov_b32 s31, exec_lo
	v_cmpx_eq_u64_e64 v[26:27], v[28:29]
	s_cbranch_execz .LBB505_1017
; %bb.1019:                             ;   in Loop: Header=BB505_1018 Depth=1
	s_add_nc_u64 s[8:9], s[8:9], -1
	v_add_nc_u64_e32 v[6:7], 8, v[6:7]
	s_cmp_eq_u64 s[8:9], 0
	v_add_nc_u64_e32 v[8:9], 8, v[8:9]
	s_cselect_b32 s30, -1, 0
	s_and_not1_b32 s28, s28, exec_lo
	s_and_b32 s30, s30, exec_lo
	s_and_not1_b32 s29, s29, exec_lo
	s_or_b32 s28, s28, s30
                                        ; implicit-def: $sgpr30
	s_branch .LBB505_1017
.LBB505_1020:
	s_or_b32 exec_lo, exec_lo, s23
	s_xor_b32 s7, s27, -1
	s_branch .LBB505_1022
.LBB505_1021:
	s_mov_b32 s7, -1
.LBB505_1022:
	s_delay_alu instid0(SALU_CYCLE_1)
	s_and_b32 s7, s7, exec_lo
.LBB505_1023:
	s_or_b32 exec_lo, exec_lo, s14
	s_delay_alu instid0(SALU_CYCLE_1)
	s_or_not1_b32 s14, s7, exec_lo
.LBB505_1024:
	s_or_b32 exec_lo, exec_lo, s22
	v_cndmask_b32_e64 v6, v24, v25, s14
	v_cndmask_b32_e64 v7, v48, v47, s14
	s_mov_b32 s22, exec_lo
	s_delay_alu instid0(VALU_DEP_2) | instskip(NEXT) | instid1(VALU_DEP_1)
	v_add_nc_u32_e32 v6, 1, v6
	v_add_min_u32_e64 v7, v7, -1, v6
	v_dual_cndmask_b32 v28, v6, v24, s14 :: v_dual_cndmask_b32 v29, v25, v6, s14
	s_delay_alu instid0(VALU_DEP_2)
	v_lshl_add_u32 v7, v7, 3, v43
	ds_load_b64 v[8:9], v7
	s_wait_dscnt 0x0
	v_dual_cndmask_b32 v7, v9, v13, s14 :: v_dual_cndmask_b32 v6, v8, v12, s14
	v_dual_cndmask_b32 v25, v23, v9, s14 :: v_dual_cndmask_b32 v24, v22, v8, s14
	v_cmpx_lt_u32_e64 v28, v48
	s_cbranch_execz .LBB505_1035
; %bb.1025:
	s_mov_b32 s7, 0
	s_mov_b32 s15, exec_lo
	v_cmpx_lt_u32_e64 v29, v47
	s_cbranch_execz .LBB505_1034
; %bb.1026:
	s_and_not1_b32 vcc_lo, exec_lo, s26
	s_cbranch_vccnz .LBB505_1032
; %bb.1027:
	v_mul_u64_e32 v[8:9], s[16:17], v[6:7]
	v_mul_u64_e32 v[26:27], s[16:17], v[24:25]
	s_mov_b32 s23, 0
	s_mov_b64 s[8:9], s[16:17]
                                        ; implicit-def: $sgpr27
                                        ; implicit-def: $sgpr28
                                        ; implicit-def: $sgpr29
                                        ; implicit-def: $sgpr30
	s_delay_alu instid0(VALU_DEP_2) | instskip(NEXT) | instid1(VALU_DEP_2)
	v_lshl_add_u64 v[8:9], v[8:9], 3, s[18:19]
	v_lshl_add_u64 v[26:27], v[26:27], 3, s[18:19]
	s_branch .LBB505_1029
.LBB505_1028:                           ;   in Loop: Header=BB505_1029 Depth=1
	s_or_b32 exec_lo, exec_lo, s31
	s_delay_alu instid0(SALU_CYCLE_1) | instskip(NEXT) | instid1(SALU_CYCLE_1)
	s_and_b32 s31, exec_lo, s28
	s_or_b32 s23, s31, s23
	s_and_not1_b32 s30, s30, exec_lo
	s_and_b32 s7, s7, exec_lo
	s_and_not1_b32 s27, s27, exec_lo
	s_and_b32 s31, s29, exec_lo
	s_or_b32 s30, s30, s7
	s_or_b32 s27, s27, s31
	s_and_not1_b32 exec_lo, exec_lo, s23
	s_cbranch_execz .LBB505_1031
.LBB505_1029:                           ; =>This Inner Loop Header: Depth=1
	global_load_b64 v[30:31], v[8:9], off
	global_load_b64 v[32:33], v[26:27], off
	s_and_not1_b32 s29, s29, exec_lo
	s_or_b32 s28, s28, exec_lo
	s_wait_loadcnt 0x0
	v_cmp_le_i64_e32 vcc_lo, v[30:31], v[32:33]
	v_cmp_lt_i64_e64 s7, v[30:31], v[32:33]
	s_and_b32 s31, vcc_lo, s30
	s_delay_alu instid0(SALU_CYCLE_1) | instskip(NEXT) | instid1(SALU_CYCLE_1)
	s_or_b32 s7, s7, s31
	s_and_b32 s31, s7, exec_lo
	s_delay_alu instid0(SALU_CYCLE_1)
	s_or_b32 s29, s29, s31
	s_mov_b32 s31, exec_lo
	v_cmpx_eq_u64_e64 v[30:31], v[32:33]
	s_cbranch_execz .LBB505_1028
; %bb.1030:                             ;   in Loop: Header=BB505_1029 Depth=1
	s_add_nc_u64 s[8:9], s[8:9], -1
	v_add_nc_u64_e32 v[8:9], 8, v[8:9]
	s_cmp_eq_u64 s[8:9], 0
	v_add_nc_u64_e32 v[26:27], 8, v[26:27]
	s_cselect_b32 s30, -1, 0
	s_and_not1_b32 s28, s28, exec_lo
	s_and_b32 s30, s30, exec_lo
	s_and_not1_b32 s29, s29, exec_lo
	s_or_b32 s28, s28, s30
                                        ; implicit-def: $sgpr30
	s_branch .LBB505_1028
.LBB505_1031:
	s_or_b32 exec_lo, exec_lo, s23
	s_xor_b32 s7, s27, -1
	s_branch .LBB505_1033
.LBB505_1032:
	s_mov_b32 s7, -1
.LBB505_1033:
	s_delay_alu instid0(SALU_CYCLE_1)
	s_and_b32 s7, s7, exec_lo
.LBB505_1034:
	s_or_b32 exec_lo, exec_lo, s15
	s_delay_alu instid0(SALU_CYCLE_1)
	s_or_not1_b32 s15, s7, exec_lo
.LBB505_1035:
	s_or_b32 exec_lo, exec_lo, s22
	v_cndmask_b32_e64 v8, v28, v29, s15
	v_cndmask_b32_e64 v9, v48, v47, s15
	s_mov_b32 s22, -1
	s_mov_b32 s23, -1
	s_mov_b32 s27, exec_lo
	v_add_nc_u32_e32 v8, 1, v8
	s_delay_alu instid0(VALU_DEP_1) | instskip(NEXT) | instid1(VALU_DEP_1)
	v_add_min_u32_e64 v9, v9, -1, v8
	v_lshl_add_u32 v9, v9, 3, v43
	ds_load_b64 v[26:27], v9
	v_cndmask_b32_e64 v32, v8, v28, s15
	s_wait_dscnt 0x0
	v_dual_cndmask_b32 v33, v29, v8, s15 :: v_dual_cndmask_b32 v9, v27, v7, s15
	v_dual_cndmask_b32 v8, v26, v6, s15 :: v_dual_cndmask_b32 v27, v25, v27, s15
	v_cndmask_b32_e64 v26, v24, v26, s15
	v_cmpx_lt_u32_e64 v32, v48
	s_cbranch_execz .LBB505_1046
; %bb.1036:
	s_mov_b32 s7, 0
	s_mov_b32 s23, exec_lo
	v_cmpx_lt_u32_e64 v33, v47
	s_cbranch_execz .LBB505_1045
; %bb.1037:
	s_and_not1_b32 vcc_lo, exec_lo, s26
	s_cbranch_vccnz .LBB505_1043
; %bb.1038:
	v_mul_u64_e32 v[28:29], s[16:17], v[8:9]
	v_mul_u64_e32 v[30:31], s[16:17], v[26:27]
	s_mov_b32 s28, 0
	s_mov_b64 s[8:9], s[16:17]
                                        ; implicit-def: $sgpr29
                                        ; implicit-def: $sgpr30
                                        ; implicit-def: $sgpr31
                                        ; implicit-def: $sgpr33
	s_delay_alu instid0(VALU_DEP_2) | instskip(NEXT) | instid1(VALU_DEP_2)
	v_lshl_add_u64 v[28:29], v[28:29], 3, s[18:19]
	v_lshl_add_u64 v[30:31], v[30:31], 3, s[18:19]
	s_branch .LBB505_1040
.LBB505_1039:                           ;   in Loop: Header=BB505_1040 Depth=1
	s_or_b32 exec_lo, exec_lo, s34
	s_delay_alu instid0(SALU_CYCLE_1) | instskip(NEXT) | instid1(SALU_CYCLE_1)
	s_and_b32 s34, exec_lo, s30
	s_or_b32 s28, s34, s28
	s_and_not1_b32 s33, s33, exec_lo
	s_and_b32 s7, s7, exec_lo
	s_and_not1_b32 s29, s29, exec_lo
	s_and_b32 s34, s31, exec_lo
	s_or_b32 s33, s33, s7
	s_or_b32 s29, s29, s34
	s_and_not1_b32 exec_lo, exec_lo, s28
	s_cbranch_execz .LBB505_1042
.LBB505_1040:                           ; =>This Inner Loop Header: Depth=1
	global_load_b64 v[34:35], v[28:29], off
	global_load_b64 v[50:51], v[30:31], off
	s_and_not1_b32 s31, s31, exec_lo
	s_or_b32 s30, s30, exec_lo
	s_wait_loadcnt 0x0
	v_cmp_le_i64_e32 vcc_lo, v[34:35], v[50:51]
	v_cmp_lt_i64_e64 s7, v[34:35], v[50:51]
	s_and_b32 s34, vcc_lo, s33
	s_delay_alu instid0(SALU_CYCLE_1) | instskip(NEXT) | instid1(SALU_CYCLE_1)
	s_or_b32 s7, s7, s34
	s_and_b32 s34, s7, exec_lo
	s_delay_alu instid0(SALU_CYCLE_1)
	s_or_b32 s31, s31, s34
	s_mov_b32 s34, exec_lo
	v_cmpx_eq_u64_e64 v[34:35], v[50:51]
	s_cbranch_execz .LBB505_1039
; %bb.1041:                             ;   in Loop: Header=BB505_1040 Depth=1
	s_add_nc_u64 s[8:9], s[8:9], -1
	v_add_nc_u64_e32 v[28:29], 8, v[28:29]
	s_cmp_eq_u64 s[8:9], 0
	v_add_nc_u64_e32 v[30:31], 8, v[30:31]
	s_cselect_b32 s33, -1, 0
	s_and_not1_b32 s30, s30, exec_lo
	s_and_b32 s33, s33, exec_lo
	s_and_not1_b32 s31, s31, exec_lo
	s_or_b32 s30, s30, s33
                                        ; implicit-def: $sgpr33
	s_branch .LBB505_1039
.LBB505_1042:
	s_or_b32 exec_lo, exec_lo, s28
	s_xor_b32 s7, s29, -1
	s_branch .LBB505_1044
.LBB505_1043:
	s_mov_b32 s7, -1
.LBB505_1044:
	s_delay_alu instid0(SALU_CYCLE_1)
	s_and_b32 s7, s7, exec_lo
.LBB505_1045:
	s_or_b32 exec_lo, exec_lo, s23
	s_delay_alu instid0(SALU_CYCLE_1)
	s_or_not1_b32 s23, s7, exec_lo
.LBB505_1046:
	s_or_b32 exec_lo, exec_lo, s27
	v_cndmask_b32_e64 v28, v32, v33, s23
	v_cndmask_b32_e64 v29, v48, v47, s23
	s_mov_b32 s27, exec_lo
	s_delay_alu instid0(VALU_DEP_2) | instskip(NEXT) | instid1(VALU_DEP_1)
	v_add_nc_u32_e32 v28, 1, v28
	v_add_min_u32_e64 v29, v29, -1, v28
	s_delay_alu instid0(VALU_DEP_1)
	v_lshl_add_u32 v29, v29, 3, v43
	ds_load_b64 v[30:31], v29
	v_cndmask_b32_e64 v50, v28, v32, s23
	s_wait_dscnt 0x0
	v_dual_cndmask_b32 v49, v33, v28, s23 :: v_dual_cndmask_b32 v29, v31, v9, s23
	v_dual_cndmask_b32 v28, v30, v8, s23 :: v_dual_cndmask_b32 v31, v27, v31, s23
	v_cndmask_b32_e64 v30, v26, v30, s23
	v_cmpx_lt_u32_e64 v50, v48
	s_cbranch_execz .LBB505_1057
; %bb.1047:
	s_mov_b32 s7, 0
	s_mov_b32 s22, exec_lo
	v_cmpx_lt_u32_e64 v49, v47
	s_cbranch_execz .LBB505_1056
; %bb.1048:
	s_and_not1_b32 vcc_lo, exec_lo, s26
	s_cbranch_vccnz .LBB505_1054
; %bb.1049:
	v_mul_u64_e32 v[32:33], s[16:17], v[28:29]
	v_mul_u64_e32 v[34:35], s[16:17], v[30:31]
	s_mov_b32 s28, 0
	s_mov_b64 s[8:9], s[16:17]
                                        ; implicit-def: $sgpr29
                                        ; implicit-def: $sgpr30
                                        ; implicit-def: $sgpr31
                                        ; implicit-def: $sgpr33
	s_delay_alu instid0(VALU_DEP_2) | instskip(NEXT) | instid1(VALU_DEP_2)
	v_lshl_add_u64 v[32:33], v[32:33], 3, s[18:19]
	v_lshl_add_u64 v[34:35], v[34:35], 3, s[18:19]
	s_branch .LBB505_1051
.LBB505_1050:                           ;   in Loop: Header=BB505_1051 Depth=1
	s_or_b32 exec_lo, exec_lo, s34
	s_delay_alu instid0(SALU_CYCLE_1) | instskip(NEXT) | instid1(SALU_CYCLE_1)
	s_and_b32 s34, exec_lo, s30
	s_or_b32 s28, s34, s28
	s_and_not1_b32 s33, s33, exec_lo
	s_and_b32 s7, s7, exec_lo
	s_and_not1_b32 s29, s29, exec_lo
	s_and_b32 s34, s31, exec_lo
	s_or_b32 s33, s33, s7
	s_or_b32 s29, s29, s34
	s_and_not1_b32 exec_lo, exec_lo, s28
	s_cbranch_execz .LBB505_1053
.LBB505_1051:                           ; =>This Inner Loop Header: Depth=1
	global_load_b64 v[52:53], v[32:33], off
	global_load_b64 v[54:55], v[34:35], off
	s_and_not1_b32 s31, s31, exec_lo
	s_or_b32 s30, s30, exec_lo
	s_wait_loadcnt 0x0
	v_cmp_le_i64_e32 vcc_lo, v[52:53], v[54:55]
	v_cmp_lt_i64_e64 s7, v[52:53], v[54:55]
	s_and_b32 s34, vcc_lo, s33
	s_delay_alu instid0(SALU_CYCLE_1) | instskip(NEXT) | instid1(SALU_CYCLE_1)
	s_or_b32 s7, s7, s34
	s_and_b32 s34, s7, exec_lo
	s_delay_alu instid0(SALU_CYCLE_1)
	s_or_b32 s31, s31, s34
	s_mov_b32 s34, exec_lo
	v_cmpx_eq_u64_e64 v[52:53], v[54:55]
	s_cbranch_execz .LBB505_1050
; %bb.1052:                             ;   in Loop: Header=BB505_1051 Depth=1
	s_add_nc_u64 s[8:9], s[8:9], -1
	v_add_nc_u64_e32 v[32:33], 8, v[32:33]
	s_cmp_eq_u64 s[8:9], 0
	v_add_nc_u64_e32 v[34:35], 8, v[34:35]
	s_cselect_b32 s33, -1, 0
	s_and_not1_b32 s30, s30, exec_lo
	s_and_b32 s33, s33, exec_lo
	s_and_not1_b32 s31, s31, exec_lo
	s_or_b32 s30, s30, s33
                                        ; implicit-def: $sgpr33
	s_branch .LBB505_1050
.LBB505_1053:
	s_or_b32 exec_lo, exec_lo, s28
	s_xor_b32 s7, s29, -1
	s_branch .LBB505_1055
.LBB505_1054:
	s_mov_b32 s7, -1
.LBB505_1055:
	s_delay_alu instid0(SALU_CYCLE_1)
	s_and_b32 s7, s7, exec_lo
.LBB505_1056:
	s_or_b32 exec_lo, exec_lo, s22
	s_delay_alu instid0(SALU_CYCLE_1)
	s_or_not1_b32 s22, s7, exec_lo
.LBB505_1057:
	s_or_b32 exec_lo, exec_lo, s27
	v_dual_cndmask_b32 v32, v50, v49, s22 :: v_dual_cndmask_b32 v33, v48, v47, s22
	v_dual_cndmask_b32 v8, v8, v26, s23 :: v_dual_cndmask_b32 v7, v7, v25, s15
	;; [unrolled: 1-line block ×3, first 2 shown]
	s_delay_alu instid0(VALU_DEP_3) | instskip(SKIP_2) | instid1(VALU_DEP_3)
	v_dual_add_nc_u32 v34, 1, v32 :: v_dual_cndmask_b32 v9, v9, v27, s23
	v_dual_cndmask_b32 v12, v12, v22, s14 :: v_dual_cndmask_b32 v11, v11, v17, s13
	v_dual_cndmask_b32 v10, v10, v16, s13 :: v_dual_cndmask_b32 v17, v5, v15, s12
	v_add_min_u32_e64 v32, v33, -1, v34
	v_dual_cndmask_b32 v16, v4, v14, s12 :: v_dual_cndmask_b32 v15, v3, v1, s11
	v_dual_cndmask_b32 v14, v2, v0, s11 :: v_dual_cndmask_b32 v3, v29, v31, s22
	s_delay_alu instid0(VALU_DEP_3)
	v_lshl_add_u32 v32, v32, 3, v43
	s_mov_b32 s11, exec_lo
	ds_load_b64 v[32:33], v32
	v_cndmask_b32_e64 v0, v34, v50, s22
	s_wait_dscnt 0x0
	v_dual_cndmask_b32 v2, v28, v30, s22 :: v_dual_cndmask_b32 v4, v30, v32, s22
	v_cndmask_b32_e64 v5, v31, v33, s22
	s_delay_alu instid0(VALU_DEP_3)
	v_cmpx_lt_u32_e64 v0, v48
	s_cbranch_execz .LBB505_1067
; %bb.1058:
	v_dual_cndmask_b32 v22, v49, v34, s22 :: v_dual_cndmask_b32 v0, v32, v28, s22
	v_cndmask_b32_e64 v1, v33, v29, s22
	s_mov_b32 s12, exec_lo
	s_delay_alu instid0(VALU_DEP_2)
	v_cmpx_lt_u32_e64 v22, v47
	s_cbranch_execz .LBB505_1066
; %bb.1059:
	s_and_not1_b32 vcc_lo, exec_lo, s26
	s_cbranch_vccnz .LBB505_1065
; %bb.1060:
	v_mul_u64_e32 v[22:23], s[16:17], v[0:1]
	v_mul_u64_e32 v[24:25], s[16:17], v[4:5]
	s_mov_b32 s13, 0
	s_mov_b64 s[8:9], s[16:17]
                                        ; implicit-def: $sgpr14
                                        ; implicit-def: $sgpr15
                                        ; implicit-def: $sgpr22
                                        ; implicit-def: $sgpr23
	s_delay_alu instid0(VALU_DEP_2) | instskip(NEXT) | instid1(VALU_DEP_2)
	v_lshl_add_u64 v[22:23], v[22:23], 3, s[18:19]
	v_lshl_add_u64 v[24:25], v[24:25], 3, s[18:19]
	s_branch .LBB505_1062
.LBB505_1061:                           ;   in Loop: Header=BB505_1062 Depth=1
	s_or_b32 exec_lo, exec_lo, s27
	s_delay_alu instid0(SALU_CYCLE_1) | instskip(NEXT) | instid1(SALU_CYCLE_1)
	s_and_b32 s27, exec_lo, s15
	s_or_b32 s13, s27, s13
	s_and_not1_b32 s23, s23, exec_lo
	s_and_b32 s7, s7, exec_lo
	s_and_not1_b32 s14, s14, exec_lo
	s_and_b32 s27, s22, exec_lo
	s_or_b32 s23, s23, s7
	s_or_b32 s14, s14, s27
	s_and_not1_b32 exec_lo, exec_lo, s13
	s_cbranch_execz .LBB505_1064
.LBB505_1062:                           ; =>This Inner Loop Header: Depth=1
	global_load_b64 v[26:27], v[22:23], off
	global_load_b64 v[28:29], v[24:25], off
	s_and_not1_b32 s22, s22, exec_lo
	s_or_b32 s15, s15, exec_lo
	s_wait_loadcnt 0x0
	v_cmp_le_i64_e32 vcc_lo, v[26:27], v[28:29]
	v_cmp_lt_i64_e64 s7, v[26:27], v[28:29]
	s_and_b32 s27, vcc_lo, s23
	s_delay_alu instid0(SALU_CYCLE_1) | instskip(NEXT) | instid1(SALU_CYCLE_1)
	s_or_b32 s7, s7, s27
	s_and_b32 s27, s7, exec_lo
	s_delay_alu instid0(SALU_CYCLE_1)
	s_or_b32 s22, s22, s27
	s_mov_b32 s27, exec_lo
	v_cmpx_eq_u64_e64 v[26:27], v[28:29]
	s_cbranch_execz .LBB505_1061
; %bb.1063:                             ;   in Loop: Header=BB505_1062 Depth=1
	s_add_nc_u64 s[8:9], s[8:9], -1
	v_add_nc_u64_e32 v[22:23], 8, v[22:23]
	s_cmp_eq_u64 s[8:9], 0
	v_add_nc_u64_e32 v[24:25], 8, v[24:25]
	s_cselect_b32 s23, -1, 0
	s_and_not1_b32 s15, s15, exec_lo
	s_and_b32 s23, s23, exec_lo
	s_and_not1_b32 s22, s22, exec_lo
	s_or_b32 s15, s15, s23
                                        ; implicit-def: $sgpr23
	s_branch .LBB505_1061
.LBB505_1064:
	s_or_b32 exec_lo, exec_lo, s13
	v_dual_cndmask_b32 v5, v5, v1, s14 :: v_dual_cndmask_b32 v4, v4, v0, s14
.LBB505_1065:
	s_delay_alu instid0(VALU_DEP_1)
	v_mov_b64_e32 v[0:1], v[4:5]
.LBB505_1066:
	s_or_b32 exec_lo, exec_lo, s12
	s_delay_alu instid0(VALU_DEP_1)
	v_mov_b64_e32 v[4:5], v[0:1]
.LBB505_1067:
	s_or_b32 exec_lo, exec_lo, s11
.LBB505_1068:
	s_delay_alu instid0(SALU_CYCLE_1)
	s_or_b32 exec_lo, exec_lo, s10
	v_and_b32_e32 v26, 0xe0, v45
	s_mov_b32 s12, exec_lo
	; wave barrier
	ds_store_b128 v46, v[14:17]
	ds_store_b128 v46, v[10:13] offset:16
	v_or_b32_e32 v0, 16, v26
	v_lshl_add_u32 v25, v26, 3, v43
	ds_store_b128 v46, v[6:9] offset:32
	ds_store_b128 v46, v[2:5] offset:48
	; wave barrier
	v_min_u32_e32 v47, v44, v0
	v_and_b32_e32 v0, 24, v45
	s_delay_alu instid0(VALU_DEP_2) | instskip(NEXT) | instid1(VALU_DEP_2)
	v_add_min_u32_e64 v48, v47, 16, v44
	v_min_u32_e32 v27, v44, v0
	s_delay_alu instid0(VALU_DEP_2) | instskip(NEXT) | instid1(VALU_DEP_1)
	v_dual_sub_nc_u32 v1, v47, v26 :: v_dual_sub_nc_u32 v0, v48, v47
	v_min_u32_e32 v28, v27, v1
	s_delay_alu instid0(VALU_DEP_2) | instskip(NEXT) | instid1(VALU_DEP_1)
	v_sub_nc_u32_e64 v24, v27, v0 clamp
	v_cmpx_lt_u32_e64 v24, v28
	s_cbranch_execz .LBB505_1078
; %bb.1069:
	v_lshlrev_b32_e32 v0, 3, v47
	v_lshlrev_b32_e32 v1, 3, v27
	s_lshl_b64 s[8:9], s[16:17], 3
	s_mov_b32 s13, 0
	s_delay_alu instid0(VALU_DEP_1)
	v_add3_u32 v29, v43, v0, v1
	s_branch .LBB505_1072
.LBB505_1070:                           ;   in Loop: Header=BB505_1072 Depth=1
	s_or_b32 exec_lo, exec_lo, s15
.LBB505_1071:                           ;   in Loop: Header=BB505_1072 Depth=1
	s_delay_alu instid0(VALU_DEP_1) | instskip(NEXT) | instid1(VALU_DEP_1)
	v_dual_add_nc_u32 v0, 1, v30 :: v_dual_cndmask_b32 v28, v28, v30, s14
	v_cndmask_b32_e64 v24, v0, v24, s14
	s_delay_alu instid0(VALU_DEP_1) | instskip(SKIP_1) | instid1(SALU_CYCLE_1)
	v_cmp_ge_u32_e32 vcc_lo, v24, v28
	s_or_b32 s13, vcc_lo, s13
	s_and_not1_b32 exec_lo, exec_lo, s13
	s_cbranch_execz .LBB505_1077
.LBB505_1072:                           ; =>This Loop Header: Depth=1
                                        ;     Child Loop BB505_1075 Depth 2
	v_add_nc_u32_e32 v0, v28, v24
	s_and_not1_b32 vcc_lo, exec_lo, s26
	s_mov_b32 s14, 0
	s_delay_alu instid0(VALU_DEP_1)
	v_lshrrev_b32_e32 v30, 1, v0
	s_cbranch_vccnz .LBB505_1071
; %bb.1073:                             ;   in Loop: Header=BB505_1072 Depth=1
	s_delay_alu instid0(VALU_DEP_1) | instskip(SKIP_3) | instid1(VALU_DEP_2)
	v_not_b32_e32 v0, v30
	v_lshl_add_u32 v1, v30, 3, v25
	s_mov_b32 s15, 0
	s_mov_b64 s[10:11], s[16:17]
                                        ; implicit-def: $sgpr14
                                        ; implicit-def: $sgpr22
                                        ; implicit-def: $sgpr23
                                        ; implicit-def: $sgpr27
	v_lshl_add_u32 v0, v0, 3, v29
	ds_load_b64 v[32:33], v0
	ds_load_b64 v[34:35], v1
	s_wait_dscnt 0x1
	v_mad_nc_u64_u32 v[0:1], s8, v32, s[18:19]
	s_wait_dscnt 0x0
	v_mad_nc_u64_u32 v[22:23], s8, v34, s[18:19]
	s_delay_alu instid0(VALU_DEP_2) | instskip(NEXT) | instid1(VALU_DEP_2)
	v_mad_u32 v1, s9, v32, v1
	v_mad_u32 v23, s9, v34, v23
	s_delay_alu instid0(VALU_DEP_2) | instskip(NEXT) | instid1(VALU_DEP_2)
	v_mad_u32 v1, s8, v33, v1
	v_mad_u32 v23, s8, v35, v23
	s_branch .LBB505_1075
.LBB505_1074:                           ;   in Loop: Header=BB505_1075 Depth=2
	s_or_b32 exec_lo, exec_lo, s28
	s_delay_alu instid0(SALU_CYCLE_1) | instskip(NEXT) | instid1(SALU_CYCLE_1)
	s_and_b32 s28, exec_lo, s22
	s_or_b32 s15, s28, s15
	s_and_not1_b32 s27, s27, exec_lo
	s_and_b32 s7, s7, exec_lo
	s_and_not1_b32 s14, s14, exec_lo
	s_and_b32 s28, s23, exec_lo
	s_or_b32 s27, s27, s7
	s_or_b32 s14, s14, s28
	s_and_not1_b32 exec_lo, exec_lo, s15
	s_cbranch_execz .LBB505_1070
.LBB505_1075:                           ;   Parent Loop BB505_1072 Depth=1
                                        ; =>  This Inner Loop Header: Depth=2
	global_load_b64 v[32:33], v[0:1], off
	global_load_b64 v[34:35], v[22:23], off
	s_and_not1_b32 s23, s23, exec_lo
	s_or_b32 s22, s22, exec_lo
	s_wait_loadcnt 0x0
	v_cmp_le_i64_e32 vcc_lo, v[32:33], v[34:35]
	v_cmp_lt_i64_e64 s7, v[32:33], v[34:35]
	s_and_b32 s28, vcc_lo, s27
	s_delay_alu instid0(SALU_CYCLE_1) | instskip(NEXT) | instid1(SALU_CYCLE_1)
	s_or_b32 s7, s7, s28
	s_and_b32 s28, s7, exec_lo
	s_delay_alu instid0(SALU_CYCLE_1)
	s_or_b32 s23, s23, s28
	s_mov_b32 s28, exec_lo
	v_cmpx_eq_u64_e64 v[32:33], v[34:35]
	s_cbranch_execz .LBB505_1074
; %bb.1076:                             ;   in Loop: Header=BB505_1075 Depth=2
	s_add_nc_u64 s[10:11], s[10:11], -1
	v_add_nc_u64_e32 v[0:1], 8, v[0:1]
	s_cmp_eq_u64 s[10:11], 0
	v_add_nc_u64_e32 v[22:23], 8, v[22:23]
	s_cselect_b32 s27, -1, 0
	s_and_not1_b32 s22, s22, exec_lo
	s_and_b32 s27, s27, exec_lo
	s_and_not1_b32 s23, s23, exec_lo
	s_or_b32 s22, s22, s27
                                        ; implicit-def: $sgpr27
	s_branch .LBB505_1074
.LBB505_1077:
	s_or_b32 exec_lo, exec_lo, s13
.LBB505_1078:
	s_delay_alu instid0(SALU_CYCLE_1) | instskip(SKIP_1) | instid1(VALU_DEP_1)
	s_or_b32 exec_lo, exec_lo, s12
	v_dual_add_nc_u32 v0, v47, v27 :: v_dual_add_nc_u32 v22, v24, v26
	v_sub_nc_u32_e32 v23, v0, v24
	s_delay_alu instid0(VALU_DEP_2) | instskip(NEXT) | instid1(VALU_DEP_2)
	v_cmp_le_u32_e32 vcc_lo, v22, v47
	v_cmp_le_u32_e64 s7, v23, v48
	s_or_b32 s7, vcc_lo, s7
	s_delay_alu instid0(SALU_CYCLE_1)
	s_and_saveexec_b32 s10, s7
	s_cbranch_execz .LBB505_1169
; %bb.1079:
	s_mov_b32 s8, exec_lo
	v_cmp_ge_u32_e32 vcc_lo, v22, v47
                                        ; implicit-def: $vgpr0_vgpr1
	v_cmpx_lt_u32_e64 v22, v47
; %bb.1080:
	v_lshl_add_u32 v0, v24, 3, v25
	ds_load_b64 v[0:1], v0
; %bb.1081:
	s_or_b32 exec_lo, exec_lo, s8
	v_cmp_ge_u32_e64 s11, v23, v48
	s_mov_b32 s8, exec_lo
                                        ; implicit-def: $vgpr2_vgpr3
	v_cmpx_lt_u32_e64 v23, v48
; %bb.1082:
	v_lshl_add_u32 v2, v23, 3, v43
	ds_load_b64 v[2:3], v2
; %bb.1083:
	s_or_b32 exec_lo, exec_lo, s8
	s_nor_b32 s7, vcc_lo, s11
	s_delay_alu instid0(SALU_CYCLE_1)
	s_and_saveexec_b32 s12, s7
	s_cbranch_execz .LBB505_1092
; %bb.1084:
	s_and_not1_b32 vcc_lo, exec_lo, s26
	s_cbranch_vccnz .LBB505_1090
; %bb.1085:
	s_wait_dscnt 0x0
	v_mul_u64_e32 v[4:5], s[16:17], v[2:3]
	v_mul_u64_e32 v[6:7], s[16:17], v[0:1]
	s_mov_b32 s13, 0
	s_mov_b64 s[8:9], s[16:17]
                                        ; implicit-def: $sgpr14
                                        ; implicit-def: $sgpr15
                                        ; implicit-def: $sgpr22
                                        ; implicit-def: $sgpr23
	s_delay_alu instid0(VALU_DEP_2) | instskip(NEXT) | instid1(VALU_DEP_2)
	v_lshl_add_u64 v[4:5], v[4:5], 3, s[18:19]
	v_lshl_add_u64 v[6:7], v[6:7], 3, s[18:19]
	s_branch .LBB505_1087
.LBB505_1086:                           ;   in Loop: Header=BB505_1087 Depth=1
	s_or_b32 exec_lo, exec_lo, s27
	s_delay_alu instid0(SALU_CYCLE_1) | instskip(NEXT) | instid1(SALU_CYCLE_1)
	s_and_b32 s27, exec_lo, s15
	s_or_b32 s13, s27, s13
	s_and_not1_b32 s23, s23, exec_lo
	s_and_b32 s7, s7, exec_lo
	s_and_not1_b32 s14, s14, exec_lo
	s_and_b32 s27, s22, exec_lo
	s_or_b32 s23, s23, s7
	s_or_b32 s14, s14, s27
	s_and_not1_b32 exec_lo, exec_lo, s13
	s_cbranch_execz .LBB505_1089
.LBB505_1087:                           ; =>This Inner Loop Header: Depth=1
	global_load_b64 v[8:9], v[4:5], off
	global_load_b64 v[10:11], v[6:7], off
	s_and_not1_b32 s22, s22, exec_lo
	s_or_b32 s15, s15, exec_lo
	s_wait_loadcnt 0x0
	v_cmp_le_i64_e32 vcc_lo, v[8:9], v[10:11]
	v_cmp_lt_i64_e64 s7, v[8:9], v[10:11]
	s_and_b32 s27, vcc_lo, s23
	s_delay_alu instid0(SALU_CYCLE_1) | instskip(NEXT) | instid1(SALU_CYCLE_1)
	s_or_b32 s7, s7, s27
	s_and_b32 s27, s7, exec_lo
	s_delay_alu instid0(SALU_CYCLE_1)
	s_or_b32 s22, s22, s27
	s_mov_b32 s27, exec_lo
	v_cmpx_eq_u64_e64 v[8:9], v[10:11]
	s_cbranch_execz .LBB505_1086
; %bb.1088:                             ;   in Loop: Header=BB505_1087 Depth=1
	s_add_nc_u64 s[8:9], s[8:9], -1
	v_add_nc_u64_e32 v[4:5], 8, v[4:5]
	s_cmp_eq_u64 s[8:9], 0
	v_add_nc_u64_e32 v[6:7], 8, v[6:7]
	s_cselect_b32 s23, -1, 0
	s_and_not1_b32 s15, s15, exec_lo
	s_and_b32 s23, s23, exec_lo
	s_and_not1_b32 s22, s22, exec_lo
	s_or_b32 s15, s15, s23
                                        ; implicit-def: $sgpr23
	s_branch .LBB505_1086
.LBB505_1089:
	s_or_b32 exec_lo, exec_lo, s13
	s_xor_b32 s7, s14, -1
	s_branch .LBB505_1091
.LBB505_1090:
	s_mov_b32 s7, -1
.LBB505_1091:
	s_and_not1_b32 s8, s11, exec_lo
	s_and_b32 s7, s7, exec_lo
	s_delay_alu instid0(SALU_CYCLE_1)
	s_or_b32 s11, s8, s7
.LBB505_1092:
	s_or_b32 exec_lo, exec_lo, s12
	v_dual_cndmask_b32 v4, v23, v22, s11 :: v_dual_cndmask_b32 v5, v48, v47, s11
	s_mov_b32 s13, -1
	s_mov_b32 s12, -1
	s_mov_b32 s14, exec_lo
	s_delay_alu instid0(VALU_DEP_1) | instskip(NEXT) | instid1(VALU_DEP_1)
	v_add_nc_u32_e32 v4, 1, v4
	v_add_min_u32_e64 v5, v5, -1, v4
	s_delay_alu instid0(VALU_DEP_1)
	v_lshl_add_u32 v5, v5, 3, v43
	ds_load_b64 v[6:7], v5
	s_wait_dscnt 0x0
	v_cndmask_b32_e64 v5, v7, v3, s11
	v_dual_cndmask_b32 v10, v4, v23, s11 :: v_dual_cndmask_b32 v11, v22, v4, s11
	v_dual_cndmask_b32 v4, v6, v2, s11 :: v_dual_cndmask_b32 v15, v1, v7, s11
	v_cndmask_b32_e64 v14, v0, v6, s11
	s_delay_alu instid0(VALU_DEP_3)
	v_cmpx_lt_u32_e64 v10, v48
	s_cbranch_execz .LBB505_1103
; %bb.1093:
	s_mov_b32 s7, 0
	s_mov_b32 s12, exec_lo
	v_cmpx_lt_u32_e64 v11, v47
	s_cbranch_execz .LBB505_1102
; %bb.1094:
	s_and_not1_b32 vcc_lo, exec_lo, s26
	s_cbranch_vccnz .LBB505_1100
; %bb.1095:
	v_mul_u64_e32 v[6:7], s[16:17], v[4:5]
	v_mul_u64_e32 v[8:9], s[16:17], v[14:15]
	s_mov_b32 s15, 0
	s_mov_b64 s[8:9], s[16:17]
                                        ; implicit-def: $sgpr22
                                        ; implicit-def: $sgpr23
                                        ; implicit-def: $sgpr27
                                        ; implicit-def: $sgpr28
	s_delay_alu instid0(VALU_DEP_2) | instskip(NEXT) | instid1(VALU_DEP_2)
	v_lshl_add_u64 v[6:7], v[6:7], 3, s[18:19]
	v_lshl_add_u64 v[8:9], v[8:9], 3, s[18:19]
	s_branch .LBB505_1097
.LBB505_1096:                           ;   in Loop: Header=BB505_1097 Depth=1
	s_or_b32 exec_lo, exec_lo, s29
	s_delay_alu instid0(SALU_CYCLE_1) | instskip(NEXT) | instid1(SALU_CYCLE_1)
	s_and_b32 s29, exec_lo, s23
	s_or_b32 s15, s29, s15
	s_and_not1_b32 s28, s28, exec_lo
	s_and_b32 s7, s7, exec_lo
	s_and_not1_b32 s22, s22, exec_lo
	s_and_b32 s29, s27, exec_lo
	s_or_b32 s28, s28, s7
	s_or_b32 s22, s22, s29
	s_and_not1_b32 exec_lo, exec_lo, s15
	s_cbranch_execz .LBB505_1099
.LBB505_1097:                           ; =>This Inner Loop Header: Depth=1
	global_load_b64 v[12:13], v[6:7], off
	global_load_b64 v[16:17], v[8:9], off
	s_and_not1_b32 s27, s27, exec_lo
	s_or_b32 s23, s23, exec_lo
	s_wait_loadcnt 0x0
	v_cmp_le_i64_e32 vcc_lo, v[12:13], v[16:17]
	v_cmp_lt_i64_e64 s7, v[12:13], v[16:17]
	s_and_b32 s29, vcc_lo, s28
	s_delay_alu instid0(SALU_CYCLE_1) | instskip(NEXT) | instid1(SALU_CYCLE_1)
	s_or_b32 s7, s7, s29
	s_and_b32 s29, s7, exec_lo
	s_delay_alu instid0(SALU_CYCLE_1)
	s_or_b32 s27, s27, s29
	s_mov_b32 s29, exec_lo
	v_cmpx_eq_u64_e64 v[12:13], v[16:17]
	s_cbranch_execz .LBB505_1096
; %bb.1098:                             ;   in Loop: Header=BB505_1097 Depth=1
	s_add_nc_u64 s[8:9], s[8:9], -1
	v_add_nc_u64_e32 v[6:7], 8, v[6:7]
	s_cmp_eq_u64 s[8:9], 0
	v_add_nc_u64_e32 v[8:9], 8, v[8:9]
	s_cselect_b32 s28, -1, 0
	s_and_not1_b32 s23, s23, exec_lo
	s_and_b32 s28, s28, exec_lo
	s_and_not1_b32 s27, s27, exec_lo
	s_or_b32 s23, s23, s28
                                        ; implicit-def: $sgpr28
	s_branch .LBB505_1096
.LBB505_1099:
	s_or_b32 exec_lo, exec_lo, s15
	s_xor_b32 s7, s22, -1
	s_branch .LBB505_1101
.LBB505_1100:
	s_mov_b32 s7, -1
.LBB505_1101:
	s_delay_alu instid0(SALU_CYCLE_1)
	s_and_b32 s7, s7, exec_lo
.LBB505_1102:
	s_or_b32 exec_lo, exec_lo, s12
	s_delay_alu instid0(SALU_CYCLE_1)
	s_or_not1_b32 s12, s7, exec_lo
.LBB505_1103:
	s_or_b32 exec_lo, exec_lo, s14
	v_cndmask_b32_e64 v6, v10, v11, s12
	v_cndmask_b32_e64 v7, v48, v47, s12
	s_mov_b32 s14, exec_lo
	s_delay_alu instid0(VALU_DEP_2) | instskip(NEXT) | instid1(VALU_DEP_1)
	v_add_nc_u32_e32 v8, 1, v6
	v_add_min_u32_e64 v6, v7, -1, v8
	v_cndmask_b32_e64 v12, v8, v10, s12
	s_delay_alu instid0(VALU_DEP_2)
	v_lshl_add_u32 v6, v6, 3, v43
	ds_load_b64 v[6:7], v6
	s_wait_dscnt 0x0
	v_dual_cndmask_b32 v13, v11, v8, s12 :: v_dual_cndmask_b32 v16, v14, v6, s12
	v_dual_cndmask_b32 v11, v7, v5, s12 :: v_dual_cndmask_b32 v10, v6, v4, s12
	v_cndmask_b32_e64 v17, v15, v7, s12
	v_cmpx_lt_u32_e64 v12, v48
	s_cbranch_execz .LBB505_1114
; %bb.1104:
	s_mov_b32 s7, 0
	s_mov_b32 s13, exec_lo
	v_cmpx_lt_u32_e64 v13, v47
	s_cbranch_execz .LBB505_1113
; %bb.1105:
	s_and_not1_b32 vcc_lo, exec_lo, s26
	s_cbranch_vccnz .LBB505_1111
; %bb.1106:
	v_mul_u64_e32 v[6:7], s[16:17], v[10:11]
	v_mul_u64_e32 v[8:9], s[16:17], v[16:17]
	s_mov_b32 s15, 0
	s_mov_b64 s[8:9], s[16:17]
                                        ; implicit-def: $sgpr22
                                        ; implicit-def: $sgpr23
                                        ; implicit-def: $sgpr27
                                        ; implicit-def: $sgpr28
	s_delay_alu instid0(VALU_DEP_2) | instskip(NEXT) | instid1(VALU_DEP_2)
	v_lshl_add_u64 v[6:7], v[6:7], 3, s[18:19]
	v_lshl_add_u64 v[8:9], v[8:9], 3, s[18:19]
	s_branch .LBB505_1108
.LBB505_1107:                           ;   in Loop: Header=BB505_1108 Depth=1
	s_or_b32 exec_lo, exec_lo, s29
	s_delay_alu instid0(SALU_CYCLE_1) | instskip(NEXT) | instid1(SALU_CYCLE_1)
	s_and_b32 s29, exec_lo, s23
	s_or_b32 s15, s29, s15
	s_and_not1_b32 s28, s28, exec_lo
	s_and_b32 s7, s7, exec_lo
	s_and_not1_b32 s22, s22, exec_lo
	s_and_b32 s29, s27, exec_lo
	s_or_b32 s28, s28, s7
	s_or_b32 s22, s22, s29
	s_and_not1_b32 exec_lo, exec_lo, s15
	s_cbranch_execz .LBB505_1110
.LBB505_1108:                           ; =>This Inner Loop Header: Depth=1
	global_load_b64 v[22:23], v[6:7], off
	global_load_b64 v[24:25], v[8:9], off
	s_and_not1_b32 s27, s27, exec_lo
	s_or_b32 s23, s23, exec_lo
	s_wait_loadcnt 0x0
	v_cmp_le_i64_e32 vcc_lo, v[22:23], v[24:25]
	v_cmp_lt_i64_e64 s7, v[22:23], v[24:25]
	s_and_b32 s29, vcc_lo, s28
	s_delay_alu instid0(SALU_CYCLE_1) | instskip(NEXT) | instid1(SALU_CYCLE_1)
	s_or_b32 s7, s7, s29
	s_and_b32 s29, s7, exec_lo
	s_delay_alu instid0(SALU_CYCLE_1)
	s_or_b32 s27, s27, s29
	s_mov_b32 s29, exec_lo
	v_cmpx_eq_u64_e64 v[22:23], v[24:25]
	s_cbranch_execz .LBB505_1107
; %bb.1109:                             ;   in Loop: Header=BB505_1108 Depth=1
	s_add_nc_u64 s[8:9], s[8:9], -1
	v_add_nc_u64_e32 v[6:7], 8, v[6:7]
	s_cmp_eq_u64 s[8:9], 0
	v_add_nc_u64_e32 v[8:9], 8, v[8:9]
	s_cselect_b32 s28, -1, 0
	s_and_not1_b32 s23, s23, exec_lo
	s_and_b32 s28, s28, exec_lo
	s_and_not1_b32 s27, s27, exec_lo
	s_or_b32 s23, s23, s28
                                        ; implicit-def: $sgpr28
	s_branch .LBB505_1107
.LBB505_1110:
	s_or_b32 exec_lo, exec_lo, s15
	s_xor_b32 s7, s22, -1
	s_branch .LBB505_1112
.LBB505_1111:
	s_mov_b32 s7, -1
.LBB505_1112:
	s_delay_alu instid0(SALU_CYCLE_1)
	s_and_b32 s7, s7, exec_lo
.LBB505_1113:
	s_or_b32 exec_lo, exec_lo, s13
	s_delay_alu instid0(SALU_CYCLE_1)
	s_or_not1_b32 s13, s7, exec_lo
.LBB505_1114:
	s_or_b32 exec_lo, exec_lo, s14
	v_cndmask_b32_e64 v6, v12, v13, s13
	v_cndmask_b32_e64 v7, v48, v47, s13
	s_mov_b32 s15, -1
	s_mov_b32 s14, -1
	s_mov_b32 s22, exec_lo
	v_add_nc_u32_e32 v8, 1, v6
	s_delay_alu instid0(VALU_DEP_1) | instskip(SKIP_1) | instid1(VALU_DEP_2)
	v_add_min_u32_e64 v6, v7, -1, v8
	v_cndmask_b32_e64 v25, v13, v8, s13
	v_lshl_add_u32 v6, v6, 3, v43
	ds_load_b64 v[6:7], v6
	s_wait_dscnt 0x0
	v_dual_cndmask_b32 v24, v8, v12, s13 :: v_dual_cndmask_b32 v13, v7, v11, s13
	v_dual_cndmask_b32 v12, v6, v10, s13 :: v_dual_cndmask_b32 v23, v17, v7, s13
	v_cndmask_b32_e64 v22, v16, v6, s13
	s_delay_alu instid0(VALU_DEP_3)
	v_cmpx_lt_u32_e64 v24, v48
	s_cbranch_execz .LBB505_1125
; %bb.1115:
	s_mov_b32 s7, 0
	s_mov_b32 s14, exec_lo
	v_cmpx_lt_u32_e64 v25, v47
	s_cbranch_execz .LBB505_1124
; %bb.1116:
	s_and_not1_b32 vcc_lo, exec_lo, s26
	s_cbranch_vccnz .LBB505_1122
; %bb.1117:
	v_mul_u64_e32 v[6:7], s[16:17], v[12:13]
	v_mul_u64_e32 v[8:9], s[16:17], v[22:23]
	s_mov_b32 s23, 0
	s_mov_b64 s[8:9], s[16:17]
                                        ; implicit-def: $sgpr27
                                        ; implicit-def: $sgpr28
                                        ; implicit-def: $sgpr29
                                        ; implicit-def: $sgpr30
	s_delay_alu instid0(VALU_DEP_2) | instskip(NEXT) | instid1(VALU_DEP_2)
	v_lshl_add_u64 v[6:7], v[6:7], 3, s[18:19]
	v_lshl_add_u64 v[8:9], v[8:9], 3, s[18:19]
	s_branch .LBB505_1119
.LBB505_1118:                           ;   in Loop: Header=BB505_1119 Depth=1
	s_or_b32 exec_lo, exec_lo, s31
	s_delay_alu instid0(SALU_CYCLE_1) | instskip(NEXT) | instid1(SALU_CYCLE_1)
	s_and_b32 s31, exec_lo, s28
	s_or_b32 s23, s31, s23
	s_and_not1_b32 s30, s30, exec_lo
	s_and_b32 s7, s7, exec_lo
	s_and_not1_b32 s27, s27, exec_lo
	s_and_b32 s31, s29, exec_lo
	s_or_b32 s30, s30, s7
	s_or_b32 s27, s27, s31
	s_and_not1_b32 exec_lo, exec_lo, s23
	s_cbranch_execz .LBB505_1121
.LBB505_1119:                           ; =>This Inner Loop Header: Depth=1
	global_load_b64 v[26:27], v[6:7], off
	global_load_b64 v[28:29], v[8:9], off
	s_and_not1_b32 s29, s29, exec_lo
	s_or_b32 s28, s28, exec_lo
	s_wait_loadcnt 0x0
	v_cmp_le_i64_e32 vcc_lo, v[26:27], v[28:29]
	v_cmp_lt_i64_e64 s7, v[26:27], v[28:29]
	s_and_b32 s31, vcc_lo, s30
	s_delay_alu instid0(SALU_CYCLE_1) | instskip(NEXT) | instid1(SALU_CYCLE_1)
	s_or_b32 s7, s7, s31
	s_and_b32 s31, s7, exec_lo
	s_delay_alu instid0(SALU_CYCLE_1)
	s_or_b32 s29, s29, s31
	s_mov_b32 s31, exec_lo
	v_cmpx_eq_u64_e64 v[26:27], v[28:29]
	s_cbranch_execz .LBB505_1118
; %bb.1120:                             ;   in Loop: Header=BB505_1119 Depth=1
	s_add_nc_u64 s[8:9], s[8:9], -1
	v_add_nc_u64_e32 v[6:7], 8, v[6:7]
	s_cmp_eq_u64 s[8:9], 0
	v_add_nc_u64_e32 v[8:9], 8, v[8:9]
	s_cselect_b32 s30, -1, 0
	s_and_not1_b32 s28, s28, exec_lo
	s_and_b32 s30, s30, exec_lo
	s_and_not1_b32 s29, s29, exec_lo
	s_or_b32 s28, s28, s30
                                        ; implicit-def: $sgpr30
	s_branch .LBB505_1118
.LBB505_1121:
	s_or_b32 exec_lo, exec_lo, s23
	s_xor_b32 s7, s27, -1
	s_branch .LBB505_1123
.LBB505_1122:
	s_mov_b32 s7, -1
.LBB505_1123:
	s_delay_alu instid0(SALU_CYCLE_1)
	s_and_b32 s7, s7, exec_lo
.LBB505_1124:
	s_or_b32 exec_lo, exec_lo, s14
	s_delay_alu instid0(SALU_CYCLE_1)
	s_or_not1_b32 s14, s7, exec_lo
.LBB505_1125:
	s_or_b32 exec_lo, exec_lo, s22
	v_cndmask_b32_e64 v6, v24, v25, s14
	v_cndmask_b32_e64 v7, v48, v47, s14
	s_mov_b32 s22, exec_lo
	s_delay_alu instid0(VALU_DEP_2) | instskip(NEXT) | instid1(VALU_DEP_1)
	v_add_nc_u32_e32 v6, 1, v6
	v_add_min_u32_e64 v7, v7, -1, v6
	v_dual_cndmask_b32 v28, v6, v24, s14 :: v_dual_cndmask_b32 v29, v25, v6, s14
	s_delay_alu instid0(VALU_DEP_2)
	v_lshl_add_u32 v7, v7, 3, v43
	ds_load_b64 v[8:9], v7
	s_wait_dscnt 0x0
	v_dual_cndmask_b32 v7, v9, v13, s14 :: v_dual_cndmask_b32 v6, v8, v12, s14
	v_dual_cndmask_b32 v25, v23, v9, s14 :: v_dual_cndmask_b32 v24, v22, v8, s14
	v_cmpx_lt_u32_e64 v28, v48
	s_cbranch_execz .LBB505_1136
; %bb.1126:
	s_mov_b32 s7, 0
	s_mov_b32 s15, exec_lo
	v_cmpx_lt_u32_e64 v29, v47
	s_cbranch_execz .LBB505_1135
; %bb.1127:
	s_and_not1_b32 vcc_lo, exec_lo, s26
	s_cbranch_vccnz .LBB505_1133
; %bb.1128:
	v_mul_u64_e32 v[8:9], s[16:17], v[6:7]
	v_mul_u64_e32 v[26:27], s[16:17], v[24:25]
	s_mov_b32 s23, 0
	s_mov_b64 s[8:9], s[16:17]
                                        ; implicit-def: $sgpr27
                                        ; implicit-def: $sgpr28
                                        ; implicit-def: $sgpr29
                                        ; implicit-def: $sgpr30
	s_delay_alu instid0(VALU_DEP_2) | instskip(NEXT) | instid1(VALU_DEP_2)
	v_lshl_add_u64 v[8:9], v[8:9], 3, s[18:19]
	v_lshl_add_u64 v[26:27], v[26:27], 3, s[18:19]
	s_branch .LBB505_1130
.LBB505_1129:                           ;   in Loop: Header=BB505_1130 Depth=1
	s_or_b32 exec_lo, exec_lo, s31
	s_delay_alu instid0(SALU_CYCLE_1) | instskip(NEXT) | instid1(SALU_CYCLE_1)
	s_and_b32 s31, exec_lo, s28
	s_or_b32 s23, s31, s23
	s_and_not1_b32 s30, s30, exec_lo
	s_and_b32 s7, s7, exec_lo
	s_and_not1_b32 s27, s27, exec_lo
	s_and_b32 s31, s29, exec_lo
	s_or_b32 s30, s30, s7
	s_or_b32 s27, s27, s31
	s_and_not1_b32 exec_lo, exec_lo, s23
	s_cbranch_execz .LBB505_1132
.LBB505_1130:                           ; =>This Inner Loop Header: Depth=1
	global_load_b64 v[30:31], v[8:9], off
	global_load_b64 v[32:33], v[26:27], off
	s_and_not1_b32 s29, s29, exec_lo
	s_or_b32 s28, s28, exec_lo
	s_wait_loadcnt 0x0
	v_cmp_le_i64_e32 vcc_lo, v[30:31], v[32:33]
	v_cmp_lt_i64_e64 s7, v[30:31], v[32:33]
	s_and_b32 s31, vcc_lo, s30
	s_delay_alu instid0(SALU_CYCLE_1) | instskip(NEXT) | instid1(SALU_CYCLE_1)
	s_or_b32 s7, s7, s31
	s_and_b32 s31, s7, exec_lo
	s_delay_alu instid0(SALU_CYCLE_1)
	s_or_b32 s29, s29, s31
	s_mov_b32 s31, exec_lo
	v_cmpx_eq_u64_e64 v[30:31], v[32:33]
	s_cbranch_execz .LBB505_1129
; %bb.1131:                             ;   in Loop: Header=BB505_1130 Depth=1
	s_add_nc_u64 s[8:9], s[8:9], -1
	v_add_nc_u64_e32 v[8:9], 8, v[8:9]
	s_cmp_eq_u64 s[8:9], 0
	v_add_nc_u64_e32 v[26:27], 8, v[26:27]
	s_cselect_b32 s30, -1, 0
	s_and_not1_b32 s28, s28, exec_lo
	s_and_b32 s30, s30, exec_lo
	s_and_not1_b32 s29, s29, exec_lo
	s_or_b32 s28, s28, s30
                                        ; implicit-def: $sgpr30
	s_branch .LBB505_1129
.LBB505_1132:
	s_or_b32 exec_lo, exec_lo, s23
	s_xor_b32 s7, s27, -1
	s_branch .LBB505_1134
.LBB505_1133:
	s_mov_b32 s7, -1
.LBB505_1134:
	s_delay_alu instid0(SALU_CYCLE_1)
	s_and_b32 s7, s7, exec_lo
.LBB505_1135:
	s_or_b32 exec_lo, exec_lo, s15
	s_delay_alu instid0(SALU_CYCLE_1)
	s_or_not1_b32 s15, s7, exec_lo
.LBB505_1136:
	s_or_b32 exec_lo, exec_lo, s22
	v_cndmask_b32_e64 v8, v28, v29, s15
	v_cndmask_b32_e64 v9, v48, v47, s15
	s_mov_b32 s22, -1
	s_mov_b32 s23, -1
	s_mov_b32 s27, exec_lo
	v_add_nc_u32_e32 v8, 1, v8
	s_delay_alu instid0(VALU_DEP_1) | instskip(NEXT) | instid1(VALU_DEP_1)
	v_add_min_u32_e64 v9, v9, -1, v8
	v_lshl_add_u32 v9, v9, 3, v43
	ds_load_b64 v[26:27], v9
	v_cndmask_b32_e64 v32, v8, v28, s15
	s_wait_dscnt 0x0
	v_dual_cndmask_b32 v33, v29, v8, s15 :: v_dual_cndmask_b32 v9, v27, v7, s15
	v_dual_cndmask_b32 v8, v26, v6, s15 :: v_dual_cndmask_b32 v27, v25, v27, s15
	v_cndmask_b32_e64 v26, v24, v26, s15
	v_cmpx_lt_u32_e64 v32, v48
	s_cbranch_execz .LBB505_1147
; %bb.1137:
	s_mov_b32 s7, 0
	s_mov_b32 s23, exec_lo
	v_cmpx_lt_u32_e64 v33, v47
	s_cbranch_execz .LBB505_1146
; %bb.1138:
	s_and_not1_b32 vcc_lo, exec_lo, s26
	s_cbranch_vccnz .LBB505_1144
; %bb.1139:
	v_mul_u64_e32 v[28:29], s[16:17], v[8:9]
	v_mul_u64_e32 v[30:31], s[16:17], v[26:27]
	s_mov_b32 s28, 0
	s_mov_b64 s[8:9], s[16:17]
                                        ; implicit-def: $sgpr29
                                        ; implicit-def: $sgpr30
                                        ; implicit-def: $sgpr31
                                        ; implicit-def: $sgpr33
	s_delay_alu instid0(VALU_DEP_2) | instskip(NEXT) | instid1(VALU_DEP_2)
	v_lshl_add_u64 v[28:29], v[28:29], 3, s[18:19]
	v_lshl_add_u64 v[30:31], v[30:31], 3, s[18:19]
	s_branch .LBB505_1141
.LBB505_1140:                           ;   in Loop: Header=BB505_1141 Depth=1
	s_or_b32 exec_lo, exec_lo, s34
	s_delay_alu instid0(SALU_CYCLE_1) | instskip(NEXT) | instid1(SALU_CYCLE_1)
	s_and_b32 s34, exec_lo, s30
	s_or_b32 s28, s34, s28
	s_and_not1_b32 s33, s33, exec_lo
	s_and_b32 s7, s7, exec_lo
	s_and_not1_b32 s29, s29, exec_lo
	s_and_b32 s34, s31, exec_lo
	s_or_b32 s33, s33, s7
	s_or_b32 s29, s29, s34
	s_and_not1_b32 exec_lo, exec_lo, s28
	s_cbranch_execz .LBB505_1143
.LBB505_1141:                           ; =>This Inner Loop Header: Depth=1
	global_load_b64 v[34:35], v[28:29], off
	global_load_b64 v[50:51], v[30:31], off
	s_and_not1_b32 s31, s31, exec_lo
	s_or_b32 s30, s30, exec_lo
	s_wait_loadcnt 0x0
	v_cmp_le_i64_e32 vcc_lo, v[34:35], v[50:51]
	v_cmp_lt_i64_e64 s7, v[34:35], v[50:51]
	s_and_b32 s34, vcc_lo, s33
	s_delay_alu instid0(SALU_CYCLE_1) | instskip(NEXT) | instid1(SALU_CYCLE_1)
	s_or_b32 s7, s7, s34
	s_and_b32 s34, s7, exec_lo
	s_delay_alu instid0(SALU_CYCLE_1)
	s_or_b32 s31, s31, s34
	s_mov_b32 s34, exec_lo
	v_cmpx_eq_u64_e64 v[34:35], v[50:51]
	s_cbranch_execz .LBB505_1140
; %bb.1142:                             ;   in Loop: Header=BB505_1141 Depth=1
	s_add_nc_u64 s[8:9], s[8:9], -1
	v_add_nc_u64_e32 v[28:29], 8, v[28:29]
	s_cmp_eq_u64 s[8:9], 0
	v_add_nc_u64_e32 v[30:31], 8, v[30:31]
	s_cselect_b32 s33, -1, 0
	s_and_not1_b32 s30, s30, exec_lo
	s_and_b32 s33, s33, exec_lo
	s_and_not1_b32 s31, s31, exec_lo
	s_or_b32 s30, s30, s33
                                        ; implicit-def: $sgpr33
	s_branch .LBB505_1140
.LBB505_1143:
	s_or_b32 exec_lo, exec_lo, s28
	s_xor_b32 s7, s29, -1
	s_branch .LBB505_1145
.LBB505_1144:
	s_mov_b32 s7, -1
.LBB505_1145:
	s_delay_alu instid0(SALU_CYCLE_1)
	s_and_b32 s7, s7, exec_lo
.LBB505_1146:
	s_or_b32 exec_lo, exec_lo, s23
	s_delay_alu instid0(SALU_CYCLE_1)
	s_or_not1_b32 s23, s7, exec_lo
.LBB505_1147:
	s_or_b32 exec_lo, exec_lo, s27
	v_cndmask_b32_e64 v28, v32, v33, s23
	v_cndmask_b32_e64 v29, v48, v47, s23
	s_mov_b32 s27, exec_lo
	s_delay_alu instid0(VALU_DEP_2) | instskip(NEXT) | instid1(VALU_DEP_1)
	v_add_nc_u32_e32 v28, 1, v28
	v_add_min_u32_e64 v29, v29, -1, v28
	s_delay_alu instid0(VALU_DEP_1)
	v_lshl_add_u32 v29, v29, 3, v43
	ds_load_b64 v[30:31], v29
	v_cndmask_b32_e64 v50, v28, v32, s23
	s_wait_dscnt 0x0
	v_dual_cndmask_b32 v49, v33, v28, s23 :: v_dual_cndmask_b32 v29, v31, v9, s23
	v_dual_cndmask_b32 v28, v30, v8, s23 :: v_dual_cndmask_b32 v31, v27, v31, s23
	v_cndmask_b32_e64 v30, v26, v30, s23
	v_cmpx_lt_u32_e64 v50, v48
	s_cbranch_execz .LBB505_1158
; %bb.1148:
	s_mov_b32 s7, 0
	s_mov_b32 s22, exec_lo
	v_cmpx_lt_u32_e64 v49, v47
	s_cbranch_execz .LBB505_1157
; %bb.1149:
	s_and_not1_b32 vcc_lo, exec_lo, s26
	s_cbranch_vccnz .LBB505_1155
; %bb.1150:
	v_mul_u64_e32 v[32:33], s[16:17], v[28:29]
	v_mul_u64_e32 v[34:35], s[16:17], v[30:31]
	s_mov_b32 s28, 0
	s_mov_b64 s[8:9], s[16:17]
                                        ; implicit-def: $sgpr29
                                        ; implicit-def: $sgpr30
                                        ; implicit-def: $sgpr31
                                        ; implicit-def: $sgpr33
	s_delay_alu instid0(VALU_DEP_2) | instskip(NEXT) | instid1(VALU_DEP_2)
	v_lshl_add_u64 v[32:33], v[32:33], 3, s[18:19]
	v_lshl_add_u64 v[34:35], v[34:35], 3, s[18:19]
	s_branch .LBB505_1152
.LBB505_1151:                           ;   in Loop: Header=BB505_1152 Depth=1
	s_or_b32 exec_lo, exec_lo, s34
	s_delay_alu instid0(SALU_CYCLE_1) | instskip(NEXT) | instid1(SALU_CYCLE_1)
	s_and_b32 s34, exec_lo, s30
	s_or_b32 s28, s34, s28
	s_and_not1_b32 s33, s33, exec_lo
	s_and_b32 s7, s7, exec_lo
	s_and_not1_b32 s29, s29, exec_lo
	s_and_b32 s34, s31, exec_lo
	s_or_b32 s33, s33, s7
	s_or_b32 s29, s29, s34
	s_and_not1_b32 exec_lo, exec_lo, s28
	s_cbranch_execz .LBB505_1154
.LBB505_1152:                           ; =>This Inner Loop Header: Depth=1
	global_load_b64 v[52:53], v[32:33], off
	global_load_b64 v[54:55], v[34:35], off
	s_and_not1_b32 s31, s31, exec_lo
	s_or_b32 s30, s30, exec_lo
	s_wait_loadcnt 0x0
	v_cmp_le_i64_e32 vcc_lo, v[52:53], v[54:55]
	v_cmp_lt_i64_e64 s7, v[52:53], v[54:55]
	s_and_b32 s34, vcc_lo, s33
	s_delay_alu instid0(SALU_CYCLE_1) | instskip(NEXT) | instid1(SALU_CYCLE_1)
	s_or_b32 s7, s7, s34
	s_and_b32 s34, s7, exec_lo
	s_delay_alu instid0(SALU_CYCLE_1)
	s_or_b32 s31, s31, s34
	s_mov_b32 s34, exec_lo
	v_cmpx_eq_u64_e64 v[52:53], v[54:55]
	s_cbranch_execz .LBB505_1151
; %bb.1153:                             ;   in Loop: Header=BB505_1152 Depth=1
	s_add_nc_u64 s[8:9], s[8:9], -1
	v_add_nc_u64_e32 v[32:33], 8, v[32:33]
	s_cmp_eq_u64 s[8:9], 0
	v_add_nc_u64_e32 v[34:35], 8, v[34:35]
	s_cselect_b32 s33, -1, 0
	s_and_not1_b32 s30, s30, exec_lo
	s_and_b32 s33, s33, exec_lo
	s_and_not1_b32 s31, s31, exec_lo
	s_or_b32 s30, s30, s33
                                        ; implicit-def: $sgpr33
	s_branch .LBB505_1151
.LBB505_1154:
	s_or_b32 exec_lo, exec_lo, s28
	s_xor_b32 s7, s29, -1
	s_branch .LBB505_1156
.LBB505_1155:
	s_mov_b32 s7, -1
.LBB505_1156:
	s_delay_alu instid0(SALU_CYCLE_1)
	s_and_b32 s7, s7, exec_lo
.LBB505_1157:
	s_or_b32 exec_lo, exec_lo, s22
	s_delay_alu instid0(SALU_CYCLE_1)
	s_or_not1_b32 s22, s7, exec_lo
.LBB505_1158:
	s_or_b32 exec_lo, exec_lo, s27
	v_dual_cndmask_b32 v32, v50, v49, s22 :: v_dual_cndmask_b32 v33, v48, v47, s22
	v_dual_cndmask_b32 v8, v8, v26, s23 :: v_dual_cndmask_b32 v7, v7, v25, s15
	;; [unrolled: 1-line block ×3, first 2 shown]
	s_delay_alu instid0(VALU_DEP_3) | instskip(SKIP_2) | instid1(VALU_DEP_3)
	v_dual_add_nc_u32 v34, 1, v32 :: v_dual_cndmask_b32 v9, v9, v27, s23
	v_dual_cndmask_b32 v12, v12, v22, s14 :: v_dual_cndmask_b32 v11, v11, v17, s13
	v_dual_cndmask_b32 v10, v10, v16, s13 :: v_dual_cndmask_b32 v17, v5, v15, s12
	v_add_min_u32_e64 v32, v33, -1, v34
	v_dual_cndmask_b32 v16, v4, v14, s12 :: v_dual_cndmask_b32 v15, v3, v1, s11
	v_dual_cndmask_b32 v14, v2, v0, s11 :: v_dual_cndmask_b32 v3, v29, v31, s22
	s_delay_alu instid0(VALU_DEP_3)
	v_lshl_add_u32 v32, v32, 3, v43
	s_mov_b32 s11, exec_lo
	ds_load_b64 v[32:33], v32
	v_cndmask_b32_e64 v0, v34, v50, s22
	s_wait_dscnt 0x0
	v_dual_cndmask_b32 v2, v28, v30, s22 :: v_dual_cndmask_b32 v4, v30, v32, s22
	v_cndmask_b32_e64 v5, v31, v33, s22
	s_delay_alu instid0(VALU_DEP_3)
	v_cmpx_lt_u32_e64 v0, v48
	s_cbranch_execz .LBB505_1168
; %bb.1159:
	v_dual_cndmask_b32 v22, v49, v34, s22 :: v_dual_cndmask_b32 v0, v32, v28, s22
	v_cndmask_b32_e64 v1, v33, v29, s22
	s_mov_b32 s12, exec_lo
	s_delay_alu instid0(VALU_DEP_2)
	v_cmpx_lt_u32_e64 v22, v47
	s_cbranch_execz .LBB505_1167
; %bb.1160:
	s_and_not1_b32 vcc_lo, exec_lo, s26
	s_cbranch_vccnz .LBB505_1166
; %bb.1161:
	v_mul_u64_e32 v[22:23], s[16:17], v[0:1]
	v_mul_u64_e32 v[24:25], s[16:17], v[4:5]
	s_mov_b32 s13, 0
	s_mov_b64 s[8:9], s[16:17]
                                        ; implicit-def: $sgpr14
                                        ; implicit-def: $sgpr15
                                        ; implicit-def: $sgpr22
                                        ; implicit-def: $sgpr23
	s_delay_alu instid0(VALU_DEP_2) | instskip(NEXT) | instid1(VALU_DEP_2)
	v_lshl_add_u64 v[22:23], v[22:23], 3, s[18:19]
	v_lshl_add_u64 v[24:25], v[24:25], 3, s[18:19]
	s_branch .LBB505_1163
.LBB505_1162:                           ;   in Loop: Header=BB505_1163 Depth=1
	s_or_b32 exec_lo, exec_lo, s27
	s_delay_alu instid0(SALU_CYCLE_1) | instskip(NEXT) | instid1(SALU_CYCLE_1)
	s_and_b32 s27, exec_lo, s15
	s_or_b32 s13, s27, s13
	s_and_not1_b32 s23, s23, exec_lo
	s_and_b32 s7, s7, exec_lo
	s_and_not1_b32 s14, s14, exec_lo
	s_and_b32 s27, s22, exec_lo
	s_or_b32 s23, s23, s7
	s_or_b32 s14, s14, s27
	s_and_not1_b32 exec_lo, exec_lo, s13
	s_cbranch_execz .LBB505_1165
.LBB505_1163:                           ; =>This Inner Loop Header: Depth=1
	global_load_b64 v[26:27], v[22:23], off
	global_load_b64 v[28:29], v[24:25], off
	s_and_not1_b32 s22, s22, exec_lo
	s_or_b32 s15, s15, exec_lo
	s_wait_loadcnt 0x0
	v_cmp_le_i64_e32 vcc_lo, v[26:27], v[28:29]
	v_cmp_lt_i64_e64 s7, v[26:27], v[28:29]
	s_and_b32 s27, vcc_lo, s23
	s_delay_alu instid0(SALU_CYCLE_1) | instskip(NEXT) | instid1(SALU_CYCLE_1)
	s_or_b32 s7, s7, s27
	s_and_b32 s27, s7, exec_lo
	s_delay_alu instid0(SALU_CYCLE_1)
	s_or_b32 s22, s22, s27
	s_mov_b32 s27, exec_lo
	v_cmpx_eq_u64_e64 v[26:27], v[28:29]
	s_cbranch_execz .LBB505_1162
; %bb.1164:                             ;   in Loop: Header=BB505_1163 Depth=1
	s_add_nc_u64 s[8:9], s[8:9], -1
	v_add_nc_u64_e32 v[22:23], 8, v[22:23]
	s_cmp_eq_u64 s[8:9], 0
	v_add_nc_u64_e32 v[24:25], 8, v[24:25]
	s_cselect_b32 s23, -1, 0
	s_and_not1_b32 s15, s15, exec_lo
	s_and_b32 s23, s23, exec_lo
	s_and_not1_b32 s22, s22, exec_lo
	s_or_b32 s15, s15, s23
                                        ; implicit-def: $sgpr23
	s_branch .LBB505_1162
.LBB505_1165:
	s_or_b32 exec_lo, exec_lo, s13
	v_dual_cndmask_b32 v5, v5, v1, s14 :: v_dual_cndmask_b32 v4, v4, v0, s14
.LBB505_1166:
	s_delay_alu instid0(VALU_DEP_1)
	v_mov_b64_e32 v[0:1], v[4:5]
.LBB505_1167:
	s_or_b32 exec_lo, exec_lo, s12
	s_delay_alu instid0(VALU_DEP_1)
	v_mov_b64_e32 v[4:5], v[0:1]
.LBB505_1168:
	s_or_b32 exec_lo, exec_lo, s11
.LBB505_1169:
	s_delay_alu instid0(SALU_CYCLE_1)
	s_or_b32 exec_lo, exec_lo, s10
	v_and_b32_e32 v26, 0xc0, v45
	s_mov_b32 s12, exec_lo
	; wave barrier
	ds_store_b128 v46, v[14:17]
	ds_store_b128 v46, v[10:13] offset:16
	v_or_b32_e32 v0, 32, v26
	v_lshl_add_u32 v25, v26, 3, v43
	ds_store_b128 v46, v[6:9] offset:32
	ds_store_b128 v46, v[2:5] offset:48
	; wave barrier
	v_min_u32_e32 v47, v44, v0
	v_and_b32_e32 v0, 56, v45
	s_delay_alu instid0(VALU_DEP_2) | instskip(NEXT) | instid1(VALU_DEP_2)
	v_add_min_u32_e64 v48, v47, 32, v44
	v_min_u32_e32 v27, v44, v0
	s_delay_alu instid0(VALU_DEP_2) | instskip(NEXT) | instid1(VALU_DEP_1)
	v_dual_sub_nc_u32 v1, v47, v26 :: v_dual_sub_nc_u32 v0, v48, v47
	v_min_u32_e32 v28, v27, v1
	s_delay_alu instid0(VALU_DEP_2) | instskip(NEXT) | instid1(VALU_DEP_1)
	v_sub_nc_u32_e64 v24, v27, v0 clamp
	v_cmpx_lt_u32_e64 v24, v28
	s_cbranch_execz .LBB505_1179
; %bb.1170:
	v_lshlrev_b32_e32 v0, 3, v47
	v_lshlrev_b32_e32 v1, 3, v27
	s_lshl_b64 s[8:9], s[16:17], 3
	s_mov_b32 s13, 0
	s_delay_alu instid0(VALU_DEP_1)
	v_add3_u32 v29, v43, v0, v1
	s_branch .LBB505_1173
.LBB505_1171:                           ;   in Loop: Header=BB505_1173 Depth=1
	s_or_b32 exec_lo, exec_lo, s15
.LBB505_1172:                           ;   in Loop: Header=BB505_1173 Depth=1
	s_delay_alu instid0(VALU_DEP_1) | instskip(NEXT) | instid1(VALU_DEP_1)
	v_dual_add_nc_u32 v0, 1, v30 :: v_dual_cndmask_b32 v28, v28, v30, s14
	v_cndmask_b32_e64 v24, v0, v24, s14
	s_delay_alu instid0(VALU_DEP_1) | instskip(SKIP_1) | instid1(SALU_CYCLE_1)
	v_cmp_ge_u32_e32 vcc_lo, v24, v28
	s_or_b32 s13, vcc_lo, s13
	s_and_not1_b32 exec_lo, exec_lo, s13
	s_cbranch_execz .LBB505_1178
.LBB505_1173:                           ; =>This Loop Header: Depth=1
                                        ;     Child Loop BB505_1176 Depth 2
	v_add_nc_u32_e32 v0, v28, v24
	s_and_not1_b32 vcc_lo, exec_lo, s26
	s_mov_b32 s14, 0
	s_delay_alu instid0(VALU_DEP_1)
	v_lshrrev_b32_e32 v30, 1, v0
	s_cbranch_vccnz .LBB505_1172
; %bb.1174:                             ;   in Loop: Header=BB505_1173 Depth=1
	s_delay_alu instid0(VALU_DEP_1) | instskip(SKIP_3) | instid1(VALU_DEP_2)
	v_not_b32_e32 v0, v30
	v_lshl_add_u32 v1, v30, 3, v25
	s_mov_b32 s15, 0
	s_mov_b64 s[10:11], s[16:17]
                                        ; implicit-def: $sgpr14
                                        ; implicit-def: $sgpr22
                                        ; implicit-def: $sgpr23
                                        ; implicit-def: $sgpr27
	v_lshl_add_u32 v0, v0, 3, v29
	ds_load_b64 v[32:33], v0
	ds_load_b64 v[34:35], v1
	s_wait_dscnt 0x1
	v_mad_nc_u64_u32 v[0:1], s8, v32, s[18:19]
	s_wait_dscnt 0x0
	v_mad_nc_u64_u32 v[22:23], s8, v34, s[18:19]
	s_delay_alu instid0(VALU_DEP_2) | instskip(NEXT) | instid1(VALU_DEP_2)
	v_mad_u32 v1, s9, v32, v1
	v_mad_u32 v23, s9, v34, v23
	s_delay_alu instid0(VALU_DEP_2) | instskip(NEXT) | instid1(VALU_DEP_2)
	v_mad_u32 v1, s8, v33, v1
	v_mad_u32 v23, s8, v35, v23
	s_branch .LBB505_1176
.LBB505_1175:                           ;   in Loop: Header=BB505_1176 Depth=2
	s_or_b32 exec_lo, exec_lo, s28
	s_delay_alu instid0(SALU_CYCLE_1) | instskip(NEXT) | instid1(SALU_CYCLE_1)
	s_and_b32 s28, exec_lo, s22
	s_or_b32 s15, s28, s15
	s_and_not1_b32 s27, s27, exec_lo
	s_and_b32 s7, s7, exec_lo
	s_and_not1_b32 s14, s14, exec_lo
	s_and_b32 s28, s23, exec_lo
	s_or_b32 s27, s27, s7
	s_or_b32 s14, s14, s28
	s_and_not1_b32 exec_lo, exec_lo, s15
	s_cbranch_execz .LBB505_1171
.LBB505_1176:                           ;   Parent Loop BB505_1173 Depth=1
                                        ; =>  This Inner Loop Header: Depth=2
	global_load_b64 v[32:33], v[0:1], off
	global_load_b64 v[34:35], v[22:23], off
	s_and_not1_b32 s23, s23, exec_lo
	s_or_b32 s22, s22, exec_lo
	s_wait_loadcnt 0x0
	v_cmp_le_i64_e32 vcc_lo, v[32:33], v[34:35]
	v_cmp_lt_i64_e64 s7, v[32:33], v[34:35]
	s_and_b32 s28, vcc_lo, s27
	s_delay_alu instid0(SALU_CYCLE_1) | instskip(NEXT) | instid1(SALU_CYCLE_1)
	s_or_b32 s7, s7, s28
	s_and_b32 s28, s7, exec_lo
	s_delay_alu instid0(SALU_CYCLE_1)
	s_or_b32 s23, s23, s28
	s_mov_b32 s28, exec_lo
	v_cmpx_eq_u64_e64 v[32:33], v[34:35]
	s_cbranch_execz .LBB505_1175
; %bb.1177:                             ;   in Loop: Header=BB505_1176 Depth=2
	s_add_nc_u64 s[10:11], s[10:11], -1
	v_add_nc_u64_e32 v[0:1], 8, v[0:1]
	s_cmp_eq_u64 s[10:11], 0
	v_add_nc_u64_e32 v[22:23], 8, v[22:23]
	s_cselect_b32 s27, -1, 0
	s_and_not1_b32 s22, s22, exec_lo
	s_and_b32 s27, s27, exec_lo
	s_and_not1_b32 s23, s23, exec_lo
	s_or_b32 s22, s22, s27
                                        ; implicit-def: $sgpr27
	s_branch .LBB505_1175
.LBB505_1178:
	s_or_b32 exec_lo, exec_lo, s13
.LBB505_1179:
	s_delay_alu instid0(SALU_CYCLE_1) | instskip(SKIP_1) | instid1(VALU_DEP_1)
	s_or_b32 exec_lo, exec_lo, s12
	v_dual_add_nc_u32 v0, v47, v27 :: v_dual_add_nc_u32 v22, v24, v26
	v_sub_nc_u32_e32 v23, v0, v24
	s_delay_alu instid0(VALU_DEP_2) | instskip(NEXT) | instid1(VALU_DEP_2)
	v_cmp_le_u32_e32 vcc_lo, v22, v47
	v_cmp_le_u32_e64 s7, v23, v48
	s_or_b32 s7, vcc_lo, s7
	s_delay_alu instid0(SALU_CYCLE_1)
	s_and_saveexec_b32 s10, s7
	s_cbranch_execz .LBB505_1270
; %bb.1180:
	s_mov_b32 s8, exec_lo
	v_cmp_ge_u32_e32 vcc_lo, v22, v47
                                        ; implicit-def: $vgpr0_vgpr1
	v_cmpx_lt_u32_e64 v22, v47
; %bb.1181:
	v_lshl_add_u32 v0, v24, 3, v25
	ds_load_b64 v[0:1], v0
; %bb.1182:
	s_or_b32 exec_lo, exec_lo, s8
	v_cmp_ge_u32_e64 s11, v23, v48
	s_mov_b32 s8, exec_lo
                                        ; implicit-def: $vgpr2_vgpr3
	v_cmpx_lt_u32_e64 v23, v48
; %bb.1183:
	v_lshl_add_u32 v2, v23, 3, v43
	ds_load_b64 v[2:3], v2
; %bb.1184:
	s_or_b32 exec_lo, exec_lo, s8
	s_nor_b32 s7, vcc_lo, s11
	s_delay_alu instid0(SALU_CYCLE_1)
	s_and_saveexec_b32 s12, s7
	s_cbranch_execz .LBB505_1193
; %bb.1185:
	s_and_not1_b32 vcc_lo, exec_lo, s26
	s_cbranch_vccnz .LBB505_1191
; %bb.1186:
	s_wait_dscnt 0x0
	v_mul_u64_e32 v[4:5], s[16:17], v[2:3]
	v_mul_u64_e32 v[6:7], s[16:17], v[0:1]
	s_mov_b32 s13, 0
	s_mov_b64 s[8:9], s[16:17]
                                        ; implicit-def: $sgpr14
                                        ; implicit-def: $sgpr15
                                        ; implicit-def: $sgpr22
                                        ; implicit-def: $sgpr23
	s_delay_alu instid0(VALU_DEP_2) | instskip(NEXT) | instid1(VALU_DEP_2)
	v_lshl_add_u64 v[4:5], v[4:5], 3, s[18:19]
	v_lshl_add_u64 v[6:7], v[6:7], 3, s[18:19]
	s_branch .LBB505_1188
.LBB505_1187:                           ;   in Loop: Header=BB505_1188 Depth=1
	s_or_b32 exec_lo, exec_lo, s27
	s_delay_alu instid0(SALU_CYCLE_1) | instskip(NEXT) | instid1(SALU_CYCLE_1)
	s_and_b32 s27, exec_lo, s15
	s_or_b32 s13, s27, s13
	s_and_not1_b32 s23, s23, exec_lo
	s_and_b32 s7, s7, exec_lo
	s_and_not1_b32 s14, s14, exec_lo
	s_and_b32 s27, s22, exec_lo
	s_or_b32 s23, s23, s7
	s_or_b32 s14, s14, s27
	s_and_not1_b32 exec_lo, exec_lo, s13
	s_cbranch_execz .LBB505_1190
.LBB505_1188:                           ; =>This Inner Loop Header: Depth=1
	global_load_b64 v[8:9], v[4:5], off
	global_load_b64 v[10:11], v[6:7], off
	s_and_not1_b32 s22, s22, exec_lo
	s_or_b32 s15, s15, exec_lo
	s_wait_loadcnt 0x0
	v_cmp_le_i64_e32 vcc_lo, v[8:9], v[10:11]
	v_cmp_lt_i64_e64 s7, v[8:9], v[10:11]
	s_and_b32 s27, vcc_lo, s23
	s_delay_alu instid0(SALU_CYCLE_1) | instskip(NEXT) | instid1(SALU_CYCLE_1)
	s_or_b32 s7, s7, s27
	s_and_b32 s27, s7, exec_lo
	s_delay_alu instid0(SALU_CYCLE_1)
	s_or_b32 s22, s22, s27
	s_mov_b32 s27, exec_lo
	v_cmpx_eq_u64_e64 v[8:9], v[10:11]
	s_cbranch_execz .LBB505_1187
; %bb.1189:                             ;   in Loop: Header=BB505_1188 Depth=1
	s_add_nc_u64 s[8:9], s[8:9], -1
	v_add_nc_u64_e32 v[4:5], 8, v[4:5]
	s_cmp_eq_u64 s[8:9], 0
	v_add_nc_u64_e32 v[6:7], 8, v[6:7]
	s_cselect_b32 s23, -1, 0
	s_and_not1_b32 s15, s15, exec_lo
	s_and_b32 s23, s23, exec_lo
	s_and_not1_b32 s22, s22, exec_lo
	s_or_b32 s15, s15, s23
                                        ; implicit-def: $sgpr23
	s_branch .LBB505_1187
.LBB505_1190:
	s_or_b32 exec_lo, exec_lo, s13
	s_xor_b32 s7, s14, -1
	s_branch .LBB505_1192
.LBB505_1191:
	s_mov_b32 s7, -1
.LBB505_1192:
	s_and_not1_b32 s8, s11, exec_lo
	s_and_b32 s7, s7, exec_lo
	s_delay_alu instid0(SALU_CYCLE_1)
	s_or_b32 s11, s8, s7
.LBB505_1193:
	s_or_b32 exec_lo, exec_lo, s12
	v_dual_cndmask_b32 v4, v23, v22, s11 :: v_dual_cndmask_b32 v5, v48, v47, s11
	s_mov_b32 s13, -1
	s_mov_b32 s12, -1
	s_mov_b32 s14, exec_lo
	s_delay_alu instid0(VALU_DEP_1) | instskip(NEXT) | instid1(VALU_DEP_1)
	v_add_nc_u32_e32 v4, 1, v4
	v_add_min_u32_e64 v5, v5, -1, v4
	s_delay_alu instid0(VALU_DEP_1)
	v_lshl_add_u32 v5, v5, 3, v43
	ds_load_b64 v[6:7], v5
	s_wait_dscnt 0x0
	v_cndmask_b32_e64 v5, v7, v3, s11
	v_dual_cndmask_b32 v10, v4, v23, s11 :: v_dual_cndmask_b32 v11, v22, v4, s11
	v_dual_cndmask_b32 v4, v6, v2, s11 :: v_dual_cndmask_b32 v15, v1, v7, s11
	v_cndmask_b32_e64 v14, v0, v6, s11
	s_delay_alu instid0(VALU_DEP_3)
	v_cmpx_lt_u32_e64 v10, v48
	s_cbranch_execz .LBB505_1204
; %bb.1194:
	s_mov_b32 s7, 0
	s_mov_b32 s12, exec_lo
	v_cmpx_lt_u32_e64 v11, v47
	s_cbranch_execz .LBB505_1203
; %bb.1195:
	s_and_not1_b32 vcc_lo, exec_lo, s26
	s_cbranch_vccnz .LBB505_1201
; %bb.1196:
	v_mul_u64_e32 v[6:7], s[16:17], v[4:5]
	v_mul_u64_e32 v[8:9], s[16:17], v[14:15]
	s_mov_b32 s15, 0
	s_mov_b64 s[8:9], s[16:17]
                                        ; implicit-def: $sgpr22
                                        ; implicit-def: $sgpr23
                                        ; implicit-def: $sgpr27
                                        ; implicit-def: $sgpr28
	s_delay_alu instid0(VALU_DEP_2) | instskip(NEXT) | instid1(VALU_DEP_2)
	v_lshl_add_u64 v[6:7], v[6:7], 3, s[18:19]
	v_lshl_add_u64 v[8:9], v[8:9], 3, s[18:19]
	s_branch .LBB505_1198
.LBB505_1197:                           ;   in Loop: Header=BB505_1198 Depth=1
	s_or_b32 exec_lo, exec_lo, s29
	s_delay_alu instid0(SALU_CYCLE_1) | instskip(NEXT) | instid1(SALU_CYCLE_1)
	s_and_b32 s29, exec_lo, s23
	s_or_b32 s15, s29, s15
	s_and_not1_b32 s28, s28, exec_lo
	s_and_b32 s7, s7, exec_lo
	s_and_not1_b32 s22, s22, exec_lo
	s_and_b32 s29, s27, exec_lo
	s_or_b32 s28, s28, s7
	s_or_b32 s22, s22, s29
	s_and_not1_b32 exec_lo, exec_lo, s15
	s_cbranch_execz .LBB505_1200
.LBB505_1198:                           ; =>This Inner Loop Header: Depth=1
	global_load_b64 v[12:13], v[6:7], off
	global_load_b64 v[16:17], v[8:9], off
	s_and_not1_b32 s27, s27, exec_lo
	s_or_b32 s23, s23, exec_lo
	s_wait_loadcnt 0x0
	v_cmp_le_i64_e32 vcc_lo, v[12:13], v[16:17]
	v_cmp_lt_i64_e64 s7, v[12:13], v[16:17]
	s_and_b32 s29, vcc_lo, s28
	s_delay_alu instid0(SALU_CYCLE_1) | instskip(NEXT) | instid1(SALU_CYCLE_1)
	s_or_b32 s7, s7, s29
	s_and_b32 s29, s7, exec_lo
	s_delay_alu instid0(SALU_CYCLE_1)
	s_or_b32 s27, s27, s29
	s_mov_b32 s29, exec_lo
	v_cmpx_eq_u64_e64 v[12:13], v[16:17]
	s_cbranch_execz .LBB505_1197
; %bb.1199:                             ;   in Loop: Header=BB505_1198 Depth=1
	s_add_nc_u64 s[8:9], s[8:9], -1
	v_add_nc_u64_e32 v[6:7], 8, v[6:7]
	s_cmp_eq_u64 s[8:9], 0
	v_add_nc_u64_e32 v[8:9], 8, v[8:9]
	s_cselect_b32 s28, -1, 0
	s_and_not1_b32 s23, s23, exec_lo
	s_and_b32 s28, s28, exec_lo
	s_and_not1_b32 s27, s27, exec_lo
	s_or_b32 s23, s23, s28
                                        ; implicit-def: $sgpr28
	s_branch .LBB505_1197
.LBB505_1200:
	s_or_b32 exec_lo, exec_lo, s15
	s_xor_b32 s7, s22, -1
	s_branch .LBB505_1202
.LBB505_1201:
	s_mov_b32 s7, -1
.LBB505_1202:
	s_delay_alu instid0(SALU_CYCLE_1)
	s_and_b32 s7, s7, exec_lo
.LBB505_1203:
	s_or_b32 exec_lo, exec_lo, s12
	s_delay_alu instid0(SALU_CYCLE_1)
	s_or_not1_b32 s12, s7, exec_lo
.LBB505_1204:
	s_or_b32 exec_lo, exec_lo, s14
	v_cndmask_b32_e64 v6, v10, v11, s12
	v_cndmask_b32_e64 v7, v48, v47, s12
	s_mov_b32 s14, exec_lo
	s_delay_alu instid0(VALU_DEP_2) | instskip(NEXT) | instid1(VALU_DEP_1)
	v_add_nc_u32_e32 v8, 1, v6
	v_add_min_u32_e64 v6, v7, -1, v8
	v_cndmask_b32_e64 v12, v8, v10, s12
	s_delay_alu instid0(VALU_DEP_2)
	v_lshl_add_u32 v6, v6, 3, v43
	ds_load_b64 v[6:7], v6
	s_wait_dscnt 0x0
	v_dual_cndmask_b32 v13, v11, v8, s12 :: v_dual_cndmask_b32 v16, v14, v6, s12
	v_dual_cndmask_b32 v11, v7, v5, s12 :: v_dual_cndmask_b32 v10, v6, v4, s12
	v_cndmask_b32_e64 v17, v15, v7, s12
	v_cmpx_lt_u32_e64 v12, v48
	s_cbranch_execz .LBB505_1215
; %bb.1205:
	s_mov_b32 s7, 0
	s_mov_b32 s13, exec_lo
	v_cmpx_lt_u32_e64 v13, v47
	s_cbranch_execz .LBB505_1214
; %bb.1206:
	s_and_not1_b32 vcc_lo, exec_lo, s26
	s_cbranch_vccnz .LBB505_1212
; %bb.1207:
	v_mul_u64_e32 v[6:7], s[16:17], v[10:11]
	v_mul_u64_e32 v[8:9], s[16:17], v[16:17]
	s_mov_b32 s15, 0
	s_mov_b64 s[8:9], s[16:17]
                                        ; implicit-def: $sgpr22
                                        ; implicit-def: $sgpr23
                                        ; implicit-def: $sgpr27
                                        ; implicit-def: $sgpr28
	s_delay_alu instid0(VALU_DEP_2) | instskip(NEXT) | instid1(VALU_DEP_2)
	v_lshl_add_u64 v[6:7], v[6:7], 3, s[18:19]
	v_lshl_add_u64 v[8:9], v[8:9], 3, s[18:19]
	s_branch .LBB505_1209
.LBB505_1208:                           ;   in Loop: Header=BB505_1209 Depth=1
	s_or_b32 exec_lo, exec_lo, s29
	s_delay_alu instid0(SALU_CYCLE_1) | instskip(NEXT) | instid1(SALU_CYCLE_1)
	s_and_b32 s29, exec_lo, s23
	s_or_b32 s15, s29, s15
	s_and_not1_b32 s28, s28, exec_lo
	s_and_b32 s7, s7, exec_lo
	s_and_not1_b32 s22, s22, exec_lo
	s_and_b32 s29, s27, exec_lo
	s_or_b32 s28, s28, s7
	s_or_b32 s22, s22, s29
	s_and_not1_b32 exec_lo, exec_lo, s15
	s_cbranch_execz .LBB505_1211
.LBB505_1209:                           ; =>This Inner Loop Header: Depth=1
	global_load_b64 v[22:23], v[6:7], off
	global_load_b64 v[24:25], v[8:9], off
	s_and_not1_b32 s27, s27, exec_lo
	s_or_b32 s23, s23, exec_lo
	s_wait_loadcnt 0x0
	v_cmp_le_i64_e32 vcc_lo, v[22:23], v[24:25]
	v_cmp_lt_i64_e64 s7, v[22:23], v[24:25]
	s_and_b32 s29, vcc_lo, s28
	s_delay_alu instid0(SALU_CYCLE_1) | instskip(NEXT) | instid1(SALU_CYCLE_1)
	s_or_b32 s7, s7, s29
	s_and_b32 s29, s7, exec_lo
	s_delay_alu instid0(SALU_CYCLE_1)
	s_or_b32 s27, s27, s29
	s_mov_b32 s29, exec_lo
	v_cmpx_eq_u64_e64 v[22:23], v[24:25]
	s_cbranch_execz .LBB505_1208
; %bb.1210:                             ;   in Loop: Header=BB505_1209 Depth=1
	s_add_nc_u64 s[8:9], s[8:9], -1
	v_add_nc_u64_e32 v[6:7], 8, v[6:7]
	s_cmp_eq_u64 s[8:9], 0
	v_add_nc_u64_e32 v[8:9], 8, v[8:9]
	s_cselect_b32 s28, -1, 0
	s_and_not1_b32 s23, s23, exec_lo
	s_and_b32 s28, s28, exec_lo
	s_and_not1_b32 s27, s27, exec_lo
	s_or_b32 s23, s23, s28
                                        ; implicit-def: $sgpr28
	s_branch .LBB505_1208
.LBB505_1211:
	s_or_b32 exec_lo, exec_lo, s15
	s_xor_b32 s7, s22, -1
	s_branch .LBB505_1213
.LBB505_1212:
	s_mov_b32 s7, -1
.LBB505_1213:
	s_delay_alu instid0(SALU_CYCLE_1)
	s_and_b32 s7, s7, exec_lo
.LBB505_1214:
	s_or_b32 exec_lo, exec_lo, s13
	s_delay_alu instid0(SALU_CYCLE_1)
	s_or_not1_b32 s13, s7, exec_lo
.LBB505_1215:
	s_or_b32 exec_lo, exec_lo, s14
	v_cndmask_b32_e64 v6, v12, v13, s13
	v_cndmask_b32_e64 v7, v48, v47, s13
	s_mov_b32 s15, -1
	s_mov_b32 s14, -1
	s_mov_b32 s22, exec_lo
	v_add_nc_u32_e32 v8, 1, v6
	s_delay_alu instid0(VALU_DEP_1) | instskip(SKIP_1) | instid1(VALU_DEP_2)
	v_add_min_u32_e64 v6, v7, -1, v8
	v_cndmask_b32_e64 v25, v13, v8, s13
	v_lshl_add_u32 v6, v6, 3, v43
	ds_load_b64 v[6:7], v6
	s_wait_dscnt 0x0
	v_dual_cndmask_b32 v24, v8, v12, s13 :: v_dual_cndmask_b32 v13, v7, v11, s13
	v_dual_cndmask_b32 v12, v6, v10, s13 :: v_dual_cndmask_b32 v23, v17, v7, s13
	v_cndmask_b32_e64 v22, v16, v6, s13
	s_delay_alu instid0(VALU_DEP_3)
	v_cmpx_lt_u32_e64 v24, v48
	s_cbranch_execz .LBB505_1226
; %bb.1216:
	s_mov_b32 s7, 0
	s_mov_b32 s14, exec_lo
	v_cmpx_lt_u32_e64 v25, v47
	s_cbranch_execz .LBB505_1225
; %bb.1217:
	s_and_not1_b32 vcc_lo, exec_lo, s26
	s_cbranch_vccnz .LBB505_1223
; %bb.1218:
	v_mul_u64_e32 v[6:7], s[16:17], v[12:13]
	v_mul_u64_e32 v[8:9], s[16:17], v[22:23]
	s_mov_b32 s23, 0
	s_mov_b64 s[8:9], s[16:17]
                                        ; implicit-def: $sgpr27
                                        ; implicit-def: $sgpr28
                                        ; implicit-def: $sgpr29
                                        ; implicit-def: $sgpr30
	s_delay_alu instid0(VALU_DEP_2) | instskip(NEXT) | instid1(VALU_DEP_2)
	v_lshl_add_u64 v[6:7], v[6:7], 3, s[18:19]
	v_lshl_add_u64 v[8:9], v[8:9], 3, s[18:19]
	s_branch .LBB505_1220
.LBB505_1219:                           ;   in Loop: Header=BB505_1220 Depth=1
	s_or_b32 exec_lo, exec_lo, s31
	s_delay_alu instid0(SALU_CYCLE_1) | instskip(NEXT) | instid1(SALU_CYCLE_1)
	s_and_b32 s31, exec_lo, s28
	s_or_b32 s23, s31, s23
	s_and_not1_b32 s30, s30, exec_lo
	s_and_b32 s7, s7, exec_lo
	s_and_not1_b32 s27, s27, exec_lo
	s_and_b32 s31, s29, exec_lo
	s_or_b32 s30, s30, s7
	s_or_b32 s27, s27, s31
	s_and_not1_b32 exec_lo, exec_lo, s23
	s_cbranch_execz .LBB505_1222
.LBB505_1220:                           ; =>This Inner Loop Header: Depth=1
	global_load_b64 v[26:27], v[6:7], off
	global_load_b64 v[28:29], v[8:9], off
	s_and_not1_b32 s29, s29, exec_lo
	s_or_b32 s28, s28, exec_lo
	s_wait_loadcnt 0x0
	v_cmp_le_i64_e32 vcc_lo, v[26:27], v[28:29]
	v_cmp_lt_i64_e64 s7, v[26:27], v[28:29]
	s_and_b32 s31, vcc_lo, s30
	s_delay_alu instid0(SALU_CYCLE_1) | instskip(NEXT) | instid1(SALU_CYCLE_1)
	s_or_b32 s7, s7, s31
	s_and_b32 s31, s7, exec_lo
	s_delay_alu instid0(SALU_CYCLE_1)
	s_or_b32 s29, s29, s31
	s_mov_b32 s31, exec_lo
	v_cmpx_eq_u64_e64 v[26:27], v[28:29]
	s_cbranch_execz .LBB505_1219
; %bb.1221:                             ;   in Loop: Header=BB505_1220 Depth=1
	s_add_nc_u64 s[8:9], s[8:9], -1
	v_add_nc_u64_e32 v[6:7], 8, v[6:7]
	s_cmp_eq_u64 s[8:9], 0
	v_add_nc_u64_e32 v[8:9], 8, v[8:9]
	s_cselect_b32 s30, -1, 0
	s_and_not1_b32 s28, s28, exec_lo
	s_and_b32 s30, s30, exec_lo
	s_and_not1_b32 s29, s29, exec_lo
	s_or_b32 s28, s28, s30
                                        ; implicit-def: $sgpr30
	s_branch .LBB505_1219
.LBB505_1222:
	s_or_b32 exec_lo, exec_lo, s23
	s_xor_b32 s7, s27, -1
	s_branch .LBB505_1224
.LBB505_1223:
	s_mov_b32 s7, -1
.LBB505_1224:
	s_delay_alu instid0(SALU_CYCLE_1)
	s_and_b32 s7, s7, exec_lo
.LBB505_1225:
	s_or_b32 exec_lo, exec_lo, s14
	s_delay_alu instid0(SALU_CYCLE_1)
	s_or_not1_b32 s14, s7, exec_lo
.LBB505_1226:
	s_or_b32 exec_lo, exec_lo, s22
	v_cndmask_b32_e64 v6, v24, v25, s14
	v_cndmask_b32_e64 v7, v48, v47, s14
	s_mov_b32 s22, exec_lo
	s_delay_alu instid0(VALU_DEP_2) | instskip(NEXT) | instid1(VALU_DEP_1)
	v_add_nc_u32_e32 v6, 1, v6
	v_add_min_u32_e64 v7, v7, -1, v6
	v_dual_cndmask_b32 v28, v6, v24, s14 :: v_dual_cndmask_b32 v29, v25, v6, s14
	s_delay_alu instid0(VALU_DEP_2)
	v_lshl_add_u32 v7, v7, 3, v43
	ds_load_b64 v[8:9], v7
	s_wait_dscnt 0x0
	v_dual_cndmask_b32 v7, v9, v13, s14 :: v_dual_cndmask_b32 v6, v8, v12, s14
	v_dual_cndmask_b32 v25, v23, v9, s14 :: v_dual_cndmask_b32 v24, v22, v8, s14
	v_cmpx_lt_u32_e64 v28, v48
	s_cbranch_execz .LBB505_1237
; %bb.1227:
	s_mov_b32 s7, 0
	s_mov_b32 s15, exec_lo
	v_cmpx_lt_u32_e64 v29, v47
	s_cbranch_execz .LBB505_1236
; %bb.1228:
	s_and_not1_b32 vcc_lo, exec_lo, s26
	s_cbranch_vccnz .LBB505_1234
; %bb.1229:
	v_mul_u64_e32 v[8:9], s[16:17], v[6:7]
	v_mul_u64_e32 v[26:27], s[16:17], v[24:25]
	s_mov_b32 s23, 0
	s_mov_b64 s[8:9], s[16:17]
                                        ; implicit-def: $sgpr27
                                        ; implicit-def: $sgpr28
                                        ; implicit-def: $sgpr29
                                        ; implicit-def: $sgpr30
	s_delay_alu instid0(VALU_DEP_2) | instskip(NEXT) | instid1(VALU_DEP_2)
	v_lshl_add_u64 v[8:9], v[8:9], 3, s[18:19]
	v_lshl_add_u64 v[26:27], v[26:27], 3, s[18:19]
	s_branch .LBB505_1231
.LBB505_1230:                           ;   in Loop: Header=BB505_1231 Depth=1
	s_or_b32 exec_lo, exec_lo, s31
	s_delay_alu instid0(SALU_CYCLE_1) | instskip(NEXT) | instid1(SALU_CYCLE_1)
	s_and_b32 s31, exec_lo, s28
	s_or_b32 s23, s31, s23
	s_and_not1_b32 s30, s30, exec_lo
	s_and_b32 s7, s7, exec_lo
	s_and_not1_b32 s27, s27, exec_lo
	s_and_b32 s31, s29, exec_lo
	s_or_b32 s30, s30, s7
	s_or_b32 s27, s27, s31
	s_and_not1_b32 exec_lo, exec_lo, s23
	s_cbranch_execz .LBB505_1233
.LBB505_1231:                           ; =>This Inner Loop Header: Depth=1
	global_load_b64 v[30:31], v[8:9], off
	global_load_b64 v[32:33], v[26:27], off
	s_and_not1_b32 s29, s29, exec_lo
	s_or_b32 s28, s28, exec_lo
	s_wait_loadcnt 0x0
	v_cmp_le_i64_e32 vcc_lo, v[30:31], v[32:33]
	v_cmp_lt_i64_e64 s7, v[30:31], v[32:33]
	s_and_b32 s31, vcc_lo, s30
	s_delay_alu instid0(SALU_CYCLE_1) | instskip(NEXT) | instid1(SALU_CYCLE_1)
	s_or_b32 s7, s7, s31
	s_and_b32 s31, s7, exec_lo
	s_delay_alu instid0(SALU_CYCLE_1)
	s_or_b32 s29, s29, s31
	s_mov_b32 s31, exec_lo
	v_cmpx_eq_u64_e64 v[30:31], v[32:33]
	s_cbranch_execz .LBB505_1230
; %bb.1232:                             ;   in Loop: Header=BB505_1231 Depth=1
	s_add_nc_u64 s[8:9], s[8:9], -1
	v_add_nc_u64_e32 v[8:9], 8, v[8:9]
	s_cmp_eq_u64 s[8:9], 0
	v_add_nc_u64_e32 v[26:27], 8, v[26:27]
	s_cselect_b32 s30, -1, 0
	s_and_not1_b32 s28, s28, exec_lo
	s_and_b32 s30, s30, exec_lo
	s_and_not1_b32 s29, s29, exec_lo
	s_or_b32 s28, s28, s30
                                        ; implicit-def: $sgpr30
	s_branch .LBB505_1230
.LBB505_1233:
	s_or_b32 exec_lo, exec_lo, s23
	s_xor_b32 s7, s27, -1
	s_branch .LBB505_1235
.LBB505_1234:
	s_mov_b32 s7, -1
.LBB505_1235:
	s_delay_alu instid0(SALU_CYCLE_1)
	s_and_b32 s7, s7, exec_lo
.LBB505_1236:
	s_or_b32 exec_lo, exec_lo, s15
	s_delay_alu instid0(SALU_CYCLE_1)
	s_or_not1_b32 s15, s7, exec_lo
.LBB505_1237:
	s_or_b32 exec_lo, exec_lo, s22
	v_cndmask_b32_e64 v8, v28, v29, s15
	v_cndmask_b32_e64 v9, v48, v47, s15
	s_mov_b32 s22, -1
	s_mov_b32 s23, -1
	s_mov_b32 s27, exec_lo
	v_add_nc_u32_e32 v8, 1, v8
	s_delay_alu instid0(VALU_DEP_1) | instskip(NEXT) | instid1(VALU_DEP_1)
	v_add_min_u32_e64 v9, v9, -1, v8
	v_lshl_add_u32 v9, v9, 3, v43
	ds_load_b64 v[26:27], v9
	v_cndmask_b32_e64 v32, v8, v28, s15
	s_wait_dscnt 0x0
	v_dual_cndmask_b32 v33, v29, v8, s15 :: v_dual_cndmask_b32 v9, v27, v7, s15
	v_dual_cndmask_b32 v8, v26, v6, s15 :: v_dual_cndmask_b32 v27, v25, v27, s15
	v_cndmask_b32_e64 v26, v24, v26, s15
	v_cmpx_lt_u32_e64 v32, v48
	s_cbranch_execz .LBB505_1248
; %bb.1238:
	s_mov_b32 s7, 0
	s_mov_b32 s23, exec_lo
	v_cmpx_lt_u32_e64 v33, v47
	s_cbranch_execz .LBB505_1247
; %bb.1239:
	s_and_not1_b32 vcc_lo, exec_lo, s26
	s_cbranch_vccnz .LBB505_1245
; %bb.1240:
	v_mul_u64_e32 v[28:29], s[16:17], v[8:9]
	v_mul_u64_e32 v[30:31], s[16:17], v[26:27]
	s_mov_b32 s28, 0
	s_mov_b64 s[8:9], s[16:17]
                                        ; implicit-def: $sgpr29
                                        ; implicit-def: $sgpr30
                                        ; implicit-def: $sgpr31
                                        ; implicit-def: $sgpr33
	s_delay_alu instid0(VALU_DEP_2) | instskip(NEXT) | instid1(VALU_DEP_2)
	v_lshl_add_u64 v[28:29], v[28:29], 3, s[18:19]
	v_lshl_add_u64 v[30:31], v[30:31], 3, s[18:19]
	s_branch .LBB505_1242
.LBB505_1241:                           ;   in Loop: Header=BB505_1242 Depth=1
	s_or_b32 exec_lo, exec_lo, s34
	s_delay_alu instid0(SALU_CYCLE_1) | instskip(NEXT) | instid1(SALU_CYCLE_1)
	s_and_b32 s34, exec_lo, s30
	s_or_b32 s28, s34, s28
	s_and_not1_b32 s33, s33, exec_lo
	s_and_b32 s7, s7, exec_lo
	s_and_not1_b32 s29, s29, exec_lo
	s_and_b32 s34, s31, exec_lo
	s_or_b32 s33, s33, s7
	s_or_b32 s29, s29, s34
	s_and_not1_b32 exec_lo, exec_lo, s28
	s_cbranch_execz .LBB505_1244
.LBB505_1242:                           ; =>This Inner Loop Header: Depth=1
	global_load_b64 v[34:35], v[28:29], off
	global_load_b64 v[50:51], v[30:31], off
	s_and_not1_b32 s31, s31, exec_lo
	s_or_b32 s30, s30, exec_lo
	s_wait_loadcnt 0x0
	v_cmp_le_i64_e32 vcc_lo, v[34:35], v[50:51]
	v_cmp_lt_i64_e64 s7, v[34:35], v[50:51]
	s_and_b32 s34, vcc_lo, s33
	s_delay_alu instid0(SALU_CYCLE_1) | instskip(NEXT) | instid1(SALU_CYCLE_1)
	s_or_b32 s7, s7, s34
	s_and_b32 s34, s7, exec_lo
	s_delay_alu instid0(SALU_CYCLE_1)
	s_or_b32 s31, s31, s34
	s_mov_b32 s34, exec_lo
	v_cmpx_eq_u64_e64 v[34:35], v[50:51]
	s_cbranch_execz .LBB505_1241
; %bb.1243:                             ;   in Loop: Header=BB505_1242 Depth=1
	s_add_nc_u64 s[8:9], s[8:9], -1
	v_add_nc_u64_e32 v[28:29], 8, v[28:29]
	s_cmp_eq_u64 s[8:9], 0
	v_add_nc_u64_e32 v[30:31], 8, v[30:31]
	s_cselect_b32 s33, -1, 0
	s_and_not1_b32 s30, s30, exec_lo
	s_and_b32 s33, s33, exec_lo
	s_and_not1_b32 s31, s31, exec_lo
	s_or_b32 s30, s30, s33
                                        ; implicit-def: $sgpr33
	s_branch .LBB505_1241
.LBB505_1244:
	s_or_b32 exec_lo, exec_lo, s28
	s_xor_b32 s7, s29, -1
	s_branch .LBB505_1246
.LBB505_1245:
	s_mov_b32 s7, -1
.LBB505_1246:
	s_delay_alu instid0(SALU_CYCLE_1)
	s_and_b32 s7, s7, exec_lo
.LBB505_1247:
	s_or_b32 exec_lo, exec_lo, s23
	s_delay_alu instid0(SALU_CYCLE_1)
	s_or_not1_b32 s23, s7, exec_lo
.LBB505_1248:
	s_or_b32 exec_lo, exec_lo, s27
	v_cndmask_b32_e64 v28, v32, v33, s23
	v_cndmask_b32_e64 v29, v48, v47, s23
	s_mov_b32 s27, exec_lo
	s_delay_alu instid0(VALU_DEP_2) | instskip(NEXT) | instid1(VALU_DEP_1)
	v_add_nc_u32_e32 v28, 1, v28
	v_add_min_u32_e64 v29, v29, -1, v28
	s_delay_alu instid0(VALU_DEP_1)
	v_lshl_add_u32 v29, v29, 3, v43
	ds_load_b64 v[30:31], v29
	v_cndmask_b32_e64 v50, v28, v32, s23
	s_wait_dscnt 0x0
	v_dual_cndmask_b32 v49, v33, v28, s23 :: v_dual_cndmask_b32 v29, v31, v9, s23
	v_dual_cndmask_b32 v28, v30, v8, s23 :: v_dual_cndmask_b32 v31, v27, v31, s23
	v_cndmask_b32_e64 v30, v26, v30, s23
	v_cmpx_lt_u32_e64 v50, v48
	s_cbranch_execz .LBB505_1259
; %bb.1249:
	s_mov_b32 s7, 0
	s_mov_b32 s22, exec_lo
	v_cmpx_lt_u32_e64 v49, v47
	s_cbranch_execz .LBB505_1258
; %bb.1250:
	s_and_not1_b32 vcc_lo, exec_lo, s26
	s_cbranch_vccnz .LBB505_1256
; %bb.1251:
	v_mul_u64_e32 v[32:33], s[16:17], v[28:29]
	v_mul_u64_e32 v[34:35], s[16:17], v[30:31]
	s_mov_b32 s28, 0
	s_mov_b64 s[8:9], s[16:17]
                                        ; implicit-def: $sgpr29
                                        ; implicit-def: $sgpr30
                                        ; implicit-def: $sgpr31
                                        ; implicit-def: $sgpr33
	s_delay_alu instid0(VALU_DEP_2) | instskip(NEXT) | instid1(VALU_DEP_2)
	v_lshl_add_u64 v[32:33], v[32:33], 3, s[18:19]
	v_lshl_add_u64 v[34:35], v[34:35], 3, s[18:19]
	s_branch .LBB505_1253
.LBB505_1252:                           ;   in Loop: Header=BB505_1253 Depth=1
	s_or_b32 exec_lo, exec_lo, s34
	s_delay_alu instid0(SALU_CYCLE_1) | instskip(NEXT) | instid1(SALU_CYCLE_1)
	s_and_b32 s34, exec_lo, s30
	s_or_b32 s28, s34, s28
	s_and_not1_b32 s33, s33, exec_lo
	s_and_b32 s7, s7, exec_lo
	s_and_not1_b32 s29, s29, exec_lo
	s_and_b32 s34, s31, exec_lo
	s_or_b32 s33, s33, s7
	s_or_b32 s29, s29, s34
	s_and_not1_b32 exec_lo, exec_lo, s28
	s_cbranch_execz .LBB505_1255
.LBB505_1253:                           ; =>This Inner Loop Header: Depth=1
	global_load_b64 v[52:53], v[32:33], off
	global_load_b64 v[54:55], v[34:35], off
	s_and_not1_b32 s31, s31, exec_lo
	s_or_b32 s30, s30, exec_lo
	s_wait_loadcnt 0x0
	v_cmp_le_i64_e32 vcc_lo, v[52:53], v[54:55]
	v_cmp_lt_i64_e64 s7, v[52:53], v[54:55]
	s_and_b32 s34, vcc_lo, s33
	s_delay_alu instid0(SALU_CYCLE_1) | instskip(NEXT) | instid1(SALU_CYCLE_1)
	s_or_b32 s7, s7, s34
	s_and_b32 s34, s7, exec_lo
	s_delay_alu instid0(SALU_CYCLE_1)
	s_or_b32 s31, s31, s34
	s_mov_b32 s34, exec_lo
	v_cmpx_eq_u64_e64 v[52:53], v[54:55]
	s_cbranch_execz .LBB505_1252
; %bb.1254:                             ;   in Loop: Header=BB505_1253 Depth=1
	s_add_nc_u64 s[8:9], s[8:9], -1
	v_add_nc_u64_e32 v[32:33], 8, v[32:33]
	s_cmp_eq_u64 s[8:9], 0
	v_add_nc_u64_e32 v[34:35], 8, v[34:35]
	s_cselect_b32 s33, -1, 0
	s_and_not1_b32 s30, s30, exec_lo
	s_and_b32 s33, s33, exec_lo
	s_and_not1_b32 s31, s31, exec_lo
	s_or_b32 s30, s30, s33
                                        ; implicit-def: $sgpr33
	s_branch .LBB505_1252
.LBB505_1255:
	s_or_b32 exec_lo, exec_lo, s28
	s_xor_b32 s7, s29, -1
	s_branch .LBB505_1257
.LBB505_1256:
	s_mov_b32 s7, -1
.LBB505_1257:
	s_delay_alu instid0(SALU_CYCLE_1)
	s_and_b32 s7, s7, exec_lo
.LBB505_1258:
	s_or_b32 exec_lo, exec_lo, s22
	s_delay_alu instid0(SALU_CYCLE_1)
	s_or_not1_b32 s22, s7, exec_lo
.LBB505_1259:
	s_or_b32 exec_lo, exec_lo, s27
	v_dual_cndmask_b32 v32, v50, v49, s22 :: v_dual_cndmask_b32 v33, v48, v47, s22
	v_dual_cndmask_b32 v8, v8, v26, s23 :: v_dual_cndmask_b32 v7, v7, v25, s15
	;; [unrolled: 1-line block ×3, first 2 shown]
	s_delay_alu instid0(VALU_DEP_3) | instskip(SKIP_2) | instid1(VALU_DEP_3)
	v_dual_add_nc_u32 v34, 1, v32 :: v_dual_cndmask_b32 v9, v9, v27, s23
	v_dual_cndmask_b32 v12, v12, v22, s14 :: v_dual_cndmask_b32 v11, v11, v17, s13
	v_dual_cndmask_b32 v10, v10, v16, s13 :: v_dual_cndmask_b32 v17, v5, v15, s12
	v_add_min_u32_e64 v32, v33, -1, v34
	v_dual_cndmask_b32 v16, v4, v14, s12 :: v_dual_cndmask_b32 v15, v3, v1, s11
	v_dual_cndmask_b32 v14, v2, v0, s11 :: v_dual_cndmask_b32 v3, v29, v31, s22
	s_delay_alu instid0(VALU_DEP_3)
	v_lshl_add_u32 v32, v32, 3, v43
	s_mov_b32 s11, exec_lo
	ds_load_b64 v[32:33], v32
	v_cndmask_b32_e64 v0, v34, v50, s22
	s_wait_dscnt 0x0
	v_dual_cndmask_b32 v2, v28, v30, s22 :: v_dual_cndmask_b32 v4, v30, v32, s22
	v_cndmask_b32_e64 v5, v31, v33, s22
	s_delay_alu instid0(VALU_DEP_3)
	v_cmpx_lt_u32_e64 v0, v48
	s_cbranch_execz .LBB505_1269
; %bb.1260:
	v_dual_cndmask_b32 v22, v49, v34, s22 :: v_dual_cndmask_b32 v0, v32, v28, s22
	v_cndmask_b32_e64 v1, v33, v29, s22
	s_mov_b32 s12, exec_lo
	s_delay_alu instid0(VALU_DEP_2)
	v_cmpx_lt_u32_e64 v22, v47
	s_cbranch_execz .LBB505_1268
; %bb.1261:
	s_and_not1_b32 vcc_lo, exec_lo, s26
	s_cbranch_vccnz .LBB505_1267
; %bb.1262:
	v_mul_u64_e32 v[22:23], s[16:17], v[0:1]
	v_mul_u64_e32 v[24:25], s[16:17], v[4:5]
	s_mov_b32 s13, 0
	s_mov_b64 s[8:9], s[16:17]
                                        ; implicit-def: $sgpr14
                                        ; implicit-def: $sgpr15
                                        ; implicit-def: $sgpr22
                                        ; implicit-def: $sgpr23
	s_delay_alu instid0(VALU_DEP_2) | instskip(NEXT) | instid1(VALU_DEP_2)
	v_lshl_add_u64 v[22:23], v[22:23], 3, s[18:19]
	v_lshl_add_u64 v[24:25], v[24:25], 3, s[18:19]
	s_branch .LBB505_1264
.LBB505_1263:                           ;   in Loop: Header=BB505_1264 Depth=1
	s_or_b32 exec_lo, exec_lo, s27
	s_delay_alu instid0(SALU_CYCLE_1) | instskip(NEXT) | instid1(SALU_CYCLE_1)
	s_and_b32 s27, exec_lo, s15
	s_or_b32 s13, s27, s13
	s_and_not1_b32 s23, s23, exec_lo
	s_and_b32 s7, s7, exec_lo
	s_and_not1_b32 s14, s14, exec_lo
	s_and_b32 s27, s22, exec_lo
	s_or_b32 s23, s23, s7
	s_or_b32 s14, s14, s27
	s_and_not1_b32 exec_lo, exec_lo, s13
	s_cbranch_execz .LBB505_1266
.LBB505_1264:                           ; =>This Inner Loop Header: Depth=1
	global_load_b64 v[26:27], v[22:23], off
	global_load_b64 v[28:29], v[24:25], off
	s_and_not1_b32 s22, s22, exec_lo
	s_or_b32 s15, s15, exec_lo
	s_wait_loadcnt 0x0
	v_cmp_le_i64_e32 vcc_lo, v[26:27], v[28:29]
	v_cmp_lt_i64_e64 s7, v[26:27], v[28:29]
	s_and_b32 s27, vcc_lo, s23
	s_delay_alu instid0(SALU_CYCLE_1) | instskip(NEXT) | instid1(SALU_CYCLE_1)
	s_or_b32 s7, s7, s27
	s_and_b32 s27, s7, exec_lo
	s_delay_alu instid0(SALU_CYCLE_1)
	s_or_b32 s22, s22, s27
	s_mov_b32 s27, exec_lo
	v_cmpx_eq_u64_e64 v[26:27], v[28:29]
	s_cbranch_execz .LBB505_1263
; %bb.1265:                             ;   in Loop: Header=BB505_1264 Depth=1
	s_add_nc_u64 s[8:9], s[8:9], -1
	v_add_nc_u64_e32 v[22:23], 8, v[22:23]
	s_cmp_eq_u64 s[8:9], 0
	v_add_nc_u64_e32 v[24:25], 8, v[24:25]
	s_cselect_b32 s23, -1, 0
	s_and_not1_b32 s15, s15, exec_lo
	s_and_b32 s23, s23, exec_lo
	s_and_not1_b32 s22, s22, exec_lo
	s_or_b32 s15, s15, s23
                                        ; implicit-def: $sgpr23
	s_branch .LBB505_1263
.LBB505_1266:
	s_or_b32 exec_lo, exec_lo, s13
	v_dual_cndmask_b32 v5, v5, v1, s14 :: v_dual_cndmask_b32 v4, v4, v0, s14
.LBB505_1267:
	s_delay_alu instid0(VALU_DEP_1)
	v_mov_b64_e32 v[0:1], v[4:5]
.LBB505_1268:
	s_or_b32 exec_lo, exec_lo, s12
	s_delay_alu instid0(VALU_DEP_1)
	v_mov_b64_e32 v[4:5], v[0:1]
.LBB505_1269:
	s_or_b32 exec_lo, exec_lo, s11
.LBB505_1270:
	s_delay_alu instid0(SALU_CYCLE_1)
	s_or_b32 exec_lo, exec_lo, s10
	v_and_b32_e32 v26, 0x80, v45
	s_mov_b32 s12, exec_lo
	; wave barrier
	ds_store_b128 v46, v[14:17]
	ds_store_b128 v46, v[10:13] offset:16
	v_or_b32_e32 v0, 64, v26
	v_lshl_add_u32 v25, v26, 3, v43
	ds_store_b128 v46, v[6:9] offset:32
	ds_store_b128 v46, v[2:5] offset:48
	; wave barrier
	v_min_u32_e32 v47, v44, v0
	v_and_b32_e32 v0, 0x78, v45
	s_delay_alu instid0(VALU_DEP_2) | instskip(NEXT) | instid1(VALU_DEP_2)
	v_add_min_u32_e64 v45, v47, 64, v44
	v_min_u32_e32 v27, v44, v0
	s_delay_alu instid0(VALU_DEP_2) | instskip(NEXT) | instid1(VALU_DEP_1)
	v_dual_sub_nc_u32 v1, v47, v26 :: v_dual_sub_nc_u32 v0, v45, v47
	v_min_u32_e32 v28, v27, v1
	s_delay_alu instid0(VALU_DEP_2) | instskip(NEXT) | instid1(VALU_DEP_1)
	v_sub_nc_u32_e64 v24, v27, v0 clamp
	v_cmpx_lt_u32_e64 v24, v28
	s_cbranch_execz .LBB505_1280
; %bb.1271:
	v_lshlrev_b32_e32 v0, 3, v47
	v_lshlrev_b32_e32 v1, 3, v27
	s_lshl_b64 s[8:9], s[16:17], 3
	s_mov_b32 s13, 0
	s_delay_alu instid0(VALU_DEP_1)
	v_add3_u32 v29, v43, v0, v1
	s_branch .LBB505_1274
.LBB505_1272:                           ;   in Loop: Header=BB505_1274 Depth=1
	s_or_b32 exec_lo, exec_lo, s15
.LBB505_1273:                           ;   in Loop: Header=BB505_1274 Depth=1
	s_delay_alu instid0(VALU_DEP_1) | instskip(NEXT) | instid1(VALU_DEP_1)
	v_dual_add_nc_u32 v0, 1, v30 :: v_dual_cndmask_b32 v28, v28, v30, s14
	v_cndmask_b32_e64 v24, v0, v24, s14
	s_delay_alu instid0(VALU_DEP_1) | instskip(SKIP_1) | instid1(SALU_CYCLE_1)
	v_cmp_ge_u32_e32 vcc_lo, v24, v28
	s_or_b32 s13, vcc_lo, s13
	s_and_not1_b32 exec_lo, exec_lo, s13
	s_cbranch_execz .LBB505_1279
.LBB505_1274:                           ; =>This Loop Header: Depth=1
                                        ;     Child Loop BB505_1277 Depth 2
	v_add_nc_u32_e32 v0, v28, v24
	s_and_not1_b32 vcc_lo, exec_lo, s26
	s_mov_b32 s14, 0
	s_delay_alu instid0(VALU_DEP_1)
	v_lshrrev_b32_e32 v30, 1, v0
	s_cbranch_vccnz .LBB505_1273
; %bb.1275:                             ;   in Loop: Header=BB505_1274 Depth=1
	s_delay_alu instid0(VALU_DEP_1) | instskip(SKIP_3) | instid1(VALU_DEP_2)
	v_not_b32_e32 v0, v30
	v_lshl_add_u32 v1, v30, 3, v25
	s_mov_b32 s15, 0
	s_mov_b64 s[10:11], s[16:17]
                                        ; implicit-def: $sgpr14
                                        ; implicit-def: $sgpr22
                                        ; implicit-def: $sgpr23
                                        ; implicit-def: $sgpr27
	v_lshl_add_u32 v0, v0, 3, v29
	ds_load_b64 v[32:33], v0
	ds_load_b64 v[34:35], v1
	s_wait_dscnt 0x1
	v_mad_nc_u64_u32 v[0:1], s8, v32, s[18:19]
	s_wait_dscnt 0x0
	v_mad_nc_u64_u32 v[22:23], s8, v34, s[18:19]
	s_delay_alu instid0(VALU_DEP_2) | instskip(NEXT) | instid1(VALU_DEP_2)
	v_mad_u32 v1, s9, v32, v1
	v_mad_u32 v23, s9, v34, v23
	s_delay_alu instid0(VALU_DEP_2) | instskip(NEXT) | instid1(VALU_DEP_2)
	v_mad_u32 v1, s8, v33, v1
	v_mad_u32 v23, s8, v35, v23
	s_branch .LBB505_1277
.LBB505_1276:                           ;   in Loop: Header=BB505_1277 Depth=2
	s_or_b32 exec_lo, exec_lo, s28
	s_delay_alu instid0(SALU_CYCLE_1) | instskip(NEXT) | instid1(SALU_CYCLE_1)
	s_and_b32 s28, exec_lo, s22
	s_or_b32 s15, s28, s15
	s_and_not1_b32 s27, s27, exec_lo
	s_and_b32 s7, s7, exec_lo
	s_and_not1_b32 s14, s14, exec_lo
	s_and_b32 s28, s23, exec_lo
	s_or_b32 s27, s27, s7
	s_or_b32 s14, s14, s28
	s_and_not1_b32 exec_lo, exec_lo, s15
	s_cbranch_execz .LBB505_1272
.LBB505_1277:                           ;   Parent Loop BB505_1274 Depth=1
                                        ; =>  This Inner Loop Header: Depth=2
	global_load_b64 v[32:33], v[0:1], off
	global_load_b64 v[34:35], v[22:23], off
	s_and_not1_b32 s23, s23, exec_lo
	s_or_b32 s22, s22, exec_lo
	s_wait_loadcnt 0x0
	v_cmp_le_i64_e32 vcc_lo, v[32:33], v[34:35]
	v_cmp_lt_i64_e64 s7, v[32:33], v[34:35]
	s_and_b32 s28, vcc_lo, s27
	s_delay_alu instid0(SALU_CYCLE_1) | instskip(NEXT) | instid1(SALU_CYCLE_1)
	s_or_b32 s7, s7, s28
	s_and_b32 s28, s7, exec_lo
	s_delay_alu instid0(SALU_CYCLE_1)
	s_or_b32 s23, s23, s28
	s_mov_b32 s28, exec_lo
	v_cmpx_eq_u64_e64 v[32:33], v[34:35]
	s_cbranch_execz .LBB505_1276
; %bb.1278:                             ;   in Loop: Header=BB505_1277 Depth=2
	s_add_nc_u64 s[10:11], s[10:11], -1
	v_add_nc_u64_e32 v[0:1], 8, v[0:1]
	s_cmp_eq_u64 s[10:11], 0
	v_add_nc_u64_e32 v[22:23], 8, v[22:23]
	s_cselect_b32 s27, -1, 0
	s_and_not1_b32 s22, s22, exec_lo
	s_and_b32 s27, s27, exec_lo
	s_and_not1_b32 s23, s23, exec_lo
	s_or_b32 s22, s22, s27
                                        ; implicit-def: $sgpr27
	s_branch .LBB505_1276
.LBB505_1279:
	s_or_b32 exec_lo, exec_lo, s13
.LBB505_1280:
	s_delay_alu instid0(SALU_CYCLE_1) | instskip(SKIP_1) | instid1(VALU_DEP_1)
	s_or_b32 exec_lo, exec_lo, s12
	v_dual_add_nc_u32 v0, v47, v27 :: v_dual_add_nc_u32 v22, v24, v26
	v_sub_nc_u32_e32 v23, v0, v24
	s_delay_alu instid0(VALU_DEP_2) | instskip(NEXT) | instid1(VALU_DEP_2)
	v_cmp_le_u32_e32 vcc_lo, v22, v47
	v_cmp_le_u32_e64 s7, v23, v45
	s_or_b32 s7, vcc_lo, s7
	s_delay_alu instid0(SALU_CYCLE_1)
	s_and_saveexec_b32 s10, s7
	s_cbranch_execz .LBB505_1371
; %bb.1281:
	s_mov_b32 s8, exec_lo
	v_cmp_ge_u32_e32 vcc_lo, v22, v47
                                        ; implicit-def: $vgpr0_vgpr1
	v_cmpx_lt_u32_e64 v22, v47
; %bb.1282:
	v_lshl_add_u32 v0, v24, 3, v25
	ds_load_b64 v[0:1], v0
; %bb.1283:
	s_or_b32 exec_lo, exec_lo, s8
	v_cmp_ge_u32_e64 s11, v23, v45
	s_mov_b32 s8, exec_lo
                                        ; implicit-def: $vgpr2_vgpr3
	v_cmpx_lt_u32_e64 v23, v45
; %bb.1284:
	v_lshl_add_u32 v2, v23, 3, v43
	ds_load_b64 v[2:3], v2
; %bb.1285:
	s_or_b32 exec_lo, exec_lo, s8
	s_nor_b32 s7, vcc_lo, s11
	s_delay_alu instid0(SALU_CYCLE_1)
	s_and_saveexec_b32 s12, s7
	s_cbranch_execz .LBB505_1294
; %bb.1286:
	s_and_not1_b32 vcc_lo, exec_lo, s26
	s_cbranch_vccnz .LBB505_1292
; %bb.1287:
	s_wait_dscnt 0x0
	v_mul_u64_e32 v[4:5], s[16:17], v[2:3]
	v_mul_u64_e32 v[6:7], s[16:17], v[0:1]
	s_mov_b32 s13, 0
	s_mov_b64 s[8:9], s[16:17]
                                        ; implicit-def: $sgpr14
                                        ; implicit-def: $sgpr15
                                        ; implicit-def: $sgpr22
                                        ; implicit-def: $sgpr23
	s_delay_alu instid0(VALU_DEP_2) | instskip(NEXT) | instid1(VALU_DEP_2)
	v_lshl_add_u64 v[4:5], v[4:5], 3, s[18:19]
	v_lshl_add_u64 v[6:7], v[6:7], 3, s[18:19]
	s_branch .LBB505_1289
.LBB505_1288:                           ;   in Loop: Header=BB505_1289 Depth=1
	s_or_b32 exec_lo, exec_lo, s27
	s_delay_alu instid0(SALU_CYCLE_1) | instskip(NEXT) | instid1(SALU_CYCLE_1)
	s_and_b32 s27, exec_lo, s15
	s_or_b32 s13, s27, s13
	s_and_not1_b32 s23, s23, exec_lo
	s_and_b32 s7, s7, exec_lo
	s_and_not1_b32 s14, s14, exec_lo
	s_and_b32 s27, s22, exec_lo
	s_or_b32 s23, s23, s7
	s_or_b32 s14, s14, s27
	s_and_not1_b32 exec_lo, exec_lo, s13
	s_cbranch_execz .LBB505_1291
.LBB505_1289:                           ; =>This Inner Loop Header: Depth=1
	global_load_b64 v[8:9], v[4:5], off
	global_load_b64 v[10:11], v[6:7], off
	s_and_not1_b32 s22, s22, exec_lo
	s_or_b32 s15, s15, exec_lo
	s_wait_loadcnt 0x0
	v_cmp_le_i64_e32 vcc_lo, v[8:9], v[10:11]
	v_cmp_lt_i64_e64 s7, v[8:9], v[10:11]
	s_and_b32 s27, vcc_lo, s23
	s_delay_alu instid0(SALU_CYCLE_1) | instskip(NEXT) | instid1(SALU_CYCLE_1)
	s_or_b32 s7, s7, s27
	s_and_b32 s27, s7, exec_lo
	s_delay_alu instid0(SALU_CYCLE_1)
	s_or_b32 s22, s22, s27
	s_mov_b32 s27, exec_lo
	v_cmpx_eq_u64_e64 v[8:9], v[10:11]
	s_cbranch_execz .LBB505_1288
; %bb.1290:                             ;   in Loop: Header=BB505_1289 Depth=1
	s_add_nc_u64 s[8:9], s[8:9], -1
	v_add_nc_u64_e32 v[4:5], 8, v[4:5]
	s_cmp_eq_u64 s[8:9], 0
	v_add_nc_u64_e32 v[6:7], 8, v[6:7]
	s_cselect_b32 s23, -1, 0
	s_and_not1_b32 s15, s15, exec_lo
	s_and_b32 s23, s23, exec_lo
	s_and_not1_b32 s22, s22, exec_lo
	s_or_b32 s15, s15, s23
                                        ; implicit-def: $sgpr23
	s_branch .LBB505_1288
.LBB505_1291:
	s_or_b32 exec_lo, exec_lo, s13
	s_xor_b32 s7, s14, -1
	s_branch .LBB505_1293
.LBB505_1292:
	s_mov_b32 s7, -1
.LBB505_1293:
	s_and_not1_b32 s8, s11, exec_lo
	s_and_b32 s7, s7, exec_lo
	s_delay_alu instid0(SALU_CYCLE_1)
	s_or_b32 s11, s8, s7
.LBB505_1294:
	s_or_b32 exec_lo, exec_lo, s12
	v_dual_cndmask_b32 v4, v23, v22, s11 :: v_dual_cndmask_b32 v5, v45, v47, s11
	s_mov_b32 s13, -1
	s_mov_b32 s12, -1
	s_mov_b32 s14, exec_lo
	s_delay_alu instid0(VALU_DEP_1) | instskip(NEXT) | instid1(VALU_DEP_1)
	v_add_nc_u32_e32 v4, 1, v4
	v_add_min_u32_e64 v5, v5, -1, v4
	s_delay_alu instid0(VALU_DEP_1)
	v_lshl_add_u32 v5, v5, 3, v43
	ds_load_b64 v[6:7], v5
	s_wait_dscnt 0x0
	v_cndmask_b32_e64 v5, v7, v3, s11
	v_dual_cndmask_b32 v10, v4, v23, s11 :: v_dual_cndmask_b32 v11, v22, v4, s11
	v_dual_cndmask_b32 v4, v6, v2, s11 :: v_dual_cndmask_b32 v15, v1, v7, s11
	v_cndmask_b32_e64 v14, v0, v6, s11
	s_delay_alu instid0(VALU_DEP_3)
	v_cmpx_lt_u32_e64 v10, v45
	s_cbranch_execz .LBB505_1305
; %bb.1295:
	s_mov_b32 s7, 0
	s_mov_b32 s12, exec_lo
	v_cmpx_lt_u32_e64 v11, v47
	s_cbranch_execz .LBB505_1304
; %bb.1296:
	s_and_not1_b32 vcc_lo, exec_lo, s26
	s_cbranch_vccnz .LBB505_1302
; %bb.1297:
	v_mul_u64_e32 v[6:7], s[16:17], v[4:5]
	v_mul_u64_e32 v[8:9], s[16:17], v[14:15]
	s_mov_b32 s15, 0
	s_mov_b64 s[8:9], s[16:17]
                                        ; implicit-def: $sgpr22
                                        ; implicit-def: $sgpr23
                                        ; implicit-def: $sgpr27
                                        ; implicit-def: $sgpr28
	s_delay_alu instid0(VALU_DEP_2) | instskip(NEXT) | instid1(VALU_DEP_2)
	v_lshl_add_u64 v[6:7], v[6:7], 3, s[18:19]
	v_lshl_add_u64 v[8:9], v[8:9], 3, s[18:19]
	s_branch .LBB505_1299
.LBB505_1298:                           ;   in Loop: Header=BB505_1299 Depth=1
	s_or_b32 exec_lo, exec_lo, s29
	s_delay_alu instid0(SALU_CYCLE_1) | instskip(NEXT) | instid1(SALU_CYCLE_1)
	s_and_b32 s29, exec_lo, s23
	s_or_b32 s15, s29, s15
	s_and_not1_b32 s28, s28, exec_lo
	s_and_b32 s7, s7, exec_lo
	s_and_not1_b32 s22, s22, exec_lo
	s_and_b32 s29, s27, exec_lo
	s_or_b32 s28, s28, s7
	s_or_b32 s22, s22, s29
	s_and_not1_b32 exec_lo, exec_lo, s15
	s_cbranch_execz .LBB505_1301
.LBB505_1299:                           ; =>This Inner Loop Header: Depth=1
	global_load_b64 v[12:13], v[6:7], off
	global_load_b64 v[16:17], v[8:9], off
	s_and_not1_b32 s27, s27, exec_lo
	s_or_b32 s23, s23, exec_lo
	s_wait_loadcnt 0x0
	v_cmp_le_i64_e32 vcc_lo, v[12:13], v[16:17]
	v_cmp_lt_i64_e64 s7, v[12:13], v[16:17]
	s_and_b32 s29, vcc_lo, s28
	s_delay_alu instid0(SALU_CYCLE_1) | instskip(NEXT) | instid1(SALU_CYCLE_1)
	s_or_b32 s7, s7, s29
	s_and_b32 s29, s7, exec_lo
	s_delay_alu instid0(SALU_CYCLE_1)
	s_or_b32 s27, s27, s29
	s_mov_b32 s29, exec_lo
	v_cmpx_eq_u64_e64 v[12:13], v[16:17]
	s_cbranch_execz .LBB505_1298
; %bb.1300:                             ;   in Loop: Header=BB505_1299 Depth=1
	s_add_nc_u64 s[8:9], s[8:9], -1
	v_add_nc_u64_e32 v[6:7], 8, v[6:7]
	s_cmp_eq_u64 s[8:9], 0
	v_add_nc_u64_e32 v[8:9], 8, v[8:9]
	s_cselect_b32 s28, -1, 0
	s_and_not1_b32 s23, s23, exec_lo
	s_and_b32 s28, s28, exec_lo
	s_and_not1_b32 s27, s27, exec_lo
	s_or_b32 s23, s23, s28
                                        ; implicit-def: $sgpr28
	s_branch .LBB505_1298
.LBB505_1301:
	s_or_b32 exec_lo, exec_lo, s15
	s_xor_b32 s7, s22, -1
	s_branch .LBB505_1303
.LBB505_1302:
	s_mov_b32 s7, -1
.LBB505_1303:
	s_delay_alu instid0(SALU_CYCLE_1)
	s_and_b32 s7, s7, exec_lo
.LBB505_1304:
	s_or_b32 exec_lo, exec_lo, s12
	s_delay_alu instid0(SALU_CYCLE_1)
	s_or_not1_b32 s12, s7, exec_lo
.LBB505_1305:
	s_or_b32 exec_lo, exec_lo, s14
	v_cndmask_b32_e64 v6, v10, v11, s12
	v_cndmask_b32_e64 v7, v45, v47, s12
	s_mov_b32 s14, exec_lo
	s_delay_alu instid0(VALU_DEP_2) | instskip(NEXT) | instid1(VALU_DEP_1)
	v_add_nc_u32_e32 v8, 1, v6
	v_add_min_u32_e64 v6, v7, -1, v8
	v_cndmask_b32_e64 v12, v8, v10, s12
	s_delay_alu instid0(VALU_DEP_2)
	v_lshl_add_u32 v6, v6, 3, v43
	ds_load_b64 v[6:7], v6
	s_wait_dscnt 0x0
	v_dual_cndmask_b32 v13, v11, v8, s12 :: v_dual_cndmask_b32 v16, v14, v6, s12
	v_dual_cndmask_b32 v11, v7, v5, s12 :: v_dual_cndmask_b32 v10, v6, v4, s12
	v_cndmask_b32_e64 v17, v15, v7, s12
	v_cmpx_lt_u32_e64 v12, v45
	s_cbranch_execz .LBB505_1316
; %bb.1306:
	s_mov_b32 s7, 0
	s_mov_b32 s13, exec_lo
	v_cmpx_lt_u32_e64 v13, v47
	s_cbranch_execz .LBB505_1315
; %bb.1307:
	s_and_not1_b32 vcc_lo, exec_lo, s26
	s_cbranch_vccnz .LBB505_1313
; %bb.1308:
	v_mul_u64_e32 v[6:7], s[16:17], v[10:11]
	v_mul_u64_e32 v[8:9], s[16:17], v[16:17]
	s_mov_b32 s15, 0
	s_mov_b64 s[8:9], s[16:17]
                                        ; implicit-def: $sgpr22
                                        ; implicit-def: $sgpr23
                                        ; implicit-def: $sgpr27
                                        ; implicit-def: $sgpr28
	s_delay_alu instid0(VALU_DEP_2) | instskip(NEXT) | instid1(VALU_DEP_2)
	v_lshl_add_u64 v[6:7], v[6:7], 3, s[18:19]
	v_lshl_add_u64 v[8:9], v[8:9], 3, s[18:19]
	s_branch .LBB505_1310
.LBB505_1309:                           ;   in Loop: Header=BB505_1310 Depth=1
	s_or_b32 exec_lo, exec_lo, s29
	s_delay_alu instid0(SALU_CYCLE_1) | instskip(NEXT) | instid1(SALU_CYCLE_1)
	s_and_b32 s29, exec_lo, s23
	s_or_b32 s15, s29, s15
	s_and_not1_b32 s28, s28, exec_lo
	s_and_b32 s7, s7, exec_lo
	s_and_not1_b32 s22, s22, exec_lo
	s_and_b32 s29, s27, exec_lo
	s_or_b32 s28, s28, s7
	s_or_b32 s22, s22, s29
	s_and_not1_b32 exec_lo, exec_lo, s15
	s_cbranch_execz .LBB505_1312
.LBB505_1310:                           ; =>This Inner Loop Header: Depth=1
	global_load_b64 v[22:23], v[6:7], off
	global_load_b64 v[24:25], v[8:9], off
	s_and_not1_b32 s27, s27, exec_lo
	s_or_b32 s23, s23, exec_lo
	s_wait_loadcnt 0x0
	v_cmp_le_i64_e32 vcc_lo, v[22:23], v[24:25]
	v_cmp_lt_i64_e64 s7, v[22:23], v[24:25]
	s_and_b32 s29, vcc_lo, s28
	s_delay_alu instid0(SALU_CYCLE_1) | instskip(NEXT) | instid1(SALU_CYCLE_1)
	s_or_b32 s7, s7, s29
	s_and_b32 s29, s7, exec_lo
	s_delay_alu instid0(SALU_CYCLE_1)
	s_or_b32 s27, s27, s29
	s_mov_b32 s29, exec_lo
	v_cmpx_eq_u64_e64 v[22:23], v[24:25]
	s_cbranch_execz .LBB505_1309
; %bb.1311:                             ;   in Loop: Header=BB505_1310 Depth=1
	s_add_nc_u64 s[8:9], s[8:9], -1
	v_add_nc_u64_e32 v[6:7], 8, v[6:7]
	s_cmp_eq_u64 s[8:9], 0
	v_add_nc_u64_e32 v[8:9], 8, v[8:9]
	s_cselect_b32 s28, -1, 0
	s_and_not1_b32 s23, s23, exec_lo
	s_and_b32 s28, s28, exec_lo
	s_and_not1_b32 s27, s27, exec_lo
	s_or_b32 s23, s23, s28
                                        ; implicit-def: $sgpr28
	s_branch .LBB505_1309
.LBB505_1312:
	s_or_b32 exec_lo, exec_lo, s15
	s_xor_b32 s7, s22, -1
	s_branch .LBB505_1314
.LBB505_1313:
	s_mov_b32 s7, -1
.LBB505_1314:
	s_delay_alu instid0(SALU_CYCLE_1)
	s_and_b32 s7, s7, exec_lo
.LBB505_1315:
	s_or_b32 exec_lo, exec_lo, s13
	s_delay_alu instid0(SALU_CYCLE_1)
	s_or_not1_b32 s13, s7, exec_lo
.LBB505_1316:
	s_or_b32 exec_lo, exec_lo, s14
	v_dual_cndmask_b32 v6, v12, v13, s13 :: v_dual_cndmask_b32 v7, v45, v47, s13
	s_mov_b32 s15, -1
	s_mov_b32 s14, -1
	s_mov_b32 s22, exec_lo
	s_delay_alu instid0(VALU_DEP_1) | instskip(NEXT) | instid1(VALU_DEP_1)
	v_add_nc_u32_e32 v8, 1, v6
	v_add_min_u32_e64 v6, v7, -1, v8
	s_delay_alu instid0(VALU_DEP_1)
	v_lshl_add_u32 v6, v6, 3, v43
	ds_load_b64 v[6:7], v6
	s_wait_dscnt 0x0
	v_dual_cndmask_b32 v25, v13, v8, s13 :: v_dual_cndmask_b32 v22, v16, v6, s13
	v_dual_cndmask_b32 v13, v7, v11, s13 :: v_dual_cndmask_b32 v24, v8, v12, s13
	;; [unrolled: 1-line block ×3, first 2 shown]
	s_delay_alu instid0(VALU_DEP_2)
	v_cmpx_lt_u32_e64 v24, v45
	s_cbranch_execz .LBB505_1327
; %bb.1317:
	s_mov_b32 s7, 0
	s_mov_b32 s14, exec_lo
	v_cmpx_lt_u32_e64 v25, v47
	s_cbranch_execz .LBB505_1326
; %bb.1318:
	s_and_not1_b32 vcc_lo, exec_lo, s26
	s_cbranch_vccnz .LBB505_1324
; %bb.1319:
	v_mul_u64_e32 v[6:7], s[16:17], v[12:13]
	v_mul_u64_e32 v[8:9], s[16:17], v[22:23]
	s_mov_b32 s23, 0
	s_mov_b64 s[8:9], s[16:17]
                                        ; implicit-def: $sgpr27
                                        ; implicit-def: $sgpr28
                                        ; implicit-def: $sgpr29
                                        ; implicit-def: $sgpr30
	s_delay_alu instid0(VALU_DEP_2) | instskip(NEXT) | instid1(VALU_DEP_2)
	v_lshl_add_u64 v[6:7], v[6:7], 3, s[18:19]
	v_lshl_add_u64 v[8:9], v[8:9], 3, s[18:19]
	s_branch .LBB505_1321
.LBB505_1320:                           ;   in Loop: Header=BB505_1321 Depth=1
	s_or_b32 exec_lo, exec_lo, s31
	s_delay_alu instid0(SALU_CYCLE_1) | instskip(NEXT) | instid1(SALU_CYCLE_1)
	s_and_b32 s31, exec_lo, s28
	s_or_b32 s23, s31, s23
	s_and_not1_b32 s30, s30, exec_lo
	s_and_b32 s7, s7, exec_lo
	s_and_not1_b32 s27, s27, exec_lo
	s_and_b32 s31, s29, exec_lo
	s_or_b32 s30, s30, s7
	s_or_b32 s27, s27, s31
	s_and_not1_b32 exec_lo, exec_lo, s23
	s_cbranch_execz .LBB505_1323
.LBB505_1321:                           ; =>This Inner Loop Header: Depth=1
	global_load_b64 v[26:27], v[6:7], off
	global_load_b64 v[28:29], v[8:9], off
	s_and_not1_b32 s29, s29, exec_lo
	s_or_b32 s28, s28, exec_lo
	s_wait_loadcnt 0x0
	v_cmp_le_i64_e32 vcc_lo, v[26:27], v[28:29]
	v_cmp_lt_i64_e64 s7, v[26:27], v[28:29]
	s_and_b32 s31, vcc_lo, s30
	s_delay_alu instid0(SALU_CYCLE_1) | instskip(NEXT) | instid1(SALU_CYCLE_1)
	s_or_b32 s7, s7, s31
	s_and_b32 s31, s7, exec_lo
	s_delay_alu instid0(SALU_CYCLE_1)
	s_or_b32 s29, s29, s31
	s_mov_b32 s31, exec_lo
	v_cmpx_eq_u64_e64 v[26:27], v[28:29]
	s_cbranch_execz .LBB505_1320
; %bb.1322:                             ;   in Loop: Header=BB505_1321 Depth=1
	s_add_nc_u64 s[8:9], s[8:9], -1
	v_add_nc_u64_e32 v[6:7], 8, v[6:7]
	s_cmp_eq_u64 s[8:9], 0
	v_add_nc_u64_e32 v[8:9], 8, v[8:9]
	s_cselect_b32 s30, -1, 0
	s_and_not1_b32 s28, s28, exec_lo
	s_and_b32 s30, s30, exec_lo
	s_and_not1_b32 s29, s29, exec_lo
	s_or_b32 s28, s28, s30
                                        ; implicit-def: $sgpr30
	s_branch .LBB505_1320
.LBB505_1323:
	s_or_b32 exec_lo, exec_lo, s23
	s_xor_b32 s7, s27, -1
	s_branch .LBB505_1325
.LBB505_1324:
	s_mov_b32 s7, -1
.LBB505_1325:
	s_delay_alu instid0(SALU_CYCLE_1)
	s_and_b32 s7, s7, exec_lo
.LBB505_1326:
	s_or_b32 exec_lo, exec_lo, s14
	s_delay_alu instid0(SALU_CYCLE_1)
	s_or_not1_b32 s14, s7, exec_lo
.LBB505_1327:
	s_or_b32 exec_lo, exec_lo, s22
	v_dual_cndmask_b32 v6, v24, v25, s14 :: v_dual_cndmask_b32 v7, v45, v47, s14
	s_mov_b32 s22, exec_lo
	s_delay_alu instid0(VALU_DEP_1) | instskip(NEXT) | instid1(VALU_DEP_1)
	v_add_nc_u32_e32 v6, 1, v6
	v_add_min_u32_e64 v7, v7, -1, v6
	s_delay_alu instid0(VALU_DEP_1)
	v_lshl_add_u32 v7, v7, 3, v43
	ds_load_b64 v[8:9], v7
	s_wait_dscnt 0x0
	v_dual_cndmask_b32 v7, v9, v13, s14 :: v_dual_cndmask_b32 v28, v6, v24, s14
	v_dual_cndmask_b32 v29, v25, v6, s14 :: v_dual_cndmask_b32 v6, v8, v12, s14
	;; [unrolled: 1-line block ×3, first 2 shown]
	s_delay_alu instid0(VALU_DEP_3)
	v_cmpx_lt_u32_e64 v28, v45
	s_cbranch_execz .LBB505_1338
; %bb.1328:
	s_mov_b32 s7, 0
	s_mov_b32 s15, exec_lo
	v_cmpx_lt_u32_e64 v29, v47
	s_cbranch_execz .LBB505_1337
; %bb.1329:
	s_and_not1_b32 vcc_lo, exec_lo, s26
	s_cbranch_vccnz .LBB505_1335
; %bb.1330:
	v_mul_u64_e32 v[8:9], s[16:17], v[6:7]
	v_mul_u64_e32 v[26:27], s[16:17], v[24:25]
	s_mov_b32 s23, 0
	s_mov_b64 s[8:9], s[16:17]
                                        ; implicit-def: $sgpr27
                                        ; implicit-def: $sgpr28
                                        ; implicit-def: $sgpr29
                                        ; implicit-def: $sgpr30
	s_delay_alu instid0(VALU_DEP_2) | instskip(NEXT) | instid1(VALU_DEP_2)
	v_lshl_add_u64 v[8:9], v[8:9], 3, s[18:19]
	v_lshl_add_u64 v[26:27], v[26:27], 3, s[18:19]
	s_branch .LBB505_1332
.LBB505_1331:                           ;   in Loop: Header=BB505_1332 Depth=1
	s_or_b32 exec_lo, exec_lo, s31
	s_delay_alu instid0(SALU_CYCLE_1) | instskip(NEXT) | instid1(SALU_CYCLE_1)
	s_and_b32 s31, exec_lo, s28
	s_or_b32 s23, s31, s23
	s_and_not1_b32 s30, s30, exec_lo
	s_and_b32 s7, s7, exec_lo
	s_and_not1_b32 s27, s27, exec_lo
	s_and_b32 s31, s29, exec_lo
	s_or_b32 s30, s30, s7
	s_or_b32 s27, s27, s31
	s_and_not1_b32 exec_lo, exec_lo, s23
	s_cbranch_execz .LBB505_1334
.LBB505_1332:                           ; =>This Inner Loop Header: Depth=1
	global_load_b64 v[30:31], v[8:9], off
	global_load_b64 v[32:33], v[26:27], off
	s_and_not1_b32 s29, s29, exec_lo
	s_or_b32 s28, s28, exec_lo
	s_wait_loadcnt 0x0
	v_cmp_le_i64_e32 vcc_lo, v[30:31], v[32:33]
	v_cmp_lt_i64_e64 s7, v[30:31], v[32:33]
	s_and_b32 s31, vcc_lo, s30
	s_delay_alu instid0(SALU_CYCLE_1) | instskip(NEXT) | instid1(SALU_CYCLE_1)
	s_or_b32 s7, s7, s31
	s_and_b32 s31, s7, exec_lo
	s_delay_alu instid0(SALU_CYCLE_1)
	s_or_b32 s29, s29, s31
	s_mov_b32 s31, exec_lo
	v_cmpx_eq_u64_e64 v[30:31], v[32:33]
	s_cbranch_execz .LBB505_1331
; %bb.1333:                             ;   in Loop: Header=BB505_1332 Depth=1
	s_add_nc_u64 s[8:9], s[8:9], -1
	v_add_nc_u64_e32 v[8:9], 8, v[8:9]
	s_cmp_eq_u64 s[8:9], 0
	v_add_nc_u64_e32 v[26:27], 8, v[26:27]
	s_cselect_b32 s30, -1, 0
	s_and_not1_b32 s28, s28, exec_lo
	s_and_b32 s30, s30, exec_lo
	s_and_not1_b32 s29, s29, exec_lo
	s_or_b32 s28, s28, s30
                                        ; implicit-def: $sgpr30
	s_branch .LBB505_1331
.LBB505_1334:
	s_or_b32 exec_lo, exec_lo, s23
	s_xor_b32 s7, s27, -1
	s_branch .LBB505_1336
.LBB505_1335:
	s_mov_b32 s7, -1
.LBB505_1336:
	s_delay_alu instid0(SALU_CYCLE_1)
	s_and_b32 s7, s7, exec_lo
.LBB505_1337:
	s_or_b32 exec_lo, exec_lo, s15
	s_delay_alu instid0(SALU_CYCLE_1)
	s_or_not1_b32 s15, s7, exec_lo
.LBB505_1338:
	s_or_b32 exec_lo, exec_lo, s22
	v_dual_cndmask_b32 v8, v28, v29, s15 :: v_dual_cndmask_b32 v9, v45, v47, s15
	s_mov_b32 s22, -1
	s_mov_b32 s23, -1
	s_mov_b32 s27, exec_lo
	s_delay_alu instid0(VALU_DEP_1) | instskip(NEXT) | instid1(VALU_DEP_1)
	v_add_nc_u32_e32 v8, 1, v8
	v_add_min_u32_e64 v9, v9, -1, v8
	s_delay_alu instid0(VALU_DEP_1)
	v_lshl_add_u32 v9, v9, 3, v43
	ds_load_b64 v[26:27], v9
	s_wait_dscnt 0x0
	v_dual_cndmask_b32 v9, v27, v7, s15 :: v_dual_cndmask_b32 v32, v8, v28, s15
	v_dual_cndmask_b32 v33, v29, v8, s15 :: v_dual_cndmask_b32 v8, v26, v6, s15
	;; [unrolled: 1-line block ×3, first 2 shown]
	s_delay_alu instid0(VALU_DEP_3)
	v_cmpx_lt_u32_e64 v32, v45
	s_cbranch_execz .LBB505_1349
; %bb.1339:
	s_mov_b32 s7, 0
	s_mov_b32 s23, exec_lo
	v_cmpx_lt_u32_e64 v33, v47
	s_cbranch_execz .LBB505_1348
; %bb.1340:
	s_and_not1_b32 vcc_lo, exec_lo, s26
	s_cbranch_vccnz .LBB505_1346
; %bb.1341:
	v_mul_u64_e32 v[28:29], s[16:17], v[8:9]
	v_mul_u64_e32 v[30:31], s[16:17], v[26:27]
	s_mov_b32 s28, 0
	s_mov_b64 s[8:9], s[16:17]
                                        ; implicit-def: $sgpr29
                                        ; implicit-def: $sgpr30
                                        ; implicit-def: $sgpr31
                                        ; implicit-def: $sgpr33
	s_delay_alu instid0(VALU_DEP_2) | instskip(NEXT) | instid1(VALU_DEP_2)
	v_lshl_add_u64 v[28:29], v[28:29], 3, s[18:19]
	v_lshl_add_u64 v[30:31], v[30:31], 3, s[18:19]
	s_branch .LBB505_1343
.LBB505_1342:                           ;   in Loop: Header=BB505_1343 Depth=1
	s_or_b32 exec_lo, exec_lo, s34
	s_delay_alu instid0(SALU_CYCLE_1) | instskip(NEXT) | instid1(SALU_CYCLE_1)
	s_and_b32 s34, exec_lo, s30
	s_or_b32 s28, s34, s28
	s_and_not1_b32 s33, s33, exec_lo
	s_and_b32 s7, s7, exec_lo
	s_and_not1_b32 s29, s29, exec_lo
	s_and_b32 s34, s31, exec_lo
	s_or_b32 s33, s33, s7
	s_or_b32 s29, s29, s34
	s_and_not1_b32 exec_lo, exec_lo, s28
	s_cbranch_execz .LBB505_1345
.LBB505_1343:                           ; =>This Inner Loop Header: Depth=1
	global_load_b64 v[34:35], v[28:29], off
	global_load_b64 v[48:49], v[30:31], off
	s_and_not1_b32 s31, s31, exec_lo
	s_or_b32 s30, s30, exec_lo
	s_wait_loadcnt 0x0
	v_cmp_le_i64_e32 vcc_lo, v[34:35], v[48:49]
	v_cmp_lt_i64_e64 s7, v[34:35], v[48:49]
	s_and_b32 s34, vcc_lo, s33
	s_delay_alu instid0(SALU_CYCLE_1) | instskip(NEXT) | instid1(SALU_CYCLE_1)
	s_or_b32 s7, s7, s34
	s_and_b32 s34, s7, exec_lo
	s_delay_alu instid0(SALU_CYCLE_1)
	s_or_b32 s31, s31, s34
	s_mov_b32 s34, exec_lo
	v_cmpx_eq_u64_e64 v[34:35], v[48:49]
	s_cbranch_execz .LBB505_1342
; %bb.1344:                             ;   in Loop: Header=BB505_1343 Depth=1
	s_add_nc_u64 s[8:9], s[8:9], -1
	v_add_nc_u64_e32 v[28:29], 8, v[28:29]
	s_cmp_eq_u64 s[8:9], 0
	v_add_nc_u64_e32 v[30:31], 8, v[30:31]
	s_cselect_b32 s33, -1, 0
	s_and_not1_b32 s30, s30, exec_lo
	s_and_b32 s33, s33, exec_lo
	s_and_not1_b32 s31, s31, exec_lo
	s_or_b32 s30, s30, s33
                                        ; implicit-def: $sgpr33
	s_branch .LBB505_1342
.LBB505_1345:
	s_or_b32 exec_lo, exec_lo, s28
	s_xor_b32 s7, s29, -1
	s_branch .LBB505_1347
.LBB505_1346:
	s_mov_b32 s7, -1
.LBB505_1347:
	s_delay_alu instid0(SALU_CYCLE_1)
	s_and_b32 s7, s7, exec_lo
.LBB505_1348:
	s_or_b32 exec_lo, exec_lo, s23
	s_delay_alu instid0(SALU_CYCLE_1)
	s_or_not1_b32 s23, s7, exec_lo
.LBB505_1349:
	s_or_b32 exec_lo, exec_lo, s27
	v_dual_cndmask_b32 v28, v32, v33, s23 :: v_dual_cndmask_b32 v29, v45, v47, s23
	s_mov_b32 s27, exec_lo
	s_delay_alu instid0(VALU_DEP_1) | instskip(NEXT) | instid1(VALU_DEP_1)
	v_add_nc_u32_e32 v28, 1, v28
	v_add_min_u32_e64 v29, v29, -1, v28
	s_delay_alu instid0(VALU_DEP_1)
	v_lshl_add_u32 v29, v29, 3, v43
	ds_load_b64 v[30:31], v29
	s_wait_dscnt 0x0
	v_dual_cndmask_b32 v29, v31, v9, s23 :: v_dual_cndmask_b32 v46, v28, v32, s23
	v_dual_cndmask_b32 v31, v27, v31, s23 :: v_dual_cndmask_b32 v44, v33, v28, s23
	v_cndmask_b32_e64 v28, v30, v8, s23
	v_cndmask_b32_e64 v30, v26, v30, s23
	s_delay_alu instid0(VALU_DEP_4)
	v_cmpx_lt_u32_e64 v46, v45
	s_cbranch_execz .LBB505_1360
; %bb.1350:
	s_mov_b32 s7, 0
	s_mov_b32 s22, exec_lo
	v_cmpx_lt_u32_e64 v44, v47
	s_cbranch_execz .LBB505_1359
; %bb.1351:
	s_and_not1_b32 vcc_lo, exec_lo, s26
	s_cbranch_vccnz .LBB505_1357
; %bb.1352:
	v_mul_u64_e32 v[32:33], s[16:17], v[28:29]
	v_mul_u64_e32 v[34:35], s[16:17], v[30:31]
	s_mov_b32 s28, 0
	s_mov_b64 s[8:9], s[16:17]
                                        ; implicit-def: $sgpr29
                                        ; implicit-def: $sgpr30
                                        ; implicit-def: $sgpr31
                                        ; implicit-def: $sgpr33
	s_delay_alu instid0(VALU_DEP_2) | instskip(NEXT) | instid1(VALU_DEP_2)
	v_lshl_add_u64 v[32:33], v[32:33], 3, s[18:19]
	v_lshl_add_u64 v[34:35], v[34:35], 3, s[18:19]
	s_branch .LBB505_1354
.LBB505_1353:                           ;   in Loop: Header=BB505_1354 Depth=1
	s_or_b32 exec_lo, exec_lo, s34
	s_delay_alu instid0(SALU_CYCLE_1) | instskip(NEXT) | instid1(SALU_CYCLE_1)
	s_and_b32 s34, exec_lo, s30
	s_or_b32 s28, s34, s28
	s_and_not1_b32 s33, s33, exec_lo
	s_and_b32 s7, s7, exec_lo
	s_and_not1_b32 s29, s29, exec_lo
	s_and_b32 s34, s31, exec_lo
	s_or_b32 s33, s33, s7
	s_or_b32 s29, s29, s34
	s_and_not1_b32 exec_lo, exec_lo, s28
	s_cbranch_execz .LBB505_1356
.LBB505_1354:                           ; =>This Inner Loop Header: Depth=1
	global_load_b64 v[48:49], v[32:33], off
	global_load_b64 v[50:51], v[34:35], off
	s_and_not1_b32 s31, s31, exec_lo
	s_or_b32 s30, s30, exec_lo
	s_wait_loadcnt 0x0
	v_cmp_le_i64_e32 vcc_lo, v[48:49], v[50:51]
	v_cmp_lt_i64_e64 s7, v[48:49], v[50:51]
	s_and_b32 s34, vcc_lo, s33
	s_delay_alu instid0(SALU_CYCLE_1) | instskip(NEXT) | instid1(SALU_CYCLE_1)
	s_or_b32 s7, s7, s34
	s_and_b32 s34, s7, exec_lo
	s_delay_alu instid0(SALU_CYCLE_1)
	s_or_b32 s31, s31, s34
	s_mov_b32 s34, exec_lo
	v_cmpx_eq_u64_e64 v[48:49], v[50:51]
	s_cbranch_execz .LBB505_1353
; %bb.1355:                             ;   in Loop: Header=BB505_1354 Depth=1
	s_add_nc_u64 s[8:9], s[8:9], -1
	v_add_nc_u64_e32 v[32:33], 8, v[32:33]
	s_cmp_eq_u64 s[8:9], 0
	v_add_nc_u64_e32 v[34:35], 8, v[34:35]
	s_cselect_b32 s33, -1, 0
	s_and_not1_b32 s30, s30, exec_lo
	s_and_b32 s33, s33, exec_lo
	s_and_not1_b32 s31, s31, exec_lo
	s_or_b32 s30, s30, s33
                                        ; implicit-def: $sgpr33
	s_branch .LBB505_1353
.LBB505_1356:
	s_or_b32 exec_lo, exec_lo, s28
	s_xor_b32 s7, s29, -1
	s_branch .LBB505_1358
.LBB505_1357:
	s_mov_b32 s7, -1
.LBB505_1358:
	s_delay_alu instid0(SALU_CYCLE_1)
	s_and_b32 s7, s7, exec_lo
.LBB505_1359:
	s_or_b32 exec_lo, exec_lo, s22
	s_delay_alu instid0(SALU_CYCLE_1)
	s_or_not1_b32 s22, s7, exec_lo
.LBB505_1360:
	s_or_b32 exec_lo, exec_lo, s27
	v_dual_cndmask_b32 v32, v46, v44, s22 :: v_dual_cndmask_b32 v33, v45, v47, s22
	v_dual_cndmask_b32 v8, v8, v26, s23 :: v_dual_cndmask_b32 v7, v7, v25, s15
	v_dual_cndmask_b32 v6, v6, v24, s15 :: v_dual_cndmask_b32 v13, v13, v23, s14
	s_delay_alu instid0(VALU_DEP_3) | instskip(SKIP_2) | instid1(VALU_DEP_3)
	v_dual_add_nc_u32 v34, 1, v32 :: v_dual_cndmask_b32 v9, v9, v27, s23
	v_dual_cndmask_b32 v12, v12, v22, s14 :: v_dual_cndmask_b32 v11, v11, v17, s13
	v_dual_cndmask_b32 v10, v10, v16, s13 :: v_dual_cndmask_b32 v17, v5, v15, s12
	v_add_min_u32_e64 v32, v33, -1, v34
	v_dual_cndmask_b32 v16, v4, v14, s12 :: v_dual_cndmask_b32 v15, v3, v1, s11
	v_dual_cndmask_b32 v14, v2, v0, s11 :: v_dual_cndmask_b32 v3, v29, v31, s22
	s_delay_alu instid0(VALU_DEP_3)
	v_lshl_add_u32 v32, v32, 3, v43
	s_mov_b32 s11, exec_lo
	ds_load_b64 v[32:33], v32
	v_cndmask_b32_e64 v0, v34, v46, s22
	s_wait_dscnt 0x0
	v_dual_cndmask_b32 v2, v28, v30, s22 :: v_dual_cndmask_b32 v4, v30, v32, s22
	v_cndmask_b32_e64 v5, v31, v33, s22
	s_delay_alu instid0(VALU_DEP_3)
	v_cmpx_lt_u32_e64 v0, v45
	s_cbranch_execz .LBB505_1370
; %bb.1361:
	v_dual_cndmask_b32 v22, v44, v34, s22 :: v_dual_cndmask_b32 v1, v33, v29, s22
	v_cndmask_b32_e64 v0, v32, v28, s22
	s_mov_b32 s12, exec_lo
	s_delay_alu instid0(VALU_DEP_2)
	v_cmpx_lt_u32_e64 v22, v47
	s_cbranch_execz .LBB505_1369
; %bb.1362:
	s_and_not1_b32 vcc_lo, exec_lo, s26
	s_cbranch_vccnz .LBB505_1368
; %bb.1363:
	v_mul_u64_e32 v[22:23], s[16:17], v[0:1]
	v_mul_u64_e32 v[24:25], s[16:17], v[4:5]
	s_mov_b32 s13, 0
	s_mov_b64 s[8:9], s[16:17]
                                        ; implicit-def: $sgpr14
                                        ; implicit-def: $sgpr15
                                        ; implicit-def: $sgpr22
                                        ; implicit-def: $sgpr23
	s_delay_alu instid0(VALU_DEP_2) | instskip(NEXT) | instid1(VALU_DEP_2)
	v_lshl_add_u64 v[22:23], v[22:23], 3, s[18:19]
	v_lshl_add_u64 v[24:25], v[24:25], 3, s[18:19]
	s_branch .LBB505_1365
.LBB505_1364:                           ;   in Loop: Header=BB505_1365 Depth=1
	s_or_b32 exec_lo, exec_lo, s27
	s_delay_alu instid0(SALU_CYCLE_1) | instskip(NEXT) | instid1(SALU_CYCLE_1)
	s_and_b32 s27, exec_lo, s15
	s_or_b32 s13, s27, s13
	s_and_not1_b32 s23, s23, exec_lo
	s_and_b32 s7, s7, exec_lo
	s_and_not1_b32 s14, s14, exec_lo
	s_and_b32 s27, s22, exec_lo
	s_or_b32 s23, s23, s7
	s_or_b32 s14, s14, s27
	s_and_not1_b32 exec_lo, exec_lo, s13
	s_cbranch_execz .LBB505_1367
.LBB505_1365:                           ; =>This Inner Loop Header: Depth=1
	global_load_b64 v[26:27], v[22:23], off
	global_load_b64 v[28:29], v[24:25], off
	s_and_not1_b32 s22, s22, exec_lo
	s_or_b32 s15, s15, exec_lo
	s_wait_loadcnt 0x0
	v_cmp_le_i64_e32 vcc_lo, v[26:27], v[28:29]
	v_cmp_lt_i64_e64 s7, v[26:27], v[28:29]
	s_and_b32 s27, vcc_lo, s23
	s_delay_alu instid0(SALU_CYCLE_1) | instskip(NEXT) | instid1(SALU_CYCLE_1)
	s_or_b32 s7, s7, s27
	s_and_b32 s27, s7, exec_lo
	s_delay_alu instid0(SALU_CYCLE_1)
	s_or_b32 s22, s22, s27
	s_mov_b32 s27, exec_lo
	v_cmpx_eq_u64_e64 v[26:27], v[28:29]
	s_cbranch_execz .LBB505_1364
; %bb.1366:                             ;   in Loop: Header=BB505_1365 Depth=1
	s_add_nc_u64 s[8:9], s[8:9], -1
	v_add_nc_u64_e32 v[22:23], 8, v[22:23]
	s_cmp_eq_u64 s[8:9], 0
	v_add_nc_u64_e32 v[24:25], 8, v[24:25]
	s_cselect_b32 s23, -1, 0
	s_and_not1_b32 s15, s15, exec_lo
	s_and_b32 s23, s23, exec_lo
	s_and_not1_b32 s22, s22, exec_lo
	s_or_b32 s15, s15, s23
                                        ; implicit-def: $sgpr23
	s_branch .LBB505_1364
.LBB505_1367:
	s_or_b32 exec_lo, exec_lo, s13
	v_dual_cndmask_b32 v5, v5, v1, s14 :: v_dual_cndmask_b32 v4, v4, v0, s14
.LBB505_1368:
	s_delay_alu instid0(VALU_DEP_1)
	v_mov_b64_e32 v[0:1], v[4:5]
.LBB505_1369:
	s_or_b32 exec_lo, exec_lo, s12
	s_delay_alu instid0(VALU_DEP_1)
	v_mov_b64_e32 v[4:5], v[0:1]
.LBB505_1370:
	s_or_b32 exec_lo, exec_lo, s11
.LBB505_1371:
	s_delay_alu instid0(SALU_CYCLE_1)
	s_or_b32 exec_lo, exec_lo, s10
	s_cmp_lt_u32 s25, 0x81
	; wave barrier
	s_wait_dscnt 0x0
	s_barrier_signal -1
	s_barrier_wait -1
	s_cbranch_scc1 .LBB505_1475
; %bb.1372:
	v_lshlrev_b32_e32 v24, 3, v20
	s_lshl_b64 s[8:9], s[16:17], 3
	s_movk_i32 s12, 0x80
	s_branch .LBB505_1378
.LBB505_1373:                           ;   in Loop: Header=BB505_1378 Depth=1
	s_or_b32 exec_lo, exec_lo, s33
	v_dual_cndmask_b32 v5, v5, v7, s34 :: v_dual_cndmask_b32 v4, v4, v6, s34
.LBB505_1374:                           ;   in Loop: Header=BB505_1378 Depth=1
	s_delay_alu instid0(VALU_DEP_1)
	v_mov_b64_e32 v[6:7], v[4:5]
.LBB505_1375:                           ;   in Loop: Header=BB505_1378 Depth=1
	s_or_b32 exec_lo, exec_lo, s31
	s_delay_alu instid0(VALU_DEP_1)
	v_mov_b64_e32 v[4:5], v[6:7]
.LBB505_1376:                           ;   in Loop: Header=BB505_1378 Depth=1
	s_or_b32 exec_lo, exec_lo, s30
	v_dual_cndmask_b32 v9, v35, v44, s29 :: v_dual_cndmask_b32 v6, v32, v34, s27
	v_cndmask_b32_e64 v8, v43, v45, s29
	v_dual_cndmask_b32 v7, v31, v33, s27 :: v_dual_cndmask_b32 v11, v17, v27, s22
	v_dual_cndmask_b32 v13, v12, v13, s23 :: v_dual_cndmask_b32 v10, v23, v28, s22
	;; [unrolled: 1-line block ×3, first 2 shown]
	v_cndmask_b32_e64 v16, v15, v22, s15
	v_dual_cndmask_b32 v15, v3, v1, s14 :: v_dual_cndmask_b32 v14, v2, v0, s14
	v_dual_cndmask_b32 v3, v46, v48, s28 :: v_dual_cndmask_b32 v2, v47, v49, s28
.LBB505_1377:                           ;   in Loop: Header=BB505_1378 Depth=1
	s_or_b32 exec_lo, exec_lo, s13
	s_cmp_lt_u32 s12, s25
	s_barrier_signal -1
	s_barrier_wait -1
	s_cbranch_scc0 .LBB505_1475
.LBB505_1378:                           ; =>This Loop Header: Depth=1
                                        ;     Child Loop BB505_1382 Depth 2
                                        ;       Child Loop BB505_1385 Depth 3
                                        ;     Child Loop BB505_1397 Depth 2
                                        ;     Child Loop BB505_1407 Depth 2
	;; [unrolled: 1-line block ×8, first 2 shown]
	s_mov_b32 s7, s12
	s_lshl_b32 s12, s12, 1
	s_mov_b32 s13, exec_lo
	s_sub_co_i32 s10, 0, s12
	ds_store_b128 v24, v[14:17]
	ds_store_b128 v24, v[10:13] offset:16
	ds_store_b128 v24, v[6:9] offset:32
	;; [unrolled: 1-line block ×3, first 2 shown]
	v_and_b32_e32 v29, s10, v20
	s_add_co_i32 s10, s12, -1
	s_wait_dscnt 0x0
	s_barrier_signal -1
	s_barrier_wait -1
	v_add_min_u32_e64 v25, v29, s7, s25
	s_delay_alu instid0(VALU_DEP_1) | instskip(NEXT) | instid1(VALU_DEP_1)
	v_add_min_u32_e64 v26, v25, s7, s25
	v_dual_sub_nc_u32 v1, v26, v25 :: v_dual_bitop2_b32 v0, s10, v20 bitop3:0x40
	v_lshlrev_b32_e32 v28, 3, v29
	s_delay_alu instid0(VALU_DEP_2) | instskip(SKIP_1) | instid1(VALU_DEP_2)
	v_min_u32_e32 v30, s25, v0
	v_sub_nc_u32_e32 v0, v25, v29
	v_sub_nc_u32_e64 v27, v30, v1 clamp
	s_delay_alu instid0(VALU_DEP_2) | instskip(NEXT) | instid1(VALU_DEP_1)
	v_min_u32_e32 v31, v30, v0
	v_cmpx_lt_u32_e64 v27, v31
	s_cbranch_execz .LBB505_1388
; %bb.1379:                             ;   in Loop: Header=BB505_1378 Depth=1
	v_lshlrev_b32_e32 v0, 3, v30
	s_mov_b32 s14, 0
	s_delay_alu instid0(VALU_DEP_1)
	v_lshl_add_u32 v32, v25, 3, v0
	s_branch .LBB505_1382
.LBB505_1380:                           ;   in Loop: Header=BB505_1382 Depth=2
	s_or_b32 exec_lo, exec_lo, s22
.LBB505_1381:                           ;   in Loop: Header=BB505_1382 Depth=2
	s_delay_alu instid0(VALU_DEP_1) | instskip(NEXT) | instid1(VALU_DEP_1)
	v_dual_add_nc_u32 v0, 1, v33 :: v_dual_cndmask_b32 v31, v31, v33, s15
	v_cndmask_b32_e64 v27, v0, v27, s15
	s_delay_alu instid0(VALU_DEP_1) | instskip(SKIP_1) | instid1(SALU_CYCLE_1)
	v_cmp_ge_u32_e32 vcc_lo, v27, v31
	s_or_b32 s14, vcc_lo, s14
	s_and_not1_b32 exec_lo, exec_lo, s14
	s_cbranch_execz .LBB505_1387
.LBB505_1382:                           ;   Parent Loop BB505_1378 Depth=1
                                        ; =>  This Loop Header: Depth=2
                                        ;       Child Loop BB505_1385 Depth 3
	v_add_nc_u32_e32 v0, v31, v27
	s_and_not1_b32 vcc_lo, exec_lo, s26
	s_mov_b32 s15, 0
	s_delay_alu instid0(VALU_DEP_1)
	v_lshrrev_b32_e32 v33, 1, v0
	s_cbranch_vccnz .LBB505_1381
; %bb.1383:                             ;   in Loop: Header=BB505_1382 Depth=2
	s_delay_alu instid0(VALU_DEP_1) | instskip(SKIP_3) | instid1(VALU_DEP_2)
	v_not_b32_e32 v0, v33
	v_lshl_add_u32 v1, v33, 3, v28
	s_mov_b32 s22, 0
	s_mov_b64 s[10:11], s[16:17]
                                        ; implicit-def: $sgpr15
                                        ; implicit-def: $sgpr23
                                        ; implicit-def: $sgpr27
                                        ; implicit-def: $sgpr28
	v_lshl_add_u32 v0, v0, 3, v32
	ds_load_b64 v[34:35], v0
	ds_load_b64 v[44:45], v1
	s_wait_dscnt 0x1
	v_mad_nc_u64_u32 v[0:1], s8, v34, s[18:19]
	s_wait_dscnt 0x0
	v_mad_nc_u64_u32 v[22:23], s8, v44, s[18:19]
	s_delay_alu instid0(VALU_DEP_2) | instskip(NEXT) | instid1(VALU_DEP_2)
	v_mad_u32 v1, s9, v34, v1
	v_mad_u32 v23, s9, v44, v23
	s_delay_alu instid0(VALU_DEP_2) | instskip(NEXT) | instid1(VALU_DEP_2)
	v_mad_u32 v1, s8, v35, v1
	v_mad_u32 v23, s8, v45, v23
	s_branch .LBB505_1385
.LBB505_1384:                           ;   in Loop: Header=BB505_1385 Depth=3
	s_or_b32 exec_lo, exec_lo, s29
	s_delay_alu instid0(SALU_CYCLE_1) | instskip(NEXT) | instid1(SALU_CYCLE_1)
	s_and_b32 s29, exec_lo, s23
	s_or_b32 s22, s29, s22
	s_and_not1_b32 s28, s28, exec_lo
	s_and_b32 s7, s7, exec_lo
	s_and_not1_b32 s15, s15, exec_lo
	s_and_b32 s29, s27, exec_lo
	s_or_b32 s28, s28, s7
	s_or_b32 s15, s15, s29
	s_and_not1_b32 exec_lo, exec_lo, s22
	s_cbranch_execz .LBB505_1380
.LBB505_1385:                           ;   Parent Loop BB505_1378 Depth=1
                                        ;     Parent Loop BB505_1382 Depth=2
                                        ; =>    This Inner Loop Header: Depth=3
	global_load_b64 v[34:35], v[0:1], off
	global_load_b64 v[44:45], v[22:23], off
	s_and_not1_b32 s27, s27, exec_lo
	s_or_b32 s23, s23, exec_lo
	s_wait_loadcnt 0x0
	v_cmp_le_i64_e32 vcc_lo, v[34:35], v[44:45]
	v_cmp_lt_i64_e64 s7, v[34:35], v[44:45]
	s_and_b32 s29, vcc_lo, s28
	s_delay_alu instid0(SALU_CYCLE_1) | instskip(NEXT) | instid1(SALU_CYCLE_1)
	s_or_b32 s7, s7, s29
	s_and_b32 s29, s7, exec_lo
	s_delay_alu instid0(SALU_CYCLE_1)
	s_or_b32 s27, s27, s29
	s_mov_b32 s29, exec_lo
	v_cmpx_eq_u64_e64 v[34:35], v[44:45]
	s_cbranch_execz .LBB505_1384
; %bb.1386:                             ;   in Loop: Header=BB505_1385 Depth=3
	s_add_nc_u64 s[10:11], s[10:11], -1
	v_add_nc_u64_e32 v[0:1], 8, v[0:1]
	s_cmp_eq_u64 s[10:11], 0
	v_add_nc_u64_e32 v[22:23], 8, v[22:23]
	s_cselect_b32 s28, -1, 0
	s_and_not1_b32 s23, s23, exec_lo
	s_and_b32 s28, s28, exec_lo
	s_and_not1_b32 s27, s27, exec_lo
	s_or_b32 s23, s23, s28
                                        ; implicit-def: $sgpr28
	s_branch .LBB505_1384
.LBB505_1387:                           ;   in Loop: Header=BB505_1378 Depth=1
	s_or_b32 exec_lo, exec_lo, s14
.LBB505_1388:                           ;   in Loop: Header=BB505_1378 Depth=1
	s_delay_alu instid0(SALU_CYCLE_1) | instskip(SKIP_1) | instid1(VALU_DEP_1)
	s_or_b32 exec_lo, exec_lo, s13
	v_dual_sub_nc_u32 v0, v30, v27 :: v_dual_add_nc_u32 v22, v27, v29
	v_add_nc_u32_e32 v23, v0, v25
	s_delay_alu instid0(VALU_DEP_2) | instskip(NEXT) | instid1(VALU_DEP_2)
	v_cmp_le_u32_e32 vcc_lo, v22, v25
	v_cmp_le_u32_e64 s7, v23, v26
	s_or_b32 s7, vcc_lo, s7
	s_delay_alu instid0(SALU_CYCLE_1)
	s_and_saveexec_b32 s13, s7
	s_cbranch_execz .LBB505_1377
; %bb.1389:                             ;   in Loop: Header=BB505_1378 Depth=1
	s_mov_b32 s10, exec_lo
	v_cmp_ge_u32_e32 vcc_lo, v22, v25
                                        ; implicit-def: $vgpr0_vgpr1
	v_cmpx_lt_u32_e64 v22, v25
; %bb.1390:                             ;   in Loop: Header=BB505_1378 Depth=1
	v_lshl_add_u32 v0, v27, 3, v28
	ds_load_b64 v[0:1], v0
; %bb.1391:                             ;   in Loop: Header=BB505_1378 Depth=1
	s_or_b32 exec_lo, exec_lo, s10
	v_cmp_ge_u32_e64 s14, v23, v26
	s_mov_b32 s10, exec_lo
                                        ; implicit-def: $vgpr2_vgpr3
	v_cmpx_lt_u32_e64 v23, v26
; %bb.1392:                             ;   in Loop: Header=BB505_1378 Depth=1
	v_lshlrev_b32_e32 v2, 3, v23
	ds_load_b64 v[2:3], v2
; %bb.1393:                             ;   in Loop: Header=BB505_1378 Depth=1
	s_or_b32 exec_lo, exec_lo, s10
	s_nor_b32 s7, vcc_lo, s14
	s_delay_alu instid0(SALU_CYCLE_1)
	s_and_saveexec_b32 s15, s7
	s_cbranch_execz .LBB505_1402
; %bb.1394:                             ;   in Loop: Header=BB505_1378 Depth=1
	s_and_not1_b32 vcc_lo, exec_lo, s26
	s_cbranch_vccnz .LBB505_1400
; %bb.1395:                             ;   in Loop: Header=BB505_1378 Depth=1
	s_wait_dscnt 0x0
	v_mad_nc_u64_u32 v[4:5], s8, v2, s[18:19]
	v_mad_nc_u64_u32 v[6:7], s8, v0, s[18:19]
	s_mov_b32 s22, 0
	s_mov_b64 s[10:11], s[16:17]
                                        ; implicit-def: $sgpr23
                                        ; implicit-def: $sgpr27
                                        ; implicit-def: $sgpr28
                                        ; implicit-def: $sgpr29
	s_delay_alu instid0(VALU_DEP_2) | instskip(NEXT) | instid1(VALU_DEP_2)
	v_mad_u32 v5, s9, v2, v5
	v_mad_u32 v7, s9, v0, v7
	s_delay_alu instid0(VALU_DEP_2) | instskip(NEXT) | instid1(VALU_DEP_2)
	v_mad_u32 v5, s8, v3, v5
	v_mad_u32 v7, s8, v1, v7
	s_branch .LBB505_1397
.LBB505_1396:                           ;   in Loop: Header=BB505_1397 Depth=2
	s_or_b32 exec_lo, exec_lo, s30
	s_delay_alu instid0(SALU_CYCLE_1) | instskip(NEXT) | instid1(SALU_CYCLE_1)
	s_and_b32 s30, exec_lo, s27
	s_or_b32 s22, s30, s22
	s_and_not1_b32 s29, s29, exec_lo
	s_and_b32 s7, s7, exec_lo
	s_and_not1_b32 s23, s23, exec_lo
	s_and_b32 s30, s28, exec_lo
	s_or_b32 s29, s29, s7
	s_or_b32 s23, s23, s30
	s_and_not1_b32 exec_lo, exec_lo, s22
	s_cbranch_execz .LBB505_1399
.LBB505_1397:                           ;   Parent Loop BB505_1378 Depth=1
                                        ; =>  This Inner Loop Header: Depth=2
	global_load_b64 v[8:9], v[4:5], off
	global_load_b64 v[10:11], v[6:7], off
	s_and_not1_b32 s28, s28, exec_lo
	s_or_b32 s27, s27, exec_lo
	s_wait_loadcnt 0x0
	v_cmp_le_i64_e32 vcc_lo, v[8:9], v[10:11]
	v_cmp_lt_i64_e64 s7, v[8:9], v[10:11]
	s_and_b32 s30, vcc_lo, s29
	s_delay_alu instid0(SALU_CYCLE_1) | instskip(NEXT) | instid1(SALU_CYCLE_1)
	s_or_b32 s7, s7, s30
	s_and_b32 s30, s7, exec_lo
	s_delay_alu instid0(SALU_CYCLE_1)
	s_or_b32 s28, s28, s30
	s_mov_b32 s30, exec_lo
	v_cmpx_eq_u64_e64 v[8:9], v[10:11]
	s_cbranch_execz .LBB505_1396
; %bb.1398:                             ;   in Loop: Header=BB505_1397 Depth=2
	s_add_nc_u64 s[10:11], s[10:11], -1
	v_add_nc_u64_e32 v[4:5], 8, v[4:5]
	s_cmp_eq_u64 s[10:11], 0
	v_add_nc_u64_e32 v[6:7], 8, v[6:7]
	s_cselect_b32 s29, -1, 0
	s_and_not1_b32 s27, s27, exec_lo
	s_and_b32 s29, s29, exec_lo
	s_and_not1_b32 s28, s28, exec_lo
	s_or_b32 s27, s27, s29
                                        ; implicit-def: $sgpr29
	s_branch .LBB505_1396
.LBB505_1399:                           ;   in Loop: Header=BB505_1378 Depth=1
	s_or_b32 exec_lo, exec_lo, s22
	s_xor_b32 s7, s23, -1
	s_branch .LBB505_1401
.LBB505_1400:                           ;   in Loop: Header=BB505_1378 Depth=1
	s_mov_b32 s7, -1
.LBB505_1401:                           ;   in Loop: Header=BB505_1378 Depth=1
	s_and_not1_b32 s10, s14, exec_lo
	s_and_b32 s7, s7, exec_lo
	s_delay_alu instid0(SALU_CYCLE_1)
	s_or_b32 s14, s10, s7
.LBB505_1402:                           ;   in Loop: Header=BB505_1378 Depth=1
	s_or_b32 exec_lo, exec_lo, s15
	v_dual_cndmask_b32 v4, v23, v22, s14 :: v_dual_cndmask_b32 v5, v26, v25, s14
	s_mov_b32 s22, -1
	s_mov_b32 s15, -1
	s_mov_b32 s23, exec_lo
	s_delay_alu instid0(VALU_DEP_1) | instskip(NEXT) | instid1(VALU_DEP_1)
	v_add_nc_u32_e32 v6, 1, v4
	v_add_min_u32_e64 v4, v5, -1, v6
	s_delay_alu instid0(VALU_DEP_1)
	v_lshlrev_b32_e32 v4, 3, v4
	ds_load_b64 v[4:5], v4
	v_cndmask_b32_e64 v8, v6, v23, s14
	s_wait_dscnt 0x0
	v_dual_cndmask_b32 v9, v22, v6, s14 :: v_dual_cndmask_b32 v14, v5, v3, s14
	v_dual_cndmask_b32 v15, v4, v2, s14 :: v_dual_cndmask_b32 v16, v1, v5, s14
	v_cndmask_b32_e64 v22, v0, v4, s14
	v_cmpx_lt_u32_e64 v8, v26
	s_cbranch_execz .LBB505_1413
; %bb.1403:                             ;   in Loop: Header=BB505_1378 Depth=1
	s_mov_b32 s7, 0
	s_mov_b32 s15, exec_lo
	v_cmpx_lt_u32_e64 v9, v25
	s_cbranch_execz .LBB505_1412
; %bb.1404:                             ;   in Loop: Header=BB505_1378 Depth=1
	s_and_not1_b32 vcc_lo, exec_lo, s26
	s_cbranch_vccnz .LBB505_1410
; %bb.1405:                             ;   in Loop: Header=BB505_1378 Depth=1
	v_mad_nc_u64_u32 v[4:5], s8, v15, s[18:19]
	v_mad_nc_u64_u32 v[6:7], s8, v22, s[18:19]
	s_mov_b32 s27, 0
	s_mov_b64 s[10:11], s[16:17]
                                        ; implicit-def: $sgpr28
                                        ; implicit-def: $sgpr29
                                        ; implicit-def: $sgpr30
                                        ; implicit-def: $sgpr31
	s_delay_alu instid0(VALU_DEP_2) | instskip(NEXT) | instid1(VALU_DEP_2)
	v_mad_u32 v5, s9, v15, v5
	v_mad_u32 v7, s9, v22, v7
	s_delay_alu instid0(VALU_DEP_2) | instskip(NEXT) | instid1(VALU_DEP_2)
	v_mad_u32 v5, s8, v14, v5
	v_mad_u32 v7, s8, v16, v7
	s_branch .LBB505_1407
.LBB505_1406:                           ;   in Loop: Header=BB505_1407 Depth=2
	s_or_b32 exec_lo, exec_lo, s33
	s_delay_alu instid0(SALU_CYCLE_1) | instskip(NEXT) | instid1(SALU_CYCLE_1)
	s_and_b32 s33, exec_lo, s29
	s_or_b32 s27, s33, s27
	s_and_not1_b32 s31, s31, exec_lo
	s_and_b32 s7, s7, exec_lo
	s_and_not1_b32 s28, s28, exec_lo
	s_and_b32 s33, s30, exec_lo
	s_or_b32 s31, s31, s7
	s_or_b32 s28, s28, s33
	s_and_not1_b32 exec_lo, exec_lo, s27
	s_cbranch_execz .LBB505_1409
.LBB505_1407:                           ;   Parent Loop BB505_1378 Depth=1
                                        ; =>  This Inner Loop Header: Depth=2
	global_load_b64 v[10:11], v[4:5], off
	global_load_b64 v[12:13], v[6:7], off
	s_and_not1_b32 s30, s30, exec_lo
	s_or_b32 s29, s29, exec_lo
	s_wait_loadcnt 0x0
	v_cmp_le_i64_e32 vcc_lo, v[10:11], v[12:13]
	v_cmp_lt_i64_e64 s7, v[10:11], v[12:13]
	s_and_b32 s33, vcc_lo, s31
	s_delay_alu instid0(SALU_CYCLE_1) | instskip(NEXT) | instid1(SALU_CYCLE_1)
	s_or_b32 s7, s7, s33
	s_and_b32 s33, s7, exec_lo
	s_delay_alu instid0(SALU_CYCLE_1)
	s_or_b32 s30, s30, s33
	s_mov_b32 s33, exec_lo
	v_cmpx_eq_u64_e64 v[10:11], v[12:13]
	s_cbranch_execz .LBB505_1406
; %bb.1408:                             ;   in Loop: Header=BB505_1407 Depth=2
	s_add_nc_u64 s[10:11], s[10:11], -1
	v_add_nc_u64_e32 v[4:5], 8, v[4:5]
	s_cmp_eq_u64 s[10:11], 0
	v_add_nc_u64_e32 v[6:7], 8, v[6:7]
	s_cselect_b32 s31, -1, 0
	s_and_not1_b32 s29, s29, exec_lo
	s_and_b32 s31, s31, exec_lo
	s_and_not1_b32 s30, s30, exec_lo
	s_or_b32 s29, s29, s31
                                        ; implicit-def: $sgpr31
	s_branch .LBB505_1406
.LBB505_1409:                           ;   in Loop: Header=BB505_1378 Depth=1
	s_or_b32 exec_lo, exec_lo, s27
	s_xor_b32 s7, s28, -1
	s_branch .LBB505_1411
.LBB505_1410:                           ;   in Loop: Header=BB505_1378 Depth=1
	s_mov_b32 s7, -1
.LBB505_1411:                           ;   in Loop: Header=BB505_1378 Depth=1
	s_delay_alu instid0(SALU_CYCLE_1)
	s_and_b32 s7, s7, exec_lo
.LBB505_1412:                           ;   in Loop: Header=BB505_1378 Depth=1
	s_or_b32 exec_lo, exec_lo, s15
	s_delay_alu instid0(SALU_CYCLE_1)
	s_or_not1_b32 s15, s7, exec_lo
.LBB505_1413:                           ;   in Loop: Header=BB505_1378 Depth=1
	s_or_b32 exec_lo, exec_lo, s23
	v_cndmask_b32_e64 v4, v8, v9, s15
	v_cndmask_b32_e64 v5, v26, v25, s15
	s_mov_b32 s23, exec_lo
	s_delay_alu instid0(VALU_DEP_2) | instskip(NEXT) | instid1(VALU_DEP_1)
	v_add_nc_u32_e32 v6, 1, v4
	v_add_min_u32_e64 v4, v5, -1, v6
	v_dual_cndmask_b32 v8, v6, v8, s15 :: v_dual_cndmask_b32 v9, v9, v6, s15
	s_delay_alu instid0(VALU_DEP_2)
	v_lshlrev_b32_e32 v4, 3, v4
	ds_load_b64 v[4:5], v4
	s_wait_dscnt 0x0
	v_dual_cndmask_b32 v17, v5, v14, s15 :: v_dual_cndmask_b32 v23, v4, v15, s15
	v_dual_cndmask_b32 v27, v16, v5, s15 :: v_dual_cndmask_b32 v28, v22, v4, s15
	v_cmpx_lt_u32_e64 v8, v26
	s_cbranch_execz .LBB505_1424
; %bb.1414:                             ;   in Loop: Header=BB505_1378 Depth=1
	s_mov_b32 s7, 0
	s_mov_b32 s22, exec_lo
	v_cmpx_lt_u32_e64 v9, v25
	s_cbranch_execz .LBB505_1423
; %bb.1415:                             ;   in Loop: Header=BB505_1378 Depth=1
	s_and_not1_b32 vcc_lo, exec_lo, s26
	s_cbranch_vccnz .LBB505_1421
; %bb.1416:                             ;   in Loop: Header=BB505_1378 Depth=1
	v_mad_nc_u64_u32 v[4:5], s8, v23, s[18:19]
	v_mad_nc_u64_u32 v[6:7], s8, v28, s[18:19]
	s_mov_b32 s27, 0
	s_mov_b64 s[10:11], s[16:17]
                                        ; implicit-def: $sgpr28
                                        ; implicit-def: $sgpr29
                                        ; implicit-def: $sgpr30
                                        ; implicit-def: $sgpr31
	s_delay_alu instid0(VALU_DEP_2) | instskip(NEXT) | instid1(VALU_DEP_2)
	v_mad_u32 v5, s9, v23, v5
	v_mad_u32 v7, s9, v28, v7
	s_delay_alu instid0(VALU_DEP_2) | instskip(NEXT) | instid1(VALU_DEP_2)
	v_mad_u32 v5, s8, v17, v5
	v_mad_u32 v7, s8, v27, v7
	s_branch .LBB505_1418
.LBB505_1417:                           ;   in Loop: Header=BB505_1418 Depth=2
	s_or_b32 exec_lo, exec_lo, s33
	s_delay_alu instid0(SALU_CYCLE_1) | instskip(NEXT) | instid1(SALU_CYCLE_1)
	s_and_b32 s33, exec_lo, s29
	s_or_b32 s27, s33, s27
	s_and_not1_b32 s31, s31, exec_lo
	s_and_b32 s7, s7, exec_lo
	s_and_not1_b32 s28, s28, exec_lo
	s_and_b32 s33, s30, exec_lo
	s_or_b32 s31, s31, s7
	s_or_b32 s28, s28, s33
	s_and_not1_b32 exec_lo, exec_lo, s27
	s_cbranch_execz .LBB505_1420
.LBB505_1418:                           ;   Parent Loop BB505_1378 Depth=1
                                        ; =>  This Inner Loop Header: Depth=2
	global_load_b64 v[10:11], v[4:5], off
	global_load_b64 v[12:13], v[6:7], off
	s_and_not1_b32 s30, s30, exec_lo
	s_or_b32 s29, s29, exec_lo
	s_wait_loadcnt 0x0
	v_cmp_le_i64_e32 vcc_lo, v[10:11], v[12:13]
	v_cmp_lt_i64_e64 s7, v[10:11], v[12:13]
	s_and_b32 s33, vcc_lo, s31
	s_delay_alu instid0(SALU_CYCLE_1) | instskip(NEXT) | instid1(SALU_CYCLE_1)
	s_or_b32 s7, s7, s33
	s_and_b32 s33, s7, exec_lo
	s_delay_alu instid0(SALU_CYCLE_1)
	s_or_b32 s30, s30, s33
	s_mov_b32 s33, exec_lo
	v_cmpx_eq_u64_e64 v[10:11], v[12:13]
	s_cbranch_execz .LBB505_1417
; %bb.1419:                             ;   in Loop: Header=BB505_1418 Depth=2
	s_add_nc_u64 s[10:11], s[10:11], -1
	v_add_nc_u64_e32 v[4:5], 8, v[4:5]
	s_cmp_eq_u64 s[10:11], 0
	v_add_nc_u64_e32 v[6:7], 8, v[6:7]
	s_cselect_b32 s31, -1, 0
	s_and_not1_b32 s29, s29, exec_lo
	s_and_b32 s31, s31, exec_lo
	s_and_not1_b32 s30, s30, exec_lo
	s_or_b32 s29, s29, s31
                                        ; implicit-def: $sgpr31
	s_branch .LBB505_1417
.LBB505_1420:                           ;   in Loop: Header=BB505_1378 Depth=1
	s_or_b32 exec_lo, exec_lo, s27
	s_xor_b32 s7, s28, -1
	s_branch .LBB505_1422
.LBB505_1421:                           ;   in Loop: Header=BB505_1378 Depth=1
	s_mov_b32 s7, -1
.LBB505_1422:                           ;   in Loop: Header=BB505_1378 Depth=1
	s_delay_alu instid0(SALU_CYCLE_1)
	s_and_b32 s7, s7, exec_lo
.LBB505_1423:                           ;   in Loop: Header=BB505_1378 Depth=1
	s_or_b32 exec_lo, exec_lo, s22
	s_delay_alu instid0(SALU_CYCLE_1)
	s_or_not1_b32 s22, s7, exec_lo
.LBB505_1424:                           ;   in Loop: Header=BB505_1378 Depth=1
	s_or_b32 exec_lo, exec_lo, s23
	v_cndmask_b32_e64 v4, v8, v9, s22
	v_cndmask_b32_e64 v5, v26, v25, s22
	s_mov_b32 s27, -1
	s_mov_b32 s23, -1
	s_mov_b32 s28, exec_lo
	v_add_nc_u32_e32 v6, 1, v4
	s_delay_alu instid0(VALU_DEP_1) | instskip(SKIP_1) | instid1(VALU_DEP_2)
	v_add_min_u32_e64 v4, v5, -1, v6
	v_dual_cndmask_b32 v8, v6, v8, s22 :: v_dual_cndmask_b32 v9, v9, v6, s22
	v_lshlrev_b32_e32 v4, 3, v4
	ds_load_b64 v[4:5], v4
	s_wait_dscnt 0x0
	v_dual_cndmask_b32 v12, v5, v17, s22 :: v_dual_cndmask_b32 v29, v4, v23, s22
	v_dual_cndmask_b32 v13, v27, v5, s22 :: v_dual_cndmask_b32 v30, v28, v4, s22
	v_cmpx_lt_u32_e64 v8, v26
	s_cbranch_execz .LBB505_1435
; %bb.1425:                             ;   in Loop: Header=BB505_1378 Depth=1
	s_mov_b32 s7, 0
	s_mov_b32 s23, exec_lo
	v_cmpx_lt_u32_e64 v9, v25
	s_cbranch_execz .LBB505_1434
; %bb.1426:                             ;   in Loop: Header=BB505_1378 Depth=1
	s_and_not1_b32 vcc_lo, exec_lo, s26
	s_cbranch_vccnz .LBB505_1432
; %bb.1427:                             ;   in Loop: Header=BB505_1378 Depth=1
	v_mad_nc_u64_u32 v[4:5], s8, v29, s[18:19]
	v_mad_nc_u64_u32 v[6:7], s8, v30, s[18:19]
	s_mov_b32 s29, 0
	s_mov_b64 s[10:11], s[16:17]
                                        ; implicit-def: $sgpr30
                                        ; implicit-def: $sgpr31
                                        ; implicit-def: $sgpr33
                                        ; implicit-def: $sgpr34
	s_delay_alu instid0(VALU_DEP_2) | instskip(NEXT) | instid1(VALU_DEP_2)
	v_mad_u32 v5, s9, v29, v5
	v_mad_u32 v7, s9, v30, v7
	s_delay_alu instid0(VALU_DEP_2) | instskip(NEXT) | instid1(VALU_DEP_2)
	v_mad_u32 v5, s8, v12, v5
	v_mad_u32 v7, s8, v13, v7
	s_branch .LBB505_1429
.LBB505_1428:                           ;   in Loop: Header=BB505_1429 Depth=2
	s_or_b32 exec_lo, exec_lo, s35
	s_delay_alu instid0(SALU_CYCLE_1) | instskip(NEXT) | instid1(SALU_CYCLE_1)
	s_and_b32 s35, exec_lo, s31
	s_or_b32 s29, s35, s29
	s_and_not1_b32 s34, s34, exec_lo
	s_and_b32 s7, s7, exec_lo
	s_and_not1_b32 s30, s30, exec_lo
	s_and_b32 s35, s33, exec_lo
	s_or_b32 s34, s34, s7
	s_or_b32 s30, s30, s35
	s_and_not1_b32 exec_lo, exec_lo, s29
	s_cbranch_execz .LBB505_1431
.LBB505_1429:                           ;   Parent Loop BB505_1378 Depth=1
                                        ; =>  This Inner Loop Header: Depth=2
	global_load_b64 v[10:11], v[4:5], off
	global_load_b64 v[32:33], v[6:7], off
	s_and_not1_b32 s33, s33, exec_lo
	s_or_b32 s31, s31, exec_lo
	s_wait_loadcnt 0x0
	v_cmp_le_i64_e32 vcc_lo, v[10:11], v[32:33]
	v_cmp_lt_i64_e64 s7, v[10:11], v[32:33]
	s_and_b32 s35, vcc_lo, s34
	s_delay_alu instid0(SALU_CYCLE_1) | instskip(NEXT) | instid1(SALU_CYCLE_1)
	s_or_b32 s7, s7, s35
	s_and_b32 s35, s7, exec_lo
	s_delay_alu instid0(SALU_CYCLE_1)
	s_or_b32 s33, s33, s35
	s_mov_b32 s35, exec_lo
	v_cmpx_eq_u64_e64 v[10:11], v[32:33]
	s_cbranch_execz .LBB505_1428
; %bb.1430:                             ;   in Loop: Header=BB505_1429 Depth=2
	s_add_nc_u64 s[10:11], s[10:11], -1
	v_add_nc_u64_e32 v[4:5], 8, v[4:5]
	s_cmp_eq_u64 s[10:11], 0
	v_add_nc_u64_e32 v[6:7], 8, v[6:7]
	s_cselect_b32 s34, -1, 0
	s_and_not1_b32 s31, s31, exec_lo
	s_and_b32 s34, s34, exec_lo
	s_and_not1_b32 s33, s33, exec_lo
	s_or_b32 s31, s31, s34
                                        ; implicit-def: $sgpr34
	s_branch .LBB505_1428
.LBB505_1431:                           ;   in Loop: Header=BB505_1378 Depth=1
	s_or_b32 exec_lo, exec_lo, s29
	s_xor_b32 s7, s30, -1
	s_branch .LBB505_1433
.LBB505_1432:                           ;   in Loop: Header=BB505_1378 Depth=1
	s_mov_b32 s7, -1
.LBB505_1433:                           ;   in Loop: Header=BB505_1378 Depth=1
	s_delay_alu instid0(SALU_CYCLE_1)
	s_and_b32 s7, s7, exec_lo
.LBB505_1434:                           ;   in Loop: Header=BB505_1378 Depth=1
	s_or_b32 exec_lo, exec_lo, s23
	s_delay_alu instid0(SALU_CYCLE_1)
	s_or_not1_b32 s23, s7, exec_lo
.LBB505_1435:                           ;   in Loop: Header=BB505_1378 Depth=1
	s_or_b32 exec_lo, exec_lo, s28
	v_cndmask_b32_e64 v4, v8, v9, s23
	v_cndmask_b32_e64 v5, v26, v25, s23
	s_mov_b32 s28, exec_lo
	s_delay_alu instid0(VALU_DEP_2) | instskip(NEXT) | instid1(VALU_DEP_1)
	v_add_nc_u32_e32 v6, 1, v4
	v_add_min_u32_e64 v4, v5, -1, v6
	v_dual_cndmask_b32 v8, v6, v8, s23 :: v_dual_cndmask_b32 v9, v9, v6, s23
	s_delay_alu instid0(VALU_DEP_2)
	v_lshlrev_b32_e32 v4, 3, v4
	ds_load_b64 v[4:5], v4
	s_wait_dscnt 0x0
	v_dual_cndmask_b32 v31, v5, v12, s23 :: v_dual_cndmask_b32 v32, v4, v29, s23
	v_dual_cndmask_b32 v33, v13, v5, s23 :: v_dual_cndmask_b32 v34, v30, v4, s23
	v_cmpx_lt_u32_e64 v8, v26
	s_cbranch_execz .LBB505_1446
; %bb.1436:                             ;   in Loop: Header=BB505_1378 Depth=1
	s_mov_b32 s7, 0
	s_mov_b32 s27, exec_lo
	v_cmpx_lt_u32_e64 v9, v25
	s_cbranch_execz .LBB505_1445
; %bb.1437:                             ;   in Loop: Header=BB505_1378 Depth=1
	s_and_not1_b32 vcc_lo, exec_lo, s26
	s_cbranch_vccnz .LBB505_1443
; %bb.1438:                             ;   in Loop: Header=BB505_1378 Depth=1
	v_mad_nc_u64_u32 v[4:5], s8, v32, s[18:19]
	v_mad_nc_u64_u32 v[6:7], s8, v34, s[18:19]
	s_mov_b32 s29, 0
	s_mov_b64 s[10:11], s[16:17]
                                        ; implicit-def: $sgpr30
                                        ; implicit-def: $sgpr31
                                        ; implicit-def: $sgpr33
                                        ; implicit-def: $sgpr34
	s_delay_alu instid0(VALU_DEP_2) | instskip(NEXT) | instid1(VALU_DEP_2)
	v_mad_u32 v5, s9, v32, v5
	v_mad_u32 v7, s9, v34, v7
	s_delay_alu instid0(VALU_DEP_2) | instskip(NEXT) | instid1(VALU_DEP_2)
	v_mad_u32 v5, s8, v31, v5
	v_mad_u32 v7, s8, v33, v7
	s_branch .LBB505_1440
.LBB505_1439:                           ;   in Loop: Header=BB505_1440 Depth=2
	s_or_b32 exec_lo, exec_lo, s35
	s_delay_alu instid0(SALU_CYCLE_1) | instskip(NEXT) | instid1(SALU_CYCLE_1)
	s_and_b32 s35, exec_lo, s31
	s_or_b32 s29, s35, s29
	s_and_not1_b32 s34, s34, exec_lo
	s_and_b32 s7, s7, exec_lo
	s_and_not1_b32 s30, s30, exec_lo
	s_and_b32 s35, s33, exec_lo
	s_or_b32 s34, s34, s7
	s_or_b32 s30, s30, s35
	s_and_not1_b32 exec_lo, exec_lo, s29
	s_cbranch_execz .LBB505_1442
.LBB505_1440:                           ;   Parent Loop BB505_1378 Depth=1
                                        ; =>  This Inner Loop Header: Depth=2
	global_load_b64 v[10:11], v[4:5], off
	global_load_b64 v[44:45], v[6:7], off
	s_and_not1_b32 s33, s33, exec_lo
	s_or_b32 s31, s31, exec_lo
	s_wait_loadcnt 0x0
	v_cmp_le_i64_e32 vcc_lo, v[10:11], v[44:45]
	v_cmp_lt_i64_e64 s7, v[10:11], v[44:45]
	s_and_b32 s35, vcc_lo, s34
	s_delay_alu instid0(SALU_CYCLE_1) | instskip(NEXT) | instid1(SALU_CYCLE_1)
	s_or_b32 s7, s7, s35
	s_and_b32 s35, s7, exec_lo
	s_delay_alu instid0(SALU_CYCLE_1)
	s_or_b32 s33, s33, s35
	s_mov_b32 s35, exec_lo
	v_cmpx_eq_u64_e64 v[10:11], v[44:45]
	s_cbranch_execz .LBB505_1439
; %bb.1441:                             ;   in Loop: Header=BB505_1440 Depth=2
	s_add_nc_u64 s[10:11], s[10:11], -1
	v_add_nc_u64_e32 v[4:5], 8, v[4:5]
	s_cmp_eq_u64 s[10:11], 0
	v_add_nc_u64_e32 v[6:7], 8, v[6:7]
	s_cselect_b32 s34, -1, 0
	s_and_not1_b32 s31, s31, exec_lo
	s_and_b32 s34, s34, exec_lo
	s_and_not1_b32 s33, s33, exec_lo
	s_or_b32 s31, s31, s34
                                        ; implicit-def: $sgpr34
	s_branch .LBB505_1439
.LBB505_1442:                           ;   in Loop: Header=BB505_1378 Depth=1
	s_or_b32 exec_lo, exec_lo, s29
	s_xor_b32 s7, s30, -1
	s_branch .LBB505_1444
.LBB505_1443:                           ;   in Loop: Header=BB505_1378 Depth=1
	s_mov_b32 s7, -1
.LBB505_1444:                           ;   in Loop: Header=BB505_1378 Depth=1
	s_delay_alu instid0(SALU_CYCLE_1)
	s_and_b32 s7, s7, exec_lo
.LBB505_1445:                           ;   in Loop: Header=BB505_1378 Depth=1
	s_or_b32 exec_lo, exec_lo, s27
	s_delay_alu instid0(SALU_CYCLE_1)
	s_or_not1_b32 s27, s7, exec_lo
.LBB505_1446:                           ;   in Loop: Header=BB505_1378 Depth=1
	s_or_b32 exec_lo, exec_lo, s28
	v_cndmask_b32_e64 v4, v8, v9, s27
	v_cndmask_b32_e64 v5, v26, v25, s27
	s_mov_b32 s28, -1
	s_mov_b32 s29, -1
	s_mov_b32 s30, exec_lo
	v_add_nc_u32_e32 v6, 1, v4
	s_delay_alu instid0(VALU_DEP_1) | instskip(SKIP_1) | instid1(VALU_DEP_2)
	v_add_min_u32_e64 v4, v5, -1, v6
	v_dual_cndmask_b32 v8, v6, v8, s27 :: v_dual_cndmask_b32 v9, v9, v6, s27
	v_lshlrev_b32_e32 v4, 3, v4
	ds_load_b64 v[4:5], v4
	s_wait_dscnt 0x0
	v_dual_cndmask_b32 v35, v5, v31, s27 :: v_dual_cndmask_b32 v43, v4, v32, s27
	v_dual_cndmask_b32 v44, v33, v5, s27 :: v_dual_cndmask_b32 v45, v34, v4, s27
	v_cmpx_lt_u32_e64 v8, v26
	s_cbranch_execz .LBB505_1457
; %bb.1447:                             ;   in Loop: Header=BB505_1378 Depth=1
	s_mov_b32 s7, 0
	s_mov_b32 s29, exec_lo
	v_cmpx_lt_u32_e64 v9, v25
	s_cbranch_execz .LBB505_1456
; %bb.1448:                             ;   in Loop: Header=BB505_1378 Depth=1
	s_and_not1_b32 vcc_lo, exec_lo, s26
	s_cbranch_vccnz .LBB505_1454
; %bb.1449:                             ;   in Loop: Header=BB505_1378 Depth=1
	v_mad_nc_u64_u32 v[4:5], s8, v43, s[18:19]
	v_mad_nc_u64_u32 v[6:7], s8, v45, s[18:19]
	s_mov_b32 s31, 0
	s_mov_b64 s[10:11], s[16:17]
                                        ; implicit-def: $sgpr33
                                        ; implicit-def: $sgpr34
                                        ; implicit-def: $sgpr35
                                        ; implicit-def: $sgpr36
	s_delay_alu instid0(VALU_DEP_2) | instskip(NEXT) | instid1(VALU_DEP_2)
	v_mad_u32 v5, s9, v43, v5
	v_mad_u32 v7, s9, v45, v7
	s_delay_alu instid0(VALU_DEP_2) | instskip(NEXT) | instid1(VALU_DEP_2)
	v_mad_u32 v5, s8, v35, v5
	v_mad_u32 v7, s8, v44, v7
	s_branch .LBB505_1451
.LBB505_1450:                           ;   in Loop: Header=BB505_1451 Depth=2
	s_or_b32 exec_lo, exec_lo, s37
	s_delay_alu instid0(SALU_CYCLE_1) | instskip(NEXT) | instid1(SALU_CYCLE_1)
	s_and_b32 s37, exec_lo, s34
	s_or_b32 s31, s37, s31
	s_and_not1_b32 s36, s36, exec_lo
	s_and_b32 s7, s7, exec_lo
	s_and_not1_b32 s33, s33, exec_lo
	s_and_b32 s37, s35, exec_lo
	s_or_b32 s36, s36, s7
	s_or_b32 s33, s33, s37
	s_and_not1_b32 exec_lo, exec_lo, s31
	s_cbranch_execz .LBB505_1453
.LBB505_1451:                           ;   Parent Loop BB505_1378 Depth=1
                                        ; =>  This Inner Loop Header: Depth=2
	global_load_b64 v[10:11], v[4:5], off
	global_load_b64 v[46:47], v[6:7], off
	s_and_not1_b32 s35, s35, exec_lo
	s_or_b32 s34, s34, exec_lo
	s_wait_loadcnt 0x0
	v_cmp_le_i64_e32 vcc_lo, v[10:11], v[46:47]
	v_cmp_lt_i64_e64 s7, v[10:11], v[46:47]
	s_and_b32 s37, vcc_lo, s36
	s_delay_alu instid0(SALU_CYCLE_1) | instskip(NEXT) | instid1(SALU_CYCLE_1)
	s_or_b32 s7, s7, s37
	s_and_b32 s37, s7, exec_lo
	s_delay_alu instid0(SALU_CYCLE_1)
	s_or_b32 s35, s35, s37
	s_mov_b32 s37, exec_lo
	v_cmpx_eq_u64_e64 v[10:11], v[46:47]
	s_cbranch_execz .LBB505_1450
; %bb.1452:                             ;   in Loop: Header=BB505_1451 Depth=2
	s_add_nc_u64 s[10:11], s[10:11], -1
	v_add_nc_u64_e32 v[4:5], 8, v[4:5]
	s_cmp_eq_u64 s[10:11], 0
	v_add_nc_u64_e32 v[6:7], 8, v[6:7]
	s_cselect_b32 s36, -1, 0
	s_and_not1_b32 s34, s34, exec_lo
	s_and_b32 s36, s36, exec_lo
	s_and_not1_b32 s35, s35, exec_lo
	s_or_b32 s34, s34, s36
                                        ; implicit-def: $sgpr36
	s_branch .LBB505_1450
.LBB505_1453:                           ;   in Loop: Header=BB505_1378 Depth=1
	s_or_b32 exec_lo, exec_lo, s31
	s_xor_b32 s7, s33, -1
	s_branch .LBB505_1455
.LBB505_1454:                           ;   in Loop: Header=BB505_1378 Depth=1
	s_mov_b32 s7, -1
.LBB505_1455:                           ;   in Loop: Header=BB505_1378 Depth=1
	s_delay_alu instid0(SALU_CYCLE_1)
	s_and_b32 s7, s7, exec_lo
.LBB505_1456:                           ;   in Loop: Header=BB505_1378 Depth=1
	s_or_b32 exec_lo, exec_lo, s29
	s_delay_alu instid0(SALU_CYCLE_1)
	s_or_not1_b32 s29, s7, exec_lo
.LBB505_1457:                           ;   in Loop: Header=BB505_1378 Depth=1
	s_or_b32 exec_lo, exec_lo, s30
	v_cndmask_b32_e64 v4, v8, v9, s29
	v_cndmask_b32_e64 v5, v26, v25, s29
	s_mov_b32 s30, exec_lo
	s_delay_alu instid0(VALU_DEP_2) | instskip(NEXT) | instid1(VALU_DEP_1)
	v_add_nc_u32_e32 v6, 1, v4
	v_add_min_u32_e64 v4, v5, -1, v6
	v_dual_cndmask_b32 v10, v6, v8, s29 :: v_dual_cndmask_b32 v8, v9, v6, s29
	s_delay_alu instid0(VALU_DEP_2)
	v_lshlrev_b32_e32 v4, 3, v4
	ds_load_b64 v[4:5], v4
	s_wait_dscnt 0x0
	v_dual_cndmask_b32 v46, v5, v35, s29 :: v_dual_cndmask_b32 v48, v44, v5, s29
	v_dual_cndmask_b32 v47, v4, v43, s29 :: v_dual_cndmask_b32 v49, v45, v4, s29
	v_cmpx_lt_u32_e64 v10, v26
	s_cbranch_execz .LBB505_1468
; %bb.1458:                             ;   in Loop: Header=BB505_1378 Depth=1
	s_mov_b32 s7, 0
	s_mov_b32 s28, exec_lo
	v_cmpx_lt_u32_e64 v8, v25
	s_cbranch_execz .LBB505_1467
; %bb.1459:                             ;   in Loop: Header=BB505_1378 Depth=1
	s_and_not1_b32 vcc_lo, exec_lo, s26
	s_cbranch_vccnz .LBB505_1465
; %bb.1460:                             ;   in Loop: Header=BB505_1378 Depth=1
	v_mad_nc_u64_u32 v[4:5], s8, v47, s[18:19]
	v_mad_nc_u64_u32 v[6:7], s8, v49, s[18:19]
	s_mov_b32 s31, 0
	s_mov_b64 s[10:11], s[16:17]
                                        ; implicit-def: $sgpr33
                                        ; implicit-def: $sgpr34
                                        ; implicit-def: $sgpr35
                                        ; implicit-def: $sgpr36
	s_delay_alu instid0(VALU_DEP_2) | instskip(NEXT) | instid1(VALU_DEP_2)
	v_mad_u32 v5, s9, v47, v5
	v_mad_u32 v7, s9, v49, v7
	s_delay_alu instid0(VALU_DEP_2) | instskip(NEXT) | instid1(VALU_DEP_2)
	v_mad_u32 v5, s8, v46, v5
	v_mad_u32 v7, s8, v48, v7
	s_branch .LBB505_1462
.LBB505_1461:                           ;   in Loop: Header=BB505_1462 Depth=2
	s_or_b32 exec_lo, exec_lo, s37
	s_delay_alu instid0(SALU_CYCLE_1) | instskip(NEXT) | instid1(SALU_CYCLE_1)
	s_and_b32 s37, exec_lo, s34
	s_or_b32 s31, s37, s31
	s_and_not1_b32 s36, s36, exec_lo
	s_and_b32 s7, s7, exec_lo
	s_and_not1_b32 s33, s33, exec_lo
	s_and_b32 s37, s35, exec_lo
	s_or_b32 s36, s36, s7
	s_or_b32 s33, s33, s37
	s_and_not1_b32 exec_lo, exec_lo, s31
	s_cbranch_execz .LBB505_1464
.LBB505_1462:                           ;   Parent Loop BB505_1378 Depth=1
                                        ; =>  This Inner Loop Header: Depth=2
	global_load_b64 v[50:51], v[4:5], off
	global_load_b64 v[52:53], v[6:7], off
	s_and_not1_b32 s35, s35, exec_lo
	s_or_b32 s34, s34, exec_lo
	s_wait_loadcnt 0x0
	v_cmp_le_i64_e32 vcc_lo, v[50:51], v[52:53]
	v_cmp_lt_i64_e64 s7, v[50:51], v[52:53]
	s_and_b32 s37, vcc_lo, s36
	s_delay_alu instid0(SALU_CYCLE_1) | instskip(NEXT) | instid1(SALU_CYCLE_1)
	s_or_b32 s7, s7, s37
	s_and_b32 s37, s7, exec_lo
	s_delay_alu instid0(SALU_CYCLE_1)
	s_or_b32 s35, s35, s37
	s_mov_b32 s37, exec_lo
	v_cmpx_eq_u64_e64 v[50:51], v[52:53]
	s_cbranch_execz .LBB505_1461
; %bb.1463:                             ;   in Loop: Header=BB505_1462 Depth=2
	s_add_nc_u64 s[10:11], s[10:11], -1
	v_add_nc_u64_e32 v[4:5], 8, v[4:5]
	s_cmp_eq_u64 s[10:11], 0
	v_add_nc_u64_e32 v[6:7], 8, v[6:7]
	s_cselect_b32 s36, -1, 0
	s_and_not1_b32 s34, s34, exec_lo
	s_and_b32 s36, s36, exec_lo
	s_and_not1_b32 s35, s35, exec_lo
	s_or_b32 s34, s34, s36
                                        ; implicit-def: $sgpr36
	s_branch .LBB505_1461
.LBB505_1464:                           ;   in Loop: Header=BB505_1378 Depth=1
	s_or_b32 exec_lo, exec_lo, s31
	s_xor_b32 s7, s33, -1
	s_branch .LBB505_1466
.LBB505_1465:                           ;   in Loop: Header=BB505_1378 Depth=1
	s_mov_b32 s7, -1
.LBB505_1466:                           ;   in Loop: Header=BB505_1378 Depth=1
	s_delay_alu instid0(SALU_CYCLE_1)
	s_and_b32 s7, s7, exec_lo
.LBB505_1467:                           ;   in Loop: Header=BB505_1378 Depth=1
	s_or_b32 exec_lo, exec_lo, s28
	s_delay_alu instid0(SALU_CYCLE_1)
	s_or_not1_b32 s28, s7, exec_lo
.LBB505_1468:                           ;   in Loop: Header=BB505_1378 Depth=1
	s_or_b32 exec_lo, exec_lo, s30
	v_cndmask_b32_e64 v4, v10, v8, s28
	v_cndmask_b32_e64 v5, v26, v25, s28
	s_mov_b32 s30, exec_lo
	s_delay_alu instid0(VALU_DEP_2) | instskip(NEXT) | instid1(VALU_DEP_1)
	v_add_nc_u32_e32 v9, 1, v4
	v_add_min_u32_e64 v4, v5, -1, v9
	s_delay_alu instid0(VALU_DEP_1)
	v_dual_cndmask_b32 v10, v9, v10, s28 :: v_dual_lshlrev_b32 v4, 3, v4
	ds_load_b64 v[6:7], v4
	s_wait_dscnt 0x0
	v_dual_cndmask_b32 v5, v48, v7, s28 :: v_dual_cndmask_b32 v4, v49, v6, s28
	v_cmpx_lt_u32_e64 v10, v26
	s_cbranch_execz .LBB505_1376
; %bb.1469:                             ;   in Loop: Header=BB505_1378 Depth=1
	v_dual_cndmask_b32 v8, v8, v9, s28 :: v_dual_cndmask_b32 v7, v7, v46, s28
	v_cndmask_b32_e64 v6, v6, v47, s28
	s_mov_b32 s31, exec_lo
	s_delay_alu instid0(VALU_DEP_2)
	v_cmpx_lt_u32_e64 v8, v25
	s_cbranch_execz .LBB505_1375
; %bb.1470:                             ;   in Loop: Header=BB505_1378 Depth=1
	s_and_not1_b32 vcc_lo, exec_lo, s26
	s_cbranch_vccnz .LBB505_1374
; %bb.1471:                             ;   in Loop: Header=BB505_1378 Depth=1
	v_mad_nc_u64_u32 v[8:9], s8, v6, s[18:19]
	v_mad_nc_u64_u32 v[10:11], s8, v4, s[18:19]
	s_mov_b32 s33, 0
	s_mov_b64 s[10:11], s[16:17]
                                        ; implicit-def: $sgpr34
                                        ; implicit-def: $sgpr35
                                        ; implicit-def: $sgpr36
                                        ; implicit-def: $sgpr37
	s_delay_alu instid0(VALU_DEP_2) | instskip(NEXT) | instid1(VALU_DEP_2)
	v_mad_u32 v9, s9, v6, v9
	v_mad_u32 v11, s9, v4, v11
	s_delay_alu instid0(VALU_DEP_2) | instskip(NEXT) | instid1(VALU_DEP_2)
	v_mad_u32 v9, s8, v7, v9
	v_mad_u32 v11, s8, v5, v11
	s_branch .LBB505_1473
.LBB505_1472:                           ;   in Loop: Header=BB505_1473 Depth=2
	s_or_b32 exec_lo, exec_lo, s38
	s_delay_alu instid0(SALU_CYCLE_1) | instskip(NEXT) | instid1(SALU_CYCLE_1)
	s_and_b32 s38, exec_lo, s35
	s_or_b32 s33, s38, s33
	s_and_not1_b32 s37, s37, exec_lo
	s_and_b32 s7, s7, exec_lo
	s_and_not1_b32 s34, s34, exec_lo
	s_and_b32 s38, s36, exec_lo
	s_or_b32 s37, s37, s7
	s_or_b32 s34, s34, s38
	s_and_not1_b32 exec_lo, exec_lo, s33
	s_cbranch_execz .LBB505_1373
.LBB505_1473:                           ;   Parent Loop BB505_1378 Depth=1
                                        ; =>  This Inner Loop Header: Depth=2
	global_load_b64 v[50:51], v[8:9], off
	global_load_b64 v[52:53], v[10:11], off
	s_and_not1_b32 s36, s36, exec_lo
	s_or_b32 s35, s35, exec_lo
	s_wait_loadcnt 0x0
	v_cmp_le_i64_e32 vcc_lo, v[50:51], v[52:53]
	v_cmp_lt_i64_e64 s7, v[50:51], v[52:53]
	s_and_b32 s38, vcc_lo, s37
	s_delay_alu instid0(SALU_CYCLE_1) | instskip(NEXT) | instid1(SALU_CYCLE_1)
	s_or_b32 s7, s7, s38
	s_and_b32 s38, s7, exec_lo
	s_delay_alu instid0(SALU_CYCLE_1)
	s_or_b32 s36, s36, s38
	s_mov_b32 s38, exec_lo
	v_cmpx_eq_u64_e64 v[50:51], v[52:53]
	s_cbranch_execz .LBB505_1472
; %bb.1474:                             ;   in Loop: Header=BB505_1473 Depth=2
	s_add_nc_u64 s[10:11], s[10:11], -1
	v_add_nc_u64_e32 v[8:9], 8, v[8:9]
	s_cmp_eq_u64 s[10:11], 0
	v_add_nc_u64_e32 v[10:11], 8, v[10:11]
	s_cselect_b32 s37, -1, 0
	s_and_not1_b32 s35, s35, exec_lo
	s_and_b32 s37, s37, exec_lo
	s_and_not1_b32 s36, s36, exec_lo
	s_or_b32 s35, s35, s37
                                        ; implicit-def: $sgpr37
	s_branch .LBB505_1472
.LBB505_1475:
	s_barrier_signal -1
	s_barrier_wait -1
	ds_store_2addr_b64 v42, v[14:15], v[16:17] offset1:1
	ds_store_2addr_b64 v42, v[10:11], v[12:13] offset0:2 offset1:3
	ds_store_2addr_b64 v42, v[6:7], v[8:9] offset0:4 offset1:5
	;; [unrolled: 1-line block ×3, first 2 shown]
	s_wait_dscnt 0x0
	s_barrier_signal -1
	s_barrier_wait -1
	ds_load_b64 v[14:15], v21 offset:2048
	ds_load_b64 v[12:13], v36 offset:4096
	;; [unrolled: 1-line block ×7, first 2 shown]
	v_mov_b32_e32 v21, 0
	s_delay_alu instid0(VALU_DEP_1)
	v_add_nc_u64_e32 v[4:5], s[20:21], v[20:21]
	s_and_saveexec_b32 s7, s0
	s_cbranch_execnz .LBB505_1487
; %bb.1476:
	s_or_b32 exec_lo, exec_lo, s7
	s_and_saveexec_b32 s0, s1
	s_cbranch_execnz .LBB505_1488
.LBB505_1477:
	s_or_b32 exec_lo, exec_lo, s0
	s_and_saveexec_b32 s0, s2
	s_cbranch_execnz .LBB505_1489
.LBB505_1478:
	s_or_b32 exec_lo, exec_lo, s0
	s_and_saveexec_b32 s0, s3
	s_cbranch_execnz .LBB505_1490
.LBB505_1479:
	s_or_b32 exec_lo, exec_lo, s0
	s_and_saveexec_b32 s0, s4
	s_cbranch_execnz .LBB505_1491
.LBB505_1480:
	s_or_b32 exec_lo, exec_lo, s0
	s_and_saveexec_b32 s0, s5
	s_cbranch_execnz .LBB505_1492
.LBB505_1481:
	s_or_b32 exec_lo, exec_lo, s0
	s_and_saveexec_b32 s0, s6
	s_cbranch_execz .LBB505_1483
.LBB505_1482:
	s_wait_dscnt 0x1
	global_store_b64 v[4:5], v[0:1], off offset:12288
.LBB505_1483:
	s_wait_xcnt 0x0
	s_or_b32 exec_lo, exec_lo, s0
	v_mov_b32_e32 v19, v21
.LBB505_1484:
	s_wait_xcnt 0x0
	s_and_saveexec_b32 s0, s24
	s_cbranch_execz .LBB505_1486
; %bb.1485:
	s_wait_dscnt 0x1
	v_lshl_add_u64 v[0:1], v[18:19], 3, s[20:21]
	s_wait_dscnt 0x0
	global_store_b64 v[0:1], v[2:3], off offset:14336
.LBB505_1486:
	s_endpgm
.LBB505_1487:
	ds_load_b64 v[16:17], v19
	s_wait_dscnt 0x0
	global_store_b64 v[4:5], v[16:17], off
	s_wait_xcnt 0x0
	s_or_b32 exec_lo, exec_lo, s7
	s_and_saveexec_b32 s0, s1
	s_cbranch_execz .LBB505_1477
.LBB505_1488:
	s_wait_dscnt 0x6
	global_store_b64 v[4:5], v[14:15], off offset:2048
	s_wait_xcnt 0x0
	s_or_b32 exec_lo, exec_lo, s0
	s_and_saveexec_b32 s0, s2
	s_cbranch_execz .LBB505_1478
.LBB505_1489:
	s_wait_dscnt 0x5
	global_store_b64 v[4:5], v[12:13], off offset:4096
	s_wait_xcnt 0x0
	s_or_b32 exec_lo, exec_lo, s0
	s_and_saveexec_b32 s0, s3
	s_cbranch_execz .LBB505_1479
.LBB505_1490:
	s_wait_dscnt 0x4
	global_store_b64 v[4:5], v[10:11], off offset:6144
	s_wait_xcnt 0x0
	s_or_b32 exec_lo, exec_lo, s0
	s_and_saveexec_b32 s0, s4
	s_cbranch_execz .LBB505_1480
.LBB505_1491:
	s_wait_dscnt 0x3
	global_store_b64 v[4:5], v[8:9], off offset:8192
	s_wait_xcnt 0x0
	s_or_b32 exec_lo, exec_lo, s0
	s_and_saveexec_b32 s0, s5
	s_cbranch_execz .LBB505_1481
.LBB505_1492:
	s_wait_dscnt 0x2
	global_store_b64 v[4:5], v[6:7], off offset:10240
	s_wait_xcnt 0x0
	s_or_b32 exec_lo, exec_lo, s0
	s_and_saveexec_b32 s0, s6
	s_cbranch_execnz .LBB505_1482
	s_branch .LBB505_1483
	.section	.rodata,"a",@progbits
	.p2align	6, 0x0
	.amdhsa_kernel _ZN7rocprim17ROCPRIM_400000_NS6detail17trampoline_kernelINS0_14default_configENS1_37merge_sort_block_sort_config_selectorIlNS0_10empty_typeEEEZNS1_21merge_sort_block_sortIS3_PlS8_PS5_S9_ZN2at6native12_GLOBAL__N_124unique_dim_cuda_templateIlEESt5tupleIJNSA_6TensorESF_SF_EERKSF_lbbbEUlllE_EE10hipError_tT0_T1_T2_T3_mRjT4_P12ihipStream_tbNS1_7vsmem_tEEUlT_E_NS1_11comp_targetILNS1_3genE0ELNS1_11target_archE4294967295ELNS1_3gpuE0ELNS1_3repE0EEENS1_30default_config_static_selectorELNS0_4arch9wavefront6targetE0EEEvSM_
		.amdhsa_group_segment_fixed_size 16896
		.amdhsa_private_segment_fixed_size 0
		.amdhsa_kernarg_size 328
		.amdhsa_user_sgpr_count 2
		.amdhsa_user_sgpr_dispatch_ptr 0
		.amdhsa_user_sgpr_queue_ptr 0
		.amdhsa_user_sgpr_kernarg_segment_ptr 1
		.amdhsa_user_sgpr_dispatch_id 0
		.amdhsa_user_sgpr_kernarg_preload_length 0
		.amdhsa_user_sgpr_kernarg_preload_offset 0
		.amdhsa_user_sgpr_private_segment_size 0
		.amdhsa_wavefront_size32 1
		.amdhsa_uses_dynamic_stack 0
		.amdhsa_enable_private_segment 0
		.amdhsa_system_sgpr_workgroup_id_x 1
		.amdhsa_system_sgpr_workgroup_id_y 1
		.amdhsa_system_sgpr_workgroup_id_z 1
		.amdhsa_system_sgpr_workgroup_info 0
		.amdhsa_system_vgpr_workitem_id 2
		.amdhsa_next_free_vgpr 58
		.amdhsa_next_free_sgpr 39
		.amdhsa_named_barrier_count 0
		.amdhsa_reserve_vcc 1
		.amdhsa_float_round_mode_32 0
		.amdhsa_float_round_mode_16_64 0
		.amdhsa_float_denorm_mode_32 3
		.amdhsa_float_denorm_mode_16_64 3
		.amdhsa_fp16_overflow 0
		.amdhsa_memory_ordered 1
		.amdhsa_forward_progress 1
		.amdhsa_inst_pref_size 255
		.amdhsa_round_robin_scheduling 0
		.amdhsa_exception_fp_ieee_invalid_op 0
		.amdhsa_exception_fp_denorm_src 0
		.amdhsa_exception_fp_ieee_div_zero 0
		.amdhsa_exception_fp_ieee_overflow 0
		.amdhsa_exception_fp_ieee_underflow 0
		.amdhsa_exception_fp_ieee_inexact 0
		.amdhsa_exception_int_div_zero 0
	.end_amdhsa_kernel
	.section	.text._ZN7rocprim17ROCPRIM_400000_NS6detail17trampoline_kernelINS0_14default_configENS1_37merge_sort_block_sort_config_selectorIlNS0_10empty_typeEEEZNS1_21merge_sort_block_sortIS3_PlS8_PS5_S9_ZN2at6native12_GLOBAL__N_124unique_dim_cuda_templateIlEESt5tupleIJNSA_6TensorESF_SF_EERKSF_lbbbEUlllE_EE10hipError_tT0_T1_T2_T3_mRjT4_P12ihipStream_tbNS1_7vsmem_tEEUlT_E_NS1_11comp_targetILNS1_3genE0ELNS1_11target_archE4294967295ELNS1_3gpuE0ELNS1_3repE0EEENS1_30default_config_static_selectorELNS0_4arch9wavefront6targetE0EEEvSM_,"axG",@progbits,_ZN7rocprim17ROCPRIM_400000_NS6detail17trampoline_kernelINS0_14default_configENS1_37merge_sort_block_sort_config_selectorIlNS0_10empty_typeEEEZNS1_21merge_sort_block_sortIS3_PlS8_PS5_S9_ZN2at6native12_GLOBAL__N_124unique_dim_cuda_templateIlEESt5tupleIJNSA_6TensorESF_SF_EERKSF_lbbbEUlllE_EE10hipError_tT0_T1_T2_T3_mRjT4_P12ihipStream_tbNS1_7vsmem_tEEUlT_E_NS1_11comp_targetILNS1_3genE0ELNS1_11target_archE4294967295ELNS1_3gpuE0ELNS1_3repE0EEENS1_30default_config_static_selectorELNS0_4arch9wavefront6targetE0EEEvSM_,comdat
.Lfunc_end505:
	.size	_ZN7rocprim17ROCPRIM_400000_NS6detail17trampoline_kernelINS0_14default_configENS1_37merge_sort_block_sort_config_selectorIlNS0_10empty_typeEEEZNS1_21merge_sort_block_sortIS3_PlS8_PS5_S9_ZN2at6native12_GLOBAL__N_124unique_dim_cuda_templateIlEESt5tupleIJNSA_6TensorESF_SF_EERKSF_lbbbEUlllE_EE10hipError_tT0_T1_T2_T3_mRjT4_P12ihipStream_tbNS1_7vsmem_tEEUlT_E_NS1_11comp_targetILNS1_3genE0ELNS1_11target_archE4294967295ELNS1_3gpuE0ELNS1_3repE0EEENS1_30default_config_static_selectorELNS0_4arch9wavefront6targetE0EEEvSM_, .Lfunc_end505-_ZN7rocprim17ROCPRIM_400000_NS6detail17trampoline_kernelINS0_14default_configENS1_37merge_sort_block_sort_config_selectorIlNS0_10empty_typeEEEZNS1_21merge_sort_block_sortIS3_PlS8_PS5_S9_ZN2at6native12_GLOBAL__N_124unique_dim_cuda_templateIlEESt5tupleIJNSA_6TensorESF_SF_EERKSF_lbbbEUlllE_EE10hipError_tT0_T1_T2_T3_mRjT4_P12ihipStream_tbNS1_7vsmem_tEEUlT_E_NS1_11comp_targetILNS1_3genE0ELNS1_11target_archE4294967295ELNS1_3gpuE0ELNS1_3repE0EEENS1_30default_config_static_selectorELNS0_4arch9wavefront6targetE0EEEvSM_
                                        ; -- End function
	.set _ZN7rocprim17ROCPRIM_400000_NS6detail17trampoline_kernelINS0_14default_configENS1_37merge_sort_block_sort_config_selectorIlNS0_10empty_typeEEEZNS1_21merge_sort_block_sortIS3_PlS8_PS5_S9_ZN2at6native12_GLOBAL__N_124unique_dim_cuda_templateIlEESt5tupleIJNSA_6TensorESF_SF_EERKSF_lbbbEUlllE_EE10hipError_tT0_T1_T2_T3_mRjT4_P12ihipStream_tbNS1_7vsmem_tEEUlT_E_NS1_11comp_targetILNS1_3genE0ELNS1_11target_archE4294967295ELNS1_3gpuE0ELNS1_3repE0EEENS1_30default_config_static_selectorELNS0_4arch9wavefront6targetE0EEEvSM_.num_vgpr, 58
	.set _ZN7rocprim17ROCPRIM_400000_NS6detail17trampoline_kernelINS0_14default_configENS1_37merge_sort_block_sort_config_selectorIlNS0_10empty_typeEEEZNS1_21merge_sort_block_sortIS3_PlS8_PS5_S9_ZN2at6native12_GLOBAL__N_124unique_dim_cuda_templateIlEESt5tupleIJNSA_6TensorESF_SF_EERKSF_lbbbEUlllE_EE10hipError_tT0_T1_T2_T3_mRjT4_P12ihipStream_tbNS1_7vsmem_tEEUlT_E_NS1_11comp_targetILNS1_3genE0ELNS1_11target_archE4294967295ELNS1_3gpuE0ELNS1_3repE0EEENS1_30default_config_static_selectorELNS0_4arch9wavefront6targetE0EEEvSM_.num_agpr, 0
	.set _ZN7rocprim17ROCPRIM_400000_NS6detail17trampoline_kernelINS0_14default_configENS1_37merge_sort_block_sort_config_selectorIlNS0_10empty_typeEEEZNS1_21merge_sort_block_sortIS3_PlS8_PS5_S9_ZN2at6native12_GLOBAL__N_124unique_dim_cuda_templateIlEESt5tupleIJNSA_6TensorESF_SF_EERKSF_lbbbEUlllE_EE10hipError_tT0_T1_T2_T3_mRjT4_P12ihipStream_tbNS1_7vsmem_tEEUlT_E_NS1_11comp_targetILNS1_3genE0ELNS1_11target_archE4294967295ELNS1_3gpuE0ELNS1_3repE0EEENS1_30default_config_static_selectorELNS0_4arch9wavefront6targetE0EEEvSM_.numbered_sgpr, 39
	.set _ZN7rocprim17ROCPRIM_400000_NS6detail17trampoline_kernelINS0_14default_configENS1_37merge_sort_block_sort_config_selectorIlNS0_10empty_typeEEEZNS1_21merge_sort_block_sortIS3_PlS8_PS5_S9_ZN2at6native12_GLOBAL__N_124unique_dim_cuda_templateIlEESt5tupleIJNSA_6TensorESF_SF_EERKSF_lbbbEUlllE_EE10hipError_tT0_T1_T2_T3_mRjT4_P12ihipStream_tbNS1_7vsmem_tEEUlT_E_NS1_11comp_targetILNS1_3genE0ELNS1_11target_archE4294967295ELNS1_3gpuE0ELNS1_3repE0EEENS1_30default_config_static_selectorELNS0_4arch9wavefront6targetE0EEEvSM_.num_named_barrier, 0
	.set _ZN7rocprim17ROCPRIM_400000_NS6detail17trampoline_kernelINS0_14default_configENS1_37merge_sort_block_sort_config_selectorIlNS0_10empty_typeEEEZNS1_21merge_sort_block_sortIS3_PlS8_PS5_S9_ZN2at6native12_GLOBAL__N_124unique_dim_cuda_templateIlEESt5tupleIJNSA_6TensorESF_SF_EERKSF_lbbbEUlllE_EE10hipError_tT0_T1_T2_T3_mRjT4_P12ihipStream_tbNS1_7vsmem_tEEUlT_E_NS1_11comp_targetILNS1_3genE0ELNS1_11target_archE4294967295ELNS1_3gpuE0ELNS1_3repE0EEENS1_30default_config_static_selectorELNS0_4arch9wavefront6targetE0EEEvSM_.private_seg_size, 0
	.set _ZN7rocprim17ROCPRIM_400000_NS6detail17trampoline_kernelINS0_14default_configENS1_37merge_sort_block_sort_config_selectorIlNS0_10empty_typeEEEZNS1_21merge_sort_block_sortIS3_PlS8_PS5_S9_ZN2at6native12_GLOBAL__N_124unique_dim_cuda_templateIlEESt5tupleIJNSA_6TensorESF_SF_EERKSF_lbbbEUlllE_EE10hipError_tT0_T1_T2_T3_mRjT4_P12ihipStream_tbNS1_7vsmem_tEEUlT_E_NS1_11comp_targetILNS1_3genE0ELNS1_11target_archE4294967295ELNS1_3gpuE0ELNS1_3repE0EEENS1_30default_config_static_selectorELNS0_4arch9wavefront6targetE0EEEvSM_.uses_vcc, 1
	.set _ZN7rocprim17ROCPRIM_400000_NS6detail17trampoline_kernelINS0_14default_configENS1_37merge_sort_block_sort_config_selectorIlNS0_10empty_typeEEEZNS1_21merge_sort_block_sortIS3_PlS8_PS5_S9_ZN2at6native12_GLOBAL__N_124unique_dim_cuda_templateIlEESt5tupleIJNSA_6TensorESF_SF_EERKSF_lbbbEUlllE_EE10hipError_tT0_T1_T2_T3_mRjT4_P12ihipStream_tbNS1_7vsmem_tEEUlT_E_NS1_11comp_targetILNS1_3genE0ELNS1_11target_archE4294967295ELNS1_3gpuE0ELNS1_3repE0EEENS1_30default_config_static_selectorELNS0_4arch9wavefront6targetE0EEEvSM_.uses_flat_scratch, 0
	.set _ZN7rocprim17ROCPRIM_400000_NS6detail17trampoline_kernelINS0_14default_configENS1_37merge_sort_block_sort_config_selectorIlNS0_10empty_typeEEEZNS1_21merge_sort_block_sortIS3_PlS8_PS5_S9_ZN2at6native12_GLOBAL__N_124unique_dim_cuda_templateIlEESt5tupleIJNSA_6TensorESF_SF_EERKSF_lbbbEUlllE_EE10hipError_tT0_T1_T2_T3_mRjT4_P12ihipStream_tbNS1_7vsmem_tEEUlT_E_NS1_11comp_targetILNS1_3genE0ELNS1_11target_archE4294967295ELNS1_3gpuE0ELNS1_3repE0EEENS1_30default_config_static_selectorELNS0_4arch9wavefront6targetE0EEEvSM_.has_dyn_sized_stack, 0
	.set _ZN7rocprim17ROCPRIM_400000_NS6detail17trampoline_kernelINS0_14default_configENS1_37merge_sort_block_sort_config_selectorIlNS0_10empty_typeEEEZNS1_21merge_sort_block_sortIS3_PlS8_PS5_S9_ZN2at6native12_GLOBAL__N_124unique_dim_cuda_templateIlEESt5tupleIJNSA_6TensorESF_SF_EERKSF_lbbbEUlllE_EE10hipError_tT0_T1_T2_T3_mRjT4_P12ihipStream_tbNS1_7vsmem_tEEUlT_E_NS1_11comp_targetILNS1_3genE0ELNS1_11target_archE4294967295ELNS1_3gpuE0ELNS1_3repE0EEENS1_30default_config_static_selectorELNS0_4arch9wavefront6targetE0EEEvSM_.has_recursion, 0
	.set _ZN7rocprim17ROCPRIM_400000_NS6detail17trampoline_kernelINS0_14default_configENS1_37merge_sort_block_sort_config_selectorIlNS0_10empty_typeEEEZNS1_21merge_sort_block_sortIS3_PlS8_PS5_S9_ZN2at6native12_GLOBAL__N_124unique_dim_cuda_templateIlEESt5tupleIJNSA_6TensorESF_SF_EERKSF_lbbbEUlllE_EE10hipError_tT0_T1_T2_T3_mRjT4_P12ihipStream_tbNS1_7vsmem_tEEUlT_E_NS1_11comp_targetILNS1_3genE0ELNS1_11target_archE4294967295ELNS1_3gpuE0ELNS1_3repE0EEENS1_30default_config_static_selectorELNS0_4arch9wavefront6targetE0EEEvSM_.has_indirect_call, 0
	.section	.AMDGPU.csdata,"",@progbits
; Kernel info:
; codeLenInByte = 56504
; TotalNumSgprs: 41
; NumVgprs: 58
; ScratchSize: 0
; MemoryBound: 0
; FloatMode: 240
; IeeeMode: 1
; LDSByteSize: 16896 bytes/workgroup (compile time only)
; SGPRBlocks: 0
; VGPRBlocks: 3
; NumSGPRsForWavesPerEU: 41
; NumVGPRsForWavesPerEU: 58
; NamedBarCnt: 0
; Occupancy: 16
; WaveLimiterHint : 1
; COMPUTE_PGM_RSRC2:SCRATCH_EN: 0
; COMPUTE_PGM_RSRC2:USER_SGPR: 2
; COMPUTE_PGM_RSRC2:TRAP_HANDLER: 0
; COMPUTE_PGM_RSRC2:TGID_X_EN: 1
; COMPUTE_PGM_RSRC2:TGID_Y_EN: 1
; COMPUTE_PGM_RSRC2:TGID_Z_EN: 1
; COMPUTE_PGM_RSRC2:TIDIG_COMP_CNT: 2
	.section	.text._ZN7rocprim17ROCPRIM_400000_NS6detail17trampoline_kernelINS0_14default_configENS1_37merge_sort_block_sort_config_selectorIlNS0_10empty_typeEEEZNS1_21merge_sort_block_sortIS3_PlS8_PS5_S9_ZN2at6native12_GLOBAL__N_124unique_dim_cuda_templateIlEESt5tupleIJNSA_6TensorESF_SF_EERKSF_lbbbEUlllE_EE10hipError_tT0_T1_T2_T3_mRjT4_P12ihipStream_tbNS1_7vsmem_tEEUlT_E_NS1_11comp_targetILNS1_3genE5ELNS1_11target_archE942ELNS1_3gpuE9ELNS1_3repE0EEENS1_30default_config_static_selectorELNS0_4arch9wavefront6targetE0EEEvSM_,"axG",@progbits,_ZN7rocprim17ROCPRIM_400000_NS6detail17trampoline_kernelINS0_14default_configENS1_37merge_sort_block_sort_config_selectorIlNS0_10empty_typeEEEZNS1_21merge_sort_block_sortIS3_PlS8_PS5_S9_ZN2at6native12_GLOBAL__N_124unique_dim_cuda_templateIlEESt5tupleIJNSA_6TensorESF_SF_EERKSF_lbbbEUlllE_EE10hipError_tT0_T1_T2_T3_mRjT4_P12ihipStream_tbNS1_7vsmem_tEEUlT_E_NS1_11comp_targetILNS1_3genE5ELNS1_11target_archE942ELNS1_3gpuE9ELNS1_3repE0EEENS1_30default_config_static_selectorELNS0_4arch9wavefront6targetE0EEEvSM_,comdat
	.globl	_ZN7rocprim17ROCPRIM_400000_NS6detail17trampoline_kernelINS0_14default_configENS1_37merge_sort_block_sort_config_selectorIlNS0_10empty_typeEEEZNS1_21merge_sort_block_sortIS3_PlS8_PS5_S9_ZN2at6native12_GLOBAL__N_124unique_dim_cuda_templateIlEESt5tupleIJNSA_6TensorESF_SF_EERKSF_lbbbEUlllE_EE10hipError_tT0_T1_T2_T3_mRjT4_P12ihipStream_tbNS1_7vsmem_tEEUlT_E_NS1_11comp_targetILNS1_3genE5ELNS1_11target_archE942ELNS1_3gpuE9ELNS1_3repE0EEENS1_30default_config_static_selectorELNS0_4arch9wavefront6targetE0EEEvSM_ ; -- Begin function _ZN7rocprim17ROCPRIM_400000_NS6detail17trampoline_kernelINS0_14default_configENS1_37merge_sort_block_sort_config_selectorIlNS0_10empty_typeEEEZNS1_21merge_sort_block_sortIS3_PlS8_PS5_S9_ZN2at6native12_GLOBAL__N_124unique_dim_cuda_templateIlEESt5tupleIJNSA_6TensorESF_SF_EERKSF_lbbbEUlllE_EE10hipError_tT0_T1_T2_T3_mRjT4_P12ihipStream_tbNS1_7vsmem_tEEUlT_E_NS1_11comp_targetILNS1_3genE5ELNS1_11target_archE942ELNS1_3gpuE9ELNS1_3repE0EEENS1_30default_config_static_selectorELNS0_4arch9wavefront6targetE0EEEvSM_
	.p2align	8
	.type	_ZN7rocprim17ROCPRIM_400000_NS6detail17trampoline_kernelINS0_14default_configENS1_37merge_sort_block_sort_config_selectorIlNS0_10empty_typeEEEZNS1_21merge_sort_block_sortIS3_PlS8_PS5_S9_ZN2at6native12_GLOBAL__N_124unique_dim_cuda_templateIlEESt5tupleIJNSA_6TensorESF_SF_EERKSF_lbbbEUlllE_EE10hipError_tT0_T1_T2_T3_mRjT4_P12ihipStream_tbNS1_7vsmem_tEEUlT_E_NS1_11comp_targetILNS1_3genE5ELNS1_11target_archE942ELNS1_3gpuE9ELNS1_3repE0EEENS1_30default_config_static_selectorELNS0_4arch9wavefront6targetE0EEEvSM_,@function
_ZN7rocprim17ROCPRIM_400000_NS6detail17trampoline_kernelINS0_14default_configENS1_37merge_sort_block_sort_config_selectorIlNS0_10empty_typeEEEZNS1_21merge_sort_block_sortIS3_PlS8_PS5_S9_ZN2at6native12_GLOBAL__N_124unique_dim_cuda_templateIlEESt5tupleIJNSA_6TensorESF_SF_EERKSF_lbbbEUlllE_EE10hipError_tT0_T1_T2_T3_mRjT4_P12ihipStream_tbNS1_7vsmem_tEEUlT_E_NS1_11comp_targetILNS1_3genE5ELNS1_11target_archE942ELNS1_3gpuE9ELNS1_3repE0EEENS1_30default_config_static_selectorELNS0_4arch9wavefront6targetE0EEEvSM_: ; @_ZN7rocprim17ROCPRIM_400000_NS6detail17trampoline_kernelINS0_14default_configENS1_37merge_sort_block_sort_config_selectorIlNS0_10empty_typeEEEZNS1_21merge_sort_block_sortIS3_PlS8_PS5_S9_ZN2at6native12_GLOBAL__N_124unique_dim_cuda_templateIlEESt5tupleIJNSA_6TensorESF_SF_EERKSF_lbbbEUlllE_EE10hipError_tT0_T1_T2_T3_mRjT4_P12ihipStream_tbNS1_7vsmem_tEEUlT_E_NS1_11comp_targetILNS1_3genE5ELNS1_11target_archE942ELNS1_3gpuE9ELNS1_3repE0EEENS1_30default_config_static_selectorELNS0_4arch9wavefront6targetE0EEEvSM_
; %bb.0:
	.section	.rodata,"a",@progbits
	.p2align	6, 0x0
	.amdhsa_kernel _ZN7rocprim17ROCPRIM_400000_NS6detail17trampoline_kernelINS0_14default_configENS1_37merge_sort_block_sort_config_selectorIlNS0_10empty_typeEEEZNS1_21merge_sort_block_sortIS3_PlS8_PS5_S9_ZN2at6native12_GLOBAL__N_124unique_dim_cuda_templateIlEESt5tupleIJNSA_6TensorESF_SF_EERKSF_lbbbEUlllE_EE10hipError_tT0_T1_T2_T3_mRjT4_P12ihipStream_tbNS1_7vsmem_tEEUlT_E_NS1_11comp_targetILNS1_3genE5ELNS1_11target_archE942ELNS1_3gpuE9ELNS1_3repE0EEENS1_30default_config_static_selectorELNS0_4arch9wavefront6targetE0EEEvSM_
		.amdhsa_group_segment_fixed_size 0
		.amdhsa_private_segment_fixed_size 0
		.amdhsa_kernarg_size 72
		.amdhsa_user_sgpr_count 2
		.amdhsa_user_sgpr_dispatch_ptr 0
		.amdhsa_user_sgpr_queue_ptr 0
		.amdhsa_user_sgpr_kernarg_segment_ptr 1
		.amdhsa_user_sgpr_dispatch_id 0
		.amdhsa_user_sgpr_kernarg_preload_length 0
		.amdhsa_user_sgpr_kernarg_preload_offset 0
		.amdhsa_user_sgpr_private_segment_size 0
		.amdhsa_wavefront_size32 1
		.amdhsa_uses_dynamic_stack 0
		.amdhsa_enable_private_segment 0
		.amdhsa_system_sgpr_workgroup_id_x 1
		.amdhsa_system_sgpr_workgroup_id_y 0
		.amdhsa_system_sgpr_workgroup_id_z 0
		.amdhsa_system_sgpr_workgroup_info 0
		.amdhsa_system_vgpr_workitem_id 0
		.amdhsa_next_free_vgpr 1
		.amdhsa_next_free_sgpr 1
		.amdhsa_named_barrier_count 0
		.amdhsa_reserve_vcc 0
		.amdhsa_float_round_mode_32 0
		.amdhsa_float_round_mode_16_64 0
		.amdhsa_float_denorm_mode_32 3
		.amdhsa_float_denorm_mode_16_64 3
		.amdhsa_fp16_overflow 0
		.amdhsa_memory_ordered 1
		.amdhsa_forward_progress 1
		.amdhsa_inst_pref_size 0
		.amdhsa_round_robin_scheduling 0
		.amdhsa_exception_fp_ieee_invalid_op 0
		.amdhsa_exception_fp_denorm_src 0
		.amdhsa_exception_fp_ieee_div_zero 0
		.amdhsa_exception_fp_ieee_overflow 0
		.amdhsa_exception_fp_ieee_underflow 0
		.amdhsa_exception_fp_ieee_inexact 0
		.amdhsa_exception_int_div_zero 0
	.end_amdhsa_kernel
	.section	.text._ZN7rocprim17ROCPRIM_400000_NS6detail17trampoline_kernelINS0_14default_configENS1_37merge_sort_block_sort_config_selectorIlNS0_10empty_typeEEEZNS1_21merge_sort_block_sortIS3_PlS8_PS5_S9_ZN2at6native12_GLOBAL__N_124unique_dim_cuda_templateIlEESt5tupleIJNSA_6TensorESF_SF_EERKSF_lbbbEUlllE_EE10hipError_tT0_T1_T2_T3_mRjT4_P12ihipStream_tbNS1_7vsmem_tEEUlT_E_NS1_11comp_targetILNS1_3genE5ELNS1_11target_archE942ELNS1_3gpuE9ELNS1_3repE0EEENS1_30default_config_static_selectorELNS0_4arch9wavefront6targetE0EEEvSM_,"axG",@progbits,_ZN7rocprim17ROCPRIM_400000_NS6detail17trampoline_kernelINS0_14default_configENS1_37merge_sort_block_sort_config_selectorIlNS0_10empty_typeEEEZNS1_21merge_sort_block_sortIS3_PlS8_PS5_S9_ZN2at6native12_GLOBAL__N_124unique_dim_cuda_templateIlEESt5tupleIJNSA_6TensorESF_SF_EERKSF_lbbbEUlllE_EE10hipError_tT0_T1_T2_T3_mRjT4_P12ihipStream_tbNS1_7vsmem_tEEUlT_E_NS1_11comp_targetILNS1_3genE5ELNS1_11target_archE942ELNS1_3gpuE9ELNS1_3repE0EEENS1_30default_config_static_selectorELNS0_4arch9wavefront6targetE0EEEvSM_,comdat
.Lfunc_end506:
	.size	_ZN7rocprim17ROCPRIM_400000_NS6detail17trampoline_kernelINS0_14default_configENS1_37merge_sort_block_sort_config_selectorIlNS0_10empty_typeEEEZNS1_21merge_sort_block_sortIS3_PlS8_PS5_S9_ZN2at6native12_GLOBAL__N_124unique_dim_cuda_templateIlEESt5tupleIJNSA_6TensorESF_SF_EERKSF_lbbbEUlllE_EE10hipError_tT0_T1_T2_T3_mRjT4_P12ihipStream_tbNS1_7vsmem_tEEUlT_E_NS1_11comp_targetILNS1_3genE5ELNS1_11target_archE942ELNS1_3gpuE9ELNS1_3repE0EEENS1_30default_config_static_selectorELNS0_4arch9wavefront6targetE0EEEvSM_, .Lfunc_end506-_ZN7rocprim17ROCPRIM_400000_NS6detail17trampoline_kernelINS0_14default_configENS1_37merge_sort_block_sort_config_selectorIlNS0_10empty_typeEEEZNS1_21merge_sort_block_sortIS3_PlS8_PS5_S9_ZN2at6native12_GLOBAL__N_124unique_dim_cuda_templateIlEESt5tupleIJNSA_6TensorESF_SF_EERKSF_lbbbEUlllE_EE10hipError_tT0_T1_T2_T3_mRjT4_P12ihipStream_tbNS1_7vsmem_tEEUlT_E_NS1_11comp_targetILNS1_3genE5ELNS1_11target_archE942ELNS1_3gpuE9ELNS1_3repE0EEENS1_30default_config_static_selectorELNS0_4arch9wavefront6targetE0EEEvSM_
                                        ; -- End function
	.set _ZN7rocprim17ROCPRIM_400000_NS6detail17trampoline_kernelINS0_14default_configENS1_37merge_sort_block_sort_config_selectorIlNS0_10empty_typeEEEZNS1_21merge_sort_block_sortIS3_PlS8_PS5_S9_ZN2at6native12_GLOBAL__N_124unique_dim_cuda_templateIlEESt5tupleIJNSA_6TensorESF_SF_EERKSF_lbbbEUlllE_EE10hipError_tT0_T1_T2_T3_mRjT4_P12ihipStream_tbNS1_7vsmem_tEEUlT_E_NS1_11comp_targetILNS1_3genE5ELNS1_11target_archE942ELNS1_3gpuE9ELNS1_3repE0EEENS1_30default_config_static_selectorELNS0_4arch9wavefront6targetE0EEEvSM_.num_vgpr, 0
	.set _ZN7rocprim17ROCPRIM_400000_NS6detail17trampoline_kernelINS0_14default_configENS1_37merge_sort_block_sort_config_selectorIlNS0_10empty_typeEEEZNS1_21merge_sort_block_sortIS3_PlS8_PS5_S9_ZN2at6native12_GLOBAL__N_124unique_dim_cuda_templateIlEESt5tupleIJNSA_6TensorESF_SF_EERKSF_lbbbEUlllE_EE10hipError_tT0_T1_T2_T3_mRjT4_P12ihipStream_tbNS1_7vsmem_tEEUlT_E_NS1_11comp_targetILNS1_3genE5ELNS1_11target_archE942ELNS1_3gpuE9ELNS1_3repE0EEENS1_30default_config_static_selectorELNS0_4arch9wavefront6targetE0EEEvSM_.num_agpr, 0
	.set _ZN7rocprim17ROCPRIM_400000_NS6detail17trampoline_kernelINS0_14default_configENS1_37merge_sort_block_sort_config_selectorIlNS0_10empty_typeEEEZNS1_21merge_sort_block_sortIS3_PlS8_PS5_S9_ZN2at6native12_GLOBAL__N_124unique_dim_cuda_templateIlEESt5tupleIJNSA_6TensorESF_SF_EERKSF_lbbbEUlllE_EE10hipError_tT0_T1_T2_T3_mRjT4_P12ihipStream_tbNS1_7vsmem_tEEUlT_E_NS1_11comp_targetILNS1_3genE5ELNS1_11target_archE942ELNS1_3gpuE9ELNS1_3repE0EEENS1_30default_config_static_selectorELNS0_4arch9wavefront6targetE0EEEvSM_.numbered_sgpr, 0
	.set _ZN7rocprim17ROCPRIM_400000_NS6detail17trampoline_kernelINS0_14default_configENS1_37merge_sort_block_sort_config_selectorIlNS0_10empty_typeEEEZNS1_21merge_sort_block_sortIS3_PlS8_PS5_S9_ZN2at6native12_GLOBAL__N_124unique_dim_cuda_templateIlEESt5tupleIJNSA_6TensorESF_SF_EERKSF_lbbbEUlllE_EE10hipError_tT0_T1_T2_T3_mRjT4_P12ihipStream_tbNS1_7vsmem_tEEUlT_E_NS1_11comp_targetILNS1_3genE5ELNS1_11target_archE942ELNS1_3gpuE9ELNS1_3repE0EEENS1_30default_config_static_selectorELNS0_4arch9wavefront6targetE0EEEvSM_.num_named_barrier, 0
	.set _ZN7rocprim17ROCPRIM_400000_NS6detail17trampoline_kernelINS0_14default_configENS1_37merge_sort_block_sort_config_selectorIlNS0_10empty_typeEEEZNS1_21merge_sort_block_sortIS3_PlS8_PS5_S9_ZN2at6native12_GLOBAL__N_124unique_dim_cuda_templateIlEESt5tupleIJNSA_6TensorESF_SF_EERKSF_lbbbEUlllE_EE10hipError_tT0_T1_T2_T3_mRjT4_P12ihipStream_tbNS1_7vsmem_tEEUlT_E_NS1_11comp_targetILNS1_3genE5ELNS1_11target_archE942ELNS1_3gpuE9ELNS1_3repE0EEENS1_30default_config_static_selectorELNS0_4arch9wavefront6targetE0EEEvSM_.private_seg_size, 0
	.set _ZN7rocprim17ROCPRIM_400000_NS6detail17trampoline_kernelINS0_14default_configENS1_37merge_sort_block_sort_config_selectorIlNS0_10empty_typeEEEZNS1_21merge_sort_block_sortIS3_PlS8_PS5_S9_ZN2at6native12_GLOBAL__N_124unique_dim_cuda_templateIlEESt5tupleIJNSA_6TensorESF_SF_EERKSF_lbbbEUlllE_EE10hipError_tT0_T1_T2_T3_mRjT4_P12ihipStream_tbNS1_7vsmem_tEEUlT_E_NS1_11comp_targetILNS1_3genE5ELNS1_11target_archE942ELNS1_3gpuE9ELNS1_3repE0EEENS1_30default_config_static_selectorELNS0_4arch9wavefront6targetE0EEEvSM_.uses_vcc, 0
	.set _ZN7rocprim17ROCPRIM_400000_NS6detail17trampoline_kernelINS0_14default_configENS1_37merge_sort_block_sort_config_selectorIlNS0_10empty_typeEEEZNS1_21merge_sort_block_sortIS3_PlS8_PS5_S9_ZN2at6native12_GLOBAL__N_124unique_dim_cuda_templateIlEESt5tupleIJNSA_6TensorESF_SF_EERKSF_lbbbEUlllE_EE10hipError_tT0_T1_T2_T3_mRjT4_P12ihipStream_tbNS1_7vsmem_tEEUlT_E_NS1_11comp_targetILNS1_3genE5ELNS1_11target_archE942ELNS1_3gpuE9ELNS1_3repE0EEENS1_30default_config_static_selectorELNS0_4arch9wavefront6targetE0EEEvSM_.uses_flat_scratch, 0
	.set _ZN7rocprim17ROCPRIM_400000_NS6detail17trampoline_kernelINS0_14default_configENS1_37merge_sort_block_sort_config_selectorIlNS0_10empty_typeEEEZNS1_21merge_sort_block_sortIS3_PlS8_PS5_S9_ZN2at6native12_GLOBAL__N_124unique_dim_cuda_templateIlEESt5tupleIJNSA_6TensorESF_SF_EERKSF_lbbbEUlllE_EE10hipError_tT0_T1_T2_T3_mRjT4_P12ihipStream_tbNS1_7vsmem_tEEUlT_E_NS1_11comp_targetILNS1_3genE5ELNS1_11target_archE942ELNS1_3gpuE9ELNS1_3repE0EEENS1_30default_config_static_selectorELNS0_4arch9wavefront6targetE0EEEvSM_.has_dyn_sized_stack, 0
	.set _ZN7rocprim17ROCPRIM_400000_NS6detail17trampoline_kernelINS0_14default_configENS1_37merge_sort_block_sort_config_selectorIlNS0_10empty_typeEEEZNS1_21merge_sort_block_sortIS3_PlS8_PS5_S9_ZN2at6native12_GLOBAL__N_124unique_dim_cuda_templateIlEESt5tupleIJNSA_6TensorESF_SF_EERKSF_lbbbEUlllE_EE10hipError_tT0_T1_T2_T3_mRjT4_P12ihipStream_tbNS1_7vsmem_tEEUlT_E_NS1_11comp_targetILNS1_3genE5ELNS1_11target_archE942ELNS1_3gpuE9ELNS1_3repE0EEENS1_30default_config_static_selectorELNS0_4arch9wavefront6targetE0EEEvSM_.has_recursion, 0
	.set _ZN7rocprim17ROCPRIM_400000_NS6detail17trampoline_kernelINS0_14default_configENS1_37merge_sort_block_sort_config_selectorIlNS0_10empty_typeEEEZNS1_21merge_sort_block_sortIS3_PlS8_PS5_S9_ZN2at6native12_GLOBAL__N_124unique_dim_cuda_templateIlEESt5tupleIJNSA_6TensorESF_SF_EERKSF_lbbbEUlllE_EE10hipError_tT0_T1_T2_T3_mRjT4_P12ihipStream_tbNS1_7vsmem_tEEUlT_E_NS1_11comp_targetILNS1_3genE5ELNS1_11target_archE942ELNS1_3gpuE9ELNS1_3repE0EEENS1_30default_config_static_selectorELNS0_4arch9wavefront6targetE0EEEvSM_.has_indirect_call, 0
	.section	.AMDGPU.csdata,"",@progbits
; Kernel info:
; codeLenInByte = 0
; TotalNumSgprs: 0
; NumVgprs: 0
; ScratchSize: 0
; MemoryBound: 0
; FloatMode: 240
; IeeeMode: 1
; LDSByteSize: 0 bytes/workgroup (compile time only)
; SGPRBlocks: 0
; VGPRBlocks: 0
; NumSGPRsForWavesPerEU: 1
; NumVGPRsForWavesPerEU: 1
; NamedBarCnt: 0
; Occupancy: 16
; WaveLimiterHint : 0
; COMPUTE_PGM_RSRC2:SCRATCH_EN: 0
; COMPUTE_PGM_RSRC2:USER_SGPR: 2
; COMPUTE_PGM_RSRC2:TRAP_HANDLER: 0
; COMPUTE_PGM_RSRC2:TGID_X_EN: 1
; COMPUTE_PGM_RSRC2:TGID_Y_EN: 0
; COMPUTE_PGM_RSRC2:TGID_Z_EN: 0
; COMPUTE_PGM_RSRC2:TIDIG_COMP_CNT: 0
	.section	.text._ZN7rocprim17ROCPRIM_400000_NS6detail17trampoline_kernelINS0_14default_configENS1_37merge_sort_block_sort_config_selectorIlNS0_10empty_typeEEEZNS1_21merge_sort_block_sortIS3_PlS8_PS5_S9_ZN2at6native12_GLOBAL__N_124unique_dim_cuda_templateIlEESt5tupleIJNSA_6TensorESF_SF_EERKSF_lbbbEUlllE_EE10hipError_tT0_T1_T2_T3_mRjT4_P12ihipStream_tbNS1_7vsmem_tEEUlT_E_NS1_11comp_targetILNS1_3genE4ELNS1_11target_archE910ELNS1_3gpuE8ELNS1_3repE0EEENS1_30default_config_static_selectorELNS0_4arch9wavefront6targetE0EEEvSM_,"axG",@progbits,_ZN7rocprim17ROCPRIM_400000_NS6detail17trampoline_kernelINS0_14default_configENS1_37merge_sort_block_sort_config_selectorIlNS0_10empty_typeEEEZNS1_21merge_sort_block_sortIS3_PlS8_PS5_S9_ZN2at6native12_GLOBAL__N_124unique_dim_cuda_templateIlEESt5tupleIJNSA_6TensorESF_SF_EERKSF_lbbbEUlllE_EE10hipError_tT0_T1_T2_T3_mRjT4_P12ihipStream_tbNS1_7vsmem_tEEUlT_E_NS1_11comp_targetILNS1_3genE4ELNS1_11target_archE910ELNS1_3gpuE8ELNS1_3repE0EEENS1_30default_config_static_selectorELNS0_4arch9wavefront6targetE0EEEvSM_,comdat
	.globl	_ZN7rocprim17ROCPRIM_400000_NS6detail17trampoline_kernelINS0_14default_configENS1_37merge_sort_block_sort_config_selectorIlNS0_10empty_typeEEEZNS1_21merge_sort_block_sortIS3_PlS8_PS5_S9_ZN2at6native12_GLOBAL__N_124unique_dim_cuda_templateIlEESt5tupleIJNSA_6TensorESF_SF_EERKSF_lbbbEUlllE_EE10hipError_tT0_T1_T2_T3_mRjT4_P12ihipStream_tbNS1_7vsmem_tEEUlT_E_NS1_11comp_targetILNS1_3genE4ELNS1_11target_archE910ELNS1_3gpuE8ELNS1_3repE0EEENS1_30default_config_static_selectorELNS0_4arch9wavefront6targetE0EEEvSM_ ; -- Begin function _ZN7rocprim17ROCPRIM_400000_NS6detail17trampoline_kernelINS0_14default_configENS1_37merge_sort_block_sort_config_selectorIlNS0_10empty_typeEEEZNS1_21merge_sort_block_sortIS3_PlS8_PS5_S9_ZN2at6native12_GLOBAL__N_124unique_dim_cuda_templateIlEESt5tupleIJNSA_6TensorESF_SF_EERKSF_lbbbEUlllE_EE10hipError_tT0_T1_T2_T3_mRjT4_P12ihipStream_tbNS1_7vsmem_tEEUlT_E_NS1_11comp_targetILNS1_3genE4ELNS1_11target_archE910ELNS1_3gpuE8ELNS1_3repE0EEENS1_30default_config_static_selectorELNS0_4arch9wavefront6targetE0EEEvSM_
	.p2align	8
	.type	_ZN7rocprim17ROCPRIM_400000_NS6detail17trampoline_kernelINS0_14default_configENS1_37merge_sort_block_sort_config_selectorIlNS0_10empty_typeEEEZNS1_21merge_sort_block_sortIS3_PlS8_PS5_S9_ZN2at6native12_GLOBAL__N_124unique_dim_cuda_templateIlEESt5tupleIJNSA_6TensorESF_SF_EERKSF_lbbbEUlllE_EE10hipError_tT0_T1_T2_T3_mRjT4_P12ihipStream_tbNS1_7vsmem_tEEUlT_E_NS1_11comp_targetILNS1_3genE4ELNS1_11target_archE910ELNS1_3gpuE8ELNS1_3repE0EEENS1_30default_config_static_selectorELNS0_4arch9wavefront6targetE0EEEvSM_,@function
_ZN7rocprim17ROCPRIM_400000_NS6detail17trampoline_kernelINS0_14default_configENS1_37merge_sort_block_sort_config_selectorIlNS0_10empty_typeEEEZNS1_21merge_sort_block_sortIS3_PlS8_PS5_S9_ZN2at6native12_GLOBAL__N_124unique_dim_cuda_templateIlEESt5tupleIJNSA_6TensorESF_SF_EERKSF_lbbbEUlllE_EE10hipError_tT0_T1_T2_T3_mRjT4_P12ihipStream_tbNS1_7vsmem_tEEUlT_E_NS1_11comp_targetILNS1_3genE4ELNS1_11target_archE910ELNS1_3gpuE8ELNS1_3repE0EEENS1_30default_config_static_selectorELNS0_4arch9wavefront6targetE0EEEvSM_: ; @_ZN7rocprim17ROCPRIM_400000_NS6detail17trampoline_kernelINS0_14default_configENS1_37merge_sort_block_sort_config_selectorIlNS0_10empty_typeEEEZNS1_21merge_sort_block_sortIS3_PlS8_PS5_S9_ZN2at6native12_GLOBAL__N_124unique_dim_cuda_templateIlEESt5tupleIJNSA_6TensorESF_SF_EERKSF_lbbbEUlllE_EE10hipError_tT0_T1_T2_T3_mRjT4_P12ihipStream_tbNS1_7vsmem_tEEUlT_E_NS1_11comp_targetILNS1_3genE4ELNS1_11target_archE910ELNS1_3gpuE8ELNS1_3repE0EEENS1_30default_config_static_selectorELNS0_4arch9wavefront6targetE0EEEvSM_
; %bb.0:
	.section	.rodata,"a",@progbits
	.p2align	6, 0x0
	.amdhsa_kernel _ZN7rocprim17ROCPRIM_400000_NS6detail17trampoline_kernelINS0_14default_configENS1_37merge_sort_block_sort_config_selectorIlNS0_10empty_typeEEEZNS1_21merge_sort_block_sortIS3_PlS8_PS5_S9_ZN2at6native12_GLOBAL__N_124unique_dim_cuda_templateIlEESt5tupleIJNSA_6TensorESF_SF_EERKSF_lbbbEUlllE_EE10hipError_tT0_T1_T2_T3_mRjT4_P12ihipStream_tbNS1_7vsmem_tEEUlT_E_NS1_11comp_targetILNS1_3genE4ELNS1_11target_archE910ELNS1_3gpuE8ELNS1_3repE0EEENS1_30default_config_static_selectorELNS0_4arch9wavefront6targetE0EEEvSM_
		.amdhsa_group_segment_fixed_size 0
		.amdhsa_private_segment_fixed_size 0
		.amdhsa_kernarg_size 72
		.amdhsa_user_sgpr_count 2
		.amdhsa_user_sgpr_dispatch_ptr 0
		.amdhsa_user_sgpr_queue_ptr 0
		.amdhsa_user_sgpr_kernarg_segment_ptr 1
		.amdhsa_user_sgpr_dispatch_id 0
		.amdhsa_user_sgpr_kernarg_preload_length 0
		.amdhsa_user_sgpr_kernarg_preload_offset 0
		.amdhsa_user_sgpr_private_segment_size 0
		.amdhsa_wavefront_size32 1
		.amdhsa_uses_dynamic_stack 0
		.amdhsa_enable_private_segment 0
		.amdhsa_system_sgpr_workgroup_id_x 1
		.amdhsa_system_sgpr_workgroup_id_y 0
		.amdhsa_system_sgpr_workgroup_id_z 0
		.amdhsa_system_sgpr_workgroup_info 0
		.amdhsa_system_vgpr_workitem_id 0
		.amdhsa_next_free_vgpr 1
		.amdhsa_next_free_sgpr 1
		.amdhsa_named_barrier_count 0
		.amdhsa_reserve_vcc 0
		.amdhsa_float_round_mode_32 0
		.amdhsa_float_round_mode_16_64 0
		.amdhsa_float_denorm_mode_32 3
		.amdhsa_float_denorm_mode_16_64 3
		.amdhsa_fp16_overflow 0
		.amdhsa_memory_ordered 1
		.amdhsa_forward_progress 1
		.amdhsa_inst_pref_size 0
		.amdhsa_round_robin_scheduling 0
		.amdhsa_exception_fp_ieee_invalid_op 0
		.amdhsa_exception_fp_denorm_src 0
		.amdhsa_exception_fp_ieee_div_zero 0
		.amdhsa_exception_fp_ieee_overflow 0
		.amdhsa_exception_fp_ieee_underflow 0
		.amdhsa_exception_fp_ieee_inexact 0
		.amdhsa_exception_int_div_zero 0
	.end_amdhsa_kernel
	.section	.text._ZN7rocprim17ROCPRIM_400000_NS6detail17trampoline_kernelINS0_14default_configENS1_37merge_sort_block_sort_config_selectorIlNS0_10empty_typeEEEZNS1_21merge_sort_block_sortIS3_PlS8_PS5_S9_ZN2at6native12_GLOBAL__N_124unique_dim_cuda_templateIlEESt5tupleIJNSA_6TensorESF_SF_EERKSF_lbbbEUlllE_EE10hipError_tT0_T1_T2_T3_mRjT4_P12ihipStream_tbNS1_7vsmem_tEEUlT_E_NS1_11comp_targetILNS1_3genE4ELNS1_11target_archE910ELNS1_3gpuE8ELNS1_3repE0EEENS1_30default_config_static_selectorELNS0_4arch9wavefront6targetE0EEEvSM_,"axG",@progbits,_ZN7rocprim17ROCPRIM_400000_NS6detail17trampoline_kernelINS0_14default_configENS1_37merge_sort_block_sort_config_selectorIlNS0_10empty_typeEEEZNS1_21merge_sort_block_sortIS3_PlS8_PS5_S9_ZN2at6native12_GLOBAL__N_124unique_dim_cuda_templateIlEESt5tupleIJNSA_6TensorESF_SF_EERKSF_lbbbEUlllE_EE10hipError_tT0_T1_T2_T3_mRjT4_P12ihipStream_tbNS1_7vsmem_tEEUlT_E_NS1_11comp_targetILNS1_3genE4ELNS1_11target_archE910ELNS1_3gpuE8ELNS1_3repE0EEENS1_30default_config_static_selectorELNS0_4arch9wavefront6targetE0EEEvSM_,comdat
.Lfunc_end507:
	.size	_ZN7rocprim17ROCPRIM_400000_NS6detail17trampoline_kernelINS0_14default_configENS1_37merge_sort_block_sort_config_selectorIlNS0_10empty_typeEEEZNS1_21merge_sort_block_sortIS3_PlS8_PS5_S9_ZN2at6native12_GLOBAL__N_124unique_dim_cuda_templateIlEESt5tupleIJNSA_6TensorESF_SF_EERKSF_lbbbEUlllE_EE10hipError_tT0_T1_T2_T3_mRjT4_P12ihipStream_tbNS1_7vsmem_tEEUlT_E_NS1_11comp_targetILNS1_3genE4ELNS1_11target_archE910ELNS1_3gpuE8ELNS1_3repE0EEENS1_30default_config_static_selectorELNS0_4arch9wavefront6targetE0EEEvSM_, .Lfunc_end507-_ZN7rocprim17ROCPRIM_400000_NS6detail17trampoline_kernelINS0_14default_configENS1_37merge_sort_block_sort_config_selectorIlNS0_10empty_typeEEEZNS1_21merge_sort_block_sortIS3_PlS8_PS5_S9_ZN2at6native12_GLOBAL__N_124unique_dim_cuda_templateIlEESt5tupleIJNSA_6TensorESF_SF_EERKSF_lbbbEUlllE_EE10hipError_tT0_T1_T2_T3_mRjT4_P12ihipStream_tbNS1_7vsmem_tEEUlT_E_NS1_11comp_targetILNS1_3genE4ELNS1_11target_archE910ELNS1_3gpuE8ELNS1_3repE0EEENS1_30default_config_static_selectorELNS0_4arch9wavefront6targetE0EEEvSM_
                                        ; -- End function
	.set _ZN7rocprim17ROCPRIM_400000_NS6detail17trampoline_kernelINS0_14default_configENS1_37merge_sort_block_sort_config_selectorIlNS0_10empty_typeEEEZNS1_21merge_sort_block_sortIS3_PlS8_PS5_S9_ZN2at6native12_GLOBAL__N_124unique_dim_cuda_templateIlEESt5tupleIJNSA_6TensorESF_SF_EERKSF_lbbbEUlllE_EE10hipError_tT0_T1_T2_T3_mRjT4_P12ihipStream_tbNS1_7vsmem_tEEUlT_E_NS1_11comp_targetILNS1_3genE4ELNS1_11target_archE910ELNS1_3gpuE8ELNS1_3repE0EEENS1_30default_config_static_selectorELNS0_4arch9wavefront6targetE0EEEvSM_.num_vgpr, 0
	.set _ZN7rocprim17ROCPRIM_400000_NS6detail17trampoline_kernelINS0_14default_configENS1_37merge_sort_block_sort_config_selectorIlNS0_10empty_typeEEEZNS1_21merge_sort_block_sortIS3_PlS8_PS5_S9_ZN2at6native12_GLOBAL__N_124unique_dim_cuda_templateIlEESt5tupleIJNSA_6TensorESF_SF_EERKSF_lbbbEUlllE_EE10hipError_tT0_T1_T2_T3_mRjT4_P12ihipStream_tbNS1_7vsmem_tEEUlT_E_NS1_11comp_targetILNS1_3genE4ELNS1_11target_archE910ELNS1_3gpuE8ELNS1_3repE0EEENS1_30default_config_static_selectorELNS0_4arch9wavefront6targetE0EEEvSM_.num_agpr, 0
	.set _ZN7rocprim17ROCPRIM_400000_NS6detail17trampoline_kernelINS0_14default_configENS1_37merge_sort_block_sort_config_selectorIlNS0_10empty_typeEEEZNS1_21merge_sort_block_sortIS3_PlS8_PS5_S9_ZN2at6native12_GLOBAL__N_124unique_dim_cuda_templateIlEESt5tupleIJNSA_6TensorESF_SF_EERKSF_lbbbEUlllE_EE10hipError_tT0_T1_T2_T3_mRjT4_P12ihipStream_tbNS1_7vsmem_tEEUlT_E_NS1_11comp_targetILNS1_3genE4ELNS1_11target_archE910ELNS1_3gpuE8ELNS1_3repE0EEENS1_30default_config_static_selectorELNS0_4arch9wavefront6targetE0EEEvSM_.numbered_sgpr, 0
	.set _ZN7rocprim17ROCPRIM_400000_NS6detail17trampoline_kernelINS0_14default_configENS1_37merge_sort_block_sort_config_selectorIlNS0_10empty_typeEEEZNS1_21merge_sort_block_sortIS3_PlS8_PS5_S9_ZN2at6native12_GLOBAL__N_124unique_dim_cuda_templateIlEESt5tupleIJNSA_6TensorESF_SF_EERKSF_lbbbEUlllE_EE10hipError_tT0_T1_T2_T3_mRjT4_P12ihipStream_tbNS1_7vsmem_tEEUlT_E_NS1_11comp_targetILNS1_3genE4ELNS1_11target_archE910ELNS1_3gpuE8ELNS1_3repE0EEENS1_30default_config_static_selectorELNS0_4arch9wavefront6targetE0EEEvSM_.num_named_barrier, 0
	.set _ZN7rocprim17ROCPRIM_400000_NS6detail17trampoline_kernelINS0_14default_configENS1_37merge_sort_block_sort_config_selectorIlNS0_10empty_typeEEEZNS1_21merge_sort_block_sortIS3_PlS8_PS5_S9_ZN2at6native12_GLOBAL__N_124unique_dim_cuda_templateIlEESt5tupleIJNSA_6TensorESF_SF_EERKSF_lbbbEUlllE_EE10hipError_tT0_T1_T2_T3_mRjT4_P12ihipStream_tbNS1_7vsmem_tEEUlT_E_NS1_11comp_targetILNS1_3genE4ELNS1_11target_archE910ELNS1_3gpuE8ELNS1_3repE0EEENS1_30default_config_static_selectorELNS0_4arch9wavefront6targetE0EEEvSM_.private_seg_size, 0
	.set _ZN7rocprim17ROCPRIM_400000_NS6detail17trampoline_kernelINS0_14default_configENS1_37merge_sort_block_sort_config_selectorIlNS0_10empty_typeEEEZNS1_21merge_sort_block_sortIS3_PlS8_PS5_S9_ZN2at6native12_GLOBAL__N_124unique_dim_cuda_templateIlEESt5tupleIJNSA_6TensorESF_SF_EERKSF_lbbbEUlllE_EE10hipError_tT0_T1_T2_T3_mRjT4_P12ihipStream_tbNS1_7vsmem_tEEUlT_E_NS1_11comp_targetILNS1_3genE4ELNS1_11target_archE910ELNS1_3gpuE8ELNS1_3repE0EEENS1_30default_config_static_selectorELNS0_4arch9wavefront6targetE0EEEvSM_.uses_vcc, 0
	.set _ZN7rocprim17ROCPRIM_400000_NS6detail17trampoline_kernelINS0_14default_configENS1_37merge_sort_block_sort_config_selectorIlNS0_10empty_typeEEEZNS1_21merge_sort_block_sortIS3_PlS8_PS5_S9_ZN2at6native12_GLOBAL__N_124unique_dim_cuda_templateIlEESt5tupleIJNSA_6TensorESF_SF_EERKSF_lbbbEUlllE_EE10hipError_tT0_T1_T2_T3_mRjT4_P12ihipStream_tbNS1_7vsmem_tEEUlT_E_NS1_11comp_targetILNS1_3genE4ELNS1_11target_archE910ELNS1_3gpuE8ELNS1_3repE0EEENS1_30default_config_static_selectorELNS0_4arch9wavefront6targetE0EEEvSM_.uses_flat_scratch, 0
	.set _ZN7rocprim17ROCPRIM_400000_NS6detail17trampoline_kernelINS0_14default_configENS1_37merge_sort_block_sort_config_selectorIlNS0_10empty_typeEEEZNS1_21merge_sort_block_sortIS3_PlS8_PS5_S9_ZN2at6native12_GLOBAL__N_124unique_dim_cuda_templateIlEESt5tupleIJNSA_6TensorESF_SF_EERKSF_lbbbEUlllE_EE10hipError_tT0_T1_T2_T3_mRjT4_P12ihipStream_tbNS1_7vsmem_tEEUlT_E_NS1_11comp_targetILNS1_3genE4ELNS1_11target_archE910ELNS1_3gpuE8ELNS1_3repE0EEENS1_30default_config_static_selectorELNS0_4arch9wavefront6targetE0EEEvSM_.has_dyn_sized_stack, 0
	.set _ZN7rocprim17ROCPRIM_400000_NS6detail17trampoline_kernelINS0_14default_configENS1_37merge_sort_block_sort_config_selectorIlNS0_10empty_typeEEEZNS1_21merge_sort_block_sortIS3_PlS8_PS5_S9_ZN2at6native12_GLOBAL__N_124unique_dim_cuda_templateIlEESt5tupleIJNSA_6TensorESF_SF_EERKSF_lbbbEUlllE_EE10hipError_tT0_T1_T2_T3_mRjT4_P12ihipStream_tbNS1_7vsmem_tEEUlT_E_NS1_11comp_targetILNS1_3genE4ELNS1_11target_archE910ELNS1_3gpuE8ELNS1_3repE0EEENS1_30default_config_static_selectorELNS0_4arch9wavefront6targetE0EEEvSM_.has_recursion, 0
	.set _ZN7rocprim17ROCPRIM_400000_NS6detail17trampoline_kernelINS0_14default_configENS1_37merge_sort_block_sort_config_selectorIlNS0_10empty_typeEEEZNS1_21merge_sort_block_sortIS3_PlS8_PS5_S9_ZN2at6native12_GLOBAL__N_124unique_dim_cuda_templateIlEESt5tupleIJNSA_6TensorESF_SF_EERKSF_lbbbEUlllE_EE10hipError_tT0_T1_T2_T3_mRjT4_P12ihipStream_tbNS1_7vsmem_tEEUlT_E_NS1_11comp_targetILNS1_3genE4ELNS1_11target_archE910ELNS1_3gpuE8ELNS1_3repE0EEENS1_30default_config_static_selectorELNS0_4arch9wavefront6targetE0EEEvSM_.has_indirect_call, 0
	.section	.AMDGPU.csdata,"",@progbits
; Kernel info:
; codeLenInByte = 0
; TotalNumSgprs: 0
; NumVgprs: 0
; ScratchSize: 0
; MemoryBound: 0
; FloatMode: 240
; IeeeMode: 1
; LDSByteSize: 0 bytes/workgroup (compile time only)
; SGPRBlocks: 0
; VGPRBlocks: 0
; NumSGPRsForWavesPerEU: 1
; NumVGPRsForWavesPerEU: 1
; NamedBarCnt: 0
; Occupancy: 16
; WaveLimiterHint : 0
; COMPUTE_PGM_RSRC2:SCRATCH_EN: 0
; COMPUTE_PGM_RSRC2:USER_SGPR: 2
; COMPUTE_PGM_RSRC2:TRAP_HANDLER: 0
; COMPUTE_PGM_RSRC2:TGID_X_EN: 1
; COMPUTE_PGM_RSRC2:TGID_Y_EN: 0
; COMPUTE_PGM_RSRC2:TGID_Z_EN: 0
; COMPUTE_PGM_RSRC2:TIDIG_COMP_CNT: 0
	.section	.text._ZN7rocprim17ROCPRIM_400000_NS6detail17trampoline_kernelINS0_14default_configENS1_37merge_sort_block_sort_config_selectorIlNS0_10empty_typeEEEZNS1_21merge_sort_block_sortIS3_PlS8_PS5_S9_ZN2at6native12_GLOBAL__N_124unique_dim_cuda_templateIlEESt5tupleIJNSA_6TensorESF_SF_EERKSF_lbbbEUlllE_EE10hipError_tT0_T1_T2_T3_mRjT4_P12ihipStream_tbNS1_7vsmem_tEEUlT_E_NS1_11comp_targetILNS1_3genE3ELNS1_11target_archE908ELNS1_3gpuE7ELNS1_3repE0EEENS1_30default_config_static_selectorELNS0_4arch9wavefront6targetE0EEEvSM_,"axG",@progbits,_ZN7rocprim17ROCPRIM_400000_NS6detail17trampoline_kernelINS0_14default_configENS1_37merge_sort_block_sort_config_selectorIlNS0_10empty_typeEEEZNS1_21merge_sort_block_sortIS3_PlS8_PS5_S9_ZN2at6native12_GLOBAL__N_124unique_dim_cuda_templateIlEESt5tupleIJNSA_6TensorESF_SF_EERKSF_lbbbEUlllE_EE10hipError_tT0_T1_T2_T3_mRjT4_P12ihipStream_tbNS1_7vsmem_tEEUlT_E_NS1_11comp_targetILNS1_3genE3ELNS1_11target_archE908ELNS1_3gpuE7ELNS1_3repE0EEENS1_30default_config_static_selectorELNS0_4arch9wavefront6targetE0EEEvSM_,comdat
	.globl	_ZN7rocprim17ROCPRIM_400000_NS6detail17trampoline_kernelINS0_14default_configENS1_37merge_sort_block_sort_config_selectorIlNS0_10empty_typeEEEZNS1_21merge_sort_block_sortIS3_PlS8_PS5_S9_ZN2at6native12_GLOBAL__N_124unique_dim_cuda_templateIlEESt5tupleIJNSA_6TensorESF_SF_EERKSF_lbbbEUlllE_EE10hipError_tT0_T1_T2_T3_mRjT4_P12ihipStream_tbNS1_7vsmem_tEEUlT_E_NS1_11comp_targetILNS1_3genE3ELNS1_11target_archE908ELNS1_3gpuE7ELNS1_3repE0EEENS1_30default_config_static_selectorELNS0_4arch9wavefront6targetE0EEEvSM_ ; -- Begin function _ZN7rocprim17ROCPRIM_400000_NS6detail17trampoline_kernelINS0_14default_configENS1_37merge_sort_block_sort_config_selectorIlNS0_10empty_typeEEEZNS1_21merge_sort_block_sortIS3_PlS8_PS5_S9_ZN2at6native12_GLOBAL__N_124unique_dim_cuda_templateIlEESt5tupleIJNSA_6TensorESF_SF_EERKSF_lbbbEUlllE_EE10hipError_tT0_T1_T2_T3_mRjT4_P12ihipStream_tbNS1_7vsmem_tEEUlT_E_NS1_11comp_targetILNS1_3genE3ELNS1_11target_archE908ELNS1_3gpuE7ELNS1_3repE0EEENS1_30default_config_static_selectorELNS0_4arch9wavefront6targetE0EEEvSM_
	.p2align	8
	.type	_ZN7rocprim17ROCPRIM_400000_NS6detail17trampoline_kernelINS0_14default_configENS1_37merge_sort_block_sort_config_selectorIlNS0_10empty_typeEEEZNS1_21merge_sort_block_sortIS3_PlS8_PS5_S9_ZN2at6native12_GLOBAL__N_124unique_dim_cuda_templateIlEESt5tupleIJNSA_6TensorESF_SF_EERKSF_lbbbEUlllE_EE10hipError_tT0_T1_T2_T3_mRjT4_P12ihipStream_tbNS1_7vsmem_tEEUlT_E_NS1_11comp_targetILNS1_3genE3ELNS1_11target_archE908ELNS1_3gpuE7ELNS1_3repE0EEENS1_30default_config_static_selectorELNS0_4arch9wavefront6targetE0EEEvSM_,@function
_ZN7rocprim17ROCPRIM_400000_NS6detail17trampoline_kernelINS0_14default_configENS1_37merge_sort_block_sort_config_selectorIlNS0_10empty_typeEEEZNS1_21merge_sort_block_sortIS3_PlS8_PS5_S9_ZN2at6native12_GLOBAL__N_124unique_dim_cuda_templateIlEESt5tupleIJNSA_6TensorESF_SF_EERKSF_lbbbEUlllE_EE10hipError_tT0_T1_T2_T3_mRjT4_P12ihipStream_tbNS1_7vsmem_tEEUlT_E_NS1_11comp_targetILNS1_3genE3ELNS1_11target_archE908ELNS1_3gpuE7ELNS1_3repE0EEENS1_30default_config_static_selectorELNS0_4arch9wavefront6targetE0EEEvSM_: ; @_ZN7rocprim17ROCPRIM_400000_NS6detail17trampoline_kernelINS0_14default_configENS1_37merge_sort_block_sort_config_selectorIlNS0_10empty_typeEEEZNS1_21merge_sort_block_sortIS3_PlS8_PS5_S9_ZN2at6native12_GLOBAL__N_124unique_dim_cuda_templateIlEESt5tupleIJNSA_6TensorESF_SF_EERKSF_lbbbEUlllE_EE10hipError_tT0_T1_T2_T3_mRjT4_P12ihipStream_tbNS1_7vsmem_tEEUlT_E_NS1_11comp_targetILNS1_3genE3ELNS1_11target_archE908ELNS1_3gpuE7ELNS1_3repE0EEENS1_30default_config_static_selectorELNS0_4arch9wavefront6targetE0EEEvSM_
; %bb.0:
	.section	.rodata,"a",@progbits
	.p2align	6, 0x0
	.amdhsa_kernel _ZN7rocprim17ROCPRIM_400000_NS6detail17trampoline_kernelINS0_14default_configENS1_37merge_sort_block_sort_config_selectorIlNS0_10empty_typeEEEZNS1_21merge_sort_block_sortIS3_PlS8_PS5_S9_ZN2at6native12_GLOBAL__N_124unique_dim_cuda_templateIlEESt5tupleIJNSA_6TensorESF_SF_EERKSF_lbbbEUlllE_EE10hipError_tT0_T1_T2_T3_mRjT4_P12ihipStream_tbNS1_7vsmem_tEEUlT_E_NS1_11comp_targetILNS1_3genE3ELNS1_11target_archE908ELNS1_3gpuE7ELNS1_3repE0EEENS1_30default_config_static_selectorELNS0_4arch9wavefront6targetE0EEEvSM_
		.amdhsa_group_segment_fixed_size 0
		.amdhsa_private_segment_fixed_size 0
		.amdhsa_kernarg_size 72
		.amdhsa_user_sgpr_count 2
		.amdhsa_user_sgpr_dispatch_ptr 0
		.amdhsa_user_sgpr_queue_ptr 0
		.amdhsa_user_sgpr_kernarg_segment_ptr 1
		.amdhsa_user_sgpr_dispatch_id 0
		.amdhsa_user_sgpr_kernarg_preload_length 0
		.amdhsa_user_sgpr_kernarg_preload_offset 0
		.amdhsa_user_sgpr_private_segment_size 0
		.amdhsa_wavefront_size32 1
		.amdhsa_uses_dynamic_stack 0
		.amdhsa_enable_private_segment 0
		.amdhsa_system_sgpr_workgroup_id_x 1
		.amdhsa_system_sgpr_workgroup_id_y 0
		.amdhsa_system_sgpr_workgroup_id_z 0
		.amdhsa_system_sgpr_workgroup_info 0
		.amdhsa_system_vgpr_workitem_id 0
		.amdhsa_next_free_vgpr 1
		.amdhsa_next_free_sgpr 1
		.amdhsa_named_barrier_count 0
		.amdhsa_reserve_vcc 0
		.amdhsa_float_round_mode_32 0
		.amdhsa_float_round_mode_16_64 0
		.amdhsa_float_denorm_mode_32 3
		.amdhsa_float_denorm_mode_16_64 3
		.amdhsa_fp16_overflow 0
		.amdhsa_memory_ordered 1
		.amdhsa_forward_progress 1
		.amdhsa_inst_pref_size 0
		.amdhsa_round_robin_scheduling 0
		.amdhsa_exception_fp_ieee_invalid_op 0
		.amdhsa_exception_fp_denorm_src 0
		.amdhsa_exception_fp_ieee_div_zero 0
		.amdhsa_exception_fp_ieee_overflow 0
		.amdhsa_exception_fp_ieee_underflow 0
		.amdhsa_exception_fp_ieee_inexact 0
		.amdhsa_exception_int_div_zero 0
	.end_amdhsa_kernel
	.section	.text._ZN7rocprim17ROCPRIM_400000_NS6detail17trampoline_kernelINS0_14default_configENS1_37merge_sort_block_sort_config_selectorIlNS0_10empty_typeEEEZNS1_21merge_sort_block_sortIS3_PlS8_PS5_S9_ZN2at6native12_GLOBAL__N_124unique_dim_cuda_templateIlEESt5tupleIJNSA_6TensorESF_SF_EERKSF_lbbbEUlllE_EE10hipError_tT0_T1_T2_T3_mRjT4_P12ihipStream_tbNS1_7vsmem_tEEUlT_E_NS1_11comp_targetILNS1_3genE3ELNS1_11target_archE908ELNS1_3gpuE7ELNS1_3repE0EEENS1_30default_config_static_selectorELNS0_4arch9wavefront6targetE0EEEvSM_,"axG",@progbits,_ZN7rocprim17ROCPRIM_400000_NS6detail17trampoline_kernelINS0_14default_configENS1_37merge_sort_block_sort_config_selectorIlNS0_10empty_typeEEEZNS1_21merge_sort_block_sortIS3_PlS8_PS5_S9_ZN2at6native12_GLOBAL__N_124unique_dim_cuda_templateIlEESt5tupleIJNSA_6TensorESF_SF_EERKSF_lbbbEUlllE_EE10hipError_tT0_T1_T2_T3_mRjT4_P12ihipStream_tbNS1_7vsmem_tEEUlT_E_NS1_11comp_targetILNS1_3genE3ELNS1_11target_archE908ELNS1_3gpuE7ELNS1_3repE0EEENS1_30default_config_static_selectorELNS0_4arch9wavefront6targetE0EEEvSM_,comdat
.Lfunc_end508:
	.size	_ZN7rocprim17ROCPRIM_400000_NS6detail17trampoline_kernelINS0_14default_configENS1_37merge_sort_block_sort_config_selectorIlNS0_10empty_typeEEEZNS1_21merge_sort_block_sortIS3_PlS8_PS5_S9_ZN2at6native12_GLOBAL__N_124unique_dim_cuda_templateIlEESt5tupleIJNSA_6TensorESF_SF_EERKSF_lbbbEUlllE_EE10hipError_tT0_T1_T2_T3_mRjT4_P12ihipStream_tbNS1_7vsmem_tEEUlT_E_NS1_11comp_targetILNS1_3genE3ELNS1_11target_archE908ELNS1_3gpuE7ELNS1_3repE0EEENS1_30default_config_static_selectorELNS0_4arch9wavefront6targetE0EEEvSM_, .Lfunc_end508-_ZN7rocprim17ROCPRIM_400000_NS6detail17trampoline_kernelINS0_14default_configENS1_37merge_sort_block_sort_config_selectorIlNS0_10empty_typeEEEZNS1_21merge_sort_block_sortIS3_PlS8_PS5_S9_ZN2at6native12_GLOBAL__N_124unique_dim_cuda_templateIlEESt5tupleIJNSA_6TensorESF_SF_EERKSF_lbbbEUlllE_EE10hipError_tT0_T1_T2_T3_mRjT4_P12ihipStream_tbNS1_7vsmem_tEEUlT_E_NS1_11comp_targetILNS1_3genE3ELNS1_11target_archE908ELNS1_3gpuE7ELNS1_3repE0EEENS1_30default_config_static_selectorELNS0_4arch9wavefront6targetE0EEEvSM_
                                        ; -- End function
	.set _ZN7rocprim17ROCPRIM_400000_NS6detail17trampoline_kernelINS0_14default_configENS1_37merge_sort_block_sort_config_selectorIlNS0_10empty_typeEEEZNS1_21merge_sort_block_sortIS3_PlS8_PS5_S9_ZN2at6native12_GLOBAL__N_124unique_dim_cuda_templateIlEESt5tupleIJNSA_6TensorESF_SF_EERKSF_lbbbEUlllE_EE10hipError_tT0_T1_T2_T3_mRjT4_P12ihipStream_tbNS1_7vsmem_tEEUlT_E_NS1_11comp_targetILNS1_3genE3ELNS1_11target_archE908ELNS1_3gpuE7ELNS1_3repE0EEENS1_30default_config_static_selectorELNS0_4arch9wavefront6targetE0EEEvSM_.num_vgpr, 0
	.set _ZN7rocprim17ROCPRIM_400000_NS6detail17trampoline_kernelINS0_14default_configENS1_37merge_sort_block_sort_config_selectorIlNS0_10empty_typeEEEZNS1_21merge_sort_block_sortIS3_PlS8_PS5_S9_ZN2at6native12_GLOBAL__N_124unique_dim_cuda_templateIlEESt5tupleIJNSA_6TensorESF_SF_EERKSF_lbbbEUlllE_EE10hipError_tT0_T1_T2_T3_mRjT4_P12ihipStream_tbNS1_7vsmem_tEEUlT_E_NS1_11comp_targetILNS1_3genE3ELNS1_11target_archE908ELNS1_3gpuE7ELNS1_3repE0EEENS1_30default_config_static_selectorELNS0_4arch9wavefront6targetE0EEEvSM_.num_agpr, 0
	.set _ZN7rocprim17ROCPRIM_400000_NS6detail17trampoline_kernelINS0_14default_configENS1_37merge_sort_block_sort_config_selectorIlNS0_10empty_typeEEEZNS1_21merge_sort_block_sortIS3_PlS8_PS5_S9_ZN2at6native12_GLOBAL__N_124unique_dim_cuda_templateIlEESt5tupleIJNSA_6TensorESF_SF_EERKSF_lbbbEUlllE_EE10hipError_tT0_T1_T2_T3_mRjT4_P12ihipStream_tbNS1_7vsmem_tEEUlT_E_NS1_11comp_targetILNS1_3genE3ELNS1_11target_archE908ELNS1_3gpuE7ELNS1_3repE0EEENS1_30default_config_static_selectorELNS0_4arch9wavefront6targetE0EEEvSM_.numbered_sgpr, 0
	.set _ZN7rocprim17ROCPRIM_400000_NS6detail17trampoline_kernelINS0_14default_configENS1_37merge_sort_block_sort_config_selectorIlNS0_10empty_typeEEEZNS1_21merge_sort_block_sortIS3_PlS8_PS5_S9_ZN2at6native12_GLOBAL__N_124unique_dim_cuda_templateIlEESt5tupleIJNSA_6TensorESF_SF_EERKSF_lbbbEUlllE_EE10hipError_tT0_T1_T2_T3_mRjT4_P12ihipStream_tbNS1_7vsmem_tEEUlT_E_NS1_11comp_targetILNS1_3genE3ELNS1_11target_archE908ELNS1_3gpuE7ELNS1_3repE0EEENS1_30default_config_static_selectorELNS0_4arch9wavefront6targetE0EEEvSM_.num_named_barrier, 0
	.set _ZN7rocprim17ROCPRIM_400000_NS6detail17trampoline_kernelINS0_14default_configENS1_37merge_sort_block_sort_config_selectorIlNS0_10empty_typeEEEZNS1_21merge_sort_block_sortIS3_PlS8_PS5_S9_ZN2at6native12_GLOBAL__N_124unique_dim_cuda_templateIlEESt5tupleIJNSA_6TensorESF_SF_EERKSF_lbbbEUlllE_EE10hipError_tT0_T1_T2_T3_mRjT4_P12ihipStream_tbNS1_7vsmem_tEEUlT_E_NS1_11comp_targetILNS1_3genE3ELNS1_11target_archE908ELNS1_3gpuE7ELNS1_3repE0EEENS1_30default_config_static_selectorELNS0_4arch9wavefront6targetE0EEEvSM_.private_seg_size, 0
	.set _ZN7rocprim17ROCPRIM_400000_NS6detail17trampoline_kernelINS0_14default_configENS1_37merge_sort_block_sort_config_selectorIlNS0_10empty_typeEEEZNS1_21merge_sort_block_sortIS3_PlS8_PS5_S9_ZN2at6native12_GLOBAL__N_124unique_dim_cuda_templateIlEESt5tupleIJNSA_6TensorESF_SF_EERKSF_lbbbEUlllE_EE10hipError_tT0_T1_T2_T3_mRjT4_P12ihipStream_tbNS1_7vsmem_tEEUlT_E_NS1_11comp_targetILNS1_3genE3ELNS1_11target_archE908ELNS1_3gpuE7ELNS1_3repE0EEENS1_30default_config_static_selectorELNS0_4arch9wavefront6targetE0EEEvSM_.uses_vcc, 0
	.set _ZN7rocprim17ROCPRIM_400000_NS6detail17trampoline_kernelINS0_14default_configENS1_37merge_sort_block_sort_config_selectorIlNS0_10empty_typeEEEZNS1_21merge_sort_block_sortIS3_PlS8_PS5_S9_ZN2at6native12_GLOBAL__N_124unique_dim_cuda_templateIlEESt5tupleIJNSA_6TensorESF_SF_EERKSF_lbbbEUlllE_EE10hipError_tT0_T1_T2_T3_mRjT4_P12ihipStream_tbNS1_7vsmem_tEEUlT_E_NS1_11comp_targetILNS1_3genE3ELNS1_11target_archE908ELNS1_3gpuE7ELNS1_3repE0EEENS1_30default_config_static_selectorELNS0_4arch9wavefront6targetE0EEEvSM_.uses_flat_scratch, 0
	.set _ZN7rocprim17ROCPRIM_400000_NS6detail17trampoline_kernelINS0_14default_configENS1_37merge_sort_block_sort_config_selectorIlNS0_10empty_typeEEEZNS1_21merge_sort_block_sortIS3_PlS8_PS5_S9_ZN2at6native12_GLOBAL__N_124unique_dim_cuda_templateIlEESt5tupleIJNSA_6TensorESF_SF_EERKSF_lbbbEUlllE_EE10hipError_tT0_T1_T2_T3_mRjT4_P12ihipStream_tbNS1_7vsmem_tEEUlT_E_NS1_11comp_targetILNS1_3genE3ELNS1_11target_archE908ELNS1_3gpuE7ELNS1_3repE0EEENS1_30default_config_static_selectorELNS0_4arch9wavefront6targetE0EEEvSM_.has_dyn_sized_stack, 0
	.set _ZN7rocprim17ROCPRIM_400000_NS6detail17trampoline_kernelINS0_14default_configENS1_37merge_sort_block_sort_config_selectorIlNS0_10empty_typeEEEZNS1_21merge_sort_block_sortIS3_PlS8_PS5_S9_ZN2at6native12_GLOBAL__N_124unique_dim_cuda_templateIlEESt5tupleIJNSA_6TensorESF_SF_EERKSF_lbbbEUlllE_EE10hipError_tT0_T1_T2_T3_mRjT4_P12ihipStream_tbNS1_7vsmem_tEEUlT_E_NS1_11comp_targetILNS1_3genE3ELNS1_11target_archE908ELNS1_3gpuE7ELNS1_3repE0EEENS1_30default_config_static_selectorELNS0_4arch9wavefront6targetE0EEEvSM_.has_recursion, 0
	.set _ZN7rocprim17ROCPRIM_400000_NS6detail17trampoline_kernelINS0_14default_configENS1_37merge_sort_block_sort_config_selectorIlNS0_10empty_typeEEEZNS1_21merge_sort_block_sortIS3_PlS8_PS5_S9_ZN2at6native12_GLOBAL__N_124unique_dim_cuda_templateIlEESt5tupleIJNSA_6TensorESF_SF_EERKSF_lbbbEUlllE_EE10hipError_tT0_T1_T2_T3_mRjT4_P12ihipStream_tbNS1_7vsmem_tEEUlT_E_NS1_11comp_targetILNS1_3genE3ELNS1_11target_archE908ELNS1_3gpuE7ELNS1_3repE0EEENS1_30default_config_static_selectorELNS0_4arch9wavefront6targetE0EEEvSM_.has_indirect_call, 0
	.section	.AMDGPU.csdata,"",@progbits
; Kernel info:
; codeLenInByte = 0
; TotalNumSgprs: 0
; NumVgprs: 0
; ScratchSize: 0
; MemoryBound: 0
; FloatMode: 240
; IeeeMode: 1
; LDSByteSize: 0 bytes/workgroup (compile time only)
; SGPRBlocks: 0
; VGPRBlocks: 0
; NumSGPRsForWavesPerEU: 1
; NumVGPRsForWavesPerEU: 1
; NamedBarCnt: 0
; Occupancy: 16
; WaveLimiterHint : 0
; COMPUTE_PGM_RSRC2:SCRATCH_EN: 0
; COMPUTE_PGM_RSRC2:USER_SGPR: 2
; COMPUTE_PGM_RSRC2:TRAP_HANDLER: 0
; COMPUTE_PGM_RSRC2:TGID_X_EN: 1
; COMPUTE_PGM_RSRC2:TGID_Y_EN: 0
; COMPUTE_PGM_RSRC2:TGID_Z_EN: 0
; COMPUTE_PGM_RSRC2:TIDIG_COMP_CNT: 0
	.section	.text._ZN7rocprim17ROCPRIM_400000_NS6detail17trampoline_kernelINS0_14default_configENS1_37merge_sort_block_sort_config_selectorIlNS0_10empty_typeEEEZNS1_21merge_sort_block_sortIS3_PlS8_PS5_S9_ZN2at6native12_GLOBAL__N_124unique_dim_cuda_templateIlEESt5tupleIJNSA_6TensorESF_SF_EERKSF_lbbbEUlllE_EE10hipError_tT0_T1_T2_T3_mRjT4_P12ihipStream_tbNS1_7vsmem_tEEUlT_E_NS1_11comp_targetILNS1_3genE2ELNS1_11target_archE906ELNS1_3gpuE6ELNS1_3repE0EEENS1_30default_config_static_selectorELNS0_4arch9wavefront6targetE0EEEvSM_,"axG",@progbits,_ZN7rocprim17ROCPRIM_400000_NS6detail17trampoline_kernelINS0_14default_configENS1_37merge_sort_block_sort_config_selectorIlNS0_10empty_typeEEEZNS1_21merge_sort_block_sortIS3_PlS8_PS5_S9_ZN2at6native12_GLOBAL__N_124unique_dim_cuda_templateIlEESt5tupleIJNSA_6TensorESF_SF_EERKSF_lbbbEUlllE_EE10hipError_tT0_T1_T2_T3_mRjT4_P12ihipStream_tbNS1_7vsmem_tEEUlT_E_NS1_11comp_targetILNS1_3genE2ELNS1_11target_archE906ELNS1_3gpuE6ELNS1_3repE0EEENS1_30default_config_static_selectorELNS0_4arch9wavefront6targetE0EEEvSM_,comdat
	.globl	_ZN7rocprim17ROCPRIM_400000_NS6detail17trampoline_kernelINS0_14default_configENS1_37merge_sort_block_sort_config_selectorIlNS0_10empty_typeEEEZNS1_21merge_sort_block_sortIS3_PlS8_PS5_S9_ZN2at6native12_GLOBAL__N_124unique_dim_cuda_templateIlEESt5tupleIJNSA_6TensorESF_SF_EERKSF_lbbbEUlllE_EE10hipError_tT0_T1_T2_T3_mRjT4_P12ihipStream_tbNS1_7vsmem_tEEUlT_E_NS1_11comp_targetILNS1_3genE2ELNS1_11target_archE906ELNS1_3gpuE6ELNS1_3repE0EEENS1_30default_config_static_selectorELNS0_4arch9wavefront6targetE0EEEvSM_ ; -- Begin function _ZN7rocprim17ROCPRIM_400000_NS6detail17trampoline_kernelINS0_14default_configENS1_37merge_sort_block_sort_config_selectorIlNS0_10empty_typeEEEZNS1_21merge_sort_block_sortIS3_PlS8_PS5_S9_ZN2at6native12_GLOBAL__N_124unique_dim_cuda_templateIlEESt5tupleIJNSA_6TensorESF_SF_EERKSF_lbbbEUlllE_EE10hipError_tT0_T1_T2_T3_mRjT4_P12ihipStream_tbNS1_7vsmem_tEEUlT_E_NS1_11comp_targetILNS1_3genE2ELNS1_11target_archE906ELNS1_3gpuE6ELNS1_3repE0EEENS1_30default_config_static_selectorELNS0_4arch9wavefront6targetE0EEEvSM_
	.p2align	8
	.type	_ZN7rocprim17ROCPRIM_400000_NS6detail17trampoline_kernelINS0_14default_configENS1_37merge_sort_block_sort_config_selectorIlNS0_10empty_typeEEEZNS1_21merge_sort_block_sortIS3_PlS8_PS5_S9_ZN2at6native12_GLOBAL__N_124unique_dim_cuda_templateIlEESt5tupleIJNSA_6TensorESF_SF_EERKSF_lbbbEUlllE_EE10hipError_tT0_T1_T2_T3_mRjT4_P12ihipStream_tbNS1_7vsmem_tEEUlT_E_NS1_11comp_targetILNS1_3genE2ELNS1_11target_archE906ELNS1_3gpuE6ELNS1_3repE0EEENS1_30default_config_static_selectorELNS0_4arch9wavefront6targetE0EEEvSM_,@function
_ZN7rocprim17ROCPRIM_400000_NS6detail17trampoline_kernelINS0_14default_configENS1_37merge_sort_block_sort_config_selectorIlNS0_10empty_typeEEEZNS1_21merge_sort_block_sortIS3_PlS8_PS5_S9_ZN2at6native12_GLOBAL__N_124unique_dim_cuda_templateIlEESt5tupleIJNSA_6TensorESF_SF_EERKSF_lbbbEUlllE_EE10hipError_tT0_T1_T2_T3_mRjT4_P12ihipStream_tbNS1_7vsmem_tEEUlT_E_NS1_11comp_targetILNS1_3genE2ELNS1_11target_archE906ELNS1_3gpuE6ELNS1_3repE0EEENS1_30default_config_static_selectorELNS0_4arch9wavefront6targetE0EEEvSM_: ; @_ZN7rocprim17ROCPRIM_400000_NS6detail17trampoline_kernelINS0_14default_configENS1_37merge_sort_block_sort_config_selectorIlNS0_10empty_typeEEEZNS1_21merge_sort_block_sortIS3_PlS8_PS5_S9_ZN2at6native12_GLOBAL__N_124unique_dim_cuda_templateIlEESt5tupleIJNSA_6TensorESF_SF_EERKSF_lbbbEUlllE_EE10hipError_tT0_T1_T2_T3_mRjT4_P12ihipStream_tbNS1_7vsmem_tEEUlT_E_NS1_11comp_targetILNS1_3genE2ELNS1_11target_archE906ELNS1_3gpuE6ELNS1_3repE0EEENS1_30default_config_static_selectorELNS0_4arch9wavefront6targetE0EEEvSM_
; %bb.0:
	.section	.rodata,"a",@progbits
	.p2align	6, 0x0
	.amdhsa_kernel _ZN7rocprim17ROCPRIM_400000_NS6detail17trampoline_kernelINS0_14default_configENS1_37merge_sort_block_sort_config_selectorIlNS0_10empty_typeEEEZNS1_21merge_sort_block_sortIS3_PlS8_PS5_S9_ZN2at6native12_GLOBAL__N_124unique_dim_cuda_templateIlEESt5tupleIJNSA_6TensorESF_SF_EERKSF_lbbbEUlllE_EE10hipError_tT0_T1_T2_T3_mRjT4_P12ihipStream_tbNS1_7vsmem_tEEUlT_E_NS1_11comp_targetILNS1_3genE2ELNS1_11target_archE906ELNS1_3gpuE6ELNS1_3repE0EEENS1_30default_config_static_selectorELNS0_4arch9wavefront6targetE0EEEvSM_
		.amdhsa_group_segment_fixed_size 0
		.amdhsa_private_segment_fixed_size 0
		.amdhsa_kernarg_size 72
		.amdhsa_user_sgpr_count 2
		.amdhsa_user_sgpr_dispatch_ptr 0
		.amdhsa_user_sgpr_queue_ptr 0
		.amdhsa_user_sgpr_kernarg_segment_ptr 1
		.amdhsa_user_sgpr_dispatch_id 0
		.amdhsa_user_sgpr_kernarg_preload_length 0
		.amdhsa_user_sgpr_kernarg_preload_offset 0
		.amdhsa_user_sgpr_private_segment_size 0
		.amdhsa_wavefront_size32 1
		.amdhsa_uses_dynamic_stack 0
		.amdhsa_enable_private_segment 0
		.amdhsa_system_sgpr_workgroup_id_x 1
		.amdhsa_system_sgpr_workgroup_id_y 0
		.amdhsa_system_sgpr_workgroup_id_z 0
		.amdhsa_system_sgpr_workgroup_info 0
		.amdhsa_system_vgpr_workitem_id 0
		.amdhsa_next_free_vgpr 1
		.amdhsa_next_free_sgpr 1
		.amdhsa_named_barrier_count 0
		.amdhsa_reserve_vcc 0
		.amdhsa_float_round_mode_32 0
		.amdhsa_float_round_mode_16_64 0
		.amdhsa_float_denorm_mode_32 3
		.amdhsa_float_denorm_mode_16_64 3
		.amdhsa_fp16_overflow 0
		.amdhsa_memory_ordered 1
		.amdhsa_forward_progress 1
		.amdhsa_inst_pref_size 0
		.amdhsa_round_robin_scheduling 0
		.amdhsa_exception_fp_ieee_invalid_op 0
		.amdhsa_exception_fp_denorm_src 0
		.amdhsa_exception_fp_ieee_div_zero 0
		.amdhsa_exception_fp_ieee_overflow 0
		.amdhsa_exception_fp_ieee_underflow 0
		.amdhsa_exception_fp_ieee_inexact 0
		.amdhsa_exception_int_div_zero 0
	.end_amdhsa_kernel
	.section	.text._ZN7rocprim17ROCPRIM_400000_NS6detail17trampoline_kernelINS0_14default_configENS1_37merge_sort_block_sort_config_selectorIlNS0_10empty_typeEEEZNS1_21merge_sort_block_sortIS3_PlS8_PS5_S9_ZN2at6native12_GLOBAL__N_124unique_dim_cuda_templateIlEESt5tupleIJNSA_6TensorESF_SF_EERKSF_lbbbEUlllE_EE10hipError_tT0_T1_T2_T3_mRjT4_P12ihipStream_tbNS1_7vsmem_tEEUlT_E_NS1_11comp_targetILNS1_3genE2ELNS1_11target_archE906ELNS1_3gpuE6ELNS1_3repE0EEENS1_30default_config_static_selectorELNS0_4arch9wavefront6targetE0EEEvSM_,"axG",@progbits,_ZN7rocprim17ROCPRIM_400000_NS6detail17trampoline_kernelINS0_14default_configENS1_37merge_sort_block_sort_config_selectorIlNS0_10empty_typeEEEZNS1_21merge_sort_block_sortIS3_PlS8_PS5_S9_ZN2at6native12_GLOBAL__N_124unique_dim_cuda_templateIlEESt5tupleIJNSA_6TensorESF_SF_EERKSF_lbbbEUlllE_EE10hipError_tT0_T1_T2_T3_mRjT4_P12ihipStream_tbNS1_7vsmem_tEEUlT_E_NS1_11comp_targetILNS1_3genE2ELNS1_11target_archE906ELNS1_3gpuE6ELNS1_3repE0EEENS1_30default_config_static_selectorELNS0_4arch9wavefront6targetE0EEEvSM_,comdat
.Lfunc_end509:
	.size	_ZN7rocprim17ROCPRIM_400000_NS6detail17trampoline_kernelINS0_14default_configENS1_37merge_sort_block_sort_config_selectorIlNS0_10empty_typeEEEZNS1_21merge_sort_block_sortIS3_PlS8_PS5_S9_ZN2at6native12_GLOBAL__N_124unique_dim_cuda_templateIlEESt5tupleIJNSA_6TensorESF_SF_EERKSF_lbbbEUlllE_EE10hipError_tT0_T1_T2_T3_mRjT4_P12ihipStream_tbNS1_7vsmem_tEEUlT_E_NS1_11comp_targetILNS1_3genE2ELNS1_11target_archE906ELNS1_3gpuE6ELNS1_3repE0EEENS1_30default_config_static_selectorELNS0_4arch9wavefront6targetE0EEEvSM_, .Lfunc_end509-_ZN7rocprim17ROCPRIM_400000_NS6detail17trampoline_kernelINS0_14default_configENS1_37merge_sort_block_sort_config_selectorIlNS0_10empty_typeEEEZNS1_21merge_sort_block_sortIS3_PlS8_PS5_S9_ZN2at6native12_GLOBAL__N_124unique_dim_cuda_templateIlEESt5tupleIJNSA_6TensorESF_SF_EERKSF_lbbbEUlllE_EE10hipError_tT0_T1_T2_T3_mRjT4_P12ihipStream_tbNS1_7vsmem_tEEUlT_E_NS1_11comp_targetILNS1_3genE2ELNS1_11target_archE906ELNS1_3gpuE6ELNS1_3repE0EEENS1_30default_config_static_selectorELNS0_4arch9wavefront6targetE0EEEvSM_
                                        ; -- End function
	.set _ZN7rocprim17ROCPRIM_400000_NS6detail17trampoline_kernelINS0_14default_configENS1_37merge_sort_block_sort_config_selectorIlNS0_10empty_typeEEEZNS1_21merge_sort_block_sortIS3_PlS8_PS5_S9_ZN2at6native12_GLOBAL__N_124unique_dim_cuda_templateIlEESt5tupleIJNSA_6TensorESF_SF_EERKSF_lbbbEUlllE_EE10hipError_tT0_T1_T2_T3_mRjT4_P12ihipStream_tbNS1_7vsmem_tEEUlT_E_NS1_11comp_targetILNS1_3genE2ELNS1_11target_archE906ELNS1_3gpuE6ELNS1_3repE0EEENS1_30default_config_static_selectorELNS0_4arch9wavefront6targetE0EEEvSM_.num_vgpr, 0
	.set _ZN7rocprim17ROCPRIM_400000_NS6detail17trampoline_kernelINS0_14default_configENS1_37merge_sort_block_sort_config_selectorIlNS0_10empty_typeEEEZNS1_21merge_sort_block_sortIS3_PlS8_PS5_S9_ZN2at6native12_GLOBAL__N_124unique_dim_cuda_templateIlEESt5tupleIJNSA_6TensorESF_SF_EERKSF_lbbbEUlllE_EE10hipError_tT0_T1_T2_T3_mRjT4_P12ihipStream_tbNS1_7vsmem_tEEUlT_E_NS1_11comp_targetILNS1_3genE2ELNS1_11target_archE906ELNS1_3gpuE6ELNS1_3repE0EEENS1_30default_config_static_selectorELNS0_4arch9wavefront6targetE0EEEvSM_.num_agpr, 0
	.set _ZN7rocprim17ROCPRIM_400000_NS6detail17trampoline_kernelINS0_14default_configENS1_37merge_sort_block_sort_config_selectorIlNS0_10empty_typeEEEZNS1_21merge_sort_block_sortIS3_PlS8_PS5_S9_ZN2at6native12_GLOBAL__N_124unique_dim_cuda_templateIlEESt5tupleIJNSA_6TensorESF_SF_EERKSF_lbbbEUlllE_EE10hipError_tT0_T1_T2_T3_mRjT4_P12ihipStream_tbNS1_7vsmem_tEEUlT_E_NS1_11comp_targetILNS1_3genE2ELNS1_11target_archE906ELNS1_3gpuE6ELNS1_3repE0EEENS1_30default_config_static_selectorELNS0_4arch9wavefront6targetE0EEEvSM_.numbered_sgpr, 0
	.set _ZN7rocprim17ROCPRIM_400000_NS6detail17trampoline_kernelINS0_14default_configENS1_37merge_sort_block_sort_config_selectorIlNS0_10empty_typeEEEZNS1_21merge_sort_block_sortIS3_PlS8_PS5_S9_ZN2at6native12_GLOBAL__N_124unique_dim_cuda_templateIlEESt5tupleIJNSA_6TensorESF_SF_EERKSF_lbbbEUlllE_EE10hipError_tT0_T1_T2_T3_mRjT4_P12ihipStream_tbNS1_7vsmem_tEEUlT_E_NS1_11comp_targetILNS1_3genE2ELNS1_11target_archE906ELNS1_3gpuE6ELNS1_3repE0EEENS1_30default_config_static_selectorELNS0_4arch9wavefront6targetE0EEEvSM_.num_named_barrier, 0
	.set _ZN7rocprim17ROCPRIM_400000_NS6detail17trampoline_kernelINS0_14default_configENS1_37merge_sort_block_sort_config_selectorIlNS0_10empty_typeEEEZNS1_21merge_sort_block_sortIS3_PlS8_PS5_S9_ZN2at6native12_GLOBAL__N_124unique_dim_cuda_templateIlEESt5tupleIJNSA_6TensorESF_SF_EERKSF_lbbbEUlllE_EE10hipError_tT0_T1_T2_T3_mRjT4_P12ihipStream_tbNS1_7vsmem_tEEUlT_E_NS1_11comp_targetILNS1_3genE2ELNS1_11target_archE906ELNS1_3gpuE6ELNS1_3repE0EEENS1_30default_config_static_selectorELNS0_4arch9wavefront6targetE0EEEvSM_.private_seg_size, 0
	.set _ZN7rocprim17ROCPRIM_400000_NS6detail17trampoline_kernelINS0_14default_configENS1_37merge_sort_block_sort_config_selectorIlNS0_10empty_typeEEEZNS1_21merge_sort_block_sortIS3_PlS8_PS5_S9_ZN2at6native12_GLOBAL__N_124unique_dim_cuda_templateIlEESt5tupleIJNSA_6TensorESF_SF_EERKSF_lbbbEUlllE_EE10hipError_tT0_T1_T2_T3_mRjT4_P12ihipStream_tbNS1_7vsmem_tEEUlT_E_NS1_11comp_targetILNS1_3genE2ELNS1_11target_archE906ELNS1_3gpuE6ELNS1_3repE0EEENS1_30default_config_static_selectorELNS0_4arch9wavefront6targetE0EEEvSM_.uses_vcc, 0
	.set _ZN7rocprim17ROCPRIM_400000_NS6detail17trampoline_kernelINS0_14default_configENS1_37merge_sort_block_sort_config_selectorIlNS0_10empty_typeEEEZNS1_21merge_sort_block_sortIS3_PlS8_PS5_S9_ZN2at6native12_GLOBAL__N_124unique_dim_cuda_templateIlEESt5tupleIJNSA_6TensorESF_SF_EERKSF_lbbbEUlllE_EE10hipError_tT0_T1_T2_T3_mRjT4_P12ihipStream_tbNS1_7vsmem_tEEUlT_E_NS1_11comp_targetILNS1_3genE2ELNS1_11target_archE906ELNS1_3gpuE6ELNS1_3repE0EEENS1_30default_config_static_selectorELNS0_4arch9wavefront6targetE0EEEvSM_.uses_flat_scratch, 0
	.set _ZN7rocprim17ROCPRIM_400000_NS6detail17trampoline_kernelINS0_14default_configENS1_37merge_sort_block_sort_config_selectorIlNS0_10empty_typeEEEZNS1_21merge_sort_block_sortIS3_PlS8_PS5_S9_ZN2at6native12_GLOBAL__N_124unique_dim_cuda_templateIlEESt5tupleIJNSA_6TensorESF_SF_EERKSF_lbbbEUlllE_EE10hipError_tT0_T1_T2_T3_mRjT4_P12ihipStream_tbNS1_7vsmem_tEEUlT_E_NS1_11comp_targetILNS1_3genE2ELNS1_11target_archE906ELNS1_3gpuE6ELNS1_3repE0EEENS1_30default_config_static_selectorELNS0_4arch9wavefront6targetE0EEEvSM_.has_dyn_sized_stack, 0
	.set _ZN7rocprim17ROCPRIM_400000_NS6detail17trampoline_kernelINS0_14default_configENS1_37merge_sort_block_sort_config_selectorIlNS0_10empty_typeEEEZNS1_21merge_sort_block_sortIS3_PlS8_PS5_S9_ZN2at6native12_GLOBAL__N_124unique_dim_cuda_templateIlEESt5tupleIJNSA_6TensorESF_SF_EERKSF_lbbbEUlllE_EE10hipError_tT0_T1_T2_T3_mRjT4_P12ihipStream_tbNS1_7vsmem_tEEUlT_E_NS1_11comp_targetILNS1_3genE2ELNS1_11target_archE906ELNS1_3gpuE6ELNS1_3repE0EEENS1_30default_config_static_selectorELNS0_4arch9wavefront6targetE0EEEvSM_.has_recursion, 0
	.set _ZN7rocprim17ROCPRIM_400000_NS6detail17trampoline_kernelINS0_14default_configENS1_37merge_sort_block_sort_config_selectorIlNS0_10empty_typeEEEZNS1_21merge_sort_block_sortIS3_PlS8_PS5_S9_ZN2at6native12_GLOBAL__N_124unique_dim_cuda_templateIlEESt5tupleIJNSA_6TensorESF_SF_EERKSF_lbbbEUlllE_EE10hipError_tT0_T1_T2_T3_mRjT4_P12ihipStream_tbNS1_7vsmem_tEEUlT_E_NS1_11comp_targetILNS1_3genE2ELNS1_11target_archE906ELNS1_3gpuE6ELNS1_3repE0EEENS1_30default_config_static_selectorELNS0_4arch9wavefront6targetE0EEEvSM_.has_indirect_call, 0
	.section	.AMDGPU.csdata,"",@progbits
; Kernel info:
; codeLenInByte = 0
; TotalNumSgprs: 0
; NumVgprs: 0
; ScratchSize: 0
; MemoryBound: 0
; FloatMode: 240
; IeeeMode: 1
; LDSByteSize: 0 bytes/workgroup (compile time only)
; SGPRBlocks: 0
; VGPRBlocks: 0
; NumSGPRsForWavesPerEU: 1
; NumVGPRsForWavesPerEU: 1
; NamedBarCnt: 0
; Occupancy: 16
; WaveLimiterHint : 0
; COMPUTE_PGM_RSRC2:SCRATCH_EN: 0
; COMPUTE_PGM_RSRC2:USER_SGPR: 2
; COMPUTE_PGM_RSRC2:TRAP_HANDLER: 0
; COMPUTE_PGM_RSRC2:TGID_X_EN: 1
; COMPUTE_PGM_RSRC2:TGID_Y_EN: 0
; COMPUTE_PGM_RSRC2:TGID_Z_EN: 0
; COMPUTE_PGM_RSRC2:TIDIG_COMP_CNT: 0
	.section	.text._ZN7rocprim17ROCPRIM_400000_NS6detail17trampoline_kernelINS0_14default_configENS1_37merge_sort_block_sort_config_selectorIlNS0_10empty_typeEEEZNS1_21merge_sort_block_sortIS3_PlS8_PS5_S9_ZN2at6native12_GLOBAL__N_124unique_dim_cuda_templateIlEESt5tupleIJNSA_6TensorESF_SF_EERKSF_lbbbEUlllE_EE10hipError_tT0_T1_T2_T3_mRjT4_P12ihipStream_tbNS1_7vsmem_tEEUlT_E_NS1_11comp_targetILNS1_3genE10ELNS1_11target_archE1201ELNS1_3gpuE5ELNS1_3repE0EEENS1_30default_config_static_selectorELNS0_4arch9wavefront6targetE0EEEvSM_,"axG",@progbits,_ZN7rocprim17ROCPRIM_400000_NS6detail17trampoline_kernelINS0_14default_configENS1_37merge_sort_block_sort_config_selectorIlNS0_10empty_typeEEEZNS1_21merge_sort_block_sortIS3_PlS8_PS5_S9_ZN2at6native12_GLOBAL__N_124unique_dim_cuda_templateIlEESt5tupleIJNSA_6TensorESF_SF_EERKSF_lbbbEUlllE_EE10hipError_tT0_T1_T2_T3_mRjT4_P12ihipStream_tbNS1_7vsmem_tEEUlT_E_NS1_11comp_targetILNS1_3genE10ELNS1_11target_archE1201ELNS1_3gpuE5ELNS1_3repE0EEENS1_30default_config_static_selectorELNS0_4arch9wavefront6targetE0EEEvSM_,comdat
	.globl	_ZN7rocprim17ROCPRIM_400000_NS6detail17trampoline_kernelINS0_14default_configENS1_37merge_sort_block_sort_config_selectorIlNS0_10empty_typeEEEZNS1_21merge_sort_block_sortIS3_PlS8_PS5_S9_ZN2at6native12_GLOBAL__N_124unique_dim_cuda_templateIlEESt5tupleIJNSA_6TensorESF_SF_EERKSF_lbbbEUlllE_EE10hipError_tT0_T1_T2_T3_mRjT4_P12ihipStream_tbNS1_7vsmem_tEEUlT_E_NS1_11comp_targetILNS1_3genE10ELNS1_11target_archE1201ELNS1_3gpuE5ELNS1_3repE0EEENS1_30default_config_static_selectorELNS0_4arch9wavefront6targetE0EEEvSM_ ; -- Begin function _ZN7rocprim17ROCPRIM_400000_NS6detail17trampoline_kernelINS0_14default_configENS1_37merge_sort_block_sort_config_selectorIlNS0_10empty_typeEEEZNS1_21merge_sort_block_sortIS3_PlS8_PS5_S9_ZN2at6native12_GLOBAL__N_124unique_dim_cuda_templateIlEESt5tupleIJNSA_6TensorESF_SF_EERKSF_lbbbEUlllE_EE10hipError_tT0_T1_T2_T3_mRjT4_P12ihipStream_tbNS1_7vsmem_tEEUlT_E_NS1_11comp_targetILNS1_3genE10ELNS1_11target_archE1201ELNS1_3gpuE5ELNS1_3repE0EEENS1_30default_config_static_selectorELNS0_4arch9wavefront6targetE0EEEvSM_
	.p2align	8
	.type	_ZN7rocprim17ROCPRIM_400000_NS6detail17trampoline_kernelINS0_14default_configENS1_37merge_sort_block_sort_config_selectorIlNS0_10empty_typeEEEZNS1_21merge_sort_block_sortIS3_PlS8_PS5_S9_ZN2at6native12_GLOBAL__N_124unique_dim_cuda_templateIlEESt5tupleIJNSA_6TensorESF_SF_EERKSF_lbbbEUlllE_EE10hipError_tT0_T1_T2_T3_mRjT4_P12ihipStream_tbNS1_7vsmem_tEEUlT_E_NS1_11comp_targetILNS1_3genE10ELNS1_11target_archE1201ELNS1_3gpuE5ELNS1_3repE0EEENS1_30default_config_static_selectorELNS0_4arch9wavefront6targetE0EEEvSM_,@function
_ZN7rocprim17ROCPRIM_400000_NS6detail17trampoline_kernelINS0_14default_configENS1_37merge_sort_block_sort_config_selectorIlNS0_10empty_typeEEEZNS1_21merge_sort_block_sortIS3_PlS8_PS5_S9_ZN2at6native12_GLOBAL__N_124unique_dim_cuda_templateIlEESt5tupleIJNSA_6TensorESF_SF_EERKSF_lbbbEUlllE_EE10hipError_tT0_T1_T2_T3_mRjT4_P12ihipStream_tbNS1_7vsmem_tEEUlT_E_NS1_11comp_targetILNS1_3genE10ELNS1_11target_archE1201ELNS1_3gpuE5ELNS1_3repE0EEENS1_30default_config_static_selectorELNS0_4arch9wavefront6targetE0EEEvSM_: ; @_ZN7rocprim17ROCPRIM_400000_NS6detail17trampoline_kernelINS0_14default_configENS1_37merge_sort_block_sort_config_selectorIlNS0_10empty_typeEEEZNS1_21merge_sort_block_sortIS3_PlS8_PS5_S9_ZN2at6native12_GLOBAL__N_124unique_dim_cuda_templateIlEESt5tupleIJNSA_6TensorESF_SF_EERKSF_lbbbEUlllE_EE10hipError_tT0_T1_T2_T3_mRjT4_P12ihipStream_tbNS1_7vsmem_tEEUlT_E_NS1_11comp_targetILNS1_3genE10ELNS1_11target_archE1201ELNS1_3gpuE5ELNS1_3repE0EEENS1_30default_config_static_selectorELNS0_4arch9wavefront6targetE0EEEvSM_
; %bb.0:
	.section	.rodata,"a",@progbits
	.p2align	6, 0x0
	.amdhsa_kernel _ZN7rocprim17ROCPRIM_400000_NS6detail17trampoline_kernelINS0_14default_configENS1_37merge_sort_block_sort_config_selectorIlNS0_10empty_typeEEEZNS1_21merge_sort_block_sortIS3_PlS8_PS5_S9_ZN2at6native12_GLOBAL__N_124unique_dim_cuda_templateIlEESt5tupleIJNSA_6TensorESF_SF_EERKSF_lbbbEUlllE_EE10hipError_tT0_T1_T2_T3_mRjT4_P12ihipStream_tbNS1_7vsmem_tEEUlT_E_NS1_11comp_targetILNS1_3genE10ELNS1_11target_archE1201ELNS1_3gpuE5ELNS1_3repE0EEENS1_30default_config_static_selectorELNS0_4arch9wavefront6targetE0EEEvSM_
		.amdhsa_group_segment_fixed_size 0
		.amdhsa_private_segment_fixed_size 0
		.amdhsa_kernarg_size 72
		.amdhsa_user_sgpr_count 2
		.amdhsa_user_sgpr_dispatch_ptr 0
		.amdhsa_user_sgpr_queue_ptr 0
		.amdhsa_user_sgpr_kernarg_segment_ptr 1
		.amdhsa_user_sgpr_dispatch_id 0
		.amdhsa_user_sgpr_kernarg_preload_length 0
		.amdhsa_user_sgpr_kernarg_preload_offset 0
		.amdhsa_user_sgpr_private_segment_size 0
		.amdhsa_wavefront_size32 1
		.amdhsa_uses_dynamic_stack 0
		.amdhsa_enable_private_segment 0
		.amdhsa_system_sgpr_workgroup_id_x 1
		.amdhsa_system_sgpr_workgroup_id_y 0
		.amdhsa_system_sgpr_workgroup_id_z 0
		.amdhsa_system_sgpr_workgroup_info 0
		.amdhsa_system_vgpr_workitem_id 0
		.amdhsa_next_free_vgpr 1
		.amdhsa_next_free_sgpr 1
		.amdhsa_named_barrier_count 0
		.amdhsa_reserve_vcc 0
		.amdhsa_float_round_mode_32 0
		.amdhsa_float_round_mode_16_64 0
		.amdhsa_float_denorm_mode_32 3
		.amdhsa_float_denorm_mode_16_64 3
		.amdhsa_fp16_overflow 0
		.amdhsa_memory_ordered 1
		.amdhsa_forward_progress 1
		.amdhsa_inst_pref_size 0
		.amdhsa_round_robin_scheduling 0
		.amdhsa_exception_fp_ieee_invalid_op 0
		.amdhsa_exception_fp_denorm_src 0
		.amdhsa_exception_fp_ieee_div_zero 0
		.amdhsa_exception_fp_ieee_overflow 0
		.amdhsa_exception_fp_ieee_underflow 0
		.amdhsa_exception_fp_ieee_inexact 0
		.amdhsa_exception_int_div_zero 0
	.end_amdhsa_kernel
	.section	.text._ZN7rocprim17ROCPRIM_400000_NS6detail17trampoline_kernelINS0_14default_configENS1_37merge_sort_block_sort_config_selectorIlNS0_10empty_typeEEEZNS1_21merge_sort_block_sortIS3_PlS8_PS5_S9_ZN2at6native12_GLOBAL__N_124unique_dim_cuda_templateIlEESt5tupleIJNSA_6TensorESF_SF_EERKSF_lbbbEUlllE_EE10hipError_tT0_T1_T2_T3_mRjT4_P12ihipStream_tbNS1_7vsmem_tEEUlT_E_NS1_11comp_targetILNS1_3genE10ELNS1_11target_archE1201ELNS1_3gpuE5ELNS1_3repE0EEENS1_30default_config_static_selectorELNS0_4arch9wavefront6targetE0EEEvSM_,"axG",@progbits,_ZN7rocprim17ROCPRIM_400000_NS6detail17trampoline_kernelINS0_14default_configENS1_37merge_sort_block_sort_config_selectorIlNS0_10empty_typeEEEZNS1_21merge_sort_block_sortIS3_PlS8_PS5_S9_ZN2at6native12_GLOBAL__N_124unique_dim_cuda_templateIlEESt5tupleIJNSA_6TensorESF_SF_EERKSF_lbbbEUlllE_EE10hipError_tT0_T1_T2_T3_mRjT4_P12ihipStream_tbNS1_7vsmem_tEEUlT_E_NS1_11comp_targetILNS1_3genE10ELNS1_11target_archE1201ELNS1_3gpuE5ELNS1_3repE0EEENS1_30default_config_static_selectorELNS0_4arch9wavefront6targetE0EEEvSM_,comdat
.Lfunc_end510:
	.size	_ZN7rocprim17ROCPRIM_400000_NS6detail17trampoline_kernelINS0_14default_configENS1_37merge_sort_block_sort_config_selectorIlNS0_10empty_typeEEEZNS1_21merge_sort_block_sortIS3_PlS8_PS5_S9_ZN2at6native12_GLOBAL__N_124unique_dim_cuda_templateIlEESt5tupleIJNSA_6TensorESF_SF_EERKSF_lbbbEUlllE_EE10hipError_tT0_T1_T2_T3_mRjT4_P12ihipStream_tbNS1_7vsmem_tEEUlT_E_NS1_11comp_targetILNS1_3genE10ELNS1_11target_archE1201ELNS1_3gpuE5ELNS1_3repE0EEENS1_30default_config_static_selectorELNS0_4arch9wavefront6targetE0EEEvSM_, .Lfunc_end510-_ZN7rocprim17ROCPRIM_400000_NS6detail17trampoline_kernelINS0_14default_configENS1_37merge_sort_block_sort_config_selectorIlNS0_10empty_typeEEEZNS1_21merge_sort_block_sortIS3_PlS8_PS5_S9_ZN2at6native12_GLOBAL__N_124unique_dim_cuda_templateIlEESt5tupleIJNSA_6TensorESF_SF_EERKSF_lbbbEUlllE_EE10hipError_tT0_T1_T2_T3_mRjT4_P12ihipStream_tbNS1_7vsmem_tEEUlT_E_NS1_11comp_targetILNS1_3genE10ELNS1_11target_archE1201ELNS1_3gpuE5ELNS1_3repE0EEENS1_30default_config_static_selectorELNS0_4arch9wavefront6targetE0EEEvSM_
                                        ; -- End function
	.set _ZN7rocprim17ROCPRIM_400000_NS6detail17trampoline_kernelINS0_14default_configENS1_37merge_sort_block_sort_config_selectorIlNS0_10empty_typeEEEZNS1_21merge_sort_block_sortIS3_PlS8_PS5_S9_ZN2at6native12_GLOBAL__N_124unique_dim_cuda_templateIlEESt5tupleIJNSA_6TensorESF_SF_EERKSF_lbbbEUlllE_EE10hipError_tT0_T1_T2_T3_mRjT4_P12ihipStream_tbNS1_7vsmem_tEEUlT_E_NS1_11comp_targetILNS1_3genE10ELNS1_11target_archE1201ELNS1_3gpuE5ELNS1_3repE0EEENS1_30default_config_static_selectorELNS0_4arch9wavefront6targetE0EEEvSM_.num_vgpr, 0
	.set _ZN7rocprim17ROCPRIM_400000_NS6detail17trampoline_kernelINS0_14default_configENS1_37merge_sort_block_sort_config_selectorIlNS0_10empty_typeEEEZNS1_21merge_sort_block_sortIS3_PlS8_PS5_S9_ZN2at6native12_GLOBAL__N_124unique_dim_cuda_templateIlEESt5tupleIJNSA_6TensorESF_SF_EERKSF_lbbbEUlllE_EE10hipError_tT0_T1_T2_T3_mRjT4_P12ihipStream_tbNS1_7vsmem_tEEUlT_E_NS1_11comp_targetILNS1_3genE10ELNS1_11target_archE1201ELNS1_3gpuE5ELNS1_3repE0EEENS1_30default_config_static_selectorELNS0_4arch9wavefront6targetE0EEEvSM_.num_agpr, 0
	.set _ZN7rocprim17ROCPRIM_400000_NS6detail17trampoline_kernelINS0_14default_configENS1_37merge_sort_block_sort_config_selectorIlNS0_10empty_typeEEEZNS1_21merge_sort_block_sortIS3_PlS8_PS5_S9_ZN2at6native12_GLOBAL__N_124unique_dim_cuda_templateIlEESt5tupleIJNSA_6TensorESF_SF_EERKSF_lbbbEUlllE_EE10hipError_tT0_T1_T2_T3_mRjT4_P12ihipStream_tbNS1_7vsmem_tEEUlT_E_NS1_11comp_targetILNS1_3genE10ELNS1_11target_archE1201ELNS1_3gpuE5ELNS1_3repE0EEENS1_30default_config_static_selectorELNS0_4arch9wavefront6targetE0EEEvSM_.numbered_sgpr, 0
	.set _ZN7rocprim17ROCPRIM_400000_NS6detail17trampoline_kernelINS0_14default_configENS1_37merge_sort_block_sort_config_selectorIlNS0_10empty_typeEEEZNS1_21merge_sort_block_sortIS3_PlS8_PS5_S9_ZN2at6native12_GLOBAL__N_124unique_dim_cuda_templateIlEESt5tupleIJNSA_6TensorESF_SF_EERKSF_lbbbEUlllE_EE10hipError_tT0_T1_T2_T3_mRjT4_P12ihipStream_tbNS1_7vsmem_tEEUlT_E_NS1_11comp_targetILNS1_3genE10ELNS1_11target_archE1201ELNS1_3gpuE5ELNS1_3repE0EEENS1_30default_config_static_selectorELNS0_4arch9wavefront6targetE0EEEvSM_.num_named_barrier, 0
	.set _ZN7rocprim17ROCPRIM_400000_NS6detail17trampoline_kernelINS0_14default_configENS1_37merge_sort_block_sort_config_selectorIlNS0_10empty_typeEEEZNS1_21merge_sort_block_sortIS3_PlS8_PS5_S9_ZN2at6native12_GLOBAL__N_124unique_dim_cuda_templateIlEESt5tupleIJNSA_6TensorESF_SF_EERKSF_lbbbEUlllE_EE10hipError_tT0_T1_T2_T3_mRjT4_P12ihipStream_tbNS1_7vsmem_tEEUlT_E_NS1_11comp_targetILNS1_3genE10ELNS1_11target_archE1201ELNS1_3gpuE5ELNS1_3repE0EEENS1_30default_config_static_selectorELNS0_4arch9wavefront6targetE0EEEvSM_.private_seg_size, 0
	.set _ZN7rocprim17ROCPRIM_400000_NS6detail17trampoline_kernelINS0_14default_configENS1_37merge_sort_block_sort_config_selectorIlNS0_10empty_typeEEEZNS1_21merge_sort_block_sortIS3_PlS8_PS5_S9_ZN2at6native12_GLOBAL__N_124unique_dim_cuda_templateIlEESt5tupleIJNSA_6TensorESF_SF_EERKSF_lbbbEUlllE_EE10hipError_tT0_T1_T2_T3_mRjT4_P12ihipStream_tbNS1_7vsmem_tEEUlT_E_NS1_11comp_targetILNS1_3genE10ELNS1_11target_archE1201ELNS1_3gpuE5ELNS1_3repE0EEENS1_30default_config_static_selectorELNS0_4arch9wavefront6targetE0EEEvSM_.uses_vcc, 0
	.set _ZN7rocprim17ROCPRIM_400000_NS6detail17trampoline_kernelINS0_14default_configENS1_37merge_sort_block_sort_config_selectorIlNS0_10empty_typeEEEZNS1_21merge_sort_block_sortIS3_PlS8_PS5_S9_ZN2at6native12_GLOBAL__N_124unique_dim_cuda_templateIlEESt5tupleIJNSA_6TensorESF_SF_EERKSF_lbbbEUlllE_EE10hipError_tT0_T1_T2_T3_mRjT4_P12ihipStream_tbNS1_7vsmem_tEEUlT_E_NS1_11comp_targetILNS1_3genE10ELNS1_11target_archE1201ELNS1_3gpuE5ELNS1_3repE0EEENS1_30default_config_static_selectorELNS0_4arch9wavefront6targetE0EEEvSM_.uses_flat_scratch, 0
	.set _ZN7rocprim17ROCPRIM_400000_NS6detail17trampoline_kernelINS0_14default_configENS1_37merge_sort_block_sort_config_selectorIlNS0_10empty_typeEEEZNS1_21merge_sort_block_sortIS3_PlS8_PS5_S9_ZN2at6native12_GLOBAL__N_124unique_dim_cuda_templateIlEESt5tupleIJNSA_6TensorESF_SF_EERKSF_lbbbEUlllE_EE10hipError_tT0_T1_T2_T3_mRjT4_P12ihipStream_tbNS1_7vsmem_tEEUlT_E_NS1_11comp_targetILNS1_3genE10ELNS1_11target_archE1201ELNS1_3gpuE5ELNS1_3repE0EEENS1_30default_config_static_selectorELNS0_4arch9wavefront6targetE0EEEvSM_.has_dyn_sized_stack, 0
	.set _ZN7rocprim17ROCPRIM_400000_NS6detail17trampoline_kernelINS0_14default_configENS1_37merge_sort_block_sort_config_selectorIlNS0_10empty_typeEEEZNS1_21merge_sort_block_sortIS3_PlS8_PS5_S9_ZN2at6native12_GLOBAL__N_124unique_dim_cuda_templateIlEESt5tupleIJNSA_6TensorESF_SF_EERKSF_lbbbEUlllE_EE10hipError_tT0_T1_T2_T3_mRjT4_P12ihipStream_tbNS1_7vsmem_tEEUlT_E_NS1_11comp_targetILNS1_3genE10ELNS1_11target_archE1201ELNS1_3gpuE5ELNS1_3repE0EEENS1_30default_config_static_selectorELNS0_4arch9wavefront6targetE0EEEvSM_.has_recursion, 0
	.set _ZN7rocprim17ROCPRIM_400000_NS6detail17trampoline_kernelINS0_14default_configENS1_37merge_sort_block_sort_config_selectorIlNS0_10empty_typeEEEZNS1_21merge_sort_block_sortIS3_PlS8_PS5_S9_ZN2at6native12_GLOBAL__N_124unique_dim_cuda_templateIlEESt5tupleIJNSA_6TensorESF_SF_EERKSF_lbbbEUlllE_EE10hipError_tT0_T1_T2_T3_mRjT4_P12ihipStream_tbNS1_7vsmem_tEEUlT_E_NS1_11comp_targetILNS1_3genE10ELNS1_11target_archE1201ELNS1_3gpuE5ELNS1_3repE0EEENS1_30default_config_static_selectorELNS0_4arch9wavefront6targetE0EEEvSM_.has_indirect_call, 0
	.section	.AMDGPU.csdata,"",@progbits
; Kernel info:
; codeLenInByte = 0
; TotalNumSgprs: 0
; NumVgprs: 0
; ScratchSize: 0
; MemoryBound: 0
; FloatMode: 240
; IeeeMode: 1
; LDSByteSize: 0 bytes/workgroup (compile time only)
; SGPRBlocks: 0
; VGPRBlocks: 0
; NumSGPRsForWavesPerEU: 1
; NumVGPRsForWavesPerEU: 1
; NamedBarCnt: 0
; Occupancy: 16
; WaveLimiterHint : 0
; COMPUTE_PGM_RSRC2:SCRATCH_EN: 0
; COMPUTE_PGM_RSRC2:USER_SGPR: 2
; COMPUTE_PGM_RSRC2:TRAP_HANDLER: 0
; COMPUTE_PGM_RSRC2:TGID_X_EN: 1
; COMPUTE_PGM_RSRC2:TGID_Y_EN: 0
; COMPUTE_PGM_RSRC2:TGID_Z_EN: 0
; COMPUTE_PGM_RSRC2:TIDIG_COMP_CNT: 0
	.section	.text._ZN7rocprim17ROCPRIM_400000_NS6detail17trampoline_kernelINS0_14default_configENS1_37merge_sort_block_sort_config_selectorIlNS0_10empty_typeEEEZNS1_21merge_sort_block_sortIS3_PlS8_PS5_S9_ZN2at6native12_GLOBAL__N_124unique_dim_cuda_templateIlEESt5tupleIJNSA_6TensorESF_SF_EERKSF_lbbbEUlllE_EE10hipError_tT0_T1_T2_T3_mRjT4_P12ihipStream_tbNS1_7vsmem_tEEUlT_E_NS1_11comp_targetILNS1_3genE10ELNS1_11target_archE1200ELNS1_3gpuE4ELNS1_3repE0EEENS1_30default_config_static_selectorELNS0_4arch9wavefront6targetE0EEEvSM_,"axG",@progbits,_ZN7rocprim17ROCPRIM_400000_NS6detail17trampoline_kernelINS0_14default_configENS1_37merge_sort_block_sort_config_selectorIlNS0_10empty_typeEEEZNS1_21merge_sort_block_sortIS3_PlS8_PS5_S9_ZN2at6native12_GLOBAL__N_124unique_dim_cuda_templateIlEESt5tupleIJNSA_6TensorESF_SF_EERKSF_lbbbEUlllE_EE10hipError_tT0_T1_T2_T3_mRjT4_P12ihipStream_tbNS1_7vsmem_tEEUlT_E_NS1_11comp_targetILNS1_3genE10ELNS1_11target_archE1200ELNS1_3gpuE4ELNS1_3repE0EEENS1_30default_config_static_selectorELNS0_4arch9wavefront6targetE0EEEvSM_,comdat
	.globl	_ZN7rocprim17ROCPRIM_400000_NS6detail17trampoline_kernelINS0_14default_configENS1_37merge_sort_block_sort_config_selectorIlNS0_10empty_typeEEEZNS1_21merge_sort_block_sortIS3_PlS8_PS5_S9_ZN2at6native12_GLOBAL__N_124unique_dim_cuda_templateIlEESt5tupleIJNSA_6TensorESF_SF_EERKSF_lbbbEUlllE_EE10hipError_tT0_T1_T2_T3_mRjT4_P12ihipStream_tbNS1_7vsmem_tEEUlT_E_NS1_11comp_targetILNS1_3genE10ELNS1_11target_archE1200ELNS1_3gpuE4ELNS1_3repE0EEENS1_30default_config_static_selectorELNS0_4arch9wavefront6targetE0EEEvSM_ ; -- Begin function _ZN7rocprim17ROCPRIM_400000_NS6detail17trampoline_kernelINS0_14default_configENS1_37merge_sort_block_sort_config_selectorIlNS0_10empty_typeEEEZNS1_21merge_sort_block_sortIS3_PlS8_PS5_S9_ZN2at6native12_GLOBAL__N_124unique_dim_cuda_templateIlEESt5tupleIJNSA_6TensorESF_SF_EERKSF_lbbbEUlllE_EE10hipError_tT0_T1_T2_T3_mRjT4_P12ihipStream_tbNS1_7vsmem_tEEUlT_E_NS1_11comp_targetILNS1_3genE10ELNS1_11target_archE1200ELNS1_3gpuE4ELNS1_3repE0EEENS1_30default_config_static_selectorELNS0_4arch9wavefront6targetE0EEEvSM_
	.p2align	8
	.type	_ZN7rocprim17ROCPRIM_400000_NS6detail17trampoline_kernelINS0_14default_configENS1_37merge_sort_block_sort_config_selectorIlNS0_10empty_typeEEEZNS1_21merge_sort_block_sortIS3_PlS8_PS5_S9_ZN2at6native12_GLOBAL__N_124unique_dim_cuda_templateIlEESt5tupleIJNSA_6TensorESF_SF_EERKSF_lbbbEUlllE_EE10hipError_tT0_T1_T2_T3_mRjT4_P12ihipStream_tbNS1_7vsmem_tEEUlT_E_NS1_11comp_targetILNS1_3genE10ELNS1_11target_archE1200ELNS1_3gpuE4ELNS1_3repE0EEENS1_30default_config_static_selectorELNS0_4arch9wavefront6targetE0EEEvSM_,@function
_ZN7rocprim17ROCPRIM_400000_NS6detail17trampoline_kernelINS0_14default_configENS1_37merge_sort_block_sort_config_selectorIlNS0_10empty_typeEEEZNS1_21merge_sort_block_sortIS3_PlS8_PS5_S9_ZN2at6native12_GLOBAL__N_124unique_dim_cuda_templateIlEESt5tupleIJNSA_6TensorESF_SF_EERKSF_lbbbEUlllE_EE10hipError_tT0_T1_T2_T3_mRjT4_P12ihipStream_tbNS1_7vsmem_tEEUlT_E_NS1_11comp_targetILNS1_3genE10ELNS1_11target_archE1200ELNS1_3gpuE4ELNS1_3repE0EEENS1_30default_config_static_selectorELNS0_4arch9wavefront6targetE0EEEvSM_: ; @_ZN7rocprim17ROCPRIM_400000_NS6detail17trampoline_kernelINS0_14default_configENS1_37merge_sort_block_sort_config_selectorIlNS0_10empty_typeEEEZNS1_21merge_sort_block_sortIS3_PlS8_PS5_S9_ZN2at6native12_GLOBAL__N_124unique_dim_cuda_templateIlEESt5tupleIJNSA_6TensorESF_SF_EERKSF_lbbbEUlllE_EE10hipError_tT0_T1_T2_T3_mRjT4_P12ihipStream_tbNS1_7vsmem_tEEUlT_E_NS1_11comp_targetILNS1_3genE10ELNS1_11target_archE1200ELNS1_3gpuE4ELNS1_3repE0EEENS1_30default_config_static_selectorELNS0_4arch9wavefront6targetE0EEEvSM_
; %bb.0:
	.section	.rodata,"a",@progbits
	.p2align	6, 0x0
	.amdhsa_kernel _ZN7rocprim17ROCPRIM_400000_NS6detail17trampoline_kernelINS0_14default_configENS1_37merge_sort_block_sort_config_selectorIlNS0_10empty_typeEEEZNS1_21merge_sort_block_sortIS3_PlS8_PS5_S9_ZN2at6native12_GLOBAL__N_124unique_dim_cuda_templateIlEESt5tupleIJNSA_6TensorESF_SF_EERKSF_lbbbEUlllE_EE10hipError_tT0_T1_T2_T3_mRjT4_P12ihipStream_tbNS1_7vsmem_tEEUlT_E_NS1_11comp_targetILNS1_3genE10ELNS1_11target_archE1200ELNS1_3gpuE4ELNS1_3repE0EEENS1_30default_config_static_selectorELNS0_4arch9wavefront6targetE0EEEvSM_
		.amdhsa_group_segment_fixed_size 0
		.amdhsa_private_segment_fixed_size 0
		.amdhsa_kernarg_size 72
		.amdhsa_user_sgpr_count 2
		.amdhsa_user_sgpr_dispatch_ptr 0
		.amdhsa_user_sgpr_queue_ptr 0
		.amdhsa_user_sgpr_kernarg_segment_ptr 1
		.amdhsa_user_sgpr_dispatch_id 0
		.amdhsa_user_sgpr_kernarg_preload_length 0
		.amdhsa_user_sgpr_kernarg_preload_offset 0
		.amdhsa_user_sgpr_private_segment_size 0
		.amdhsa_wavefront_size32 1
		.amdhsa_uses_dynamic_stack 0
		.amdhsa_enable_private_segment 0
		.amdhsa_system_sgpr_workgroup_id_x 1
		.amdhsa_system_sgpr_workgroup_id_y 0
		.amdhsa_system_sgpr_workgroup_id_z 0
		.amdhsa_system_sgpr_workgroup_info 0
		.amdhsa_system_vgpr_workitem_id 0
		.amdhsa_next_free_vgpr 1
		.amdhsa_next_free_sgpr 1
		.amdhsa_named_barrier_count 0
		.amdhsa_reserve_vcc 0
		.amdhsa_float_round_mode_32 0
		.amdhsa_float_round_mode_16_64 0
		.amdhsa_float_denorm_mode_32 3
		.amdhsa_float_denorm_mode_16_64 3
		.amdhsa_fp16_overflow 0
		.amdhsa_memory_ordered 1
		.amdhsa_forward_progress 1
		.amdhsa_inst_pref_size 0
		.amdhsa_round_robin_scheduling 0
		.amdhsa_exception_fp_ieee_invalid_op 0
		.amdhsa_exception_fp_denorm_src 0
		.amdhsa_exception_fp_ieee_div_zero 0
		.amdhsa_exception_fp_ieee_overflow 0
		.amdhsa_exception_fp_ieee_underflow 0
		.amdhsa_exception_fp_ieee_inexact 0
		.amdhsa_exception_int_div_zero 0
	.end_amdhsa_kernel
	.section	.text._ZN7rocprim17ROCPRIM_400000_NS6detail17trampoline_kernelINS0_14default_configENS1_37merge_sort_block_sort_config_selectorIlNS0_10empty_typeEEEZNS1_21merge_sort_block_sortIS3_PlS8_PS5_S9_ZN2at6native12_GLOBAL__N_124unique_dim_cuda_templateIlEESt5tupleIJNSA_6TensorESF_SF_EERKSF_lbbbEUlllE_EE10hipError_tT0_T1_T2_T3_mRjT4_P12ihipStream_tbNS1_7vsmem_tEEUlT_E_NS1_11comp_targetILNS1_3genE10ELNS1_11target_archE1200ELNS1_3gpuE4ELNS1_3repE0EEENS1_30default_config_static_selectorELNS0_4arch9wavefront6targetE0EEEvSM_,"axG",@progbits,_ZN7rocprim17ROCPRIM_400000_NS6detail17trampoline_kernelINS0_14default_configENS1_37merge_sort_block_sort_config_selectorIlNS0_10empty_typeEEEZNS1_21merge_sort_block_sortIS3_PlS8_PS5_S9_ZN2at6native12_GLOBAL__N_124unique_dim_cuda_templateIlEESt5tupleIJNSA_6TensorESF_SF_EERKSF_lbbbEUlllE_EE10hipError_tT0_T1_T2_T3_mRjT4_P12ihipStream_tbNS1_7vsmem_tEEUlT_E_NS1_11comp_targetILNS1_3genE10ELNS1_11target_archE1200ELNS1_3gpuE4ELNS1_3repE0EEENS1_30default_config_static_selectorELNS0_4arch9wavefront6targetE0EEEvSM_,comdat
.Lfunc_end511:
	.size	_ZN7rocprim17ROCPRIM_400000_NS6detail17trampoline_kernelINS0_14default_configENS1_37merge_sort_block_sort_config_selectorIlNS0_10empty_typeEEEZNS1_21merge_sort_block_sortIS3_PlS8_PS5_S9_ZN2at6native12_GLOBAL__N_124unique_dim_cuda_templateIlEESt5tupleIJNSA_6TensorESF_SF_EERKSF_lbbbEUlllE_EE10hipError_tT0_T1_T2_T3_mRjT4_P12ihipStream_tbNS1_7vsmem_tEEUlT_E_NS1_11comp_targetILNS1_3genE10ELNS1_11target_archE1200ELNS1_3gpuE4ELNS1_3repE0EEENS1_30default_config_static_selectorELNS0_4arch9wavefront6targetE0EEEvSM_, .Lfunc_end511-_ZN7rocprim17ROCPRIM_400000_NS6detail17trampoline_kernelINS0_14default_configENS1_37merge_sort_block_sort_config_selectorIlNS0_10empty_typeEEEZNS1_21merge_sort_block_sortIS3_PlS8_PS5_S9_ZN2at6native12_GLOBAL__N_124unique_dim_cuda_templateIlEESt5tupleIJNSA_6TensorESF_SF_EERKSF_lbbbEUlllE_EE10hipError_tT0_T1_T2_T3_mRjT4_P12ihipStream_tbNS1_7vsmem_tEEUlT_E_NS1_11comp_targetILNS1_3genE10ELNS1_11target_archE1200ELNS1_3gpuE4ELNS1_3repE0EEENS1_30default_config_static_selectorELNS0_4arch9wavefront6targetE0EEEvSM_
                                        ; -- End function
	.set _ZN7rocprim17ROCPRIM_400000_NS6detail17trampoline_kernelINS0_14default_configENS1_37merge_sort_block_sort_config_selectorIlNS0_10empty_typeEEEZNS1_21merge_sort_block_sortIS3_PlS8_PS5_S9_ZN2at6native12_GLOBAL__N_124unique_dim_cuda_templateIlEESt5tupleIJNSA_6TensorESF_SF_EERKSF_lbbbEUlllE_EE10hipError_tT0_T1_T2_T3_mRjT4_P12ihipStream_tbNS1_7vsmem_tEEUlT_E_NS1_11comp_targetILNS1_3genE10ELNS1_11target_archE1200ELNS1_3gpuE4ELNS1_3repE0EEENS1_30default_config_static_selectorELNS0_4arch9wavefront6targetE0EEEvSM_.num_vgpr, 0
	.set _ZN7rocprim17ROCPRIM_400000_NS6detail17trampoline_kernelINS0_14default_configENS1_37merge_sort_block_sort_config_selectorIlNS0_10empty_typeEEEZNS1_21merge_sort_block_sortIS3_PlS8_PS5_S9_ZN2at6native12_GLOBAL__N_124unique_dim_cuda_templateIlEESt5tupleIJNSA_6TensorESF_SF_EERKSF_lbbbEUlllE_EE10hipError_tT0_T1_T2_T3_mRjT4_P12ihipStream_tbNS1_7vsmem_tEEUlT_E_NS1_11comp_targetILNS1_3genE10ELNS1_11target_archE1200ELNS1_3gpuE4ELNS1_3repE0EEENS1_30default_config_static_selectorELNS0_4arch9wavefront6targetE0EEEvSM_.num_agpr, 0
	.set _ZN7rocprim17ROCPRIM_400000_NS6detail17trampoline_kernelINS0_14default_configENS1_37merge_sort_block_sort_config_selectorIlNS0_10empty_typeEEEZNS1_21merge_sort_block_sortIS3_PlS8_PS5_S9_ZN2at6native12_GLOBAL__N_124unique_dim_cuda_templateIlEESt5tupleIJNSA_6TensorESF_SF_EERKSF_lbbbEUlllE_EE10hipError_tT0_T1_T2_T3_mRjT4_P12ihipStream_tbNS1_7vsmem_tEEUlT_E_NS1_11comp_targetILNS1_3genE10ELNS1_11target_archE1200ELNS1_3gpuE4ELNS1_3repE0EEENS1_30default_config_static_selectorELNS0_4arch9wavefront6targetE0EEEvSM_.numbered_sgpr, 0
	.set _ZN7rocprim17ROCPRIM_400000_NS6detail17trampoline_kernelINS0_14default_configENS1_37merge_sort_block_sort_config_selectorIlNS0_10empty_typeEEEZNS1_21merge_sort_block_sortIS3_PlS8_PS5_S9_ZN2at6native12_GLOBAL__N_124unique_dim_cuda_templateIlEESt5tupleIJNSA_6TensorESF_SF_EERKSF_lbbbEUlllE_EE10hipError_tT0_T1_T2_T3_mRjT4_P12ihipStream_tbNS1_7vsmem_tEEUlT_E_NS1_11comp_targetILNS1_3genE10ELNS1_11target_archE1200ELNS1_3gpuE4ELNS1_3repE0EEENS1_30default_config_static_selectorELNS0_4arch9wavefront6targetE0EEEvSM_.num_named_barrier, 0
	.set _ZN7rocprim17ROCPRIM_400000_NS6detail17trampoline_kernelINS0_14default_configENS1_37merge_sort_block_sort_config_selectorIlNS0_10empty_typeEEEZNS1_21merge_sort_block_sortIS3_PlS8_PS5_S9_ZN2at6native12_GLOBAL__N_124unique_dim_cuda_templateIlEESt5tupleIJNSA_6TensorESF_SF_EERKSF_lbbbEUlllE_EE10hipError_tT0_T1_T2_T3_mRjT4_P12ihipStream_tbNS1_7vsmem_tEEUlT_E_NS1_11comp_targetILNS1_3genE10ELNS1_11target_archE1200ELNS1_3gpuE4ELNS1_3repE0EEENS1_30default_config_static_selectorELNS0_4arch9wavefront6targetE0EEEvSM_.private_seg_size, 0
	.set _ZN7rocprim17ROCPRIM_400000_NS6detail17trampoline_kernelINS0_14default_configENS1_37merge_sort_block_sort_config_selectorIlNS0_10empty_typeEEEZNS1_21merge_sort_block_sortIS3_PlS8_PS5_S9_ZN2at6native12_GLOBAL__N_124unique_dim_cuda_templateIlEESt5tupleIJNSA_6TensorESF_SF_EERKSF_lbbbEUlllE_EE10hipError_tT0_T1_T2_T3_mRjT4_P12ihipStream_tbNS1_7vsmem_tEEUlT_E_NS1_11comp_targetILNS1_3genE10ELNS1_11target_archE1200ELNS1_3gpuE4ELNS1_3repE0EEENS1_30default_config_static_selectorELNS0_4arch9wavefront6targetE0EEEvSM_.uses_vcc, 0
	.set _ZN7rocprim17ROCPRIM_400000_NS6detail17trampoline_kernelINS0_14default_configENS1_37merge_sort_block_sort_config_selectorIlNS0_10empty_typeEEEZNS1_21merge_sort_block_sortIS3_PlS8_PS5_S9_ZN2at6native12_GLOBAL__N_124unique_dim_cuda_templateIlEESt5tupleIJNSA_6TensorESF_SF_EERKSF_lbbbEUlllE_EE10hipError_tT0_T1_T2_T3_mRjT4_P12ihipStream_tbNS1_7vsmem_tEEUlT_E_NS1_11comp_targetILNS1_3genE10ELNS1_11target_archE1200ELNS1_3gpuE4ELNS1_3repE0EEENS1_30default_config_static_selectorELNS0_4arch9wavefront6targetE0EEEvSM_.uses_flat_scratch, 0
	.set _ZN7rocprim17ROCPRIM_400000_NS6detail17trampoline_kernelINS0_14default_configENS1_37merge_sort_block_sort_config_selectorIlNS0_10empty_typeEEEZNS1_21merge_sort_block_sortIS3_PlS8_PS5_S9_ZN2at6native12_GLOBAL__N_124unique_dim_cuda_templateIlEESt5tupleIJNSA_6TensorESF_SF_EERKSF_lbbbEUlllE_EE10hipError_tT0_T1_T2_T3_mRjT4_P12ihipStream_tbNS1_7vsmem_tEEUlT_E_NS1_11comp_targetILNS1_3genE10ELNS1_11target_archE1200ELNS1_3gpuE4ELNS1_3repE0EEENS1_30default_config_static_selectorELNS0_4arch9wavefront6targetE0EEEvSM_.has_dyn_sized_stack, 0
	.set _ZN7rocprim17ROCPRIM_400000_NS6detail17trampoline_kernelINS0_14default_configENS1_37merge_sort_block_sort_config_selectorIlNS0_10empty_typeEEEZNS1_21merge_sort_block_sortIS3_PlS8_PS5_S9_ZN2at6native12_GLOBAL__N_124unique_dim_cuda_templateIlEESt5tupleIJNSA_6TensorESF_SF_EERKSF_lbbbEUlllE_EE10hipError_tT0_T1_T2_T3_mRjT4_P12ihipStream_tbNS1_7vsmem_tEEUlT_E_NS1_11comp_targetILNS1_3genE10ELNS1_11target_archE1200ELNS1_3gpuE4ELNS1_3repE0EEENS1_30default_config_static_selectorELNS0_4arch9wavefront6targetE0EEEvSM_.has_recursion, 0
	.set _ZN7rocprim17ROCPRIM_400000_NS6detail17trampoline_kernelINS0_14default_configENS1_37merge_sort_block_sort_config_selectorIlNS0_10empty_typeEEEZNS1_21merge_sort_block_sortIS3_PlS8_PS5_S9_ZN2at6native12_GLOBAL__N_124unique_dim_cuda_templateIlEESt5tupleIJNSA_6TensorESF_SF_EERKSF_lbbbEUlllE_EE10hipError_tT0_T1_T2_T3_mRjT4_P12ihipStream_tbNS1_7vsmem_tEEUlT_E_NS1_11comp_targetILNS1_3genE10ELNS1_11target_archE1200ELNS1_3gpuE4ELNS1_3repE0EEENS1_30default_config_static_selectorELNS0_4arch9wavefront6targetE0EEEvSM_.has_indirect_call, 0
	.section	.AMDGPU.csdata,"",@progbits
; Kernel info:
; codeLenInByte = 0
; TotalNumSgprs: 0
; NumVgprs: 0
; ScratchSize: 0
; MemoryBound: 0
; FloatMode: 240
; IeeeMode: 1
; LDSByteSize: 0 bytes/workgroup (compile time only)
; SGPRBlocks: 0
; VGPRBlocks: 0
; NumSGPRsForWavesPerEU: 1
; NumVGPRsForWavesPerEU: 1
; NamedBarCnt: 0
; Occupancy: 16
; WaveLimiterHint : 0
; COMPUTE_PGM_RSRC2:SCRATCH_EN: 0
; COMPUTE_PGM_RSRC2:USER_SGPR: 2
; COMPUTE_PGM_RSRC2:TRAP_HANDLER: 0
; COMPUTE_PGM_RSRC2:TGID_X_EN: 1
; COMPUTE_PGM_RSRC2:TGID_Y_EN: 0
; COMPUTE_PGM_RSRC2:TGID_Z_EN: 0
; COMPUTE_PGM_RSRC2:TIDIG_COMP_CNT: 0
	.section	.text._ZN7rocprim17ROCPRIM_400000_NS6detail17trampoline_kernelINS0_14default_configENS1_37merge_sort_block_sort_config_selectorIlNS0_10empty_typeEEEZNS1_21merge_sort_block_sortIS3_PlS8_PS5_S9_ZN2at6native12_GLOBAL__N_124unique_dim_cuda_templateIlEESt5tupleIJNSA_6TensorESF_SF_EERKSF_lbbbEUlllE_EE10hipError_tT0_T1_T2_T3_mRjT4_P12ihipStream_tbNS1_7vsmem_tEEUlT_E_NS1_11comp_targetILNS1_3genE9ELNS1_11target_archE1100ELNS1_3gpuE3ELNS1_3repE0EEENS1_30default_config_static_selectorELNS0_4arch9wavefront6targetE0EEEvSM_,"axG",@progbits,_ZN7rocprim17ROCPRIM_400000_NS6detail17trampoline_kernelINS0_14default_configENS1_37merge_sort_block_sort_config_selectorIlNS0_10empty_typeEEEZNS1_21merge_sort_block_sortIS3_PlS8_PS5_S9_ZN2at6native12_GLOBAL__N_124unique_dim_cuda_templateIlEESt5tupleIJNSA_6TensorESF_SF_EERKSF_lbbbEUlllE_EE10hipError_tT0_T1_T2_T3_mRjT4_P12ihipStream_tbNS1_7vsmem_tEEUlT_E_NS1_11comp_targetILNS1_3genE9ELNS1_11target_archE1100ELNS1_3gpuE3ELNS1_3repE0EEENS1_30default_config_static_selectorELNS0_4arch9wavefront6targetE0EEEvSM_,comdat
	.globl	_ZN7rocprim17ROCPRIM_400000_NS6detail17trampoline_kernelINS0_14default_configENS1_37merge_sort_block_sort_config_selectorIlNS0_10empty_typeEEEZNS1_21merge_sort_block_sortIS3_PlS8_PS5_S9_ZN2at6native12_GLOBAL__N_124unique_dim_cuda_templateIlEESt5tupleIJNSA_6TensorESF_SF_EERKSF_lbbbEUlllE_EE10hipError_tT0_T1_T2_T3_mRjT4_P12ihipStream_tbNS1_7vsmem_tEEUlT_E_NS1_11comp_targetILNS1_3genE9ELNS1_11target_archE1100ELNS1_3gpuE3ELNS1_3repE0EEENS1_30default_config_static_selectorELNS0_4arch9wavefront6targetE0EEEvSM_ ; -- Begin function _ZN7rocprim17ROCPRIM_400000_NS6detail17trampoline_kernelINS0_14default_configENS1_37merge_sort_block_sort_config_selectorIlNS0_10empty_typeEEEZNS1_21merge_sort_block_sortIS3_PlS8_PS5_S9_ZN2at6native12_GLOBAL__N_124unique_dim_cuda_templateIlEESt5tupleIJNSA_6TensorESF_SF_EERKSF_lbbbEUlllE_EE10hipError_tT0_T1_T2_T3_mRjT4_P12ihipStream_tbNS1_7vsmem_tEEUlT_E_NS1_11comp_targetILNS1_3genE9ELNS1_11target_archE1100ELNS1_3gpuE3ELNS1_3repE0EEENS1_30default_config_static_selectorELNS0_4arch9wavefront6targetE0EEEvSM_
	.p2align	8
	.type	_ZN7rocprim17ROCPRIM_400000_NS6detail17trampoline_kernelINS0_14default_configENS1_37merge_sort_block_sort_config_selectorIlNS0_10empty_typeEEEZNS1_21merge_sort_block_sortIS3_PlS8_PS5_S9_ZN2at6native12_GLOBAL__N_124unique_dim_cuda_templateIlEESt5tupleIJNSA_6TensorESF_SF_EERKSF_lbbbEUlllE_EE10hipError_tT0_T1_T2_T3_mRjT4_P12ihipStream_tbNS1_7vsmem_tEEUlT_E_NS1_11comp_targetILNS1_3genE9ELNS1_11target_archE1100ELNS1_3gpuE3ELNS1_3repE0EEENS1_30default_config_static_selectorELNS0_4arch9wavefront6targetE0EEEvSM_,@function
_ZN7rocprim17ROCPRIM_400000_NS6detail17trampoline_kernelINS0_14default_configENS1_37merge_sort_block_sort_config_selectorIlNS0_10empty_typeEEEZNS1_21merge_sort_block_sortIS3_PlS8_PS5_S9_ZN2at6native12_GLOBAL__N_124unique_dim_cuda_templateIlEESt5tupleIJNSA_6TensorESF_SF_EERKSF_lbbbEUlllE_EE10hipError_tT0_T1_T2_T3_mRjT4_P12ihipStream_tbNS1_7vsmem_tEEUlT_E_NS1_11comp_targetILNS1_3genE9ELNS1_11target_archE1100ELNS1_3gpuE3ELNS1_3repE0EEENS1_30default_config_static_selectorELNS0_4arch9wavefront6targetE0EEEvSM_: ; @_ZN7rocprim17ROCPRIM_400000_NS6detail17trampoline_kernelINS0_14default_configENS1_37merge_sort_block_sort_config_selectorIlNS0_10empty_typeEEEZNS1_21merge_sort_block_sortIS3_PlS8_PS5_S9_ZN2at6native12_GLOBAL__N_124unique_dim_cuda_templateIlEESt5tupleIJNSA_6TensorESF_SF_EERKSF_lbbbEUlllE_EE10hipError_tT0_T1_T2_T3_mRjT4_P12ihipStream_tbNS1_7vsmem_tEEUlT_E_NS1_11comp_targetILNS1_3genE9ELNS1_11target_archE1100ELNS1_3gpuE3ELNS1_3repE0EEENS1_30default_config_static_selectorELNS0_4arch9wavefront6targetE0EEEvSM_
; %bb.0:
	.section	.rodata,"a",@progbits
	.p2align	6, 0x0
	.amdhsa_kernel _ZN7rocprim17ROCPRIM_400000_NS6detail17trampoline_kernelINS0_14default_configENS1_37merge_sort_block_sort_config_selectorIlNS0_10empty_typeEEEZNS1_21merge_sort_block_sortIS3_PlS8_PS5_S9_ZN2at6native12_GLOBAL__N_124unique_dim_cuda_templateIlEESt5tupleIJNSA_6TensorESF_SF_EERKSF_lbbbEUlllE_EE10hipError_tT0_T1_T2_T3_mRjT4_P12ihipStream_tbNS1_7vsmem_tEEUlT_E_NS1_11comp_targetILNS1_3genE9ELNS1_11target_archE1100ELNS1_3gpuE3ELNS1_3repE0EEENS1_30default_config_static_selectorELNS0_4arch9wavefront6targetE0EEEvSM_
		.amdhsa_group_segment_fixed_size 0
		.amdhsa_private_segment_fixed_size 0
		.amdhsa_kernarg_size 72
		.amdhsa_user_sgpr_count 2
		.amdhsa_user_sgpr_dispatch_ptr 0
		.amdhsa_user_sgpr_queue_ptr 0
		.amdhsa_user_sgpr_kernarg_segment_ptr 1
		.amdhsa_user_sgpr_dispatch_id 0
		.amdhsa_user_sgpr_kernarg_preload_length 0
		.amdhsa_user_sgpr_kernarg_preload_offset 0
		.amdhsa_user_sgpr_private_segment_size 0
		.amdhsa_wavefront_size32 1
		.amdhsa_uses_dynamic_stack 0
		.amdhsa_enable_private_segment 0
		.amdhsa_system_sgpr_workgroup_id_x 1
		.amdhsa_system_sgpr_workgroup_id_y 0
		.amdhsa_system_sgpr_workgroup_id_z 0
		.amdhsa_system_sgpr_workgroup_info 0
		.amdhsa_system_vgpr_workitem_id 0
		.amdhsa_next_free_vgpr 1
		.amdhsa_next_free_sgpr 1
		.amdhsa_named_barrier_count 0
		.amdhsa_reserve_vcc 0
		.amdhsa_float_round_mode_32 0
		.amdhsa_float_round_mode_16_64 0
		.amdhsa_float_denorm_mode_32 3
		.amdhsa_float_denorm_mode_16_64 3
		.amdhsa_fp16_overflow 0
		.amdhsa_memory_ordered 1
		.amdhsa_forward_progress 1
		.amdhsa_inst_pref_size 0
		.amdhsa_round_robin_scheduling 0
		.amdhsa_exception_fp_ieee_invalid_op 0
		.amdhsa_exception_fp_denorm_src 0
		.amdhsa_exception_fp_ieee_div_zero 0
		.amdhsa_exception_fp_ieee_overflow 0
		.amdhsa_exception_fp_ieee_underflow 0
		.amdhsa_exception_fp_ieee_inexact 0
		.amdhsa_exception_int_div_zero 0
	.end_amdhsa_kernel
	.section	.text._ZN7rocprim17ROCPRIM_400000_NS6detail17trampoline_kernelINS0_14default_configENS1_37merge_sort_block_sort_config_selectorIlNS0_10empty_typeEEEZNS1_21merge_sort_block_sortIS3_PlS8_PS5_S9_ZN2at6native12_GLOBAL__N_124unique_dim_cuda_templateIlEESt5tupleIJNSA_6TensorESF_SF_EERKSF_lbbbEUlllE_EE10hipError_tT0_T1_T2_T3_mRjT4_P12ihipStream_tbNS1_7vsmem_tEEUlT_E_NS1_11comp_targetILNS1_3genE9ELNS1_11target_archE1100ELNS1_3gpuE3ELNS1_3repE0EEENS1_30default_config_static_selectorELNS0_4arch9wavefront6targetE0EEEvSM_,"axG",@progbits,_ZN7rocprim17ROCPRIM_400000_NS6detail17trampoline_kernelINS0_14default_configENS1_37merge_sort_block_sort_config_selectorIlNS0_10empty_typeEEEZNS1_21merge_sort_block_sortIS3_PlS8_PS5_S9_ZN2at6native12_GLOBAL__N_124unique_dim_cuda_templateIlEESt5tupleIJNSA_6TensorESF_SF_EERKSF_lbbbEUlllE_EE10hipError_tT0_T1_T2_T3_mRjT4_P12ihipStream_tbNS1_7vsmem_tEEUlT_E_NS1_11comp_targetILNS1_3genE9ELNS1_11target_archE1100ELNS1_3gpuE3ELNS1_3repE0EEENS1_30default_config_static_selectorELNS0_4arch9wavefront6targetE0EEEvSM_,comdat
.Lfunc_end512:
	.size	_ZN7rocprim17ROCPRIM_400000_NS6detail17trampoline_kernelINS0_14default_configENS1_37merge_sort_block_sort_config_selectorIlNS0_10empty_typeEEEZNS1_21merge_sort_block_sortIS3_PlS8_PS5_S9_ZN2at6native12_GLOBAL__N_124unique_dim_cuda_templateIlEESt5tupleIJNSA_6TensorESF_SF_EERKSF_lbbbEUlllE_EE10hipError_tT0_T1_T2_T3_mRjT4_P12ihipStream_tbNS1_7vsmem_tEEUlT_E_NS1_11comp_targetILNS1_3genE9ELNS1_11target_archE1100ELNS1_3gpuE3ELNS1_3repE0EEENS1_30default_config_static_selectorELNS0_4arch9wavefront6targetE0EEEvSM_, .Lfunc_end512-_ZN7rocprim17ROCPRIM_400000_NS6detail17trampoline_kernelINS0_14default_configENS1_37merge_sort_block_sort_config_selectorIlNS0_10empty_typeEEEZNS1_21merge_sort_block_sortIS3_PlS8_PS5_S9_ZN2at6native12_GLOBAL__N_124unique_dim_cuda_templateIlEESt5tupleIJNSA_6TensorESF_SF_EERKSF_lbbbEUlllE_EE10hipError_tT0_T1_T2_T3_mRjT4_P12ihipStream_tbNS1_7vsmem_tEEUlT_E_NS1_11comp_targetILNS1_3genE9ELNS1_11target_archE1100ELNS1_3gpuE3ELNS1_3repE0EEENS1_30default_config_static_selectorELNS0_4arch9wavefront6targetE0EEEvSM_
                                        ; -- End function
	.set _ZN7rocprim17ROCPRIM_400000_NS6detail17trampoline_kernelINS0_14default_configENS1_37merge_sort_block_sort_config_selectorIlNS0_10empty_typeEEEZNS1_21merge_sort_block_sortIS3_PlS8_PS5_S9_ZN2at6native12_GLOBAL__N_124unique_dim_cuda_templateIlEESt5tupleIJNSA_6TensorESF_SF_EERKSF_lbbbEUlllE_EE10hipError_tT0_T1_T2_T3_mRjT4_P12ihipStream_tbNS1_7vsmem_tEEUlT_E_NS1_11comp_targetILNS1_3genE9ELNS1_11target_archE1100ELNS1_3gpuE3ELNS1_3repE0EEENS1_30default_config_static_selectorELNS0_4arch9wavefront6targetE0EEEvSM_.num_vgpr, 0
	.set _ZN7rocprim17ROCPRIM_400000_NS6detail17trampoline_kernelINS0_14default_configENS1_37merge_sort_block_sort_config_selectorIlNS0_10empty_typeEEEZNS1_21merge_sort_block_sortIS3_PlS8_PS5_S9_ZN2at6native12_GLOBAL__N_124unique_dim_cuda_templateIlEESt5tupleIJNSA_6TensorESF_SF_EERKSF_lbbbEUlllE_EE10hipError_tT0_T1_T2_T3_mRjT4_P12ihipStream_tbNS1_7vsmem_tEEUlT_E_NS1_11comp_targetILNS1_3genE9ELNS1_11target_archE1100ELNS1_3gpuE3ELNS1_3repE0EEENS1_30default_config_static_selectorELNS0_4arch9wavefront6targetE0EEEvSM_.num_agpr, 0
	.set _ZN7rocprim17ROCPRIM_400000_NS6detail17trampoline_kernelINS0_14default_configENS1_37merge_sort_block_sort_config_selectorIlNS0_10empty_typeEEEZNS1_21merge_sort_block_sortIS3_PlS8_PS5_S9_ZN2at6native12_GLOBAL__N_124unique_dim_cuda_templateIlEESt5tupleIJNSA_6TensorESF_SF_EERKSF_lbbbEUlllE_EE10hipError_tT0_T1_T2_T3_mRjT4_P12ihipStream_tbNS1_7vsmem_tEEUlT_E_NS1_11comp_targetILNS1_3genE9ELNS1_11target_archE1100ELNS1_3gpuE3ELNS1_3repE0EEENS1_30default_config_static_selectorELNS0_4arch9wavefront6targetE0EEEvSM_.numbered_sgpr, 0
	.set _ZN7rocprim17ROCPRIM_400000_NS6detail17trampoline_kernelINS0_14default_configENS1_37merge_sort_block_sort_config_selectorIlNS0_10empty_typeEEEZNS1_21merge_sort_block_sortIS3_PlS8_PS5_S9_ZN2at6native12_GLOBAL__N_124unique_dim_cuda_templateIlEESt5tupleIJNSA_6TensorESF_SF_EERKSF_lbbbEUlllE_EE10hipError_tT0_T1_T2_T3_mRjT4_P12ihipStream_tbNS1_7vsmem_tEEUlT_E_NS1_11comp_targetILNS1_3genE9ELNS1_11target_archE1100ELNS1_3gpuE3ELNS1_3repE0EEENS1_30default_config_static_selectorELNS0_4arch9wavefront6targetE0EEEvSM_.num_named_barrier, 0
	.set _ZN7rocprim17ROCPRIM_400000_NS6detail17trampoline_kernelINS0_14default_configENS1_37merge_sort_block_sort_config_selectorIlNS0_10empty_typeEEEZNS1_21merge_sort_block_sortIS3_PlS8_PS5_S9_ZN2at6native12_GLOBAL__N_124unique_dim_cuda_templateIlEESt5tupleIJNSA_6TensorESF_SF_EERKSF_lbbbEUlllE_EE10hipError_tT0_T1_T2_T3_mRjT4_P12ihipStream_tbNS1_7vsmem_tEEUlT_E_NS1_11comp_targetILNS1_3genE9ELNS1_11target_archE1100ELNS1_3gpuE3ELNS1_3repE0EEENS1_30default_config_static_selectorELNS0_4arch9wavefront6targetE0EEEvSM_.private_seg_size, 0
	.set _ZN7rocprim17ROCPRIM_400000_NS6detail17trampoline_kernelINS0_14default_configENS1_37merge_sort_block_sort_config_selectorIlNS0_10empty_typeEEEZNS1_21merge_sort_block_sortIS3_PlS8_PS5_S9_ZN2at6native12_GLOBAL__N_124unique_dim_cuda_templateIlEESt5tupleIJNSA_6TensorESF_SF_EERKSF_lbbbEUlllE_EE10hipError_tT0_T1_T2_T3_mRjT4_P12ihipStream_tbNS1_7vsmem_tEEUlT_E_NS1_11comp_targetILNS1_3genE9ELNS1_11target_archE1100ELNS1_3gpuE3ELNS1_3repE0EEENS1_30default_config_static_selectorELNS0_4arch9wavefront6targetE0EEEvSM_.uses_vcc, 0
	.set _ZN7rocprim17ROCPRIM_400000_NS6detail17trampoline_kernelINS0_14default_configENS1_37merge_sort_block_sort_config_selectorIlNS0_10empty_typeEEEZNS1_21merge_sort_block_sortIS3_PlS8_PS5_S9_ZN2at6native12_GLOBAL__N_124unique_dim_cuda_templateIlEESt5tupleIJNSA_6TensorESF_SF_EERKSF_lbbbEUlllE_EE10hipError_tT0_T1_T2_T3_mRjT4_P12ihipStream_tbNS1_7vsmem_tEEUlT_E_NS1_11comp_targetILNS1_3genE9ELNS1_11target_archE1100ELNS1_3gpuE3ELNS1_3repE0EEENS1_30default_config_static_selectorELNS0_4arch9wavefront6targetE0EEEvSM_.uses_flat_scratch, 0
	.set _ZN7rocprim17ROCPRIM_400000_NS6detail17trampoline_kernelINS0_14default_configENS1_37merge_sort_block_sort_config_selectorIlNS0_10empty_typeEEEZNS1_21merge_sort_block_sortIS3_PlS8_PS5_S9_ZN2at6native12_GLOBAL__N_124unique_dim_cuda_templateIlEESt5tupleIJNSA_6TensorESF_SF_EERKSF_lbbbEUlllE_EE10hipError_tT0_T1_T2_T3_mRjT4_P12ihipStream_tbNS1_7vsmem_tEEUlT_E_NS1_11comp_targetILNS1_3genE9ELNS1_11target_archE1100ELNS1_3gpuE3ELNS1_3repE0EEENS1_30default_config_static_selectorELNS0_4arch9wavefront6targetE0EEEvSM_.has_dyn_sized_stack, 0
	.set _ZN7rocprim17ROCPRIM_400000_NS6detail17trampoline_kernelINS0_14default_configENS1_37merge_sort_block_sort_config_selectorIlNS0_10empty_typeEEEZNS1_21merge_sort_block_sortIS3_PlS8_PS5_S9_ZN2at6native12_GLOBAL__N_124unique_dim_cuda_templateIlEESt5tupleIJNSA_6TensorESF_SF_EERKSF_lbbbEUlllE_EE10hipError_tT0_T1_T2_T3_mRjT4_P12ihipStream_tbNS1_7vsmem_tEEUlT_E_NS1_11comp_targetILNS1_3genE9ELNS1_11target_archE1100ELNS1_3gpuE3ELNS1_3repE0EEENS1_30default_config_static_selectorELNS0_4arch9wavefront6targetE0EEEvSM_.has_recursion, 0
	.set _ZN7rocprim17ROCPRIM_400000_NS6detail17trampoline_kernelINS0_14default_configENS1_37merge_sort_block_sort_config_selectorIlNS0_10empty_typeEEEZNS1_21merge_sort_block_sortIS3_PlS8_PS5_S9_ZN2at6native12_GLOBAL__N_124unique_dim_cuda_templateIlEESt5tupleIJNSA_6TensorESF_SF_EERKSF_lbbbEUlllE_EE10hipError_tT0_T1_T2_T3_mRjT4_P12ihipStream_tbNS1_7vsmem_tEEUlT_E_NS1_11comp_targetILNS1_3genE9ELNS1_11target_archE1100ELNS1_3gpuE3ELNS1_3repE0EEENS1_30default_config_static_selectorELNS0_4arch9wavefront6targetE0EEEvSM_.has_indirect_call, 0
	.section	.AMDGPU.csdata,"",@progbits
; Kernel info:
; codeLenInByte = 0
; TotalNumSgprs: 0
; NumVgprs: 0
; ScratchSize: 0
; MemoryBound: 0
; FloatMode: 240
; IeeeMode: 1
; LDSByteSize: 0 bytes/workgroup (compile time only)
; SGPRBlocks: 0
; VGPRBlocks: 0
; NumSGPRsForWavesPerEU: 1
; NumVGPRsForWavesPerEU: 1
; NamedBarCnt: 0
; Occupancy: 16
; WaveLimiterHint : 0
; COMPUTE_PGM_RSRC2:SCRATCH_EN: 0
; COMPUTE_PGM_RSRC2:USER_SGPR: 2
; COMPUTE_PGM_RSRC2:TRAP_HANDLER: 0
; COMPUTE_PGM_RSRC2:TGID_X_EN: 1
; COMPUTE_PGM_RSRC2:TGID_Y_EN: 0
; COMPUTE_PGM_RSRC2:TGID_Z_EN: 0
; COMPUTE_PGM_RSRC2:TIDIG_COMP_CNT: 0
	.section	.text._ZN7rocprim17ROCPRIM_400000_NS6detail17trampoline_kernelINS0_14default_configENS1_37merge_sort_block_sort_config_selectorIlNS0_10empty_typeEEEZNS1_21merge_sort_block_sortIS3_PlS8_PS5_S9_ZN2at6native12_GLOBAL__N_124unique_dim_cuda_templateIlEESt5tupleIJNSA_6TensorESF_SF_EERKSF_lbbbEUlllE_EE10hipError_tT0_T1_T2_T3_mRjT4_P12ihipStream_tbNS1_7vsmem_tEEUlT_E_NS1_11comp_targetILNS1_3genE8ELNS1_11target_archE1030ELNS1_3gpuE2ELNS1_3repE0EEENS1_30default_config_static_selectorELNS0_4arch9wavefront6targetE0EEEvSM_,"axG",@progbits,_ZN7rocprim17ROCPRIM_400000_NS6detail17trampoline_kernelINS0_14default_configENS1_37merge_sort_block_sort_config_selectorIlNS0_10empty_typeEEEZNS1_21merge_sort_block_sortIS3_PlS8_PS5_S9_ZN2at6native12_GLOBAL__N_124unique_dim_cuda_templateIlEESt5tupleIJNSA_6TensorESF_SF_EERKSF_lbbbEUlllE_EE10hipError_tT0_T1_T2_T3_mRjT4_P12ihipStream_tbNS1_7vsmem_tEEUlT_E_NS1_11comp_targetILNS1_3genE8ELNS1_11target_archE1030ELNS1_3gpuE2ELNS1_3repE0EEENS1_30default_config_static_selectorELNS0_4arch9wavefront6targetE0EEEvSM_,comdat
	.globl	_ZN7rocprim17ROCPRIM_400000_NS6detail17trampoline_kernelINS0_14default_configENS1_37merge_sort_block_sort_config_selectorIlNS0_10empty_typeEEEZNS1_21merge_sort_block_sortIS3_PlS8_PS5_S9_ZN2at6native12_GLOBAL__N_124unique_dim_cuda_templateIlEESt5tupleIJNSA_6TensorESF_SF_EERKSF_lbbbEUlllE_EE10hipError_tT0_T1_T2_T3_mRjT4_P12ihipStream_tbNS1_7vsmem_tEEUlT_E_NS1_11comp_targetILNS1_3genE8ELNS1_11target_archE1030ELNS1_3gpuE2ELNS1_3repE0EEENS1_30default_config_static_selectorELNS0_4arch9wavefront6targetE0EEEvSM_ ; -- Begin function _ZN7rocprim17ROCPRIM_400000_NS6detail17trampoline_kernelINS0_14default_configENS1_37merge_sort_block_sort_config_selectorIlNS0_10empty_typeEEEZNS1_21merge_sort_block_sortIS3_PlS8_PS5_S9_ZN2at6native12_GLOBAL__N_124unique_dim_cuda_templateIlEESt5tupleIJNSA_6TensorESF_SF_EERKSF_lbbbEUlllE_EE10hipError_tT0_T1_T2_T3_mRjT4_P12ihipStream_tbNS1_7vsmem_tEEUlT_E_NS1_11comp_targetILNS1_3genE8ELNS1_11target_archE1030ELNS1_3gpuE2ELNS1_3repE0EEENS1_30default_config_static_selectorELNS0_4arch9wavefront6targetE0EEEvSM_
	.p2align	8
	.type	_ZN7rocprim17ROCPRIM_400000_NS6detail17trampoline_kernelINS0_14default_configENS1_37merge_sort_block_sort_config_selectorIlNS0_10empty_typeEEEZNS1_21merge_sort_block_sortIS3_PlS8_PS5_S9_ZN2at6native12_GLOBAL__N_124unique_dim_cuda_templateIlEESt5tupleIJNSA_6TensorESF_SF_EERKSF_lbbbEUlllE_EE10hipError_tT0_T1_T2_T3_mRjT4_P12ihipStream_tbNS1_7vsmem_tEEUlT_E_NS1_11comp_targetILNS1_3genE8ELNS1_11target_archE1030ELNS1_3gpuE2ELNS1_3repE0EEENS1_30default_config_static_selectorELNS0_4arch9wavefront6targetE0EEEvSM_,@function
_ZN7rocprim17ROCPRIM_400000_NS6detail17trampoline_kernelINS0_14default_configENS1_37merge_sort_block_sort_config_selectorIlNS0_10empty_typeEEEZNS1_21merge_sort_block_sortIS3_PlS8_PS5_S9_ZN2at6native12_GLOBAL__N_124unique_dim_cuda_templateIlEESt5tupleIJNSA_6TensorESF_SF_EERKSF_lbbbEUlllE_EE10hipError_tT0_T1_T2_T3_mRjT4_P12ihipStream_tbNS1_7vsmem_tEEUlT_E_NS1_11comp_targetILNS1_3genE8ELNS1_11target_archE1030ELNS1_3gpuE2ELNS1_3repE0EEENS1_30default_config_static_selectorELNS0_4arch9wavefront6targetE0EEEvSM_: ; @_ZN7rocprim17ROCPRIM_400000_NS6detail17trampoline_kernelINS0_14default_configENS1_37merge_sort_block_sort_config_selectorIlNS0_10empty_typeEEEZNS1_21merge_sort_block_sortIS3_PlS8_PS5_S9_ZN2at6native12_GLOBAL__N_124unique_dim_cuda_templateIlEESt5tupleIJNSA_6TensorESF_SF_EERKSF_lbbbEUlllE_EE10hipError_tT0_T1_T2_T3_mRjT4_P12ihipStream_tbNS1_7vsmem_tEEUlT_E_NS1_11comp_targetILNS1_3genE8ELNS1_11target_archE1030ELNS1_3gpuE2ELNS1_3repE0EEENS1_30default_config_static_selectorELNS0_4arch9wavefront6targetE0EEEvSM_
; %bb.0:
	.section	.rodata,"a",@progbits
	.p2align	6, 0x0
	.amdhsa_kernel _ZN7rocprim17ROCPRIM_400000_NS6detail17trampoline_kernelINS0_14default_configENS1_37merge_sort_block_sort_config_selectorIlNS0_10empty_typeEEEZNS1_21merge_sort_block_sortIS3_PlS8_PS5_S9_ZN2at6native12_GLOBAL__N_124unique_dim_cuda_templateIlEESt5tupleIJNSA_6TensorESF_SF_EERKSF_lbbbEUlllE_EE10hipError_tT0_T1_T2_T3_mRjT4_P12ihipStream_tbNS1_7vsmem_tEEUlT_E_NS1_11comp_targetILNS1_3genE8ELNS1_11target_archE1030ELNS1_3gpuE2ELNS1_3repE0EEENS1_30default_config_static_selectorELNS0_4arch9wavefront6targetE0EEEvSM_
		.amdhsa_group_segment_fixed_size 0
		.amdhsa_private_segment_fixed_size 0
		.amdhsa_kernarg_size 72
		.amdhsa_user_sgpr_count 2
		.amdhsa_user_sgpr_dispatch_ptr 0
		.amdhsa_user_sgpr_queue_ptr 0
		.amdhsa_user_sgpr_kernarg_segment_ptr 1
		.amdhsa_user_sgpr_dispatch_id 0
		.amdhsa_user_sgpr_kernarg_preload_length 0
		.amdhsa_user_sgpr_kernarg_preload_offset 0
		.amdhsa_user_sgpr_private_segment_size 0
		.amdhsa_wavefront_size32 1
		.amdhsa_uses_dynamic_stack 0
		.amdhsa_enable_private_segment 0
		.amdhsa_system_sgpr_workgroup_id_x 1
		.amdhsa_system_sgpr_workgroup_id_y 0
		.amdhsa_system_sgpr_workgroup_id_z 0
		.amdhsa_system_sgpr_workgroup_info 0
		.amdhsa_system_vgpr_workitem_id 0
		.amdhsa_next_free_vgpr 1
		.amdhsa_next_free_sgpr 1
		.amdhsa_named_barrier_count 0
		.amdhsa_reserve_vcc 0
		.amdhsa_float_round_mode_32 0
		.amdhsa_float_round_mode_16_64 0
		.amdhsa_float_denorm_mode_32 3
		.amdhsa_float_denorm_mode_16_64 3
		.amdhsa_fp16_overflow 0
		.amdhsa_memory_ordered 1
		.amdhsa_forward_progress 1
		.amdhsa_inst_pref_size 0
		.amdhsa_round_robin_scheduling 0
		.amdhsa_exception_fp_ieee_invalid_op 0
		.amdhsa_exception_fp_denorm_src 0
		.amdhsa_exception_fp_ieee_div_zero 0
		.amdhsa_exception_fp_ieee_overflow 0
		.amdhsa_exception_fp_ieee_underflow 0
		.amdhsa_exception_fp_ieee_inexact 0
		.amdhsa_exception_int_div_zero 0
	.end_amdhsa_kernel
	.section	.text._ZN7rocprim17ROCPRIM_400000_NS6detail17trampoline_kernelINS0_14default_configENS1_37merge_sort_block_sort_config_selectorIlNS0_10empty_typeEEEZNS1_21merge_sort_block_sortIS3_PlS8_PS5_S9_ZN2at6native12_GLOBAL__N_124unique_dim_cuda_templateIlEESt5tupleIJNSA_6TensorESF_SF_EERKSF_lbbbEUlllE_EE10hipError_tT0_T1_T2_T3_mRjT4_P12ihipStream_tbNS1_7vsmem_tEEUlT_E_NS1_11comp_targetILNS1_3genE8ELNS1_11target_archE1030ELNS1_3gpuE2ELNS1_3repE0EEENS1_30default_config_static_selectorELNS0_4arch9wavefront6targetE0EEEvSM_,"axG",@progbits,_ZN7rocprim17ROCPRIM_400000_NS6detail17trampoline_kernelINS0_14default_configENS1_37merge_sort_block_sort_config_selectorIlNS0_10empty_typeEEEZNS1_21merge_sort_block_sortIS3_PlS8_PS5_S9_ZN2at6native12_GLOBAL__N_124unique_dim_cuda_templateIlEESt5tupleIJNSA_6TensorESF_SF_EERKSF_lbbbEUlllE_EE10hipError_tT0_T1_T2_T3_mRjT4_P12ihipStream_tbNS1_7vsmem_tEEUlT_E_NS1_11comp_targetILNS1_3genE8ELNS1_11target_archE1030ELNS1_3gpuE2ELNS1_3repE0EEENS1_30default_config_static_selectorELNS0_4arch9wavefront6targetE0EEEvSM_,comdat
.Lfunc_end513:
	.size	_ZN7rocprim17ROCPRIM_400000_NS6detail17trampoline_kernelINS0_14default_configENS1_37merge_sort_block_sort_config_selectorIlNS0_10empty_typeEEEZNS1_21merge_sort_block_sortIS3_PlS8_PS5_S9_ZN2at6native12_GLOBAL__N_124unique_dim_cuda_templateIlEESt5tupleIJNSA_6TensorESF_SF_EERKSF_lbbbEUlllE_EE10hipError_tT0_T1_T2_T3_mRjT4_P12ihipStream_tbNS1_7vsmem_tEEUlT_E_NS1_11comp_targetILNS1_3genE8ELNS1_11target_archE1030ELNS1_3gpuE2ELNS1_3repE0EEENS1_30default_config_static_selectorELNS0_4arch9wavefront6targetE0EEEvSM_, .Lfunc_end513-_ZN7rocprim17ROCPRIM_400000_NS6detail17trampoline_kernelINS0_14default_configENS1_37merge_sort_block_sort_config_selectorIlNS0_10empty_typeEEEZNS1_21merge_sort_block_sortIS3_PlS8_PS5_S9_ZN2at6native12_GLOBAL__N_124unique_dim_cuda_templateIlEESt5tupleIJNSA_6TensorESF_SF_EERKSF_lbbbEUlllE_EE10hipError_tT0_T1_T2_T3_mRjT4_P12ihipStream_tbNS1_7vsmem_tEEUlT_E_NS1_11comp_targetILNS1_3genE8ELNS1_11target_archE1030ELNS1_3gpuE2ELNS1_3repE0EEENS1_30default_config_static_selectorELNS0_4arch9wavefront6targetE0EEEvSM_
                                        ; -- End function
	.set _ZN7rocprim17ROCPRIM_400000_NS6detail17trampoline_kernelINS0_14default_configENS1_37merge_sort_block_sort_config_selectorIlNS0_10empty_typeEEEZNS1_21merge_sort_block_sortIS3_PlS8_PS5_S9_ZN2at6native12_GLOBAL__N_124unique_dim_cuda_templateIlEESt5tupleIJNSA_6TensorESF_SF_EERKSF_lbbbEUlllE_EE10hipError_tT0_T1_T2_T3_mRjT4_P12ihipStream_tbNS1_7vsmem_tEEUlT_E_NS1_11comp_targetILNS1_3genE8ELNS1_11target_archE1030ELNS1_3gpuE2ELNS1_3repE0EEENS1_30default_config_static_selectorELNS0_4arch9wavefront6targetE0EEEvSM_.num_vgpr, 0
	.set _ZN7rocprim17ROCPRIM_400000_NS6detail17trampoline_kernelINS0_14default_configENS1_37merge_sort_block_sort_config_selectorIlNS0_10empty_typeEEEZNS1_21merge_sort_block_sortIS3_PlS8_PS5_S9_ZN2at6native12_GLOBAL__N_124unique_dim_cuda_templateIlEESt5tupleIJNSA_6TensorESF_SF_EERKSF_lbbbEUlllE_EE10hipError_tT0_T1_T2_T3_mRjT4_P12ihipStream_tbNS1_7vsmem_tEEUlT_E_NS1_11comp_targetILNS1_3genE8ELNS1_11target_archE1030ELNS1_3gpuE2ELNS1_3repE0EEENS1_30default_config_static_selectorELNS0_4arch9wavefront6targetE0EEEvSM_.num_agpr, 0
	.set _ZN7rocprim17ROCPRIM_400000_NS6detail17trampoline_kernelINS0_14default_configENS1_37merge_sort_block_sort_config_selectorIlNS0_10empty_typeEEEZNS1_21merge_sort_block_sortIS3_PlS8_PS5_S9_ZN2at6native12_GLOBAL__N_124unique_dim_cuda_templateIlEESt5tupleIJNSA_6TensorESF_SF_EERKSF_lbbbEUlllE_EE10hipError_tT0_T1_T2_T3_mRjT4_P12ihipStream_tbNS1_7vsmem_tEEUlT_E_NS1_11comp_targetILNS1_3genE8ELNS1_11target_archE1030ELNS1_3gpuE2ELNS1_3repE0EEENS1_30default_config_static_selectorELNS0_4arch9wavefront6targetE0EEEvSM_.numbered_sgpr, 0
	.set _ZN7rocprim17ROCPRIM_400000_NS6detail17trampoline_kernelINS0_14default_configENS1_37merge_sort_block_sort_config_selectorIlNS0_10empty_typeEEEZNS1_21merge_sort_block_sortIS3_PlS8_PS5_S9_ZN2at6native12_GLOBAL__N_124unique_dim_cuda_templateIlEESt5tupleIJNSA_6TensorESF_SF_EERKSF_lbbbEUlllE_EE10hipError_tT0_T1_T2_T3_mRjT4_P12ihipStream_tbNS1_7vsmem_tEEUlT_E_NS1_11comp_targetILNS1_3genE8ELNS1_11target_archE1030ELNS1_3gpuE2ELNS1_3repE0EEENS1_30default_config_static_selectorELNS0_4arch9wavefront6targetE0EEEvSM_.num_named_barrier, 0
	.set _ZN7rocprim17ROCPRIM_400000_NS6detail17trampoline_kernelINS0_14default_configENS1_37merge_sort_block_sort_config_selectorIlNS0_10empty_typeEEEZNS1_21merge_sort_block_sortIS3_PlS8_PS5_S9_ZN2at6native12_GLOBAL__N_124unique_dim_cuda_templateIlEESt5tupleIJNSA_6TensorESF_SF_EERKSF_lbbbEUlllE_EE10hipError_tT0_T1_T2_T3_mRjT4_P12ihipStream_tbNS1_7vsmem_tEEUlT_E_NS1_11comp_targetILNS1_3genE8ELNS1_11target_archE1030ELNS1_3gpuE2ELNS1_3repE0EEENS1_30default_config_static_selectorELNS0_4arch9wavefront6targetE0EEEvSM_.private_seg_size, 0
	.set _ZN7rocprim17ROCPRIM_400000_NS6detail17trampoline_kernelINS0_14default_configENS1_37merge_sort_block_sort_config_selectorIlNS0_10empty_typeEEEZNS1_21merge_sort_block_sortIS3_PlS8_PS5_S9_ZN2at6native12_GLOBAL__N_124unique_dim_cuda_templateIlEESt5tupleIJNSA_6TensorESF_SF_EERKSF_lbbbEUlllE_EE10hipError_tT0_T1_T2_T3_mRjT4_P12ihipStream_tbNS1_7vsmem_tEEUlT_E_NS1_11comp_targetILNS1_3genE8ELNS1_11target_archE1030ELNS1_3gpuE2ELNS1_3repE0EEENS1_30default_config_static_selectorELNS0_4arch9wavefront6targetE0EEEvSM_.uses_vcc, 0
	.set _ZN7rocprim17ROCPRIM_400000_NS6detail17trampoline_kernelINS0_14default_configENS1_37merge_sort_block_sort_config_selectorIlNS0_10empty_typeEEEZNS1_21merge_sort_block_sortIS3_PlS8_PS5_S9_ZN2at6native12_GLOBAL__N_124unique_dim_cuda_templateIlEESt5tupleIJNSA_6TensorESF_SF_EERKSF_lbbbEUlllE_EE10hipError_tT0_T1_T2_T3_mRjT4_P12ihipStream_tbNS1_7vsmem_tEEUlT_E_NS1_11comp_targetILNS1_3genE8ELNS1_11target_archE1030ELNS1_3gpuE2ELNS1_3repE0EEENS1_30default_config_static_selectorELNS0_4arch9wavefront6targetE0EEEvSM_.uses_flat_scratch, 0
	.set _ZN7rocprim17ROCPRIM_400000_NS6detail17trampoline_kernelINS0_14default_configENS1_37merge_sort_block_sort_config_selectorIlNS0_10empty_typeEEEZNS1_21merge_sort_block_sortIS3_PlS8_PS5_S9_ZN2at6native12_GLOBAL__N_124unique_dim_cuda_templateIlEESt5tupleIJNSA_6TensorESF_SF_EERKSF_lbbbEUlllE_EE10hipError_tT0_T1_T2_T3_mRjT4_P12ihipStream_tbNS1_7vsmem_tEEUlT_E_NS1_11comp_targetILNS1_3genE8ELNS1_11target_archE1030ELNS1_3gpuE2ELNS1_3repE0EEENS1_30default_config_static_selectorELNS0_4arch9wavefront6targetE0EEEvSM_.has_dyn_sized_stack, 0
	.set _ZN7rocprim17ROCPRIM_400000_NS6detail17trampoline_kernelINS0_14default_configENS1_37merge_sort_block_sort_config_selectorIlNS0_10empty_typeEEEZNS1_21merge_sort_block_sortIS3_PlS8_PS5_S9_ZN2at6native12_GLOBAL__N_124unique_dim_cuda_templateIlEESt5tupleIJNSA_6TensorESF_SF_EERKSF_lbbbEUlllE_EE10hipError_tT0_T1_T2_T3_mRjT4_P12ihipStream_tbNS1_7vsmem_tEEUlT_E_NS1_11comp_targetILNS1_3genE8ELNS1_11target_archE1030ELNS1_3gpuE2ELNS1_3repE0EEENS1_30default_config_static_selectorELNS0_4arch9wavefront6targetE0EEEvSM_.has_recursion, 0
	.set _ZN7rocprim17ROCPRIM_400000_NS6detail17trampoline_kernelINS0_14default_configENS1_37merge_sort_block_sort_config_selectorIlNS0_10empty_typeEEEZNS1_21merge_sort_block_sortIS3_PlS8_PS5_S9_ZN2at6native12_GLOBAL__N_124unique_dim_cuda_templateIlEESt5tupleIJNSA_6TensorESF_SF_EERKSF_lbbbEUlllE_EE10hipError_tT0_T1_T2_T3_mRjT4_P12ihipStream_tbNS1_7vsmem_tEEUlT_E_NS1_11comp_targetILNS1_3genE8ELNS1_11target_archE1030ELNS1_3gpuE2ELNS1_3repE0EEENS1_30default_config_static_selectorELNS0_4arch9wavefront6targetE0EEEvSM_.has_indirect_call, 0
	.section	.AMDGPU.csdata,"",@progbits
; Kernel info:
; codeLenInByte = 0
; TotalNumSgprs: 0
; NumVgprs: 0
; ScratchSize: 0
; MemoryBound: 0
; FloatMode: 240
; IeeeMode: 1
; LDSByteSize: 0 bytes/workgroup (compile time only)
; SGPRBlocks: 0
; VGPRBlocks: 0
; NumSGPRsForWavesPerEU: 1
; NumVGPRsForWavesPerEU: 1
; NamedBarCnt: 0
; Occupancy: 16
; WaveLimiterHint : 0
; COMPUTE_PGM_RSRC2:SCRATCH_EN: 0
; COMPUTE_PGM_RSRC2:USER_SGPR: 2
; COMPUTE_PGM_RSRC2:TRAP_HANDLER: 0
; COMPUTE_PGM_RSRC2:TGID_X_EN: 1
; COMPUTE_PGM_RSRC2:TGID_Y_EN: 0
; COMPUTE_PGM_RSRC2:TGID_Z_EN: 0
; COMPUTE_PGM_RSRC2:TIDIG_COMP_CNT: 0
	.section	.text._ZN7rocprim17ROCPRIM_400000_NS6detail17trampoline_kernelINS0_14default_configENS1_38merge_sort_block_merge_config_selectorIlNS0_10empty_typeEEEZZNS1_27merge_sort_block_merge_implIS3_PlPS5_mZN2at6native12_GLOBAL__N_124unique_dim_cuda_templateIlEESt5tupleIJNSA_6TensorESF_SF_EERKSF_lbbbEUlllE_EE10hipError_tT0_T1_T2_jT3_P12ihipStream_tbPNSt15iterator_traitsISL_E10value_typeEPNSR_ISM_E10value_typeEPSN_NS1_7vsmem_tEENKUlT_SL_SM_SN_E_clIS8_S8_S9_S9_EESK_S10_SL_SM_SN_EUlS10_E_NS1_11comp_targetILNS1_3genE0ELNS1_11target_archE4294967295ELNS1_3gpuE0ELNS1_3repE0EEENS1_48merge_mergepath_partition_config_static_selectorELNS0_4arch9wavefront6targetE0EEEvSM_,"axG",@progbits,_ZN7rocprim17ROCPRIM_400000_NS6detail17trampoline_kernelINS0_14default_configENS1_38merge_sort_block_merge_config_selectorIlNS0_10empty_typeEEEZZNS1_27merge_sort_block_merge_implIS3_PlPS5_mZN2at6native12_GLOBAL__N_124unique_dim_cuda_templateIlEESt5tupleIJNSA_6TensorESF_SF_EERKSF_lbbbEUlllE_EE10hipError_tT0_T1_T2_jT3_P12ihipStream_tbPNSt15iterator_traitsISL_E10value_typeEPNSR_ISM_E10value_typeEPSN_NS1_7vsmem_tEENKUlT_SL_SM_SN_E_clIS8_S8_S9_S9_EESK_S10_SL_SM_SN_EUlS10_E_NS1_11comp_targetILNS1_3genE0ELNS1_11target_archE4294967295ELNS1_3gpuE0ELNS1_3repE0EEENS1_48merge_mergepath_partition_config_static_selectorELNS0_4arch9wavefront6targetE0EEEvSM_,comdat
	.globl	_ZN7rocprim17ROCPRIM_400000_NS6detail17trampoline_kernelINS0_14default_configENS1_38merge_sort_block_merge_config_selectorIlNS0_10empty_typeEEEZZNS1_27merge_sort_block_merge_implIS3_PlPS5_mZN2at6native12_GLOBAL__N_124unique_dim_cuda_templateIlEESt5tupleIJNSA_6TensorESF_SF_EERKSF_lbbbEUlllE_EE10hipError_tT0_T1_T2_jT3_P12ihipStream_tbPNSt15iterator_traitsISL_E10value_typeEPNSR_ISM_E10value_typeEPSN_NS1_7vsmem_tEENKUlT_SL_SM_SN_E_clIS8_S8_S9_S9_EESK_S10_SL_SM_SN_EUlS10_E_NS1_11comp_targetILNS1_3genE0ELNS1_11target_archE4294967295ELNS1_3gpuE0ELNS1_3repE0EEENS1_48merge_mergepath_partition_config_static_selectorELNS0_4arch9wavefront6targetE0EEEvSM_ ; -- Begin function _ZN7rocprim17ROCPRIM_400000_NS6detail17trampoline_kernelINS0_14default_configENS1_38merge_sort_block_merge_config_selectorIlNS0_10empty_typeEEEZZNS1_27merge_sort_block_merge_implIS3_PlPS5_mZN2at6native12_GLOBAL__N_124unique_dim_cuda_templateIlEESt5tupleIJNSA_6TensorESF_SF_EERKSF_lbbbEUlllE_EE10hipError_tT0_T1_T2_jT3_P12ihipStream_tbPNSt15iterator_traitsISL_E10value_typeEPNSR_ISM_E10value_typeEPSN_NS1_7vsmem_tEENKUlT_SL_SM_SN_E_clIS8_S8_S9_S9_EESK_S10_SL_SM_SN_EUlS10_E_NS1_11comp_targetILNS1_3genE0ELNS1_11target_archE4294967295ELNS1_3gpuE0ELNS1_3repE0EEENS1_48merge_mergepath_partition_config_static_selectorELNS0_4arch9wavefront6targetE0EEEvSM_
	.p2align	8
	.type	_ZN7rocprim17ROCPRIM_400000_NS6detail17trampoline_kernelINS0_14default_configENS1_38merge_sort_block_merge_config_selectorIlNS0_10empty_typeEEEZZNS1_27merge_sort_block_merge_implIS3_PlPS5_mZN2at6native12_GLOBAL__N_124unique_dim_cuda_templateIlEESt5tupleIJNSA_6TensorESF_SF_EERKSF_lbbbEUlllE_EE10hipError_tT0_T1_T2_jT3_P12ihipStream_tbPNSt15iterator_traitsISL_E10value_typeEPNSR_ISM_E10value_typeEPSN_NS1_7vsmem_tEENKUlT_SL_SM_SN_E_clIS8_S8_S9_S9_EESK_S10_SL_SM_SN_EUlS10_E_NS1_11comp_targetILNS1_3genE0ELNS1_11target_archE4294967295ELNS1_3gpuE0ELNS1_3repE0EEENS1_48merge_mergepath_partition_config_static_selectorELNS0_4arch9wavefront6targetE0EEEvSM_,@function
_ZN7rocprim17ROCPRIM_400000_NS6detail17trampoline_kernelINS0_14default_configENS1_38merge_sort_block_merge_config_selectorIlNS0_10empty_typeEEEZZNS1_27merge_sort_block_merge_implIS3_PlPS5_mZN2at6native12_GLOBAL__N_124unique_dim_cuda_templateIlEESt5tupleIJNSA_6TensorESF_SF_EERKSF_lbbbEUlllE_EE10hipError_tT0_T1_T2_jT3_P12ihipStream_tbPNSt15iterator_traitsISL_E10value_typeEPNSR_ISM_E10value_typeEPSN_NS1_7vsmem_tEENKUlT_SL_SM_SN_E_clIS8_S8_S9_S9_EESK_S10_SL_SM_SN_EUlS10_E_NS1_11comp_targetILNS1_3genE0ELNS1_11target_archE4294967295ELNS1_3gpuE0ELNS1_3repE0EEENS1_48merge_mergepath_partition_config_static_selectorELNS0_4arch9wavefront6targetE0EEEvSM_: ; @_ZN7rocprim17ROCPRIM_400000_NS6detail17trampoline_kernelINS0_14default_configENS1_38merge_sort_block_merge_config_selectorIlNS0_10empty_typeEEEZZNS1_27merge_sort_block_merge_implIS3_PlPS5_mZN2at6native12_GLOBAL__N_124unique_dim_cuda_templateIlEESt5tupleIJNSA_6TensorESF_SF_EERKSF_lbbbEUlllE_EE10hipError_tT0_T1_T2_jT3_P12ihipStream_tbPNSt15iterator_traitsISL_E10value_typeEPNSR_ISM_E10value_typeEPSN_NS1_7vsmem_tEENKUlT_SL_SM_SN_E_clIS8_S8_S9_S9_EESK_S10_SL_SM_SN_EUlS10_E_NS1_11comp_targetILNS1_3genE0ELNS1_11target_archE4294967295ELNS1_3gpuE0ELNS1_3repE0EEENS1_48merge_mergepath_partition_config_static_selectorELNS0_4arch9wavefront6targetE0EEEvSM_
; %bb.0:
	s_load_b32 s2, s[0:1], 0x0
	s_bfe_u32 s3, ttmp6, 0x4000c
	s_and_b32 s4, ttmp6, 15
	s_add_co_i32 s3, s3, 1
	s_getreg_b32 s5, hwreg(HW_REG_IB_STS2, 6, 4)
	s_mul_i32 s3, ttmp9, s3
	s_delay_alu instid0(SALU_CYCLE_1) | instskip(SKIP_2) | instid1(SALU_CYCLE_1)
	s_add_co_i32 s4, s4, s3
	s_cmp_eq_u32 s5, 0
	s_cselect_b32 s3, ttmp9, s4
	v_lshl_or_b32 v16, s3, 7, v0
	s_wait_kmcnt 0x0
	s_delay_alu instid0(VALU_DEP_1)
	v_cmp_gt_u32_e32 vcc_lo, s2, v16
	s_and_saveexec_b32 s2, vcc_lo
	s_cbranch_execz .LBB514_12
; %bb.1:
	s_load_b128 s[4:7], s[0:1], 0x8
	s_wait_kmcnt 0x0
	s_lshr_b64 s[2:3], s[4:5], 9
	s_delay_alu instid0(SALU_CYCLE_1) | instskip(NEXT) | instid1(SALU_CYCLE_1)
	s_and_b32 s2, s2, -2
	s_sub_co_i32 s3, 0, s2
	s_delay_alu instid0(SALU_CYCLE_1) | instskip(SKIP_1) | instid1(VALU_DEP_1)
	v_dual_mov_b32 v3, 0 :: v_dual_bitop2_b32 v2, s3, v16 bitop3:0x40
	s_add_co_i32 s2, s2, -1
	v_lshlrev_b64_e32 v[0:1], 10, v[2:3]
	v_and_b32_e32 v2, s2, v16
	s_delay_alu instid0(VALU_DEP_1) | instskip(NEXT) | instid1(VALU_DEP_3)
	v_lshlrev_b64_e32 v[2:3], 10, v[2:3]
	v_add_nc_u64_e32 v[4:5], s[4:5], v[0:1]
	v_min_u64 v[0:1], s[6:7], v[0:1]
	s_delay_alu instid0(VALU_DEP_2) | instskip(NEXT) | instid1(VALU_DEP_1)
	v_min_u64 v[6:7], s[6:7], v[4:5]
	v_add_nc_u64_e32 v[4:5], s[4:5], v[6:7]
	s_delay_alu instid0(VALU_DEP_1) | instskip(SKIP_3) | instid1(VALU_DEP_1)
	v_min_u64 v[4:5], s[6:7], v[4:5]
	s_load_b256 s[4:11], s[0:1], 0x18
	s_wait_xcnt 0x0
	s_mov_b32 s1, exec_lo
	v_sub_nc_u64_e32 v[8:9], v[4:5], v[0:1]
	s_delay_alu instid0(VALU_DEP_1) | instskip(SKIP_2) | instid1(VALU_DEP_2)
	v_min_u64 v[8:9], v[8:9], v[2:3]
	v_sub_nc_u64_e32 v[2:3], v[4:5], v[6:7]
	v_sub_nc_u64_e32 v[4:5], v[6:7], v[0:1]
	v_max_u64 v[10:11], v[8:9], v[2:3]
	s_delay_alu instid0(VALU_DEP_2) | instskip(NEXT) | instid1(VALU_DEP_2)
	v_min_u64 v[4:5], v[8:9], v[4:5]
	v_sub_nc_u64_e32 v[2:3], v[10:11], v[2:3]
	s_delay_alu instid0(VALU_DEP_1)
	v_cmpx_lt_u64_e64 v[2:3], v[4:5]
	s_cbranch_execz .LBB514_11
; %bb.2:
	s_wait_kmcnt 0x0
	v_lshl_add_u64 v[10:11], v[6:7], 3, s[4:5]
	v_cmp_gt_i64_e64 s12, s[6:7], 0
	v_lshl_add_u64 v[6:7], v[0:1], 3, s[4:5]
	s_lshl_b64 s[2:3], s[6:7], 3
	s_mov_b32 s13, 0
	v_lshl_add_u64 v[8:9], v[8:9], 3, v[10:11]
	s_branch .LBB514_5
.LBB514_3:                              ;   in Loop: Header=BB514_5 Depth=1
	s_or_b32 exec_lo, exec_lo, s15
.LBB514_4:                              ;   in Loop: Header=BB514_5 Depth=1
	s_delay_alu instid0(VALU_DEP_1) | instskip(SKIP_1) | instid1(VALU_DEP_2)
	v_add_nc_u64_e32 v[12:13], 1, v[10:11]
	v_dual_cndmask_b32 v5, v5, v11, s14 :: v_dual_cndmask_b32 v4, v4, v10, s14
	v_dual_cndmask_b32 v3, v13, v3, s14 :: v_dual_cndmask_b32 v2, v12, v2, s14
	s_delay_alu instid0(VALU_DEP_1) | instskip(SKIP_1) | instid1(SALU_CYCLE_1)
	v_cmp_ge_u64_e32 vcc_lo, v[2:3], v[4:5]
	s_or_b32 s13, vcc_lo, s13
	s_and_not1_b32 exec_lo, exec_lo, s13
	s_cbranch_execz .LBB514_10
.LBB514_5:                              ; =>This Loop Header: Depth=1
                                        ;     Child Loop BB514_8 Depth 2
	v_add_nc_u64_e32 v[10:11], v[4:5], v[2:3]
	s_and_not1_b32 vcc_lo, exec_lo, s12
	s_mov_b32 s14, 0
	s_delay_alu instid0(VALU_DEP_1)
	v_lshrrev_b64 v[10:11], 1, v[10:11]
	s_cbranch_vccnz .LBB514_4
; %bb.6:                                ;   in Loop: Header=BB514_5 Depth=1
	s_delay_alu instid0(VALU_DEP_1) | instskip(NEXT) | instid1(VALU_DEP_2)
	v_not_b32_e32 v13, v11
	v_not_b32_e32 v12, v10
	v_lshl_add_u64 v[14:15], v[10:11], 3, v[6:7]
	s_mov_b32 s15, 0
	s_mov_b64 s[4:5], s[6:7]
                                        ; implicit-def: $sgpr14
                                        ; implicit-def: $sgpr16
                                        ; implicit-def: $sgpr17
                                        ; implicit-def: $sgpr18
	s_delay_alu instid0(VALU_DEP_2)
	v_lshl_add_u64 v[12:13], v[12:13], 3, v[8:9]
	s_clause 0x1
	global_load_b64 v[18:19], v[12:13], off
	global_load_b64 v[20:21], v[14:15], off
	s_wait_loadcnt 0x1
	s_wait_xcnt 0x1
	v_mad_nc_u64_u32 v[12:13], s2, v18, s[8:9]
	s_wait_loadcnt 0x0
	v_mad_nc_u64_u32 v[14:15], s2, v20, s[8:9]
	s_delay_alu instid0(VALU_DEP_2) | instskip(NEXT) | instid1(VALU_DEP_2)
	v_mad_u32 v13, s3, v18, v13
	v_mad_u32 v15, s3, v20, v15
	s_delay_alu instid0(VALU_DEP_2) | instskip(NEXT) | instid1(VALU_DEP_2)
	v_mad_u32 v13, s2, v19, v13
	v_mad_u32 v15, s2, v21, v15
	s_branch .LBB514_8
.LBB514_7:                              ;   in Loop: Header=BB514_8 Depth=2
	s_or_b32 exec_lo, exec_lo, s19
	s_delay_alu instid0(SALU_CYCLE_1) | instskip(NEXT) | instid1(SALU_CYCLE_1)
	s_and_b32 s19, exec_lo, s16
	s_or_b32 s15, s19, s15
	s_and_not1_b32 s18, s18, exec_lo
	s_and_b32 s0, s0, exec_lo
	s_and_not1_b32 s14, s14, exec_lo
	s_and_b32 s19, s17, exec_lo
	s_or_b32 s18, s18, s0
	s_or_b32 s14, s14, s19
	s_and_not1_b32 exec_lo, exec_lo, s15
	s_cbranch_execz .LBB514_3
.LBB514_8:                              ;   Parent Loop BB514_5 Depth=1
                                        ; =>  This Inner Loop Header: Depth=2
	global_load_b64 v[18:19], v[12:13], off
	global_load_b64 v[20:21], v[14:15], off
	s_and_not1_b32 s17, s17, exec_lo
	s_or_b32 s16, s16, exec_lo
	s_wait_loadcnt 0x0
	v_cmp_le_i64_e32 vcc_lo, v[18:19], v[20:21]
	v_cmp_lt_i64_e64 s0, v[18:19], v[20:21]
	s_and_b32 s19, vcc_lo, s18
	s_delay_alu instid0(SALU_CYCLE_1) | instskip(NEXT) | instid1(SALU_CYCLE_1)
	s_or_b32 s0, s0, s19
	s_and_b32 s19, s0, exec_lo
	s_delay_alu instid0(SALU_CYCLE_1)
	s_or_b32 s17, s17, s19
	s_mov_b32 s19, exec_lo
	v_cmpx_eq_u64_e64 v[18:19], v[20:21]
	s_cbranch_execz .LBB514_7
; %bb.9:                                ;   in Loop: Header=BB514_8 Depth=2
	s_add_nc_u64 s[4:5], s[4:5], -1
	v_add_nc_u64_e32 v[12:13], 8, v[12:13]
	s_cmp_eq_u64 s[4:5], 0
	v_add_nc_u64_e32 v[14:15], 8, v[14:15]
	s_cselect_b32 s18, -1, 0
	s_and_not1_b32 s16, s16, exec_lo
	s_and_b32 s18, s18, exec_lo
	s_and_not1_b32 s17, s17, exec_lo
	s_or_b32 s16, s16, s18
                                        ; implicit-def: $sgpr18
	s_branch .LBB514_7
.LBB514_10:
	s_or_b32 exec_lo, exec_lo, s13
.LBB514_11:
	s_delay_alu instid0(SALU_CYCLE_1)
	s_or_b32 exec_lo, exec_lo, s1
	v_add_nc_u64_e32 v[0:1], v[2:3], v[0:1]
	s_wait_kmcnt 0x0
	global_store_b64 v16, v[0:1], s[10:11] scale_offset
.LBB514_12:
	s_endpgm
	.section	.rodata,"a",@progbits
	.p2align	6, 0x0
	.amdhsa_kernel _ZN7rocprim17ROCPRIM_400000_NS6detail17trampoline_kernelINS0_14default_configENS1_38merge_sort_block_merge_config_selectorIlNS0_10empty_typeEEEZZNS1_27merge_sort_block_merge_implIS3_PlPS5_mZN2at6native12_GLOBAL__N_124unique_dim_cuda_templateIlEESt5tupleIJNSA_6TensorESF_SF_EERKSF_lbbbEUlllE_EE10hipError_tT0_T1_T2_jT3_P12ihipStream_tbPNSt15iterator_traitsISL_E10value_typeEPNSR_ISM_E10value_typeEPSN_NS1_7vsmem_tEENKUlT_SL_SM_SN_E_clIS8_S8_S9_S9_EESK_S10_SL_SM_SN_EUlS10_E_NS1_11comp_targetILNS1_3genE0ELNS1_11target_archE4294967295ELNS1_3gpuE0ELNS1_3repE0EEENS1_48merge_mergepath_partition_config_static_selectorELNS0_4arch9wavefront6targetE0EEEvSM_
		.amdhsa_group_segment_fixed_size 0
		.amdhsa_private_segment_fixed_size 0
		.amdhsa_kernarg_size 56
		.amdhsa_user_sgpr_count 2
		.amdhsa_user_sgpr_dispatch_ptr 0
		.amdhsa_user_sgpr_queue_ptr 0
		.amdhsa_user_sgpr_kernarg_segment_ptr 1
		.amdhsa_user_sgpr_dispatch_id 0
		.amdhsa_user_sgpr_kernarg_preload_length 0
		.amdhsa_user_sgpr_kernarg_preload_offset 0
		.amdhsa_user_sgpr_private_segment_size 0
		.amdhsa_wavefront_size32 1
		.amdhsa_uses_dynamic_stack 0
		.amdhsa_enable_private_segment 0
		.amdhsa_system_sgpr_workgroup_id_x 1
		.amdhsa_system_sgpr_workgroup_id_y 0
		.amdhsa_system_sgpr_workgroup_id_z 0
		.amdhsa_system_sgpr_workgroup_info 0
		.amdhsa_system_vgpr_workitem_id 0
		.amdhsa_next_free_vgpr 22
		.amdhsa_next_free_sgpr 20
		.amdhsa_named_barrier_count 0
		.amdhsa_reserve_vcc 1
		.amdhsa_float_round_mode_32 0
		.amdhsa_float_round_mode_16_64 0
		.amdhsa_float_denorm_mode_32 3
		.amdhsa_float_denorm_mode_16_64 3
		.amdhsa_fp16_overflow 0
		.amdhsa_memory_ordered 1
		.amdhsa_forward_progress 1
		.amdhsa_inst_pref_size 6
		.amdhsa_round_robin_scheduling 0
		.amdhsa_exception_fp_ieee_invalid_op 0
		.amdhsa_exception_fp_denorm_src 0
		.amdhsa_exception_fp_ieee_div_zero 0
		.amdhsa_exception_fp_ieee_overflow 0
		.amdhsa_exception_fp_ieee_underflow 0
		.amdhsa_exception_fp_ieee_inexact 0
		.amdhsa_exception_int_div_zero 0
	.end_amdhsa_kernel
	.section	.text._ZN7rocprim17ROCPRIM_400000_NS6detail17trampoline_kernelINS0_14default_configENS1_38merge_sort_block_merge_config_selectorIlNS0_10empty_typeEEEZZNS1_27merge_sort_block_merge_implIS3_PlPS5_mZN2at6native12_GLOBAL__N_124unique_dim_cuda_templateIlEESt5tupleIJNSA_6TensorESF_SF_EERKSF_lbbbEUlllE_EE10hipError_tT0_T1_T2_jT3_P12ihipStream_tbPNSt15iterator_traitsISL_E10value_typeEPNSR_ISM_E10value_typeEPSN_NS1_7vsmem_tEENKUlT_SL_SM_SN_E_clIS8_S8_S9_S9_EESK_S10_SL_SM_SN_EUlS10_E_NS1_11comp_targetILNS1_3genE0ELNS1_11target_archE4294967295ELNS1_3gpuE0ELNS1_3repE0EEENS1_48merge_mergepath_partition_config_static_selectorELNS0_4arch9wavefront6targetE0EEEvSM_,"axG",@progbits,_ZN7rocprim17ROCPRIM_400000_NS6detail17trampoline_kernelINS0_14default_configENS1_38merge_sort_block_merge_config_selectorIlNS0_10empty_typeEEEZZNS1_27merge_sort_block_merge_implIS3_PlPS5_mZN2at6native12_GLOBAL__N_124unique_dim_cuda_templateIlEESt5tupleIJNSA_6TensorESF_SF_EERKSF_lbbbEUlllE_EE10hipError_tT0_T1_T2_jT3_P12ihipStream_tbPNSt15iterator_traitsISL_E10value_typeEPNSR_ISM_E10value_typeEPSN_NS1_7vsmem_tEENKUlT_SL_SM_SN_E_clIS8_S8_S9_S9_EESK_S10_SL_SM_SN_EUlS10_E_NS1_11comp_targetILNS1_3genE0ELNS1_11target_archE4294967295ELNS1_3gpuE0ELNS1_3repE0EEENS1_48merge_mergepath_partition_config_static_selectorELNS0_4arch9wavefront6targetE0EEEvSM_,comdat
.Lfunc_end514:
	.size	_ZN7rocprim17ROCPRIM_400000_NS6detail17trampoline_kernelINS0_14default_configENS1_38merge_sort_block_merge_config_selectorIlNS0_10empty_typeEEEZZNS1_27merge_sort_block_merge_implIS3_PlPS5_mZN2at6native12_GLOBAL__N_124unique_dim_cuda_templateIlEESt5tupleIJNSA_6TensorESF_SF_EERKSF_lbbbEUlllE_EE10hipError_tT0_T1_T2_jT3_P12ihipStream_tbPNSt15iterator_traitsISL_E10value_typeEPNSR_ISM_E10value_typeEPSN_NS1_7vsmem_tEENKUlT_SL_SM_SN_E_clIS8_S8_S9_S9_EESK_S10_SL_SM_SN_EUlS10_E_NS1_11comp_targetILNS1_3genE0ELNS1_11target_archE4294967295ELNS1_3gpuE0ELNS1_3repE0EEENS1_48merge_mergepath_partition_config_static_selectorELNS0_4arch9wavefront6targetE0EEEvSM_, .Lfunc_end514-_ZN7rocprim17ROCPRIM_400000_NS6detail17trampoline_kernelINS0_14default_configENS1_38merge_sort_block_merge_config_selectorIlNS0_10empty_typeEEEZZNS1_27merge_sort_block_merge_implIS3_PlPS5_mZN2at6native12_GLOBAL__N_124unique_dim_cuda_templateIlEESt5tupleIJNSA_6TensorESF_SF_EERKSF_lbbbEUlllE_EE10hipError_tT0_T1_T2_jT3_P12ihipStream_tbPNSt15iterator_traitsISL_E10value_typeEPNSR_ISM_E10value_typeEPSN_NS1_7vsmem_tEENKUlT_SL_SM_SN_E_clIS8_S8_S9_S9_EESK_S10_SL_SM_SN_EUlS10_E_NS1_11comp_targetILNS1_3genE0ELNS1_11target_archE4294967295ELNS1_3gpuE0ELNS1_3repE0EEENS1_48merge_mergepath_partition_config_static_selectorELNS0_4arch9wavefront6targetE0EEEvSM_
                                        ; -- End function
	.set _ZN7rocprim17ROCPRIM_400000_NS6detail17trampoline_kernelINS0_14default_configENS1_38merge_sort_block_merge_config_selectorIlNS0_10empty_typeEEEZZNS1_27merge_sort_block_merge_implIS3_PlPS5_mZN2at6native12_GLOBAL__N_124unique_dim_cuda_templateIlEESt5tupleIJNSA_6TensorESF_SF_EERKSF_lbbbEUlllE_EE10hipError_tT0_T1_T2_jT3_P12ihipStream_tbPNSt15iterator_traitsISL_E10value_typeEPNSR_ISM_E10value_typeEPSN_NS1_7vsmem_tEENKUlT_SL_SM_SN_E_clIS8_S8_S9_S9_EESK_S10_SL_SM_SN_EUlS10_E_NS1_11comp_targetILNS1_3genE0ELNS1_11target_archE4294967295ELNS1_3gpuE0ELNS1_3repE0EEENS1_48merge_mergepath_partition_config_static_selectorELNS0_4arch9wavefront6targetE0EEEvSM_.num_vgpr, 22
	.set _ZN7rocprim17ROCPRIM_400000_NS6detail17trampoline_kernelINS0_14default_configENS1_38merge_sort_block_merge_config_selectorIlNS0_10empty_typeEEEZZNS1_27merge_sort_block_merge_implIS3_PlPS5_mZN2at6native12_GLOBAL__N_124unique_dim_cuda_templateIlEESt5tupleIJNSA_6TensorESF_SF_EERKSF_lbbbEUlllE_EE10hipError_tT0_T1_T2_jT3_P12ihipStream_tbPNSt15iterator_traitsISL_E10value_typeEPNSR_ISM_E10value_typeEPSN_NS1_7vsmem_tEENKUlT_SL_SM_SN_E_clIS8_S8_S9_S9_EESK_S10_SL_SM_SN_EUlS10_E_NS1_11comp_targetILNS1_3genE0ELNS1_11target_archE4294967295ELNS1_3gpuE0ELNS1_3repE0EEENS1_48merge_mergepath_partition_config_static_selectorELNS0_4arch9wavefront6targetE0EEEvSM_.num_agpr, 0
	.set _ZN7rocprim17ROCPRIM_400000_NS6detail17trampoline_kernelINS0_14default_configENS1_38merge_sort_block_merge_config_selectorIlNS0_10empty_typeEEEZZNS1_27merge_sort_block_merge_implIS3_PlPS5_mZN2at6native12_GLOBAL__N_124unique_dim_cuda_templateIlEESt5tupleIJNSA_6TensorESF_SF_EERKSF_lbbbEUlllE_EE10hipError_tT0_T1_T2_jT3_P12ihipStream_tbPNSt15iterator_traitsISL_E10value_typeEPNSR_ISM_E10value_typeEPSN_NS1_7vsmem_tEENKUlT_SL_SM_SN_E_clIS8_S8_S9_S9_EESK_S10_SL_SM_SN_EUlS10_E_NS1_11comp_targetILNS1_3genE0ELNS1_11target_archE4294967295ELNS1_3gpuE0ELNS1_3repE0EEENS1_48merge_mergepath_partition_config_static_selectorELNS0_4arch9wavefront6targetE0EEEvSM_.numbered_sgpr, 20
	.set _ZN7rocprim17ROCPRIM_400000_NS6detail17trampoline_kernelINS0_14default_configENS1_38merge_sort_block_merge_config_selectorIlNS0_10empty_typeEEEZZNS1_27merge_sort_block_merge_implIS3_PlPS5_mZN2at6native12_GLOBAL__N_124unique_dim_cuda_templateIlEESt5tupleIJNSA_6TensorESF_SF_EERKSF_lbbbEUlllE_EE10hipError_tT0_T1_T2_jT3_P12ihipStream_tbPNSt15iterator_traitsISL_E10value_typeEPNSR_ISM_E10value_typeEPSN_NS1_7vsmem_tEENKUlT_SL_SM_SN_E_clIS8_S8_S9_S9_EESK_S10_SL_SM_SN_EUlS10_E_NS1_11comp_targetILNS1_3genE0ELNS1_11target_archE4294967295ELNS1_3gpuE0ELNS1_3repE0EEENS1_48merge_mergepath_partition_config_static_selectorELNS0_4arch9wavefront6targetE0EEEvSM_.num_named_barrier, 0
	.set _ZN7rocprim17ROCPRIM_400000_NS6detail17trampoline_kernelINS0_14default_configENS1_38merge_sort_block_merge_config_selectorIlNS0_10empty_typeEEEZZNS1_27merge_sort_block_merge_implIS3_PlPS5_mZN2at6native12_GLOBAL__N_124unique_dim_cuda_templateIlEESt5tupleIJNSA_6TensorESF_SF_EERKSF_lbbbEUlllE_EE10hipError_tT0_T1_T2_jT3_P12ihipStream_tbPNSt15iterator_traitsISL_E10value_typeEPNSR_ISM_E10value_typeEPSN_NS1_7vsmem_tEENKUlT_SL_SM_SN_E_clIS8_S8_S9_S9_EESK_S10_SL_SM_SN_EUlS10_E_NS1_11comp_targetILNS1_3genE0ELNS1_11target_archE4294967295ELNS1_3gpuE0ELNS1_3repE0EEENS1_48merge_mergepath_partition_config_static_selectorELNS0_4arch9wavefront6targetE0EEEvSM_.private_seg_size, 0
	.set _ZN7rocprim17ROCPRIM_400000_NS6detail17trampoline_kernelINS0_14default_configENS1_38merge_sort_block_merge_config_selectorIlNS0_10empty_typeEEEZZNS1_27merge_sort_block_merge_implIS3_PlPS5_mZN2at6native12_GLOBAL__N_124unique_dim_cuda_templateIlEESt5tupleIJNSA_6TensorESF_SF_EERKSF_lbbbEUlllE_EE10hipError_tT0_T1_T2_jT3_P12ihipStream_tbPNSt15iterator_traitsISL_E10value_typeEPNSR_ISM_E10value_typeEPSN_NS1_7vsmem_tEENKUlT_SL_SM_SN_E_clIS8_S8_S9_S9_EESK_S10_SL_SM_SN_EUlS10_E_NS1_11comp_targetILNS1_3genE0ELNS1_11target_archE4294967295ELNS1_3gpuE0ELNS1_3repE0EEENS1_48merge_mergepath_partition_config_static_selectorELNS0_4arch9wavefront6targetE0EEEvSM_.uses_vcc, 1
	.set _ZN7rocprim17ROCPRIM_400000_NS6detail17trampoline_kernelINS0_14default_configENS1_38merge_sort_block_merge_config_selectorIlNS0_10empty_typeEEEZZNS1_27merge_sort_block_merge_implIS3_PlPS5_mZN2at6native12_GLOBAL__N_124unique_dim_cuda_templateIlEESt5tupleIJNSA_6TensorESF_SF_EERKSF_lbbbEUlllE_EE10hipError_tT0_T1_T2_jT3_P12ihipStream_tbPNSt15iterator_traitsISL_E10value_typeEPNSR_ISM_E10value_typeEPSN_NS1_7vsmem_tEENKUlT_SL_SM_SN_E_clIS8_S8_S9_S9_EESK_S10_SL_SM_SN_EUlS10_E_NS1_11comp_targetILNS1_3genE0ELNS1_11target_archE4294967295ELNS1_3gpuE0ELNS1_3repE0EEENS1_48merge_mergepath_partition_config_static_selectorELNS0_4arch9wavefront6targetE0EEEvSM_.uses_flat_scratch, 0
	.set _ZN7rocprim17ROCPRIM_400000_NS6detail17trampoline_kernelINS0_14default_configENS1_38merge_sort_block_merge_config_selectorIlNS0_10empty_typeEEEZZNS1_27merge_sort_block_merge_implIS3_PlPS5_mZN2at6native12_GLOBAL__N_124unique_dim_cuda_templateIlEESt5tupleIJNSA_6TensorESF_SF_EERKSF_lbbbEUlllE_EE10hipError_tT0_T1_T2_jT3_P12ihipStream_tbPNSt15iterator_traitsISL_E10value_typeEPNSR_ISM_E10value_typeEPSN_NS1_7vsmem_tEENKUlT_SL_SM_SN_E_clIS8_S8_S9_S9_EESK_S10_SL_SM_SN_EUlS10_E_NS1_11comp_targetILNS1_3genE0ELNS1_11target_archE4294967295ELNS1_3gpuE0ELNS1_3repE0EEENS1_48merge_mergepath_partition_config_static_selectorELNS0_4arch9wavefront6targetE0EEEvSM_.has_dyn_sized_stack, 0
	.set _ZN7rocprim17ROCPRIM_400000_NS6detail17trampoline_kernelINS0_14default_configENS1_38merge_sort_block_merge_config_selectorIlNS0_10empty_typeEEEZZNS1_27merge_sort_block_merge_implIS3_PlPS5_mZN2at6native12_GLOBAL__N_124unique_dim_cuda_templateIlEESt5tupleIJNSA_6TensorESF_SF_EERKSF_lbbbEUlllE_EE10hipError_tT0_T1_T2_jT3_P12ihipStream_tbPNSt15iterator_traitsISL_E10value_typeEPNSR_ISM_E10value_typeEPSN_NS1_7vsmem_tEENKUlT_SL_SM_SN_E_clIS8_S8_S9_S9_EESK_S10_SL_SM_SN_EUlS10_E_NS1_11comp_targetILNS1_3genE0ELNS1_11target_archE4294967295ELNS1_3gpuE0ELNS1_3repE0EEENS1_48merge_mergepath_partition_config_static_selectorELNS0_4arch9wavefront6targetE0EEEvSM_.has_recursion, 0
	.set _ZN7rocprim17ROCPRIM_400000_NS6detail17trampoline_kernelINS0_14default_configENS1_38merge_sort_block_merge_config_selectorIlNS0_10empty_typeEEEZZNS1_27merge_sort_block_merge_implIS3_PlPS5_mZN2at6native12_GLOBAL__N_124unique_dim_cuda_templateIlEESt5tupleIJNSA_6TensorESF_SF_EERKSF_lbbbEUlllE_EE10hipError_tT0_T1_T2_jT3_P12ihipStream_tbPNSt15iterator_traitsISL_E10value_typeEPNSR_ISM_E10value_typeEPSN_NS1_7vsmem_tEENKUlT_SL_SM_SN_E_clIS8_S8_S9_S9_EESK_S10_SL_SM_SN_EUlS10_E_NS1_11comp_targetILNS1_3genE0ELNS1_11target_archE4294967295ELNS1_3gpuE0ELNS1_3repE0EEENS1_48merge_mergepath_partition_config_static_selectorELNS0_4arch9wavefront6targetE0EEEvSM_.has_indirect_call, 0
	.section	.AMDGPU.csdata,"",@progbits
; Kernel info:
; codeLenInByte = 744
; TotalNumSgprs: 22
; NumVgprs: 22
; ScratchSize: 0
; MemoryBound: 0
; FloatMode: 240
; IeeeMode: 1
; LDSByteSize: 0 bytes/workgroup (compile time only)
; SGPRBlocks: 0
; VGPRBlocks: 1
; NumSGPRsForWavesPerEU: 22
; NumVGPRsForWavesPerEU: 22
; NamedBarCnt: 0
; Occupancy: 16
; WaveLimiterHint : 0
; COMPUTE_PGM_RSRC2:SCRATCH_EN: 0
; COMPUTE_PGM_RSRC2:USER_SGPR: 2
; COMPUTE_PGM_RSRC2:TRAP_HANDLER: 0
; COMPUTE_PGM_RSRC2:TGID_X_EN: 1
; COMPUTE_PGM_RSRC2:TGID_Y_EN: 0
; COMPUTE_PGM_RSRC2:TGID_Z_EN: 0
; COMPUTE_PGM_RSRC2:TIDIG_COMP_CNT: 0
	.section	.text._ZN7rocprim17ROCPRIM_400000_NS6detail17trampoline_kernelINS0_14default_configENS1_38merge_sort_block_merge_config_selectorIlNS0_10empty_typeEEEZZNS1_27merge_sort_block_merge_implIS3_PlPS5_mZN2at6native12_GLOBAL__N_124unique_dim_cuda_templateIlEESt5tupleIJNSA_6TensorESF_SF_EERKSF_lbbbEUlllE_EE10hipError_tT0_T1_T2_jT3_P12ihipStream_tbPNSt15iterator_traitsISL_E10value_typeEPNSR_ISM_E10value_typeEPSN_NS1_7vsmem_tEENKUlT_SL_SM_SN_E_clIS8_S8_S9_S9_EESK_S10_SL_SM_SN_EUlS10_E_NS1_11comp_targetILNS1_3genE10ELNS1_11target_archE1201ELNS1_3gpuE5ELNS1_3repE0EEENS1_48merge_mergepath_partition_config_static_selectorELNS0_4arch9wavefront6targetE0EEEvSM_,"axG",@progbits,_ZN7rocprim17ROCPRIM_400000_NS6detail17trampoline_kernelINS0_14default_configENS1_38merge_sort_block_merge_config_selectorIlNS0_10empty_typeEEEZZNS1_27merge_sort_block_merge_implIS3_PlPS5_mZN2at6native12_GLOBAL__N_124unique_dim_cuda_templateIlEESt5tupleIJNSA_6TensorESF_SF_EERKSF_lbbbEUlllE_EE10hipError_tT0_T1_T2_jT3_P12ihipStream_tbPNSt15iterator_traitsISL_E10value_typeEPNSR_ISM_E10value_typeEPSN_NS1_7vsmem_tEENKUlT_SL_SM_SN_E_clIS8_S8_S9_S9_EESK_S10_SL_SM_SN_EUlS10_E_NS1_11comp_targetILNS1_3genE10ELNS1_11target_archE1201ELNS1_3gpuE5ELNS1_3repE0EEENS1_48merge_mergepath_partition_config_static_selectorELNS0_4arch9wavefront6targetE0EEEvSM_,comdat
	.globl	_ZN7rocprim17ROCPRIM_400000_NS6detail17trampoline_kernelINS0_14default_configENS1_38merge_sort_block_merge_config_selectorIlNS0_10empty_typeEEEZZNS1_27merge_sort_block_merge_implIS3_PlPS5_mZN2at6native12_GLOBAL__N_124unique_dim_cuda_templateIlEESt5tupleIJNSA_6TensorESF_SF_EERKSF_lbbbEUlllE_EE10hipError_tT0_T1_T2_jT3_P12ihipStream_tbPNSt15iterator_traitsISL_E10value_typeEPNSR_ISM_E10value_typeEPSN_NS1_7vsmem_tEENKUlT_SL_SM_SN_E_clIS8_S8_S9_S9_EESK_S10_SL_SM_SN_EUlS10_E_NS1_11comp_targetILNS1_3genE10ELNS1_11target_archE1201ELNS1_3gpuE5ELNS1_3repE0EEENS1_48merge_mergepath_partition_config_static_selectorELNS0_4arch9wavefront6targetE0EEEvSM_ ; -- Begin function _ZN7rocprim17ROCPRIM_400000_NS6detail17trampoline_kernelINS0_14default_configENS1_38merge_sort_block_merge_config_selectorIlNS0_10empty_typeEEEZZNS1_27merge_sort_block_merge_implIS3_PlPS5_mZN2at6native12_GLOBAL__N_124unique_dim_cuda_templateIlEESt5tupleIJNSA_6TensorESF_SF_EERKSF_lbbbEUlllE_EE10hipError_tT0_T1_T2_jT3_P12ihipStream_tbPNSt15iterator_traitsISL_E10value_typeEPNSR_ISM_E10value_typeEPSN_NS1_7vsmem_tEENKUlT_SL_SM_SN_E_clIS8_S8_S9_S9_EESK_S10_SL_SM_SN_EUlS10_E_NS1_11comp_targetILNS1_3genE10ELNS1_11target_archE1201ELNS1_3gpuE5ELNS1_3repE0EEENS1_48merge_mergepath_partition_config_static_selectorELNS0_4arch9wavefront6targetE0EEEvSM_
	.p2align	8
	.type	_ZN7rocprim17ROCPRIM_400000_NS6detail17trampoline_kernelINS0_14default_configENS1_38merge_sort_block_merge_config_selectorIlNS0_10empty_typeEEEZZNS1_27merge_sort_block_merge_implIS3_PlPS5_mZN2at6native12_GLOBAL__N_124unique_dim_cuda_templateIlEESt5tupleIJNSA_6TensorESF_SF_EERKSF_lbbbEUlllE_EE10hipError_tT0_T1_T2_jT3_P12ihipStream_tbPNSt15iterator_traitsISL_E10value_typeEPNSR_ISM_E10value_typeEPSN_NS1_7vsmem_tEENKUlT_SL_SM_SN_E_clIS8_S8_S9_S9_EESK_S10_SL_SM_SN_EUlS10_E_NS1_11comp_targetILNS1_3genE10ELNS1_11target_archE1201ELNS1_3gpuE5ELNS1_3repE0EEENS1_48merge_mergepath_partition_config_static_selectorELNS0_4arch9wavefront6targetE0EEEvSM_,@function
_ZN7rocprim17ROCPRIM_400000_NS6detail17trampoline_kernelINS0_14default_configENS1_38merge_sort_block_merge_config_selectorIlNS0_10empty_typeEEEZZNS1_27merge_sort_block_merge_implIS3_PlPS5_mZN2at6native12_GLOBAL__N_124unique_dim_cuda_templateIlEESt5tupleIJNSA_6TensorESF_SF_EERKSF_lbbbEUlllE_EE10hipError_tT0_T1_T2_jT3_P12ihipStream_tbPNSt15iterator_traitsISL_E10value_typeEPNSR_ISM_E10value_typeEPSN_NS1_7vsmem_tEENKUlT_SL_SM_SN_E_clIS8_S8_S9_S9_EESK_S10_SL_SM_SN_EUlS10_E_NS1_11comp_targetILNS1_3genE10ELNS1_11target_archE1201ELNS1_3gpuE5ELNS1_3repE0EEENS1_48merge_mergepath_partition_config_static_selectorELNS0_4arch9wavefront6targetE0EEEvSM_: ; @_ZN7rocprim17ROCPRIM_400000_NS6detail17trampoline_kernelINS0_14default_configENS1_38merge_sort_block_merge_config_selectorIlNS0_10empty_typeEEEZZNS1_27merge_sort_block_merge_implIS3_PlPS5_mZN2at6native12_GLOBAL__N_124unique_dim_cuda_templateIlEESt5tupleIJNSA_6TensorESF_SF_EERKSF_lbbbEUlllE_EE10hipError_tT0_T1_T2_jT3_P12ihipStream_tbPNSt15iterator_traitsISL_E10value_typeEPNSR_ISM_E10value_typeEPSN_NS1_7vsmem_tEENKUlT_SL_SM_SN_E_clIS8_S8_S9_S9_EESK_S10_SL_SM_SN_EUlS10_E_NS1_11comp_targetILNS1_3genE10ELNS1_11target_archE1201ELNS1_3gpuE5ELNS1_3repE0EEENS1_48merge_mergepath_partition_config_static_selectorELNS0_4arch9wavefront6targetE0EEEvSM_
; %bb.0:
	.section	.rodata,"a",@progbits
	.p2align	6, 0x0
	.amdhsa_kernel _ZN7rocprim17ROCPRIM_400000_NS6detail17trampoline_kernelINS0_14default_configENS1_38merge_sort_block_merge_config_selectorIlNS0_10empty_typeEEEZZNS1_27merge_sort_block_merge_implIS3_PlPS5_mZN2at6native12_GLOBAL__N_124unique_dim_cuda_templateIlEESt5tupleIJNSA_6TensorESF_SF_EERKSF_lbbbEUlllE_EE10hipError_tT0_T1_T2_jT3_P12ihipStream_tbPNSt15iterator_traitsISL_E10value_typeEPNSR_ISM_E10value_typeEPSN_NS1_7vsmem_tEENKUlT_SL_SM_SN_E_clIS8_S8_S9_S9_EESK_S10_SL_SM_SN_EUlS10_E_NS1_11comp_targetILNS1_3genE10ELNS1_11target_archE1201ELNS1_3gpuE5ELNS1_3repE0EEENS1_48merge_mergepath_partition_config_static_selectorELNS0_4arch9wavefront6targetE0EEEvSM_
		.amdhsa_group_segment_fixed_size 0
		.amdhsa_private_segment_fixed_size 0
		.amdhsa_kernarg_size 56
		.amdhsa_user_sgpr_count 2
		.amdhsa_user_sgpr_dispatch_ptr 0
		.amdhsa_user_sgpr_queue_ptr 0
		.amdhsa_user_sgpr_kernarg_segment_ptr 1
		.amdhsa_user_sgpr_dispatch_id 0
		.amdhsa_user_sgpr_kernarg_preload_length 0
		.amdhsa_user_sgpr_kernarg_preload_offset 0
		.amdhsa_user_sgpr_private_segment_size 0
		.amdhsa_wavefront_size32 1
		.amdhsa_uses_dynamic_stack 0
		.amdhsa_enable_private_segment 0
		.amdhsa_system_sgpr_workgroup_id_x 1
		.amdhsa_system_sgpr_workgroup_id_y 0
		.amdhsa_system_sgpr_workgroup_id_z 0
		.amdhsa_system_sgpr_workgroup_info 0
		.amdhsa_system_vgpr_workitem_id 0
		.amdhsa_next_free_vgpr 1
		.amdhsa_next_free_sgpr 1
		.amdhsa_named_barrier_count 0
		.amdhsa_reserve_vcc 0
		.amdhsa_float_round_mode_32 0
		.amdhsa_float_round_mode_16_64 0
		.amdhsa_float_denorm_mode_32 3
		.amdhsa_float_denorm_mode_16_64 3
		.amdhsa_fp16_overflow 0
		.amdhsa_memory_ordered 1
		.amdhsa_forward_progress 1
		.amdhsa_inst_pref_size 0
		.amdhsa_round_robin_scheduling 0
		.amdhsa_exception_fp_ieee_invalid_op 0
		.amdhsa_exception_fp_denorm_src 0
		.amdhsa_exception_fp_ieee_div_zero 0
		.amdhsa_exception_fp_ieee_overflow 0
		.amdhsa_exception_fp_ieee_underflow 0
		.amdhsa_exception_fp_ieee_inexact 0
		.amdhsa_exception_int_div_zero 0
	.end_amdhsa_kernel
	.section	.text._ZN7rocprim17ROCPRIM_400000_NS6detail17trampoline_kernelINS0_14default_configENS1_38merge_sort_block_merge_config_selectorIlNS0_10empty_typeEEEZZNS1_27merge_sort_block_merge_implIS3_PlPS5_mZN2at6native12_GLOBAL__N_124unique_dim_cuda_templateIlEESt5tupleIJNSA_6TensorESF_SF_EERKSF_lbbbEUlllE_EE10hipError_tT0_T1_T2_jT3_P12ihipStream_tbPNSt15iterator_traitsISL_E10value_typeEPNSR_ISM_E10value_typeEPSN_NS1_7vsmem_tEENKUlT_SL_SM_SN_E_clIS8_S8_S9_S9_EESK_S10_SL_SM_SN_EUlS10_E_NS1_11comp_targetILNS1_3genE10ELNS1_11target_archE1201ELNS1_3gpuE5ELNS1_3repE0EEENS1_48merge_mergepath_partition_config_static_selectorELNS0_4arch9wavefront6targetE0EEEvSM_,"axG",@progbits,_ZN7rocprim17ROCPRIM_400000_NS6detail17trampoline_kernelINS0_14default_configENS1_38merge_sort_block_merge_config_selectorIlNS0_10empty_typeEEEZZNS1_27merge_sort_block_merge_implIS3_PlPS5_mZN2at6native12_GLOBAL__N_124unique_dim_cuda_templateIlEESt5tupleIJNSA_6TensorESF_SF_EERKSF_lbbbEUlllE_EE10hipError_tT0_T1_T2_jT3_P12ihipStream_tbPNSt15iterator_traitsISL_E10value_typeEPNSR_ISM_E10value_typeEPSN_NS1_7vsmem_tEENKUlT_SL_SM_SN_E_clIS8_S8_S9_S9_EESK_S10_SL_SM_SN_EUlS10_E_NS1_11comp_targetILNS1_3genE10ELNS1_11target_archE1201ELNS1_3gpuE5ELNS1_3repE0EEENS1_48merge_mergepath_partition_config_static_selectorELNS0_4arch9wavefront6targetE0EEEvSM_,comdat
.Lfunc_end515:
	.size	_ZN7rocprim17ROCPRIM_400000_NS6detail17trampoline_kernelINS0_14default_configENS1_38merge_sort_block_merge_config_selectorIlNS0_10empty_typeEEEZZNS1_27merge_sort_block_merge_implIS3_PlPS5_mZN2at6native12_GLOBAL__N_124unique_dim_cuda_templateIlEESt5tupleIJNSA_6TensorESF_SF_EERKSF_lbbbEUlllE_EE10hipError_tT0_T1_T2_jT3_P12ihipStream_tbPNSt15iterator_traitsISL_E10value_typeEPNSR_ISM_E10value_typeEPSN_NS1_7vsmem_tEENKUlT_SL_SM_SN_E_clIS8_S8_S9_S9_EESK_S10_SL_SM_SN_EUlS10_E_NS1_11comp_targetILNS1_3genE10ELNS1_11target_archE1201ELNS1_3gpuE5ELNS1_3repE0EEENS1_48merge_mergepath_partition_config_static_selectorELNS0_4arch9wavefront6targetE0EEEvSM_, .Lfunc_end515-_ZN7rocprim17ROCPRIM_400000_NS6detail17trampoline_kernelINS0_14default_configENS1_38merge_sort_block_merge_config_selectorIlNS0_10empty_typeEEEZZNS1_27merge_sort_block_merge_implIS3_PlPS5_mZN2at6native12_GLOBAL__N_124unique_dim_cuda_templateIlEESt5tupleIJNSA_6TensorESF_SF_EERKSF_lbbbEUlllE_EE10hipError_tT0_T1_T2_jT3_P12ihipStream_tbPNSt15iterator_traitsISL_E10value_typeEPNSR_ISM_E10value_typeEPSN_NS1_7vsmem_tEENKUlT_SL_SM_SN_E_clIS8_S8_S9_S9_EESK_S10_SL_SM_SN_EUlS10_E_NS1_11comp_targetILNS1_3genE10ELNS1_11target_archE1201ELNS1_3gpuE5ELNS1_3repE0EEENS1_48merge_mergepath_partition_config_static_selectorELNS0_4arch9wavefront6targetE0EEEvSM_
                                        ; -- End function
	.set _ZN7rocprim17ROCPRIM_400000_NS6detail17trampoline_kernelINS0_14default_configENS1_38merge_sort_block_merge_config_selectorIlNS0_10empty_typeEEEZZNS1_27merge_sort_block_merge_implIS3_PlPS5_mZN2at6native12_GLOBAL__N_124unique_dim_cuda_templateIlEESt5tupleIJNSA_6TensorESF_SF_EERKSF_lbbbEUlllE_EE10hipError_tT0_T1_T2_jT3_P12ihipStream_tbPNSt15iterator_traitsISL_E10value_typeEPNSR_ISM_E10value_typeEPSN_NS1_7vsmem_tEENKUlT_SL_SM_SN_E_clIS8_S8_S9_S9_EESK_S10_SL_SM_SN_EUlS10_E_NS1_11comp_targetILNS1_3genE10ELNS1_11target_archE1201ELNS1_3gpuE5ELNS1_3repE0EEENS1_48merge_mergepath_partition_config_static_selectorELNS0_4arch9wavefront6targetE0EEEvSM_.num_vgpr, 0
	.set _ZN7rocprim17ROCPRIM_400000_NS6detail17trampoline_kernelINS0_14default_configENS1_38merge_sort_block_merge_config_selectorIlNS0_10empty_typeEEEZZNS1_27merge_sort_block_merge_implIS3_PlPS5_mZN2at6native12_GLOBAL__N_124unique_dim_cuda_templateIlEESt5tupleIJNSA_6TensorESF_SF_EERKSF_lbbbEUlllE_EE10hipError_tT0_T1_T2_jT3_P12ihipStream_tbPNSt15iterator_traitsISL_E10value_typeEPNSR_ISM_E10value_typeEPSN_NS1_7vsmem_tEENKUlT_SL_SM_SN_E_clIS8_S8_S9_S9_EESK_S10_SL_SM_SN_EUlS10_E_NS1_11comp_targetILNS1_3genE10ELNS1_11target_archE1201ELNS1_3gpuE5ELNS1_3repE0EEENS1_48merge_mergepath_partition_config_static_selectorELNS0_4arch9wavefront6targetE0EEEvSM_.num_agpr, 0
	.set _ZN7rocprim17ROCPRIM_400000_NS6detail17trampoline_kernelINS0_14default_configENS1_38merge_sort_block_merge_config_selectorIlNS0_10empty_typeEEEZZNS1_27merge_sort_block_merge_implIS3_PlPS5_mZN2at6native12_GLOBAL__N_124unique_dim_cuda_templateIlEESt5tupleIJNSA_6TensorESF_SF_EERKSF_lbbbEUlllE_EE10hipError_tT0_T1_T2_jT3_P12ihipStream_tbPNSt15iterator_traitsISL_E10value_typeEPNSR_ISM_E10value_typeEPSN_NS1_7vsmem_tEENKUlT_SL_SM_SN_E_clIS8_S8_S9_S9_EESK_S10_SL_SM_SN_EUlS10_E_NS1_11comp_targetILNS1_3genE10ELNS1_11target_archE1201ELNS1_3gpuE5ELNS1_3repE0EEENS1_48merge_mergepath_partition_config_static_selectorELNS0_4arch9wavefront6targetE0EEEvSM_.numbered_sgpr, 0
	.set _ZN7rocprim17ROCPRIM_400000_NS6detail17trampoline_kernelINS0_14default_configENS1_38merge_sort_block_merge_config_selectorIlNS0_10empty_typeEEEZZNS1_27merge_sort_block_merge_implIS3_PlPS5_mZN2at6native12_GLOBAL__N_124unique_dim_cuda_templateIlEESt5tupleIJNSA_6TensorESF_SF_EERKSF_lbbbEUlllE_EE10hipError_tT0_T1_T2_jT3_P12ihipStream_tbPNSt15iterator_traitsISL_E10value_typeEPNSR_ISM_E10value_typeEPSN_NS1_7vsmem_tEENKUlT_SL_SM_SN_E_clIS8_S8_S9_S9_EESK_S10_SL_SM_SN_EUlS10_E_NS1_11comp_targetILNS1_3genE10ELNS1_11target_archE1201ELNS1_3gpuE5ELNS1_3repE0EEENS1_48merge_mergepath_partition_config_static_selectorELNS0_4arch9wavefront6targetE0EEEvSM_.num_named_barrier, 0
	.set _ZN7rocprim17ROCPRIM_400000_NS6detail17trampoline_kernelINS0_14default_configENS1_38merge_sort_block_merge_config_selectorIlNS0_10empty_typeEEEZZNS1_27merge_sort_block_merge_implIS3_PlPS5_mZN2at6native12_GLOBAL__N_124unique_dim_cuda_templateIlEESt5tupleIJNSA_6TensorESF_SF_EERKSF_lbbbEUlllE_EE10hipError_tT0_T1_T2_jT3_P12ihipStream_tbPNSt15iterator_traitsISL_E10value_typeEPNSR_ISM_E10value_typeEPSN_NS1_7vsmem_tEENKUlT_SL_SM_SN_E_clIS8_S8_S9_S9_EESK_S10_SL_SM_SN_EUlS10_E_NS1_11comp_targetILNS1_3genE10ELNS1_11target_archE1201ELNS1_3gpuE5ELNS1_3repE0EEENS1_48merge_mergepath_partition_config_static_selectorELNS0_4arch9wavefront6targetE0EEEvSM_.private_seg_size, 0
	.set _ZN7rocprim17ROCPRIM_400000_NS6detail17trampoline_kernelINS0_14default_configENS1_38merge_sort_block_merge_config_selectorIlNS0_10empty_typeEEEZZNS1_27merge_sort_block_merge_implIS3_PlPS5_mZN2at6native12_GLOBAL__N_124unique_dim_cuda_templateIlEESt5tupleIJNSA_6TensorESF_SF_EERKSF_lbbbEUlllE_EE10hipError_tT0_T1_T2_jT3_P12ihipStream_tbPNSt15iterator_traitsISL_E10value_typeEPNSR_ISM_E10value_typeEPSN_NS1_7vsmem_tEENKUlT_SL_SM_SN_E_clIS8_S8_S9_S9_EESK_S10_SL_SM_SN_EUlS10_E_NS1_11comp_targetILNS1_3genE10ELNS1_11target_archE1201ELNS1_3gpuE5ELNS1_3repE0EEENS1_48merge_mergepath_partition_config_static_selectorELNS0_4arch9wavefront6targetE0EEEvSM_.uses_vcc, 0
	.set _ZN7rocprim17ROCPRIM_400000_NS6detail17trampoline_kernelINS0_14default_configENS1_38merge_sort_block_merge_config_selectorIlNS0_10empty_typeEEEZZNS1_27merge_sort_block_merge_implIS3_PlPS5_mZN2at6native12_GLOBAL__N_124unique_dim_cuda_templateIlEESt5tupleIJNSA_6TensorESF_SF_EERKSF_lbbbEUlllE_EE10hipError_tT0_T1_T2_jT3_P12ihipStream_tbPNSt15iterator_traitsISL_E10value_typeEPNSR_ISM_E10value_typeEPSN_NS1_7vsmem_tEENKUlT_SL_SM_SN_E_clIS8_S8_S9_S9_EESK_S10_SL_SM_SN_EUlS10_E_NS1_11comp_targetILNS1_3genE10ELNS1_11target_archE1201ELNS1_3gpuE5ELNS1_3repE0EEENS1_48merge_mergepath_partition_config_static_selectorELNS0_4arch9wavefront6targetE0EEEvSM_.uses_flat_scratch, 0
	.set _ZN7rocprim17ROCPRIM_400000_NS6detail17trampoline_kernelINS0_14default_configENS1_38merge_sort_block_merge_config_selectorIlNS0_10empty_typeEEEZZNS1_27merge_sort_block_merge_implIS3_PlPS5_mZN2at6native12_GLOBAL__N_124unique_dim_cuda_templateIlEESt5tupleIJNSA_6TensorESF_SF_EERKSF_lbbbEUlllE_EE10hipError_tT0_T1_T2_jT3_P12ihipStream_tbPNSt15iterator_traitsISL_E10value_typeEPNSR_ISM_E10value_typeEPSN_NS1_7vsmem_tEENKUlT_SL_SM_SN_E_clIS8_S8_S9_S9_EESK_S10_SL_SM_SN_EUlS10_E_NS1_11comp_targetILNS1_3genE10ELNS1_11target_archE1201ELNS1_3gpuE5ELNS1_3repE0EEENS1_48merge_mergepath_partition_config_static_selectorELNS0_4arch9wavefront6targetE0EEEvSM_.has_dyn_sized_stack, 0
	.set _ZN7rocprim17ROCPRIM_400000_NS6detail17trampoline_kernelINS0_14default_configENS1_38merge_sort_block_merge_config_selectorIlNS0_10empty_typeEEEZZNS1_27merge_sort_block_merge_implIS3_PlPS5_mZN2at6native12_GLOBAL__N_124unique_dim_cuda_templateIlEESt5tupleIJNSA_6TensorESF_SF_EERKSF_lbbbEUlllE_EE10hipError_tT0_T1_T2_jT3_P12ihipStream_tbPNSt15iterator_traitsISL_E10value_typeEPNSR_ISM_E10value_typeEPSN_NS1_7vsmem_tEENKUlT_SL_SM_SN_E_clIS8_S8_S9_S9_EESK_S10_SL_SM_SN_EUlS10_E_NS1_11comp_targetILNS1_3genE10ELNS1_11target_archE1201ELNS1_3gpuE5ELNS1_3repE0EEENS1_48merge_mergepath_partition_config_static_selectorELNS0_4arch9wavefront6targetE0EEEvSM_.has_recursion, 0
	.set _ZN7rocprim17ROCPRIM_400000_NS6detail17trampoline_kernelINS0_14default_configENS1_38merge_sort_block_merge_config_selectorIlNS0_10empty_typeEEEZZNS1_27merge_sort_block_merge_implIS3_PlPS5_mZN2at6native12_GLOBAL__N_124unique_dim_cuda_templateIlEESt5tupleIJNSA_6TensorESF_SF_EERKSF_lbbbEUlllE_EE10hipError_tT0_T1_T2_jT3_P12ihipStream_tbPNSt15iterator_traitsISL_E10value_typeEPNSR_ISM_E10value_typeEPSN_NS1_7vsmem_tEENKUlT_SL_SM_SN_E_clIS8_S8_S9_S9_EESK_S10_SL_SM_SN_EUlS10_E_NS1_11comp_targetILNS1_3genE10ELNS1_11target_archE1201ELNS1_3gpuE5ELNS1_3repE0EEENS1_48merge_mergepath_partition_config_static_selectorELNS0_4arch9wavefront6targetE0EEEvSM_.has_indirect_call, 0
	.section	.AMDGPU.csdata,"",@progbits
; Kernel info:
; codeLenInByte = 0
; TotalNumSgprs: 0
; NumVgprs: 0
; ScratchSize: 0
; MemoryBound: 0
; FloatMode: 240
; IeeeMode: 1
; LDSByteSize: 0 bytes/workgroup (compile time only)
; SGPRBlocks: 0
; VGPRBlocks: 0
; NumSGPRsForWavesPerEU: 1
; NumVGPRsForWavesPerEU: 1
; NamedBarCnt: 0
; Occupancy: 16
; WaveLimiterHint : 0
; COMPUTE_PGM_RSRC2:SCRATCH_EN: 0
; COMPUTE_PGM_RSRC2:USER_SGPR: 2
; COMPUTE_PGM_RSRC2:TRAP_HANDLER: 0
; COMPUTE_PGM_RSRC2:TGID_X_EN: 1
; COMPUTE_PGM_RSRC2:TGID_Y_EN: 0
; COMPUTE_PGM_RSRC2:TGID_Z_EN: 0
; COMPUTE_PGM_RSRC2:TIDIG_COMP_CNT: 0
	.section	.text._ZN7rocprim17ROCPRIM_400000_NS6detail17trampoline_kernelINS0_14default_configENS1_38merge_sort_block_merge_config_selectorIlNS0_10empty_typeEEEZZNS1_27merge_sort_block_merge_implIS3_PlPS5_mZN2at6native12_GLOBAL__N_124unique_dim_cuda_templateIlEESt5tupleIJNSA_6TensorESF_SF_EERKSF_lbbbEUlllE_EE10hipError_tT0_T1_T2_jT3_P12ihipStream_tbPNSt15iterator_traitsISL_E10value_typeEPNSR_ISM_E10value_typeEPSN_NS1_7vsmem_tEENKUlT_SL_SM_SN_E_clIS8_S8_S9_S9_EESK_S10_SL_SM_SN_EUlS10_E_NS1_11comp_targetILNS1_3genE5ELNS1_11target_archE942ELNS1_3gpuE9ELNS1_3repE0EEENS1_48merge_mergepath_partition_config_static_selectorELNS0_4arch9wavefront6targetE0EEEvSM_,"axG",@progbits,_ZN7rocprim17ROCPRIM_400000_NS6detail17trampoline_kernelINS0_14default_configENS1_38merge_sort_block_merge_config_selectorIlNS0_10empty_typeEEEZZNS1_27merge_sort_block_merge_implIS3_PlPS5_mZN2at6native12_GLOBAL__N_124unique_dim_cuda_templateIlEESt5tupleIJNSA_6TensorESF_SF_EERKSF_lbbbEUlllE_EE10hipError_tT0_T1_T2_jT3_P12ihipStream_tbPNSt15iterator_traitsISL_E10value_typeEPNSR_ISM_E10value_typeEPSN_NS1_7vsmem_tEENKUlT_SL_SM_SN_E_clIS8_S8_S9_S9_EESK_S10_SL_SM_SN_EUlS10_E_NS1_11comp_targetILNS1_3genE5ELNS1_11target_archE942ELNS1_3gpuE9ELNS1_3repE0EEENS1_48merge_mergepath_partition_config_static_selectorELNS0_4arch9wavefront6targetE0EEEvSM_,comdat
	.globl	_ZN7rocprim17ROCPRIM_400000_NS6detail17trampoline_kernelINS0_14default_configENS1_38merge_sort_block_merge_config_selectorIlNS0_10empty_typeEEEZZNS1_27merge_sort_block_merge_implIS3_PlPS5_mZN2at6native12_GLOBAL__N_124unique_dim_cuda_templateIlEESt5tupleIJNSA_6TensorESF_SF_EERKSF_lbbbEUlllE_EE10hipError_tT0_T1_T2_jT3_P12ihipStream_tbPNSt15iterator_traitsISL_E10value_typeEPNSR_ISM_E10value_typeEPSN_NS1_7vsmem_tEENKUlT_SL_SM_SN_E_clIS8_S8_S9_S9_EESK_S10_SL_SM_SN_EUlS10_E_NS1_11comp_targetILNS1_3genE5ELNS1_11target_archE942ELNS1_3gpuE9ELNS1_3repE0EEENS1_48merge_mergepath_partition_config_static_selectorELNS0_4arch9wavefront6targetE0EEEvSM_ ; -- Begin function _ZN7rocprim17ROCPRIM_400000_NS6detail17trampoline_kernelINS0_14default_configENS1_38merge_sort_block_merge_config_selectorIlNS0_10empty_typeEEEZZNS1_27merge_sort_block_merge_implIS3_PlPS5_mZN2at6native12_GLOBAL__N_124unique_dim_cuda_templateIlEESt5tupleIJNSA_6TensorESF_SF_EERKSF_lbbbEUlllE_EE10hipError_tT0_T1_T2_jT3_P12ihipStream_tbPNSt15iterator_traitsISL_E10value_typeEPNSR_ISM_E10value_typeEPSN_NS1_7vsmem_tEENKUlT_SL_SM_SN_E_clIS8_S8_S9_S9_EESK_S10_SL_SM_SN_EUlS10_E_NS1_11comp_targetILNS1_3genE5ELNS1_11target_archE942ELNS1_3gpuE9ELNS1_3repE0EEENS1_48merge_mergepath_partition_config_static_selectorELNS0_4arch9wavefront6targetE0EEEvSM_
	.p2align	8
	.type	_ZN7rocprim17ROCPRIM_400000_NS6detail17trampoline_kernelINS0_14default_configENS1_38merge_sort_block_merge_config_selectorIlNS0_10empty_typeEEEZZNS1_27merge_sort_block_merge_implIS3_PlPS5_mZN2at6native12_GLOBAL__N_124unique_dim_cuda_templateIlEESt5tupleIJNSA_6TensorESF_SF_EERKSF_lbbbEUlllE_EE10hipError_tT0_T1_T2_jT3_P12ihipStream_tbPNSt15iterator_traitsISL_E10value_typeEPNSR_ISM_E10value_typeEPSN_NS1_7vsmem_tEENKUlT_SL_SM_SN_E_clIS8_S8_S9_S9_EESK_S10_SL_SM_SN_EUlS10_E_NS1_11comp_targetILNS1_3genE5ELNS1_11target_archE942ELNS1_3gpuE9ELNS1_3repE0EEENS1_48merge_mergepath_partition_config_static_selectorELNS0_4arch9wavefront6targetE0EEEvSM_,@function
_ZN7rocprim17ROCPRIM_400000_NS6detail17trampoline_kernelINS0_14default_configENS1_38merge_sort_block_merge_config_selectorIlNS0_10empty_typeEEEZZNS1_27merge_sort_block_merge_implIS3_PlPS5_mZN2at6native12_GLOBAL__N_124unique_dim_cuda_templateIlEESt5tupleIJNSA_6TensorESF_SF_EERKSF_lbbbEUlllE_EE10hipError_tT0_T1_T2_jT3_P12ihipStream_tbPNSt15iterator_traitsISL_E10value_typeEPNSR_ISM_E10value_typeEPSN_NS1_7vsmem_tEENKUlT_SL_SM_SN_E_clIS8_S8_S9_S9_EESK_S10_SL_SM_SN_EUlS10_E_NS1_11comp_targetILNS1_3genE5ELNS1_11target_archE942ELNS1_3gpuE9ELNS1_3repE0EEENS1_48merge_mergepath_partition_config_static_selectorELNS0_4arch9wavefront6targetE0EEEvSM_: ; @_ZN7rocprim17ROCPRIM_400000_NS6detail17trampoline_kernelINS0_14default_configENS1_38merge_sort_block_merge_config_selectorIlNS0_10empty_typeEEEZZNS1_27merge_sort_block_merge_implIS3_PlPS5_mZN2at6native12_GLOBAL__N_124unique_dim_cuda_templateIlEESt5tupleIJNSA_6TensorESF_SF_EERKSF_lbbbEUlllE_EE10hipError_tT0_T1_T2_jT3_P12ihipStream_tbPNSt15iterator_traitsISL_E10value_typeEPNSR_ISM_E10value_typeEPSN_NS1_7vsmem_tEENKUlT_SL_SM_SN_E_clIS8_S8_S9_S9_EESK_S10_SL_SM_SN_EUlS10_E_NS1_11comp_targetILNS1_3genE5ELNS1_11target_archE942ELNS1_3gpuE9ELNS1_3repE0EEENS1_48merge_mergepath_partition_config_static_selectorELNS0_4arch9wavefront6targetE0EEEvSM_
; %bb.0:
	.section	.rodata,"a",@progbits
	.p2align	6, 0x0
	.amdhsa_kernel _ZN7rocprim17ROCPRIM_400000_NS6detail17trampoline_kernelINS0_14default_configENS1_38merge_sort_block_merge_config_selectorIlNS0_10empty_typeEEEZZNS1_27merge_sort_block_merge_implIS3_PlPS5_mZN2at6native12_GLOBAL__N_124unique_dim_cuda_templateIlEESt5tupleIJNSA_6TensorESF_SF_EERKSF_lbbbEUlllE_EE10hipError_tT0_T1_T2_jT3_P12ihipStream_tbPNSt15iterator_traitsISL_E10value_typeEPNSR_ISM_E10value_typeEPSN_NS1_7vsmem_tEENKUlT_SL_SM_SN_E_clIS8_S8_S9_S9_EESK_S10_SL_SM_SN_EUlS10_E_NS1_11comp_targetILNS1_3genE5ELNS1_11target_archE942ELNS1_3gpuE9ELNS1_3repE0EEENS1_48merge_mergepath_partition_config_static_selectorELNS0_4arch9wavefront6targetE0EEEvSM_
		.amdhsa_group_segment_fixed_size 0
		.amdhsa_private_segment_fixed_size 0
		.amdhsa_kernarg_size 56
		.amdhsa_user_sgpr_count 2
		.amdhsa_user_sgpr_dispatch_ptr 0
		.amdhsa_user_sgpr_queue_ptr 0
		.amdhsa_user_sgpr_kernarg_segment_ptr 1
		.amdhsa_user_sgpr_dispatch_id 0
		.amdhsa_user_sgpr_kernarg_preload_length 0
		.amdhsa_user_sgpr_kernarg_preload_offset 0
		.amdhsa_user_sgpr_private_segment_size 0
		.amdhsa_wavefront_size32 1
		.amdhsa_uses_dynamic_stack 0
		.amdhsa_enable_private_segment 0
		.amdhsa_system_sgpr_workgroup_id_x 1
		.amdhsa_system_sgpr_workgroup_id_y 0
		.amdhsa_system_sgpr_workgroup_id_z 0
		.amdhsa_system_sgpr_workgroup_info 0
		.amdhsa_system_vgpr_workitem_id 0
		.amdhsa_next_free_vgpr 1
		.amdhsa_next_free_sgpr 1
		.amdhsa_named_barrier_count 0
		.amdhsa_reserve_vcc 0
		.amdhsa_float_round_mode_32 0
		.amdhsa_float_round_mode_16_64 0
		.amdhsa_float_denorm_mode_32 3
		.amdhsa_float_denorm_mode_16_64 3
		.amdhsa_fp16_overflow 0
		.amdhsa_memory_ordered 1
		.amdhsa_forward_progress 1
		.amdhsa_inst_pref_size 0
		.amdhsa_round_robin_scheduling 0
		.amdhsa_exception_fp_ieee_invalid_op 0
		.amdhsa_exception_fp_denorm_src 0
		.amdhsa_exception_fp_ieee_div_zero 0
		.amdhsa_exception_fp_ieee_overflow 0
		.amdhsa_exception_fp_ieee_underflow 0
		.amdhsa_exception_fp_ieee_inexact 0
		.amdhsa_exception_int_div_zero 0
	.end_amdhsa_kernel
	.section	.text._ZN7rocprim17ROCPRIM_400000_NS6detail17trampoline_kernelINS0_14default_configENS1_38merge_sort_block_merge_config_selectorIlNS0_10empty_typeEEEZZNS1_27merge_sort_block_merge_implIS3_PlPS5_mZN2at6native12_GLOBAL__N_124unique_dim_cuda_templateIlEESt5tupleIJNSA_6TensorESF_SF_EERKSF_lbbbEUlllE_EE10hipError_tT0_T1_T2_jT3_P12ihipStream_tbPNSt15iterator_traitsISL_E10value_typeEPNSR_ISM_E10value_typeEPSN_NS1_7vsmem_tEENKUlT_SL_SM_SN_E_clIS8_S8_S9_S9_EESK_S10_SL_SM_SN_EUlS10_E_NS1_11comp_targetILNS1_3genE5ELNS1_11target_archE942ELNS1_3gpuE9ELNS1_3repE0EEENS1_48merge_mergepath_partition_config_static_selectorELNS0_4arch9wavefront6targetE0EEEvSM_,"axG",@progbits,_ZN7rocprim17ROCPRIM_400000_NS6detail17trampoline_kernelINS0_14default_configENS1_38merge_sort_block_merge_config_selectorIlNS0_10empty_typeEEEZZNS1_27merge_sort_block_merge_implIS3_PlPS5_mZN2at6native12_GLOBAL__N_124unique_dim_cuda_templateIlEESt5tupleIJNSA_6TensorESF_SF_EERKSF_lbbbEUlllE_EE10hipError_tT0_T1_T2_jT3_P12ihipStream_tbPNSt15iterator_traitsISL_E10value_typeEPNSR_ISM_E10value_typeEPSN_NS1_7vsmem_tEENKUlT_SL_SM_SN_E_clIS8_S8_S9_S9_EESK_S10_SL_SM_SN_EUlS10_E_NS1_11comp_targetILNS1_3genE5ELNS1_11target_archE942ELNS1_3gpuE9ELNS1_3repE0EEENS1_48merge_mergepath_partition_config_static_selectorELNS0_4arch9wavefront6targetE0EEEvSM_,comdat
.Lfunc_end516:
	.size	_ZN7rocprim17ROCPRIM_400000_NS6detail17trampoline_kernelINS0_14default_configENS1_38merge_sort_block_merge_config_selectorIlNS0_10empty_typeEEEZZNS1_27merge_sort_block_merge_implIS3_PlPS5_mZN2at6native12_GLOBAL__N_124unique_dim_cuda_templateIlEESt5tupleIJNSA_6TensorESF_SF_EERKSF_lbbbEUlllE_EE10hipError_tT0_T1_T2_jT3_P12ihipStream_tbPNSt15iterator_traitsISL_E10value_typeEPNSR_ISM_E10value_typeEPSN_NS1_7vsmem_tEENKUlT_SL_SM_SN_E_clIS8_S8_S9_S9_EESK_S10_SL_SM_SN_EUlS10_E_NS1_11comp_targetILNS1_3genE5ELNS1_11target_archE942ELNS1_3gpuE9ELNS1_3repE0EEENS1_48merge_mergepath_partition_config_static_selectorELNS0_4arch9wavefront6targetE0EEEvSM_, .Lfunc_end516-_ZN7rocprim17ROCPRIM_400000_NS6detail17trampoline_kernelINS0_14default_configENS1_38merge_sort_block_merge_config_selectorIlNS0_10empty_typeEEEZZNS1_27merge_sort_block_merge_implIS3_PlPS5_mZN2at6native12_GLOBAL__N_124unique_dim_cuda_templateIlEESt5tupleIJNSA_6TensorESF_SF_EERKSF_lbbbEUlllE_EE10hipError_tT0_T1_T2_jT3_P12ihipStream_tbPNSt15iterator_traitsISL_E10value_typeEPNSR_ISM_E10value_typeEPSN_NS1_7vsmem_tEENKUlT_SL_SM_SN_E_clIS8_S8_S9_S9_EESK_S10_SL_SM_SN_EUlS10_E_NS1_11comp_targetILNS1_3genE5ELNS1_11target_archE942ELNS1_3gpuE9ELNS1_3repE0EEENS1_48merge_mergepath_partition_config_static_selectorELNS0_4arch9wavefront6targetE0EEEvSM_
                                        ; -- End function
	.set _ZN7rocprim17ROCPRIM_400000_NS6detail17trampoline_kernelINS0_14default_configENS1_38merge_sort_block_merge_config_selectorIlNS0_10empty_typeEEEZZNS1_27merge_sort_block_merge_implIS3_PlPS5_mZN2at6native12_GLOBAL__N_124unique_dim_cuda_templateIlEESt5tupleIJNSA_6TensorESF_SF_EERKSF_lbbbEUlllE_EE10hipError_tT0_T1_T2_jT3_P12ihipStream_tbPNSt15iterator_traitsISL_E10value_typeEPNSR_ISM_E10value_typeEPSN_NS1_7vsmem_tEENKUlT_SL_SM_SN_E_clIS8_S8_S9_S9_EESK_S10_SL_SM_SN_EUlS10_E_NS1_11comp_targetILNS1_3genE5ELNS1_11target_archE942ELNS1_3gpuE9ELNS1_3repE0EEENS1_48merge_mergepath_partition_config_static_selectorELNS0_4arch9wavefront6targetE0EEEvSM_.num_vgpr, 0
	.set _ZN7rocprim17ROCPRIM_400000_NS6detail17trampoline_kernelINS0_14default_configENS1_38merge_sort_block_merge_config_selectorIlNS0_10empty_typeEEEZZNS1_27merge_sort_block_merge_implIS3_PlPS5_mZN2at6native12_GLOBAL__N_124unique_dim_cuda_templateIlEESt5tupleIJNSA_6TensorESF_SF_EERKSF_lbbbEUlllE_EE10hipError_tT0_T1_T2_jT3_P12ihipStream_tbPNSt15iterator_traitsISL_E10value_typeEPNSR_ISM_E10value_typeEPSN_NS1_7vsmem_tEENKUlT_SL_SM_SN_E_clIS8_S8_S9_S9_EESK_S10_SL_SM_SN_EUlS10_E_NS1_11comp_targetILNS1_3genE5ELNS1_11target_archE942ELNS1_3gpuE9ELNS1_3repE0EEENS1_48merge_mergepath_partition_config_static_selectorELNS0_4arch9wavefront6targetE0EEEvSM_.num_agpr, 0
	.set _ZN7rocprim17ROCPRIM_400000_NS6detail17trampoline_kernelINS0_14default_configENS1_38merge_sort_block_merge_config_selectorIlNS0_10empty_typeEEEZZNS1_27merge_sort_block_merge_implIS3_PlPS5_mZN2at6native12_GLOBAL__N_124unique_dim_cuda_templateIlEESt5tupleIJNSA_6TensorESF_SF_EERKSF_lbbbEUlllE_EE10hipError_tT0_T1_T2_jT3_P12ihipStream_tbPNSt15iterator_traitsISL_E10value_typeEPNSR_ISM_E10value_typeEPSN_NS1_7vsmem_tEENKUlT_SL_SM_SN_E_clIS8_S8_S9_S9_EESK_S10_SL_SM_SN_EUlS10_E_NS1_11comp_targetILNS1_3genE5ELNS1_11target_archE942ELNS1_3gpuE9ELNS1_3repE0EEENS1_48merge_mergepath_partition_config_static_selectorELNS0_4arch9wavefront6targetE0EEEvSM_.numbered_sgpr, 0
	.set _ZN7rocprim17ROCPRIM_400000_NS6detail17trampoline_kernelINS0_14default_configENS1_38merge_sort_block_merge_config_selectorIlNS0_10empty_typeEEEZZNS1_27merge_sort_block_merge_implIS3_PlPS5_mZN2at6native12_GLOBAL__N_124unique_dim_cuda_templateIlEESt5tupleIJNSA_6TensorESF_SF_EERKSF_lbbbEUlllE_EE10hipError_tT0_T1_T2_jT3_P12ihipStream_tbPNSt15iterator_traitsISL_E10value_typeEPNSR_ISM_E10value_typeEPSN_NS1_7vsmem_tEENKUlT_SL_SM_SN_E_clIS8_S8_S9_S9_EESK_S10_SL_SM_SN_EUlS10_E_NS1_11comp_targetILNS1_3genE5ELNS1_11target_archE942ELNS1_3gpuE9ELNS1_3repE0EEENS1_48merge_mergepath_partition_config_static_selectorELNS0_4arch9wavefront6targetE0EEEvSM_.num_named_barrier, 0
	.set _ZN7rocprim17ROCPRIM_400000_NS6detail17trampoline_kernelINS0_14default_configENS1_38merge_sort_block_merge_config_selectorIlNS0_10empty_typeEEEZZNS1_27merge_sort_block_merge_implIS3_PlPS5_mZN2at6native12_GLOBAL__N_124unique_dim_cuda_templateIlEESt5tupleIJNSA_6TensorESF_SF_EERKSF_lbbbEUlllE_EE10hipError_tT0_T1_T2_jT3_P12ihipStream_tbPNSt15iterator_traitsISL_E10value_typeEPNSR_ISM_E10value_typeEPSN_NS1_7vsmem_tEENKUlT_SL_SM_SN_E_clIS8_S8_S9_S9_EESK_S10_SL_SM_SN_EUlS10_E_NS1_11comp_targetILNS1_3genE5ELNS1_11target_archE942ELNS1_3gpuE9ELNS1_3repE0EEENS1_48merge_mergepath_partition_config_static_selectorELNS0_4arch9wavefront6targetE0EEEvSM_.private_seg_size, 0
	.set _ZN7rocprim17ROCPRIM_400000_NS6detail17trampoline_kernelINS0_14default_configENS1_38merge_sort_block_merge_config_selectorIlNS0_10empty_typeEEEZZNS1_27merge_sort_block_merge_implIS3_PlPS5_mZN2at6native12_GLOBAL__N_124unique_dim_cuda_templateIlEESt5tupleIJNSA_6TensorESF_SF_EERKSF_lbbbEUlllE_EE10hipError_tT0_T1_T2_jT3_P12ihipStream_tbPNSt15iterator_traitsISL_E10value_typeEPNSR_ISM_E10value_typeEPSN_NS1_7vsmem_tEENKUlT_SL_SM_SN_E_clIS8_S8_S9_S9_EESK_S10_SL_SM_SN_EUlS10_E_NS1_11comp_targetILNS1_3genE5ELNS1_11target_archE942ELNS1_3gpuE9ELNS1_3repE0EEENS1_48merge_mergepath_partition_config_static_selectorELNS0_4arch9wavefront6targetE0EEEvSM_.uses_vcc, 0
	.set _ZN7rocprim17ROCPRIM_400000_NS6detail17trampoline_kernelINS0_14default_configENS1_38merge_sort_block_merge_config_selectorIlNS0_10empty_typeEEEZZNS1_27merge_sort_block_merge_implIS3_PlPS5_mZN2at6native12_GLOBAL__N_124unique_dim_cuda_templateIlEESt5tupleIJNSA_6TensorESF_SF_EERKSF_lbbbEUlllE_EE10hipError_tT0_T1_T2_jT3_P12ihipStream_tbPNSt15iterator_traitsISL_E10value_typeEPNSR_ISM_E10value_typeEPSN_NS1_7vsmem_tEENKUlT_SL_SM_SN_E_clIS8_S8_S9_S9_EESK_S10_SL_SM_SN_EUlS10_E_NS1_11comp_targetILNS1_3genE5ELNS1_11target_archE942ELNS1_3gpuE9ELNS1_3repE0EEENS1_48merge_mergepath_partition_config_static_selectorELNS0_4arch9wavefront6targetE0EEEvSM_.uses_flat_scratch, 0
	.set _ZN7rocprim17ROCPRIM_400000_NS6detail17trampoline_kernelINS0_14default_configENS1_38merge_sort_block_merge_config_selectorIlNS0_10empty_typeEEEZZNS1_27merge_sort_block_merge_implIS3_PlPS5_mZN2at6native12_GLOBAL__N_124unique_dim_cuda_templateIlEESt5tupleIJNSA_6TensorESF_SF_EERKSF_lbbbEUlllE_EE10hipError_tT0_T1_T2_jT3_P12ihipStream_tbPNSt15iterator_traitsISL_E10value_typeEPNSR_ISM_E10value_typeEPSN_NS1_7vsmem_tEENKUlT_SL_SM_SN_E_clIS8_S8_S9_S9_EESK_S10_SL_SM_SN_EUlS10_E_NS1_11comp_targetILNS1_3genE5ELNS1_11target_archE942ELNS1_3gpuE9ELNS1_3repE0EEENS1_48merge_mergepath_partition_config_static_selectorELNS0_4arch9wavefront6targetE0EEEvSM_.has_dyn_sized_stack, 0
	.set _ZN7rocprim17ROCPRIM_400000_NS6detail17trampoline_kernelINS0_14default_configENS1_38merge_sort_block_merge_config_selectorIlNS0_10empty_typeEEEZZNS1_27merge_sort_block_merge_implIS3_PlPS5_mZN2at6native12_GLOBAL__N_124unique_dim_cuda_templateIlEESt5tupleIJNSA_6TensorESF_SF_EERKSF_lbbbEUlllE_EE10hipError_tT0_T1_T2_jT3_P12ihipStream_tbPNSt15iterator_traitsISL_E10value_typeEPNSR_ISM_E10value_typeEPSN_NS1_7vsmem_tEENKUlT_SL_SM_SN_E_clIS8_S8_S9_S9_EESK_S10_SL_SM_SN_EUlS10_E_NS1_11comp_targetILNS1_3genE5ELNS1_11target_archE942ELNS1_3gpuE9ELNS1_3repE0EEENS1_48merge_mergepath_partition_config_static_selectorELNS0_4arch9wavefront6targetE0EEEvSM_.has_recursion, 0
	.set _ZN7rocprim17ROCPRIM_400000_NS6detail17trampoline_kernelINS0_14default_configENS1_38merge_sort_block_merge_config_selectorIlNS0_10empty_typeEEEZZNS1_27merge_sort_block_merge_implIS3_PlPS5_mZN2at6native12_GLOBAL__N_124unique_dim_cuda_templateIlEESt5tupleIJNSA_6TensorESF_SF_EERKSF_lbbbEUlllE_EE10hipError_tT0_T1_T2_jT3_P12ihipStream_tbPNSt15iterator_traitsISL_E10value_typeEPNSR_ISM_E10value_typeEPSN_NS1_7vsmem_tEENKUlT_SL_SM_SN_E_clIS8_S8_S9_S9_EESK_S10_SL_SM_SN_EUlS10_E_NS1_11comp_targetILNS1_3genE5ELNS1_11target_archE942ELNS1_3gpuE9ELNS1_3repE0EEENS1_48merge_mergepath_partition_config_static_selectorELNS0_4arch9wavefront6targetE0EEEvSM_.has_indirect_call, 0
	.section	.AMDGPU.csdata,"",@progbits
; Kernel info:
; codeLenInByte = 0
; TotalNumSgprs: 0
; NumVgprs: 0
; ScratchSize: 0
; MemoryBound: 0
; FloatMode: 240
; IeeeMode: 1
; LDSByteSize: 0 bytes/workgroup (compile time only)
; SGPRBlocks: 0
; VGPRBlocks: 0
; NumSGPRsForWavesPerEU: 1
; NumVGPRsForWavesPerEU: 1
; NamedBarCnt: 0
; Occupancy: 16
; WaveLimiterHint : 0
; COMPUTE_PGM_RSRC2:SCRATCH_EN: 0
; COMPUTE_PGM_RSRC2:USER_SGPR: 2
; COMPUTE_PGM_RSRC2:TRAP_HANDLER: 0
; COMPUTE_PGM_RSRC2:TGID_X_EN: 1
; COMPUTE_PGM_RSRC2:TGID_Y_EN: 0
; COMPUTE_PGM_RSRC2:TGID_Z_EN: 0
; COMPUTE_PGM_RSRC2:TIDIG_COMP_CNT: 0
	.section	.text._ZN7rocprim17ROCPRIM_400000_NS6detail17trampoline_kernelINS0_14default_configENS1_38merge_sort_block_merge_config_selectorIlNS0_10empty_typeEEEZZNS1_27merge_sort_block_merge_implIS3_PlPS5_mZN2at6native12_GLOBAL__N_124unique_dim_cuda_templateIlEESt5tupleIJNSA_6TensorESF_SF_EERKSF_lbbbEUlllE_EE10hipError_tT0_T1_T2_jT3_P12ihipStream_tbPNSt15iterator_traitsISL_E10value_typeEPNSR_ISM_E10value_typeEPSN_NS1_7vsmem_tEENKUlT_SL_SM_SN_E_clIS8_S8_S9_S9_EESK_S10_SL_SM_SN_EUlS10_E_NS1_11comp_targetILNS1_3genE4ELNS1_11target_archE910ELNS1_3gpuE8ELNS1_3repE0EEENS1_48merge_mergepath_partition_config_static_selectorELNS0_4arch9wavefront6targetE0EEEvSM_,"axG",@progbits,_ZN7rocprim17ROCPRIM_400000_NS6detail17trampoline_kernelINS0_14default_configENS1_38merge_sort_block_merge_config_selectorIlNS0_10empty_typeEEEZZNS1_27merge_sort_block_merge_implIS3_PlPS5_mZN2at6native12_GLOBAL__N_124unique_dim_cuda_templateIlEESt5tupleIJNSA_6TensorESF_SF_EERKSF_lbbbEUlllE_EE10hipError_tT0_T1_T2_jT3_P12ihipStream_tbPNSt15iterator_traitsISL_E10value_typeEPNSR_ISM_E10value_typeEPSN_NS1_7vsmem_tEENKUlT_SL_SM_SN_E_clIS8_S8_S9_S9_EESK_S10_SL_SM_SN_EUlS10_E_NS1_11comp_targetILNS1_3genE4ELNS1_11target_archE910ELNS1_3gpuE8ELNS1_3repE0EEENS1_48merge_mergepath_partition_config_static_selectorELNS0_4arch9wavefront6targetE0EEEvSM_,comdat
	.globl	_ZN7rocprim17ROCPRIM_400000_NS6detail17trampoline_kernelINS0_14default_configENS1_38merge_sort_block_merge_config_selectorIlNS0_10empty_typeEEEZZNS1_27merge_sort_block_merge_implIS3_PlPS5_mZN2at6native12_GLOBAL__N_124unique_dim_cuda_templateIlEESt5tupleIJNSA_6TensorESF_SF_EERKSF_lbbbEUlllE_EE10hipError_tT0_T1_T2_jT3_P12ihipStream_tbPNSt15iterator_traitsISL_E10value_typeEPNSR_ISM_E10value_typeEPSN_NS1_7vsmem_tEENKUlT_SL_SM_SN_E_clIS8_S8_S9_S9_EESK_S10_SL_SM_SN_EUlS10_E_NS1_11comp_targetILNS1_3genE4ELNS1_11target_archE910ELNS1_3gpuE8ELNS1_3repE0EEENS1_48merge_mergepath_partition_config_static_selectorELNS0_4arch9wavefront6targetE0EEEvSM_ ; -- Begin function _ZN7rocprim17ROCPRIM_400000_NS6detail17trampoline_kernelINS0_14default_configENS1_38merge_sort_block_merge_config_selectorIlNS0_10empty_typeEEEZZNS1_27merge_sort_block_merge_implIS3_PlPS5_mZN2at6native12_GLOBAL__N_124unique_dim_cuda_templateIlEESt5tupleIJNSA_6TensorESF_SF_EERKSF_lbbbEUlllE_EE10hipError_tT0_T1_T2_jT3_P12ihipStream_tbPNSt15iterator_traitsISL_E10value_typeEPNSR_ISM_E10value_typeEPSN_NS1_7vsmem_tEENKUlT_SL_SM_SN_E_clIS8_S8_S9_S9_EESK_S10_SL_SM_SN_EUlS10_E_NS1_11comp_targetILNS1_3genE4ELNS1_11target_archE910ELNS1_3gpuE8ELNS1_3repE0EEENS1_48merge_mergepath_partition_config_static_selectorELNS0_4arch9wavefront6targetE0EEEvSM_
	.p2align	8
	.type	_ZN7rocprim17ROCPRIM_400000_NS6detail17trampoline_kernelINS0_14default_configENS1_38merge_sort_block_merge_config_selectorIlNS0_10empty_typeEEEZZNS1_27merge_sort_block_merge_implIS3_PlPS5_mZN2at6native12_GLOBAL__N_124unique_dim_cuda_templateIlEESt5tupleIJNSA_6TensorESF_SF_EERKSF_lbbbEUlllE_EE10hipError_tT0_T1_T2_jT3_P12ihipStream_tbPNSt15iterator_traitsISL_E10value_typeEPNSR_ISM_E10value_typeEPSN_NS1_7vsmem_tEENKUlT_SL_SM_SN_E_clIS8_S8_S9_S9_EESK_S10_SL_SM_SN_EUlS10_E_NS1_11comp_targetILNS1_3genE4ELNS1_11target_archE910ELNS1_3gpuE8ELNS1_3repE0EEENS1_48merge_mergepath_partition_config_static_selectorELNS0_4arch9wavefront6targetE0EEEvSM_,@function
_ZN7rocprim17ROCPRIM_400000_NS6detail17trampoline_kernelINS0_14default_configENS1_38merge_sort_block_merge_config_selectorIlNS0_10empty_typeEEEZZNS1_27merge_sort_block_merge_implIS3_PlPS5_mZN2at6native12_GLOBAL__N_124unique_dim_cuda_templateIlEESt5tupleIJNSA_6TensorESF_SF_EERKSF_lbbbEUlllE_EE10hipError_tT0_T1_T2_jT3_P12ihipStream_tbPNSt15iterator_traitsISL_E10value_typeEPNSR_ISM_E10value_typeEPSN_NS1_7vsmem_tEENKUlT_SL_SM_SN_E_clIS8_S8_S9_S9_EESK_S10_SL_SM_SN_EUlS10_E_NS1_11comp_targetILNS1_3genE4ELNS1_11target_archE910ELNS1_3gpuE8ELNS1_3repE0EEENS1_48merge_mergepath_partition_config_static_selectorELNS0_4arch9wavefront6targetE0EEEvSM_: ; @_ZN7rocprim17ROCPRIM_400000_NS6detail17trampoline_kernelINS0_14default_configENS1_38merge_sort_block_merge_config_selectorIlNS0_10empty_typeEEEZZNS1_27merge_sort_block_merge_implIS3_PlPS5_mZN2at6native12_GLOBAL__N_124unique_dim_cuda_templateIlEESt5tupleIJNSA_6TensorESF_SF_EERKSF_lbbbEUlllE_EE10hipError_tT0_T1_T2_jT3_P12ihipStream_tbPNSt15iterator_traitsISL_E10value_typeEPNSR_ISM_E10value_typeEPSN_NS1_7vsmem_tEENKUlT_SL_SM_SN_E_clIS8_S8_S9_S9_EESK_S10_SL_SM_SN_EUlS10_E_NS1_11comp_targetILNS1_3genE4ELNS1_11target_archE910ELNS1_3gpuE8ELNS1_3repE0EEENS1_48merge_mergepath_partition_config_static_selectorELNS0_4arch9wavefront6targetE0EEEvSM_
; %bb.0:
	.section	.rodata,"a",@progbits
	.p2align	6, 0x0
	.amdhsa_kernel _ZN7rocprim17ROCPRIM_400000_NS6detail17trampoline_kernelINS0_14default_configENS1_38merge_sort_block_merge_config_selectorIlNS0_10empty_typeEEEZZNS1_27merge_sort_block_merge_implIS3_PlPS5_mZN2at6native12_GLOBAL__N_124unique_dim_cuda_templateIlEESt5tupleIJNSA_6TensorESF_SF_EERKSF_lbbbEUlllE_EE10hipError_tT0_T1_T2_jT3_P12ihipStream_tbPNSt15iterator_traitsISL_E10value_typeEPNSR_ISM_E10value_typeEPSN_NS1_7vsmem_tEENKUlT_SL_SM_SN_E_clIS8_S8_S9_S9_EESK_S10_SL_SM_SN_EUlS10_E_NS1_11comp_targetILNS1_3genE4ELNS1_11target_archE910ELNS1_3gpuE8ELNS1_3repE0EEENS1_48merge_mergepath_partition_config_static_selectorELNS0_4arch9wavefront6targetE0EEEvSM_
		.amdhsa_group_segment_fixed_size 0
		.amdhsa_private_segment_fixed_size 0
		.amdhsa_kernarg_size 56
		.amdhsa_user_sgpr_count 2
		.amdhsa_user_sgpr_dispatch_ptr 0
		.amdhsa_user_sgpr_queue_ptr 0
		.amdhsa_user_sgpr_kernarg_segment_ptr 1
		.amdhsa_user_sgpr_dispatch_id 0
		.amdhsa_user_sgpr_kernarg_preload_length 0
		.amdhsa_user_sgpr_kernarg_preload_offset 0
		.amdhsa_user_sgpr_private_segment_size 0
		.amdhsa_wavefront_size32 1
		.amdhsa_uses_dynamic_stack 0
		.amdhsa_enable_private_segment 0
		.amdhsa_system_sgpr_workgroup_id_x 1
		.amdhsa_system_sgpr_workgroup_id_y 0
		.amdhsa_system_sgpr_workgroup_id_z 0
		.amdhsa_system_sgpr_workgroup_info 0
		.amdhsa_system_vgpr_workitem_id 0
		.amdhsa_next_free_vgpr 1
		.amdhsa_next_free_sgpr 1
		.amdhsa_named_barrier_count 0
		.amdhsa_reserve_vcc 0
		.amdhsa_float_round_mode_32 0
		.amdhsa_float_round_mode_16_64 0
		.amdhsa_float_denorm_mode_32 3
		.amdhsa_float_denorm_mode_16_64 3
		.amdhsa_fp16_overflow 0
		.amdhsa_memory_ordered 1
		.amdhsa_forward_progress 1
		.amdhsa_inst_pref_size 0
		.amdhsa_round_robin_scheduling 0
		.amdhsa_exception_fp_ieee_invalid_op 0
		.amdhsa_exception_fp_denorm_src 0
		.amdhsa_exception_fp_ieee_div_zero 0
		.amdhsa_exception_fp_ieee_overflow 0
		.amdhsa_exception_fp_ieee_underflow 0
		.amdhsa_exception_fp_ieee_inexact 0
		.amdhsa_exception_int_div_zero 0
	.end_amdhsa_kernel
	.section	.text._ZN7rocprim17ROCPRIM_400000_NS6detail17trampoline_kernelINS0_14default_configENS1_38merge_sort_block_merge_config_selectorIlNS0_10empty_typeEEEZZNS1_27merge_sort_block_merge_implIS3_PlPS5_mZN2at6native12_GLOBAL__N_124unique_dim_cuda_templateIlEESt5tupleIJNSA_6TensorESF_SF_EERKSF_lbbbEUlllE_EE10hipError_tT0_T1_T2_jT3_P12ihipStream_tbPNSt15iterator_traitsISL_E10value_typeEPNSR_ISM_E10value_typeEPSN_NS1_7vsmem_tEENKUlT_SL_SM_SN_E_clIS8_S8_S9_S9_EESK_S10_SL_SM_SN_EUlS10_E_NS1_11comp_targetILNS1_3genE4ELNS1_11target_archE910ELNS1_3gpuE8ELNS1_3repE0EEENS1_48merge_mergepath_partition_config_static_selectorELNS0_4arch9wavefront6targetE0EEEvSM_,"axG",@progbits,_ZN7rocprim17ROCPRIM_400000_NS6detail17trampoline_kernelINS0_14default_configENS1_38merge_sort_block_merge_config_selectorIlNS0_10empty_typeEEEZZNS1_27merge_sort_block_merge_implIS3_PlPS5_mZN2at6native12_GLOBAL__N_124unique_dim_cuda_templateIlEESt5tupleIJNSA_6TensorESF_SF_EERKSF_lbbbEUlllE_EE10hipError_tT0_T1_T2_jT3_P12ihipStream_tbPNSt15iterator_traitsISL_E10value_typeEPNSR_ISM_E10value_typeEPSN_NS1_7vsmem_tEENKUlT_SL_SM_SN_E_clIS8_S8_S9_S9_EESK_S10_SL_SM_SN_EUlS10_E_NS1_11comp_targetILNS1_3genE4ELNS1_11target_archE910ELNS1_3gpuE8ELNS1_3repE0EEENS1_48merge_mergepath_partition_config_static_selectorELNS0_4arch9wavefront6targetE0EEEvSM_,comdat
.Lfunc_end517:
	.size	_ZN7rocprim17ROCPRIM_400000_NS6detail17trampoline_kernelINS0_14default_configENS1_38merge_sort_block_merge_config_selectorIlNS0_10empty_typeEEEZZNS1_27merge_sort_block_merge_implIS3_PlPS5_mZN2at6native12_GLOBAL__N_124unique_dim_cuda_templateIlEESt5tupleIJNSA_6TensorESF_SF_EERKSF_lbbbEUlllE_EE10hipError_tT0_T1_T2_jT3_P12ihipStream_tbPNSt15iterator_traitsISL_E10value_typeEPNSR_ISM_E10value_typeEPSN_NS1_7vsmem_tEENKUlT_SL_SM_SN_E_clIS8_S8_S9_S9_EESK_S10_SL_SM_SN_EUlS10_E_NS1_11comp_targetILNS1_3genE4ELNS1_11target_archE910ELNS1_3gpuE8ELNS1_3repE0EEENS1_48merge_mergepath_partition_config_static_selectorELNS0_4arch9wavefront6targetE0EEEvSM_, .Lfunc_end517-_ZN7rocprim17ROCPRIM_400000_NS6detail17trampoline_kernelINS0_14default_configENS1_38merge_sort_block_merge_config_selectorIlNS0_10empty_typeEEEZZNS1_27merge_sort_block_merge_implIS3_PlPS5_mZN2at6native12_GLOBAL__N_124unique_dim_cuda_templateIlEESt5tupleIJNSA_6TensorESF_SF_EERKSF_lbbbEUlllE_EE10hipError_tT0_T1_T2_jT3_P12ihipStream_tbPNSt15iterator_traitsISL_E10value_typeEPNSR_ISM_E10value_typeEPSN_NS1_7vsmem_tEENKUlT_SL_SM_SN_E_clIS8_S8_S9_S9_EESK_S10_SL_SM_SN_EUlS10_E_NS1_11comp_targetILNS1_3genE4ELNS1_11target_archE910ELNS1_3gpuE8ELNS1_3repE0EEENS1_48merge_mergepath_partition_config_static_selectorELNS0_4arch9wavefront6targetE0EEEvSM_
                                        ; -- End function
	.set _ZN7rocprim17ROCPRIM_400000_NS6detail17trampoline_kernelINS0_14default_configENS1_38merge_sort_block_merge_config_selectorIlNS0_10empty_typeEEEZZNS1_27merge_sort_block_merge_implIS3_PlPS5_mZN2at6native12_GLOBAL__N_124unique_dim_cuda_templateIlEESt5tupleIJNSA_6TensorESF_SF_EERKSF_lbbbEUlllE_EE10hipError_tT0_T1_T2_jT3_P12ihipStream_tbPNSt15iterator_traitsISL_E10value_typeEPNSR_ISM_E10value_typeEPSN_NS1_7vsmem_tEENKUlT_SL_SM_SN_E_clIS8_S8_S9_S9_EESK_S10_SL_SM_SN_EUlS10_E_NS1_11comp_targetILNS1_3genE4ELNS1_11target_archE910ELNS1_3gpuE8ELNS1_3repE0EEENS1_48merge_mergepath_partition_config_static_selectorELNS0_4arch9wavefront6targetE0EEEvSM_.num_vgpr, 0
	.set _ZN7rocprim17ROCPRIM_400000_NS6detail17trampoline_kernelINS0_14default_configENS1_38merge_sort_block_merge_config_selectorIlNS0_10empty_typeEEEZZNS1_27merge_sort_block_merge_implIS3_PlPS5_mZN2at6native12_GLOBAL__N_124unique_dim_cuda_templateIlEESt5tupleIJNSA_6TensorESF_SF_EERKSF_lbbbEUlllE_EE10hipError_tT0_T1_T2_jT3_P12ihipStream_tbPNSt15iterator_traitsISL_E10value_typeEPNSR_ISM_E10value_typeEPSN_NS1_7vsmem_tEENKUlT_SL_SM_SN_E_clIS8_S8_S9_S9_EESK_S10_SL_SM_SN_EUlS10_E_NS1_11comp_targetILNS1_3genE4ELNS1_11target_archE910ELNS1_3gpuE8ELNS1_3repE0EEENS1_48merge_mergepath_partition_config_static_selectorELNS0_4arch9wavefront6targetE0EEEvSM_.num_agpr, 0
	.set _ZN7rocprim17ROCPRIM_400000_NS6detail17trampoline_kernelINS0_14default_configENS1_38merge_sort_block_merge_config_selectorIlNS0_10empty_typeEEEZZNS1_27merge_sort_block_merge_implIS3_PlPS5_mZN2at6native12_GLOBAL__N_124unique_dim_cuda_templateIlEESt5tupleIJNSA_6TensorESF_SF_EERKSF_lbbbEUlllE_EE10hipError_tT0_T1_T2_jT3_P12ihipStream_tbPNSt15iterator_traitsISL_E10value_typeEPNSR_ISM_E10value_typeEPSN_NS1_7vsmem_tEENKUlT_SL_SM_SN_E_clIS8_S8_S9_S9_EESK_S10_SL_SM_SN_EUlS10_E_NS1_11comp_targetILNS1_3genE4ELNS1_11target_archE910ELNS1_3gpuE8ELNS1_3repE0EEENS1_48merge_mergepath_partition_config_static_selectorELNS0_4arch9wavefront6targetE0EEEvSM_.numbered_sgpr, 0
	.set _ZN7rocprim17ROCPRIM_400000_NS6detail17trampoline_kernelINS0_14default_configENS1_38merge_sort_block_merge_config_selectorIlNS0_10empty_typeEEEZZNS1_27merge_sort_block_merge_implIS3_PlPS5_mZN2at6native12_GLOBAL__N_124unique_dim_cuda_templateIlEESt5tupleIJNSA_6TensorESF_SF_EERKSF_lbbbEUlllE_EE10hipError_tT0_T1_T2_jT3_P12ihipStream_tbPNSt15iterator_traitsISL_E10value_typeEPNSR_ISM_E10value_typeEPSN_NS1_7vsmem_tEENKUlT_SL_SM_SN_E_clIS8_S8_S9_S9_EESK_S10_SL_SM_SN_EUlS10_E_NS1_11comp_targetILNS1_3genE4ELNS1_11target_archE910ELNS1_3gpuE8ELNS1_3repE0EEENS1_48merge_mergepath_partition_config_static_selectorELNS0_4arch9wavefront6targetE0EEEvSM_.num_named_barrier, 0
	.set _ZN7rocprim17ROCPRIM_400000_NS6detail17trampoline_kernelINS0_14default_configENS1_38merge_sort_block_merge_config_selectorIlNS0_10empty_typeEEEZZNS1_27merge_sort_block_merge_implIS3_PlPS5_mZN2at6native12_GLOBAL__N_124unique_dim_cuda_templateIlEESt5tupleIJNSA_6TensorESF_SF_EERKSF_lbbbEUlllE_EE10hipError_tT0_T1_T2_jT3_P12ihipStream_tbPNSt15iterator_traitsISL_E10value_typeEPNSR_ISM_E10value_typeEPSN_NS1_7vsmem_tEENKUlT_SL_SM_SN_E_clIS8_S8_S9_S9_EESK_S10_SL_SM_SN_EUlS10_E_NS1_11comp_targetILNS1_3genE4ELNS1_11target_archE910ELNS1_3gpuE8ELNS1_3repE0EEENS1_48merge_mergepath_partition_config_static_selectorELNS0_4arch9wavefront6targetE0EEEvSM_.private_seg_size, 0
	.set _ZN7rocprim17ROCPRIM_400000_NS6detail17trampoline_kernelINS0_14default_configENS1_38merge_sort_block_merge_config_selectorIlNS0_10empty_typeEEEZZNS1_27merge_sort_block_merge_implIS3_PlPS5_mZN2at6native12_GLOBAL__N_124unique_dim_cuda_templateIlEESt5tupleIJNSA_6TensorESF_SF_EERKSF_lbbbEUlllE_EE10hipError_tT0_T1_T2_jT3_P12ihipStream_tbPNSt15iterator_traitsISL_E10value_typeEPNSR_ISM_E10value_typeEPSN_NS1_7vsmem_tEENKUlT_SL_SM_SN_E_clIS8_S8_S9_S9_EESK_S10_SL_SM_SN_EUlS10_E_NS1_11comp_targetILNS1_3genE4ELNS1_11target_archE910ELNS1_3gpuE8ELNS1_3repE0EEENS1_48merge_mergepath_partition_config_static_selectorELNS0_4arch9wavefront6targetE0EEEvSM_.uses_vcc, 0
	.set _ZN7rocprim17ROCPRIM_400000_NS6detail17trampoline_kernelINS0_14default_configENS1_38merge_sort_block_merge_config_selectorIlNS0_10empty_typeEEEZZNS1_27merge_sort_block_merge_implIS3_PlPS5_mZN2at6native12_GLOBAL__N_124unique_dim_cuda_templateIlEESt5tupleIJNSA_6TensorESF_SF_EERKSF_lbbbEUlllE_EE10hipError_tT0_T1_T2_jT3_P12ihipStream_tbPNSt15iterator_traitsISL_E10value_typeEPNSR_ISM_E10value_typeEPSN_NS1_7vsmem_tEENKUlT_SL_SM_SN_E_clIS8_S8_S9_S9_EESK_S10_SL_SM_SN_EUlS10_E_NS1_11comp_targetILNS1_3genE4ELNS1_11target_archE910ELNS1_3gpuE8ELNS1_3repE0EEENS1_48merge_mergepath_partition_config_static_selectorELNS0_4arch9wavefront6targetE0EEEvSM_.uses_flat_scratch, 0
	.set _ZN7rocprim17ROCPRIM_400000_NS6detail17trampoline_kernelINS0_14default_configENS1_38merge_sort_block_merge_config_selectorIlNS0_10empty_typeEEEZZNS1_27merge_sort_block_merge_implIS3_PlPS5_mZN2at6native12_GLOBAL__N_124unique_dim_cuda_templateIlEESt5tupleIJNSA_6TensorESF_SF_EERKSF_lbbbEUlllE_EE10hipError_tT0_T1_T2_jT3_P12ihipStream_tbPNSt15iterator_traitsISL_E10value_typeEPNSR_ISM_E10value_typeEPSN_NS1_7vsmem_tEENKUlT_SL_SM_SN_E_clIS8_S8_S9_S9_EESK_S10_SL_SM_SN_EUlS10_E_NS1_11comp_targetILNS1_3genE4ELNS1_11target_archE910ELNS1_3gpuE8ELNS1_3repE0EEENS1_48merge_mergepath_partition_config_static_selectorELNS0_4arch9wavefront6targetE0EEEvSM_.has_dyn_sized_stack, 0
	.set _ZN7rocprim17ROCPRIM_400000_NS6detail17trampoline_kernelINS0_14default_configENS1_38merge_sort_block_merge_config_selectorIlNS0_10empty_typeEEEZZNS1_27merge_sort_block_merge_implIS3_PlPS5_mZN2at6native12_GLOBAL__N_124unique_dim_cuda_templateIlEESt5tupleIJNSA_6TensorESF_SF_EERKSF_lbbbEUlllE_EE10hipError_tT0_T1_T2_jT3_P12ihipStream_tbPNSt15iterator_traitsISL_E10value_typeEPNSR_ISM_E10value_typeEPSN_NS1_7vsmem_tEENKUlT_SL_SM_SN_E_clIS8_S8_S9_S9_EESK_S10_SL_SM_SN_EUlS10_E_NS1_11comp_targetILNS1_3genE4ELNS1_11target_archE910ELNS1_3gpuE8ELNS1_3repE0EEENS1_48merge_mergepath_partition_config_static_selectorELNS0_4arch9wavefront6targetE0EEEvSM_.has_recursion, 0
	.set _ZN7rocprim17ROCPRIM_400000_NS6detail17trampoline_kernelINS0_14default_configENS1_38merge_sort_block_merge_config_selectorIlNS0_10empty_typeEEEZZNS1_27merge_sort_block_merge_implIS3_PlPS5_mZN2at6native12_GLOBAL__N_124unique_dim_cuda_templateIlEESt5tupleIJNSA_6TensorESF_SF_EERKSF_lbbbEUlllE_EE10hipError_tT0_T1_T2_jT3_P12ihipStream_tbPNSt15iterator_traitsISL_E10value_typeEPNSR_ISM_E10value_typeEPSN_NS1_7vsmem_tEENKUlT_SL_SM_SN_E_clIS8_S8_S9_S9_EESK_S10_SL_SM_SN_EUlS10_E_NS1_11comp_targetILNS1_3genE4ELNS1_11target_archE910ELNS1_3gpuE8ELNS1_3repE0EEENS1_48merge_mergepath_partition_config_static_selectorELNS0_4arch9wavefront6targetE0EEEvSM_.has_indirect_call, 0
	.section	.AMDGPU.csdata,"",@progbits
; Kernel info:
; codeLenInByte = 0
; TotalNumSgprs: 0
; NumVgprs: 0
; ScratchSize: 0
; MemoryBound: 0
; FloatMode: 240
; IeeeMode: 1
; LDSByteSize: 0 bytes/workgroup (compile time only)
; SGPRBlocks: 0
; VGPRBlocks: 0
; NumSGPRsForWavesPerEU: 1
; NumVGPRsForWavesPerEU: 1
; NamedBarCnt: 0
; Occupancy: 16
; WaveLimiterHint : 0
; COMPUTE_PGM_RSRC2:SCRATCH_EN: 0
; COMPUTE_PGM_RSRC2:USER_SGPR: 2
; COMPUTE_PGM_RSRC2:TRAP_HANDLER: 0
; COMPUTE_PGM_RSRC2:TGID_X_EN: 1
; COMPUTE_PGM_RSRC2:TGID_Y_EN: 0
; COMPUTE_PGM_RSRC2:TGID_Z_EN: 0
; COMPUTE_PGM_RSRC2:TIDIG_COMP_CNT: 0
	.section	.text._ZN7rocprim17ROCPRIM_400000_NS6detail17trampoline_kernelINS0_14default_configENS1_38merge_sort_block_merge_config_selectorIlNS0_10empty_typeEEEZZNS1_27merge_sort_block_merge_implIS3_PlPS5_mZN2at6native12_GLOBAL__N_124unique_dim_cuda_templateIlEESt5tupleIJNSA_6TensorESF_SF_EERKSF_lbbbEUlllE_EE10hipError_tT0_T1_T2_jT3_P12ihipStream_tbPNSt15iterator_traitsISL_E10value_typeEPNSR_ISM_E10value_typeEPSN_NS1_7vsmem_tEENKUlT_SL_SM_SN_E_clIS8_S8_S9_S9_EESK_S10_SL_SM_SN_EUlS10_E_NS1_11comp_targetILNS1_3genE3ELNS1_11target_archE908ELNS1_3gpuE7ELNS1_3repE0EEENS1_48merge_mergepath_partition_config_static_selectorELNS0_4arch9wavefront6targetE0EEEvSM_,"axG",@progbits,_ZN7rocprim17ROCPRIM_400000_NS6detail17trampoline_kernelINS0_14default_configENS1_38merge_sort_block_merge_config_selectorIlNS0_10empty_typeEEEZZNS1_27merge_sort_block_merge_implIS3_PlPS5_mZN2at6native12_GLOBAL__N_124unique_dim_cuda_templateIlEESt5tupleIJNSA_6TensorESF_SF_EERKSF_lbbbEUlllE_EE10hipError_tT0_T1_T2_jT3_P12ihipStream_tbPNSt15iterator_traitsISL_E10value_typeEPNSR_ISM_E10value_typeEPSN_NS1_7vsmem_tEENKUlT_SL_SM_SN_E_clIS8_S8_S9_S9_EESK_S10_SL_SM_SN_EUlS10_E_NS1_11comp_targetILNS1_3genE3ELNS1_11target_archE908ELNS1_3gpuE7ELNS1_3repE0EEENS1_48merge_mergepath_partition_config_static_selectorELNS0_4arch9wavefront6targetE0EEEvSM_,comdat
	.globl	_ZN7rocprim17ROCPRIM_400000_NS6detail17trampoline_kernelINS0_14default_configENS1_38merge_sort_block_merge_config_selectorIlNS0_10empty_typeEEEZZNS1_27merge_sort_block_merge_implIS3_PlPS5_mZN2at6native12_GLOBAL__N_124unique_dim_cuda_templateIlEESt5tupleIJNSA_6TensorESF_SF_EERKSF_lbbbEUlllE_EE10hipError_tT0_T1_T2_jT3_P12ihipStream_tbPNSt15iterator_traitsISL_E10value_typeEPNSR_ISM_E10value_typeEPSN_NS1_7vsmem_tEENKUlT_SL_SM_SN_E_clIS8_S8_S9_S9_EESK_S10_SL_SM_SN_EUlS10_E_NS1_11comp_targetILNS1_3genE3ELNS1_11target_archE908ELNS1_3gpuE7ELNS1_3repE0EEENS1_48merge_mergepath_partition_config_static_selectorELNS0_4arch9wavefront6targetE0EEEvSM_ ; -- Begin function _ZN7rocprim17ROCPRIM_400000_NS6detail17trampoline_kernelINS0_14default_configENS1_38merge_sort_block_merge_config_selectorIlNS0_10empty_typeEEEZZNS1_27merge_sort_block_merge_implIS3_PlPS5_mZN2at6native12_GLOBAL__N_124unique_dim_cuda_templateIlEESt5tupleIJNSA_6TensorESF_SF_EERKSF_lbbbEUlllE_EE10hipError_tT0_T1_T2_jT3_P12ihipStream_tbPNSt15iterator_traitsISL_E10value_typeEPNSR_ISM_E10value_typeEPSN_NS1_7vsmem_tEENKUlT_SL_SM_SN_E_clIS8_S8_S9_S9_EESK_S10_SL_SM_SN_EUlS10_E_NS1_11comp_targetILNS1_3genE3ELNS1_11target_archE908ELNS1_3gpuE7ELNS1_3repE0EEENS1_48merge_mergepath_partition_config_static_selectorELNS0_4arch9wavefront6targetE0EEEvSM_
	.p2align	8
	.type	_ZN7rocprim17ROCPRIM_400000_NS6detail17trampoline_kernelINS0_14default_configENS1_38merge_sort_block_merge_config_selectorIlNS0_10empty_typeEEEZZNS1_27merge_sort_block_merge_implIS3_PlPS5_mZN2at6native12_GLOBAL__N_124unique_dim_cuda_templateIlEESt5tupleIJNSA_6TensorESF_SF_EERKSF_lbbbEUlllE_EE10hipError_tT0_T1_T2_jT3_P12ihipStream_tbPNSt15iterator_traitsISL_E10value_typeEPNSR_ISM_E10value_typeEPSN_NS1_7vsmem_tEENKUlT_SL_SM_SN_E_clIS8_S8_S9_S9_EESK_S10_SL_SM_SN_EUlS10_E_NS1_11comp_targetILNS1_3genE3ELNS1_11target_archE908ELNS1_3gpuE7ELNS1_3repE0EEENS1_48merge_mergepath_partition_config_static_selectorELNS0_4arch9wavefront6targetE0EEEvSM_,@function
_ZN7rocprim17ROCPRIM_400000_NS6detail17trampoline_kernelINS0_14default_configENS1_38merge_sort_block_merge_config_selectorIlNS0_10empty_typeEEEZZNS1_27merge_sort_block_merge_implIS3_PlPS5_mZN2at6native12_GLOBAL__N_124unique_dim_cuda_templateIlEESt5tupleIJNSA_6TensorESF_SF_EERKSF_lbbbEUlllE_EE10hipError_tT0_T1_T2_jT3_P12ihipStream_tbPNSt15iterator_traitsISL_E10value_typeEPNSR_ISM_E10value_typeEPSN_NS1_7vsmem_tEENKUlT_SL_SM_SN_E_clIS8_S8_S9_S9_EESK_S10_SL_SM_SN_EUlS10_E_NS1_11comp_targetILNS1_3genE3ELNS1_11target_archE908ELNS1_3gpuE7ELNS1_3repE0EEENS1_48merge_mergepath_partition_config_static_selectorELNS0_4arch9wavefront6targetE0EEEvSM_: ; @_ZN7rocprim17ROCPRIM_400000_NS6detail17trampoline_kernelINS0_14default_configENS1_38merge_sort_block_merge_config_selectorIlNS0_10empty_typeEEEZZNS1_27merge_sort_block_merge_implIS3_PlPS5_mZN2at6native12_GLOBAL__N_124unique_dim_cuda_templateIlEESt5tupleIJNSA_6TensorESF_SF_EERKSF_lbbbEUlllE_EE10hipError_tT0_T1_T2_jT3_P12ihipStream_tbPNSt15iterator_traitsISL_E10value_typeEPNSR_ISM_E10value_typeEPSN_NS1_7vsmem_tEENKUlT_SL_SM_SN_E_clIS8_S8_S9_S9_EESK_S10_SL_SM_SN_EUlS10_E_NS1_11comp_targetILNS1_3genE3ELNS1_11target_archE908ELNS1_3gpuE7ELNS1_3repE0EEENS1_48merge_mergepath_partition_config_static_selectorELNS0_4arch9wavefront6targetE0EEEvSM_
; %bb.0:
	.section	.rodata,"a",@progbits
	.p2align	6, 0x0
	.amdhsa_kernel _ZN7rocprim17ROCPRIM_400000_NS6detail17trampoline_kernelINS0_14default_configENS1_38merge_sort_block_merge_config_selectorIlNS0_10empty_typeEEEZZNS1_27merge_sort_block_merge_implIS3_PlPS5_mZN2at6native12_GLOBAL__N_124unique_dim_cuda_templateIlEESt5tupleIJNSA_6TensorESF_SF_EERKSF_lbbbEUlllE_EE10hipError_tT0_T1_T2_jT3_P12ihipStream_tbPNSt15iterator_traitsISL_E10value_typeEPNSR_ISM_E10value_typeEPSN_NS1_7vsmem_tEENKUlT_SL_SM_SN_E_clIS8_S8_S9_S9_EESK_S10_SL_SM_SN_EUlS10_E_NS1_11comp_targetILNS1_3genE3ELNS1_11target_archE908ELNS1_3gpuE7ELNS1_3repE0EEENS1_48merge_mergepath_partition_config_static_selectorELNS0_4arch9wavefront6targetE0EEEvSM_
		.amdhsa_group_segment_fixed_size 0
		.amdhsa_private_segment_fixed_size 0
		.amdhsa_kernarg_size 56
		.amdhsa_user_sgpr_count 2
		.amdhsa_user_sgpr_dispatch_ptr 0
		.amdhsa_user_sgpr_queue_ptr 0
		.amdhsa_user_sgpr_kernarg_segment_ptr 1
		.amdhsa_user_sgpr_dispatch_id 0
		.amdhsa_user_sgpr_kernarg_preload_length 0
		.amdhsa_user_sgpr_kernarg_preload_offset 0
		.amdhsa_user_sgpr_private_segment_size 0
		.amdhsa_wavefront_size32 1
		.amdhsa_uses_dynamic_stack 0
		.amdhsa_enable_private_segment 0
		.amdhsa_system_sgpr_workgroup_id_x 1
		.amdhsa_system_sgpr_workgroup_id_y 0
		.amdhsa_system_sgpr_workgroup_id_z 0
		.amdhsa_system_sgpr_workgroup_info 0
		.amdhsa_system_vgpr_workitem_id 0
		.amdhsa_next_free_vgpr 1
		.amdhsa_next_free_sgpr 1
		.amdhsa_named_barrier_count 0
		.amdhsa_reserve_vcc 0
		.amdhsa_float_round_mode_32 0
		.amdhsa_float_round_mode_16_64 0
		.amdhsa_float_denorm_mode_32 3
		.amdhsa_float_denorm_mode_16_64 3
		.amdhsa_fp16_overflow 0
		.amdhsa_memory_ordered 1
		.amdhsa_forward_progress 1
		.amdhsa_inst_pref_size 0
		.amdhsa_round_robin_scheduling 0
		.amdhsa_exception_fp_ieee_invalid_op 0
		.amdhsa_exception_fp_denorm_src 0
		.amdhsa_exception_fp_ieee_div_zero 0
		.amdhsa_exception_fp_ieee_overflow 0
		.amdhsa_exception_fp_ieee_underflow 0
		.amdhsa_exception_fp_ieee_inexact 0
		.amdhsa_exception_int_div_zero 0
	.end_amdhsa_kernel
	.section	.text._ZN7rocprim17ROCPRIM_400000_NS6detail17trampoline_kernelINS0_14default_configENS1_38merge_sort_block_merge_config_selectorIlNS0_10empty_typeEEEZZNS1_27merge_sort_block_merge_implIS3_PlPS5_mZN2at6native12_GLOBAL__N_124unique_dim_cuda_templateIlEESt5tupleIJNSA_6TensorESF_SF_EERKSF_lbbbEUlllE_EE10hipError_tT0_T1_T2_jT3_P12ihipStream_tbPNSt15iterator_traitsISL_E10value_typeEPNSR_ISM_E10value_typeEPSN_NS1_7vsmem_tEENKUlT_SL_SM_SN_E_clIS8_S8_S9_S9_EESK_S10_SL_SM_SN_EUlS10_E_NS1_11comp_targetILNS1_3genE3ELNS1_11target_archE908ELNS1_3gpuE7ELNS1_3repE0EEENS1_48merge_mergepath_partition_config_static_selectorELNS0_4arch9wavefront6targetE0EEEvSM_,"axG",@progbits,_ZN7rocprim17ROCPRIM_400000_NS6detail17trampoline_kernelINS0_14default_configENS1_38merge_sort_block_merge_config_selectorIlNS0_10empty_typeEEEZZNS1_27merge_sort_block_merge_implIS3_PlPS5_mZN2at6native12_GLOBAL__N_124unique_dim_cuda_templateIlEESt5tupleIJNSA_6TensorESF_SF_EERKSF_lbbbEUlllE_EE10hipError_tT0_T1_T2_jT3_P12ihipStream_tbPNSt15iterator_traitsISL_E10value_typeEPNSR_ISM_E10value_typeEPSN_NS1_7vsmem_tEENKUlT_SL_SM_SN_E_clIS8_S8_S9_S9_EESK_S10_SL_SM_SN_EUlS10_E_NS1_11comp_targetILNS1_3genE3ELNS1_11target_archE908ELNS1_3gpuE7ELNS1_3repE0EEENS1_48merge_mergepath_partition_config_static_selectorELNS0_4arch9wavefront6targetE0EEEvSM_,comdat
.Lfunc_end518:
	.size	_ZN7rocprim17ROCPRIM_400000_NS6detail17trampoline_kernelINS0_14default_configENS1_38merge_sort_block_merge_config_selectorIlNS0_10empty_typeEEEZZNS1_27merge_sort_block_merge_implIS3_PlPS5_mZN2at6native12_GLOBAL__N_124unique_dim_cuda_templateIlEESt5tupleIJNSA_6TensorESF_SF_EERKSF_lbbbEUlllE_EE10hipError_tT0_T1_T2_jT3_P12ihipStream_tbPNSt15iterator_traitsISL_E10value_typeEPNSR_ISM_E10value_typeEPSN_NS1_7vsmem_tEENKUlT_SL_SM_SN_E_clIS8_S8_S9_S9_EESK_S10_SL_SM_SN_EUlS10_E_NS1_11comp_targetILNS1_3genE3ELNS1_11target_archE908ELNS1_3gpuE7ELNS1_3repE0EEENS1_48merge_mergepath_partition_config_static_selectorELNS0_4arch9wavefront6targetE0EEEvSM_, .Lfunc_end518-_ZN7rocprim17ROCPRIM_400000_NS6detail17trampoline_kernelINS0_14default_configENS1_38merge_sort_block_merge_config_selectorIlNS0_10empty_typeEEEZZNS1_27merge_sort_block_merge_implIS3_PlPS5_mZN2at6native12_GLOBAL__N_124unique_dim_cuda_templateIlEESt5tupleIJNSA_6TensorESF_SF_EERKSF_lbbbEUlllE_EE10hipError_tT0_T1_T2_jT3_P12ihipStream_tbPNSt15iterator_traitsISL_E10value_typeEPNSR_ISM_E10value_typeEPSN_NS1_7vsmem_tEENKUlT_SL_SM_SN_E_clIS8_S8_S9_S9_EESK_S10_SL_SM_SN_EUlS10_E_NS1_11comp_targetILNS1_3genE3ELNS1_11target_archE908ELNS1_3gpuE7ELNS1_3repE0EEENS1_48merge_mergepath_partition_config_static_selectorELNS0_4arch9wavefront6targetE0EEEvSM_
                                        ; -- End function
	.set _ZN7rocprim17ROCPRIM_400000_NS6detail17trampoline_kernelINS0_14default_configENS1_38merge_sort_block_merge_config_selectorIlNS0_10empty_typeEEEZZNS1_27merge_sort_block_merge_implIS3_PlPS5_mZN2at6native12_GLOBAL__N_124unique_dim_cuda_templateIlEESt5tupleIJNSA_6TensorESF_SF_EERKSF_lbbbEUlllE_EE10hipError_tT0_T1_T2_jT3_P12ihipStream_tbPNSt15iterator_traitsISL_E10value_typeEPNSR_ISM_E10value_typeEPSN_NS1_7vsmem_tEENKUlT_SL_SM_SN_E_clIS8_S8_S9_S9_EESK_S10_SL_SM_SN_EUlS10_E_NS1_11comp_targetILNS1_3genE3ELNS1_11target_archE908ELNS1_3gpuE7ELNS1_3repE0EEENS1_48merge_mergepath_partition_config_static_selectorELNS0_4arch9wavefront6targetE0EEEvSM_.num_vgpr, 0
	.set _ZN7rocprim17ROCPRIM_400000_NS6detail17trampoline_kernelINS0_14default_configENS1_38merge_sort_block_merge_config_selectorIlNS0_10empty_typeEEEZZNS1_27merge_sort_block_merge_implIS3_PlPS5_mZN2at6native12_GLOBAL__N_124unique_dim_cuda_templateIlEESt5tupleIJNSA_6TensorESF_SF_EERKSF_lbbbEUlllE_EE10hipError_tT0_T1_T2_jT3_P12ihipStream_tbPNSt15iterator_traitsISL_E10value_typeEPNSR_ISM_E10value_typeEPSN_NS1_7vsmem_tEENKUlT_SL_SM_SN_E_clIS8_S8_S9_S9_EESK_S10_SL_SM_SN_EUlS10_E_NS1_11comp_targetILNS1_3genE3ELNS1_11target_archE908ELNS1_3gpuE7ELNS1_3repE0EEENS1_48merge_mergepath_partition_config_static_selectorELNS0_4arch9wavefront6targetE0EEEvSM_.num_agpr, 0
	.set _ZN7rocprim17ROCPRIM_400000_NS6detail17trampoline_kernelINS0_14default_configENS1_38merge_sort_block_merge_config_selectorIlNS0_10empty_typeEEEZZNS1_27merge_sort_block_merge_implIS3_PlPS5_mZN2at6native12_GLOBAL__N_124unique_dim_cuda_templateIlEESt5tupleIJNSA_6TensorESF_SF_EERKSF_lbbbEUlllE_EE10hipError_tT0_T1_T2_jT3_P12ihipStream_tbPNSt15iterator_traitsISL_E10value_typeEPNSR_ISM_E10value_typeEPSN_NS1_7vsmem_tEENKUlT_SL_SM_SN_E_clIS8_S8_S9_S9_EESK_S10_SL_SM_SN_EUlS10_E_NS1_11comp_targetILNS1_3genE3ELNS1_11target_archE908ELNS1_3gpuE7ELNS1_3repE0EEENS1_48merge_mergepath_partition_config_static_selectorELNS0_4arch9wavefront6targetE0EEEvSM_.numbered_sgpr, 0
	.set _ZN7rocprim17ROCPRIM_400000_NS6detail17trampoline_kernelINS0_14default_configENS1_38merge_sort_block_merge_config_selectorIlNS0_10empty_typeEEEZZNS1_27merge_sort_block_merge_implIS3_PlPS5_mZN2at6native12_GLOBAL__N_124unique_dim_cuda_templateIlEESt5tupleIJNSA_6TensorESF_SF_EERKSF_lbbbEUlllE_EE10hipError_tT0_T1_T2_jT3_P12ihipStream_tbPNSt15iterator_traitsISL_E10value_typeEPNSR_ISM_E10value_typeEPSN_NS1_7vsmem_tEENKUlT_SL_SM_SN_E_clIS8_S8_S9_S9_EESK_S10_SL_SM_SN_EUlS10_E_NS1_11comp_targetILNS1_3genE3ELNS1_11target_archE908ELNS1_3gpuE7ELNS1_3repE0EEENS1_48merge_mergepath_partition_config_static_selectorELNS0_4arch9wavefront6targetE0EEEvSM_.num_named_barrier, 0
	.set _ZN7rocprim17ROCPRIM_400000_NS6detail17trampoline_kernelINS0_14default_configENS1_38merge_sort_block_merge_config_selectorIlNS0_10empty_typeEEEZZNS1_27merge_sort_block_merge_implIS3_PlPS5_mZN2at6native12_GLOBAL__N_124unique_dim_cuda_templateIlEESt5tupleIJNSA_6TensorESF_SF_EERKSF_lbbbEUlllE_EE10hipError_tT0_T1_T2_jT3_P12ihipStream_tbPNSt15iterator_traitsISL_E10value_typeEPNSR_ISM_E10value_typeEPSN_NS1_7vsmem_tEENKUlT_SL_SM_SN_E_clIS8_S8_S9_S9_EESK_S10_SL_SM_SN_EUlS10_E_NS1_11comp_targetILNS1_3genE3ELNS1_11target_archE908ELNS1_3gpuE7ELNS1_3repE0EEENS1_48merge_mergepath_partition_config_static_selectorELNS0_4arch9wavefront6targetE0EEEvSM_.private_seg_size, 0
	.set _ZN7rocprim17ROCPRIM_400000_NS6detail17trampoline_kernelINS0_14default_configENS1_38merge_sort_block_merge_config_selectorIlNS0_10empty_typeEEEZZNS1_27merge_sort_block_merge_implIS3_PlPS5_mZN2at6native12_GLOBAL__N_124unique_dim_cuda_templateIlEESt5tupleIJNSA_6TensorESF_SF_EERKSF_lbbbEUlllE_EE10hipError_tT0_T1_T2_jT3_P12ihipStream_tbPNSt15iterator_traitsISL_E10value_typeEPNSR_ISM_E10value_typeEPSN_NS1_7vsmem_tEENKUlT_SL_SM_SN_E_clIS8_S8_S9_S9_EESK_S10_SL_SM_SN_EUlS10_E_NS1_11comp_targetILNS1_3genE3ELNS1_11target_archE908ELNS1_3gpuE7ELNS1_3repE0EEENS1_48merge_mergepath_partition_config_static_selectorELNS0_4arch9wavefront6targetE0EEEvSM_.uses_vcc, 0
	.set _ZN7rocprim17ROCPRIM_400000_NS6detail17trampoline_kernelINS0_14default_configENS1_38merge_sort_block_merge_config_selectorIlNS0_10empty_typeEEEZZNS1_27merge_sort_block_merge_implIS3_PlPS5_mZN2at6native12_GLOBAL__N_124unique_dim_cuda_templateIlEESt5tupleIJNSA_6TensorESF_SF_EERKSF_lbbbEUlllE_EE10hipError_tT0_T1_T2_jT3_P12ihipStream_tbPNSt15iterator_traitsISL_E10value_typeEPNSR_ISM_E10value_typeEPSN_NS1_7vsmem_tEENKUlT_SL_SM_SN_E_clIS8_S8_S9_S9_EESK_S10_SL_SM_SN_EUlS10_E_NS1_11comp_targetILNS1_3genE3ELNS1_11target_archE908ELNS1_3gpuE7ELNS1_3repE0EEENS1_48merge_mergepath_partition_config_static_selectorELNS0_4arch9wavefront6targetE0EEEvSM_.uses_flat_scratch, 0
	.set _ZN7rocprim17ROCPRIM_400000_NS6detail17trampoline_kernelINS0_14default_configENS1_38merge_sort_block_merge_config_selectorIlNS0_10empty_typeEEEZZNS1_27merge_sort_block_merge_implIS3_PlPS5_mZN2at6native12_GLOBAL__N_124unique_dim_cuda_templateIlEESt5tupleIJNSA_6TensorESF_SF_EERKSF_lbbbEUlllE_EE10hipError_tT0_T1_T2_jT3_P12ihipStream_tbPNSt15iterator_traitsISL_E10value_typeEPNSR_ISM_E10value_typeEPSN_NS1_7vsmem_tEENKUlT_SL_SM_SN_E_clIS8_S8_S9_S9_EESK_S10_SL_SM_SN_EUlS10_E_NS1_11comp_targetILNS1_3genE3ELNS1_11target_archE908ELNS1_3gpuE7ELNS1_3repE0EEENS1_48merge_mergepath_partition_config_static_selectorELNS0_4arch9wavefront6targetE0EEEvSM_.has_dyn_sized_stack, 0
	.set _ZN7rocprim17ROCPRIM_400000_NS6detail17trampoline_kernelINS0_14default_configENS1_38merge_sort_block_merge_config_selectorIlNS0_10empty_typeEEEZZNS1_27merge_sort_block_merge_implIS3_PlPS5_mZN2at6native12_GLOBAL__N_124unique_dim_cuda_templateIlEESt5tupleIJNSA_6TensorESF_SF_EERKSF_lbbbEUlllE_EE10hipError_tT0_T1_T2_jT3_P12ihipStream_tbPNSt15iterator_traitsISL_E10value_typeEPNSR_ISM_E10value_typeEPSN_NS1_7vsmem_tEENKUlT_SL_SM_SN_E_clIS8_S8_S9_S9_EESK_S10_SL_SM_SN_EUlS10_E_NS1_11comp_targetILNS1_3genE3ELNS1_11target_archE908ELNS1_3gpuE7ELNS1_3repE0EEENS1_48merge_mergepath_partition_config_static_selectorELNS0_4arch9wavefront6targetE0EEEvSM_.has_recursion, 0
	.set _ZN7rocprim17ROCPRIM_400000_NS6detail17trampoline_kernelINS0_14default_configENS1_38merge_sort_block_merge_config_selectorIlNS0_10empty_typeEEEZZNS1_27merge_sort_block_merge_implIS3_PlPS5_mZN2at6native12_GLOBAL__N_124unique_dim_cuda_templateIlEESt5tupleIJNSA_6TensorESF_SF_EERKSF_lbbbEUlllE_EE10hipError_tT0_T1_T2_jT3_P12ihipStream_tbPNSt15iterator_traitsISL_E10value_typeEPNSR_ISM_E10value_typeEPSN_NS1_7vsmem_tEENKUlT_SL_SM_SN_E_clIS8_S8_S9_S9_EESK_S10_SL_SM_SN_EUlS10_E_NS1_11comp_targetILNS1_3genE3ELNS1_11target_archE908ELNS1_3gpuE7ELNS1_3repE0EEENS1_48merge_mergepath_partition_config_static_selectorELNS0_4arch9wavefront6targetE0EEEvSM_.has_indirect_call, 0
	.section	.AMDGPU.csdata,"",@progbits
; Kernel info:
; codeLenInByte = 0
; TotalNumSgprs: 0
; NumVgprs: 0
; ScratchSize: 0
; MemoryBound: 0
; FloatMode: 240
; IeeeMode: 1
; LDSByteSize: 0 bytes/workgroup (compile time only)
; SGPRBlocks: 0
; VGPRBlocks: 0
; NumSGPRsForWavesPerEU: 1
; NumVGPRsForWavesPerEU: 1
; NamedBarCnt: 0
; Occupancy: 16
; WaveLimiterHint : 0
; COMPUTE_PGM_RSRC2:SCRATCH_EN: 0
; COMPUTE_PGM_RSRC2:USER_SGPR: 2
; COMPUTE_PGM_RSRC2:TRAP_HANDLER: 0
; COMPUTE_PGM_RSRC2:TGID_X_EN: 1
; COMPUTE_PGM_RSRC2:TGID_Y_EN: 0
; COMPUTE_PGM_RSRC2:TGID_Z_EN: 0
; COMPUTE_PGM_RSRC2:TIDIG_COMP_CNT: 0
	.section	.text._ZN7rocprim17ROCPRIM_400000_NS6detail17trampoline_kernelINS0_14default_configENS1_38merge_sort_block_merge_config_selectorIlNS0_10empty_typeEEEZZNS1_27merge_sort_block_merge_implIS3_PlPS5_mZN2at6native12_GLOBAL__N_124unique_dim_cuda_templateIlEESt5tupleIJNSA_6TensorESF_SF_EERKSF_lbbbEUlllE_EE10hipError_tT0_T1_T2_jT3_P12ihipStream_tbPNSt15iterator_traitsISL_E10value_typeEPNSR_ISM_E10value_typeEPSN_NS1_7vsmem_tEENKUlT_SL_SM_SN_E_clIS8_S8_S9_S9_EESK_S10_SL_SM_SN_EUlS10_E_NS1_11comp_targetILNS1_3genE2ELNS1_11target_archE906ELNS1_3gpuE6ELNS1_3repE0EEENS1_48merge_mergepath_partition_config_static_selectorELNS0_4arch9wavefront6targetE0EEEvSM_,"axG",@progbits,_ZN7rocprim17ROCPRIM_400000_NS6detail17trampoline_kernelINS0_14default_configENS1_38merge_sort_block_merge_config_selectorIlNS0_10empty_typeEEEZZNS1_27merge_sort_block_merge_implIS3_PlPS5_mZN2at6native12_GLOBAL__N_124unique_dim_cuda_templateIlEESt5tupleIJNSA_6TensorESF_SF_EERKSF_lbbbEUlllE_EE10hipError_tT0_T1_T2_jT3_P12ihipStream_tbPNSt15iterator_traitsISL_E10value_typeEPNSR_ISM_E10value_typeEPSN_NS1_7vsmem_tEENKUlT_SL_SM_SN_E_clIS8_S8_S9_S9_EESK_S10_SL_SM_SN_EUlS10_E_NS1_11comp_targetILNS1_3genE2ELNS1_11target_archE906ELNS1_3gpuE6ELNS1_3repE0EEENS1_48merge_mergepath_partition_config_static_selectorELNS0_4arch9wavefront6targetE0EEEvSM_,comdat
	.globl	_ZN7rocprim17ROCPRIM_400000_NS6detail17trampoline_kernelINS0_14default_configENS1_38merge_sort_block_merge_config_selectorIlNS0_10empty_typeEEEZZNS1_27merge_sort_block_merge_implIS3_PlPS5_mZN2at6native12_GLOBAL__N_124unique_dim_cuda_templateIlEESt5tupleIJNSA_6TensorESF_SF_EERKSF_lbbbEUlllE_EE10hipError_tT0_T1_T2_jT3_P12ihipStream_tbPNSt15iterator_traitsISL_E10value_typeEPNSR_ISM_E10value_typeEPSN_NS1_7vsmem_tEENKUlT_SL_SM_SN_E_clIS8_S8_S9_S9_EESK_S10_SL_SM_SN_EUlS10_E_NS1_11comp_targetILNS1_3genE2ELNS1_11target_archE906ELNS1_3gpuE6ELNS1_3repE0EEENS1_48merge_mergepath_partition_config_static_selectorELNS0_4arch9wavefront6targetE0EEEvSM_ ; -- Begin function _ZN7rocprim17ROCPRIM_400000_NS6detail17trampoline_kernelINS0_14default_configENS1_38merge_sort_block_merge_config_selectorIlNS0_10empty_typeEEEZZNS1_27merge_sort_block_merge_implIS3_PlPS5_mZN2at6native12_GLOBAL__N_124unique_dim_cuda_templateIlEESt5tupleIJNSA_6TensorESF_SF_EERKSF_lbbbEUlllE_EE10hipError_tT0_T1_T2_jT3_P12ihipStream_tbPNSt15iterator_traitsISL_E10value_typeEPNSR_ISM_E10value_typeEPSN_NS1_7vsmem_tEENKUlT_SL_SM_SN_E_clIS8_S8_S9_S9_EESK_S10_SL_SM_SN_EUlS10_E_NS1_11comp_targetILNS1_3genE2ELNS1_11target_archE906ELNS1_3gpuE6ELNS1_3repE0EEENS1_48merge_mergepath_partition_config_static_selectorELNS0_4arch9wavefront6targetE0EEEvSM_
	.p2align	8
	.type	_ZN7rocprim17ROCPRIM_400000_NS6detail17trampoline_kernelINS0_14default_configENS1_38merge_sort_block_merge_config_selectorIlNS0_10empty_typeEEEZZNS1_27merge_sort_block_merge_implIS3_PlPS5_mZN2at6native12_GLOBAL__N_124unique_dim_cuda_templateIlEESt5tupleIJNSA_6TensorESF_SF_EERKSF_lbbbEUlllE_EE10hipError_tT0_T1_T2_jT3_P12ihipStream_tbPNSt15iterator_traitsISL_E10value_typeEPNSR_ISM_E10value_typeEPSN_NS1_7vsmem_tEENKUlT_SL_SM_SN_E_clIS8_S8_S9_S9_EESK_S10_SL_SM_SN_EUlS10_E_NS1_11comp_targetILNS1_3genE2ELNS1_11target_archE906ELNS1_3gpuE6ELNS1_3repE0EEENS1_48merge_mergepath_partition_config_static_selectorELNS0_4arch9wavefront6targetE0EEEvSM_,@function
_ZN7rocprim17ROCPRIM_400000_NS6detail17trampoline_kernelINS0_14default_configENS1_38merge_sort_block_merge_config_selectorIlNS0_10empty_typeEEEZZNS1_27merge_sort_block_merge_implIS3_PlPS5_mZN2at6native12_GLOBAL__N_124unique_dim_cuda_templateIlEESt5tupleIJNSA_6TensorESF_SF_EERKSF_lbbbEUlllE_EE10hipError_tT0_T1_T2_jT3_P12ihipStream_tbPNSt15iterator_traitsISL_E10value_typeEPNSR_ISM_E10value_typeEPSN_NS1_7vsmem_tEENKUlT_SL_SM_SN_E_clIS8_S8_S9_S9_EESK_S10_SL_SM_SN_EUlS10_E_NS1_11comp_targetILNS1_3genE2ELNS1_11target_archE906ELNS1_3gpuE6ELNS1_3repE0EEENS1_48merge_mergepath_partition_config_static_selectorELNS0_4arch9wavefront6targetE0EEEvSM_: ; @_ZN7rocprim17ROCPRIM_400000_NS6detail17trampoline_kernelINS0_14default_configENS1_38merge_sort_block_merge_config_selectorIlNS0_10empty_typeEEEZZNS1_27merge_sort_block_merge_implIS3_PlPS5_mZN2at6native12_GLOBAL__N_124unique_dim_cuda_templateIlEESt5tupleIJNSA_6TensorESF_SF_EERKSF_lbbbEUlllE_EE10hipError_tT0_T1_T2_jT3_P12ihipStream_tbPNSt15iterator_traitsISL_E10value_typeEPNSR_ISM_E10value_typeEPSN_NS1_7vsmem_tEENKUlT_SL_SM_SN_E_clIS8_S8_S9_S9_EESK_S10_SL_SM_SN_EUlS10_E_NS1_11comp_targetILNS1_3genE2ELNS1_11target_archE906ELNS1_3gpuE6ELNS1_3repE0EEENS1_48merge_mergepath_partition_config_static_selectorELNS0_4arch9wavefront6targetE0EEEvSM_
; %bb.0:
	.section	.rodata,"a",@progbits
	.p2align	6, 0x0
	.amdhsa_kernel _ZN7rocprim17ROCPRIM_400000_NS6detail17trampoline_kernelINS0_14default_configENS1_38merge_sort_block_merge_config_selectorIlNS0_10empty_typeEEEZZNS1_27merge_sort_block_merge_implIS3_PlPS5_mZN2at6native12_GLOBAL__N_124unique_dim_cuda_templateIlEESt5tupleIJNSA_6TensorESF_SF_EERKSF_lbbbEUlllE_EE10hipError_tT0_T1_T2_jT3_P12ihipStream_tbPNSt15iterator_traitsISL_E10value_typeEPNSR_ISM_E10value_typeEPSN_NS1_7vsmem_tEENKUlT_SL_SM_SN_E_clIS8_S8_S9_S9_EESK_S10_SL_SM_SN_EUlS10_E_NS1_11comp_targetILNS1_3genE2ELNS1_11target_archE906ELNS1_3gpuE6ELNS1_3repE0EEENS1_48merge_mergepath_partition_config_static_selectorELNS0_4arch9wavefront6targetE0EEEvSM_
		.amdhsa_group_segment_fixed_size 0
		.amdhsa_private_segment_fixed_size 0
		.amdhsa_kernarg_size 56
		.amdhsa_user_sgpr_count 2
		.amdhsa_user_sgpr_dispatch_ptr 0
		.amdhsa_user_sgpr_queue_ptr 0
		.amdhsa_user_sgpr_kernarg_segment_ptr 1
		.amdhsa_user_sgpr_dispatch_id 0
		.amdhsa_user_sgpr_kernarg_preload_length 0
		.amdhsa_user_sgpr_kernarg_preload_offset 0
		.amdhsa_user_sgpr_private_segment_size 0
		.amdhsa_wavefront_size32 1
		.amdhsa_uses_dynamic_stack 0
		.amdhsa_enable_private_segment 0
		.amdhsa_system_sgpr_workgroup_id_x 1
		.amdhsa_system_sgpr_workgroup_id_y 0
		.amdhsa_system_sgpr_workgroup_id_z 0
		.amdhsa_system_sgpr_workgroup_info 0
		.amdhsa_system_vgpr_workitem_id 0
		.amdhsa_next_free_vgpr 1
		.amdhsa_next_free_sgpr 1
		.amdhsa_named_barrier_count 0
		.amdhsa_reserve_vcc 0
		.amdhsa_float_round_mode_32 0
		.amdhsa_float_round_mode_16_64 0
		.amdhsa_float_denorm_mode_32 3
		.amdhsa_float_denorm_mode_16_64 3
		.amdhsa_fp16_overflow 0
		.amdhsa_memory_ordered 1
		.amdhsa_forward_progress 1
		.amdhsa_inst_pref_size 0
		.amdhsa_round_robin_scheduling 0
		.amdhsa_exception_fp_ieee_invalid_op 0
		.amdhsa_exception_fp_denorm_src 0
		.amdhsa_exception_fp_ieee_div_zero 0
		.amdhsa_exception_fp_ieee_overflow 0
		.amdhsa_exception_fp_ieee_underflow 0
		.amdhsa_exception_fp_ieee_inexact 0
		.amdhsa_exception_int_div_zero 0
	.end_amdhsa_kernel
	.section	.text._ZN7rocprim17ROCPRIM_400000_NS6detail17trampoline_kernelINS0_14default_configENS1_38merge_sort_block_merge_config_selectorIlNS0_10empty_typeEEEZZNS1_27merge_sort_block_merge_implIS3_PlPS5_mZN2at6native12_GLOBAL__N_124unique_dim_cuda_templateIlEESt5tupleIJNSA_6TensorESF_SF_EERKSF_lbbbEUlllE_EE10hipError_tT0_T1_T2_jT3_P12ihipStream_tbPNSt15iterator_traitsISL_E10value_typeEPNSR_ISM_E10value_typeEPSN_NS1_7vsmem_tEENKUlT_SL_SM_SN_E_clIS8_S8_S9_S9_EESK_S10_SL_SM_SN_EUlS10_E_NS1_11comp_targetILNS1_3genE2ELNS1_11target_archE906ELNS1_3gpuE6ELNS1_3repE0EEENS1_48merge_mergepath_partition_config_static_selectorELNS0_4arch9wavefront6targetE0EEEvSM_,"axG",@progbits,_ZN7rocprim17ROCPRIM_400000_NS6detail17trampoline_kernelINS0_14default_configENS1_38merge_sort_block_merge_config_selectorIlNS0_10empty_typeEEEZZNS1_27merge_sort_block_merge_implIS3_PlPS5_mZN2at6native12_GLOBAL__N_124unique_dim_cuda_templateIlEESt5tupleIJNSA_6TensorESF_SF_EERKSF_lbbbEUlllE_EE10hipError_tT0_T1_T2_jT3_P12ihipStream_tbPNSt15iterator_traitsISL_E10value_typeEPNSR_ISM_E10value_typeEPSN_NS1_7vsmem_tEENKUlT_SL_SM_SN_E_clIS8_S8_S9_S9_EESK_S10_SL_SM_SN_EUlS10_E_NS1_11comp_targetILNS1_3genE2ELNS1_11target_archE906ELNS1_3gpuE6ELNS1_3repE0EEENS1_48merge_mergepath_partition_config_static_selectorELNS0_4arch9wavefront6targetE0EEEvSM_,comdat
.Lfunc_end519:
	.size	_ZN7rocprim17ROCPRIM_400000_NS6detail17trampoline_kernelINS0_14default_configENS1_38merge_sort_block_merge_config_selectorIlNS0_10empty_typeEEEZZNS1_27merge_sort_block_merge_implIS3_PlPS5_mZN2at6native12_GLOBAL__N_124unique_dim_cuda_templateIlEESt5tupleIJNSA_6TensorESF_SF_EERKSF_lbbbEUlllE_EE10hipError_tT0_T1_T2_jT3_P12ihipStream_tbPNSt15iterator_traitsISL_E10value_typeEPNSR_ISM_E10value_typeEPSN_NS1_7vsmem_tEENKUlT_SL_SM_SN_E_clIS8_S8_S9_S9_EESK_S10_SL_SM_SN_EUlS10_E_NS1_11comp_targetILNS1_3genE2ELNS1_11target_archE906ELNS1_3gpuE6ELNS1_3repE0EEENS1_48merge_mergepath_partition_config_static_selectorELNS0_4arch9wavefront6targetE0EEEvSM_, .Lfunc_end519-_ZN7rocprim17ROCPRIM_400000_NS6detail17trampoline_kernelINS0_14default_configENS1_38merge_sort_block_merge_config_selectorIlNS0_10empty_typeEEEZZNS1_27merge_sort_block_merge_implIS3_PlPS5_mZN2at6native12_GLOBAL__N_124unique_dim_cuda_templateIlEESt5tupleIJNSA_6TensorESF_SF_EERKSF_lbbbEUlllE_EE10hipError_tT0_T1_T2_jT3_P12ihipStream_tbPNSt15iterator_traitsISL_E10value_typeEPNSR_ISM_E10value_typeEPSN_NS1_7vsmem_tEENKUlT_SL_SM_SN_E_clIS8_S8_S9_S9_EESK_S10_SL_SM_SN_EUlS10_E_NS1_11comp_targetILNS1_3genE2ELNS1_11target_archE906ELNS1_3gpuE6ELNS1_3repE0EEENS1_48merge_mergepath_partition_config_static_selectorELNS0_4arch9wavefront6targetE0EEEvSM_
                                        ; -- End function
	.set _ZN7rocprim17ROCPRIM_400000_NS6detail17trampoline_kernelINS0_14default_configENS1_38merge_sort_block_merge_config_selectorIlNS0_10empty_typeEEEZZNS1_27merge_sort_block_merge_implIS3_PlPS5_mZN2at6native12_GLOBAL__N_124unique_dim_cuda_templateIlEESt5tupleIJNSA_6TensorESF_SF_EERKSF_lbbbEUlllE_EE10hipError_tT0_T1_T2_jT3_P12ihipStream_tbPNSt15iterator_traitsISL_E10value_typeEPNSR_ISM_E10value_typeEPSN_NS1_7vsmem_tEENKUlT_SL_SM_SN_E_clIS8_S8_S9_S9_EESK_S10_SL_SM_SN_EUlS10_E_NS1_11comp_targetILNS1_3genE2ELNS1_11target_archE906ELNS1_3gpuE6ELNS1_3repE0EEENS1_48merge_mergepath_partition_config_static_selectorELNS0_4arch9wavefront6targetE0EEEvSM_.num_vgpr, 0
	.set _ZN7rocprim17ROCPRIM_400000_NS6detail17trampoline_kernelINS0_14default_configENS1_38merge_sort_block_merge_config_selectorIlNS0_10empty_typeEEEZZNS1_27merge_sort_block_merge_implIS3_PlPS5_mZN2at6native12_GLOBAL__N_124unique_dim_cuda_templateIlEESt5tupleIJNSA_6TensorESF_SF_EERKSF_lbbbEUlllE_EE10hipError_tT0_T1_T2_jT3_P12ihipStream_tbPNSt15iterator_traitsISL_E10value_typeEPNSR_ISM_E10value_typeEPSN_NS1_7vsmem_tEENKUlT_SL_SM_SN_E_clIS8_S8_S9_S9_EESK_S10_SL_SM_SN_EUlS10_E_NS1_11comp_targetILNS1_3genE2ELNS1_11target_archE906ELNS1_3gpuE6ELNS1_3repE0EEENS1_48merge_mergepath_partition_config_static_selectorELNS0_4arch9wavefront6targetE0EEEvSM_.num_agpr, 0
	.set _ZN7rocprim17ROCPRIM_400000_NS6detail17trampoline_kernelINS0_14default_configENS1_38merge_sort_block_merge_config_selectorIlNS0_10empty_typeEEEZZNS1_27merge_sort_block_merge_implIS3_PlPS5_mZN2at6native12_GLOBAL__N_124unique_dim_cuda_templateIlEESt5tupleIJNSA_6TensorESF_SF_EERKSF_lbbbEUlllE_EE10hipError_tT0_T1_T2_jT3_P12ihipStream_tbPNSt15iterator_traitsISL_E10value_typeEPNSR_ISM_E10value_typeEPSN_NS1_7vsmem_tEENKUlT_SL_SM_SN_E_clIS8_S8_S9_S9_EESK_S10_SL_SM_SN_EUlS10_E_NS1_11comp_targetILNS1_3genE2ELNS1_11target_archE906ELNS1_3gpuE6ELNS1_3repE0EEENS1_48merge_mergepath_partition_config_static_selectorELNS0_4arch9wavefront6targetE0EEEvSM_.numbered_sgpr, 0
	.set _ZN7rocprim17ROCPRIM_400000_NS6detail17trampoline_kernelINS0_14default_configENS1_38merge_sort_block_merge_config_selectorIlNS0_10empty_typeEEEZZNS1_27merge_sort_block_merge_implIS3_PlPS5_mZN2at6native12_GLOBAL__N_124unique_dim_cuda_templateIlEESt5tupleIJNSA_6TensorESF_SF_EERKSF_lbbbEUlllE_EE10hipError_tT0_T1_T2_jT3_P12ihipStream_tbPNSt15iterator_traitsISL_E10value_typeEPNSR_ISM_E10value_typeEPSN_NS1_7vsmem_tEENKUlT_SL_SM_SN_E_clIS8_S8_S9_S9_EESK_S10_SL_SM_SN_EUlS10_E_NS1_11comp_targetILNS1_3genE2ELNS1_11target_archE906ELNS1_3gpuE6ELNS1_3repE0EEENS1_48merge_mergepath_partition_config_static_selectorELNS0_4arch9wavefront6targetE0EEEvSM_.num_named_barrier, 0
	.set _ZN7rocprim17ROCPRIM_400000_NS6detail17trampoline_kernelINS0_14default_configENS1_38merge_sort_block_merge_config_selectorIlNS0_10empty_typeEEEZZNS1_27merge_sort_block_merge_implIS3_PlPS5_mZN2at6native12_GLOBAL__N_124unique_dim_cuda_templateIlEESt5tupleIJNSA_6TensorESF_SF_EERKSF_lbbbEUlllE_EE10hipError_tT0_T1_T2_jT3_P12ihipStream_tbPNSt15iterator_traitsISL_E10value_typeEPNSR_ISM_E10value_typeEPSN_NS1_7vsmem_tEENKUlT_SL_SM_SN_E_clIS8_S8_S9_S9_EESK_S10_SL_SM_SN_EUlS10_E_NS1_11comp_targetILNS1_3genE2ELNS1_11target_archE906ELNS1_3gpuE6ELNS1_3repE0EEENS1_48merge_mergepath_partition_config_static_selectorELNS0_4arch9wavefront6targetE0EEEvSM_.private_seg_size, 0
	.set _ZN7rocprim17ROCPRIM_400000_NS6detail17trampoline_kernelINS0_14default_configENS1_38merge_sort_block_merge_config_selectorIlNS0_10empty_typeEEEZZNS1_27merge_sort_block_merge_implIS3_PlPS5_mZN2at6native12_GLOBAL__N_124unique_dim_cuda_templateIlEESt5tupleIJNSA_6TensorESF_SF_EERKSF_lbbbEUlllE_EE10hipError_tT0_T1_T2_jT3_P12ihipStream_tbPNSt15iterator_traitsISL_E10value_typeEPNSR_ISM_E10value_typeEPSN_NS1_7vsmem_tEENKUlT_SL_SM_SN_E_clIS8_S8_S9_S9_EESK_S10_SL_SM_SN_EUlS10_E_NS1_11comp_targetILNS1_3genE2ELNS1_11target_archE906ELNS1_3gpuE6ELNS1_3repE0EEENS1_48merge_mergepath_partition_config_static_selectorELNS0_4arch9wavefront6targetE0EEEvSM_.uses_vcc, 0
	.set _ZN7rocprim17ROCPRIM_400000_NS6detail17trampoline_kernelINS0_14default_configENS1_38merge_sort_block_merge_config_selectorIlNS0_10empty_typeEEEZZNS1_27merge_sort_block_merge_implIS3_PlPS5_mZN2at6native12_GLOBAL__N_124unique_dim_cuda_templateIlEESt5tupleIJNSA_6TensorESF_SF_EERKSF_lbbbEUlllE_EE10hipError_tT0_T1_T2_jT3_P12ihipStream_tbPNSt15iterator_traitsISL_E10value_typeEPNSR_ISM_E10value_typeEPSN_NS1_7vsmem_tEENKUlT_SL_SM_SN_E_clIS8_S8_S9_S9_EESK_S10_SL_SM_SN_EUlS10_E_NS1_11comp_targetILNS1_3genE2ELNS1_11target_archE906ELNS1_3gpuE6ELNS1_3repE0EEENS1_48merge_mergepath_partition_config_static_selectorELNS0_4arch9wavefront6targetE0EEEvSM_.uses_flat_scratch, 0
	.set _ZN7rocprim17ROCPRIM_400000_NS6detail17trampoline_kernelINS0_14default_configENS1_38merge_sort_block_merge_config_selectorIlNS0_10empty_typeEEEZZNS1_27merge_sort_block_merge_implIS3_PlPS5_mZN2at6native12_GLOBAL__N_124unique_dim_cuda_templateIlEESt5tupleIJNSA_6TensorESF_SF_EERKSF_lbbbEUlllE_EE10hipError_tT0_T1_T2_jT3_P12ihipStream_tbPNSt15iterator_traitsISL_E10value_typeEPNSR_ISM_E10value_typeEPSN_NS1_7vsmem_tEENKUlT_SL_SM_SN_E_clIS8_S8_S9_S9_EESK_S10_SL_SM_SN_EUlS10_E_NS1_11comp_targetILNS1_3genE2ELNS1_11target_archE906ELNS1_3gpuE6ELNS1_3repE0EEENS1_48merge_mergepath_partition_config_static_selectorELNS0_4arch9wavefront6targetE0EEEvSM_.has_dyn_sized_stack, 0
	.set _ZN7rocprim17ROCPRIM_400000_NS6detail17trampoline_kernelINS0_14default_configENS1_38merge_sort_block_merge_config_selectorIlNS0_10empty_typeEEEZZNS1_27merge_sort_block_merge_implIS3_PlPS5_mZN2at6native12_GLOBAL__N_124unique_dim_cuda_templateIlEESt5tupleIJNSA_6TensorESF_SF_EERKSF_lbbbEUlllE_EE10hipError_tT0_T1_T2_jT3_P12ihipStream_tbPNSt15iterator_traitsISL_E10value_typeEPNSR_ISM_E10value_typeEPSN_NS1_7vsmem_tEENKUlT_SL_SM_SN_E_clIS8_S8_S9_S9_EESK_S10_SL_SM_SN_EUlS10_E_NS1_11comp_targetILNS1_3genE2ELNS1_11target_archE906ELNS1_3gpuE6ELNS1_3repE0EEENS1_48merge_mergepath_partition_config_static_selectorELNS0_4arch9wavefront6targetE0EEEvSM_.has_recursion, 0
	.set _ZN7rocprim17ROCPRIM_400000_NS6detail17trampoline_kernelINS0_14default_configENS1_38merge_sort_block_merge_config_selectorIlNS0_10empty_typeEEEZZNS1_27merge_sort_block_merge_implIS3_PlPS5_mZN2at6native12_GLOBAL__N_124unique_dim_cuda_templateIlEESt5tupleIJNSA_6TensorESF_SF_EERKSF_lbbbEUlllE_EE10hipError_tT0_T1_T2_jT3_P12ihipStream_tbPNSt15iterator_traitsISL_E10value_typeEPNSR_ISM_E10value_typeEPSN_NS1_7vsmem_tEENKUlT_SL_SM_SN_E_clIS8_S8_S9_S9_EESK_S10_SL_SM_SN_EUlS10_E_NS1_11comp_targetILNS1_3genE2ELNS1_11target_archE906ELNS1_3gpuE6ELNS1_3repE0EEENS1_48merge_mergepath_partition_config_static_selectorELNS0_4arch9wavefront6targetE0EEEvSM_.has_indirect_call, 0
	.section	.AMDGPU.csdata,"",@progbits
; Kernel info:
; codeLenInByte = 0
; TotalNumSgprs: 0
; NumVgprs: 0
; ScratchSize: 0
; MemoryBound: 0
; FloatMode: 240
; IeeeMode: 1
; LDSByteSize: 0 bytes/workgroup (compile time only)
; SGPRBlocks: 0
; VGPRBlocks: 0
; NumSGPRsForWavesPerEU: 1
; NumVGPRsForWavesPerEU: 1
; NamedBarCnt: 0
; Occupancy: 16
; WaveLimiterHint : 0
; COMPUTE_PGM_RSRC2:SCRATCH_EN: 0
; COMPUTE_PGM_RSRC2:USER_SGPR: 2
; COMPUTE_PGM_RSRC2:TRAP_HANDLER: 0
; COMPUTE_PGM_RSRC2:TGID_X_EN: 1
; COMPUTE_PGM_RSRC2:TGID_Y_EN: 0
; COMPUTE_PGM_RSRC2:TGID_Z_EN: 0
; COMPUTE_PGM_RSRC2:TIDIG_COMP_CNT: 0
	.section	.text._ZN7rocprim17ROCPRIM_400000_NS6detail17trampoline_kernelINS0_14default_configENS1_38merge_sort_block_merge_config_selectorIlNS0_10empty_typeEEEZZNS1_27merge_sort_block_merge_implIS3_PlPS5_mZN2at6native12_GLOBAL__N_124unique_dim_cuda_templateIlEESt5tupleIJNSA_6TensorESF_SF_EERKSF_lbbbEUlllE_EE10hipError_tT0_T1_T2_jT3_P12ihipStream_tbPNSt15iterator_traitsISL_E10value_typeEPNSR_ISM_E10value_typeEPSN_NS1_7vsmem_tEENKUlT_SL_SM_SN_E_clIS8_S8_S9_S9_EESK_S10_SL_SM_SN_EUlS10_E_NS1_11comp_targetILNS1_3genE9ELNS1_11target_archE1100ELNS1_3gpuE3ELNS1_3repE0EEENS1_48merge_mergepath_partition_config_static_selectorELNS0_4arch9wavefront6targetE0EEEvSM_,"axG",@progbits,_ZN7rocprim17ROCPRIM_400000_NS6detail17trampoline_kernelINS0_14default_configENS1_38merge_sort_block_merge_config_selectorIlNS0_10empty_typeEEEZZNS1_27merge_sort_block_merge_implIS3_PlPS5_mZN2at6native12_GLOBAL__N_124unique_dim_cuda_templateIlEESt5tupleIJNSA_6TensorESF_SF_EERKSF_lbbbEUlllE_EE10hipError_tT0_T1_T2_jT3_P12ihipStream_tbPNSt15iterator_traitsISL_E10value_typeEPNSR_ISM_E10value_typeEPSN_NS1_7vsmem_tEENKUlT_SL_SM_SN_E_clIS8_S8_S9_S9_EESK_S10_SL_SM_SN_EUlS10_E_NS1_11comp_targetILNS1_3genE9ELNS1_11target_archE1100ELNS1_3gpuE3ELNS1_3repE0EEENS1_48merge_mergepath_partition_config_static_selectorELNS0_4arch9wavefront6targetE0EEEvSM_,comdat
	.globl	_ZN7rocprim17ROCPRIM_400000_NS6detail17trampoline_kernelINS0_14default_configENS1_38merge_sort_block_merge_config_selectorIlNS0_10empty_typeEEEZZNS1_27merge_sort_block_merge_implIS3_PlPS5_mZN2at6native12_GLOBAL__N_124unique_dim_cuda_templateIlEESt5tupleIJNSA_6TensorESF_SF_EERKSF_lbbbEUlllE_EE10hipError_tT0_T1_T2_jT3_P12ihipStream_tbPNSt15iterator_traitsISL_E10value_typeEPNSR_ISM_E10value_typeEPSN_NS1_7vsmem_tEENKUlT_SL_SM_SN_E_clIS8_S8_S9_S9_EESK_S10_SL_SM_SN_EUlS10_E_NS1_11comp_targetILNS1_3genE9ELNS1_11target_archE1100ELNS1_3gpuE3ELNS1_3repE0EEENS1_48merge_mergepath_partition_config_static_selectorELNS0_4arch9wavefront6targetE0EEEvSM_ ; -- Begin function _ZN7rocprim17ROCPRIM_400000_NS6detail17trampoline_kernelINS0_14default_configENS1_38merge_sort_block_merge_config_selectorIlNS0_10empty_typeEEEZZNS1_27merge_sort_block_merge_implIS3_PlPS5_mZN2at6native12_GLOBAL__N_124unique_dim_cuda_templateIlEESt5tupleIJNSA_6TensorESF_SF_EERKSF_lbbbEUlllE_EE10hipError_tT0_T1_T2_jT3_P12ihipStream_tbPNSt15iterator_traitsISL_E10value_typeEPNSR_ISM_E10value_typeEPSN_NS1_7vsmem_tEENKUlT_SL_SM_SN_E_clIS8_S8_S9_S9_EESK_S10_SL_SM_SN_EUlS10_E_NS1_11comp_targetILNS1_3genE9ELNS1_11target_archE1100ELNS1_3gpuE3ELNS1_3repE0EEENS1_48merge_mergepath_partition_config_static_selectorELNS0_4arch9wavefront6targetE0EEEvSM_
	.p2align	8
	.type	_ZN7rocprim17ROCPRIM_400000_NS6detail17trampoline_kernelINS0_14default_configENS1_38merge_sort_block_merge_config_selectorIlNS0_10empty_typeEEEZZNS1_27merge_sort_block_merge_implIS3_PlPS5_mZN2at6native12_GLOBAL__N_124unique_dim_cuda_templateIlEESt5tupleIJNSA_6TensorESF_SF_EERKSF_lbbbEUlllE_EE10hipError_tT0_T1_T2_jT3_P12ihipStream_tbPNSt15iterator_traitsISL_E10value_typeEPNSR_ISM_E10value_typeEPSN_NS1_7vsmem_tEENKUlT_SL_SM_SN_E_clIS8_S8_S9_S9_EESK_S10_SL_SM_SN_EUlS10_E_NS1_11comp_targetILNS1_3genE9ELNS1_11target_archE1100ELNS1_3gpuE3ELNS1_3repE0EEENS1_48merge_mergepath_partition_config_static_selectorELNS0_4arch9wavefront6targetE0EEEvSM_,@function
_ZN7rocprim17ROCPRIM_400000_NS6detail17trampoline_kernelINS0_14default_configENS1_38merge_sort_block_merge_config_selectorIlNS0_10empty_typeEEEZZNS1_27merge_sort_block_merge_implIS3_PlPS5_mZN2at6native12_GLOBAL__N_124unique_dim_cuda_templateIlEESt5tupleIJNSA_6TensorESF_SF_EERKSF_lbbbEUlllE_EE10hipError_tT0_T1_T2_jT3_P12ihipStream_tbPNSt15iterator_traitsISL_E10value_typeEPNSR_ISM_E10value_typeEPSN_NS1_7vsmem_tEENKUlT_SL_SM_SN_E_clIS8_S8_S9_S9_EESK_S10_SL_SM_SN_EUlS10_E_NS1_11comp_targetILNS1_3genE9ELNS1_11target_archE1100ELNS1_3gpuE3ELNS1_3repE0EEENS1_48merge_mergepath_partition_config_static_selectorELNS0_4arch9wavefront6targetE0EEEvSM_: ; @_ZN7rocprim17ROCPRIM_400000_NS6detail17trampoline_kernelINS0_14default_configENS1_38merge_sort_block_merge_config_selectorIlNS0_10empty_typeEEEZZNS1_27merge_sort_block_merge_implIS3_PlPS5_mZN2at6native12_GLOBAL__N_124unique_dim_cuda_templateIlEESt5tupleIJNSA_6TensorESF_SF_EERKSF_lbbbEUlllE_EE10hipError_tT0_T1_T2_jT3_P12ihipStream_tbPNSt15iterator_traitsISL_E10value_typeEPNSR_ISM_E10value_typeEPSN_NS1_7vsmem_tEENKUlT_SL_SM_SN_E_clIS8_S8_S9_S9_EESK_S10_SL_SM_SN_EUlS10_E_NS1_11comp_targetILNS1_3genE9ELNS1_11target_archE1100ELNS1_3gpuE3ELNS1_3repE0EEENS1_48merge_mergepath_partition_config_static_selectorELNS0_4arch9wavefront6targetE0EEEvSM_
; %bb.0:
	.section	.rodata,"a",@progbits
	.p2align	6, 0x0
	.amdhsa_kernel _ZN7rocprim17ROCPRIM_400000_NS6detail17trampoline_kernelINS0_14default_configENS1_38merge_sort_block_merge_config_selectorIlNS0_10empty_typeEEEZZNS1_27merge_sort_block_merge_implIS3_PlPS5_mZN2at6native12_GLOBAL__N_124unique_dim_cuda_templateIlEESt5tupleIJNSA_6TensorESF_SF_EERKSF_lbbbEUlllE_EE10hipError_tT0_T1_T2_jT3_P12ihipStream_tbPNSt15iterator_traitsISL_E10value_typeEPNSR_ISM_E10value_typeEPSN_NS1_7vsmem_tEENKUlT_SL_SM_SN_E_clIS8_S8_S9_S9_EESK_S10_SL_SM_SN_EUlS10_E_NS1_11comp_targetILNS1_3genE9ELNS1_11target_archE1100ELNS1_3gpuE3ELNS1_3repE0EEENS1_48merge_mergepath_partition_config_static_selectorELNS0_4arch9wavefront6targetE0EEEvSM_
		.amdhsa_group_segment_fixed_size 0
		.amdhsa_private_segment_fixed_size 0
		.amdhsa_kernarg_size 56
		.amdhsa_user_sgpr_count 2
		.amdhsa_user_sgpr_dispatch_ptr 0
		.amdhsa_user_sgpr_queue_ptr 0
		.amdhsa_user_sgpr_kernarg_segment_ptr 1
		.amdhsa_user_sgpr_dispatch_id 0
		.amdhsa_user_sgpr_kernarg_preload_length 0
		.amdhsa_user_sgpr_kernarg_preload_offset 0
		.amdhsa_user_sgpr_private_segment_size 0
		.amdhsa_wavefront_size32 1
		.amdhsa_uses_dynamic_stack 0
		.amdhsa_enable_private_segment 0
		.amdhsa_system_sgpr_workgroup_id_x 1
		.amdhsa_system_sgpr_workgroup_id_y 0
		.amdhsa_system_sgpr_workgroup_id_z 0
		.amdhsa_system_sgpr_workgroup_info 0
		.amdhsa_system_vgpr_workitem_id 0
		.amdhsa_next_free_vgpr 1
		.amdhsa_next_free_sgpr 1
		.amdhsa_named_barrier_count 0
		.amdhsa_reserve_vcc 0
		.amdhsa_float_round_mode_32 0
		.amdhsa_float_round_mode_16_64 0
		.amdhsa_float_denorm_mode_32 3
		.amdhsa_float_denorm_mode_16_64 3
		.amdhsa_fp16_overflow 0
		.amdhsa_memory_ordered 1
		.amdhsa_forward_progress 1
		.amdhsa_inst_pref_size 0
		.amdhsa_round_robin_scheduling 0
		.amdhsa_exception_fp_ieee_invalid_op 0
		.amdhsa_exception_fp_denorm_src 0
		.amdhsa_exception_fp_ieee_div_zero 0
		.amdhsa_exception_fp_ieee_overflow 0
		.amdhsa_exception_fp_ieee_underflow 0
		.amdhsa_exception_fp_ieee_inexact 0
		.amdhsa_exception_int_div_zero 0
	.end_amdhsa_kernel
	.section	.text._ZN7rocprim17ROCPRIM_400000_NS6detail17trampoline_kernelINS0_14default_configENS1_38merge_sort_block_merge_config_selectorIlNS0_10empty_typeEEEZZNS1_27merge_sort_block_merge_implIS3_PlPS5_mZN2at6native12_GLOBAL__N_124unique_dim_cuda_templateIlEESt5tupleIJNSA_6TensorESF_SF_EERKSF_lbbbEUlllE_EE10hipError_tT0_T1_T2_jT3_P12ihipStream_tbPNSt15iterator_traitsISL_E10value_typeEPNSR_ISM_E10value_typeEPSN_NS1_7vsmem_tEENKUlT_SL_SM_SN_E_clIS8_S8_S9_S9_EESK_S10_SL_SM_SN_EUlS10_E_NS1_11comp_targetILNS1_3genE9ELNS1_11target_archE1100ELNS1_3gpuE3ELNS1_3repE0EEENS1_48merge_mergepath_partition_config_static_selectorELNS0_4arch9wavefront6targetE0EEEvSM_,"axG",@progbits,_ZN7rocprim17ROCPRIM_400000_NS6detail17trampoline_kernelINS0_14default_configENS1_38merge_sort_block_merge_config_selectorIlNS0_10empty_typeEEEZZNS1_27merge_sort_block_merge_implIS3_PlPS5_mZN2at6native12_GLOBAL__N_124unique_dim_cuda_templateIlEESt5tupleIJNSA_6TensorESF_SF_EERKSF_lbbbEUlllE_EE10hipError_tT0_T1_T2_jT3_P12ihipStream_tbPNSt15iterator_traitsISL_E10value_typeEPNSR_ISM_E10value_typeEPSN_NS1_7vsmem_tEENKUlT_SL_SM_SN_E_clIS8_S8_S9_S9_EESK_S10_SL_SM_SN_EUlS10_E_NS1_11comp_targetILNS1_3genE9ELNS1_11target_archE1100ELNS1_3gpuE3ELNS1_3repE0EEENS1_48merge_mergepath_partition_config_static_selectorELNS0_4arch9wavefront6targetE0EEEvSM_,comdat
.Lfunc_end520:
	.size	_ZN7rocprim17ROCPRIM_400000_NS6detail17trampoline_kernelINS0_14default_configENS1_38merge_sort_block_merge_config_selectorIlNS0_10empty_typeEEEZZNS1_27merge_sort_block_merge_implIS3_PlPS5_mZN2at6native12_GLOBAL__N_124unique_dim_cuda_templateIlEESt5tupleIJNSA_6TensorESF_SF_EERKSF_lbbbEUlllE_EE10hipError_tT0_T1_T2_jT3_P12ihipStream_tbPNSt15iterator_traitsISL_E10value_typeEPNSR_ISM_E10value_typeEPSN_NS1_7vsmem_tEENKUlT_SL_SM_SN_E_clIS8_S8_S9_S9_EESK_S10_SL_SM_SN_EUlS10_E_NS1_11comp_targetILNS1_3genE9ELNS1_11target_archE1100ELNS1_3gpuE3ELNS1_3repE0EEENS1_48merge_mergepath_partition_config_static_selectorELNS0_4arch9wavefront6targetE0EEEvSM_, .Lfunc_end520-_ZN7rocprim17ROCPRIM_400000_NS6detail17trampoline_kernelINS0_14default_configENS1_38merge_sort_block_merge_config_selectorIlNS0_10empty_typeEEEZZNS1_27merge_sort_block_merge_implIS3_PlPS5_mZN2at6native12_GLOBAL__N_124unique_dim_cuda_templateIlEESt5tupleIJNSA_6TensorESF_SF_EERKSF_lbbbEUlllE_EE10hipError_tT0_T1_T2_jT3_P12ihipStream_tbPNSt15iterator_traitsISL_E10value_typeEPNSR_ISM_E10value_typeEPSN_NS1_7vsmem_tEENKUlT_SL_SM_SN_E_clIS8_S8_S9_S9_EESK_S10_SL_SM_SN_EUlS10_E_NS1_11comp_targetILNS1_3genE9ELNS1_11target_archE1100ELNS1_3gpuE3ELNS1_3repE0EEENS1_48merge_mergepath_partition_config_static_selectorELNS0_4arch9wavefront6targetE0EEEvSM_
                                        ; -- End function
	.set _ZN7rocprim17ROCPRIM_400000_NS6detail17trampoline_kernelINS0_14default_configENS1_38merge_sort_block_merge_config_selectorIlNS0_10empty_typeEEEZZNS1_27merge_sort_block_merge_implIS3_PlPS5_mZN2at6native12_GLOBAL__N_124unique_dim_cuda_templateIlEESt5tupleIJNSA_6TensorESF_SF_EERKSF_lbbbEUlllE_EE10hipError_tT0_T1_T2_jT3_P12ihipStream_tbPNSt15iterator_traitsISL_E10value_typeEPNSR_ISM_E10value_typeEPSN_NS1_7vsmem_tEENKUlT_SL_SM_SN_E_clIS8_S8_S9_S9_EESK_S10_SL_SM_SN_EUlS10_E_NS1_11comp_targetILNS1_3genE9ELNS1_11target_archE1100ELNS1_3gpuE3ELNS1_3repE0EEENS1_48merge_mergepath_partition_config_static_selectorELNS0_4arch9wavefront6targetE0EEEvSM_.num_vgpr, 0
	.set _ZN7rocprim17ROCPRIM_400000_NS6detail17trampoline_kernelINS0_14default_configENS1_38merge_sort_block_merge_config_selectorIlNS0_10empty_typeEEEZZNS1_27merge_sort_block_merge_implIS3_PlPS5_mZN2at6native12_GLOBAL__N_124unique_dim_cuda_templateIlEESt5tupleIJNSA_6TensorESF_SF_EERKSF_lbbbEUlllE_EE10hipError_tT0_T1_T2_jT3_P12ihipStream_tbPNSt15iterator_traitsISL_E10value_typeEPNSR_ISM_E10value_typeEPSN_NS1_7vsmem_tEENKUlT_SL_SM_SN_E_clIS8_S8_S9_S9_EESK_S10_SL_SM_SN_EUlS10_E_NS1_11comp_targetILNS1_3genE9ELNS1_11target_archE1100ELNS1_3gpuE3ELNS1_3repE0EEENS1_48merge_mergepath_partition_config_static_selectorELNS0_4arch9wavefront6targetE0EEEvSM_.num_agpr, 0
	.set _ZN7rocprim17ROCPRIM_400000_NS6detail17trampoline_kernelINS0_14default_configENS1_38merge_sort_block_merge_config_selectorIlNS0_10empty_typeEEEZZNS1_27merge_sort_block_merge_implIS3_PlPS5_mZN2at6native12_GLOBAL__N_124unique_dim_cuda_templateIlEESt5tupleIJNSA_6TensorESF_SF_EERKSF_lbbbEUlllE_EE10hipError_tT0_T1_T2_jT3_P12ihipStream_tbPNSt15iterator_traitsISL_E10value_typeEPNSR_ISM_E10value_typeEPSN_NS1_7vsmem_tEENKUlT_SL_SM_SN_E_clIS8_S8_S9_S9_EESK_S10_SL_SM_SN_EUlS10_E_NS1_11comp_targetILNS1_3genE9ELNS1_11target_archE1100ELNS1_3gpuE3ELNS1_3repE0EEENS1_48merge_mergepath_partition_config_static_selectorELNS0_4arch9wavefront6targetE0EEEvSM_.numbered_sgpr, 0
	.set _ZN7rocprim17ROCPRIM_400000_NS6detail17trampoline_kernelINS0_14default_configENS1_38merge_sort_block_merge_config_selectorIlNS0_10empty_typeEEEZZNS1_27merge_sort_block_merge_implIS3_PlPS5_mZN2at6native12_GLOBAL__N_124unique_dim_cuda_templateIlEESt5tupleIJNSA_6TensorESF_SF_EERKSF_lbbbEUlllE_EE10hipError_tT0_T1_T2_jT3_P12ihipStream_tbPNSt15iterator_traitsISL_E10value_typeEPNSR_ISM_E10value_typeEPSN_NS1_7vsmem_tEENKUlT_SL_SM_SN_E_clIS8_S8_S9_S9_EESK_S10_SL_SM_SN_EUlS10_E_NS1_11comp_targetILNS1_3genE9ELNS1_11target_archE1100ELNS1_3gpuE3ELNS1_3repE0EEENS1_48merge_mergepath_partition_config_static_selectorELNS0_4arch9wavefront6targetE0EEEvSM_.num_named_barrier, 0
	.set _ZN7rocprim17ROCPRIM_400000_NS6detail17trampoline_kernelINS0_14default_configENS1_38merge_sort_block_merge_config_selectorIlNS0_10empty_typeEEEZZNS1_27merge_sort_block_merge_implIS3_PlPS5_mZN2at6native12_GLOBAL__N_124unique_dim_cuda_templateIlEESt5tupleIJNSA_6TensorESF_SF_EERKSF_lbbbEUlllE_EE10hipError_tT0_T1_T2_jT3_P12ihipStream_tbPNSt15iterator_traitsISL_E10value_typeEPNSR_ISM_E10value_typeEPSN_NS1_7vsmem_tEENKUlT_SL_SM_SN_E_clIS8_S8_S9_S9_EESK_S10_SL_SM_SN_EUlS10_E_NS1_11comp_targetILNS1_3genE9ELNS1_11target_archE1100ELNS1_3gpuE3ELNS1_3repE0EEENS1_48merge_mergepath_partition_config_static_selectorELNS0_4arch9wavefront6targetE0EEEvSM_.private_seg_size, 0
	.set _ZN7rocprim17ROCPRIM_400000_NS6detail17trampoline_kernelINS0_14default_configENS1_38merge_sort_block_merge_config_selectorIlNS0_10empty_typeEEEZZNS1_27merge_sort_block_merge_implIS3_PlPS5_mZN2at6native12_GLOBAL__N_124unique_dim_cuda_templateIlEESt5tupleIJNSA_6TensorESF_SF_EERKSF_lbbbEUlllE_EE10hipError_tT0_T1_T2_jT3_P12ihipStream_tbPNSt15iterator_traitsISL_E10value_typeEPNSR_ISM_E10value_typeEPSN_NS1_7vsmem_tEENKUlT_SL_SM_SN_E_clIS8_S8_S9_S9_EESK_S10_SL_SM_SN_EUlS10_E_NS1_11comp_targetILNS1_3genE9ELNS1_11target_archE1100ELNS1_3gpuE3ELNS1_3repE0EEENS1_48merge_mergepath_partition_config_static_selectorELNS0_4arch9wavefront6targetE0EEEvSM_.uses_vcc, 0
	.set _ZN7rocprim17ROCPRIM_400000_NS6detail17trampoline_kernelINS0_14default_configENS1_38merge_sort_block_merge_config_selectorIlNS0_10empty_typeEEEZZNS1_27merge_sort_block_merge_implIS3_PlPS5_mZN2at6native12_GLOBAL__N_124unique_dim_cuda_templateIlEESt5tupleIJNSA_6TensorESF_SF_EERKSF_lbbbEUlllE_EE10hipError_tT0_T1_T2_jT3_P12ihipStream_tbPNSt15iterator_traitsISL_E10value_typeEPNSR_ISM_E10value_typeEPSN_NS1_7vsmem_tEENKUlT_SL_SM_SN_E_clIS8_S8_S9_S9_EESK_S10_SL_SM_SN_EUlS10_E_NS1_11comp_targetILNS1_3genE9ELNS1_11target_archE1100ELNS1_3gpuE3ELNS1_3repE0EEENS1_48merge_mergepath_partition_config_static_selectorELNS0_4arch9wavefront6targetE0EEEvSM_.uses_flat_scratch, 0
	.set _ZN7rocprim17ROCPRIM_400000_NS6detail17trampoline_kernelINS0_14default_configENS1_38merge_sort_block_merge_config_selectorIlNS0_10empty_typeEEEZZNS1_27merge_sort_block_merge_implIS3_PlPS5_mZN2at6native12_GLOBAL__N_124unique_dim_cuda_templateIlEESt5tupleIJNSA_6TensorESF_SF_EERKSF_lbbbEUlllE_EE10hipError_tT0_T1_T2_jT3_P12ihipStream_tbPNSt15iterator_traitsISL_E10value_typeEPNSR_ISM_E10value_typeEPSN_NS1_7vsmem_tEENKUlT_SL_SM_SN_E_clIS8_S8_S9_S9_EESK_S10_SL_SM_SN_EUlS10_E_NS1_11comp_targetILNS1_3genE9ELNS1_11target_archE1100ELNS1_3gpuE3ELNS1_3repE0EEENS1_48merge_mergepath_partition_config_static_selectorELNS0_4arch9wavefront6targetE0EEEvSM_.has_dyn_sized_stack, 0
	.set _ZN7rocprim17ROCPRIM_400000_NS6detail17trampoline_kernelINS0_14default_configENS1_38merge_sort_block_merge_config_selectorIlNS0_10empty_typeEEEZZNS1_27merge_sort_block_merge_implIS3_PlPS5_mZN2at6native12_GLOBAL__N_124unique_dim_cuda_templateIlEESt5tupleIJNSA_6TensorESF_SF_EERKSF_lbbbEUlllE_EE10hipError_tT0_T1_T2_jT3_P12ihipStream_tbPNSt15iterator_traitsISL_E10value_typeEPNSR_ISM_E10value_typeEPSN_NS1_7vsmem_tEENKUlT_SL_SM_SN_E_clIS8_S8_S9_S9_EESK_S10_SL_SM_SN_EUlS10_E_NS1_11comp_targetILNS1_3genE9ELNS1_11target_archE1100ELNS1_3gpuE3ELNS1_3repE0EEENS1_48merge_mergepath_partition_config_static_selectorELNS0_4arch9wavefront6targetE0EEEvSM_.has_recursion, 0
	.set _ZN7rocprim17ROCPRIM_400000_NS6detail17trampoline_kernelINS0_14default_configENS1_38merge_sort_block_merge_config_selectorIlNS0_10empty_typeEEEZZNS1_27merge_sort_block_merge_implIS3_PlPS5_mZN2at6native12_GLOBAL__N_124unique_dim_cuda_templateIlEESt5tupleIJNSA_6TensorESF_SF_EERKSF_lbbbEUlllE_EE10hipError_tT0_T1_T2_jT3_P12ihipStream_tbPNSt15iterator_traitsISL_E10value_typeEPNSR_ISM_E10value_typeEPSN_NS1_7vsmem_tEENKUlT_SL_SM_SN_E_clIS8_S8_S9_S9_EESK_S10_SL_SM_SN_EUlS10_E_NS1_11comp_targetILNS1_3genE9ELNS1_11target_archE1100ELNS1_3gpuE3ELNS1_3repE0EEENS1_48merge_mergepath_partition_config_static_selectorELNS0_4arch9wavefront6targetE0EEEvSM_.has_indirect_call, 0
	.section	.AMDGPU.csdata,"",@progbits
; Kernel info:
; codeLenInByte = 0
; TotalNumSgprs: 0
; NumVgprs: 0
; ScratchSize: 0
; MemoryBound: 0
; FloatMode: 240
; IeeeMode: 1
; LDSByteSize: 0 bytes/workgroup (compile time only)
; SGPRBlocks: 0
; VGPRBlocks: 0
; NumSGPRsForWavesPerEU: 1
; NumVGPRsForWavesPerEU: 1
; NamedBarCnt: 0
; Occupancy: 16
; WaveLimiterHint : 0
; COMPUTE_PGM_RSRC2:SCRATCH_EN: 0
; COMPUTE_PGM_RSRC2:USER_SGPR: 2
; COMPUTE_PGM_RSRC2:TRAP_HANDLER: 0
; COMPUTE_PGM_RSRC2:TGID_X_EN: 1
; COMPUTE_PGM_RSRC2:TGID_Y_EN: 0
; COMPUTE_PGM_RSRC2:TGID_Z_EN: 0
; COMPUTE_PGM_RSRC2:TIDIG_COMP_CNT: 0
	.section	.text._ZN7rocprim17ROCPRIM_400000_NS6detail17trampoline_kernelINS0_14default_configENS1_38merge_sort_block_merge_config_selectorIlNS0_10empty_typeEEEZZNS1_27merge_sort_block_merge_implIS3_PlPS5_mZN2at6native12_GLOBAL__N_124unique_dim_cuda_templateIlEESt5tupleIJNSA_6TensorESF_SF_EERKSF_lbbbEUlllE_EE10hipError_tT0_T1_T2_jT3_P12ihipStream_tbPNSt15iterator_traitsISL_E10value_typeEPNSR_ISM_E10value_typeEPSN_NS1_7vsmem_tEENKUlT_SL_SM_SN_E_clIS8_S8_S9_S9_EESK_S10_SL_SM_SN_EUlS10_E_NS1_11comp_targetILNS1_3genE8ELNS1_11target_archE1030ELNS1_3gpuE2ELNS1_3repE0EEENS1_48merge_mergepath_partition_config_static_selectorELNS0_4arch9wavefront6targetE0EEEvSM_,"axG",@progbits,_ZN7rocprim17ROCPRIM_400000_NS6detail17trampoline_kernelINS0_14default_configENS1_38merge_sort_block_merge_config_selectorIlNS0_10empty_typeEEEZZNS1_27merge_sort_block_merge_implIS3_PlPS5_mZN2at6native12_GLOBAL__N_124unique_dim_cuda_templateIlEESt5tupleIJNSA_6TensorESF_SF_EERKSF_lbbbEUlllE_EE10hipError_tT0_T1_T2_jT3_P12ihipStream_tbPNSt15iterator_traitsISL_E10value_typeEPNSR_ISM_E10value_typeEPSN_NS1_7vsmem_tEENKUlT_SL_SM_SN_E_clIS8_S8_S9_S9_EESK_S10_SL_SM_SN_EUlS10_E_NS1_11comp_targetILNS1_3genE8ELNS1_11target_archE1030ELNS1_3gpuE2ELNS1_3repE0EEENS1_48merge_mergepath_partition_config_static_selectorELNS0_4arch9wavefront6targetE0EEEvSM_,comdat
	.globl	_ZN7rocprim17ROCPRIM_400000_NS6detail17trampoline_kernelINS0_14default_configENS1_38merge_sort_block_merge_config_selectorIlNS0_10empty_typeEEEZZNS1_27merge_sort_block_merge_implIS3_PlPS5_mZN2at6native12_GLOBAL__N_124unique_dim_cuda_templateIlEESt5tupleIJNSA_6TensorESF_SF_EERKSF_lbbbEUlllE_EE10hipError_tT0_T1_T2_jT3_P12ihipStream_tbPNSt15iterator_traitsISL_E10value_typeEPNSR_ISM_E10value_typeEPSN_NS1_7vsmem_tEENKUlT_SL_SM_SN_E_clIS8_S8_S9_S9_EESK_S10_SL_SM_SN_EUlS10_E_NS1_11comp_targetILNS1_3genE8ELNS1_11target_archE1030ELNS1_3gpuE2ELNS1_3repE0EEENS1_48merge_mergepath_partition_config_static_selectorELNS0_4arch9wavefront6targetE0EEEvSM_ ; -- Begin function _ZN7rocprim17ROCPRIM_400000_NS6detail17trampoline_kernelINS0_14default_configENS1_38merge_sort_block_merge_config_selectorIlNS0_10empty_typeEEEZZNS1_27merge_sort_block_merge_implIS3_PlPS5_mZN2at6native12_GLOBAL__N_124unique_dim_cuda_templateIlEESt5tupleIJNSA_6TensorESF_SF_EERKSF_lbbbEUlllE_EE10hipError_tT0_T1_T2_jT3_P12ihipStream_tbPNSt15iterator_traitsISL_E10value_typeEPNSR_ISM_E10value_typeEPSN_NS1_7vsmem_tEENKUlT_SL_SM_SN_E_clIS8_S8_S9_S9_EESK_S10_SL_SM_SN_EUlS10_E_NS1_11comp_targetILNS1_3genE8ELNS1_11target_archE1030ELNS1_3gpuE2ELNS1_3repE0EEENS1_48merge_mergepath_partition_config_static_selectorELNS0_4arch9wavefront6targetE0EEEvSM_
	.p2align	8
	.type	_ZN7rocprim17ROCPRIM_400000_NS6detail17trampoline_kernelINS0_14default_configENS1_38merge_sort_block_merge_config_selectorIlNS0_10empty_typeEEEZZNS1_27merge_sort_block_merge_implIS3_PlPS5_mZN2at6native12_GLOBAL__N_124unique_dim_cuda_templateIlEESt5tupleIJNSA_6TensorESF_SF_EERKSF_lbbbEUlllE_EE10hipError_tT0_T1_T2_jT3_P12ihipStream_tbPNSt15iterator_traitsISL_E10value_typeEPNSR_ISM_E10value_typeEPSN_NS1_7vsmem_tEENKUlT_SL_SM_SN_E_clIS8_S8_S9_S9_EESK_S10_SL_SM_SN_EUlS10_E_NS1_11comp_targetILNS1_3genE8ELNS1_11target_archE1030ELNS1_3gpuE2ELNS1_3repE0EEENS1_48merge_mergepath_partition_config_static_selectorELNS0_4arch9wavefront6targetE0EEEvSM_,@function
_ZN7rocprim17ROCPRIM_400000_NS6detail17trampoline_kernelINS0_14default_configENS1_38merge_sort_block_merge_config_selectorIlNS0_10empty_typeEEEZZNS1_27merge_sort_block_merge_implIS3_PlPS5_mZN2at6native12_GLOBAL__N_124unique_dim_cuda_templateIlEESt5tupleIJNSA_6TensorESF_SF_EERKSF_lbbbEUlllE_EE10hipError_tT0_T1_T2_jT3_P12ihipStream_tbPNSt15iterator_traitsISL_E10value_typeEPNSR_ISM_E10value_typeEPSN_NS1_7vsmem_tEENKUlT_SL_SM_SN_E_clIS8_S8_S9_S9_EESK_S10_SL_SM_SN_EUlS10_E_NS1_11comp_targetILNS1_3genE8ELNS1_11target_archE1030ELNS1_3gpuE2ELNS1_3repE0EEENS1_48merge_mergepath_partition_config_static_selectorELNS0_4arch9wavefront6targetE0EEEvSM_: ; @_ZN7rocprim17ROCPRIM_400000_NS6detail17trampoline_kernelINS0_14default_configENS1_38merge_sort_block_merge_config_selectorIlNS0_10empty_typeEEEZZNS1_27merge_sort_block_merge_implIS3_PlPS5_mZN2at6native12_GLOBAL__N_124unique_dim_cuda_templateIlEESt5tupleIJNSA_6TensorESF_SF_EERKSF_lbbbEUlllE_EE10hipError_tT0_T1_T2_jT3_P12ihipStream_tbPNSt15iterator_traitsISL_E10value_typeEPNSR_ISM_E10value_typeEPSN_NS1_7vsmem_tEENKUlT_SL_SM_SN_E_clIS8_S8_S9_S9_EESK_S10_SL_SM_SN_EUlS10_E_NS1_11comp_targetILNS1_3genE8ELNS1_11target_archE1030ELNS1_3gpuE2ELNS1_3repE0EEENS1_48merge_mergepath_partition_config_static_selectorELNS0_4arch9wavefront6targetE0EEEvSM_
; %bb.0:
	.section	.rodata,"a",@progbits
	.p2align	6, 0x0
	.amdhsa_kernel _ZN7rocprim17ROCPRIM_400000_NS6detail17trampoline_kernelINS0_14default_configENS1_38merge_sort_block_merge_config_selectorIlNS0_10empty_typeEEEZZNS1_27merge_sort_block_merge_implIS3_PlPS5_mZN2at6native12_GLOBAL__N_124unique_dim_cuda_templateIlEESt5tupleIJNSA_6TensorESF_SF_EERKSF_lbbbEUlllE_EE10hipError_tT0_T1_T2_jT3_P12ihipStream_tbPNSt15iterator_traitsISL_E10value_typeEPNSR_ISM_E10value_typeEPSN_NS1_7vsmem_tEENKUlT_SL_SM_SN_E_clIS8_S8_S9_S9_EESK_S10_SL_SM_SN_EUlS10_E_NS1_11comp_targetILNS1_3genE8ELNS1_11target_archE1030ELNS1_3gpuE2ELNS1_3repE0EEENS1_48merge_mergepath_partition_config_static_selectorELNS0_4arch9wavefront6targetE0EEEvSM_
		.amdhsa_group_segment_fixed_size 0
		.amdhsa_private_segment_fixed_size 0
		.amdhsa_kernarg_size 56
		.amdhsa_user_sgpr_count 2
		.amdhsa_user_sgpr_dispatch_ptr 0
		.amdhsa_user_sgpr_queue_ptr 0
		.amdhsa_user_sgpr_kernarg_segment_ptr 1
		.amdhsa_user_sgpr_dispatch_id 0
		.amdhsa_user_sgpr_kernarg_preload_length 0
		.amdhsa_user_sgpr_kernarg_preload_offset 0
		.amdhsa_user_sgpr_private_segment_size 0
		.amdhsa_wavefront_size32 1
		.amdhsa_uses_dynamic_stack 0
		.amdhsa_enable_private_segment 0
		.amdhsa_system_sgpr_workgroup_id_x 1
		.amdhsa_system_sgpr_workgroup_id_y 0
		.amdhsa_system_sgpr_workgroup_id_z 0
		.amdhsa_system_sgpr_workgroup_info 0
		.amdhsa_system_vgpr_workitem_id 0
		.amdhsa_next_free_vgpr 1
		.amdhsa_next_free_sgpr 1
		.amdhsa_named_barrier_count 0
		.amdhsa_reserve_vcc 0
		.amdhsa_float_round_mode_32 0
		.amdhsa_float_round_mode_16_64 0
		.amdhsa_float_denorm_mode_32 3
		.amdhsa_float_denorm_mode_16_64 3
		.amdhsa_fp16_overflow 0
		.amdhsa_memory_ordered 1
		.amdhsa_forward_progress 1
		.amdhsa_inst_pref_size 0
		.amdhsa_round_robin_scheduling 0
		.amdhsa_exception_fp_ieee_invalid_op 0
		.amdhsa_exception_fp_denorm_src 0
		.amdhsa_exception_fp_ieee_div_zero 0
		.amdhsa_exception_fp_ieee_overflow 0
		.amdhsa_exception_fp_ieee_underflow 0
		.amdhsa_exception_fp_ieee_inexact 0
		.amdhsa_exception_int_div_zero 0
	.end_amdhsa_kernel
	.section	.text._ZN7rocprim17ROCPRIM_400000_NS6detail17trampoline_kernelINS0_14default_configENS1_38merge_sort_block_merge_config_selectorIlNS0_10empty_typeEEEZZNS1_27merge_sort_block_merge_implIS3_PlPS5_mZN2at6native12_GLOBAL__N_124unique_dim_cuda_templateIlEESt5tupleIJNSA_6TensorESF_SF_EERKSF_lbbbEUlllE_EE10hipError_tT0_T1_T2_jT3_P12ihipStream_tbPNSt15iterator_traitsISL_E10value_typeEPNSR_ISM_E10value_typeEPSN_NS1_7vsmem_tEENKUlT_SL_SM_SN_E_clIS8_S8_S9_S9_EESK_S10_SL_SM_SN_EUlS10_E_NS1_11comp_targetILNS1_3genE8ELNS1_11target_archE1030ELNS1_3gpuE2ELNS1_3repE0EEENS1_48merge_mergepath_partition_config_static_selectorELNS0_4arch9wavefront6targetE0EEEvSM_,"axG",@progbits,_ZN7rocprim17ROCPRIM_400000_NS6detail17trampoline_kernelINS0_14default_configENS1_38merge_sort_block_merge_config_selectorIlNS0_10empty_typeEEEZZNS1_27merge_sort_block_merge_implIS3_PlPS5_mZN2at6native12_GLOBAL__N_124unique_dim_cuda_templateIlEESt5tupleIJNSA_6TensorESF_SF_EERKSF_lbbbEUlllE_EE10hipError_tT0_T1_T2_jT3_P12ihipStream_tbPNSt15iterator_traitsISL_E10value_typeEPNSR_ISM_E10value_typeEPSN_NS1_7vsmem_tEENKUlT_SL_SM_SN_E_clIS8_S8_S9_S9_EESK_S10_SL_SM_SN_EUlS10_E_NS1_11comp_targetILNS1_3genE8ELNS1_11target_archE1030ELNS1_3gpuE2ELNS1_3repE0EEENS1_48merge_mergepath_partition_config_static_selectorELNS0_4arch9wavefront6targetE0EEEvSM_,comdat
.Lfunc_end521:
	.size	_ZN7rocprim17ROCPRIM_400000_NS6detail17trampoline_kernelINS0_14default_configENS1_38merge_sort_block_merge_config_selectorIlNS0_10empty_typeEEEZZNS1_27merge_sort_block_merge_implIS3_PlPS5_mZN2at6native12_GLOBAL__N_124unique_dim_cuda_templateIlEESt5tupleIJNSA_6TensorESF_SF_EERKSF_lbbbEUlllE_EE10hipError_tT0_T1_T2_jT3_P12ihipStream_tbPNSt15iterator_traitsISL_E10value_typeEPNSR_ISM_E10value_typeEPSN_NS1_7vsmem_tEENKUlT_SL_SM_SN_E_clIS8_S8_S9_S9_EESK_S10_SL_SM_SN_EUlS10_E_NS1_11comp_targetILNS1_3genE8ELNS1_11target_archE1030ELNS1_3gpuE2ELNS1_3repE0EEENS1_48merge_mergepath_partition_config_static_selectorELNS0_4arch9wavefront6targetE0EEEvSM_, .Lfunc_end521-_ZN7rocprim17ROCPRIM_400000_NS6detail17trampoline_kernelINS0_14default_configENS1_38merge_sort_block_merge_config_selectorIlNS0_10empty_typeEEEZZNS1_27merge_sort_block_merge_implIS3_PlPS5_mZN2at6native12_GLOBAL__N_124unique_dim_cuda_templateIlEESt5tupleIJNSA_6TensorESF_SF_EERKSF_lbbbEUlllE_EE10hipError_tT0_T1_T2_jT3_P12ihipStream_tbPNSt15iterator_traitsISL_E10value_typeEPNSR_ISM_E10value_typeEPSN_NS1_7vsmem_tEENKUlT_SL_SM_SN_E_clIS8_S8_S9_S9_EESK_S10_SL_SM_SN_EUlS10_E_NS1_11comp_targetILNS1_3genE8ELNS1_11target_archE1030ELNS1_3gpuE2ELNS1_3repE0EEENS1_48merge_mergepath_partition_config_static_selectorELNS0_4arch9wavefront6targetE0EEEvSM_
                                        ; -- End function
	.set _ZN7rocprim17ROCPRIM_400000_NS6detail17trampoline_kernelINS0_14default_configENS1_38merge_sort_block_merge_config_selectorIlNS0_10empty_typeEEEZZNS1_27merge_sort_block_merge_implIS3_PlPS5_mZN2at6native12_GLOBAL__N_124unique_dim_cuda_templateIlEESt5tupleIJNSA_6TensorESF_SF_EERKSF_lbbbEUlllE_EE10hipError_tT0_T1_T2_jT3_P12ihipStream_tbPNSt15iterator_traitsISL_E10value_typeEPNSR_ISM_E10value_typeEPSN_NS1_7vsmem_tEENKUlT_SL_SM_SN_E_clIS8_S8_S9_S9_EESK_S10_SL_SM_SN_EUlS10_E_NS1_11comp_targetILNS1_3genE8ELNS1_11target_archE1030ELNS1_3gpuE2ELNS1_3repE0EEENS1_48merge_mergepath_partition_config_static_selectorELNS0_4arch9wavefront6targetE0EEEvSM_.num_vgpr, 0
	.set _ZN7rocprim17ROCPRIM_400000_NS6detail17trampoline_kernelINS0_14default_configENS1_38merge_sort_block_merge_config_selectorIlNS0_10empty_typeEEEZZNS1_27merge_sort_block_merge_implIS3_PlPS5_mZN2at6native12_GLOBAL__N_124unique_dim_cuda_templateIlEESt5tupleIJNSA_6TensorESF_SF_EERKSF_lbbbEUlllE_EE10hipError_tT0_T1_T2_jT3_P12ihipStream_tbPNSt15iterator_traitsISL_E10value_typeEPNSR_ISM_E10value_typeEPSN_NS1_7vsmem_tEENKUlT_SL_SM_SN_E_clIS8_S8_S9_S9_EESK_S10_SL_SM_SN_EUlS10_E_NS1_11comp_targetILNS1_3genE8ELNS1_11target_archE1030ELNS1_3gpuE2ELNS1_3repE0EEENS1_48merge_mergepath_partition_config_static_selectorELNS0_4arch9wavefront6targetE0EEEvSM_.num_agpr, 0
	.set _ZN7rocprim17ROCPRIM_400000_NS6detail17trampoline_kernelINS0_14default_configENS1_38merge_sort_block_merge_config_selectorIlNS0_10empty_typeEEEZZNS1_27merge_sort_block_merge_implIS3_PlPS5_mZN2at6native12_GLOBAL__N_124unique_dim_cuda_templateIlEESt5tupleIJNSA_6TensorESF_SF_EERKSF_lbbbEUlllE_EE10hipError_tT0_T1_T2_jT3_P12ihipStream_tbPNSt15iterator_traitsISL_E10value_typeEPNSR_ISM_E10value_typeEPSN_NS1_7vsmem_tEENKUlT_SL_SM_SN_E_clIS8_S8_S9_S9_EESK_S10_SL_SM_SN_EUlS10_E_NS1_11comp_targetILNS1_3genE8ELNS1_11target_archE1030ELNS1_3gpuE2ELNS1_3repE0EEENS1_48merge_mergepath_partition_config_static_selectorELNS0_4arch9wavefront6targetE0EEEvSM_.numbered_sgpr, 0
	.set _ZN7rocprim17ROCPRIM_400000_NS6detail17trampoline_kernelINS0_14default_configENS1_38merge_sort_block_merge_config_selectorIlNS0_10empty_typeEEEZZNS1_27merge_sort_block_merge_implIS3_PlPS5_mZN2at6native12_GLOBAL__N_124unique_dim_cuda_templateIlEESt5tupleIJNSA_6TensorESF_SF_EERKSF_lbbbEUlllE_EE10hipError_tT0_T1_T2_jT3_P12ihipStream_tbPNSt15iterator_traitsISL_E10value_typeEPNSR_ISM_E10value_typeEPSN_NS1_7vsmem_tEENKUlT_SL_SM_SN_E_clIS8_S8_S9_S9_EESK_S10_SL_SM_SN_EUlS10_E_NS1_11comp_targetILNS1_3genE8ELNS1_11target_archE1030ELNS1_3gpuE2ELNS1_3repE0EEENS1_48merge_mergepath_partition_config_static_selectorELNS0_4arch9wavefront6targetE0EEEvSM_.num_named_barrier, 0
	.set _ZN7rocprim17ROCPRIM_400000_NS6detail17trampoline_kernelINS0_14default_configENS1_38merge_sort_block_merge_config_selectorIlNS0_10empty_typeEEEZZNS1_27merge_sort_block_merge_implIS3_PlPS5_mZN2at6native12_GLOBAL__N_124unique_dim_cuda_templateIlEESt5tupleIJNSA_6TensorESF_SF_EERKSF_lbbbEUlllE_EE10hipError_tT0_T1_T2_jT3_P12ihipStream_tbPNSt15iterator_traitsISL_E10value_typeEPNSR_ISM_E10value_typeEPSN_NS1_7vsmem_tEENKUlT_SL_SM_SN_E_clIS8_S8_S9_S9_EESK_S10_SL_SM_SN_EUlS10_E_NS1_11comp_targetILNS1_3genE8ELNS1_11target_archE1030ELNS1_3gpuE2ELNS1_3repE0EEENS1_48merge_mergepath_partition_config_static_selectorELNS0_4arch9wavefront6targetE0EEEvSM_.private_seg_size, 0
	.set _ZN7rocprim17ROCPRIM_400000_NS6detail17trampoline_kernelINS0_14default_configENS1_38merge_sort_block_merge_config_selectorIlNS0_10empty_typeEEEZZNS1_27merge_sort_block_merge_implIS3_PlPS5_mZN2at6native12_GLOBAL__N_124unique_dim_cuda_templateIlEESt5tupleIJNSA_6TensorESF_SF_EERKSF_lbbbEUlllE_EE10hipError_tT0_T1_T2_jT3_P12ihipStream_tbPNSt15iterator_traitsISL_E10value_typeEPNSR_ISM_E10value_typeEPSN_NS1_7vsmem_tEENKUlT_SL_SM_SN_E_clIS8_S8_S9_S9_EESK_S10_SL_SM_SN_EUlS10_E_NS1_11comp_targetILNS1_3genE8ELNS1_11target_archE1030ELNS1_3gpuE2ELNS1_3repE0EEENS1_48merge_mergepath_partition_config_static_selectorELNS0_4arch9wavefront6targetE0EEEvSM_.uses_vcc, 0
	.set _ZN7rocprim17ROCPRIM_400000_NS6detail17trampoline_kernelINS0_14default_configENS1_38merge_sort_block_merge_config_selectorIlNS0_10empty_typeEEEZZNS1_27merge_sort_block_merge_implIS3_PlPS5_mZN2at6native12_GLOBAL__N_124unique_dim_cuda_templateIlEESt5tupleIJNSA_6TensorESF_SF_EERKSF_lbbbEUlllE_EE10hipError_tT0_T1_T2_jT3_P12ihipStream_tbPNSt15iterator_traitsISL_E10value_typeEPNSR_ISM_E10value_typeEPSN_NS1_7vsmem_tEENKUlT_SL_SM_SN_E_clIS8_S8_S9_S9_EESK_S10_SL_SM_SN_EUlS10_E_NS1_11comp_targetILNS1_3genE8ELNS1_11target_archE1030ELNS1_3gpuE2ELNS1_3repE0EEENS1_48merge_mergepath_partition_config_static_selectorELNS0_4arch9wavefront6targetE0EEEvSM_.uses_flat_scratch, 0
	.set _ZN7rocprim17ROCPRIM_400000_NS6detail17trampoline_kernelINS0_14default_configENS1_38merge_sort_block_merge_config_selectorIlNS0_10empty_typeEEEZZNS1_27merge_sort_block_merge_implIS3_PlPS5_mZN2at6native12_GLOBAL__N_124unique_dim_cuda_templateIlEESt5tupleIJNSA_6TensorESF_SF_EERKSF_lbbbEUlllE_EE10hipError_tT0_T1_T2_jT3_P12ihipStream_tbPNSt15iterator_traitsISL_E10value_typeEPNSR_ISM_E10value_typeEPSN_NS1_7vsmem_tEENKUlT_SL_SM_SN_E_clIS8_S8_S9_S9_EESK_S10_SL_SM_SN_EUlS10_E_NS1_11comp_targetILNS1_3genE8ELNS1_11target_archE1030ELNS1_3gpuE2ELNS1_3repE0EEENS1_48merge_mergepath_partition_config_static_selectorELNS0_4arch9wavefront6targetE0EEEvSM_.has_dyn_sized_stack, 0
	.set _ZN7rocprim17ROCPRIM_400000_NS6detail17trampoline_kernelINS0_14default_configENS1_38merge_sort_block_merge_config_selectorIlNS0_10empty_typeEEEZZNS1_27merge_sort_block_merge_implIS3_PlPS5_mZN2at6native12_GLOBAL__N_124unique_dim_cuda_templateIlEESt5tupleIJNSA_6TensorESF_SF_EERKSF_lbbbEUlllE_EE10hipError_tT0_T1_T2_jT3_P12ihipStream_tbPNSt15iterator_traitsISL_E10value_typeEPNSR_ISM_E10value_typeEPSN_NS1_7vsmem_tEENKUlT_SL_SM_SN_E_clIS8_S8_S9_S9_EESK_S10_SL_SM_SN_EUlS10_E_NS1_11comp_targetILNS1_3genE8ELNS1_11target_archE1030ELNS1_3gpuE2ELNS1_3repE0EEENS1_48merge_mergepath_partition_config_static_selectorELNS0_4arch9wavefront6targetE0EEEvSM_.has_recursion, 0
	.set _ZN7rocprim17ROCPRIM_400000_NS6detail17trampoline_kernelINS0_14default_configENS1_38merge_sort_block_merge_config_selectorIlNS0_10empty_typeEEEZZNS1_27merge_sort_block_merge_implIS3_PlPS5_mZN2at6native12_GLOBAL__N_124unique_dim_cuda_templateIlEESt5tupleIJNSA_6TensorESF_SF_EERKSF_lbbbEUlllE_EE10hipError_tT0_T1_T2_jT3_P12ihipStream_tbPNSt15iterator_traitsISL_E10value_typeEPNSR_ISM_E10value_typeEPSN_NS1_7vsmem_tEENKUlT_SL_SM_SN_E_clIS8_S8_S9_S9_EESK_S10_SL_SM_SN_EUlS10_E_NS1_11comp_targetILNS1_3genE8ELNS1_11target_archE1030ELNS1_3gpuE2ELNS1_3repE0EEENS1_48merge_mergepath_partition_config_static_selectorELNS0_4arch9wavefront6targetE0EEEvSM_.has_indirect_call, 0
	.section	.AMDGPU.csdata,"",@progbits
; Kernel info:
; codeLenInByte = 0
; TotalNumSgprs: 0
; NumVgprs: 0
; ScratchSize: 0
; MemoryBound: 0
; FloatMode: 240
; IeeeMode: 1
; LDSByteSize: 0 bytes/workgroup (compile time only)
; SGPRBlocks: 0
; VGPRBlocks: 0
; NumSGPRsForWavesPerEU: 1
; NumVGPRsForWavesPerEU: 1
; NamedBarCnt: 0
; Occupancy: 16
; WaveLimiterHint : 0
; COMPUTE_PGM_RSRC2:SCRATCH_EN: 0
; COMPUTE_PGM_RSRC2:USER_SGPR: 2
; COMPUTE_PGM_RSRC2:TRAP_HANDLER: 0
; COMPUTE_PGM_RSRC2:TGID_X_EN: 1
; COMPUTE_PGM_RSRC2:TGID_Y_EN: 0
; COMPUTE_PGM_RSRC2:TGID_Z_EN: 0
; COMPUTE_PGM_RSRC2:TIDIG_COMP_CNT: 0
	.section	.text._ZN7rocprim17ROCPRIM_400000_NS6detail17trampoline_kernelINS0_14default_configENS1_38merge_sort_block_merge_config_selectorIlNS0_10empty_typeEEEZZNS1_27merge_sort_block_merge_implIS3_PlPS5_mZN2at6native12_GLOBAL__N_124unique_dim_cuda_templateIlEESt5tupleIJNSA_6TensorESF_SF_EERKSF_lbbbEUlllE_EE10hipError_tT0_T1_T2_jT3_P12ihipStream_tbPNSt15iterator_traitsISL_E10value_typeEPNSR_ISM_E10value_typeEPSN_NS1_7vsmem_tEENKUlT_SL_SM_SN_E_clIS8_S8_S9_S9_EESK_S10_SL_SM_SN_EUlS10_E0_NS1_11comp_targetILNS1_3genE0ELNS1_11target_archE4294967295ELNS1_3gpuE0ELNS1_3repE0EEENS1_38merge_mergepath_config_static_selectorELNS0_4arch9wavefront6targetE0EEEvSM_,"axG",@progbits,_ZN7rocprim17ROCPRIM_400000_NS6detail17trampoline_kernelINS0_14default_configENS1_38merge_sort_block_merge_config_selectorIlNS0_10empty_typeEEEZZNS1_27merge_sort_block_merge_implIS3_PlPS5_mZN2at6native12_GLOBAL__N_124unique_dim_cuda_templateIlEESt5tupleIJNSA_6TensorESF_SF_EERKSF_lbbbEUlllE_EE10hipError_tT0_T1_T2_jT3_P12ihipStream_tbPNSt15iterator_traitsISL_E10value_typeEPNSR_ISM_E10value_typeEPSN_NS1_7vsmem_tEENKUlT_SL_SM_SN_E_clIS8_S8_S9_S9_EESK_S10_SL_SM_SN_EUlS10_E0_NS1_11comp_targetILNS1_3genE0ELNS1_11target_archE4294967295ELNS1_3gpuE0ELNS1_3repE0EEENS1_38merge_mergepath_config_static_selectorELNS0_4arch9wavefront6targetE0EEEvSM_,comdat
	.globl	_ZN7rocprim17ROCPRIM_400000_NS6detail17trampoline_kernelINS0_14default_configENS1_38merge_sort_block_merge_config_selectorIlNS0_10empty_typeEEEZZNS1_27merge_sort_block_merge_implIS3_PlPS5_mZN2at6native12_GLOBAL__N_124unique_dim_cuda_templateIlEESt5tupleIJNSA_6TensorESF_SF_EERKSF_lbbbEUlllE_EE10hipError_tT0_T1_T2_jT3_P12ihipStream_tbPNSt15iterator_traitsISL_E10value_typeEPNSR_ISM_E10value_typeEPSN_NS1_7vsmem_tEENKUlT_SL_SM_SN_E_clIS8_S8_S9_S9_EESK_S10_SL_SM_SN_EUlS10_E0_NS1_11comp_targetILNS1_3genE0ELNS1_11target_archE4294967295ELNS1_3gpuE0ELNS1_3repE0EEENS1_38merge_mergepath_config_static_selectorELNS0_4arch9wavefront6targetE0EEEvSM_ ; -- Begin function _ZN7rocprim17ROCPRIM_400000_NS6detail17trampoline_kernelINS0_14default_configENS1_38merge_sort_block_merge_config_selectorIlNS0_10empty_typeEEEZZNS1_27merge_sort_block_merge_implIS3_PlPS5_mZN2at6native12_GLOBAL__N_124unique_dim_cuda_templateIlEESt5tupleIJNSA_6TensorESF_SF_EERKSF_lbbbEUlllE_EE10hipError_tT0_T1_T2_jT3_P12ihipStream_tbPNSt15iterator_traitsISL_E10value_typeEPNSR_ISM_E10value_typeEPSN_NS1_7vsmem_tEENKUlT_SL_SM_SN_E_clIS8_S8_S9_S9_EESK_S10_SL_SM_SN_EUlS10_E0_NS1_11comp_targetILNS1_3genE0ELNS1_11target_archE4294967295ELNS1_3gpuE0ELNS1_3repE0EEENS1_38merge_mergepath_config_static_selectorELNS0_4arch9wavefront6targetE0EEEvSM_
	.p2align	8
	.type	_ZN7rocprim17ROCPRIM_400000_NS6detail17trampoline_kernelINS0_14default_configENS1_38merge_sort_block_merge_config_selectorIlNS0_10empty_typeEEEZZNS1_27merge_sort_block_merge_implIS3_PlPS5_mZN2at6native12_GLOBAL__N_124unique_dim_cuda_templateIlEESt5tupleIJNSA_6TensorESF_SF_EERKSF_lbbbEUlllE_EE10hipError_tT0_T1_T2_jT3_P12ihipStream_tbPNSt15iterator_traitsISL_E10value_typeEPNSR_ISM_E10value_typeEPSN_NS1_7vsmem_tEENKUlT_SL_SM_SN_E_clIS8_S8_S9_S9_EESK_S10_SL_SM_SN_EUlS10_E0_NS1_11comp_targetILNS1_3genE0ELNS1_11target_archE4294967295ELNS1_3gpuE0ELNS1_3repE0EEENS1_38merge_mergepath_config_static_selectorELNS0_4arch9wavefront6targetE0EEEvSM_,@function
_ZN7rocprim17ROCPRIM_400000_NS6detail17trampoline_kernelINS0_14default_configENS1_38merge_sort_block_merge_config_selectorIlNS0_10empty_typeEEEZZNS1_27merge_sort_block_merge_implIS3_PlPS5_mZN2at6native12_GLOBAL__N_124unique_dim_cuda_templateIlEESt5tupleIJNSA_6TensorESF_SF_EERKSF_lbbbEUlllE_EE10hipError_tT0_T1_T2_jT3_P12ihipStream_tbPNSt15iterator_traitsISL_E10value_typeEPNSR_ISM_E10value_typeEPSN_NS1_7vsmem_tEENKUlT_SL_SM_SN_E_clIS8_S8_S9_S9_EESK_S10_SL_SM_SN_EUlS10_E0_NS1_11comp_targetILNS1_3genE0ELNS1_11target_archE4294967295ELNS1_3gpuE0ELNS1_3repE0EEENS1_38merge_mergepath_config_static_selectorELNS0_4arch9wavefront6targetE0EEEvSM_: ; @_ZN7rocprim17ROCPRIM_400000_NS6detail17trampoline_kernelINS0_14default_configENS1_38merge_sort_block_merge_config_selectorIlNS0_10empty_typeEEEZZNS1_27merge_sort_block_merge_implIS3_PlPS5_mZN2at6native12_GLOBAL__N_124unique_dim_cuda_templateIlEESt5tupleIJNSA_6TensorESF_SF_EERKSF_lbbbEUlllE_EE10hipError_tT0_T1_T2_jT3_P12ihipStream_tbPNSt15iterator_traitsISL_E10value_typeEPNSR_ISM_E10value_typeEPSN_NS1_7vsmem_tEENKUlT_SL_SM_SN_E_clIS8_S8_S9_S9_EESK_S10_SL_SM_SN_EUlS10_E0_NS1_11comp_targetILNS1_3genE0ELNS1_11target_archE4294967295ELNS1_3gpuE0ELNS1_3repE0EEENS1_38merge_mergepath_config_static_selectorELNS0_4arch9wavefront6targetE0EEEvSM_
; %bb.0:
	s_bfe_u32 s2, ttmp6, 0x40010
	s_and_b32 s4, ttmp7, 0xffff
	s_add_co_i32 s5, s2, 1
	s_clause 0x1
	s_load_b32 s6, s[0:1], 0x38
	s_load_b64 s[2:3], s[0:1], 0x58
	s_bfe_u32 s8, ttmp6, 0x4000c
	s_mul_i32 s5, s4, s5
	s_bfe_u32 s7, ttmp6, 0x40004
	s_add_co_i32 s8, s8, 1
	s_bfe_u32 s9, ttmp6, 0x40014
	s_add_co_i32 s7, s7, s5
	s_and_b32 s5, ttmp6, 15
	s_mul_i32 s8, ttmp9, s8
	s_lshr_b32 s10, ttmp7, 16
	s_add_co_i32 s9, s9, 1
	s_add_co_i32 s5, s5, s8
	s_mul_i32 s8, s10, s9
	s_bfe_u32 s9, ttmp6, 0x40008
	s_getreg_b32 s11, hwreg(HW_REG_IB_STS2, 6, 4)
	s_add_co_i32 s9, s9, s8
	s_cmp_eq_u32 s11, 0
	s_mov_b32 s19, 0
	s_cselect_b32 s8, s10, s9
	s_cselect_b32 s4, s4, s7
	s_wait_kmcnt 0x0
	s_mul_i32 s8, s3, s8
	s_cselect_b32 s3, ttmp9, s5
	s_add_co_i32 s4, s8, s4
	s_delay_alu instid0(SALU_CYCLE_1) | instskip(NEXT) | instid1(SALU_CYCLE_1)
	s_mul_i32 s4, s4, s2
	s_add_co_i32 s18, s4, s3
	s_delay_alu instid0(SALU_CYCLE_1)
	s_cmp_ge_u32 s18, s6
	s_cbranch_scc1 .LBB522_139
; %bb.1:
	s_clause 0x1
	s_load_b64 s[4:5], s[0:1], 0x50
	s_load_b128 s[8:11], s[0:1], 0x28
	s_lshl_b64 s[6:7], s[18:19], 3
	s_mov_b32 s23, s19
	s_add_nc_u64 s[20:21], s[0:1], 0x58
	s_wait_kmcnt 0x0
	s_add_nc_u64 s[16:17], s[4:5], s[6:7]
	s_load_b128 s[12:15], s[16:17], 0x0
	s_load_b128 s[4:7], s[0:1], 0x8
	s_wait_xcnt 0x0
	s_lshr_b64 s[16:17], s[10:11], 9
	s_delay_alu instid0(SALU_CYCLE_1) | instskip(NEXT) | instid1(SALU_CYCLE_1)
	s_and_b32 s16, s16, -2
	s_sub_co_i32 s30, 0, s16
	s_lshl_b64 s[16:17], s[18:19], 10
	s_and_b32 s22, s18, s30
	s_or_b32 s30, s18, s30
	s_lshl_b64 s[24:25], s[22:23], 10
	s_lshl_b64 s[22:23], s[22:23], 11
	s_sub_nc_u64 s[28:29], s[16:17], s[24:25]
	s_add_nc_u64 s[26:27], s[22:23], s[10:11]
	s_cmp_lg_u32 s30, -1
	s_add_nc_u64 s[22:23], s[26:27], s[28:29]
	s_mov_b32 s28, -1
	s_cbranch_scc0 .LBB522_3
; %bb.2:
	s_wait_kmcnt 0x0
	s_sub_nc_u64 s[10:11], s[22:23], s[14:15]
	v_mov_b64_e32 v[2:3], s[14:15]
	s_add_nc_u64 s[10:11], s[10:11], 0x400
	s_branch .LBB522_4
.LBB522_3:
	s_wait_kmcnt 0x0
	s_sub_nc_u64 s[14:15], s[26:27], s[24:25]
	s_delay_alu instid0(SALU_CYCLE_1)
	v_min_u64 v[2:3], s[8:9], s[14:15]
	s_add_nc_u64 s[10:11], s[14:15], s[10:11]
.LBB522_4:
	v_mov_b32_e32 v21, 0
	v_min_u64 v[4:5], s[8:9], s[10:11]
	s_sub_nc_u64 s[10:11], s[22:23], s[12:13]
	v_lshlrev_b32_e32 v20, 3, v0
	v_min_u64 v[6:7], s[8:9], s[10:11]
	global_load_b32 v1, v21, s[20:21] offset:14
	s_lshr_b64 s[10:11], s[8:9], 10
	s_delay_alu instid0(SALU_CYCLE_1)
	s_cmp_lg_u64 s[10:11], s[18:19]
	s_cselect_b32 s9, -1, 0
	s_lshl_b64 s[14:15], s[12:13], 3
	s_cmp_lt_u32 s3, s2
	s_mov_b32 s3, 0
	s_cselect_b32 s2, 12, 18
	s_cmp_eq_u64 s[10:11], s[18:19]
	s_add_nc_u64 s[2:3], s[20:21], s[2:3]
	s_add_nc_u64 s[10:11], s[4:5], s[14:15]
	s_load_u16 s2, s[2:3], 0x0
	v_lshlrev_b64_e32 v[8:9], 3, v[6:7]
	v_sub_nc_u32_e32 v24, v4, v6
	s_delay_alu instid0(VALU_DEP_2) | instskip(SKIP_3) | instid1(VALU_DEP_1)
	v_add_nc_u64_e32 v[22:23], s[4:5], v[8:9]
	s_wait_loadcnt 0x0
	v_lshrrev_b32_e32 v3, 16, v1
	v_and_b32_e32 v1, 0xffff, v1
	v_mul_lo_u32 v1, v1, v3
	s_wait_kmcnt 0x0
	s_delay_alu instid0(VALU_DEP_1)
	v_mul_lo_u32 v25, v1, s2
	v_subrev_nc_u32_e32 v1, s12, v2
	s_cbranch_scc1 .LBB522_6
; %bb.5:
	s_delay_alu instid0(VALU_DEP_1) | instskip(SKIP_3) | instid1(VALU_DEP_3)
	v_sub_co_u32 v4, vcc_lo, v0, v1
	v_dual_mov_b32 v5, v21 :: v_dual_mov_b32 v7, v21
	v_add_nc_u64_e32 v[2:3], s[10:11], v[20:21]
	v_dual_mov_b32 v17, v21 :: v_dual_mov_b32 v19, v21
	v_lshl_add_u64 v[4:5], v[4:5], 3, v[22:23]
	v_add_nc_u32_e32 v6, v25, v0
	s_delay_alu instid0(VALU_DEP_2) | instskip(NEXT) | instid1(VALU_DEP_2)
	v_dual_add_nc_u32 v36, v1, v24 :: v_dual_cndmask_b32 v2, v4, v2, vcc_lo
	v_lshl_add_u64 v[8:9], v[6:7], 3, s[10:11]
	v_sub_co_u32 v10, s2, v6, v1
	v_dual_mov_b32 v11, v21 :: v_dual_add_nc_u32 v6, v6, v25
	v_cndmask_b32_e32 v3, v5, v3, vcc_lo
	s_delay_alu instid0(VALU_DEP_2) | instskip(NEXT) | instid1(VALU_DEP_3)
	v_lshl_add_u64 v[4:5], v[10:11], 3, v[22:23]
	v_lshl_add_u64 v[10:11], v[6:7], 3, s[10:11]
	v_sub_co_u32 v12, vcc_lo, v6, v1
	s_delay_alu instid0(VALU_DEP_3) | instskip(SKIP_3) | instid1(VALU_DEP_4)
	v_dual_mov_b32 v13, v21 :: v_dual_cndmask_b32 v4, v4, v8, s2
	v_add_nc_u32_e32 v6, v6, v25
	v_cndmask_b32_e64 v5, v5, v9, s2
	v_mov_b32_e32 v15, v21
	v_lshl_add_u64 v[8:9], v[12:13], 3, v[22:23]
	global_load_b64 v[2:3], v[2:3], off
	v_lshl_add_u64 v[12:13], v[6:7], 3, s[10:11]
	v_sub_co_u32 v14, s2, v6, v1
	v_dual_cndmask_b32 v9, v9, v11 :: v_dual_add_nc_u32 v6, v6, v25
	v_cndmask_b32_e32 v8, v8, v10, vcc_lo
	s_delay_alu instid0(VALU_DEP_3) | instskip(SKIP_4) | instid1(VALU_DEP_3)
	v_lshl_add_u64 v[10:11], v[14:15], 3, v[22:23]
	global_load_b64 v[4:5], v[4:5], off
	v_add_nc_u32_e32 v18, v6, v25
	v_sub_co_u32 v16, vcc_lo, v6, v1
	v_dual_cndmask_b32 v27, v11, v13, s2 :: v_dual_cndmask_b32 v26, v10, v12, s2
	v_dual_mov_b32 v13, v21 :: v_dual_add_nc_u32 v12, v18, v25
	v_lshl_add_u64 v[14:15], v[6:7], 3, s[10:11]
	global_load_b64 v[6:7], v[8:9], off
	s_wait_xcnt 0x0
	v_lshl_add_u64 v[8:9], v[16:17], 3, v[22:23]
	v_lshl_add_u64 v[10:11], v[18:19], 3, s[10:11]
	v_sub_co_u32 v16, s2, v18, v1
	s_delay_alu instid0(VALU_DEP_3) | instskip(SKIP_2) | instid1(VALU_DEP_3)
	v_dual_cndmask_b32 v33, v9, v15 :: v_dual_add_nc_u32 v18, v12, v25
	v_lshl_add_u64 v[28:29], v[12:13], 3, s[10:11]
	v_sub_co_u32 v12, s3, v12, v1
	v_lshl_add_u64 v[30:31], v[18:19], 3, s[10:11]
	v_sub_co_u32 v18, s4, v18, v1
	v_lshl_add_u64 v[16:17], v[16:17], 3, v[22:23]
	s_delay_alu instid0(VALU_DEP_4) | instskip(SKIP_1) | instid1(VALU_DEP_4)
	v_lshl_add_u64 v[12:13], v[12:13], 3, v[22:23]
	v_cndmask_b32_e32 v32, v8, v14, vcc_lo
	v_lshl_add_u64 v[8:9], v[18:19], 3, v[22:23]
	s_delay_alu instid0(VALU_DEP_4) | instskip(NEXT) | instid1(VALU_DEP_4)
	v_dual_cndmask_b32 v19, v17, v11, s2 :: v_dual_cndmask_b32 v18, v16, v10, s2
	v_dual_cndmask_b32 v29, v13, v29, s3 :: v_dual_cndmask_b32 v28, v12, v28, s3
	s_delay_alu instid0(VALU_DEP_3)
	v_dual_cndmask_b32 v31, v9, v31, s4 :: v_dual_cndmask_b32 v30, v8, v30, s4
	global_load_b64 v[8:9], v[26:27], off
	global_load_b64 v[10:11], v[32:33], off
	;; [unrolled: 1-line block ×5, first 2 shown]
	s_cbranch_execz .LBB522_7
	s_branch .LBB522_24
.LBB522_6:
                                        ; implicit-def: $vgpr2_vgpr3_vgpr4_vgpr5_vgpr6_vgpr7_vgpr8_vgpr9_vgpr10_vgpr11_vgpr12_vgpr13_vgpr14_vgpr15_vgpr16_vgpr17
                                        ; implicit-def: $vgpr36
	s_and_not1_b32 vcc_lo, exec_lo, s28
	s_cbranch_vccnz .LBB522_24
.LBB522_7:
	s_wait_loadcnt 0x7
	v_dual_add_nc_u32 v36, v1, v24 :: v_dual_mov_b32 v2, 0
	s_mov_b32 s2, exec_lo
	s_wait_loadcnt 0x6
	s_delay_alu instid0(VALU_DEP_1)
	v_dual_mov_b32 v3, v2 :: v_dual_mov_b32 v4, v2
	s_wait_loadcnt 0x5
	v_dual_mov_b32 v5, v2 :: v_dual_mov_b32 v6, v2
	s_wait_loadcnt 0x4
	;; [unrolled: 2-line block ×6, first 2 shown]
	v_dual_mov_b32 v15, v2 :: v_dual_mov_b32 v16, v2
	v_mov_b32_e32 v17, v2
	v_cmpx_lt_u32_e64 v0, v36
	s_cbranch_execz .LBB522_9
; %bb.8:
	v_dual_mov_b32 v21, v2 :: v_dual_mov_b32 v5, v2
	v_sub_co_u32 v4, vcc_lo, v0, v1
	v_dual_mov_b32 v18, v2 :: v_dual_mov_b32 v19, v2
	s_delay_alu instid0(VALU_DEP_3) | instskip(NEXT) | instid1(VALU_DEP_3)
	v_add_nc_u64_e32 v[6:7], s[10:11], v[20:21]
	v_lshl_add_u64 v[4:5], v[4:5], 3, v[22:23]
	v_dual_mov_b32 v8, v2 :: v_dual_mov_b32 v9, v2
	v_dual_mov_b32 v10, v2 :: v_dual_mov_b32 v11, v2
	;; [unrolled: 1-line block ×3, first 2 shown]
	s_delay_alu instid0(VALU_DEP_4)
	v_dual_cndmask_b32 v5, v5, v7 :: v_dual_cndmask_b32 v4, v4, v6
	v_dual_mov_b32 v6, v2 :: v_dual_mov_b32 v7, v2
	v_dual_mov_b32 v14, v2 :: v_dual_mov_b32 v15, v2
	global_load_b64 v[4:5], v[4:5], off
	v_dual_mov_b32 v16, v2 :: v_dual_mov_b32 v17, v2
	s_wait_loadcnt 0x0
	v_mov_b64_e32 v[2:3], v[4:5]
	v_mov_b64_e32 v[4:5], v[6:7]
	;; [unrolled: 1-line block ×8, first 2 shown]
.LBB522_9:
	s_or_b32 exec_lo, exec_lo, s2
	v_add_nc_u32_e32 v18, v25, v0
	s_mov_b32 s2, exec_lo
	s_delay_alu instid0(VALU_DEP_1)
	v_cmpx_lt_u32_e64 v18, v36
	s_cbranch_execz .LBB522_11
; %bb.10:
	v_sub_co_u32 v26, vcc_lo, v18, v1
	v_mov_b32_e32 v19, 0
	s_delay_alu instid0(VALU_DEP_1) | instskip(SKIP_1) | instid1(VALU_DEP_1)
	v_lshl_add_u64 v[4:5], v[18:19], 3, s[10:11]
	v_mov_b32_e32 v27, v19
	v_lshl_add_u64 v[26:27], v[26:27], 3, v[22:23]
	s_delay_alu instid0(VALU_DEP_1)
	v_dual_cndmask_b32 v5, v27, v5 :: v_dual_cndmask_b32 v4, v26, v4
	global_load_b64 v[4:5], v[4:5], off
.LBB522_11:
	s_wait_xcnt 0x0
	s_or_b32 exec_lo, exec_lo, s2
	v_add_nc_u32_e32 v18, v18, v25
	s_mov_b32 s2, exec_lo
	s_delay_alu instid0(VALU_DEP_1)
	v_cmpx_lt_u32_e64 v18, v36
	s_cbranch_execz .LBB522_13
; %bb.12:
	v_sub_co_u32 v26, vcc_lo, v18, v1
	v_mov_b32_e32 v19, 0
	s_delay_alu instid0(VALU_DEP_1) | instskip(SKIP_1) | instid1(VALU_DEP_1)
	v_lshl_add_u64 v[6:7], v[18:19], 3, s[10:11]
	v_mov_b32_e32 v27, v19
	v_lshl_add_u64 v[26:27], v[26:27], 3, v[22:23]
	s_delay_alu instid0(VALU_DEP_1)
	v_dual_cndmask_b32 v7, v27, v7 :: v_dual_cndmask_b32 v6, v26, v6
	global_load_b64 v[6:7], v[6:7], off
.LBB522_13:
	s_wait_xcnt 0x0
	;; [unrolled: 18-line block ×6, first 2 shown]
	s_or_b32 exec_lo, exec_lo, s2
	v_add_nc_u32_e32 v18, v18, v25
	s_mov_b32 s2, exec_lo
	s_delay_alu instid0(VALU_DEP_1)
	v_cmpx_lt_u32_e64 v18, v36
	s_cbranch_execz .LBB522_23
; %bb.22:
	v_mov_b32_e32 v19, 0
	s_delay_alu instid0(VALU_DEP_1) | instskip(SKIP_1) | instid1(VALU_DEP_1)
	v_lshl_add_u64 v[16:17], v[18:19], 3, s[10:11]
	v_sub_co_u32 v18, vcc_lo, v18, v1
	v_lshl_add_u64 v[18:19], v[18:19], 3, v[22:23]
	s_delay_alu instid0(VALU_DEP_1)
	v_dual_cndmask_b32 v17, v19, v17 :: v_dual_cndmask_b32 v16, v18, v16
	global_load_b64 v[16:17], v[16:17], off
.LBB522_23:
	s_wait_xcnt 0x0
	s_or_b32 exec_lo, exec_lo, s2
.LBB522_24:
	s_load_b128 s[12:15], s[0:1], 0x40
	v_min_u32_e32 v25, v36, v20
	s_wait_xcnt 0x0
	s_mov_b32 s1, exec_lo
	s_wait_loadcnt 0x0
	ds_store_2addr_stride64_b64 v20, v[2:3], v[4:5] offset1:2
	ds_store_2addr_stride64_b64 v20, v[6:7], v[8:9] offset0:4 offset1:6
	ds_store_2addr_stride64_b64 v20, v[10:11], v[12:13] offset0:8 offset1:10
	;; [unrolled: 1-line block ×3, first 2 shown]
	s_wait_dscnt 0x0
	s_barrier_signal -1
	v_sub_nc_u32_e64 v21, v25, v24 clamp
	v_min_u32_e32 v24, v25, v1
	s_barrier_wait -1
	s_delay_alu instid0(VALU_DEP_1)
	v_cmpx_lt_u32_e64 v21, v24
	s_cbranch_execz .LBB522_34
; %bb.25:
	v_lshlrev_b32_e32 v18, 3, v25
	s_wait_kmcnt 0x0
	v_cmp_gt_i64_e64 s10, s[12:13], 0
	s_lshl_b64 s[2:3], s[12:13], 3
	s_mov_b32 s11, 0
	v_lshl_add_u32 v26, v1, 3, v18
	s_branch .LBB522_28
.LBB522_26:                             ;   in Loop: Header=BB522_28 Depth=1
	s_or_b32 exec_lo, exec_lo, s19
.LBB522_27:                             ;   in Loop: Header=BB522_28 Depth=1
	s_delay_alu instid0(VALU_DEP_1) | instskip(NEXT) | instid1(VALU_DEP_1)
	v_dual_add_nc_u32 v18, 1, v27 :: v_dual_cndmask_b32 v24, v24, v27, s18
	v_cndmask_b32_e64 v21, v18, v21, s18
	s_delay_alu instid0(VALU_DEP_1) | instskip(SKIP_1) | instid1(SALU_CYCLE_1)
	v_cmp_ge_u32_e32 vcc_lo, v21, v24
	s_or_b32 s11, vcc_lo, s11
	s_and_not1_b32 exec_lo, exec_lo, s11
	s_cbranch_execz .LBB522_33
.LBB522_28:                             ; =>This Loop Header: Depth=1
                                        ;     Child Loop BB522_31 Depth 2
	v_add_nc_u32_e32 v18, v24, v21
	s_and_not1_b32 vcc_lo, exec_lo, s10
	s_mov_b32 s18, 0
	s_delay_alu instid0(VALU_DEP_1)
	v_lshrrev_b32_e32 v27, 1, v18
	s_cbranch_vccnz .LBB522_27
; %bb.29:                               ;   in Loop: Header=BB522_28 Depth=1
	s_delay_alu instid0(VALU_DEP_1) | instskip(SKIP_3) | instid1(VALU_DEP_2)
	v_not_b32_e32 v18, v27
	v_lshlrev_b32_e32 v19, 3, v27
	s_mov_b32 s19, 0
	s_mov_b64 s[4:5], s[12:13]
                                        ; implicit-def: $sgpr18
                                        ; implicit-def: $sgpr20
                                        ; implicit-def: $sgpr21
                                        ; implicit-def: $sgpr22
	v_lshl_add_u32 v18, v18, 3, v26
	ds_load_b64 v[28:29], v18
	ds_load_b64 v[30:31], v19
	s_wait_dscnt 0x1
	v_mad_nc_u64_u32 v[18:19], s2, v28, s[14:15]
	s_wait_dscnt 0x0
	v_mad_nc_u64_u32 v[22:23], s2, v30, s[14:15]
	s_delay_alu instid0(VALU_DEP_2) | instskip(NEXT) | instid1(VALU_DEP_2)
	v_mad_u32 v19, s3, v28, v19
	v_mad_u32 v23, s3, v30, v23
	s_delay_alu instid0(VALU_DEP_2) | instskip(NEXT) | instid1(VALU_DEP_2)
	v_mad_u32 v19, s2, v29, v19
	v_mad_u32 v23, s2, v31, v23
	s_branch .LBB522_31
.LBB522_30:                             ;   in Loop: Header=BB522_31 Depth=2
	s_or_b32 exec_lo, exec_lo, s23
	s_delay_alu instid0(SALU_CYCLE_1) | instskip(NEXT) | instid1(SALU_CYCLE_1)
	s_and_b32 s23, exec_lo, s20
	s_or_b32 s19, s23, s19
	s_and_not1_b32 s22, s22, exec_lo
	s_and_b32 s0, s0, exec_lo
	s_and_not1_b32 s18, s18, exec_lo
	s_and_b32 s23, s21, exec_lo
	s_or_b32 s22, s22, s0
	s_or_b32 s18, s18, s23
	s_and_not1_b32 exec_lo, exec_lo, s19
	s_cbranch_execz .LBB522_26
.LBB522_31:                             ;   Parent Loop BB522_28 Depth=1
                                        ; =>  This Inner Loop Header: Depth=2
	global_load_b64 v[28:29], v[18:19], off
	global_load_b64 v[30:31], v[22:23], off
	s_and_not1_b32 s21, s21, exec_lo
	s_or_b32 s20, s20, exec_lo
	s_wait_loadcnt 0x0
	v_cmp_le_i64_e32 vcc_lo, v[28:29], v[30:31]
	v_cmp_lt_i64_e64 s0, v[28:29], v[30:31]
	s_and_b32 s23, vcc_lo, s22
	s_delay_alu instid0(SALU_CYCLE_1) | instskip(NEXT) | instid1(SALU_CYCLE_1)
	s_or_b32 s0, s0, s23
	s_and_b32 s23, s0, exec_lo
	s_delay_alu instid0(SALU_CYCLE_1)
	s_or_b32 s21, s21, s23
	s_mov_b32 s23, exec_lo
	v_cmpx_eq_u64_e64 v[28:29], v[30:31]
	s_cbranch_execz .LBB522_30
; %bb.32:                               ;   in Loop: Header=BB522_31 Depth=2
	s_add_nc_u64 s[4:5], s[4:5], -1
	v_add_nc_u64_e32 v[18:19], 8, v[18:19]
	s_cmp_eq_u64 s[4:5], 0
	v_add_nc_u64_e32 v[22:23], 8, v[22:23]
	s_cselect_b32 s22, -1, 0
	s_and_not1_b32 s20, s20, exec_lo
	s_and_b32 s22, s22, exec_lo
	s_and_not1_b32 s21, s21, exec_lo
	s_or_b32 s20, s20, s22
                                        ; implicit-def: $sgpr22
	s_branch .LBB522_30
.LBB522_33:
	s_or_b32 exec_lo, exec_lo, s11
.LBB522_34:
	s_delay_alu instid0(SALU_CYCLE_1) | instskip(SKIP_2) | instid1(VALU_DEP_2)
	s_or_b32 exec_lo, exec_lo, s1
	v_sub_nc_u32_e32 v18, v25, v21
	v_cmp_le_u32_e32 vcc_lo, v21, v1
	v_add_nc_u32_e32 v18, v18, v1
	s_delay_alu instid0(VALU_DEP_1) | instskip(SKIP_1) | instid1(SALU_CYCLE_1)
	v_cmp_le_u32_e64 s0, v18, v36
	s_or_b32 s0, vcc_lo, s0
	s_and_saveexec_b32 s1, s0
	s_cbranch_execz .LBB522_125
; %bb.35:
	s_mov_b32 s2, exec_lo
	v_cmp_ge_u32_e32 vcc_lo, v21, v1
                                        ; implicit-def: $vgpr2_vgpr3
	v_cmpx_lt_u32_e64 v21, v1
; %bb.36:
	v_lshlrev_b32_e32 v2, 3, v21
	ds_load_b64 v[2:3], v2
; %bb.37:
	s_or_b32 exec_lo, exec_lo, s2
	v_cmp_ge_u32_e64 s5, v18, v36
	s_mov_b32 s2, exec_lo
                                        ; implicit-def: $vgpr14_vgpr15
	v_cmpx_lt_u32_e64 v18, v36
; %bb.38:
	v_lshlrev_b32_e32 v4, 3, v18
	ds_load_b64 v[14:15], v4
; %bb.39:
	s_or_b32 exec_lo, exec_lo, s2
	s_wait_kmcnt 0x0
	v_cmp_gt_i64_e64 s4, s[12:13], 0
	s_nor_b32 s0, vcc_lo, s5
	s_delay_alu instid0(SALU_CYCLE_1)
	s_and_saveexec_b32 s10, s0
	s_cbranch_execz .LBB522_48
; %bb.40:
	s_and_not1_b32 vcc_lo, exec_lo, s4
	s_cbranch_vccnz .LBB522_46
; %bb.41:
	s_wait_dscnt 0x0
	v_mul_u64_e32 v[4:5], s[12:13], v[14:15]
	v_mul_u64_e32 v[6:7], s[12:13], v[2:3]
	s_mov_b32 s11, 0
	s_mov_b64 s[2:3], s[12:13]
                                        ; implicit-def: $sgpr18
                                        ; implicit-def: $sgpr19
                                        ; implicit-def: $sgpr20
                                        ; implicit-def: $sgpr21
	s_delay_alu instid0(VALU_DEP_2) | instskip(NEXT) | instid1(VALU_DEP_2)
	v_lshl_add_u64 v[4:5], v[4:5], 3, s[14:15]
	v_lshl_add_u64 v[6:7], v[6:7], 3, s[14:15]
	s_branch .LBB522_43
.LBB522_42:                             ;   in Loop: Header=BB522_43 Depth=1
	s_or_b32 exec_lo, exec_lo, s22
	s_delay_alu instid0(SALU_CYCLE_1) | instskip(NEXT) | instid1(SALU_CYCLE_1)
	s_and_b32 s22, exec_lo, s19
	s_or_b32 s11, s22, s11
	s_and_not1_b32 s21, s21, exec_lo
	s_and_b32 s0, s0, exec_lo
	s_and_not1_b32 s18, s18, exec_lo
	s_and_b32 s22, s20, exec_lo
	s_or_b32 s21, s21, s0
	s_or_b32 s18, s18, s22
	s_and_not1_b32 exec_lo, exec_lo, s11
	s_cbranch_execz .LBB522_45
.LBB522_43:                             ; =>This Inner Loop Header: Depth=1
	global_load_b64 v[8:9], v[4:5], off
	global_load_b64 v[10:11], v[6:7], off
	s_and_not1_b32 s20, s20, exec_lo
	s_or_b32 s19, s19, exec_lo
	s_wait_loadcnt 0x0
	v_cmp_le_i64_e32 vcc_lo, v[8:9], v[10:11]
	v_cmp_lt_i64_e64 s0, v[8:9], v[10:11]
	s_and_b32 s22, vcc_lo, s21
	s_delay_alu instid0(SALU_CYCLE_1) | instskip(NEXT) | instid1(SALU_CYCLE_1)
	s_or_b32 s0, s0, s22
	s_and_b32 s22, s0, exec_lo
	s_delay_alu instid0(SALU_CYCLE_1)
	s_or_b32 s20, s20, s22
	s_mov_b32 s22, exec_lo
	v_cmpx_eq_u64_e64 v[8:9], v[10:11]
	s_cbranch_execz .LBB522_42
; %bb.44:                               ;   in Loop: Header=BB522_43 Depth=1
	s_add_nc_u64 s[2:3], s[2:3], -1
	v_add_nc_u64_e32 v[4:5], 8, v[4:5]
	s_cmp_eq_u64 s[2:3], 0
	v_add_nc_u64_e32 v[6:7], 8, v[6:7]
	s_cselect_b32 s21, -1, 0
	s_and_not1_b32 s19, s19, exec_lo
	s_and_b32 s21, s21, exec_lo
	s_and_not1_b32 s20, s20, exec_lo
	s_or_b32 s19, s19, s21
                                        ; implicit-def: $sgpr21
	s_branch .LBB522_42
.LBB522_45:
	s_or_b32 exec_lo, exec_lo, s11
	s_xor_b32 s0, s18, -1
	s_branch .LBB522_47
.LBB522_46:
	s_mov_b32 s0, -1
.LBB522_47:
	s_and_not1_b32 s2, s5, exec_lo
	s_and_b32 s0, s0, exec_lo
	s_delay_alu instid0(SALU_CYCLE_1)
	s_or_b32 s5, s2, s0
.LBB522_48:
	s_or_b32 exec_lo, exec_lo, s10
	v_cndmask_b32_e64 v4, v18, v21, s5
	v_cndmask_b32_e64 v5, v36, v1, s5
	s_mov_b32 s11, -1
	s_mov_b32 s10, -1
	s_mov_b32 s18, exec_lo
	v_add_nc_u32_e32 v4, 1, v4
	s_delay_alu instid0(VALU_DEP_1) | instskip(NEXT) | instid1(VALU_DEP_1)
	v_add_min_u32_e64 v5, v5, -1, v4
	v_dual_cndmask_b32 v10, v4, v18, s5 :: v_dual_lshlrev_b32 v5, 3, v5
	ds_load_b64 v[6:7], v5
	s_wait_dscnt 0x0
	v_dual_cndmask_b32 v11, v21, v4, s5 :: v_dual_cndmask_b32 v4, v6, v14, s5
	v_cndmask_b32_e64 v5, v7, v15, s5
	v_dual_cndmask_b32 v17, v3, v7, s5 :: v_dual_cndmask_b32 v16, v2, v6, s5
	v_cmpx_lt_u32_e64 v10, v36
	s_cbranch_execz .LBB522_59
; %bb.49:
	s_mov_b32 s0, 0
	s_mov_b32 s10, exec_lo
	v_cmpx_lt_u32_e64 v11, v1
	s_cbranch_execz .LBB522_58
; %bb.50:
	s_and_not1_b32 vcc_lo, exec_lo, s4
	s_cbranch_vccnz .LBB522_56
; %bb.51:
	v_mul_u64_e32 v[6:7], s[12:13], v[4:5]
	v_mul_u64_e32 v[8:9], s[12:13], v[16:17]
	s_mov_b32 s19, 0
	s_mov_b64 s[2:3], s[12:13]
                                        ; implicit-def: $sgpr20
                                        ; implicit-def: $sgpr21
                                        ; implicit-def: $sgpr22
                                        ; implicit-def: $sgpr23
	s_delay_alu instid0(VALU_DEP_2) | instskip(NEXT) | instid1(VALU_DEP_2)
	v_lshl_add_u64 v[6:7], v[6:7], 3, s[14:15]
	v_lshl_add_u64 v[8:9], v[8:9], 3, s[14:15]
	s_branch .LBB522_53
.LBB522_52:                             ;   in Loop: Header=BB522_53 Depth=1
	s_or_b32 exec_lo, exec_lo, s24
	s_delay_alu instid0(SALU_CYCLE_1) | instskip(NEXT) | instid1(SALU_CYCLE_1)
	s_and_b32 s24, exec_lo, s21
	s_or_b32 s19, s24, s19
	s_and_not1_b32 s23, s23, exec_lo
	s_and_b32 s0, s0, exec_lo
	s_and_not1_b32 s20, s20, exec_lo
	s_and_b32 s24, s22, exec_lo
	s_or_b32 s23, s23, s0
	s_or_b32 s20, s20, s24
	s_and_not1_b32 exec_lo, exec_lo, s19
	s_cbranch_execz .LBB522_55
.LBB522_53:                             ; =>This Inner Loop Header: Depth=1
	global_load_b64 v[12:13], v[6:7], off
	global_load_b64 v[18:19], v[8:9], off
	s_and_not1_b32 s22, s22, exec_lo
	s_or_b32 s21, s21, exec_lo
	s_wait_loadcnt 0x0
	v_cmp_le_i64_e32 vcc_lo, v[12:13], v[18:19]
	v_cmp_lt_i64_e64 s0, v[12:13], v[18:19]
	s_and_b32 s24, vcc_lo, s23
	s_delay_alu instid0(SALU_CYCLE_1) | instskip(NEXT) | instid1(SALU_CYCLE_1)
	s_or_b32 s0, s0, s24
	s_and_b32 s24, s0, exec_lo
	s_delay_alu instid0(SALU_CYCLE_1)
	s_or_b32 s22, s22, s24
	s_mov_b32 s24, exec_lo
	v_cmpx_eq_u64_e64 v[12:13], v[18:19]
	s_cbranch_execz .LBB522_52
; %bb.54:                               ;   in Loop: Header=BB522_53 Depth=1
	s_add_nc_u64 s[2:3], s[2:3], -1
	v_add_nc_u64_e32 v[6:7], 8, v[6:7]
	s_cmp_eq_u64 s[2:3], 0
	v_add_nc_u64_e32 v[8:9], 8, v[8:9]
	s_cselect_b32 s23, -1, 0
	s_and_not1_b32 s21, s21, exec_lo
	s_and_b32 s23, s23, exec_lo
	s_and_not1_b32 s22, s22, exec_lo
	s_or_b32 s21, s21, s23
                                        ; implicit-def: $sgpr23
	s_branch .LBB522_52
.LBB522_55:
	s_or_b32 exec_lo, exec_lo, s19
	s_xor_b32 s0, s20, -1
	s_branch .LBB522_57
.LBB522_56:
	s_mov_b32 s0, -1
.LBB522_57:
	s_delay_alu instid0(SALU_CYCLE_1)
	s_and_b32 s0, s0, exec_lo
.LBB522_58:
	s_or_b32 exec_lo, exec_lo, s10
	s_delay_alu instid0(SALU_CYCLE_1)
	s_or_not1_b32 s10, s0, exec_lo
.LBB522_59:
	s_or_b32 exec_lo, exec_lo, s18
	v_dual_cndmask_b32 v6, v10, v11, s10 :: v_dual_cndmask_b32 v7, v36, v1, s10
	s_mov_b32 s18, exec_lo
	s_delay_alu instid0(VALU_DEP_1) | instskip(NEXT) | instid1(VALU_DEP_1)
	v_add_nc_u32_e32 v6, 1, v6
	v_add_min_u32_e64 v7, v7, -1, v6
	s_delay_alu instid0(VALU_DEP_1)
	v_lshlrev_b32_e32 v7, 3, v7
	ds_load_b64 v[8:9], v7
	v_cndmask_b32_e64 v12, v6, v10, s10
	s_wait_dscnt 0x0
	v_dual_cndmask_b32 v13, v11, v6, s10 :: v_dual_cndmask_b32 v6, v8, v4, s10
	v_cndmask_b32_e64 v7, v9, v5, s10
	v_dual_cndmask_b32 v19, v17, v9, s10 :: v_dual_cndmask_b32 v18, v16, v8, s10
	v_cmpx_lt_u32_e64 v12, v36
	s_cbranch_execz .LBB522_70
; %bb.60:
	s_mov_b32 s0, 0
	s_mov_b32 s11, exec_lo
	v_cmpx_lt_u32_e64 v13, v1
	s_cbranch_execz .LBB522_69
; %bb.61:
	s_and_not1_b32 vcc_lo, exec_lo, s4
	s_cbranch_vccnz .LBB522_67
; %bb.62:
	v_mul_u64_e32 v[8:9], s[12:13], v[6:7]
	v_mul_u64_e32 v[10:11], s[12:13], v[18:19]
	s_mov_b32 s19, 0
	s_mov_b64 s[2:3], s[12:13]
                                        ; implicit-def: $sgpr20
                                        ; implicit-def: $sgpr21
                                        ; implicit-def: $sgpr22
                                        ; implicit-def: $sgpr23
	s_delay_alu instid0(VALU_DEP_2) | instskip(NEXT) | instid1(VALU_DEP_2)
	v_lshl_add_u64 v[8:9], v[8:9], 3, s[14:15]
	v_lshl_add_u64 v[10:11], v[10:11], 3, s[14:15]
	s_branch .LBB522_64
.LBB522_63:                             ;   in Loop: Header=BB522_64 Depth=1
	s_or_b32 exec_lo, exec_lo, s24
	s_delay_alu instid0(SALU_CYCLE_1) | instskip(NEXT) | instid1(SALU_CYCLE_1)
	s_and_b32 s24, exec_lo, s21
	s_or_b32 s19, s24, s19
	s_and_not1_b32 s23, s23, exec_lo
	s_and_b32 s0, s0, exec_lo
	s_and_not1_b32 s20, s20, exec_lo
	s_and_b32 s24, s22, exec_lo
	s_or_b32 s23, s23, s0
	s_or_b32 s20, s20, s24
	s_and_not1_b32 exec_lo, exec_lo, s19
	s_cbranch_execz .LBB522_66
.LBB522_64:                             ; =>This Inner Loop Header: Depth=1
	global_load_b64 v[22:23], v[8:9], off
	global_load_b64 v[24:25], v[10:11], off
	s_and_not1_b32 s22, s22, exec_lo
	s_or_b32 s21, s21, exec_lo
	s_wait_loadcnt 0x0
	v_cmp_le_i64_e32 vcc_lo, v[22:23], v[24:25]
	v_cmp_lt_i64_e64 s0, v[22:23], v[24:25]
	s_and_b32 s24, vcc_lo, s23
	s_delay_alu instid0(SALU_CYCLE_1) | instskip(NEXT) | instid1(SALU_CYCLE_1)
	s_or_b32 s0, s0, s24
	s_and_b32 s24, s0, exec_lo
	s_delay_alu instid0(SALU_CYCLE_1)
	s_or_b32 s22, s22, s24
	s_mov_b32 s24, exec_lo
	v_cmpx_eq_u64_e64 v[22:23], v[24:25]
	s_cbranch_execz .LBB522_63
; %bb.65:                               ;   in Loop: Header=BB522_64 Depth=1
	s_add_nc_u64 s[2:3], s[2:3], -1
	v_add_nc_u64_e32 v[8:9], 8, v[8:9]
	s_cmp_eq_u64 s[2:3], 0
	v_add_nc_u64_e32 v[10:11], 8, v[10:11]
	s_cselect_b32 s23, -1, 0
	s_and_not1_b32 s21, s21, exec_lo
	s_and_b32 s23, s23, exec_lo
	s_and_not1_b32 s22, s22, exec_lo
	s_or_b32 s21, s21, s23
                                        ; implicit-def: $sgpr23
	s_branch .LBB522_63
.LBB522_66:
	s_or_b32 exec_lo, exec_lo, s19
	s_xor_b32 s0, s20, -1
	s_branch .LBB522_68
.LBB522_67:
	s_mov_b32 s0, -1
.LBB522_68:
	s_delay_alu instid0(SALU_CYCLE_1)
	s_and_b32 s0, s0, exec_lo
.LBB522_69:
	s_or_b32 exec_lo, exec_lo, s11
	s_delay_alu instid0(SALU_CYCLE_1)
	s_or_not1_b32 s11, s0, exec_lo
.LBB522_70:
	s_or_b32 exec_lo, exec_lo, s18
	v_cndmask_b32_e64 v8, v12, v13, s11
	v_cndmask_b32_e64 v9, v36, v1, s11
	s_mov_b32 s19, -1
	s_mov_b32 s18, -1
	s_mov_b32 s20, exec_lo
	v_add_nc_u32_e32 v8, 1, v8
	s_delay_alu instid0(VALU_DEP_1) | instskip(NEXT) | instid1(VALU_DEP_1)
	v_add_min_u32_e64 v9, v9, -1, v8
	v_dual_cndmask_b32 v21, v8, v12, s11 :: v_dual_lshlrev_b32 v9, 3, v9
	ds_load_b64 v[10:11], v9
	s_wait_dscnt 0x0
	v_dual_cndmask_b32 v24, v13, v8, s11 :: v_dual_cndmask_b32 v8, v10, v6, s11
	v_cndmask_b32_e64 v9, v11, v7, s11
	v_dual_cndmask_b32 v23, v19, v11, s11 :: v_dual_cndmask_b32 v22, v18, v10, s11
	v_cmpx_lt_u32_e64 v21, v36
	s_cbranch_execz .LBB522_81
; %bb.71:
	s_mov_b32 s0, 0
	s_mov_b32 s18, exec_lo
	v_cmpx_lt_u32_e64 v24, v1
	s_cbranch_execz .LBB522_80
; %bb.72:
	s_and_not1_b32 vcc_lo, exec_lo, s4
	s_cbranch_vccnz .LBB522_78
; %bb.73:
	v_mul_u64_e32 v[10:11], s[12:13], v[8:9]
	v_mul_u64_e32 v[12:13], s[12:13], v[22:23]
	s_mov_b32 s21, 0
	s_mov_b64 s[2:3], s[12:13]
                                        ; implicit-def: $sgpr22
                                        ; implicit-def: $sgpr23
                                        ; implicit-def: $sgpr24
                                        ; implicit-def: $sgpr25
	s_delay_alu instid0(VALU_DEP_2) | instskip(NEXT) | instid1(VALU_DEP_2)
	v_lshl_add_u64 v[10:11], v[10:11], 3, s[14:15]
	v_lshl_add_u64 v[12:13], v[12:13], 3, s[14:15]
	s_branch .LBB522_75
.LBB522_74:                             ;   in Loop: Header=BB522_75 Depth=1
	s_or_b32 exec_lo, exec_lo, s26
	s_delay_alu instid0(SALU_CYCLE_1) | instskip(NEXT) | instid1(SALU_CYCLE_1)
	s_and_b32 s26, exec_lo, s23
	s_or_b32 s21, s26, s21
	s_and_not1_b32 s25, s25, exec_lo
	s_and_b32 s0, s0, exec_lo
	s_and_not1_b32 s22, s22, exec_lo
	s_and_b32 s26, s24, exec_lo
	s_or_b32 s25, s25, s0
	s_or_b32 s22, s22, s26
	s_and_not1_b32 exec_lo, exec_lo, s21
	s_cbranch_execz .LBB522_77
.LBB522_75:                             ; =>This Inner Loop Header: Depth=1
	global_load_b64 v[26:27], v[10:11], off
	global_load_b64 v[28:29], v[12:13], off
	s_and_not1_b32 s24, s24, exec_lo
	s_or_b32 s23, s23, exec_lo
	s_wait_loadcnt 0x0
	v_cmp_le_i64_e32 vcc_lo, v[26:27], v[28:29]
	v_cmp_lt_i64_e64 s0, v[26:27], v[28:29]
	s_and_b32 s26, vcc_lo, s25
	s_delay_alu instid0(SALU_CYCLE_1) | instskip(NEXT) | instid1(SALU_CYCLE_1)
	s_or_b32 s0, s0, s26
	s_and_b32 s26, s0, exec_lo
	s_delay_alu instid0(SALU_CYCLE_1)
	s_or_b32 s24, s24, s26
	s_mov_b32 s26, exec_lo
	v_cmpx_eq_u64_e64 v[26:27], v[28:29]
	s_cbranch_execz .LBB522_74
; %bb.76:                               ;   in Loop: Header=BB522_75 Depth=1
	s_add_nc_u64 s[2:3], s[2:3], -1
	v_add_nc_u64_e32 v[10:11], 8, v[10:11]
	s_cmp_eq_u64 s[2:3], 0
	v_add_nc_u64_e32 v[12:13], 8, v[12:13]
	s_cselect_b32 s25, -1, 0
	s_and_not1_b32 s23, s23, exec_lo
	s_and_b32 s25, s25, exec_lo
	s_and_not1_b32 s24, s24, exec_lo
	s_or_b32 s23, s23, s25
                                        ; implicit-def: $sgpr25
	s_branch .LBB522_74
.LBB522_77:
	s_or_b32 exec_lo, exec_lo, s21
	s_xor_b32 s0, s22, -1
	s_branch .LBB522_79
.LBB522_78:
	s_mov_b32 s0, -1
.LBB522_79:
	s_delay_alu instid0(SALU_CYCLE_1)
	s_and_b32 s0, s0, exec_lo
.LBB522_80:
	s_or_b32 exec_lo, exec_lo, s18
	s_delay_alu instid0(SALU_CYCLE_1)
	s_or_not1_b32 s18, s0, exec_lo
.LBB522_81:
	s_or_b32 exec_lo, exec_lo, s20
	v_dual_cndmask_b32 v10, v21, v24, s18 :: v_dual_cndmask_b32 v11, v36, v1, s18
	s_mov_b32 s20, exec_lo
	s_delay_alu instid0(VALU_DEP_1) | instskip(NEXT) | instid1(VALU_DEP_1)
	v_add_nc_u32_e32 v10, 1, v10
	v_add_min_u32_e64 v11, v11, -1, v10
	s_delay_alu instid0(VALU_DEP_1)
	v_dual_lshlrev_b32 v11, 3, v11 :: v_dual_cndmask_b32 v21, v10, v21, s18
	v_cndmask_b32_e64 v28, v24, v10, s18
	ds_load_b64 v[12:13], v11
	s_wait_dscnt 0x0
	v_dual_cndmask_b32 v11, v13, v9, s18 :: v_dual_cndmask_b32 v10, v12, v8, s18
	v_dual_cndmask_b32 v25, v23, v13, s18 :: v_dual_cndmask_b32 v24, v22, v12, s18
	v_cmpx_lt_u32_e64 v21, v36
	s_cbranch_execz .LBB522_92
; %bb.82:
	s_mov_b32 s0, 0
	s_mov_b32 s19, exec_lo
	v_cmpx_lt_u32_e64 v28, v1
	s_cbranch_execz .LBB522_91
; %bb.83:
	s_and_not1_b32 vcc_lo, exec_lo, s4
	s_cbranch_vccnz .LBB522_89
; %bb.84:
	v_mul_u64_e32 v[12:13], s[12:13], v[10:11]
	v_mul_u64_e32 v[26:27], s[12:13], v[24:25]
	s_mov_b32 s21, 0
	s_mov_b64 s[2:3], s[12:13]
                                        ; implicit-def: $sgpr22
                                        ; implicit-def: $sgpr23
                                        ; implicit-def: $sgpr24
                                        ; implicit-def: $sgpr25
	s_delay_alu instid0(VALU_DEP_2) | instskip(NEXT) | instid1(VALU_DEP_2)
	v_lshl_add_u64 v[12:13], v[12:13], 3, s[14:15]
	v_lshl_add_u64 v[26:27], v[26:27], 3, s[14:15]
	s_branch .LBB522_86
.LBB522_85:                             ;   in Loop: Header=BB522_86 Depth=1
	s_or_b32 exec_lo, exec_lo, s26
	s_delay_alu instid0(SALU_CYCLE_1) | instskip(NEXT) | instid1(SALU_CYCLE_1)
	s_and_b32 s26, exec_lo, s23
	s_or_b32 s21, s26, s21
	s_and_not1_b32 s25, s25, exec_lo
	s_and_b32 s0, s0, exec_lo
	s_and_not1_b32 s22, s22, exec_lo
	s_and_b32 s26, s24, exec_lo
	s_or_b32 s25, s25, s0
	s_or_b32 s22, s22, s26
	s_and_not1_b32 exec_lo, exec_lo, s21
	s_cbranch_execz .LBB522_88
.LBB522_86:                             ; =>This Inner Loop Header: Depth=1
	global_load_b64 v[30:31], v[12:13], off
	global_load_b64 v[32:33], v[26:27], off
	s_and_not1_b32 s24, s24, exec_lo
	s_or_b32 s23, s23, exec_lo
	s_wait_loadcnt 0x0
	v_cmp_le_i64_e32 vcc_lo, v[30:31], v[32:33]
	v_cmp_lt_i64_e64 s0, v[30:31], v[32:33]
	s_and_b32 s26, vcc_lo, s25
	s_delay_alu instid0(SALU_CYCLE_1) | instskip(NEXT) | instid1(SALU_CYCLE_1)
	s_or_b32 s0, s0, s26
	s_and_b32 s26, s0, exec_lo
	s_delay_alu instid0(SALU_CYCLE_1)
	s_or_b32 s24, s24, s26
	s_mov_b32 s26, exec_lo
	v_cmpx_eq_u64_e64 v[30:31], v[32:33]
	s_cbranch_execz .LBB522_85
; %bb.87:                               ;   in Loop: Header=BB522_86 Depth=1
	s_add_nc_u64 s[2:3], s[2:3], -1
	v_add_nc_u64_e32 v[12:13], 8, v[12:13]
	s_cmp_eq_u64 s[2:3], 0
	v_add_nc_u64_e32 v[26:27], 8, v[26:27]
	s_cselect_b32 s25, -1, 0
	s_and_not1_b32 s23, s23, exec_lo
	s_and_b32 s25, s25, exec_lo
	s_and_not1_b32 s24, s24, exec_lo
	s_or_b32 s23, s23, s25
                                        ; implicit-def: $sgpr25
	s_branch .LBB522_85
.LBB522_88:
	s_or_b32 exec_lo, exec_lo, s21
	s_xor_b32 s0, s22, -1
	s_branch .LBB522_90
.LBB522_89:
	s_mov_b32 s0, -1
.LBB522_90:
	s_delay_alu instid0(SALU_CYCLE_1)
	s_and_b32 s0, s0, exec_lo
.LBB522_91:
	s_or_b32 exec_lo, exec_lo, s19
	s_delay_alu instid0(SALU_CYCLE_1)
	s_or_not1_b32 s19, s0, exec_lo
.LBB522_92:
	s_or_b32 exec_lo, exec_lo, s20
	v_dual_cndmask_b32 v12, v21, v28, s19 :: v_dual_cndmask_b32 v13, v36, v1, s19
	s_mov_b32 s20, -1
	s_mov_b32 s21, -1
	s_mov_b32 s22, exec_lo
	s_delay_alu instid0(VALU_DEP_1) | instskip(NEXT) | instid1(VALU_DEP_1)
	v_add_nc_u32_e32 v12, 1, v12
	v_add_min_u32_e64 v13, v13, -1, v12
	s_delay_alu instid0(VALU_DEP_1)
	v_lshlrev_b32_e32 v13, 3, v13
	ds_load_b64 v[26:27], v13
	v_cndmask_b32_e64 v21, v12, v21, s19
	s_wait_dscnt 0x0
	v_dual_cndmask_b32 v32, v28, v12, s19 :: v_dual_cndmask_b32 v12, v26, v10, s19
	v_cndmask_b32_e64 v13, v27, v11, s19
	v_dual_cndmask_b32 v27, v25, v27, s19 :: v_dual_cndmask_b32 v26, v24, v26, s19
	v_cmpx_lt_u32_e64 v21, v36
	s_cbranch_execz .LBB522_103
; %bb.93:
	s_mov_b32 s0, 0
	s_mov_b32 s21, exec_lo
	v_cmpx_lt_u32_e64 v32, v1
	s_cbranch_execz .LBB522_102
; %bb.94:
	s_and_not1_b32 vcc_lo, exec_lo, s4
	s_cbranch_vccnz .LBB522_100
; %bb.95:
	v_mul_u64_e32 v[28:29], s[12:13], v[12:13]
	v_mul_u64_e32 v[30:31], s[12:13], v[26:27]
	s_mov_b32 s23, 0
	s_mov_b64 s[2:3], s[12:13]
                                        ; implicit-def: $sgpr24
                                        ; implicit-def: $sgpr25
                                        ; implicit-def: $sgpr26
                                        ; implicit-def: $sgpr27
	s_delay_alu instid0(VALU_DEP_2) | instskip(NEXT) | instid1(VALU_DEP_2)
	v_lshl_add_u64 v[28:29], v[28:29], 3, s[14:15]
	v_lshl_add_u64 v[30:31], v[30:31], 3, s[14:15]
	s_branch .LBB522_97
.LBB522_96:                             ;   in Loop: Header=BB522_97 Depth=1
	s_or_b32 exec_lo, exec_lo, s28
	s_delay_alu instid0(SALU_CYCLE_1) | instskip(NEXT) | instid1(SALU_CYCLE_1)
	s_and_b32 s28, exec_lo, s25
	s_or_b32 s23, s28, s23
	s_and_not1_b32 s27, s27, exec_lo
	s_and_b32 s0, s0, exec_lo
	s_and_not1_b32 s24, s24, exec_lo
	s_and_b32 s28, s26, exec_lo
	s_or_b32 s27, s27, s0
	s_or_b32 s24, s24, s28
	s_and_not1_b32 exec_lo, exec_lo, s23
	s_cbranch_execz .LBB522_99
.LBB522_97:                             ; =>This Inner Loop Header: Depth=1
	global_load_b64 v[34:35], v[28:29], off
	global_load_b64 v[38:39], v[30:31], off
	s_and_not1_b32 s26, s26, exec_lo
	s_or_b32 s25, s25, exec_lo
	s_wait_loadcnt 0x0
	v_cmp_le_i64_e32 vcc_lo, v[34:35], v[38:39]
	v_cmp_lt_i64_e64 s0, v[34:35], v[38:39]
	s_and_b32 s28, vcc_lo, s27
	s_delay_alu instid0(SALU_CYCLE_1) | instskip(NEXT) | instid1(SALU_CYCLE_1)
	s_or_b32 s0, s0, s28
	s_and_b32 s28, s0, exec_lo
	s_delay_alu instid0(SALU_CYCLE_1)
	s_or_b32 s26, s26, s28
	s_mov_b32 s28, exec_lo
	v_cmpx_eq_u64_e64 v[34:35], v[38:39]
	s_cbranch_execz .LBB522_96
; %bb.98:                               ;   in Loop: Header=BB522_97 Depth=1
	s_add_nc_u64 s[2:3], s[2:3], -1
	v_add_nc_u64_e32 v[28:29], 8, v[28:29]
	s_cmp_eq_u64 s[2:3], 0
	v_add_nc_u64_e32 v[30:31], 8, v[30:31]
	s_cselect_b32 s27, -1, 0
	s_and_not1_b32 s25, s25, exec_lo
	s_and_b32 s27, s27, exec_lo
	s_and_not1_b32 s26, s26, exec_lo
	s_or_b32 s25, s25, s27
                                        ; implicit-def: $sgpr27
	s_branch .LBB522_96
.LBB522_99:
	s_or_b32 exec_lo, exec_lo, s23
	s_xor_b32 s0, s24, -1
	s_branch .LBB522_101
.LBB522_100:
	s_mov_b32 s0, -1
.LBB522_101:
	s_delay_alu instid0(SALU_CYCLE_1)
	s_and_b32 s0, s0, exec_lo
.LBB522_102:
	s_or_b32 exec_lo, exec_lo, s21
	s_delay_alu instid0(SALU_CYCLE_1)
	s_or_not1_b32 s21, s0, exec_lo
.LBB522_103:
	s_or_b32 exec_lo, exec_lo, s22
	v_dual_cndmask_b32 v28, v21, v32, s21 :: v_dual_cndmask_b32 v29, v36, v1, s21
	s_mov_b32 s22, exec_lo
	s_delay_alu instid0(VALU_DEP_1) | instskip(NEXT) | instid1(VALU_DEP_1)
	v_add_nc_u32_e32 v28, 1, v28
	v_add_min_u32_e64 v29, v29, -1, v28
	s_delay_alu instid0(VALU_DEP_1)
	v_lshlrev_b32_e32 v29, 3, v29
	ds_load_b64 v[30:31], v29
	v_cndmask_b32_e64 v37, v28, v21, s21
	s_wait_dscnt 0x0
	v_dual_cndmask_b32 v21, v32, v28, s21 :: v_dual_cndmask_b32 v29, v31, v13, s21
	v_dual_cndmask_b32 v28, v30, v12, s21 :: v_dual_cndmask_b32 v31, v27, v31, s21
	v_cndmask_b32_e64 v30, v26, v30, s21
	v_cmpx_lt_u32_e64 v37, v36
	s_cbranch_execz .LBB522_114
; %bb.104:
	s_mov_b32 s0, 0
	s_mov_b32 s20, exec_lo
	v_cmpx_lt_u32_e64 v21, v1
	s_cbranch_execz .LBB522_113
; %bb.105:
	s_and_not1_b32 vcc_lo, exec_lo, s4
	s_cbranch_vccnz .LBB522_111
; %bb.106:
	v_mul_u64_e32 v[32:33], s[12:13], v[28:29]
	v_mul_u64_e32 v[34:35], s[12:13], v[30:31]
	s_mov_b32 s23, 0
	s_mov_b64 s[2:3], s[12:13]
                                        ; implicit-def: $sgpr24
                                        ; implicit-def: $sgpr25
                                        ; implicit-def: $sgpr26
                                        ; implicit-def: $sgpr27
	s_delay_alu instid0(VALU_DEP_2) | instskip(NEXT) | instid1(VALU_DEP_2)
	v_lshl_add_u64 v[32:33], v[32:33], 3, s[14:15]
	v_lshl_add_u64 v[34:35], v[34:35], 3, s[14:15]
	s_branch .LBB522_108
.LBB522_107:                            ;   in Loop: Header=BB522_108 Depth=1
	s_or_b32 exec_lo, exec_lo, s28
	s_delay_alu instid0(SALU_CYCLE_1) | instskip(NEXT) | instid1(SALU_CYCLE_1)
	s_and_b32 s28, exec_lo, s25
	s_or_b32 s23, s28, s23
	s_and_not1_b32 s27, s27, exec_lo
	s_and_b32 s0, s0, exec_lo
	s_and_not1_b32 s24, s24, exec_lo
	s_and_b32 s28, s26, exec_lo
	s_or_b32 s27, s27, s0
	s_or_b32 s24, s24, s28
	s_and_not1_b32 exec_lo, exec_lo, s23
	s_cbranch_execz .LBB522_110
.LBB522_108:                            ; =>This Inner Loop Header: Depth=1
	global_load_b64 v[38:39], v[32:33], off
	global_load_b64 v[40:41], v[34:35], off
	s_and_not1_b32 s26, s26, exec_lo
	s_or_b32 s25, s25, exec_lo
	s_wait_loadcnt 0x0
	v_cmp_le_i64_e32 vcc_lo, v[38:39], v[40:41]
	v_cmp_lt_i64_e64 s0, v[38:39], v[40:41]
	s_and_b32 s28, vcc_lo, s27
	s_delay_alu instid0(SALU_CYCLE_1) | instskip(NEXT) | instid1(SALU_CYCLE_1)
	s_or_b32 s0, s0, s28
	s_and_b32 s28, s0, exec_lo
	s_delay_alu instid0(SALU_CYCLE_1)
	s_or_b32 s26, s26, s28
	s_mov_b32 s28, exec_lo
	v_cmpx_eq_u64_e64 v[38:39], v[40:41]
	s_cbranch_execz .LBB522_107
; %bb.109:                              ;   in Loop: Header=BB522_108 Depth=1
	s_add_nc_u64 s[2:3], s[2:3], -1
	v_add_nc_u64_e32 v[32:33], 8, v[32:33]
	s_cmp_eq_u64 s[2:3], 0
	v_add_nc_u64_e32 v[34:35], 8, v[34:35]
	s_cselect_b32 s27, -1, 0
	s_and_not1_b32 s25, s25, exec_lo
	s_and_b32 s27, s27, exec_lo
	s_and_not1_b32 s26, s26, exec_lo
	s_or_b32 s25, s25, s27
                                        ; implicit-def: $sgpr27
	s_branch .LBB522_107
.LBB522_110:
	s_or_b32 exec_lo, exec_lo, s23
	s_xor_b32 s0, s24, -1
	s_branch .LBB522_112
.LBB522_111:
	s_mov_b32 s0, -1
.LBB522_112:
	s_delay_alu instid0(SALU_CYCLE_1)
	s_and_b32 s0, s0, exec_lo
.LBB522_113:
	s_or_b32 exec_lo, exec_lo, s20
	s_delay_alu instid0(SALU_CYCLE_1)
	s_or_not1_b32 s20, s0, exec_lo
.LBB522_114:
	s_or_b32 exec_lo, exec_lo, s22
	v_dual_cndmask_b32 v32, v37, v21, s20 :: v_dual_cndmask_b32 v12, v12, v26, s21
	v_cndmask_b32_e64 v33, v36, v1, s20
	v_dual_cndmask_b32 v11, v11, v25, s19 :: v_dual_cndmask_b32 v10, v10, v24, s19
	s_delay_alu instid0(VALU_DEP_3) | instskip(SKIP_2) | instid1(VALU_DEP_3)
	v_dual_add_nc_u32 v34, 1, v32 :: v_dual_cndmask_b32 v9, v9, v23, s18
	v_dual_cndmask_b32 v8, v8, v22, s18 :: v_dual_cndmask_b32 v7, v7, v19, s11
	v_cndmask_b32_e64 v6, v6, v18, s11
	v_add_min_u32_e64 v32, v33, -1, v34
	v_dual_cndmask_b32 v5, v5, v17, s10 :: v_dual_cndmask_b32 v4, v4, v16, s10
	v_dual_cndmask_b32 v3, v15, v3, s5 :: v_dual_cndmask_b32 v2, v14, v2, s5
	s_delay_alu instid0(VALU_DEP_3)
	v_dual_lshlrev_b32 v32, 3, v32 :: v_dual_cndmask_b32 v13, v13, v27, s21
	v_dual_cndmask_b32 v18, v34, v37, s20 :: v_dual_cndmask_b32 v15, v29, v31, s20
	s_mov_b32 s2, exec_lo
	ds_load_b64 v[32:33], v32
	s_wait_dscnt 0x0
	v_dual_cndmask_b32 v14, v28, v30, s20 :: v_dual_cndmask_b32 v17, v31, v33, s20
	v_cndmask_b32_e64 v16, v30, v32, s20
	v_cmpx_lt_u32_e64 v18, v36
	s_cbranch_execz .LBB522_124
; %bb.115:
	v_dual_cndmask_b32 v21, v21, v34, s20 :: v_dual_cndmask_b32 v18, v32, v28, s20
	v_cndmask_b32_e64 v19, v33, v29, s20
	s_mov_b32 s3, exec_lo
	s_delay_alu instid0(VALU_DEP_2)
	v_cmpx_lt_u32_e64 v21, v1
	s_cbranch_execz .LBB522_123
; %bb.116:
	s_and_not1_b32 vcc_lo, exec_lo, s4
	s_cbranch_vccnz .LBB522_122
; %bb.117:
	v_mul_u64_e32 v[22:23], s[12:13], v[18:19]
	v_mul_u64_e32 v[24:25], s[12:13], v[16:17]
	s_mov_b32 s4, 0
                                        ; implicit-def: $sgpr5
                                        ; implicit-def: $sgpr10
                                        ; implicit-def: $sgpr11
	s_delay_alu instid0(VALU_DEP_2) | instskip(NEXT) | instid1(VALU_DEP_2)
	v_lshl_add_u64 v[22:23], v[22:23], 3, s[14:15]
	v_lshl_add_u64 v[24:25], v[24:25], 3, s[14:15]
                                        ; implicit-def: $sgpr14
	s_branch .LBB522_119
.LBB522_118:                            ;   in Loop: Header=BB522_119 Depth=1
	s_or_b32 exec_lo, exec_lo, s15
	s_delay_alu instid0(SALU_CYCLE_1) | instskip(NEXT) | instid1(SALU_CYCLE_1)
	s_and_b32 s15, exec_lo, s10
	s_or_b32 s4, s15, s4
	s_and_not1_b32 s14, s14, exec_lo
	s_and_b32 s0, s0, exec_lo
	s_and_not1_b32 s5, s5, exec_lo
	s_and_b32 s15, s11, exec_lo
	s_or_b32 s14, s14, s0
	s_or_b32 s5, s5, s15
	s_and_not1_b32 exec_lo, exec_lo, s4
	s_cbranch_execz .LBB522_121
.LBB522_119:                            ; =>This Inner Loop Header: Depth=1
	global_load_b64 v[26:27], v[22:23], off
	global_load_b64 v[28:29], v[24:25], off
	s_and_not1_b32 s11, s11, exec_lo
	s_or_b32 s10, s10, exec_lo
	s_wait_loadcnt 0x0
	v_cmp_le_i64_e32 vcc_lo, v[26:27], v[28:29]
	v_cmp_lt_i64_e64 s0, v[26:27], v[28:29]
	s_and_b32 s15, vcc_lo, s14
	s_delay_alu instid0(SALU_CYCLE_1) | instskip(NEXT) | instid1(SALU_CYCLE_1)
	s_or_b32 s0, s0, s15
	s_and_b32 s15, s0, exec_lo
	s_delay_alu instid0(SALU_CYCLE_1)
	s_or_b32 s11, s11, s15
	s_mov_b32 s15, exec_lo
	v_cmpx_eq_u64_e64 v[26:27], v[28:29]
	s_cbranch_execz .LBB522_118
; %bb.120:                              ;   in Loop: Header=BB522_119 Depth=1
	s_add_nc_u64 s[12:13], s[12:13], -1
	v_add_nc_u64_e32 v[22:23], 8, v[22:23]
	s_cmp_eq_u64 s[12:13], 0
	v_add_nc_u64_e32 v[24:25], 8, v[24:25]
	s_cselect_b32 s14, -1, 0
	s_and_not1_b32 s10, s10, exec_lo
	s_and_b32 s14, s14, exec_lo
	s_and_not1_b32 s11, s11, exec_lo
	s_or_b32 s10, s10, s14
                                        ; implicit-def: $sgpr14
	s_branch .LBB522_118
.LBB522_121:
	s_or_b32 exec_lo, exec_lo, s4
	v_dual_cndmask_b32 v17, v17, v19, s5 :: v_dual_cndmask_b32 v16, v16, v18, s5
.LBB522_122:
	s_delay_alu instid0(VALU_DEP_1)
	v_mov_b64_e32 v[18:19], v[16:17]
.LBB522_123:
	s_or_b32 exec_lo, exec_lo, s3
	s_delay_alu instid0(VALU_DEP_1)
	v_mov_b64_e32 v[16:17], v[18:19]
.LBB522_124:
	s_or_b32 exec_lo, exec_lo, s2
.LBB522_125:
	s_delay_alu instid0(SALU_CYCLE_1) | instskip(SKIP_4) | instid1(VALU_DEP_4)
	s_or_b32 exec_lo, exec_lo, s1
	v_or_b32_e32 v25, 0x80, v0
	v_lshrrev_b32_e32 v1, 2, v0
	v_or_b32_e32 v22, 0x100, v0
	v_lshlrev_b32_e32 v18, 3, v20
	v_lshrrev_b32_e32 v19, 2, v25
	s_barrier_signal -1
	s_delay_alu instid0(VALU_DEP_3) | instskip(NEXT) | instid1(VALU_DEP_3)
	v_lshrrev_b32_e32 v21, 2, v22
	v_lshl_add_u32 v18, v1, 3, v18
	s_barrier_wait -1
	s_barrier_signal -1
	s_barrier_wait -1
	ds_store_2addr_b64 v18, v[2:3], v[4:5] offset1:1
	ds_store_2addr_b64 v18, v[6:7], v[8:9] offset0:2 offset1:3
	v_and_b32_e32 v2, 56, v19
	v_and_b32_e32 v1, 24, v1
	v_or_b32_e32 v24, 0x180, v0
	v_and_b32_e32 v3, 0x58, v21
	v_or_b32_e32 v23, 0x200, v0
	s_delay_alu instid0(VALU_DEP_4) | instskip(NEXT) | instid1(VALU_DEP_4)
	v_dual_add_nc_u32 v6, v2, v20 :: v_dual_add_nc_u32 v26, v1, v20
	v_lshrrev_b32_e32 v1, 2, v24
	ds_store_2addr_b64 v18, v[10:11], v[12:13] offset0:4 offset1:5
	ds_store_2addr_b64 v18, v[14:15], v[16:17] offset0:6 offset1:7
	v_or_b32_e32 v19, 0x280, v0
	v_add_nc_u32_e32 v7, v3, v20
	v_or_b32_e32 v18, 0x300, v0
	v_lshrrev_b32_e32 v3, 2, v23
	v_and_b32_e32 v2, 0x78, v1
	v_or_b32_e32 v1, 0x380, v0
	s_delay_alu instid0(VALU_DEP_4) | instskip(NEXT) | instid1(VALU_DEP_4)
	v_dual_lshrrev_b32 v4, 2, v19 :: v_dual_lshrrev_b32 v5, 2, v18
	v_and_b32_e32 v3, 0x98, v3
	s_delay_alu instid0(VALU_DEP_3)
	v_dual_add_nc_u32 v8, v2, v20 :: v_dual_lshrrev_b32 v2, 2, v1
	v_mov_b32_e32 v21, 0
	s_lshl_b64 s[0:1], s[16:17], 3
	v_and_b32_e32 v4, 0xb8, v4
	v_and_b32_e32 v5, 0xd8, v5
	;; [unrolled: 1-line block ×3, first 2 shown]
	s_add_nc_u64 s[0:1], s[6:7], s[0:1]
	s_delay_alu instid0(VALU_DEP_3) | instskip(SKIP_1) | instid1(VALU_DEP_3)
	v_dual_add_nc_u32 v9, v3, v20 :: v_dual_add_nc_u32 v27, v4, v20
	v_add_nc_u64_e32 v[2:3], s[0:1], v[20:21]
	v_dual_add_nc_u32 v28, v5, v20 :: v_dual_add_nc_u32 v20, v10, v20
	s_and_b32 vcc_lo, exec_lo, s9
	s_wait_dscnt 0x0
	s_cbranch_vccz .LBB522_127
; %bb.126:
	s_barrier_signal -1
	s_barrier_wait -1
	ds_load_b64 v[10:11], v26
	ds_load_b64 v[12:13], v6 offset:1024
	ds_load_b64 v[14:15], v7 offset:2048
	;; [unrolled: 1-line block ×7, first 2 shown]
	s_mov_b32 s0, -1
	s_wait_dscnt 0x7
	global_store_b64 v[2:3], v[10:11], off
	s_wait_dscnt 0x6
	global_store_b64 v[2:3], v[12:13], off offset:1024
	s_wait_dscnt 0x5
	global_store_b64 v[2:3], v[14:15], off offset:2048
	;; [unrolled: 2-line block ×6, first 2 shown]
	s_cbranch_execz .LBB522_128
	s_branch .LBB522_137
.LBB522_127:
	s_mov_b32 s0, 0
                                        ; implicit-def: $vgpr4_vgpr5
.LBB522_128:
	s_barrier_signal -1
	s_barrier_wait -1
	s_wait_storecnt_dscnt 0x0
	s_wait_xcnt 0x3
	ds_load_b64 v[16:17], v6 offset:1024
	ds_load_b64 v[14:15], v7 offset:2048
	ds_load_b64 v[12:13], v8 offset:3072
	ds_load_b64 v[10:11], v9 offset:4096
	ds_load_b64 v[8:9], v27 offset:5120
	ds_load_b64 v[6:7], v28 offset:6144
	ds_load_b64 v[4:5], v20 offset:7168
	s_sub_co_i32 s0, s8, s16
	s_mov_b32 s1, exec_lo
	s_wait_xcnt 0x0
	v_cmpx_gt_u32_e64 s0, v0
	s_cbranch_execnz .LBB522_140
; %bb.129:
	s_or_b32 exec_lo, exec_lo, s1
	s_delay_alu instid0(SALU_CYCLE_1)
	s_mov_b32 s1, exec_lo
	v_cmpx_gt_u32_e64 s0, v25
	s_cbranch_execnz .LBB522_141
.LBB522_130:
	s_or_b32 exec_lo, exec_lo, s1
	s_delay_alu instid0(SALU_CYCLE_1)
	s_mov_b32 s1, exec_lo
	v_cmpx_gt_u32_e64 s0, v22
	s_cbranch_execnz .LBB522_142
.LBB522_131:
	s_or_b32 exec_lo, exec_lo, s1
	s_delay_alu instid0(SALU_CYCLE_1)
	s_mov_b32 s1, exec_lo
	v_cmpx_gt_u32_e64 s0, v24
	s_cbranch_execnz .LBB522_143
.LBB522_132:
	s_or_b32 exec_lo, exec_lo, s1
	s_delay_alu instid0(SALU_CYCLE_1)
	s_mov_b32 s1, exec_lo
	v_cmpx_gt_u32_e64 s0, v23
	s_cbranch_execnz .LBB522_144
.LBB522_133:
	s_or_b32 exec_lo, exec_lo, s1
	s_delay_alu instid0(SALU_CYCLE_1)
	s_mov_b32 s1, exec_lo
	v_cmpx_gt_u32_e64 s0, v19
	s_cbranch_execnz .LBB522_145
.LBB522_134:
	s_or_b32 exec_lo, exec_lo, s1
	s_delay_alu instid0(SALU_CYCLE_1)
	s_mov_b32 s1, exec_lo
	v_cmpx_gt_u32_e64 s0, v18
	s_cbranch_execz .LBB522_136
.LBB522_135:
	s_wait_dscnt 0x1
	global_store_b64 v[2:3], v[6:7], off offset:6144
.LBB522_136:
	s_wait_xcnt 0x0
	s_or_b32 exec_lo, exec_lo, s1
	v_cmp_gt_u32_e64 s0, s0, v1
.LBB522_137:
	s_wait_xcnt 0x0
	s_delay_alu instid0(VALU_DEP_1)
	s_and_saveexec_b32 s1, s0
	s_cbranch_execz .LBB522_139
; %bb.138:
	s_wait_dscnt 0x0
	global_store_b64 v[2:3], v[4:5], off offset:7168
.LBB522_139:
	s_endpgm
.LBB522_140:
	ds_load_b64 v[20:21], v26
	s_wait_dscnt 0x0
	global_store_b64 v[2:3], v[20:21], off
	s_wait_xcnt 0x0
	s_or_b32 exec_lo, exec_lo, s1
	s_delay_alu instid0(SALU_CYCLE_1)
	s_mov_b32 s1, exec_lo
	v_cmpx_gt_u32_e64 s0, v25
	s_cbranch_execz .LBB522_130
.LBB522_141:
	s_wait_dscnt 0x6
	global_store_b64 v[2:3], v[16:17], off offset:1024
	s_wait_xcnt 0x0
	s_or_b32 exec_lo, exec_lo, s1
	s_delay_alu instid0(SALU_CYCLE_1)
	s_mov_b32 s1, exec_lo
	v_cmpx_gt_u32_e64 s0, v22
	s_cbranch_execz .LBB522_131
.LBB522_142:
	s_wait_dscnt 0x5
	global_store_b64 v[2:3], v[14:15], off offset:2048
	s_wait_xcnt 0x0
	s_or_b32 exec_lo, exec_lo, s1
	s_delay_alu instid0(SALU_CYCLE_1)
	s_mov_b32 s1, exec_lo
	v_cmpx_gt_u32_e64 s0, v24
	s_cbranch_execz .LBB522_132
.LBB522_143:
	s_wait_dscnt 0x4
	global_store_b64 v[2:3], v[12:13], off offset:3072
	s_wait_xcnt 0x0
	s_or_b32 exec_lo, exec_lo, s1
	s_delay_alu instid0(SALU_CYCLE_1)
	s_mov_b32 s1, exec_lo
	v_cmpx_gt_u32_e64 s0, v23
	s_cbranch_execz .LBB522_133
.LBB522_144:
	s_wait_dscnt 0x3
	global_store_b64 v[2:3], v[10:11], off offset:4096
	s_wait_xcnt 0x0
	s_or_b32 exec_lo, exec_lo, s1
	s_delay_alu instid0(SALU_CYCLE_1)
	s_mov_b32 s1, exec_lo
	v_cmpx_gt_u32_e64 s0, v19
	s_cbranch_execz .LBB522_134
.LBB522_145:
	s_wait_dscnt 0x2
	global_store_b64 v[2:3], v[8:9], off offset:5120
	s_wait_xcnt 0x0
	s_or_b32 exec_lo, exec_lo, s1
	s_delay_alu instid0(SALU_CYCLE_1)
	s_mov_b32 s1, exec_lo
	v_cmpx_gt_u32_e64 s0, v18
	s_cbranch_execnz .LBB522_135
	s_branch .LBB522_136
	.section	.rodata,"a",@progbits
	.p2align	6, 0x0
	.amdhsa_kernel _ZN7rocprim17ROCPRIM_400000_NS6detail17trampoline_kernelINS0_14default_configENS1_38merge_sort_block_merge_config_selectorIlNS0_10empty_typeEEEZZNS1_27merge_sort_block_merge_implIS3_PlPS5_mZN2at6native12_GLOBAL__N_124unique_dim_cuda_templateIlEESt5tupleIJNSA_6TensorESF_SF_EERKSF_lbbbEUlllE_EE10hipError_tT0_T1_T2_jT3_P12ihipStream_tbPNSt15iterator_traitsISL_E10value_typeEPNSR_ISM_E10value_typeEPSN_NS1_7vsmem_tEENKUlT_SL_SM_SN_E_clIS8_S8_S9_S9_EESK_S10_SL_SM_SN_EUlS10_E0_NS1_11comp_targetILNS1_3genE0ELNS1_11target_archE4294967295ELNS1_3gpuE0ELNS1_3repE0EEENS1_38merge_mergepath_config_static_selectorELNS0_4arch9wavefront6targetE0EEEvSM_
		.amdhsa_group_segment_fixed_size 8448
		.amdhsa_private_segment_fixed_size 0
		.amdhsa_kernarg_size 344
		.amdhsa_user_sgpr_count 2
		.amdhsa_user_sgpr_dispatch_ptr 0
		.amdhsa_user_sgpr_queue_ptr 0
		.amdhsa_user_sgpr_kernarg_segment_ptr 1
		.amdhsa_user_sgpr_dispatch_id 0
		.amdhsa_user_sgpr_kernarg_preload_length 0
		.amdhsa_user_sgpr_kernarg_preload_offset 0
		.amdhsa_user_sgpr_private_segment_size 0
		.amdhsa_wavefront_size32 1
		.amdhsa_uses_dynamic_stack 0
		.amdhsa_enable_private_segment 0
		.amdhsa_system_sgpr_workgroup_id_x 1
		.amdhsa_system_sgpr_workgroup_id_y 1
		.amdhsa_system_sgpr_workgroup_id_z 1
		.amdhsa_system_sgpr_workgroup_info 0
		.amdhsa_system_vgpr_workitem_id 0
		.amdhsa_next_free_vgpr 42
		.amdhsa_next_free_sgpr 31
		.amdhsa_named_barrier_count 0
		.amdhsa_reserve_vcc 1
		.amdhsa_float_round_mode_32 0
		.amdhsa_float_round_mode_16_64 0
		.amdhsa_float_denorm_mode_32 3
		.amdhsa_float_denorm_mode_16_64 3
		.amdhsa_fp16_overflow 0
		.amdhsa_memory_ordered 1
		.amdhsa_forward_progress 1
		.amdhsa_inst_pref_size 53
		.amdhsa_round_robin_scheduling 0
		.amdhsa_exception_fp_ieee_invalid_op 0
		.amdhsa_exception_fp_denorm_src 0
		.amdhsa_exception_fp_ieee_div_zero 0
		.amdhsa_exception_fp_ieee_overflow 0
		.amdhsa_exception_fp_ieee_underflow 0
		.amdhsa_exception_fp_ieee_inexact 0
		.amdhsa_exception_int_div_zero 0
	.end_amdhsa_kernel
	.section	.text._ZN7rocprim17ROCPRIM_400000_NS6detail17trampoline_kernelINS0_14default_configENS1_38merge_sort_block_merge_config_selectorIlNS0_10empty_typeEEEZZNS1_27merge_sort_block_merge_implIS3_PlPS5_mZN2at6native12_GLOBAL__N_124unique_dim_cuda_templateIlEESt5tupleIJNSA_6TensorESF_SF_EERKSF_lbbbEUlllE_EE10hipError_tT0_T1_T2_jT3_P12ihipStream_tbPNSt15iterator_traitsISL_E10value_typeEPNSR_ISM_E10value_typeEPSN_NS1_7vsmem_tEENKUlT_SL_SM_SN_E_clIS8_S8_S9_S9_EESK_S10_SL_SM_SN_EUlS10_E0_NS1_11comp_targetILNS1_3genE0ELNS1_11target_archE4294967295ELNS1_3gpuE0ELNS1_3repE0EEENS1_38merge_mergepath_config_static_selectorELNS0_4arch9wavefront6targetE0EEEvSM_,"axG",@progbits,_ZN7rocprim17ROCPRIM_400000_NS6detail17trampoline_kernelINS0_14default_configENS1_38merge_sort_block_merge_config_selectorIlNS0_10empty_typeEEEZZNS1_27merge_sort_block_merge_implIS3_PlPS5_mZN2at6native12_GLOBAL__N_124unique_dim_cuda_templateIlEESt5tupleIJNSA_6TensorESF_SF_EERKSF_lbbbEUlllE_EE10hipError_tT0_T1_T2_jT3_P12ihipStream_tbPNSt15iterator_traitsISL_E10value_typeEPNSR_ISM_E10value_typeEPSN_NS1_7vsmem_tEENKUlT_SL_SM_SN_E_clIS8_S8_S9_S9_EESK_S10_SL_SM_SN_EUlS10_E0_NS1_11comp_targetILNS1_3genE0ELNS1_11target_archE4294967295ELNS1_3gpuE0ELNS1_3repE0EEENS1_38merge_mergepath_config_static_selectorELNS0_4arch9wavefront6targetE0EEEvSM_,comdat
.Lfunc_end522:
	.size	_ZN7rocprim17ROCPRIM_400000_NS6detail17trampoline_kernelINS0_14default_configENS1_38merge_sort_block_merge_config_selectorIlNS0_10empty_typeEEEZZNS1_27merge_sort_block_merge_implIS3_PlPS5_mZN2at6native12_GLOBAL__N_124unique_dim_cuda_templateIlEESt5tupleIJNSA_6TensorESF_SF_EERKSF_lbbbEUlllE_EE10hipError_tT0_T1_T2_jT3_P12ihipStream_tbPNSt15iterator_traitsISL_E10value_typeEPNSR_ISM_E10value_typeEPSN_NS1_7vsmem_tEENKUlT_SL_SM_SN_E_clIS8_S8_S9_S9_EESK_S10_SL_SM_SN_EUlS10_E0_NS1_11comp_targetILNS1_3genE0ELNS1_11target_archE4294967295ELNS1_3gpuE0ELNS1_3repE0EEENS1_38merge_mergepath_config_static_selectorELNS0_4arch9wavefront6targetE0EEEvSM_, .Lfunc_end522-_ZN7rocprim17ROCPRIM_400000_NS6detail17trampoline_kernelINS0_14default_configENS1_38merge_sort_block_merge_config_selectorIlNS0_10empty_typeEEEZZNS1_27merge_sort_block_merge_implIS3_PlPS5_mZN2at6native12_GLOBAL__N_124unique_dim_cuda_templateIlEESt5tupleIJNSA_6TensorESF_SF_EERKSF_lbbbEUlllE_EE10hipError_tT0_T1_T2_jT3_P12ihipStream_tbPNSt15iterator_traitsISL_E10value_typeEPNSR_ISM_E10value_typeEPSN_NS1_7vsmem_tEENKUlT_SL_SM_SN_E_clIS8_S8_S9_S9_EESK_S10_SL_SM_SN_EUlS10_E0_NS1_11comp_targetILNS1_3genE0ELNS1_11target_archE4294967295ELNS1_3gpuE0ELNS1_3repE0EEENS1_38merge_mergepath_config_static_selectorELNS0_4arch9wavefront6targetE0EEEvSM_
                                        ; -- End function
	.set _ZN7rocprim17ROCPRIM_400000_NS6detail17trampoline_kernelINS0_14default_configENS1_38merge_sort_block_merge_config_selectorIlNS0_10empty_typeEEEZZNS1_27merge_sort_block_merge_implIS3_PlPS5_mZN2at6native12_GLOBAL__N_124unique_dim_cuda_templateIlEESt5tupleIJNSA_6TensorESF_SF_EERKSF_lbbbEUlllE_EE10hipError_tT0_T1_T2_jT3_P12ihipStream_tbPNSt15iterator_traitsISL_E10value_typeEPNSR_ISM_E10value_typeEPSN_NS1_7vsmem_tEENKUlT_SL_SM_SN_E_clIS8_S8_S9_S9_EESK_S10_SL_SM_SN_EUlS10_E0_NS1_11comp_targetILNS1_3genE0ELNS1_11target_archE4294967295ELNS1_3gpuE0ELNS1_3repE0EEENS1_38merge_mergepath_config_static_selectorELNS0_4arch9wavefront6targetE0EEEvSM_.num_vgpr, 42
	.set _ZN7rocprim17ROCPRIM_400000_NS6detail17trampoline_kernelINS0_14default_configENS1_38merge_sort_block_merge_config_selectorIlNS0_10empty_typeEEEZZNS1_27merge_sort_block_merge_implIS3_PlPS5_mZN2at6native12_GLOBAL__N_124unique_dim_cuda_templateIlEESt5tupleIJNSA_6TensorESF_SF_EERKSF_lbbbEUlllE_EE10hipError_tT0_T1_T2_jT3_P12ihipStream_tbPNSt15iterator_traitsISL_E10value_typeEPNSR_ISM_E10value_typeEPSN_NS1_7vsmem_tEENKUlT_SL_SM_SN_E_clIS8_S8_S9_S9_EESK_S10_SL_SM_SN_EUlS10_E0_NS1_11comp_targetILNS1_3genE0ELNS1_11target_archE4294967295ELNS1_3gpuE0ELNS1_3repE0EEENS1_38merge_mergepath_config_static_selectorELNS0_4arch9wavefront6targetE0EEEvSM_.num_agpr, 0
	.set _ZN7rocprim17ROCPRIM_400000_NS6detail17trampoline_kernelINS0_14default_configENS1_38merge_sort_block_merge_config_selectorIlNS0_10empty_typeEEEZZNS1_27merge_sort_block_merge_implIS3_PlPS5_mZN2at6native12_GLOBAL__N_124unique_dim_cuda_templateIlEESt5tupleIJNSA_6TensorESF_SF_EERKSF_lbbbEUlllE_EE10hipError_tT0_T1_T2_jT3_P12ihipStream_tbPNSt15iterator_traitsISL_E10value_typeEPNSR_ISM_E10value_typeEPSN_NS1_7vsmem_tEENKUlT_SL_SM_SN_E_clIS8_S8_S9_S9_EESK_S10_SL_SM_SN_EUlS10_E0_NS1_11comp_targetILNS1_3genE0ELNS1_11target_archE4294967295ELNS1_3gpuE0ELNS1_3repE0EEENS1_38merge_mergepath_config_static_selectorELNS0_4arch9wavefront6targetE0EEEvSM_.numbered_sgpr, 31
	.set _ZN7rocprim17ROCPRIM_400000_NS6detail17trampoline_kernelINS0_14default_configENS1_38merge_sort_block_merge_config_selectorIlNS0_10empty_typeEEEZZNS1_27merge_sort_block_merge_implIS3_PlPS5_mZN2at6native12_GLOBAL__N_124unique_dim_cuda_templateIlEESt5tupleIJNSA_6TensorESF_SF_EERKSF_lbbbEUlllE_EE10hipError_tT0_T1_T2_jT3_P12ihipStream_tbPNSt15iterator_traitsISL_E10value_typeEPNSR_ISM_E10value_typeEPSN_NS1_7vsmem_tEENKUlT_SL_SM_SN_E_clIS8_S8_S9_S9_EESK_S10_SL_SM_SN_EUlS10_E0_NS1_11comp_targetILNS1_3genE0ELNS1_11target_archE4294967295ELNS1_3gpuE0ELNS1_3repE0EEENS1_38merge_mergepath_config_static_selectorELNS0_4arch9wavefront6targetE0EEEvSM_.num_named_barrier, 0
	.set _ZN7rocprim17ROCPRIM_400000_NS6detail17trampoline_kernelINS0_14default_configENS1_38merge_sort_block_merge_config_selectorIlNS0_10empty_typeEEEZZNS1_27merge_sort_block_merge_implIS3_PlPS5_mZN2at6native12_GLOBAL__N_124unique_dim_cuda_templateIlEESt5tupleIJNSA_6TensorESF_SF_EERKSF_lbbbEUlllE_EE10hipError_tT0_T1_T2_jT3_P12ihipStream_tbPNSt15iterator_traitsISL_E10value_typeEPNSR_ISM_E10value_typeEPSN_NS1_7vsmem_tEENKUlT_SL_SM_SN_E_clIS8_S8_S9_S9_EESK_S10_SL_SM_SN_EUlS10_E0_NS1_11comp_targetILNS1_3genE0ELNS1_11target_archE4294967295ELNS1_3gpuE0ELNS1_3repE0EEENS1_38merge_mergepath_config_static_selectorELNS0_4arch9wavefront6targetE0EEEvSM_.private_seg_size, 0
	.set _ZN7rocprim17ROCPRIM_400000_NS6detail17trampoline_kernelINS0_14default_configENS1_38merge_sort_block_merge_config_selectorIlNS0_10empty_typeEEEZZNS1_27merge_sort_block_merge_implIS3_PlPS5_mZN2at6native12_GLOBAL__N_124unique_dim_cuda_templateIlEESt5tupleIJNSA_6TensorESF_SF_EERKSF_lbbbEUlllE_EE10hipError_tT0_T1_T2_jT3_P12ihipStream_tbPNSt15iterator_traitsISL_E10value_typeEPNSR_ISM_E10value_typeEPSN_NS1_7vsmem_tEENKUlT_SL_SM_SN_E_clIS8_S8_S9_S9_EESK_S10_SL_SM_SN_EUlS10_E0_NS1_11comp_targetILNS1_3genE0ELNS1_11target_archE4294967295ELNS1_3gpuE0ELNS1_3repE0EEENS1_38merge_mergepath_config_static_selectorELNS0_4arch9wavefront6targetE0EEEvSM_.uses_vcc, 1
	.set _ZN7rocprim17ROCPRIM_400000_NS6detail17trampoline_kernelINS0_14default_configENS1_38merge_sort_block_merge_config_selectorIlNS0_10empty_typeEEEZZNS1_27merge_sort_block_merge_implIS3_PlPS5_mZN2at6native12_GLOBAL__N_124unique_dim_cuda_templateIlEESt5tupleIJNSA_6TensorESF_SF_EERKSF_lbbbEUlllE_EE10hipError_tT0_T1_T2_jT3_P12ihipStream_tbPNSt15iterator_traitsISL_E10value_typeEPNSR_ISM_E10value_typeEPSN_NS1_7vsmem_tEENKUlT_SL_SM_SN_E_clIS8_S8_S9_S9_EESK_S10_SL_SM_SN_EUlS10_E0_NS1_11comp_targetILNS1_3genE0ELNS1_11target_archE4294967295ELNS1_3gpuE0ELNS1_3repE0EEENS1_38merge_mergepath_config_static_selectorELNS0_4arch9wavefront6targetE0EEEvSM_.uses_flat_scratch, 0
	.set _ZN7rocprim17ROCPRIM_400000_NS6detail17trampoline_kernelINS0_14default_configENS1_38merge_sort_block_merge_config_selectorIlNS0_10empty_typeEEEZZNS1_27merge_sort_block_merge_implIS3_PlPS5_mZN2at6native12_GLOBAL__N_124unique_dim_cuda_templateIlEESt5tupleIJNSA_6TensorESF_SF_EERKSF_lbbbEUlllE_EE10hipError_tT0_T1_T2_jT3_P12ihipStream_tbPNSt15iterator_traitsISL_E10value_typeEPNSR_ISM_E10value_typeEPSN_NS1_7vsmem_tEENKUlT_SL_SM_SN_E_clIS8_S8_S9_S9_EESK_S10_SL_SM_SN_EUlS10_E0_NS1_11comp_targetILNS1_3genE0ELNS1_11target_archE4294967295ELNS1_3gpuE0ELNS1_3repE0EEENS1_38merge_mergepath_config_static_selectorELNS0_4arch9wavefront6targetE0EEEvSM_.has_dyn_sized_stack, 0
	.set _ZN7rocprim17ROCPRIM_400000_NS6detail17trampoline_kernelINS0_14default_configENS1_38merge_sort_block_merge_config_selectorIlNS0_10empty_typeEEEZZNS1_27merge_sort_block_merge_implIS3_PlPS5_mZN2at6native12_GLOBAL__N_124unique_dim_cuda_templateIlEESt5tupleIJNSA_6TensorESF_SF_EERKSF_lbbbEUlllE_EE10hipError_tT0_T1_T2_jT3_P12ihipStream_tbPNSt15iterator_traitsISL_E10value_typeEPNSR_ISM_E10value_typeEPSN_NS1_7vsmem_tEENKUlT_SL_SM_SN_E_clIS8_S8_S9_S9_EESK_S10_SL_SM_SN_EUlS10_E0_NS1_11comp_targetILNS1_3genE0ELNS1_11target_archE4294967295ELNS1_3gpuE0ELNS1_3repE0EEENS1_38merge_mergepath_config_static_selectorELNS0_4arch9wavefront6targetE0EEEvSM_.has_recursion, 0
	.set _ZN7rocprim17ROCPRIM_400000_NS6detail17trampoline_kernelINS0_14default_configENS1_38merge_sort_block_merge_config_selectorIlNS0_10empty_typeEEEZZNS1_27merge_sort_block_merge_implIS3_PlPS5_mZN2at6native12_GLOBAL__N_124unique_dim_cuda_templateIlEESt5tupleIJNSA_6TensorESF_SF_EERKSF_lbbbEUlllE_EE10hipError_tT0_T1_T2_jT3_P12ihipStream_tbPNSt15iterator_traitsISL_E10value_typeEPNSR_ISM_E10value_typeEPSN_NS1_7vsmem_tEENKUlT_SL_SM_SN_E_clIS8_S8_S9_S9_EESK_S10_SL_SM_SN_EUlS10_E0_NS1_11comp_targetILNS1_3genE0ELNS1_11target_archE4294967295ELNS1_3gpuE0ELNS1_3repE0EEENS1_38merge_mergepath_config_static_selectorELNS0_4arch9wavefront6targetE0EEEvSM_.has_indirect_call, 0
	.section	.AMDGPU.csdata,"",@progbits
; Kernel info:
; codeLenInByte = 6748
; TotalNumSgprs: 33
; NumVgprs: 42
; ScratchSize: 0
; MemoryBound: 0
; FloatMode: 240
; IeeeMode: 1
; LDSByteSize: 8448 bytes/workgroup (compile time only)
; SGPRBlocks: 0
; VGPRBlocks: 2
; NumSGPRsForWavesPerEU: 33
; NumVGPRsForWavesPerEU: 42
; NamedBarCnt: 0
; Occupancy: 16
; WaveLimiterHint : 1
; COMPUTE_PGM_RSRC2:SCRATCH_EN: 0
; COMPUTE_PGM_RSRC2:USER_SGPR: 2
; COMPUTE_PGM_RSRC2:TRAP_HANDLER: 0
; COMPUTE_PGM_RSRC2:TGID_X_EN: 1
; COMPUTE_PGM_RSRC2:TGID_Y_EN: 1
; COMPUTE_PGM_RSRC2:TGID_Z_EN: 1
; COMPUTE_PGM_RSRC2:TIDIG_COMP_CNT: 0
	.section	.text._ZN7rocprim17ROCPRIM_400000_NS6detail17trampoline_kernelINS0_14default_configENS1_38merge_sort_block_merge_config_selectorIlNS0_10empty_typeEEEZZNS1_27merge_sort_block_merge_implIS3_PlPS5_mZN2at6native12_GLOBAL__N_124unique_dim_cuda_templateIlEESt5tupleIJNSA_6TensorESF_SF_EERKSF_lbbbEUlllE_EE10hipError_tT0_T1_T2_jT3_P12ihipStream_tbPNSt15iterator_traitsISL_E10value_typeEPNSR_ISM_E10value_typeEPSN_NS1_7vsmem_tEENKUlT_SL_SM_SN_E_clIS8_S8_S9_S9_EESK_S10_SL_SM_SN_EUlS10_E0_NS1_11comp_targetILNS1_3genE10ELNS1_11target_archE1201ELNS1_3gpuE5ELNS1_3repE0EEENS1_38merge_mergepath_config_static_selectorELNS0_4arch9wavefront6targetE0EEEvSM_,"axG",@progbits,_ZN7rocprim17ROCPRIM_400000_NS6detail17trampoline_kernelINS0_14default_configENS1_38merge_sort_block_merge_config_selectorIlNS0_10empty_typeEEEZZNS1_27merge_sort_block_merge_implIS3_PlPS5_mZN2at6native12_GLOBAL__N_124unique_dim_cuda_templateIlEESt5tupleIJNSA_6TensorESF_SF_EERKSF_lbbbEUlllE_EE10hipError_tT0_T1_T2_jT3_P12ihipStream_tbPNSt15iterator_traitsISL_E10value_typeEPNSR_ISM_E10value_typeEPSN_NS1_7vsmem_tEENKUlT_SL_SM_SN_E_clIS8_S8_S9_S9_EESK_S10_SL_SM_SN_EUlS10_E0_NS1_11comp_targetILNS1_3genE10ELNS1_11target_archE1201ELNS1_3gpuE5ELNS1_3repE0EEENS1_38merge_mergepath_config_static_selectorELNS0_4arch9wavefront6targetE0EEEvSM_,comdat
	.globl	_ZN7rocprim17ROCPRIM_400000_NS6detail17trampoline_kernelINS0_14default_configENS1_38merge_sort_block_merge_config_selectorIlNS0_10empty_typeEEEZZNS1_27merge_sort_block_merge_implIS3_PlPS5_mZN2at6native12_GLOBAL__N_124unique_dim_cuda_templateIlEESt5tupleIJNSA_6TensorESF_SF_EERKSF_lbbbEUlllE_EE10hipError_tT0_T1_T2_jT3_P12ihipStream_tbPNSt15iterator_traitsISL_E10value_typeEPNSR_ISM_E10value_typeEPSN_NS1_7vsmem_tEENKUlT_SL_SM_SN_E_clIS8_S8_S9_S9_EESK_S10_SL_SM_SN_EUlS10_E0_NS1_11comp_targetILNS1_3genE10ELNS1_11target_archE1201ELNS1_3gpuE5ELNS1_3repE0EEENS1_38merge_mergepath_config_static_selectorELNS0_4arch9wavefront6targetE0EEEvSM_ ; -- Begin function _ZN7rocprim17ROCPRIM_400000_NS6detail17trampoline_kernelINS0_14default_configENS1_38merge_sort_block_merge_config_selectorIlNS0_10empty_typeEEEZZNS1_27merge_sort_block_merge_implIS3_PlPS5_mZN2at6native12_GLOBAL__N_124unique_dim_cuda_templateIlEESt5tupleIJNSA_6TensorESF_SF_EERKSF_lbbbEUlllE_EE10hipError_tT0_T1_T2_jT3_P12ihipStream_tbPNSt15iterator_traitsISL_E10value_typeEPNSR_ISM_E10value_typeEPSN_NS1_7vsmem_tEENKUlT_SL_SM_SN_E_clIS8_S8_S9_S9_EESK_S10_SL_SM_SN_EUlS10_E0_NS1_11comp_targetILNS1_3genE10ELNS1_11target_archE1201ELNS1_3gpuE5ELNS1_3repE0EEENS1_38merge_mergepath_config_static_selectorELNS0_4arch9wavefront6targetE0EEEvSM_
	.p2align	8
	.type	_ZN7rocprim17ROCPRIM_400000_NS6detail17trampoline_kernelINS0_14default_configENS1_38merge_sort_block_merge_config_selectorIlNS0_10empty_typeEEEZZNS1_27merge_sort_block_merge_implIS3_PlPS5_mZN2at6native12_GLOBAL__N_124unique_dim_cuda_templateIlEESt5tupleIJNSA_6TensorESF_SF_EERKSF_lbbbEUlllE_EE10hipError_tT0_T1_T2_jT3_P12ihipStream_tbPNSt15iterator_traitsISL_E10value_typeEPNSR_ISM_E10value_typeEPSN_NS1_7vsmem_tEENKUlT_SL_SM_SN_E_clIS8_S8_S9_S9_EESK_S10_SL_SM_SN_EUlS10_E0_NS1_11comp_targetILNS1_3genE10ELNS1_11target_archE1201ELNS1_3gpuE5ELNS1_3repE0EEENS1_38merge_mergepath_config_static_selectorELNS0_4arch9wavefront6targetE0EEEvSM_,@function
_ZN7rocprim17ROCPRIM_400000_NS6detail17trampoline_kernelINS0_14default_configENS1_38merge_sort_block_merge_config_selectorIlNS0_10empty_typeEEEZZNS1_27merge_sort_block_merge_implIS3_PlPS5_mZN2at6native12_GLOBAL__N_124unique_dim_cuda_templateIlEESt5tupleIJNSA_6TensorESF_SF_EERKSF_lbbbEUlllE_EE10hipError_tT0_T1_T2_jT3_P12ihipStream_tbPNSt15iterator_traitsISL_E10value_typeEPNSR_ISM_E10value_typeEPSN_NS1_7vsmem_tEENKUlT_SL_SM_SN_E_clIS8_S8_S9_S9_EESK_S10_SL_SM_SN_EUlS10_E0_NS1_11comp_targetILNS1_3genE10ELNS1_11target_archE1201ELNS1_3gpuE5ELNS1_3repE0EEENS1_38merge_mergepath_config_static_selectorELNS0_4arch9wavefront6targetE0EEEvSM_: ; @_ZN7rocprim17ROCPRIM_400000_NS6detail17trampoline_kernelINS0_14default_configENS1_38merge_sort_block_merge_config_selectorIlNS0_10empty_typeEEEZZNS1_27merge_sort_block_merge_implIS3_PlPS5_mZN2at6native12_GLOBAL__N_124unique_dim_cuda_templateIlEESt5tupleIJNSA_6TensorESF_SF_EERKSF_lbbbEUlllE_EE10hipError_tT0_T1_T2_jT3_P12ihipStream_tbPNSt15iterator_traitsISL_E10value_typeEPNSR_ISM_E10value_typeEPSN_NS1_7vsmem_tEENKUlT_SL_SM_SN_E_clIS8_S8_S9_S9_EESK_S10_SL_SM_SN_EUlS10_E0_NS1_11comp_targetILNS1_3genE10ELNS1_11target_archE1201ELNS1_3gpuE5ELNS1_3repE0EEENS1_38merge_mergepath_config_static_selectorELNS0_4arch9wavefront6targetE0EEEvSM_
; %bb.0:
	.section	.rodata,"a",@progbits
	.p2align	6, 0x0
	.amdhsa_kernel _ZN7rocprim17ROCPRIM_400000_NS6detail17trampoline_kernelINS0_14default_configENS1_38merge_sort_block_merge_config_selectorIlNS0_10empty_typeEEEZZNS1_27merge_sort_block_merge_implIS3_PlPS5_mZN2at6native12_GLOBAL__N_124unique_dim_cuda_templateIlEESt5tupleIJNSA_6TensorESF_SF_EERKSF_lbbbEUlllE_EE10hipError_tT0_T1_T2_jT3_P12ihipStream_tbPNSt15iterator_traitsISL_E10value_typeEPNSR_ISM_E10value_typeEPSN_NS1_7vsmem_tEENKUlT_SL_SM_SN_E_clIS8_S8_S9_S9_EESK_S10_SL_SM_SN_EUlS10_E0_NS1_11comp_targetILNS1_3genE10ELNS1_11target_archE1201ELNS1_3gpuE5ELNS1_3repE0EEENS1_38merge_mergepath_config_static_selectorELNS0_4arch9wavefront6targetE0EEEvSM_
		.amdhsa_group_segment_fixed_size 0
		.amdhsa_private_segment_fixed_size 0
		.amdhsa_kernarg_size 88
		.amdhsa_user_sgpr_count 2
		.amdhsa_user_sgpr_dispatch_ptr 0
		.amdhsa_user_sgpr_queue_ptr 0
		.amdhsa_user_sgpr_kernarg_segment_ptr 1
		.amdhsa_user_sgpr_dispatch_id 0
		.amdhsa_user_sgpr_kernarg_preload_length 0
		.amdhsa_user_sgpr_kernarg_preload_offset 0
		.amdhsa_user_sgpr_private_segment_size 0
		.amdhsa_wavefront_size32 1
		.amdhsa_uses_dynamic_stack 0
		.amdhsa_enable_private_segment 0
		.amdhsa_system_sgpr_workgroup_id_x 1
		.amdhsa_system_sgpr_workgroup_id_y 0
		.amdhsa_system_sgpr_workgroup_id_z 0
		.amdhsa_system_sgpr_workgroup_info 0
		.amdhsa_system_vgpr_workitem_id 0
		.amdhsa_next_free_vgpr 1
		.amdhsa_next_free_sgpr 1
		.amdhsa_named_barrier_count 0
		.amdhsa_reserve_vcc 0
		.amdhsa_float_round_mode_32 0
		.amdhsa_float_round_mode_16_64 0
		.amdhsa_float_denorm_mode_32 3
		.amdhsa_float_denorm_mode_16_64 3
		.amdhsa_fp16_overflow 0
		.amdhsa_memory_ordered 1
		.amdhsa_forward_progress 1
		.amdhsa_inst_pref_size 0
		.amdhsa_round_robin_scheduling 0
		.amdhsa_exception_fp_ieee_invalid_op 0
		.amdhsa_exception_fp_denorm_src 0
		.amdhsa_exception_fp_ieee_div_zero 0
		.amdhsa_exception_fp_ieee_overflow 0
		.amdhsa_exception_fp_ieee_underflow 0
		.amdhsa_exception_fp_ieee_inexact 0
		.amdhsa_exception_int_div_zero 0
	.end_amdhsa_kernel
	.section	.text._ZN7rocprim17ROCPRIM_400000_NS6detail17trampoline_kernelINS0_14default_configENS1_38merge_sort_block_merge_config_selectorIlNS0_10empty_typeEEEZZNS1_27merge_sort_block_merge_implIS3_PlPS5_mZN2at6native12_GLOBAL__N_124unique_dim_cuda_templateIlEESt5tupleIJNSA_6TensorESF_SF_EERKSF_lbbbEUlllE_EE10hipError_tT0_T1_T2_jT3_P12ihipStream_tbPNSt15iterator_traitsISL_E10value_typeEPNSR_ISM_E10value_typeEPSN_NS1_7vsmem_tEENKUlT_SL_SM_SN_E_clIS8_S8_S9_S9_EESK_S10_SL_SM_SN_EUlS10_E0_NS1_11comp_targetILNS1_3genE10ELNS1_11target_archE1201ELNS1_3gpuE5ELNS1_3repE0EEENS1_38merge_mergepath_config_static_selectorELNS0_4arch9wavefront6targetE0EEEvSM_,"axG",@progbits,_ZN7rocprim17ROCPRIM_400000_NS6detail17trampoline_kernelINS0_14default_configENS1_38merge_sort_block_merge_config_selectorIlNS0_10empty_typeEEEZZNS1_27merge_sort_block_merge_implIS3_PlPS5_mZN2at6native12_GLOBAL__N_124unique_dim_cuda_templateIlEESt5tupleIJNSA_6TensorESF_SF_EERKSF_lbbbEUlllE_EE10hipError_tT0_T1_T2_jT3_P12ihipStream_tbPNSt15iterator_traitsISL_E10value_typeEPNSR_ISM_E10value_typeEPSN_NS1_7vsmem_tEENKUlT_SL_SM_SN_E_clIS8_S8_S9_S9_EESK_S10_SL_SM_SN_EUlS10_E0_NS1_11comp_targetILNS1_3genE10ELNS1_11target_archE1201ELNS1_3gpuE5ELNS1_3repE0EEENS1_38merge_mergepath_config_static_selectorELNS0_4arch9wavefront6targetE0EEEvSM_,comdat
.Lfunc_end523:
	.size	_ZN7rocprim17ROCPRIM_400000_NS6detail17trampoline_kernelINS0_14default_configENS1_38merge_sort_block_merge_config_selectorIlNS0_10empty_typeEEEZZNS1_27merge_sort_block_merge_implIS3_PlPS5_mZN2at6native12_GLOBAL__N_124unique_dim_cuda_templateIlEESt5tupleIJNSA_6TensorESF_SF_EERKSF_lbbbEUlllE_EE10hipError_tT0_T1_T2_jT3_P12ihipStream_tbPNSt15iterator_traitsISL_E10value_typeEPNSR_ISM_E10value_typeEPSN_NS1_7vsmem_tEENKUlT_SL_SM_SN_E_clIS8_S8_S9_S9_EESK_S10_SL_SM_SN_EUlS10_E0_NS1_11comp_targetILNS1_3genE10ELNS1_11target_archE1201ELNS1_3gpuE5ELNS1_3repE0EEENS1_38merge_mergepath_config_static_selectorELNS0_4arch9wavefront6targetE0EEEvSM_, .Lfunc_end523-_ZN7rocprim17ROCPRIM_400000_NS6detail17trampoline_kernelINS0_14default_configENS1_38merge_sort_block_merge_config_selectorIlNS0_10empty_typeEEEZZNS1_27merge_sort_block_merge_implIS3_PlPS5_mZN2at6native12_GLOBAL__N_124unique_dim_cuda_templateIlEESt5tupleIJNSA_6TensorESF_SF_EERKSF_lbbbEUlllE_EE10hipError_tT0_T1_T2_jT3_P12ihipStream_tbPNSt15iterator_traitsISL_E10value_typeEPNSR_ISM_E10value_typeEPSN_NS1_7vsmem_tEENKUlT_SL_SM_SN_E_clIS8_S8_S9_S9_EESK_S10_SL_SM_SN_EUlS10_E0_NS1_11comp_targetILNS1_3genE10ELNS1_11target_archE1201ELNS1_3gpuE5ELNS1_3repE0EEENS1_38merge_mergepath_config_static_selectorELNS0_4arch9wavefront6targetE0EEEvSM_
                                        ; -- End function
	.set _ZN7rocprim17ROCPRIM_400000_NS6detail17trampoline_kernelINS0_14default_configENS1_38merge_sort_block_merge_config_selectorIlNS0_10empty_typeEEEZZNS1_27merge_sort_block_merge_implIS3_PlPS5_mZN2at6native12_GLOBAL__N_124unique_dim_cuda_templateIlEESt5tupleIJNSA_6TensorESF_SF_EERKSF_lbbbEUlllE_EE10hipError_tT0_T1_T2_jT3_P12ihipStream_tbPNSt15iterator_traitsISL_E10value_typeEPNSR_ISM_E10value_typeEPSN_NS1_7vsmem_tEENKUlT_SL_SM_SN_E_clIS8_S8_S9_S9_EESK_S10_SL_SM_SN_EUlS10_E0_NS1_11comp_targetILNS1_3genE10ELNS1_11target_archE1201ELNS1_3gpuE5ELNS1_3repE0EEENS1_38merge_mergepath_config_static_selectorELNS0_4arch9wavefront6targetE0EEEvSM_.num_vgpr, 0
	.set _ZN7rocprim17ROCPRIM_400000_NS6detail17trampoline_kernelINS0_14default_configENS1_38merge_sort_block_merge_config_selectorIlNS0_10empty_typeEEEZZNS1_27merge_sort_block_merge_implIS3_PlPS5_mZN2at6native12_GLOBAL__N_124unique_dim_cuda_templateIlEESt5tupleIJNSA_6TensorESF_SF_EERKSF_lbbbEUlllE_EE10hipError_tT0_T1_T2_jT3_P12ihipStream_tbPNSt15iterator_traitsISL_E10value_typeEPNSR_ISM_E10value_typeEPSN_NS1_7vsmem_tEENKUlT_SL_SM_SN_E_clIS8_S8_S9_S9_EESK_S10_SL_SM_SN_EUlS10_E0_NS1_11comp_targetILNS1_3genE10ELNS1_11target_archE1201ELNS1_3gpuE5ELNS1_3repE0EEENS1_38merge_mergepath_config_static_selectorELNS0_4arch9wavefront6targetE0EEEvSM_.num_agpr, 0
	.set _ZN7rocprim17ROCPRIM_400000_NS6detail17trampoline_kernelINS0_14default_configENS1_38merge_sort_block_merge_config_selectorIlNS0_10empty_typeEEEZZNS1_27merge_sort_block_merge_implIS3_PlPS5_mZN2at6native12_GLOBAL__N_124unique_dim_cuda_templateIlEESt5tupleIJNSA_6TensorESF_SF_EERKSF_lbbbEUlllE_EE10hipError_tT0_T1_T2_jT3_P12ihipStream_tbPNSt15iterator_traitsISL_E10value_typeEPNSR_ISM_E10value_typeEPSN_NS1_7vsmem_tEENKUlT_SL_SM_SN_E_clIS8_S8_S9_S9_EESK_S10_SL_SM_SN_EUlS10_E0_NS1_11comp_targetILNS1_3genE10ELNS1_11target_archE1201ELNS1_3gpuE5ELNS1_3repE0EEENS1_38merge_mergepath_config_static_selectorELNS0_4arch9wavefront6targetE0EEEvSM_.numbered_sgpr, 0
	.set _ZN7rocprim17ROCPRIM_400000_NS6detail17trampoline_kernelINS0_14default_configENS1_38merge_sort_block_merge_config_selectorIlNS0_10empty_typeEEEZZNS1_27merge_sort_block_merge_implIS3_PlPS5_mZN2at6native12_GLOBAL__N_124unique_dim_cuda_templateIlEESt5tupleIJNSA_6TensorESF_SF_EERKSF_lbbbEUlllE_EE10hipError_tT0_T1_T2_jT3_P12ihipStream_tbPNSt15iterator_traitsISL_E10value_typeEPNSR_ISM_E10value_typeEPSN_NS1_7vsmem_tEENKUlT_SL_SM_SN_E_clIS8_S8_S9_S9_EESK_S10_SL_SM_SN_EUlS10_E0_NS1_11comp_targetILNS1_3genE10ELNS1_11target_archE1201ELNS1_3gpuE5ELNS1_3repE0EEENS1_38merge_mergepath_config_static_selectorELNS0_4arch9wavefront6targetE0EEEvSM_.num_named_barrier, 0
	.set _ZN7rocprim17ROCPRIM_400000_NS6detail17trampoline_kernelINS0_14default_configENS1_38merge_sort_block_merge_config_selectorIlNS0_10empty_typeEEEZZNS1_27merge_sort_block_merge_implIS3_PlPS5_mZN2at6native12_GLOBAL__N_124unique_dim_cuda_templateIlEESt5tupleIJNSA_6TensorESF_SF_EERKSF_lbbbEUlllE_EE10hipError_tT0_T1_T2_jT3_P12ihipStream_tbPNSt15iterator_traitsISL_E10value_typeEPNSR_ISM_E10value_typeEPSN_NS1_7vsmem_tEENKUlT_SL_SM_SN_E_clIS8_S8_S9_S9_EESK_S10_SL_SM_SN_EUlS10_E0_NS1_11comp_targetILNS1_3genE10ELNS1_11target_archE1201ELNS1_3gpuE5ELNS1_3repE0EEENS1_38merge_mergepath_config_static_selectorELNS0_4arch9wavefront6targetE0EEEvSM_.private_seg_size, 0
	.set _ZN7rocprim17ROCPRIM_400000_NS6detail17trampoline_kernelINS0_14default_configENS1_38merge_sort_block_merge_config_selectorIlNS0_10empty_typeEEEZZNS1_27merge_sort_block_merge_implIS3_PlPS5_mZN2at6native12_GLOBAL__N_124unique_dim_cuda_templateIlEESt5tupleIJNSA_6TensorESF_SF_EERKSF_lbbbEUlllE_EE10hipError_tT0_T1_T2_jT3_P12ihipStream_tbPNSt15iterator_traitsISL_E10value_typeEPNSR_ISM_E10value_typeEPSN_NS1_7vsmem_tEENKUlT_SL_SM_SN_E_clIS8_S8_S9_S9_EESK_S10_SL_SM_SN_EUlS10_E0_NS1_11comp_targetILNS1_3genE10ELNS1_11target_archE1201ELNS1_3gpuE5ELNS1_3repE0EEENS1_38merge_mergepath_config_static_selectorELNS0_4arch9wavefront6targetE0EEEvSM_.uses_vcc, 0
	.set _ZN7rocprim17ROCPRIM_400000_NS6detail17trampoline_kernelINS0_14default_configENS1_38merge_sort_block_merge_config_selectorIlNS0_10empty_typeEEEZZNS1_27merge_sort_block_merge_implIS3_PlPS5_mZN2at6native12_GLOBAL__N_124unique_dim_cuda_templateIlEESt5tupleIJNSA_6TensorESF_SF_EERKSF_lbbbEUlllE_EE10hipError_tT0_T1_T2_jT3_P12ihipStream_tbPNSt15iterator_traitsISL_E10value_typeEPNSR_ISM_E10value_typeEPSN_NS1_7vsmem_tEENKUlT_SL_SM_SN_E_clIS8_S8_S9_S9_EESK_S10_SL_SM_SN_EUlS10_E0_NS1_11comp_targetILNS1_3genE10ELNS1_11target_archE1201ELNS1_3gpuE5ELNS1_3repE0EEENS1_38merge_mergepath_config_static_selectorELNS0_4arch9wavefront6targetE0EEEvSM_.uses_flat_scratch, 0
	.set _ZN7rocprim17ROCPRIM_400000_NS6detail17trampoline_kernelINS0_14default_configENS1_38merge_sort_block_merge_config_selectorIlNS0_10empty_typeEEEZZNS1_27merge_sort_block_merge_implIS3_PlPS5_mZN2at6native12_GLOBAL__N_124unique_dim_cuda_templateIlEESt5tupleIJNSA_6TensorESF_SF_EERKSF_lbbbEUlllE_EE10hipError_tT0_T1_T2_jT3_P12ihipStream_tbPNSt15iterator_traitsISL_E10value_typeEPNSR_ISM_E10value_typeEPSN_NS1_7vsmem_tEENKUlT_SL_SM_SN_E_clIS8_S8_S9_S9_EESK_S10_SL_SM_SN_EUlS10_E0_NS1_11comp_targetILNS1_3genE10ELNS1_11target_archE1201ELNS1_3gpuE5ELNS1_3repE0EEENS1_38merge_mergepath_config_static_selectorELNS0_4arch9wavefront6targetE0EEEvSM_.has_dyn_sized_stack, 0
	.set _ZN7rocprim17ROCPRIM_400000_NS6detail17trampoline_kernelINS0_14default_configENS1_38merge_sort_block_merge_config_selectorIlNS0_10empty_typeEEEZZNS1_27merge_sort_block_merge_implIS3_PlPS5_mZN2at6native12_GLOBAL__N_124unique_dim_cuda_templateIlEESt5tupleIJNSA_6TensorESF_SF_EERKSF_lbbbEUlllE_EE10hipError_tT0_T1_T2_jT3_P12ihipStream_tbPNSt15iterator_traitsISL_E10value_typeEPNSR_ISM_E10value_typeEPSN_NS1_7vsmem_tEENKUlT_SL_SM_SN_E_clIS8_S8_S9_S9_EESK_S10_SL_SM_SN_EUlS10_E0_NS1_11comp_targetILNS1_3genE10ELNS1_11target_archE1201ELNS1_3gpuE5ELNS1_3repE0EEENS1_38merge_mergepath_config_static_selectorELNS0_4arch9wavefront6targetE0EEEvSM_.has_recursion, 0
	.set _ZN7rocprim17ROCPRIM_400000_NS6detail17trampoline_kernelINS0_14default_configENS1_38merge_sort_block_merge_config_selectorIlNS0_10empty_typeEEEZZNS1_27merge_sort_block_merge_implIS3_PlPS5_mZN2at6native12_GLOBAL__N_124unique_dim_cuda_templateIlEESt5tupleIJNSA_6TensorESF_SF_EERKSF_lbbbEUlllE_EE10hipError_tT0_T1_T2_jT3_P12ihipStream_tbPNSt15iterator_traitsISL_E10value_typeEPNSR_ISM_E10value_typeEPSN_NS1_7vsmem_tEENKUlT_SL_SM_SN_E_clIS8_S8_S9_S9_EESK_S10_SL_SM_SN_EUlS10_E0_NS1_11comp_targetILNS1_3genE10ELNS1_11target_archE1201ELNS1_3gpuE5ELNS1_3repE0EEENS1_38merge_mergepath_config_static_selectorELNS0_4arch9wavefront6targetE0EEEvSM_.has_indirect_call, 0
	.section	.AMDGPU.csdata,"",@progbits
; Kernel info:
; codeLenInByte = 0
; TotalNumSgprs: 0
; NumVgprs: 0
; ScratchSize: 0
; MemoryBound: 0
; FloatMode: 240
; IeeeMode: 1
; LDSByteSize: 0 bytes/workgroup (compile time only)
; SGPRBlocks: 0
; VGPRBlocks: 0
; NumSGPRsForWavesPerEU: 1
; NumVGPRsForWavesPerEU: 1
; NamedBarCnt: 0
; Occupancy: 16
; WaveLimiterHint : 0
; COMPUTE_PGM_RSRC2:SCRATCH_EN: 0
; COMPUTE_PGM_RSRC2:USER_SGPR: 2
; COMPUTE_PGM_RSRC2:TRAP_HANDLER: 0
; COMPUTE_PGM_RSRC2:TGID_X_EN: 1
; COMPUTE_PGM_RSRC2:TGID_Y_EN: 0
; COMPUTE_PGM_RSRC2:TGID_Z_EN: 0
; COMPUTE_PGM_RSRC2:TIDIG_COMP_CNT: 0
	.section	.text._ZN7rocprim17ROCPRIM_400000_NS6detail17trampoline_kernelINS0_14default_configENS1_38merge_sort_block_merge_config_selectorIlNS0_10empty_typeEEEZZNS1_27merge_sort_block_merge_implIS3_PlPS5_mZN2at6native12_GLOBAL__N_124unique_dim_cuda_templateIlEESt5tupleIJNSA_6TensorESF_SF_EERKSF_lbbbEUlllE_EE10hipError_tT0_T1_T2_jT3_P12ihipStream_tbPNSt15iterator_traitsISL_E10value_typeEPNSR_ISM_E10value_typeEPSN_NS1_7vsmem_tEENKUlT_SL_SM_SN_E_clIS8_S8_S9_S9_EESK_S10_SL_SM_SN_EUlS10_E0_NS1_11comp_targetILNS1_3genE5ELNS1_11target_archE942ELNS1_3gpuE9ELNS1_3repE0EEENS1_38merge_mergepath_config_static_selectorELNS0_4arch9wavefront6targetE0EEEvSM_,"axG",@progbits,_ZN7rocprim17ROCPRIM_400000_NS6detail17trampoline_kernelINS0_14default_configENS1_38merge_sort_block_merge_config_selectorIlNS0_10empty_typeEEEZZNS1_27merge_sort_block_merge_implIS3_PlPS5_mZN2at6native12_GLOBAL__N_124unique_dim_cuda_templateIlEESt5tupleIJNSA_6TensorESF_SF_EERKSF_lbbbEUlllE_EE10hipError_tT0_T1_T2_jT3_P12ihipStream_tbPNSt15iterator_traitsISL_E10value_typeEPNSR_ISM_E10value_typeEPSN_NS1_7vsmem_tEENKUlT_SL_SM_SN_E_clIS8_S8_S9_S9_EESK_S10_SL_SM_SN_EUlS10_E0_NS1_11comp_targetILNS1_3genE5ELNS1_11target_archE942ELNS1_3gpuE9ELNS1_3repE0EEENS1_38merge_mergepath_config_static_selectorELNS0_4arch9wavefront6targetE0EEEvSM_,comdat
	.globl	_ZN7rocprim17ROCPRIM_400000_NS6detail17trampoline_kernelINS0_14default_configENS1_38merge_sort_block_merge_config_selectorIlNS0_10empty_typeEEEZZNS1_27merge_sort_block_merge_implIS3_PlPS5_mZN2at6native12_GLOBAL__N_124unique_dim_cuda_templateIlEESt5tupleIJNSA_6TensorESF_SF_EERKSF_lbbbEUlllE_EE10hipError_tT0_T1_T2_jT3_P12ihipStream_tbPNSt15iterator_traitsISL_E10value_typeEPNSR_ISM_E10value_typeEPSN_NS1_7vsmem_tEENKUlT_SL_SM_SN_E_clIS8_S8_S9_S9_EESK_S10_SL_SM_SN_EUlS10_E0_NS1_11comp_targetILNS1_3genE5ELNS1_11target_archE942ELNS1_3gpuE9ELNS1_3repE0EEENS1_38merge_mergepath_config_static_selectorELNS0_4arch9wavefront6targetE0EEEvSM_ ; -- Begin function _ZN7rocprim17ROCPRIM_400000_NS6detail17trampoline_kernelINS0_14default_configENS1_38merge_sort_block_merge_config_selectorIlNS0_10empty_typeEEEZZNS1_27merge_sort_block_merge_implIS3_PlPS5_mZN2at6native12_GLOBAL__N_124unique_dim_cuda_templateIlEESt5tupleIJNSA_6TensorESF_SF_EERKSF_lbbbEUlllE_EE10hipError_tT0_T1_T2_jT3_P12ihipStream_tbPNSt15iterator_traitsISL_E10value_typeEPNSR_ISM_E10value_typeEPSN_NS1_7vsmem_tEENKUlT_SL_SM_SN_E_clIS8_S8_S9_S9_EESK_S10_SL_SM_SN_EUlS10_E0_NS1_11comp_targetILNS1_3genE5ELNS1_11target_archE942ELNS1_3gpuE9ELNS1_3repE0EEENS1_38merge_mergepath_config_static_selectorELNS0_4arch9wavefront6targetE0EEEvSM_
	.p2align	8
	.type	_ZN7rocprim17ROCPRIM_400000_NS6detail17trampoline_kernelINS0_14default_configENS1_38merge_sort_block_merge_config_selectorIlNS0_10empty_typeEEEZZNS1_27merge_sort_block_merge_implIS3_PlPS5_mZN2at6native12_GLOBAL__N_124unique_dim_cuda_templateIlEESt5tupleIJNSA_6TensorESF_SF_EERKSF_lbbbEUlllE_EE10hipError_tT0_T1_T2_jT3_P12ihipStream_tbPNSt15iterator_traitsISL_E10value_typeEPNSR_ISM_E10value_typeEPSN_NS1_7vsmem_tEENKUlT_SL_SM_SN_E_clIS8_S8_S9_S9_EESK_S10_SL_SM_SN_EUlS10_E0_NS1_11comp_targetILNS1_3genE5ELNS1_11target_archE942ELNS1_3gpuE9ELNS1_3repE0EEENS1_38merge_mergepath_config_static_selectorELNS0_4arch9wavefront6targetE0EEEvSM_,@function
_ZN7rocprim17ROCPRIM_400000_NS6detail17trampoline_kernelINS0_14default_configENS1_38merge_sort_block_merge_config_selectorIlNS0_10empty_typeEEEZZNS1_27merge_sort_block_merge_implIS3_PlPS5_mZN2at6native12_GLOBAL__N_124unique_dim_cuda_templateIlEESt5tupleIJNSA_6TensorESF_SF_EERKSF_lbbbEUlllE_EE10hipError_tT0_T1_T2_jT3_P12ihipStream_tbPNSt15iterator_traitsISL_E10value_typeEPNSR_ISM_E10value_typeEPSN_NS1_7vsmem_tEENKUlT_SL_SM_SN_E_clIS8_S8_S9_S9_EESK_S10_SL_SM_SN_EUlS10_E0_NS1_11comp_targetILNS1_3genE5ELNS1_11target_archE942ELNS1_3gpuE9ELNS1_3repE0EEENS1_38merge_mergepath_config_static_selectorELNS0_4arch9wavefront6targetE0EEEvSM_: ; @_ZN7rocprim17ROCPRIM_400000_NS6detail17trampoline_kernelINS0_14default_configENS1_38merge_sort_block_merge_config_selectorIlNS0_10empty_typeEEEZZNS1_27merge_sort_block_merge_implIS3_PlPS5_mZN2at6native12_GLOBAL__N_124unique_dim_cuda_templateIlEESt5tupleIJNSA_6TensorESF_SF_EERKSF_lbbbEUlllE_EE10hipError_tT0_T1_T2_jT3_P12ihipStream_tbPNSt15iterator_traitsISL_E10value_typeEPNSR_ISM_E10value_typeEPSN_NS1_7vsmem_tEENKUlT_SL_SM_SN_E_clIS8_S8_S9_S9_EESK_S10_SL_SM_SN_EUlS10_E0_NS1_11comp_targetILNS1_3genE5ELNS1_11target_archE942ELNS1_3gpuE9ELNS1_3repE0EEENS1_38merge_mergepath_config_static_selectorELNS0_4arch9wavefront6targetE0EEEvSM_
; %bb.0:
	.section	.rodata,"a",@progbits
	.p2align	6, 0x0
	.amdhsa_kernel _ZN7rocprim17ROCPRIM_400000_NS6detail17trampoline_kernelINS0_14default_configENS1_38merge_sort_block_merge_config_selectorIlNS0_10empty_typeEEEZZNS1_27merge_sort_block_merge_implIS3_PlPS5_mZN2at6native12_GLOBAL__N_124unique_dim_cuda_templateIlEESt5tupleIJNSA_6TensorESF_SF_EERKSF_lbbbEUlllE_EE10hipError_tT0_T1_T2_jT3_P12ihipStream_tbPNSt15iterator_traitsISL_E10value_typeEPNSR_ISM_E10value_typeEPSN_NS1_7vsmem_tEENKUlT_SL_SM_SN_E_clIS8_S8_S9_S9_EESK_S10_SL_SM_SN_EUlS10_E0_NS1_11comp_targetILNS1_3genE5ELNS1_11target_archE942ELNS1_3gpuE9ELNS1_3repE0EEENS1_38merge_mergepath_config_static_selectorELNS0_4arch9wavefront6targetE0EEEvSM_
		.amdhsa_group_segment_fixed_size 0
		.amdhsa_private_segment_fixed_size 0
		.amdhsa_kernarg_size 88
		.amdhsa_user_sgpr_count 2
		.amdhsa_user_sgpr_dispatch_ptr 0
		.amdhsa_user_sgpr_queue_ptr 0
		.amdhsa_user_sgpr_kernarg_segment_ptr 1
		.amdhsa_user_sgpr_dispatch_id 0
		.amdhsa_user_sgpr_kernarg_preload_length 0
		.amdhsa_user_sgpr_kernarg_preload_offset 0
		.amdhsa_user_sgpr_private_segment_size 0
		.amdhsa_wavefront_size32 1
		.amdhsa_uses_dynamic_stack 0
		.amdhsa_enable_private_segment 0
		.amdhsa_system_sgpr_workgroup_id_x 1
		.amdhsa_system_sgpr_workgroup_id_y 0
		.amdhsa_system_sgpr_workgroup_id_z 0
		.amdhsa_system_sgpr_workgroup_info 0
		.amdhsa_system_vgpr_workitem_id 0
		.amdhsa_next_free_vgpr 1
		.amdhsa_next_free_sgpr 1
		.amdhsa_named_barrier_count 0
		.amdhsa_reserve_vcc 0
		.amdhsa_float_round_mode_32 0
		.amdhsa_float_round_mode_16_64 0
		.amdhsa_float_denorm_mode_32 3
		.amdhsa_float_denorm_mode_16_64 3
		.amdhsa_fp16_overflow 0
		.amdhsa_memory_ordered 1
		.amdhsa_forward_progress 1
		.amdhsa_inst_pref_size 0
		.amdhsa_round_robin_scheduling 0
		.amdhsa_exception_fp_ieee_invalid_op 0
		.amdhsa_exception_fp_denorm_src 0
		.amdhsa_exception_fp_ieee_div_zero 0
		.amdhsa_exception_fp_ieee_overflow 0
		.amdhsa_exception_fp_ieee_underflow 0
		.amdhsa_exception_fp_ieee_inexact 0
		.amdhsa_exception_int_div_zero 0
	.end_amdhsa_kernel
	.section	.text._ZN7rocprim17ROCPRIM_400000_NS6detail17trampoline_kernelINS0_14default_configENS1_38merge_sort_block_merge_config_selectorIlNS0_10empty_typeEEEZZNS1_27merge_sort_block_merge_implIS3_PlPS5_mZN2at6native12_GLOBAL__N_124unique_dim_cuda_templateIlEESt5tupleIJNSA_6TensorESF_SF_EERKSF_lbbbEUlllE_EE10hipError_tT0_T1_T2_jT3_P12ihipStream_tbPNSt15iterator_traitsISL_E10value_typeEPNSR_ISM_E10value_typeEPSN_NS1_7vsmem_tEENKUlT_SL_SM_SN_E_clIS8_S8_S9_S9_EESK_S10_SL_SM_SN_EUlS10_E0_NS1_11comp_targetILNS1_3genE5ELNS1_11target_archE942ELNS1_3gpuE9ELNS1_3repE0EEENS1_38merge_mergepath_config_static_selectorELNS0_4arch9wavefront6targetE0EEEvSM_,"axG",@progbits,_ZN7rocprim17ROCPRIM_400000_NS6detail17trampoline_kernelINS0_14default_configENS1_38merge_sort_block_merge_config_selectorIlNS0_10empty_typeEEEZZNS1_27merge_sort_block_merge_implIS3_PlPS5_mZN2at6native12_GLOBAL__N_124unique_dim_cuda_templateIlEESt5tupleIJNSA_6TensorESF_SF_EERKSF_lbbbEUlllE_EE10hipError_tT0_T1_T2_jT3_P12ihipStream_tbPNSt15iterator_traitsISL_E10value_typeEPNSR_ISM_E10value_typeEPSN_NS1_7vsmem_tEENKUlT_SL_SM_SN_E_clIS8_S8_S9_S9_EESK_S10_SL_SM_SN_EUlS10_E0_NS1_11comp_targetILNS1_3genE5ELNS1_11target_archE942ELNS1_3gpuE9ELNS1_3repE0EEENS1_38merge_mergepath_config_static_selectorELNS0_4arch9wavefront6targetE0EEEvSM_,comdat
.Lfunc_end524:
	.size	_ZN7rocprim17ROCPRIM_400000_NS6detail17trampoline_kernelINS0_14default_configENS1_38merge_sort_block_merge_config_selectorIlNS0_10empty_typeEEEZZNS1_27merge_sort_block_merge_implIS3_PlPS5_mZN2at6native12_GLOBAL__N_124unique_dim_cuda_templateIlEESt5tupleIJNSA_6TensorESF_SF_EERKSF_lbbbEUlllE_EE10hipError_tT0_T1_T2_jT3_P12ihipStream_tbPNSt15iterator_traitsISL_E10value_typeEPNSR_ISM_E10value_typeEPSN_NS1_7vsmem_tEENKUlT_SL_SM_SN_E_clIS8_S8_S9_S9_EESK_S10_SL_SM_SN_EUlS10_E0_NS1_11comp_targetILNS1_3genE5ELNS1_11target_archE942ELNS1_3gpuE9ELNS1_3repE0EEENS1_38merge_mergepath_config_static_selectorELNS0_4arch9wavefront6targetE0EEEvSM_, .Lfunc_end524-_ZN7rocprim17ROCPRIM_400000_NS6detail17trampoline_kernelINS0_14default_configENS1_38merge_sort_block_merge_config_selectorIlNS0_10empty_typeEEEZZNS1_27merge_sort_block_merge_implIS3_PlPS5_mZN2at6native12_GLOBAL__N_124unique_dim_cuda_templateIlEESt5tupleIJNSA_6TensorESF_SF_EERKSF_lbbbEUlllE_EE10hipError_tT0_T1_T2_jT3_P12ihipStream_tbPNSt15iterator_traitsISL_E10value_typeEPNSR_ISM_E10value_typeEPSN_NS1_7vsmem_tEENKUlT_SL_SM_SN_E_clIS8_S8_S9_S9_EESK_S10_SL_SM_SN_EUlS10_E0_NS1_11comp_targetILNS1_3genE5ELNS1_11target_archE942ELNS1_3gpuE9ELNS1_3repE0EEENS1_38merge_mergepath_config_static_selectorELNS0_4arch9wavefront6targetE0EEEvSM_
                                        ; -- End function
	.set _ZN7rocprim17ROCPRIM_400000_NS6detail17trampoline_kernelINS0_14default_configENS1_38merge_sort_block_merge_config_selectorIlNS0_10empty_typeEEEZZNS1_27merge_sort_block_merge_implIS3_PlPS5_mZN2at6native12_GLOBAL__N_124unique_dim_cuda_templateIlEESt5tupleIJNSA_6TensorESF_SF_EERKSF_lbbbEUlllE_EE10hipError_tT0_T1_T2_jT3_P12ihipStream_tbPNSt15iterator_traitsISL_E10value_typeEPNSR_ISM_E10value_typeEPSN_NS1_7vsmem_tEENKUlT_SL_SM_SN_E_clIS8_S8_S9_S9_EESK_S10_SL_SM_SN_EUlS10_E0_NS1_11comp_targetILNS1_3genE5ELNS1_11target_archE942ELNS1_3gpuE9ELNS1_3repE0EEENS1_38merge_mergepath_config_static_selectorELNS0_4arch9wavefront6targetE0EEEvSM_.num_vgpr, 0
	.set _ZN7rocprim17ROCPRIM_400000_NS6detail17trampoline_kernelINS0_14default_configENS1_38merge_sort_block_merge_config_selectorIlNS0_10empty_typeEEEZZNS1_27merge_sort_block_merge_implIS3_PlPS5_mZN2at6native12_GLOBAL__N_124unique_dim_cuda_templateIlEESt5tupleIJNSA_6TensorESF_SF_EERKSF_lbbbEUlllE_EE10hipError_tT0_T1_T2_jT3_P12ihipStream_tbPNSt15iterator_traitsISL_E10value_typeEPNSR_ISM_E10value_typeEPSN_NS1_7vsmem_tEENKUlT_SL_SM_SN_E_clIS8_S8_S9_S9_EESK_S10_SL_SM_SN_EUlS10_E0_NS1_11comp_targetILNS1_3genE5ELNS1_11target_archE942ELNS1_3gpuE9ELNS1_3repE0EEENS1_38merge_mergepath_config_static_selectorELNS0_4arch9wavefront6targetE0EEEvSM_.num_agpr, 0
	.set _ZN7rocprim17ROCPRIM_400000_NS6detail17trampoline_kernelINS0_14default_configENS1_38merge_sort_block_merge_config_selectorIlNS0_10empty_typeEEEZZNS1_27merge_sort_block_merge_implIS3_PlPS5_mZN2at6native12_GLOBAL__N_124unique_dim_cuda_templateIlEESt5tupleIJNSA_6TensorESF_SF_EERKSF_lbbbEUlllE_EE10hipError_tT0_T1_T2_jT3_P12ihipStream_tbPNSt15iterator_traitsISL_E10value_typeEPNSR_ISM_E10value_typeEPSN_NS1_7vsmem_tEENKUlT_SL_SM_SN_E_clIS8_S8_S9_S9_EESK_S10_SL_SM_SN_EUlS10_E0_NS1_11comp_targetILNS1_3genE5ELNS1_11target_archE942ELNS1_3gpuE9ELNS1_3repE0EEENS1_38merge_mergepath_config_static_selectorELNS0_4arch9wavefront6targetE0EEEvSM_.numbered_sgpr, 0
	.set _ZN7rocprim17ROCPRIM_400000_NS6detail17trampoline_kernelINS0_14default_configENS1_38merge_sort_block_merge_config_selectorIlNS0_10empty_typeEEEZZNS1_27merge_sort_block_merge_implIS3_PlPS5_mZN2at6native12_GLOBAL__N_124unique_dim_cuda_templateIlEESt5tupleIJNSA_6TensorESF_SF_EERKSF_lbbbEUlllE_EE10hipError_tT0_T1_T2_jT3_P12ihipStream_tbPNSt15iterator_traitsISL_E10value_typeEPNSR_ISM_E10value_typeEPSN_NS1_7vsmem_tEENKUlT_SL_SM_SN_E_clIS8_S8_S9_S9_EESK_S10_SL_SM_SN_EUlS10_E0_NS1_11comp_targetILNS1_3genE5ELNS1_11target_archE942ELNS1_3gpuE9ELNS1_3repE0EEENS1_38merge_mergepath_config_static_selectorELNS0_4arch9wavefront6targetE0EEEvSM_.num_named_barrier, 0
	.set _ZN7rocprim17ROCPRIM_400000_NS6detail17trampoline_kernelINS0_14default_configENS1_38merge_sort_block_merge_config_selectorIlNS0_10empty_typeEEEZZNS1_27merge_sort_block_merge_implIS3_PlPS5_mZN2at6native12_GLOBAL__N_124unique_dim_cuda_templateIlEESt5tupleIJNSA_6TensorESF_SF_EERKSF_lbbbEUlllE_EE10hipError_tT0_T1_T2_jT3_P12ihipStream_tbPNSt15iterator_traitsISL_E10value_typeEPNSR_ISM_E10value_typeEPSN_NS1_7vsmem_tEENKUlT_SL_SM_SN_E_clIS8_S8_S9_S9_EESK_S10_SL_SM_SN_EUlS10_E0_NS1_11comp_targetILNS1_3genE5ELNS1_11target_archE942ELNS1_3gpuE9ELNS1_3repE0EEENS1_38merge_mergepath_config_static_selectorELNS0_4arch9wavefront6targetE0EEEvSM_.private_seg_size, 0
	.set _ZN7rocprim17ROCPRIM_400000_NS6detail17trampoline_kernelINS0_14default_configENS1_38merge_sort_block_merge_config_selectorIlNS0_10empty_typeEEEZZNS1_27merge_sort_block_merge_implIS3_PlPS5_mZN2at6native12_GLOBAL__N_124unique_dim_cuda_templateIlEESt5tupleIJNSA_6TensorESF_SF_EERKSF_lbbbEUlllE_EE10hipError_tT0_T1_T2_jT3_P12ihipStream_tbPNSt15iterator_traitsISL_E10value_typeEPNSR_ISM_E10value_typeEPSN_NS1_7vsmem_tEENKUlT_SL_SM_SN_E_clIS8_S8_S9_S9_EESK_S10_SL_SM_SN_EUlS10_E0_NS1_11comp_targetILNS1_3genE5ELNS1_11target_archE942ELNS1_3gpuE9ELNS1_3repE0EEENS1_38merge_mergepath_config_static_selectorELNS0_4arch9wavefront6targetE0EEEvSM_.uses_vcc, 0
	.set _ZN7rocprim17ROCPRIM_400000_NS6detail17trampoline_kernelINS0_14default_configENS1_38merge_sort_block_merge_config_selectorIlNS0_10empty_typeEEEZZNS1_27merge_sort_block_merge_implIS3_PlPS5_mZN2at6native12_GLOBAL__N_124unique_dim_cuda_templateIlEESt5tupleIJNSA_6TensorESF_SF_EERKSF_lbbbEUlllE_EE10hipError_tT0_T1_T2_jT3_P12ihipStream_tbPNSt15iterator_traitsISL_E10value_typeEPNSR_ISM_E10value_typeEPSN_NS1_7vsmem_tEENKUlT_SL_SM_SN_E_clIS8_S8_S9_S9_EESK_S10_SL_SM_SN_EUlS10_E0_NS1_11comp_targetILNS1_3genE5ELNS1_11target_archE942ELNS1_3gpuE9ELNS1_3repE0EEENS1_38merge_mergepath_config_static_selectorELNS0_4arch9wavefront6targetE0EEEvSM_.uses_flat_scratch, 0
	.set _ZN7rocprim17ROCPRIM_400000_NS6detail17trampoline_kernelINS0_14default_configENS1_38merge_sort_block_merge_config_selectorIlNS0_10empty_typeEEEZZNS1_27merge_sort_block_merge_implIS3_PlPS5_mZN2at6native12_GLOBAL__N_124unique_dim_cuda_templateIlEESt5tupleIJNSA_6TensorESF_SF_EERKSF_lbbbEUlllE_EE10hipError_tT0_T1_T2_jT3_P12ihipStream_tbPNSt15iterator_traitsISL_E10value_typeEPNSR_ISM_E10value_typeEPSN_NS1_7vsmem_tEENKUlT_SL_SM_SN_E_clIS8_S8_S9_S9_EESK_S10_SL_SM_SN_EUlS10_E0_NS1_11comp_targetILNS1_3genE5ELNS1_11target_archE942ELNS1_3gpuE9ELNS1_3repE0EEENS1_38merge_mergepath_config_static_selectorELNS0_4arch9wavefront6targetE0EEEvSM_.has_dyn_sized_stack, 0
	.set _ZN7rocprim17ROCPRIM_400000_NS6detail17trampoline_kernelINS0_14default_configENS1_38merge_sort_block_merge_config_selectorIlNS0_10empty_typeEEEZZNS1_27merge_sort_block_merge_implIS3_PlPS5_mZN2at6native12_GLOBAL__N_124unique_dim_cuda_templateIlEESt5tupleIJNSA_6TensorESF_SF_EERKSF_lbbbEUlllE_EE10hipError_tT0_T1_T2_jT3_P12ihipStream_tbPNSt15iterator_traitsISL_E10value_typeEPNSR_ISM_E10value_typeEPSN_NS1_7vsmem_tEENKUlT_SL_SM_SN_E_clIS8_S8_S9_S9_EESK_S10_SL_SM_SN_EUlS10_E0_NS1_11comp_targetILNS1_3genE5ELNS1_11target_archE942ELNS1_3gpuE9ELNS1_3repE0EEENS1_38merge_mergepath_config_static_selectorELNS0_4arch9wavefront6targetE0EEEvSM_.has_recursion, 0
	.set _ZN7rocprim17ROCPRIM_400000_NS6detail17trampoline_kernelINS0_14default_configENS1_38merge_sort_block_merge_config_selectorIlNS0_10empty_typeEEEZZNS1_27merge_sort_block_merge_implIS3_PlPS5_mZN2at6native12_GLOBAL__N_124unique_dim_cuda_templateIlEESt5tupleIJNSA_6TensorESF_SF_EERKSF_lbbbEUlllE_EE10hipError_tT0_T1_T2_jT3_P12ihipStream_tbPNSt15iterator_traitsISL_E10value_typeEPNSR_ISM_E10value_typeEPSN_NS1_7vsmem_tEENKUlT_SL_SM_SN_E_clIS8_S8_S9_S9_EESK_S10_SL_SM_SN_EUlS10_E0_NS1_11comp_targetILNS1_3genE5ELNS1_11target_archE942ELNS1_3gpuE9ELNS1_3repE0EEENS1_38merge_mergepath_config_static_selectorELNS0_4arch9wavefront6targetE0EEEvSM_.has_indirect_call, 0
	.section	.AMDGPU.csdata,"",@progbits
; Kernel info:
; codeLenInByte = 0
; TotalNumSgprs: 0
; NumVgprs: 0
; ScratchSize: 0
; MemoryBound: 0
; FloatMode: 240
; IeeeMode: 1
; LDSByteSize: 0 bytes/workgroup (compile time only)
; SGPRBlocks: 0
; VGPRBlocks: 0
; NumSGPRsForWavesPerEU: 1
; NumVGPRsForWavesPerEU: 1
; NamedBarCnt: 0
; Occupancy: 16
; WaveLimiterHint : 0
; COMPUTE_PGM_RSRC2:SCRATCH_EN: 0
; COMPUTE_PGM_RSRC2:USER_SGPR: 2
; COMPUTE_PGM_RSRC2:TRAP_HANDLER: 0
; COMPUTE_PGM_RSRC2:TGID_X_EN: 1
; COMPUTE_PGM_RSRC2:TGID_Y_EN: 0
; COMPUTE_PGM_RSRC2:TGID_Z_EN: 0
; COMPUTE_PGM_RSRC2:TIDIG_COMP_CNT: 0
	.section	.text._ZN7rocprim17ROCPRIM_400000_NS6detail17trampoline_kernelINS0_14default_configENS1_38merge_sort_block_merge_config_selectorIlNS0_10empty_typeEEEZZNS1_27merge_sort_block_merge_implIS3_PlPS5_mZN2at6native12_GLOBAL__N_124unique_dim_cuda_templateIlEESt5tupleIJNSA_6TensorESF_SF_EERKSF_lbbbEUlllE_EE10hipError_tT0_T1_T2_jT3_P12ihipStream_tbPNSt15iterator_traitsISL_E10value_typeEPNSR_ISM_E10value_typeEPSN_NS1_7vsmem_tEENKUlT_SL_SM_SN_E_clIS8_S8_S9_S9_EESK_S10_SL_SM_SN_EUlS10_E0_NS1_11comp_targetILNS1_3genE4ELNS1_11target_archE910ELNS1_3gpuE8ELNS1_3repE0EEENS1_38merge_mergepath_config_static_selectorELNS0_4arch9wavefront6targetE0EEEvSM_,"axG",@progbits,_ZN7rocprim17ROCPRIM_400000_NS6detail17trampoline_kernelINS0_14default_configENS1_38merge_sort_block_merge_config_selectorIlNS0_10empty_typeEEEZZNS1_27merge_sort_block_merge_implIS3_PlPS5_mZN2at6native12_GLOBAL__N_124unique_dim_cuda_templateIlEESt5tupleIJNSA_6TensorESF_SF_EERKSF_lbbbEUlllE_EE10hipError_tT0_T1_T2_jT3_P12ihipStream_tbPNSt15iterator_traitsISL_E10value_typeEPNSR_ISM_E10value_typeEPSN_NS1_7vsmem_tEENKUlT_SL_SM_SN_E_clIS8_S8_S9_S9_EESK_S10_SL_SM_SN_EUlS10_E0_NS1_11comp_targetILNS1_3genE4ELNS1_11target_archE910ELNS1_3gpuE8ELNS1_3repE0EEENS1_38merge_mergepath_config_static_selectorELNS0_4arch9wavefront6targetE0EEEvSM_,comdat
	.globl	_ZN7rocprim17ROCPRIM_400000_NS6detail17trampoline_kernelINS0_14default_configENS1_38merge_sort_block_merge_config_selectorIlNS0_10empty_typeEEEZZNS1_27merge_sort_block_merge_implIS3_PlPS5_mZN2at6native12_GLOBAL__N_124unique_dim_cuda_templateIlEESt5tupleIJNSA_6TensorESF_SF_EERKSF_lbbbEUlllE_EE10hipError_tT0_T1_T2_jT3_P12ihipStream_tbPNSt15iterator_traitsISL_E10value_typeEPNSR_ISM_E10value_typeEPSN_NS1_7vsmem_tEENKUlT_SL_SM_SN_E_clIS8_S8_S9_S9_EESK_S10_SL_SM_SN_EUlS10_E0_NS1_11comp_targetILNS1_3genE4ELNS1_11target_archE910ELNS1_3gpuE8ELNS1_3repE0EEENS1_38merge_mergepath_config_static_selectorELNS0_4arch9wavefront6targetE0EEEvSM_ ; -- Begin function _ZN7rocprim17ROCPRIM_400000_NS6detail17trampoline_kernelINS0_14default_configENS1_38merge_sort_block_merge_config_selectorIlNS0_10empty_typeEEEZZNS1_27merge_sort_block_merge_implIS3_PlPS5_mZN2at6native12_GLOBAL__N_124unique_dim_cuda_templateIlEESt5tupleIJNSA_6TensorESF_SF_EERKSF_lbbbEUlllE_EE10hipError_tT0_T1_T2_jT3_P12ihipStream_tbPNSt15iterator_traitsISL_E10value_typeEPNSR_ISM_E10value_typeEPSN_NS1_7vsmem_tEENKUlT_SL_SM_SN_E_clIS8_S8_S9_S9_EESK_S10_SL_SM_SN_EUlS10_E0_NS1_11comp_targetILNS1_3genE4ELNS1_11target_archE910ELNS1_3gpuE8ELNS1_3repE0EEENS1_38merge_mergepath_config_static_selectorELNS0_4arch9wavefront6targetE0EEEvSM_
	.p2align	8
	.type	_ZN7rocprim17ROCPRIM_400000_NS6detail17trampoline_kernelINS0_14default_configENS1_38merge_sort_block_merge_config_selectorIlNS0_10empty_typeEEEZZNS1_27merge_sort_block_merge_implIS3_PlPS5_mZN2at6native12_GLOBAL__N_124unique_dim_cuda_templateIlEESt5tupleIJNSA_6TensorESF_SF_EERKSF_lbbbEUlllE_EE10hipError_tT0_T1_T2_jT3_P12ihipStream_tbPNSt15iterator_traitsISL_E10value_typeEPNSR_ISM_E10value_typeEPSN_NS1_7vsmem_tEENKUlT_SL_SM_SN_E_clIS8_S8_S9_S9_EESK_S10_SL_SM_SN_EUlS10_E0_NS1_11comp_targetILNS1_3genE4ELNS1_11target_archE910ELNS1_3gpuE8ELNS1_3repE0EEENS1_38merge_mergepath_config_static_selectorELNS0_4arch9wavefront6targetE0EEEvSM_,@function
_ZN7rocprim17ROCPRIM_400000_NS6detail17trampoline_kernelINS0_14default_configENS1_38merge_sort_block_merge_config_selectorIlNS0_10empty_typeEEEZZNS1_27merge_sort_block_merge_implIS3_PlPS5_mZN2at6native12_GLOBAL__N_124unique_dim_cuda_templateIlEESt5tupleIJNSA_6TensorESF_SF_EERKSF_lbbbEUlllE_EE10hipError_tT0_T1_T2_jT3_P12ihipStream_tbPNSt15iterator_traitsISL_E10value_typeEPNSR_ISM_E10value_typeEPSN_NS1_7vsmem_tEENKUlT_SL_SM_SN_E_clIS8_S8_S9_S9_EESK_S10_SL_SM_SN_EUlS10_E0_NS1_11comp_targetILNS1_3genE4ELNS1_11target_archE910ELNS1_3gpuE8ELNS1_3repE0EEENS1_38merge_mergepath_config_static_selectorELNS0_4arch9wavefront6targetE0EEEvSM_: ; @_ZN7rocprim17ROCPRIM_400000_NS6detail17trampoline_kernelINS0_14default_configENS1_38merge_sort_block_merge_config_selectorIlNS0_10empty_typeEEEZZNS1_27merge_sort_block_merge_implIS3_PlPS5_mZN2at6native12_GLOBAL__N_124unique_dim_cuda_templateIlEESt5tupleIJNSA_6TensorESF_SF_EERKSF_lbbbEUlllE_EE10hipError_tT0_T1_T2_jT3_P12ihipStream_tbPNSt15iterator_traitsISL_E10value_typeEPNSR_ISM_E10value_typeEPSN_NS1_7vsmem_tEENKUlT_SL_SM_SN_E_clIS8_S8_S9_S9_EESK_S10_SL_SM_SN_EUlS10_E0_NS1_11comp_targetILNS1_3genE4ELNS1_11target_archE910ELNS1_3gpuE8ELNS1_3repE0EEENS1_38merge_mergepath_config_static_selectorELNS0_4arch9wavefront6targetE0EEEvSM_
; %bb.0:
	.section	.rodata,"a",@progbits
	.p2align	6, 0x0
	.amdhsa_kernel _ZN7rocprim17ROCPRIM_400000_NS6detail17trampoline_kernelINS0_14default_configENS1_38merge_sort_block_merge_config_selectorIlNS0_10empty_typeEEEZZNS1_27merge_sort_block_merge_implIS3_PlPS5_mZN2at6native12_GLOBAL__N_124unique_dim_cuda_templateIlEESt5tupleIJNSA_6TensorESF_SF_EERKSF_lbbbEUlllE_EE10hipError_tT0_T1_T2_jT3_P12ihipStream_tbPNSt15iterator_traitsISL_E10value_typeEPNSR_ISM_E10value_typeEPSN_NS1_7vsmem_tEENKUlT_SL_SM_SN_E_clIS8_S8_S9_S9_EESK_S10_SL_SM_SN_EUlS10_E0_NS1_11comp_targetILNS1_3genE4ELNS1_11target_archE910ELNS1_3gpuE8ELNS1_3repE0EEENS1_38merge_mergepath_config_static_selectorELNS0_4arch9wavefront6targetE0EEEvSM_
		.amdhsa_group_segment_fixed_size 0
		.amdhsa_private_segment_fixed_size 0
		.amdhsa_kernarg_size 88
		.amdhsa_user_sgpr_count 2
		.amdhsa_user_sgpr_dispatch_ptr 0
		.amdhsa_user_sgpr_queue_ptr 0
		.amdhsa_user_sgpr_kernarg_segment_ptr 1
		.amdhsa_user_sgpr_dispatch_id 0
		.amdhsa_user_sgpr_kernarg_preload_length 0
		.amdhsa_user_sgpr_kernarg_preload_offset 0
		.amdhsa_user_sgpr_private_segment_size 0
		.amdhsa_wavefront_size32 1
		.amdhsa_uses_dynamic_stack 0
		.amdhsa_enable_private_segment 0
		.amdhsa_system_sgpr_workgroup_id_x 1
		.amdhsa_system_sgpr_workgroup_id_y 0
		.amdhsa_system_sgpr_workgroup_id_z 0
		.amdhsa_system_sgpr_workgroup_info 0
		.amdhsa_system_vgpr_workitem_id 0
		.amdhsa_next_free_vgpr 1
		.amdhsa_next_free_sgpr 1
		.amdhsa_named_barrier_count 0
		.amdhsa_reserve_vcc 0
		.amdhsa_float_round_mode_32 0
		.amdhsa_float_round_mode_16_64 0
		.amdhsa_float_denorm_mode_32 3
		.amdhsa_float_denorm_mode_16_64 3
		.amdhsa_fp16_overflow 0
		.amdhsa_memory_ordered 1
		.amdhsa_forward_progress 1
		.amdhsa_inst_pref_size 0
		.amdhsa_round_robin_scheduling 0
		.amdhsa_exception_fp_ieee_invalid_op 0
		.amdhsa_exception_fp_denorm_src 0
		.amdhsa_exception_fp_ieee_div_zero 0
		.amdhsa_exception_fp_ieee_overflow 0
		.amdhsa_exception_fp_ieee_underflow 0
		.amdhsa_exception_fp_ieee_inexact 0
		.amdhsa_exception_int_div_zero 0
	.end_amdhsa_kernel
	.section	.text._ZN7rocprim17ROCPRIM_400000_NS6detail17trampoline_kernelINS0_14default_configENS1_38merge_sort_block_merge_config_selectorIlNS0_10empty_typeEEEZZNS1_27merge_sort_block_merge_implIS3_PlPS5_mZN2at6native12_GLOBAL__N_124unique_dim_cuda_templateIlEESt5tupleIJNSA_6TensorESF_SF_EERKSF_lbbbEUlllE_EE10hipError_tT0_T1_T2_jT3_P12ihipStream_tbPNSt15iterator_traitsISL_E10value_typeEPNSR_ISM_E10value_typeEPSN_NS1_7vsmem_tEENKUlT_SL_SM_SN_E_clIS8_S8_S9_S9_EESK_S10_SL_SM_SN_EUlS10_E0_NS1_11comp_targetILNS1_3genE4ELNS1_11target_archE910ELNS1_3gpuE8ELNS1_3repE0EEENS1_38merge_mergepath_config_static_selectorELNS0_4arch9wavefront6targetE0EEEvSM_,"axG",@progbits,_ZN7rocprim17ROCPRIM_400000_NS6detail17trampoline_kernelINS0_14default_configENS1_38merge_sort_block_merge_config_selectorIlNS0_10empty_typeEEEZZNS1_27merge_sort_block_merge_implIS3_PlPS5_mZN2at6native12_GLOBAL__N_124unique_dim_cuda_templateIlEESt5tupleIJNSA_6TensorESF_SF_EERKSF_lbbbEUlllE_EE10hipError_tT0_T1_T2_jT3_P12ihipStream_tbPNSt15iterator_traitsISL_E10value_typeEPNSR_ISM_E10value_typeEPSN_NS1_7vsmem_tEENKUlT_SL_SM_SN_E_clIS8_S8_S9_S9_EESK_S10_SL_SM_SN_EUlS10_E0_NS1_11comp_targetILNS1_3genE4ELNS1_11target_archE910ELNS1_3gpuE8ELNS1_3repE0EEENS1_38merge_mergepath_config_static_selectorELNS0_4arch9wavefront6targetE0EEEvSM_,comdat
.Lfunc_end525:
	.size	_ZN7rocprim17ROCPRIM_400000_NS6detail17trampoline_kernelINS0_14default_configENS1_38merge_sort_block_merge_config_selectorIlNS0_10empty_typeEEEZZNS1_27merge_sort_block_merge_implIS3_PlPS5_mZN2at6native12_GLOBAL__N_124unique_dim_cuda_templateIlEESt5tupleIJNSA_6TensorESF_SF_EERKSF_lbbbEUlllE_EE10hipError_tT0_T1_T2_jT3_P12ihipStream_tbPNSt15iterator_traitsISL_E10value_typeEPNSR_ISM_E10value_typeEPSN_NS1_7vsmem_tEENKUlT_SL_SM_SN_E_clIS8_S8_S9_S9_EESK_S10_SL_SM_SN_EUlS10_E0_NS1_11comp_targetILNS1_3genE4ELNS1_11target_archE910ELNS1_3gpuE8ELNS1_3repE0EEENS1_38merge_mergepath_config_static_selectorELNS0_4arch9wavefront6targetE0EEEvSM_, .Lfunc_end525-_ZN7rocprim17ROCPRIM_400000_NS6detail17trampoline_kernelINS0_14default_configENS1_38merge_sort_block_merge_config_selectorIlNS0_10empty_typeEEEZZNS1_27merge_sort_block_merge_implIS3_PlPS5_mZN2at6native12_GLOBAL__N_124unique_dim_cuda_templateIlEESt5tupleIJNSA_6TensorESF_SF_EERKSF_lbbbEUlllE_EE10hipError_tT0_T1_T2_jT3_P12ihipStream_tbPNSt15iterator_traitsISL_E10value_typeEPNSR_ISM_E10value_typeEPSN_NS1_7vsmem_tEENKUlT_SL_SM_SN_E_clIS8_S8_S9_S9_EESK_S10_SL_SM_SN_EUlS10_E0_NS1_11comp_targetILNS1_3genE4ELNS1_11target_archE910ELNS1_3gpuE8ELNS1_3repE0EEENS1_38merge_mergepath_config_static_selectorELNS0_4arch9wavefront6targetE0EEEvSM_
                                        ; -- End function
	.set _ZN7rocprim17ROCPRIM_400000_NS6detail17trampoline_kernelINS0_14default_configENS1_38merge_sort_block_merge_config_selectorIlNS0_10empty_typeEEEZZNS1_27merge_sort_block_merge_implIS3_PlPS5_mZN2at6native12_GLOBAL__N_124unique_dim_cuda_templateIlEESt5tupleIJNSA_6TensorESF_SF_EERKSF_lbbbEUlllE_EE10hipError_tT0_T1_T2_jT3_P12ihipStream_tbPNSt15iterator_traitsISL_E10value_typeEPNSR_ISM_E10value_typeEPSN_NS1_7vsmem_tEENKUlT_SL_SM_SN_E_clIS8_S8_S9_S9_EESK_S10_SL_SM_SN_EUlS10_E0_NS1_11comp_targetILNS1_3genE4ELNS1_11target_archE910ELNS1_3gpuE8ELNS1_3repE0EEENS1_38merge_mergepath_config_static_selectorELNS0_4arch9wavefront6targetE0EEEvSM_.num_vgpr, 0
	.set _ZN7rocprim17ROCPRIM_400000_NS6detail17trampoline_kernelINS0_14default_configENS1_38merge_sort_block_merge_config_selectorIlNS0_10empty_typeEEEZZNS1_27merge_sort_block_merge_implIS3_PlPS5_mZN2at6native12_GLOBAL__N_124unique_dim_cuda_templateIlEESt5tupleIJNSA_6TensorESF_SF_EERKSF_lbbbEUlllE_EE10hipError_tT0_T1_T2_jT3_P12ihipStream_tbPNSt15iterator_traitsISL_E10value_typeEPNSR_ISM_E10value_typeEPSN_NS1_7vsmem_tEENKUlT_SL_SM_SN_E_clIS8_S8_S9_S9_EESK_S10_SL_SM_SN_EUlS10_E0_NS1_11comp_targetILNS1_3genE4ELNS1_11target_archE910ELNS1_3gpuE8ELNS1_3repE0EEENS1_38merge_mergepath_config_static_selectorELNS0_4arch9wavefront6targetE0EEEvSM_.num_agpr, 0
	.set _ZN7rocprim17ROCPRIM_400000_NS6detail17trampoline_kernelINS0_14default_configENS1_38merge_sort_block_merge_config_selectorIlNS0_10empty_typeEEEZZNS1_27merge_sort_block_merge_implIS3_PlPS5_mZN2at6native12_GLOBAL__N_124unique_dim_cuda_templateIlEESt5tupleIJNSA_6TensorESF_SF_EERKSF_lbbbEUlllE_EE10hipError_tT0_T1_T2_jT3_P12ihipStream_tbPNSt15iterator_traitsISL_E10value_typeEPNSR_ISM_E10value_typeEPSN_NS1_7vsmem_tEENKUlT_SL_SM_SN_E_clIS8_S8_S9_S9_EESK_S10_SL_SM_SN_EUlS10_E0_NS1_11comp_targetILNS1_3genE4ELNS1_11target_archE910ELNS1_3gpuE8ELNS1_3repE0EEENS1_38merge_mergepath_config_static_selectorELNS0_4arch9wavefront6targetE0EEEvSM_.numbered_sgpr, 0
	.set _ZN7rocprim17ROCPRIM_400000_NS6detail17trampoline_kernelINS0_14default_configENS1_38merge_sort_block_merge_config_selectorIlNS0_10empty_typeEEEZZNS1_27merge_sort_block_merge_implIS3_PlPS5_mZN2at6native12_GLOBAL__N_124unique_dim_cuda_templateIlEESt5tupleIJNSA_6TensorESF_SF_EERKSF_lbbbEUlllE_EE10hipError_tT0_T1_T2_jT3_P12ihipStream_tbPNSt15iterator_traitsISL_E10value_typeEPNSR_ISM_E10value_typeEPSN_NS1_7vsmem_tEENKUlT_SL_SM_SN_E_clIS8_S8_S9_S9_EESK_S10_SL_SM_SN_EUlS10_E0_NS1_11comp_targetILNS1_3genE4ELNS1_11target_archE910ELNS1_3gpuE8ELNS1_3repE0EEENS1_38merge_mergepath_config_static_selectorELNS0_4arch9wavefront6targetE0EEEvSM_.num_named_barrier, 0
	.set _ZN7rocprim17ROCPRIM_400000_NS6detail17trampoline_kernelINS0_14default_configENS1_38merge_sort_block_merge_config_selectorIlNS0_10empty_typeEEEZZNS1_27merge_sort_block_merge_implIS3_PlPS5_mZN2at6native12_GLOBAL__N_124unique_dim_cuda_templateIlEESt5tupleIJNSA_6TensorESF_SF_EERKSF_lbbbEUlllE_EE10hipError_tT0_T1_T2_jT3_P12ihipStream_tbPNSt15iterator_traitsISL_E10value_typeEPNSR_ISM_E10value_typeEPSN_NS1_7vsmem_tEENKUlT_SL_SM_SN_E_clIS8_S8_S9_S9_EESK_S10_SL_SM_SN_EUlS10_E0_NS1_11comp_targetILNS1_3genE4ELNS1_11target_archE910ELNS1_3gpuE8ELNS1_3repE0EEENS1_38merge_mergepath_config_static_selectorELNS0_4arch9wavefront6targetE0EEEvSM_.private_seg_size, 0
	.set _ZN7rocprim17ROCPRIM_400000_NS6detail17trampoline_kernelINS0_14default_configENS1_38merge_sort_block_merge_config_selectorIlNS0_10empty_typeEEEZZNS1_27merge_sort_block_merge_implIS3_PlPS5_mZN2at6native12_GLOBAL__N_124unique_dim_cuda_templateIlEESt5tupleIJNSA_6TensorESF_SF_EERKSF_lbbbEUlllE_EE10hipError_tT0_T1_T2_jT3_P12ihipStream_tbPNSt15iterator_traitsISL_E10value_typeEPNSR_ISM_E10value_typeEPSN_NS1_7vsmem_tEENKUlT_SL_SM_SN_E_clIS8_S8_S9_S9_EESK_S10_SL_SM_SN_EUlS10_E0_NS1_11comp_targetILNS1_3genE4ELNS1_11target_archE910ELNS1_3gpuE8ELNS1_3repE0EEENS1_38merge_mergepath_config_static_selectorELNS0_4arch9wavefront6targetE0EEEvSM_.uses_vcc, 0
	.set _ZN7rocprim17ROCPRIM_400000_NS6detail17trampoline_kernelINS0_14default_configENS1_38merge_sort_block_merge_config_selectorIlNS0_10empty_typeEEEZZNS1_27merge_sort_block_merge_implIS3_PlPS5_mZN2at6native12_GLOBAL__N_124unique_dim_cuda_templateIlEESt5tupleIJNSA_6TensorESF_SF_EERKSF_lbbbEUlllE_EE10hipError_tT0_T1_T2_jT3_P12ihipStream_tbPNSt15iterator_traitsISL_E10value_typeEPNSR_ISM_E10value_typeEPSN_NS1_7vsmem_tEENKUlT_SL_SM_SN_E_clIS8_S8_S9_S9_EESK_S10_SL_SM_SN_EUlS10_E0_NS1_11comp_targetILNS1_3genE4ELNS1_11target_archE910ELNS1_3gpuE8ELNS1_3repE0EEENS1_38merge_mergepath_config_static_selectorELNS0_4arch9wavefront6targetE0EEEvSM_.uses_flat_scratch, 0
	.set _ZN7rocprim17ROCPRIM_400000_NS6detail17trampoline_kernelINS0_14default_configENS1_38merge_sort_block_merge_config_selectorIlNS0_10empty_typeEEEZZNS1_27merge_sort_block_merge_implIS3_PlPS5_mZN2at6native12_GLOBAL__N_124unique_dim_cuda_templateIlEESt5tupleIJNSA_6TensorESF_SF_EERKSF_lbbbEUlllE_EE10hipError_tT0_T1_T2_jT3_P12ihipStream_tbPNSt15iterator_traitsISL_E10value_typeEPNSR_ISM_E10value_typeEPSN_NS1_7vsmem_tEENKUlT_SL_SM_SN_E_clIS8_S8_S9_S9_EESK_S10_SL_SM_SN_EUlS10_E0_NS1_11comp_targetILNS1_3genE4ELNS1_11target_archE910ELNS1_3gpuE8ELNS1_3repE0EEENS1_38merge_mergepath_config_static_selectorELNS0_4arch9wavefront6targetE0EEEvSM_.has_dyn_sized_stack, 0
	.set _ZN7rocprim17ROCPRIM_400000_NS6detail17trampoline_kernelINS0_14default_configENS1_38merge_sort_block_merge_config_selectorIlNS0_10empty_typeEEEZZNS1_27merge_sort_block_merge_implIS3_PlPS5_mZN2at6native12_GLOBAL__N_124unique_dim_cuda_templateIlEESt5tupleIJNSA_6TensorESF_SF_EERKSF_lbbbEUlllE_EE10hipError_tT0_T1_T2_jT3_P12ihipStream_tbPNSt15iterator_traitsISL_E10value_typeEPNSR_ISM_E10value_typeEPSN_NS1_7vsmem_tEENKUlT_SL_SM_SN_E_clIS8_S8_S9_S9_EESK_S10_SL_SM_SN_EUlS10_E0_NS1_11comp_targetILNS1_3genE4ELNS1_11target_archE910ELNS1_3gpuE8ELNS1_3repE0EEENS1_38merge_mergepath_config_static_selectorELNS0_4arch9wavefront6targetE0EEEvSM_.has_recursion, 0
	.set _ZN7rocprim17ROCPRIM_400000_NS6detail17trampoline_kernelINS0_14default_configENS1_38merge_sort_block_merge_config_selectorIlNS0_10empty_typeEEEZZNS1_27merge_sort_block_merge_implIS3_PlPS5_mZN2at6native12_GLOBAL__N_124unique_dim_cuda_templateIlEESt5tupleIJNSA_6TensorESF_SF_EERKSF_lbbbEUlllE_EE10hipError_tT0_T1_T2_jT3_P12ihipStream_tbPNSt15iterator_traitsISL_E10value_typeEPNSR_ISM_E10value_typeEPSN_NS1_7vsmem_tEENKUlT_SL_SM_SN_E_clIS8_S8_S9_S9_EESK_S10_SL_SM_SN_EUlS10_E0_NS1_11comp_targetILNS1_3genE4ELNS1_11target_archE910ELNS1_3gpuE8ELNS1_3repE0EEENS1_38merge_mergepath_config_static_selectorELNS0_4arch9wavefront6targetE0EEEvSM_.has_indirect_call, 0
	.section	.AMDGPU.csdata,"",@progbits
; Kernel info:
; codeLenInByte = 0
; TotalNumSgprs: 0
; NumVgprs: 0
; ScratchSize: 0
; MemoryBound: 0
; FloatMode: 240
; IeeeMode: 1
; LDSByteSize: 0 bytes/workgroup (compile time only)
; SGPRBlocks: 0
; VGPRBlocks: 0
; NumSGPRsForWavesPerEU: 1
; NumVGPRsForWavesPerEU: 1
; NamedBarCnt: 0
; Occupancy: 16
; WaveLimiterHint : 0
; COMPUTE_PGM_RSRC2:SCRATCH_EN: 0
; COMPUTE_PGM_RSRC2:USER_SGPR: 2
; COMPUTE_PGM_RSRC2:TRAP_HANDLER: 0
; COMPUTE_PGM_RSRC2:TGID_X_EN: 1
; COMPUTE_PGM_RSRC2:TGID_Y_EN: 0
; COMPUTE_PGM_RSRC2:TGID_Z_EN: 0
; COMPUTE_PGM_RSRC2:TIDIG_COMP_CNT: 0
	.section	.text._ZN7rocprim17ROCPRIM_400000_NS6detail17trampoline_kernelINS0_14default_configENS1_38merge_sort_block_merge_config_selectorIlNS0_10empty_typeEEEZZNS1_27merge_sort_block_merge_implIS3_PlPS5_mZN2at6native12_GLOBAL__N_124unique_dim_cuda_templateIlEESt5tupleIJNSA_6TensorESF_SF_EERKSF_lbbbEUlllE_EE10hipError_tT0_T1_T2_jT3_P12ihipStream_tbPNSt15iterator_traitsISL_E10value_typeEPNSR_ISM_E10value_typeEPSN_NS1_7vsmem_tEENKUlT_SL_SM_SN_E_clIS8_S8_S9_S9_EESK_S10_SL_SM_SN_EUlS10_E0_NS1_11comp_targetILNS1_3genE3ELNS1_11target_archE908ELNS1_3gpuE7ELNS1_3repE0EEENS1_38merge_mergepath_config_static_selectorELNS0_4arch9wavefront6targetE0EEEvSM_,"axG",@progbits,_ZN7rocprim17ROCPRIM_400000_NS6detail17trampoline_kernelINS0_14default_configENS1_38merge_sort_block_merge_config_selectorIlNS0_10empty_typeEEEZZNS1_27merge_sort_block_merge_implIS3_PlPS5_mZN2at6native12_GLOBAL__N_124unique_dim_cuda_templateIlEESt5tupleIJNSA_6TensorESF_SF_EERKSF_lbbbEUlllE_EE10hipError_tT0_T1_T2_jT3_P12ihipStream_tbPNSt15iterator_traitsISL_E10value_typeEPNSR_ISM_E10value_typeEPSN_NS1_7vsmem_tEENKUlT_SL_SM_SN_E_clIS8_S8_S9_S9_EESK_S10_SL_SM_SN_EUlS10_E0_NS1_11comp_targetILNS1_3genE3ELNS1_11target_archE908ELNS1_3gpuE7ELNS1_3repE0EEENS1_38merge_mergepath_config_static_selectorELNS0_4arch9wavefront6targetE0EEEvSM_,comdat
	.globl	_ZN7rocprim17ROCPRIM_400000_NS6detail17trampoline_kernelINS0_14default_configENS1_38merge_sort_block_merge_config_selectorIlNS0_10empty_typeEEEZZNS1_27merge_sort_block_merge_implIS3_PlPS5_mZN2at6native12_GLOBAL__N_124unique_dim_cuda_templateIlEESt5tupleIJNSA_6TensorESF_SF_EERKSF_lbbbEUlllE_EE10hipError_tT0_T1_T2_jT3_P12ihipStream_tbPNSt15iterator_traitsISL_E10value_typeEPNSR_ISM_E10value_typeEPSN_NS1_7vsmem_tEENKUlT_SL_SM_SN_E_clIS8_S8_S9_S9_EESK_S10_SL_SM_SN_EUlS10_E0_NS1_11comp_targetILNS1_3genE3ELNS1_11target_archE908ELNS1_3gpuE7ELNS1_3repE0EEENS1_38merge_mergepath_config_static_selectorELNS0_4arch9wavefront6targetE0EEEvSM_ ; -- Begin function _ZN7rocprim17ROCPRIM_400000_NS6detail17trampoline_kernelINS0_14default_configENS1_38merge_sort_block_merge_config_selectorIlNS0_10empty_typeEEEZZNS1_27merge_sort_block_merge_implIS3_PlPS5_mZN2at6native12_GLOBAL__N_124unique_dim_cuda_templateIlEESt5tupleIJNSA_6TensorESF_SF_EERKSF_lbbbEUlllE_EE10hipError_tT0_T1_T2_jT3_P12ihipStream_tbPNSt15iterator_traitsISL_E10value_typeEPNSR_ISM_E10value_typeEPSN_NS1_7vsmem_tEENKUlT_SL_SM_SN_E_clIS8_S8_S9_S9_EESK_S10_SL_SM_SN_EUlS10_E0_NS1_11comp_targetILNS1_3genE3ELNS1_11target_archE908ELNS1_3gpuE7ELNS1_3repE0EEENS1_38merge_mergepath_config_static_selectorELNS0_4arch9wavefront6targetE0EEEvSM_
	.p2align	8
	.type	_ZN7rocprim17ROCPRIM_400000_NS6detail17trampoline_kernelINS0_14default_configENS1_38merge_sort_block_merge_config_selectorIlNS0_10empty_typeEEEZZNS1_27merge_sort_block_merge_implIS3_PlPS5_mZN2at6native12_GLOBAL__N_124unique_dim_cuda_templateIlEESt5tupleIJNSA_6TensorESF_SF_EERKSF_lbbbEUlllE_EE10hipError_tT0_T1_T2_jT3_P12ihipStream_tbPNSt15iterator_traitsISL_E10value_typeEPNSR_ISM_E10value_typeEPSN_NS1_7vsmem_tEENKUlT_SL_SM_SN_E_clIS8_S8_S9_S9_EESK_S10_SL_SM_SN_EUlS10_E0_NS1_11comp_targetILNS1_3genE3ELNS1_11target_archE908ELNS1_3gpuE7ELNS1_3repE0EEENS1_38merge_mergepath_config_static_selectorELNS0_4arch9wavefront6targetE0EEEvSM_,@function
_ZN7rocprim17ROCPRIM_400000_NS6detail17trampoline_kernelINS0_14default_configENS1_38merge_sort_block_merge_config_selectorIlNS0_10empty_typeEEEZZNS1_27merge_sort_block_merge_implIS3_PlPS5_mZN2at6native12_GLOBAL__N_124unique_dim_cuda_templateIlEESt5tupleIJNSA_6TensorESF_SF_EERKSF_lbbbEUlllE_EE10hipError_tT0_T1_T2_jT3_P12ihipStream_tbPNSt15iterator_traitsISL_E10value_typeEPNSR_ISM_E10value_typeEPSN_NS1_7vsmem_tEENKUlT_SL_SM_SN_E_clIS8_S8_S9_S9_EESK_S10_SL_SM_SN_EUlS10_E0_NS1_11comp_targetILNS1_3genE3ELNS1_11target_archE908ELNS1_3gpuE7ELNS1_3repE0EEENS1_38merge_mergepath_config_static_selectorELNS0_4arch9wavefront6targetE0EEEvSM_: ; @_ZN7rocprim17ROCPRIM_400000_NS6detail17trampoline_kernelINS0_14default_configENS1_38merge_sort_block_merge_config_selectorIlNS0_10empty_typeEEEZZNS1_27merge_sort_block_merge_implIS3_PlPS5_mZN2at6native12_GLOBAL__N_124unique_dim_cuda_templateIlEESt5tupleIJNSA_6TensorESF_SF_EERKSF_lbbbEUlllE_EE10hipError_tT0_T1_T2_jT3_P12ihipStream_tbPNSt15iterator_traitsISL_E10value_typeEPNSR_ISM_E10value_typeEPSN_NS1_7vsmem_tEENKUlT_SL_SM_SN_E_clIS8_S8_S9_S9_EESK_S10_SL_SM_SN_EUlS10_E0_NS1_11comp_targetILNS1_3genE3ELNS1_11target_archE908ELNS1_3gpuE7ELNS1_3repE0EEENS1_38merge_mergepath_config_static_selectorELNS0_4arch9wavefront6targetE0EEEvSM_
; %bb.0:
	.section	.rodata,"a",@progbits
	.p2align	6, 0x0
	.amdhsa_kernel _ZN7rocprim17ROCPRIM_400000_NS6detail17trampoline_kernelINS0_14default_configENS1_38merge_sort_block_merge_config_selectorIlNS0_10empty_typeEEEZZNS1_27merge_sort_block_merge_implIS3_PlPS5_mZN2at6native12_GLOBAL__N_124unique_dim_cuda_templateIlEESt5tupleIJNSA_6TensorESF_SF_EERKSF_lbbbEUlllE_EE10hipError_tT0_T1_T2_jT3_P12ihipStream_tbPNSt15iterator_traitsISL_E10value_typeEPNSR_ISM_E10value_typeEPSN_NS1_7vsmem_tEENKUlT_SL_SM_SN_E_clIS8_S8_S9_S9_EESK_S10_SL_SM_SN_EUlS10_E0_NS1_11comp_targetILNS1_3genE3ELNS1_11target_archE908ELNS1_3gpuE7ELNS1_3repE0EEENS1_38merge_mergepath_config_static_selectorELNS0_4arch9wavefront6targetE0EEEvSM_
		.amdhsa_group_segment_fixed_size 0
		.amdhsa_private_segment_fixed_size 0
		.amdhsa_kernarg_size 88
		.amdhsa_user_sgpr_count 2
		.amdhsa_user_sgpr_dispatch_ptr 0
		.amdhsa_user_sgpr_queue_ptr 0
		.amdhsa_user_sgpr_kernarg_segment_ptr 1
		.amdhsa_user_sgpr_dispatch_id 0
		.amdhsa_user_sgpr_kernarg_preload_length 0
		.amdhsa_user_sgpr_kernarg_preload_offset 0
		.amdhsa_user_sgpr_private_segment_size 0
		.amdhsa_wavefront_size32 1
		.amdhsa_uses_dynamic_stack 0
		.amdhsa_enable_private_segment 0
		.amdhsa_system_sgpr_workgroup_id_x 1
		.amdhsa_system_sgpr_workgroup_id_y 0
		.amdhsa_system_sgpr_workgroup_id_z 0
		.amdhsa_system_sgpr_workgroup_info 0
		.amdhsa_system_vgpr_workitem_id 0
		.amdhsa_next_free_vgpr 1
		.amdhsa_next_free_sgpr 1
		.amdhsa_named_barrier_count 0
		.amdhsa_reserve_vcc 0
		.amdhsa_float_round_mode_32 0
		.amdhsa_float_round_mode_16_64 0
		.amdhsa_float_denorm_mode_32 3
		.amdhsa_float_denorm_mode_16_64 3
		.amdhsa_fp16_overflow 0
		.amdhsa_memory_ordered 1
		.amdhsa_forward_progress 1
		.amdhsa_inst_pref_size 0
		.amdhsa_round_robin_scheduling 0
		.amdhsa_exception_fp_ieee_invalid_op 0
		.amdhsa_exception_fp_denorm_src 0
		.amdhsa_exception_fp_ieee_div_zero 0
		.amdhsa_exception_fp_ieee_overflow 0
		.amdhsa_exception_fp_ieee_underflow 0
		.amdhsa_exception_fp_ieee_inexact 0
		.amdhsa_exception_int_div_zero 0
	.end_amdhsa_kernel
	.section	.text._ZN7rocprim17ROCPRIM_400000_NS6detail17trampoline_kernelINS0_14default_configENS1_38merge_sort_block_merge_config_selectorIlNS0_10empty_typeEEEZZNS1_27merge_sort_block_merge_implIS3_PlPS5_mZN2at6native12_GLOBAL__N_124unique_dim_cuda_templateIlEESt5tupleIJNSA_6TensorESF_SF_EERKSF_lbbbEUlllE_EE10hipError_tT0_T1_T2_jT3_P12ihipStream_tbPNSt15iterator_traitsISL_E10value_typeEPNSR_ISM_E10value_typeEPSN_NS1_7vsmem_tEENKUlT_SL_SM_SN_E_clIS8_S8_S9_S9_EESK_S10_SL_SM_SN_EUlS10_E0_NS1_11comp_targetILNS1_3genE3ELNS1_11target_archE908ELNS1_3gpuE7ELNS1_3repE0EEENS1_38merge_mergepath_config_static_selectorELNS0_4arch9wavefront6targetE0EEEvSM_,"axG",@progbits,_ZN7rocprim17ROCPRIM_400000_NS6detail17trampoline_kernelINS0_14default_configENS1_38merge_sort_block_merge_config_selectorIlNS0_10empty_typeEEEZZNS1_27merge_sort_block_merge_implIS3_PlPS5_mZN2at6native12_GLOBAL__N_124unique_dim_cuda_templateIlEESt5tupleIJNSA_6TensorESF_SF_EERKSF_lbbbEUlllE_EE10hipError_tT0_T1_T2_jT3_P12ihipStream_tbPNSt15iterator_traitsISL_E10value_typeEPNSR_ISM_E10value_typeEPSN_NS1_7vsmem_tEENKUlT_SL_SM_SN_E_clIS8_S8_S9_S9_EESK_S10_SL_SM_SN_EUlS10_E0_NS1_11comp_targetILNS1_3genE3ELNS1_11target_archE908ELNS1_3gpuE7ELNS1_3repE0EEENS1_38merge_mergepath_config_static_selectorELNS0_4arch9wavefront6targetE0EEEvSM_,comdat
.Lfunc_end526:
	.size	_ZN7rocprim17ROCPRIM_400000_NS6detail17trampoline_kernelINS0_14default_configENS1_38merge_sort_block_merge_config_selectorIlNS0_10empty_typeEEEZZNS1_27merge_sort_block_merge_implIS3_PlPS5_mZN2at6native12_GLOBAL__N_124unique_dim_cuda_templateIlEESt5tupleIJNSA_6TensorESF_SF_EERKSF_lbbbEUlllE_EE10hipError_tT0_T1_T2_jT3_P12ihipStream_tbPNSt15iterator_traitsISL_E10value_typeEPNSR_ISM_E10value_typeEPSN_NS1_7vsmem_tEENKUlT_SL_SM_SN_E_clIS8_S8_S9_S9_EESK_S10_SL_SM_SN_EUlS10_E0_NS1_11comp_targetILNS1_3genE3ELNS1_11target_archE908ELNS1_3gpuE7ELNS1_3repE0EEENS1_38merge_mergepath_config_static_selectorELNS0_4arch9wavefront6targetE0EEEvSM_, .Lfunc_end526-_ZN7rocprim17ROCPRIM_400000_NS6detail17trampoline_kernelINS0_14default_configENS1_38merge_sort_block_merge_config_selectorIlNS0_10empty_typeEEEZZNS1_27merge_sort_block_merge_implIS3_PlPS5_mZN2at6native12_GLOBAL__N_124unique_dim_cuda_templateIlEESt5tupleIJNSA_6TensorESF_SF_EERKSF_lbbbEUlllE_EE10hipError_tT0_T1_T2_jT3_P12ihipStream_tbPNSt15iterator_traitsISL_E10value_typeEPNSR_ISM_E10value_typeEPSN_NS1_7vsmem_tEENKUlT_SL_SM_SN_E_clIS8_S8_S9_S9_EESK_S10_SL_SM_SN_EUlS10_E0_NS1_11comp_targetILNS1_3genE3ELNS1_11target_archE908ELNS1_3gpuE7ELNS1_3repE0EEENS1_38merge_mergepath_config_static_selectorELNS0_4arch9wavefront6targetE0EEEvSM_
                                        ; -- End function
	.set _ZN7rocprim17ROCPRIM_400000_NS6detail17trampoline_kernelINS0_14default_configENS1_38merge_sort_block_merge_config_selectorIlNS0_10empty_typeEEEZZNS1_27merge_sort_block_merge_implIS3_PlPS5_mZN2at6native12_GLOBAL__N_124unique_dim_cuda_templateIlEESt5tupleIJNSA_6TensorESF_SF_EERKSF_lbbbEUlllE_EE10hipError_tT0_T1_T2_jT3_P12ihipStream_tbPNSt15iterator_traitsISL_E10value_typeEPNSR_ISM_E10value_typeEPSN_NS1_7vsmem_tEENKUlT_SL_SM_SN_E_clIS8_S8_S9_S9_EESK_S10_SL_SM_SN_EUlS10_E0_NS1_11comp_targetILNS1_3genE3ELNS1_11target_archE908ELNS1_3gpuE7ELNS1_3repE0EEENS1_38merge_mergepath_config_static_selectorELNS0_4arch9wavefront6targetE0EEEvSM_.num_vgpr, 0
	.set _ZN7rocprim17ROCPRIM_400000_NS6detail17trampoline_kernelINS0_14default_configENS1_38merge_sort_block_merge_config_selectorIlNS0_10empty_typeEEEZZNS1_27merge_sort_block_merge_implIS3_PlPS5_mZN2at6native12_GLOBAL__N_124unique_dim_cuda_templateIlEESt5tupleIJNSA_6TensorESF_SF_EERKSF_lbbbEUlllE_EE10hipError_tT0_T1_T2_jT3_P12ihipStream_tbPNSt15iterator_traitsISL_E10value_typeEPNSR_ISM_E10value_typeEPSN_NS1_7vsmem_tEENKUlT_SL_SM_SN_E_clIS8_S8_S9_S9_EESK_S10_SL_SM_SN_EUlS10_E0_NS1_11comp_targetILNS1_3genE3ELNS1_11target_archE908ELNS1_3gpuE7ELNS1_3repE0EEENS1_38merge_mergepath_config_static_selectorELNS0_4arch9wavefront6targetE0EEEvSM_.num_agpr, 0
	.set _ZN7rocprim17ROCPRIM_400000_NS6detail17trampoline_kernelINS0_14default_configENS1_38merge_sort_block_merge_config_selectorIlNS0_10empty_typeEEEZZNS1_27merge_sort_block_merge_implIS3_PlPS5_mZN2at6native12_GLOBAL__N_124unique_dim_cuda_templateIlEESt5tupleIJNSA_6TensorESF_SF_EERKSF_lbbbEUlllE_EE10hipError_tT0_T1_T2_jT3_P12ihipStream_tbPNSt15iterator_traitsISL_E10value_typeEPNSR_ISM_E10value_typeEPSN_NS1_7vsmem_tEENKUlT_SL_SM_SN_E_clIS8_S8_S9_S9_EESK_S10_SL_SM_SN_EUlS10_E0_NS1_11comp_targetILNS1_3genE3ELNS1_11target_archE908ELNS1_3gpuE7ELNS1_3repE0EEENS1_38merge_mergepath_config_static_selectorELNS0_4arch9wavefront6targetE0EEEvSM_.numbered_sgpr, 0
	.set _ZN7rocprim17ROCPRIM_400000_NS6detail17trampoline_kernelINS0_14default_configENS1_38merge_sort_block_merge_config_selectorIlNS0_10empty_typeEEEZZNS1_27merge_sort_block_merge_implIS3_PlPS5_mZN2at6native12_GLOBAL__N_124unique_dim_cuda_templateIlEESt5tupleIJNSA_6TensorESF_SF_EERKSF_lbbbEUlllE_EE10hipError_tT0_T1_T2_jT3_P12ihipStream_tbPNSt15iterator_traitsISL_E10value_typeEPNSR_ISM_E10value_typeEPSN_NS1_7vsmem_tEENKUlT_SL_SM_SN_E_clIS8_S8_S9_S9_EESK_S10_SL_SM_SN_EUlS10_E0_NS1_11comp_targetILNS1_3genE3ELNS1_11target_archE908ELNS1_3gpuE7ELNS1_3repE0EEENS1_38merge_mergepath_config_static_selectorELNS0_4arch9wavefront6targetE0EEEvSM_.num_named_barrier, 0
	.set _ZN7rocprim17ROCPRIM_400000_NS6detail17trampoline_kernelINS0_14default_configENS1_38merge_sort_block_merge_config_selectorIlNS0_10empty_typeEEEZZNS1_27merge_sort_block_merge_implIS3_PlPS5_mZN2at6native12_GLOBAL__N_124unique_dim_cuda_templateIlEESt5tupleIJNSA_6TensorESF_SF_EERKSF_lbbbEUlllE_EE10hipError_tT0_T1_T2_jT3_P12ihipStream_tbPNSt15iterator_traitsISL_E10value_typeEPNSR_ISM_E10value_typeEPSN_NS1_7vsmem_tEENKUlT_SL_SM_SN_E_clIS8_S8_S9_S9_EESK_S10_SL_SM_SN_EUlS10_E0_NS1_11comp_targetILNS1_3genE3ELNS1_11target_archE908ELNS1_3gpuE7ELNS1_3repE0EEENS1_38merge_mergepath_config_static_selectorELNS0_4arch9wavefront6targetE0EEEvSM_.private_seg_size, 0
	.set _ZN7rocprim17ROCPRIM_400000_NS6detail17trampoline_kernelINS0_14default_configENS1_38merge_sort_block_merge_config_selectorIlNS0_10empty_typeEEEZZNS1_27merge_sort_block_merge_implIS3_PlPS5_mZN2at6native12_GLOBAL__N_124unique_dim_cuda_templateIlEESt5tupleIJNSA_6TensorESF_SF_EERKSF_lbbbEUlllE_EE10hipError_tT0_T1_T2_jT3_P12ihipStream_tbPNSt15iterator_traitsISL_E10value_typeEPNSR_ISM_E10value_typeEPSN_NS1_7vsmem_tEENKUlT_SL_SM_SN_E_clIS8_S8_S9_S9_EESK_S10_SL_SM_SN_EUlS10_E0_NS1_11comp_targetILNS1_3genE3ELNS1_11target_archE908ELNS1_3gpuE7ELNS1_3repE0EEENS1_38merge_mergepath_config_static_selectorELNS0_4arch9wavefront6targetE0EEEvSM_.uses_vcc, 0
	.set _ZN7rocprim17ROCPRIM_400000_NS6detail17trampoline_kernelINS0_14default_configENS1_38merge_sort_block_merge_config_selectorIlNS0_10empty_typeEEEZZNS1_27merge_sort_block_merge_implIS3_PlPS5_mZN2at6native12_GLOBAL__N_124unique_dim_cuda_templateIlEESt5tupleIJNSA_6TensorESF_SF_EERKSF_lbbbEUlllE_EE10hipError_tT0_T1_T2_jT3_P12ihipStream_tbPNSt15iterator_traitsISL_E10value_typeEPNSR_ISM_E10value_typeEPSN_NS1_7vsmem_tEENKUlT_SL_SM_SN_E_clIS8_S8_S9_S9_EESK_S10_SL_SM_SN_EUlS10_E0_NS1_11comp_targetILNS1_3genE3ELNS1_11target_archE908ELNS1_3gpuE7ELNS1_3repE0EEENS1_38merge_mergepath_config_static_selectorELNS0_4arch9wavefront6targetE0EEEvSM_.uses_flat_scratch, 0
	.set _ZN7rocprim17ROCPRIM_400000_NS6detail17trampoline_kernelINS0_14default_configENS1_38merge_sort_block_merge_config_selectorIlNS0_10empty_typeEEEZZNS1_27merge_sort_block_merge_implIS3_PlPS5_mZN2at6native12_GLOBAL__N_124unique_dim_cuda_templateIlEESt5tupleIJNSA_6TensorESF_SF_EERKSF_lbbbEUlllE_EE10hipError_tT0_T1_T2_jT3_P12ihipStream_tbPNSt15iterator_traitsISL_E10value_typeEPNSR_ISM_E10value_typeEPSN_NS1_7vsmem_tEENKUlT_SL_SM_SN_E_clIS8_S8_S9_S9_EESK_S10_SL_SM_SN_EUlS10_E0_NS1_11comp_targetILNS1_3genE3ELNS1_11target_archE908ELNS1_3gpuE7ELNS1_3repE0EEENS1_38merge_mergepath_config_static_selectorELNS0_4arch9wavefront6targetE0EEEvSM_.has_dyn_sized_stack, 0
	.set _ZN7rocprim17ROCPRIM_400000_NS6detail17trampoline_kernelINS0_14default_configENS1_38merge_sort_block_merge_config_selectorIlNS0_10empty_typeEEEZZNS1_27merge_sort_block_merge_implIS3_PlPS5_mZN2at6native12_GLOBAL__N_124unique_dim_cuda_templateIlEESt5tupleIJNSA_6TensorESF_SF_EERKSF_lbbbEUlllE_EE10hipError_tT0_T1_T2_jT3_P12ihipStream_tbPNSt15iterator_traitsISL_E10value_typeEPNSR_ISM_E10value_typeEPSN_NS1_7vsmem_tEENKUlT_SL_SM_SN_E_clIS8_S8_S9_S9_EESK_S10_SL_SM_SN_EUlS10_E0_NS1_11comp_targetILNS1_3genE3ELNS1_11target_archE908ELNS1_3gpuE7ELNS1_3repE0EEENS1_38merge_mergepath_config_static_selectorELNS0_4arch9wavefront6targetE0EEEvSM_.has_recursion, 0
	.set _ZN7rocprim17ROCPRIM_400000_NS6detail17trampoline_kernelINS0_14default_configENS1_38merge_sort_block_merge_config_selectorIlNS0_10empty_typeEEEZZNS1_27merge_sort_block_merge_implIS3_PlPS5_mZN2at6native12_GLOBAL__N_124unique_dim_cuda_templateIlEESt5tupleIJNSA_6TensorESF_SF_EERKSF_lbbbEUlllE_EE10hipError_tT0_T1_T2_jT3_P12ihipStream_tbPNSt15iterator_traitsISL_E10value_typeEPNSR_ISM_E10value_typeEPSN_NS1_7vsmem_tEENKUlT_SL_SM_SN_E_clIS8_S8_S9_S9_EESK_S10_SL_SM_SN_EUlS10_E0_NS1_11comp_targetILNS1_3genE3ELNS1_11target_archE908ELNS1_3gpuE7ELNS1_3repE0EEENS1_38merge_mergepath_config_static_selectorELNS0_4arch9wavefront6targetE0EEEvSM_.has_indirect_call, 0
	.section	.AMDGPU.csdata,"",@progbits
; Kernel info:
; codeLenInByte = 0
; TotalNumSgprs: 0
; NumVgprs: 0
; ScratchSize: 0
; MemoryBound: 0
; FloatMode: 240
; IeeeMode: 1
; LDSByteSize: 0 bytes/workgroup (compile time only)
; SGPRBlocks: 0
; VGPRBlocks: 0
; NumSGPRsForWavesPerEU: 1
; NumVGPRsForWavesPerEU: 1
; NamedBarCnt: 0
; Occupancy: 16
; WaveLimiterHint : 0
; COMPUTE_PGM_RSRC2:SCRATCH_EN: 0
; COMPUTE_PGM_RSRC2:USER_SGPR: 2
; COMPUTE_PGM_RSRC2:TRAP_HANDLER: 0
; COMPUTE_PGM_RSRC2:TGID_X_EN: 1
; COMPUTE_PGM_RSRC2:TGID_Y_EN: 0
; COMPUTE_PGM_RSRC2:TGID_Z_EN: 0
; COMPUTE_PGM_RSRC2:TIDIG_COMP_CNT: 0
	.section	.text._ZN7rocprim17ROCPRIM_400000_NS6detail17trampoline_kernelINS0_14default_configENS1_38merge_sort_block_merge_config_selectorIlNS0_10empty_typeEEEZZNS1_27merge_sort_block_merge_implIS3_PlPS5_mZN2at6native12_GLOBAL__N_124unique_dim_cuda_templateIlEESt5tupleIJNSA_6TensorESF_SF_EERKSF_lbbbEUlllE_EE10hipError_tT0_T1_T2_jT3_P12ihipStream_tbPNSt15iterator_traitsISL_E10value_typeEPNSR_ISM_E10value_typeEPSN_NS1_7vsmem_tEENKUlT_SL_SM_SN_E_clIS8_S8_S9_S9_EESK_S10_SL_SM_SN_EUlS10_E0_NS1_11comp_targetILNS1_3genE2ELNS1_11target_archE906ELNS1_3gpuE6ELNS1_3repE0EEENS1_38merge_mergepath_config_static_selectorELNS0_4arch9wavefront6targetE0EEEvSM_,"axG",@progbits,_ZN7rocprim17ROCPRIM_400000_NS6detail17trampoline_kernelINS0_14default_configENS1_38merge_sort_block_merge_config_selectorIlNS0_10empty_typeEEEZZNS1_27merge_sort_block_merge_implIS3_PlPS5_mZN2at6native12_GLOBAL__N_124unique_dim_cuda_templateIlEESt5tupleIJNSA_6TensorESF_SF_EERKSF_lbbbEUlllE_EE10hipError_tT0_T1_T2_jT3_P12ihipStream_tbPNSt15iterator_traitsISL_E10value_typeEPNSR_ISM_E10value_typeEPSN_NS1_7vsmem_tEENKUlT_SL_SM_SN_E_clIS8_S8_S9_S9_EESK_S10_SL_SM_SN_EUlS10_E0_NS1_11comp_targetILNS1_3genE2ELNS1_11target_archE906ELNS1_3gpuE6ELNS1_3repE0EEENS1_38merge_mergepath_config_static_selectorELNS0_4arch9wavefront6targetE0EEEvSM_,comdat
	.globl	_ZN7rocprim17ROCPRIM_400000_NS6detail17trampoline_kernelINS0_14default_configENS1_38merge_sort_block_merge_config_selectorIlNS0_10empty_typeEEEZZNS1_27merge_sort_block_merge_implIS3_PlPS5_mZN2at6native12_GLOBAL__N_124unique_dim_cuda_templateIlEESt5tupleIJNSA_6TensorESF_SF_EERKSF_lbbbEUlllE_EE10hipError_tT0_T1_T2_jT3_P12ihipStream_tbPNSt15iterator_traitsISL_E10value_typeEPNSR_ISM_E10value_typeEPSN_NS1_7vsmem_tEENKUlT_SL_SM_SN_E_clIS8_S8_S9_S9_EESK_S10_SL_SM_SN_EUlS10_E0_NS1_11comp_targetILNS1_3genE2ELNS1_11target_archE906ELNS1_3gpuE6ELNS1_3repE0EEENS1_38merge_mergepath_config_static_selectorELNS0_4arch9wavefront6targetE0EEEvSM_ ; -- Begin function _ZN7rocprim17ROCPRIM_400000_NS6detail17trampoline_kernelINS0_14default_configENS1_38merge_sort_block_merge_config_selectorIlNS0_10empty_typeEEEZZNS1_27merge_sort_block_merge_implIS3_PlPS5_mZN2at6native12_GLOBAL__N_124unique_dim_cuda_templateIlEESt5tupleIJNSA_6TensorESF_SF_EERKSF_lbbbEUlllE_EE10hipError_tT0_T1_T2_jT3_P12ihipStream_tbPNSt15iterator_traitsISL_E10value_typeEPNSR_ISM_E10value_typeEPSN_NS1_7vsmem_tEENKUlT_SL_SM_SN_E_clIS8_S8_S9_S9_EESK_S10_SL_SM_SN_EUlS10_E0_NS1_11comp_targetILNS1_3genE2ELNS1_11target_archE906ELNS1_3gpuE6ELNS1_3repE0EEENS1_38merge_mergepath_config_static_selectorELNS0_4arch9wavefront6targetE0EEEvSM_
	.p2align	8
	.type	_ZN7rocprim17ROCPRIM_400000_NS6detail17trampoline_kernelINS0_14default_configENS1_38merge_sort_block_merge_config_selectorIlNS0_10empty_typeEEEZZNS1_27merge_sort_block_merge_implIS3_PlPS5_mZN2at6native12_GLOBAL__N_124unique_dim_cuda_templateIlEESt5tupleIJNSA_6TensorESF_SF_EERKSF_lbbbEUlllE_EE10hipError_tT0_T1_T2_jT3_P12ihipStream_tbPNSt15iterator_traitsISL_E10value_typeEPNSR_ISM_E10value_typeEPSN_NS1_7vsmem_tEENKUlT_SL_SM_SN_E_clIS8_S8_S9_S9_EESK_S10_SL_SM_SN_EUlS10_E0_NS1_11comp_targetILNS1_3genE2ELNS1_11target_archE906ELNS1_3gpuE6ELNS1_3repE0EEENS1_38merge_mergepath_config_static_selectorELNS0_4arch9wavefront6targetE0EEEvSM_,@function
_ZN7rocprim17ROCPRIM_400000_NS6detail17trampoline_kernelINS0_14default_configENS1_38merge_sort_block_merge_config_selectorIlNS0_10empty_typeEEEZZNS1_27merge_sort_block_merge_implIS3_PlPS5_mZN2at6native12_GLOBAL__N_124unique_dim_cuda_templateIlEESt5tupleIJNSA_6TensorESF_SF_EERKSF_lbbbEUlllE_EE10hipError_tT0_T1_T2_jT3_P12ihipStream_tbPNSt15iterator_traitsISL_E10value_typeEPNSR_ISM_E10value_typeEPSN_NS1_7vsmem_tEENKUlT_SL_SM_SN_E_clIS8_S8_S9_S9_EESK_S10_SL_SM_SN_EUlS10_E0_NS1_11comp_targetILNS1_3genE2ELNS1_11target_archE906ELNS1_3gpuE6ELNS1_3repE0EEENS1_38merge_mergepath_config_static_selectorELNS0_4arch9wavefront6targetE0EEEvSM_: ; @_ZN7rocprim17ROCPRIM_400000_NS6detail17trampoline_kernelINS0_14default_configENS1_38merge_sort_block_merge_config_selectorIlNS0_10empty_typeEEEZZNS1_27merge_sort_block_merge_implIS3_PlPS5_mZN2at6native12_GLOBAL__N_124unique_dim_cuda_templateIlEESt5tupleIJNSA_6TensorESF_SF_EERKSF_lbbbEUlllE_EE10hipError_tT0_T1_T2_jT3_P12ihipStream_tbPNSt15iterator_traitsISL_E10value_typeEPNSR_ISM_E10value_typeEPSN_NS1_7vsmem_tEENKUlT_SL_SM_SN_E_clIS8_S8_S9_S9_EESK_S10_SL_SM_SN_EUlS10_E0_NS1_11comp_targetILNS1_3genE2ELNS1_11target_archE906ELNS1_3gpuE6ELNS1_3repE0EEENS1_38merge_mergepath_config_static_selectorELNS0_4arch9wavefront6targetE0EEEvSM_
; %bb.0:
	.section	.rodata,"a",@progbits
	.p2align	6, 0x0
	.amdhsa_kernel _ZN7rocprim17ROCPRIM_400000_NS6detail17trampoline_kernelINS0_14default_configENS1_38merge_sort_block_merge_config_selectorIlNS0_10empty_typeEEEZZNS1_27merge_sort_block_merge_implIS3_PlPS5_mZN2at6native12_GLOBAL__N_124unique_dim_cuda_templateIlEESt5tupleIJNSA_6TensorESF_SF_EERKSF_lbbbEUlllE_EE10hipError_tT0_T1_T2_jT3_P12ihipStream_tbPNSt15iterator_traitsISL_E10value_typeEPNSR_ISM_E10value_typeEPSN_NS1_7vsmem_tEENKUlT_SL_SM_SN_E_clIS8_S8_S9_S9_EESK_S10_SL_SM_SN_EUlS10_E0_NS1_11comp_targetILNS1_3genE2ELNS1_11target_archE906ELNS1_3gpuE6ELNS1_3repE0EEENS1_38merge_mergepath_config_static_selectorELNS0_4arch9wavefront6targetE0EEEvSM_
		.amdhsa_group_segment_fixed_size 0
		.amdhsa_private_segment_fixed_size 0
		.amdhsa_kernarg_size 88
		.amdhsa_user_sgpr_count 2
		.amdhsa_user_sgpr_dispatch_ptr 0
		.amdhsa_user_sgpr_queue_ptr 0
		.amdhsa_user_sgpr_kernarg_segment_ptr 1
		.amdhsa_user_sgpr_dispatch_id 0
		.amdhsa_user_sgpr_kernarg_preload_length 0
		.amdhsa_user_sgpr_kernarg_preload_offset 0
		.amdhsa_user_sgpr_private_segment_size 0
		.amdhsa_wavefront_size32 1
		.amdhsa_uses_dynamic_stack 0
		.amdhsa_enable_private_segment 0
		.amdhsa_system_sgpr_workgroup_id_x 1
		.amdhsa_system_sgpr_workgroup_id_y 0
		.amdhsa_system_sgpr_workgroup_id_z 0
		.amdhsa_system_sgpr_workgroup_info 0
		.amdhsa_system_vgpr_workitem_id 0
		.amdhsa_next_free_vgpr 1
		.amdhsa_next_free_sgpr 1
		.amdhsa_named_barrier_count 0
		.amdhsa_reserve_vcc 0
		.amdhsa_float_round_mode_32 0
		.amdhsa_float_round_mode_16_64 0
		.amdhsa_float_denorm_mode_32 3
		.amdhsa_float_denorm_mode_16_64 3
		.amdhsa_fp16_overflow 0
		.amdhsa_memory_ordered 1
		.amdhsa_forward_progress 1
		.amdhsa_inst_pref_size 0
		.amdhsa_round_robin_scheduling 0
		.amdhsa_exception_fp_ieee_invalid_op 0
		.amdhsa_exception_fp_denorm_src 0
		.amdhsa_exception_fp_ieee_div_zero 0
		.amdhsa_exception_fp_ieee_overflow 0
		.amdhsa_exception_fp_ieee_underflow 0
		.amdhsa_exception_fp_ieee_inexact 0
		.amdhsa_exception_int_div_zero 0
	.end_amdhsa_kernel
	.section	.text._ZN7rocprim17ROCPRIM_400000_NS6detail17trampoline_kernelINS0_14default_configENS1_38merge_sort_block_merge_config_selectorIlNS0_10empty_typeEEEZZNS1_27merge_sort_block_merge_implIS3_PlPS5_mZN2at6native12_GLOBAL__N_124unique_dim_cuda_templateIlEESt5tupleIJNSA_6TensorESF_SF_EERKSF_lbbbEUlllE_EE10hipError_tT0_T1_T2_jT3_P12ihipStream_tbPNSt15iterator_traitsISL_E10value_typeEPNSR_ISM_E10value_typeEPSN_NS1_7vsmem_tEENKUlT_SL_SM_SN_E_clIS8_S8_S9_S9_EESK_S10_SL_SM_SN_EUlS10_E0_NS1_11comp_targetILNS1_3genE2ELNS1_11target_archE906ELNS1_3gpuE6ELNS1_3repE0EEENS1_38merge_mergepath_config_static_selectorELNS0_4arch9wavefront6targetE0EEEvSM_,"axG",@progbits,_ZN7rocprim17ROCPRIM_400000_NS6detail17trampoline_kernelINS0_14default_configENS1_38merge_sort_block_merge_config_selectorIlNS0_10empty_typeEEEZZNS1_27merge_sort_block_merge_implIS3_PlPS5_mZN2at6native12_GLOBAL__N_124unique_dim_cuda_templateIlEESt5tupleIJNSA_6TensorESF_SF_EERKSF_lbbbEUlllE_EE10hipError_tT0_T1_T2_jT3_P12ihipStream_tbPNSt15iterator_traitsISL_E10value_typeEPNSR_ISM_E10value_typeEPSN_NS1_7vsmem_tEENKUlT_SL_SM_SN_E_clIS8_S8_S9_S9_EESK_S10_SL_SM_SN_EUlS10_E0_NS1_11comp_targetILNS1_3genE2ELNS1_11target_archE906ELNS1_3gpuE6ELNS1_3repE0EEENS1_38merge_mergepath_config_static_selectorELNS0_4arch9wavefront6targetE0EEEvSM_,comdat
.Lfunc_end527:
	.size	_ZN7rocprim17ROCPRIM_400000_NS6detail17trampoline_kernelINS0_14default_configENS1_38merge_sort_block_merge_config_selectorIlNS0_10empty_typeEEEZZNS1_27merge_sort_block_merge_implIS3_PlPS5_mZN2at6native12_GLOBAL__N_124unique_dim_cuda_templateIlEESt5tupleIJNSA_6TensorESF_SF_EERKSF_lbbbEUlllE_EE10hipError_tT0_T1_T2_jT3_P12ihipStream_tbPNSt15iterator_traitsISL_E10value_typeEPNSR_ISM_E10value_typeEPSN_NS1_7vsmem_tEENKUlT_SL_SM_SN_E_clIS8_S8_S9_S9_EESK_S10_SL_SM_SN_EUlS10_E0_NS1_11comp_targetILNS1_3genE2ELNS1_11target_archE906ELNS1_3gpuE6ELNS1_3repE0EEENS1_38merge_mergepath_config_static_selectorELNS0_4arch9wavefront6targetE0EEEvSM_, .Lfunc_end527-_ZN7rocprim17ROCPRIM_400000_NS6detail17trampoline_kernelINS0_14default_configENS1_38merge_sort_block_merge_config_selectorIlNS0_10empty_typeEEEZZNS1_27merge_sort_block_merge_implIS3_PlPS5_mZN2at6native12_GLOBAL__N_124unique_dim_cuda_templateIlEESt5tupleIJNSA_6TensorESF_SF_EERKSF_lbbbEUlllE_EE10hipError_tT0_T1_T2_jT3_P12ihipStream_tbPNSt15iterator_traitsISL_E10value_typeEPNSR_ISM_E10value_typeEPSN_NS1_7vsmem_tEENKUlT_SL_SM_SN_E_clIS8_S8_S9_S9_EESK_S10_SL_SM_SN_EUlS10_E0_NS1_11comp_targetILNS1_3genE2ELNS1_11target_archE906ELNS1_3gpuE6ELNS1_3repE0EEENS1_38merge_mergepath_config_static_selectorELNS0_4arch9wavefront6targetE0EEEvSM_
                                        ; -- End function
	.set _ZN7rocprim17ROCPRIM_400000_NS6detail17trampoline_kernelINS0_14default_configENS1_38merge_sort_block_merge_config_selectorIlNS0_10empty_typeEEEZZNS1_27merge_sort_block_merge_implIS3_PlPS5_mZN2at6native12_GLOBAL__N_124unique_dim_cuda_templateIlEESt5tupleIJNSA_6TensorESF_SF_EERKSF_lbbbEUlllE_EE10hipError_tT0_T1_T2_jT3_P12ihipStream_tbPNSt15iterator_traitsISL_E10value_typeEPNSR_ISM_E10value_typeEPSN_NS1_7vsmem_tEENKUlT_SL_SM_SN_E_clIS8_S8_S9_S9_EESK_S10_SL_SM_SN_EUlS10_E0_NS1_11comp_targetILNS1_3genE2ELNS1_11target_archE906ELNS1_3gpuE6ELNS1_3repE0EEENS1_38merge_mergepath_config_static_selectorELNS0_4arch9wavefront6targetE0EEEvSM_.num_vgpr, 0
	.set _ZN7rocprim17ROCPRIM_400000_NS6detail17trampoline_kernelINS0_14default_configENS1_38merge_sort_block_merge_config_selectorIlNS0_10empty_typeEEEZZNS1_27merge_sort_block_merge_implIS3_PlPS5_mZN2at6native12_GLOBAL__N_124unique_dim_cuda_templateIlEESt5tupleIJNSA_6TensorESF_SF_EERKSF_lbbbEUlllE_EE10hipError_tT0_T1_T2_jT3_P12ihipStream_tbPNSt15iterator_traitsISL_E10value_typeEPNSR_ISM_E10value_typeEPSN_NS1_7vsmem_tEENKUlT_SL_SM_SN_E_clIS8_S8_S9_S9_EESK_S10_SL_SM_SN_EUlS10_E0_NS1_11comp_targetILNS1_3genE2ELNS1_11target_archE906ELNS1_3gpuE6ELNS1_3repE0EEENS1_38merge_mergepath_config_static_selectorELNS0_4arch9wavefront6targetE0EEEvSM_.num_agpr, 0
	.set _ZN7rocprim17ROCPRIM_400000_NS6detail17trampoline_kernelINS0_14default_configENS1_38merge_sort_block_merge_config_selectorIlNS0_10empty_typeEEEZZNS1_27merge_sort_block_merge_implIS3_PlPS5_mZN2at6native12_GLOBAL__N_124unique_dim_cuda_templateIlEESt5tupleIJNSA_6TensorESF_SF_EERKSF_lbbbEUlllE_EE10hipError_tT0_T1_T2_jT3_P12ihipStream_tbPNSt15iterator_traitsISL_E10value_typeEPNSR_ISM_E10value_typeEPSN_NS1_7vsmem_tEENKUlT_SL_SM_SN_E_clIS8_S8_S9_S9_EESK_S10_SL_SM_SN_EUlS10_E0_NS1_11comp_targetILNS1_3genE2ELNS1_11target_archE906ELNS1_3gpuE6ELNS1_3repE0EEENS1_38merge_mergepath_config_static_selectorELNS0_4arch9wavefront6targetE0EEEvSM_.numbered_sgpr, 0
	.set _ZN7rocprim17ROCPRIM_400000_NS6detail17trampoline_kernelINS0_14default_configENS1_38merge_sort_block_merge_config_selectorIlNS0_10empty_typeEEEZZNS1_27merge_sort_block_merge_implIS3_PlPS5_mZN2at6native12_GLOBAL__N_124unique_dim_cuda_templateIlEESt5tupleIJNSA_6TensorESF_SF_EERKSF_lbbbEUlllE_EE10hipError_tT0_T1_T2_jT3_P12ihipStream_tbPNSt15iterator_traitsISL_E10value_typeEPNSR_ISM_E10value_typeEPSN_NS1_7vsmem_tEENKUlT_SL_SM_SN_E_clIS8_S8_S9_S9_EESK_S10_SL_SM_SN_EUlS10_E0_NS1_11comp_targetILNS1_3genE2ELNS1_11target_archE906ELNS1_3gpuE6ELNS1_3repE0EEENS1_38merge_mergepath_config_static_selectorELNS0_4arch9wavefront6targetE0EEEvSM_.num_named_barrier, 0
	.set _ZN7rocprim17ROCPRIM_400000_NS6detail17trampoline_kernelINS0_14default_configENS1_38merge_sort_block_merge_config_selectorIlNS0_10empty_typeEEEZZNS1_27merge_sort_block_merge_implIS3_PlPS5_mZN2at6native12_GLOBAL__N_124unique_dim_cuda_templateIlEESt5tupleIJNSA_6TensorESF_SF_EERKSF_lbbbEUlllE_EE10hipError_tT0_T1_T2_jT3_P12ihipStream_tbPNSt15iterator_traitsISL_E10value_typeEPNSR_ISM_E10value_typeEPSN_NS1_7vsmem_tEENKUlT_SL_SM_SN_E_clIS8_S8_S9_S9_EESK_S10_SL_SM_SN_EUlS10_E0_NS1_11comp_targetILNS1_3genE2ELNS1_11target_archE906ELNS1_3gpuE6ELNS1_3repE0EEENS1_38merge_mergepath_config_static_selectorELNS0_4arch9wavefront6targetE0EEEvSM_.private_seg_size, 0
	.set _ZN7rocprim17ROCPRIM_400000_NS6detail17trampoline_kernelINS0_14default_configENS1_38merge_sort_block_merge_config_selectorIlNS0_10empty_typeEEEZZNS1_27merge_sort_block_merge_implIS3_PlPS5_mZN2at6native12_GLOBAL__N_124unique_dim_cuda_templateIlEESt5tupleIJNSA_6TensorESF_SF_EERKSF_lbbbEUlllE_EE10hipError_tT0_T1_T2_jT3_P12ihipStream_tbPNSt15iterator_traitsISL_E10value_typeEPNSR_ISM_E10value_typeEPSN_NS1_7vsmem_tEENKUlT_SL_SM_SN_E_clIS8_S8_S9_S9_EESK_S10_SL_SM_SN_EUlS10_E0_NS1_11comp_targetILNS1_3genE2ELNS1_11target_archE906ELNS1_3gpuE6ELNS1_3repE0EEENS1_38merge_mergepath_config_static_selectorELNS0_4arch9wavefront6targetE0EEEvSM_.uses_vcc, 0
	.set _ZN7rocprim17ROCPRIM_400000_NS6detail17trampoline_kernelINS0_14default_configENS1_38merge_sort_block_merge_config_selectorIlNS0_10empty_typeEEEZZNS1_27merge_sort_block_merge_implIS3_PlPS5_mZN2at6native12_GLOBAL__N_124unique_dim_cuda_templateIlEESt5tupleIJNSA_6TensorESF_SF_EERKSF_lbbbEUlllE_EE10hipError_tT0_T1_T2_jT3_P12ihipStream_tbPNSt15iterator_traitsISL_E10value_typeEPNSR_ISM_E10value_typeEPSN_NS1_7vsmem_tEENKUlT_SL_SM_SN_E_clIS8_S8_S9_S9_EESK_S10_SL_SM_SN_EUlS10_E0_NS1_11comp_targetILNS1_3genE2ELNS1_11target_archE906ELNS1_3gpuE6ELNS1_3repE0EEENS1_38merge_mergepath_config_static_selectorELNS0_4arch9wavefront6targetE0EEEvSM_.uses_flat_scratch, 0
	.set _ZN7rocprim17ROCPRIM_400000_NS6detail17trampoline_kernelINS0_14default_configENS1_38merge_sort_block_merge_config_selectorIlNS0_10empty_typeEEEZZNS1_27merge_sort_block_merge_implIS3_PlPS5_mZN2at6native12_GLOBAL__N_124unique_dim_cuda_templateIlEESt5tupleIJNSA_6TensorESF_SF_EERKSF_lbbbEUlllE_EE10hipError_tT0_T1_T2_jT3_P12ihipStream_tbPNSt15iterator_traitsISL_E10value_typeEPNSR_ISM_E10value_typeEPSN_NS1_7vsmem_tEENKUlT_SL_SM_SN_E_clIS8_S8_S9_S9_EESK_S10_SL_SM_SN_EUlS10_E0_NS1_11comp_targetILNS1_3genE2ELNS1_11target_archE906ELNS1_3gpuE6ELNS1_3repE0EEENS1_38merge_mergepath_config_static_selectorELNS0_4arch9wavefront6targetE0EEEvSM_.has_dyn_sized_stack, 0
	.set _ZN7rocprim17ROCPRIM_400000_NS6detail17trampoline_kernelINS0_14default_configENS1_38merge_sort_block_merge_config_selectorIlNS0_10empty_typeEEEZZNS1_27merge_sort_block_merge_implIS3_PlPS5_mZN2at6native12_GLOBAL__N_124unique_dim_cuda_templateIlEESt5tupleIJNSA_6TensorESF_SF_EERKSF_lbbbEUlllE_EE10hipError_tT0_T1_T2_jT3_P12ihipStream_tbPNSt15iterator_traitsISL_E10value_typeEPNSR_ISM_E10value_typeEPSN_NS1_7vsmem_tEENKUlT_SL_SM_SN_E_clIS8_S8_S9_S9_EESK_S10_SL_SM_SN_EUlS10_E0_NS1_11comp_targetILNS1_3genE2ELNS1_11target_archE906ELNS1_3gpuE6ELNS1_3repE0EEENS1_38merge_mergepath_config_static_selectorELNS0_4arch9wavefront6targetE0EEEvSM_.has_recursion, 0
	.set _ZN7rocprim17ROCPRIM_400000_NS6detail17trampoline_kernelINS0_14default_configENS1_38merge_sort_block_merge_config_selectorIlNS0_10empty_typeEEEZZNS1_27merge_sort_block_merge_implIS3_PlPS5_mZN2at6native12_GLOBAL__N_124unique_dim_cuda_templateIlEESt5tupleIJNSA_6TensorESF_SF_EERKSF_lbbbEUlllE_EE10hipError_tT0_T1_T2_jT3_P12ihipStream_tbPNSt15iterator_traitsISL_E10value_typeEPNSR_ISM_E10value_typeEPSN_NS1_7vsmem_tEENKUlT_SL_SM_SN_E_clIS8_S8_S9_S9_EESK_S10_SL_SM_SN_EUlS10_E0_NS1_11comp_targetILNS1_3genE2ELNS1_11target_archE906ELNS1_3gpuE6ELNS1_3repE0EEENS1_38merge_mergepath_config_static_selectorELNS0_4arch9wavefront6targetE0EEEvSM_.has_indirect_call, 0
	.section	.AMDGPU.csdata,"",@progbits
; Kernel info:
; codeLenInByte = 0
; TotalNumSgprs: 0
; NumVgprs: 0
; ScratchSize: 0
; MemoryBound: 0
; FloatMode: 240
; IeeeMode: 1
; LDSByteSize: 0 bytes/workgroup (compile time only)
; SGPRBlocks: 0
; VGPRBlocks: 0
; NumSGPRsForWavesPerEU: 1
; NumVGPRsForWavesPerEU: 1
; NamedBarCnt: 0
; Occupancy: 16
; WaveLimiterHint : 0
; COMPUTE_PGM_RSRC2:SCRATCH_EN: 0
; COMPUTE_PGM_RSRC2:USER_SGPR: 2
; COMPUTE_PGM_RSRC2:TRAP_HANDLER: 0
; COMPUTE_PGM_RSRC2:TGID_X_EN: 1
; COMPUTE_PGM_RSRC2:TGID_Y_EN: 0
; COMPUTE_PGM_RSRC2:TGID_Z_EN: 0
; COMPUTE_PGM_RSRC2:TIDIG_COMP_CNT: 0
	.section	.text._ZN7rocprim17ROCPRIM_400000_NS6detail17trampoline_kernelINS0_14default_configENS1_38merge_sort_block_merge_config_selectorIlNS0_10empty_typeEEEZZNS1_27merge_sort_block_merge_implIS3_PlPS5_mZN2at6native12_GLOBAL__N_124unique_dim_cuda_templateIlEESt5tupleIJNSA_6TensorESF_SF_EERKSF_lbbbEUlllE_EE10hipError_tT0_T1_T2_jT3_P12ihipStream_tbPNSt15iterator_traitsISL_E10value_typeEPNSR_ISM_E10value_typeEPSN_NS1_7vsmem_tEENKUlT_SL_SM_SN_E_clIS8_S8_S9_S9_EESK_S10_SL_SM_SN_EUlS10_E0_NS1_11comp_targetILNS1_3genE9ELNS1_11target_archE1100ELNS1_3gpuE3ELNS1_3repE0EEENS1_38merge_mergepath_config_static_selectorELNS0_4arch9wavefront6targetE0EEEvSM_,"axG",@progbits,_ZN7rocprim17ROCPRIM_400000_NS6detail17trampoline_kernelINS0_14default_configENS1_38merge_sort_block_merge_config_selectorIlNS0_10empty_typeEEEZZNS1_27merge_sort_block_merge_implIS3_PlPS5_mZN2at6native12_GLOBAL__N_124unique_dim_cuda_templateIlEESt5tupleIJNSA_6TensorESF_SF_EERKSF_lbbbEUlllE_EE10hipError_tT0_T1_T2_jT3_P12ihipStream_tbPNSt15iterator_traitsISL_E10value_typeEPNSR_ISM_E10value_typeEPSN_NS1_7vsmem_tEENKUlT_SL_SM_SN_E_clIS8_S8_S9_S9_EESK_S10_SL_SM_SN_EUlS10_E0_NS1_11comp_targetILNS1_3genE9ELNS1_11target_archE1100ELNS1_3gpuE3ELNS1_3repE0EEENS1_38merge_mergepath_config_static_selectorELNS0_4arch9wavefront6targetE0EEEvSM_,comdat
	.globl	_ZN7rocprim17ROCPRIM_400000_NS6detail17trampoline_kernelINS0_14default_configENS1_38merge_sort_block_merge_config_selectorIlNS0_10empty_typeEEEZZNS1_27merge_sort_block_merge_implIS3_PlPS5_mZN2at6native12_GLOBAL__N_124unique_dim_cuda_templateIlEESt5tupleIJNSA_6TensorESF_SF_EERKSF_lbbbEUlllE_EE10hipError_tT0_T1_T2_jT3_P12ihipStream_tbPNSt15iterator_traitsISL_E10value_typeEPNSR_ISM_E10value_typeEPSN_NS1_7vsmem_tEENKUlT_SL_SM_SN_E_clIS8_S8_S9_S9_EESK_S10_SL_SM_SN_EUlS10_E0_NS1_11comp_targetILNS1_3genE9ELNS1_11target_archE1100ELNS1_3gpuE3ELNS1_3repE0EEENS1_38merge_mergepath_config_static_selectorELNS0_4arch9wavefront6targetE0EEEvSM_ ; -- Begin function _ZN7rocprim17ROCPRIM_400000_NS6detail17trampoline_kernelINS0_14default_configENS1_38merge_sort_block_merge_config_selectorIlNS0_10empty_typeEEEZZNS1_27merge_sort_block_merge_implIS3_PlPS5_mZN2at6native12_GLOBAL__N_124unique_dim_cuda_templateIlEESt5tupleIJNSA_6TensorESF_SF_EERKSF_lbbbEUlllE_EE10hipError_tT0_T1_T2_jT3_P12ihipStream_tbPNSt15iterator_traitsISL_E10value_typeEPNSR_ISM_E10value_typeEPSN_NS1_7vsmem_tEENKUlT_SL_SM_SN_E_clIS8_S8_S9_S9_EESK_S10_SL_SM_SN_EUlS10_E0_NS1_11comp_targetILNS1_3genE9ELNS1_11target_archE1100ELNS1_3gpuE3ELNS1_3repE0EEENS1_38merge_mergepath_config_static_selectorELNS0_4arch9wavefront6targetE0EEEvSM_
	.p2align	8
	.type	_ZN7rocprim17ROCPRIM_400000_NS6detail17trampoline_kernelINS0_14default_configENS1_38merge_sort_block_merge_config_selectorIlNS0_10empty_typeEEEZZNS1_27merge_sort_block_merge_implIS3_PlPS5_mZN2at6native12_GLOBAL__N_124unique_dim_cuda_templateIlEESt5tupleIJNSA_6TensorESF_SF_EERKSF_lbbbEUlllE_EE10hipError_tT0_T1_T2_jT3_P12ihipStream_tbPNSt15iterator_traitsISL_E10value_typeEPNSR_ISM_E10value_typeEPSN_NS1_7vsmem_tEENKUlT_SL_SM_SN_E_clIS8_S8_S9_S9_EESK_S10_SL_SM_SN_EUlS10_E0_NS1_11comp_targetILNS1_3genE9ELNS1_11target_archE1100ELNS1_3gpuE3ELNS1_3repE0EEENS1_38merge_mergepath_config_static_selectorELNS0_4arch9wavefront6targetE0EEEvSM_,@function
_ZN7rocprim17ROCPRIM_400000_NS6detail17trampoline_kernelINS0_14default_configENS1_38merge_sort_block_merge_config_selectorIlNS0_10empty_typeEEEZZNS1_27merge_sort_block_merge_implIS3_PlPS5_mZN2at6native12_GLOBAL__N_124unique_dim_cuda_templateIlEESt5tupleIJNSA_6TensorESF_SF_EERKSF_lbbbEUlllE_EE10hipError_tT0_T1_T2_jT3_P12ihipStream_tbPNSt15iterator_traitsISL_E10value_typeEPNSR_ISM_E10value_typeEPSN_NS1_7vsmem_tEENKUlT_SL_SM_SN_E_clIS8_S8_S9_S9_EESK_S10_SL_SM_SN_EUlS10_E0_NS1_11comp_targetILNS1_3genE9ELNS1_11target_archE1100ELNS1_3gpuE3ELNS1_3repE0EEENS1_38merge_mergepath_config_static_selectorELNS0_4arch9wavefront6targetE0EEEvSM_: ; @_ZN7rocprim17ROCPRIM_400000_NS6detail17trampoline_kernelINS0_14default_configENS1_38merge_sort_block_merge_config_selectorIlNS0_10empty_typeEEEZZNS1_27merge_sort_block_merge_implIS3_PlPS5_mZN2at6native12_GLOBAL__N_124unique_dim_cuda_templateIlEESt5tupleIJNSA_6TensorESF_SF_EERKSF_lbbbEUlllE_EE10hipError_tT0_T1_T2_jT3_P12ihipStream_tbPNSt15iterator_traitsISL_E10value_typeEPNSR_ISM_E10value_typeEPSN_NS1_7vsmem_tEENKUlT_SL_SM_SN_E_clIS8_S8_S9_S9_EESK_S10_SL_SM_SN_EUlS10_E0_NS1_11comp_targetILNS1_3genE9ELNS1_11target_archE1100ELNS1_3gpuE3ELNS1_3repE0EEENS1_38merge_mergepath_config_static_selectorELNS0_4arch9wavefront6targetE0EEEvSM_
; %bb.0:
	.section	.rodata,"a",@progbits
	.p2align	6, 0x0
	.amdhsa_kernel _ZN7rocprim17ROCPRIM_400000_NS6detail17trampoline_kernelINS0_14default_configENS1_38merge_sort_block_merge_config_selectorIlNS0_10empty_typeEEEZZNS1_27merge_sort_block_merge_implIS3_PlPS5_mZN2at6native12_GLOBAL__N_124unique_dim_cuda_templateIlEESt5tupleIJNSA_6TensorESF_SF_EERKSF_lbbbEUlllE_EE10hipError_tT0_T1_T2_jT3_P12ihipStream_tbPNSt15iterator_traitsISL_E10value_typeEPNSR_ISM_E10value_typeEPSN_NS1_7vsmem_tEENKUlT_SL_SM_SN_E_clIS8_S8_S9_S9_EESK_S10_SL_SM_SN_EUlS10_E0_NS1_11comp_targetILNS1_3genE9ELNS1_11target_archE1100ELNS1_3gpuE3ELNS1_3repE0EEENS1_38merge_mergepath_config_static_selectorELNS0_4arch9wavefront6targetE0EEEvSM_
		.amdhsa_group_segment_fixed_size 0
		.amdhsa_private_segment_fixed_size 0
		.amdhsa_kernarg_size 88
		.amdhsa_user_sgpr_count 2
		.amdhsa_user_sgpr_dispatch_ptr 0
		.amdhsa_user_sgpr_queue_ptr 0
		.amdhsa_user_sgpr_kernarg_segment_ptr 1
		.amdhsa_user_sgpr_dispatch_id 0
		.amdhsa_user_sgpr_kernarg_preload_length 0
		.amdhsa_user_sgpr_kernarg_preload_offset 0
		.amdhsa_user_sgpr_private_segment_size 0
		.amdhsa_wavefront_size32 1
		.amdhsa_uses_dynamic_stack 0
		.amdhsa_enable_private_segment 0
		.amdhsa_system_sgpr_workgroup_id_x 1
		.amdhsa_system_sgpr_workgroup_id_y 0
		.amdhsa_system_sgpr_workgroup_id_z 0
		.amdhsa_system_sgpr_workgroup_info 0
		.amdhsa_system_vgpr_workitem_id 0
		.amdhsa_next_free_vgpr 1
		.amdhsa_next_free_sgpr 1
		.amdhsa_named_barrier_count 0
		.amdhsa_reserve_vcc 0
		.amdhsa_float_round_mode_32 0
		.amdhsa_float_round_mode_16_64 0
		.amdhsa_float_denorm_mode_32 3
		.amdhsa_float_denorm_mode_16_64 3
		.amdhsa_fp16_overflow 0
		.amdhsa_memory_ordered 1
		.amdhsa_forward_progress 1
		.amdhsa_inst_pref_size 0
		.amdhsa_round_robin_scheduling 0
		.amdhsa_exception_fp_ieee_invalid_op 0
		.amdhsa_exception_fp_denorm_src 0
		.amdhsa_exception_fp_ieee_div_zero 0
		.amdhsa_exception_fp_ieee_overflow 0
		.amdhsa_exception_fp_ieee_underflow 0
		.amdhsa_exception_fp_ieee_inexact 0
		.amdhsa_exception_int_div_zero 0
	.end_amdhsa_kernel
	.section	.text._ZN7rocprim17ROCPRIM_400000_NS6detail17trampoline_kernelINS0_14default_configENS1_38merge_sort_block_merge_config_selectorIlNS0_10empty_typeEEEZZNS1_27merge_sort_block_merge_implIS3_PlPS5_mZN2at6native12_GLOBAL__N_124unique_dim_cuda_templateIlEESt5tupleIJNSA_6TensorESF_SF_EERKSF_lbbbEUlllE_EE10hipError_tT0_T1_T2_jT3_P12ihipStream_tbPNSt15iterator_traitsISL_E10value_typeEPNSR_ISM_E10value_typeEPSN_NS1_7vsmem_tEENKUlT_SL_SM_SN_E_clIS8_S8_S9_S9_EESK_S10_SL_SM_SN_EUlS10_E0_NS1_11comp_targetILNS1_3genE9ELNS1_11target_archE1100ELNS1_3gpuE3ELNS1_3repE0EEENS1_38merge_mergepath_config_static_selectorELNS0_4arch9wavefront6targetE0EEEvSM_,"axG",@progbits,_ZN7rocprim17ROCPRIM_400000_NS6detail17trampoline_kernelINS0_14default_configENS1_38merge_sort_block_merge_config_selectorIlNS0_10empty_typeEEEZZNS1_27merge_sort_block_merge_implIS3_PlPS5_mZN2at6native12_GLOBAL__N_124unique_dim_cuda_templateIlEESt5tupleIJNSA_6TensorESF_SF_EERKSF_lbbbEUlllE_EE10hipError_tT0_T1_T2_jT3_P12ihipStream_tbPNSt15iterator_traitsISL_E10value_typeEPNSR_ISM_E10value_typeEPSN_NS1_7vsmem_tEENKUlT_SL_SM_SN_E_clIS8_S8_S9_S9_EESK_S10_SL_SM_SN_EUlS10_E0_NS1_11comp_targetILNS1_3genE9ELNS1_11target_archE1100ELNS1_3gpuE3ELNS1_3repE0EEENS1_38merge_mergepath_config_static_selectorELNS0_4arch9wavefront6targetE0EEEvSM_,comdat
.Lfunc_end528:
	.size	_ZN7rocprim17ROCPRIM_400000_NS6detail17trampoline_kernelINS0_14default_configENS1_38merge_sort_block_merge_config_selectorIlNS0_10empty_typeEEEZZNS1_27merge_sort_block_merge_implIS3_PlPS5_mZN2at6native12_GLOBAL__N_124unique_dim_cuda_templateIlEESt5tupleIJNSA_6TensorESF_SF_EERKSF_lbbbEUlllE_EE10hipError_tT0_T1_T2_jT3_P12ihipStream_tbPNSt15iterator_traitsISL_E10value_typeEPNSR_ISM_E10value_typeEPSN_NS1_7vsmem_tEENKUlT_SL_SM_SN_E_clIS8_S8_S9_S9_EESK_S10_SL_SM_SN_EUlS10_E0_NS1_11comp_targetILNS1_3genE9ELNS1_11target_archE1100ELNS1_3gpuE3ELNS1_3repE0EEENS1_38merge_mergepath_config_static_selectorELNS0_4arch9wavefront6targetE0EEEvSM_, .Lfunc_end528-_ZN7rocprim17ROCPRIM_400000_NS6detail17trampoline_kernelINS0_14default_configENS1_38merge_sort_block_merge_config_selectorIlNS0_10empty_typeEEEZZNS1_27merge_sort_block_merge_implIS3_PlPS5_mZN2at6native12_GLOBAL__N_124unique_dim_cuda_templateIlEESt5tupleIJNSA_6TensorESF_SF_EERKSF_lbbbEUlllE_EE10hipError_tT0_T1_T2_jT3_P12ihipStream_tbPNSt15iterator_traitsISL_E10value_typeEPNSR_ISM_E10value_typeEPSN_NS1_7vsmem_tEENKUlT_SL_SM_SN_E_clIS8_S8_S9_S9_EESK_S10_SL_SM_SN_EUlS10_E0_NS1_11comp_targetILNS1_3genE9ELNS1_11target_archE1100ELNS1_3gpuE3ELNS1_3repE0EEENS1_38merge_mergepath_config_static_selectorELNS0_4arch9wavefront6targetE0EEEvSM_
                                        ; -- End function
	.set _ZN7rocprim17ROCPRIM_400000_NS6detail17trampoline_kernelINS0_14default_configENS1_38merge_sort_block_merge_config_selectorIlNS0_10empty_typeEEEZZNS1_27merge_sort_block_merge_implIS3_PlPS5_mZN2at6native12_GLOBAL__N_124unique_dim_cuda_templateIlEESt5tupleIJNSA_6TensorESF_SF_EERKSF_lbbbEUlllE_EE10hipError_tT0_T1_T2_jT3_P12ihipStream_tbPNSt15iterator_traitsISL_E10value_typeEPNSR_ISM_E10value_typeEPSN_NS1_7vsmem_tEENKUlT_SL_SM_SN_E_clIS8_S8_S9_S9_EESK_S10_SL_SM_SN_EUlS10_E0_NS1_11comp_targetILNS1_3genE9ELNS1_11target_archE1100ELNS1_3gpuE3ELNS1_3repE0EEENS1_38merge_mergepath_config_static_selectorELNS0_4arch9wavefront6targetE0EEEvSM_.num_vgpr, 0
	.set _ZN7rocprim17ROCPRIM_400000_NS6detail17trampoline_kernelINS0_14default_configENS1_38merge_sort_block_merge_config_selectorIlNS0_10empty_typeEEEZZNS1_27merge_sort_block_merge_implIS3_PlPS5_mZN2at6native12_GLOBAL__N_124unique_dim_cuda_templateIlEESt5tupleIJNSA_6TensorESF_SF_EERKSF_lbbbEUlllE_EE10hipError_tT0_T1_T2_jT3_P12ihipStream_tbPNSt15iterator_traitsISL_E10value_typeEPNSR_ISM_E10value_typeEPSN_NS1_7vsmem_tEENKUlT_SL_SM_SN_E_clIS8_S8_S9_S9_EESK_S10_SL_SM_SN_EUlS10_E0_NS1_11comp_targetILNS1_3genE9ELNS1_11target_archE1100ELNS1_3gpuE3ELNS1_3repE0EEENS1_38merge_mergepath_config_static_selectorELNS0_4arch9wavefront6targetE0EEEvSM_.num_agpr, 0
	.set _ZN7rocprim17ROCPRIM_400000_NS6detail17trampoline_kernelINS0_14default_configENS1_38merge_sort_block_merge_config_selectorIlNS0_10empty_typeEEEZZNS1_27merge_sort_block_merge_implIS3_PlPS5_mZN2at6native12_GLOBAL__N_124unique_dim_cuda_templateIlEESt5tupleIJNSA_6TensorESF_SF_EERKSF_lbbbEUlllE_EE10hipError_tT0_T1_T2_jT3_P12ihipStream_tbPNSt15iterator_traitsISL_E10value_typeEPNSR_ISM_E10value_typeEPSN_NS1_7vsmem_tEENKUlT_SL_SM_SN_E_clIS8_S8_S9_S9_EESK_S10_SL_SM_SN_EUlS10_E0_NS1_11comp_targetILNS1_3genE9ELNS1_11target_archE1100ELNS1_3gpuE3ELNS1_3repE0EEENS1_38merge_mergepath_config_static_selectorELNS0_4arch9wavefront6targetE0EEEvSM_.numbered_sgpr, 0
	.set _ZN7rocprim17ROCPRIM_400000_NS6detail17trampoline_kernelINS0_14default_configENS1_38merge_sort_block_merge_config_selectorIlNS0_10empty_typeEEEZZNS1_27merge_sort_block_merge_implIS3_PlPS5_mZN2at6native12_GLOBAL__N_124unique_dim_cuda_templateIlEESt5tupleIJNSA_6TensorESF_SF_EERKSF_lbbbEUlllE_EE10hipError_tT0_T1_T2_jT3_P12ihipStream_tbPNSt15iterator_traitsISL_E10value_typeEPNSR_ISM_E10value_typeEPSN_NS1_7vsmem_tEENKUlT_SL_SM_SN_E_clIS8_S8_S9_S9_EESK_S10_SL_SM_SN_EUlS10_E0_NS1_11comp_targetILNS1_3genE9ELNS1_11target_archE1100ELNS1_3gpuE3ELNS1_3repE0EEENS1_38merge_mergepath_config_static_selectorELNS0_4arch9wavefront6targetE0EEEvSM_.num_named_barrier, 0
	.set _ZN7rocprim17ROCPRIM_400000_NS6detail17trampoline_kernelINS0_14default_configENS1_38merge_sort_block_merge_config_selectorIlNS0_10empty_typeEEEZZNS1_27merge_sort_block_merge_implIS3_PlPS5_mZN2at6native12_GLOBAL__N_124unique_dim_cuda_templateIlEESt5tupleIJNSA_6TensorESF_SF_EERKSF_lbbbEUlllE_EE10hipError_tT0_T1_T2_jT3_P12ihipStream_tbPNSt15iterator_traitsISL_E10value_typeEPNSR_ISM_E10value_typeEPSN_NS1_7vsmem_tEENKUlT_SL_SM_SN_E_clIS8_S8_S9_S9_EESK_S10_SL_SM_SN_EUlS10_E0_NS1_11comp_targetILNS1_3genE9ELNS1_11target_archE1100ELNS1_3gpuE3ELNS1_3repE0EEENS1_38merge_mergepath_config_static_selectorELNS0_4arch9wavefront6targetE0EEEvSM_.private_seg_size, 0
	.set _ZN7rocprim17ROCPRIM_400000_NS6detail17trampoline_kernelINS0_14default_configENS1_38merge_sort_block_merge_config_selectorIlNS0_10empty_typeEEEZZNS1_27merge_sort_block_merge_implIS3_PlPS5_mZN2at6native12_GLOBAL__N_124unique_dim_cuda_templateIlEESt5tupleIJNSA_6TensorESF_SF_EERKSF_lbbbEUlllE_EE10hipError_tT0_T1_T2_jT3_P12ihipStream_tbPNSt15iterator_traitsISL_E10value_typeEPNSR_ISM_E10value_typeEPSN_NS1_7vsmem_tEENKUlT_SL_SM_SN_E_clIS8_S8_S9_S9_EESK_S10_SL_SM_SN_EUlS10_E0_NS1_11comp_targetILNS1_3genE9ELNS1_11target_archE1100ELNS1_3gpuE3ELNS1_3repE0EEENS1_38merge_mergepath_config_static_selectorELNS0_4arch9wavefront6targetE0EEEvSM_.uses_vcc, 0
	.set _ZN7rocprim17ROCPRIM_400000_NS6detail17trampoline_kernelINS0_14default_configENS1_38merge_sort_block_merge_config_selectorIlNS0_10empty_typeEEEZZNS1_27merge_sort_block_merge_implIS3_PlPS5_mZN2at6native12_GLOBAL__N_124unique_dim_cuda_templateIlEESt5tupleIJNSA_6TensorESF_SF_EERKSF_lbbbEUlllE_EE10hipError_tT0_T1_T2_jT3_P12ihipStream_tbPNSt15iterator_traitsISL_E10value_typeEPNSR_ISM_E10value_typeEPSN_NS1_7vsmem_tEENKUlT_SL_SM_SN_E_clIS8_S8_S9_S9_EESK_S10_SL_SM_SN_EUlS10_E0_NS1_11comp_targetILNS1_3genE9ELNS1_11target_archE1100ELNS1_3gpuE3ELNS1_3repE0EEENS1_38merge_mergepath_config_static_selectorELNS0_4arch9wavefront6targetE0EEEvSM_.uses_flat_scratch, 0
	.set _ZN7rocprim17ROCPRIM_400000_NS6detail17trampoline_kernelINS0_14default_configENS1_38merge_sort_block_merge_config_selectorIlNS0_10empty_typeEEEZZNS1_27merge_sort_block_merge_implIS3_PlPS5_mZN2at6native12_GLOBAL__N_124unique_dim_cuda_templateIlEESt5tupleIJNSA_6TensorESF_SF_EERKSF_lbbbEUlllE_EE10hipError_tT0_T1_T2_jT3_P12ihipStream_tbPNSt15iterator_traitsISL_E10value_typeEPNSR_ISM_E10value_typeEPSN_NS1_7vsmem_tEENKUlT_SL_SM_SN_E_clIS8_S8_S9_S9_EESK_S10_SL_SM_SN_EUlS10_E0_NS1_11comp_targetILNS1_3genE9ELNS1_11target_archE1100ELNS1_3gpuE3ELNS1_3repE0EEENS1_38merge_mergepath_config_static_selectorELNS0_4arch9wavefront6targetE0EEEvSM_.has_dyn_sized_stack, 0
	.set _ZN7rocprim17ROCPRIM_400000_NS6detail17trampoline_kernelINS0_14default_configENS1_38merge_sort_block_merge_config_selectorIlNS0_10empty_typeEEEZZNS1_27merge_sort_block_merge_implIS3_PlPS5_mZN2at6native12_GLOBAL__N_124unique_dim_cuda_templateIlEESt5tupleIJNSA_6TensorESF_SF_EERKSF_lbbbEUlllE_EE10hipError_tT0_T1_T2_jT3_P12ihipStream_tbPNSt15iterator_traitsISL_E10value_typeEPNSR_ISM_E10value_typeEPSN_NS1_7vsmem_tEENKUlT_SL_SM_SN_E_clIS8_S8_S9_S9_EESK_S10_SL_SM_SN_EUlS10_E0_NS1_11comp_targetILNS1_3genE9ELNS1_11target_archE1100ELNS1_3gpuE3ELNS1_3repE0EEENS1_38merge_mergepath_config_static_selectorELNS0_4arch9wavefront6targetE0EEEvSM_.has_recursion, 0
	.set _ZN7rocprim17ROCPRIM_400000_NS6detail17trampoline_kernelINS0_14default_configENS1_38merge_sort_block_merge_config_selectorIlNS0_10empty_typeEEEZZNS1_27merge_sort_block_merge_implIS3_PlPS5_mZN2at6native12_GLOBAL__N_124unique_dim_cuda_templateIlEESt5tupleIJNSA_6TensorESF_SF_EERKSF_lbbbEUlllE_EE10hipError_tT0_T1_T2_jT3_P12ihipStream_tbPNSt15iterator_traitsISL_E10value_typeEPNSR_ISM_E10value_typeEPSN_NS1_7vsmem_tEENKUlT_SL_SM_SN_E_clIS8_S8_S9_S9_EESK_S10_SL_SM_SN_EUlS10_E0_NS1_11comp_targetILNS1_3genE9ELNS1_11target_archE1100ELNS1_3gpuE3ELNS1_3repE0EEENS1_38merge_mergepath_config_static_selectorELNS0_4arch9wavefront6targetE0EEEvSM_.has_indirect_call, 0
	.section	.AMDGPU.csdata,"",@progbits
; Kernel info:
; codeLenInByte = 0
; TotalNumSgprs: 0
; NumVgprs: 0
; ScratchSize: 0
; MemoryBound: 0
; FloatMode: 240
; IeeeMode: 1
; LDSByteSize: 0 bytes/workgroup (compile time only)
; SGPRBlocks: 0
; VGPRBlocks: 0
; NumSGPRsForWavesPerEU: 1
; NumVGPRsForWavesPerEU: 1
; NamedBarCnt: 0
; Occupancy: 16
; WaveLimiterHint : 0
; COMPUTE_PGM_RSRC2:SCRATCH_EN: 0
; COMPUTE_PGM_RSRC2:USER_SGPR: 2
; COMPUTE_PGM_RSRC2:TRAP_HANDLER: 0
; COMPUTE_PGM_RSRC2:TGID_X_EN: 1
; COMPUTE_PGM_RSRC2:TGID_Y_EN: 0
; COMPUTE_PGM_RSRC2:TGID_Z_EN: 0
; COMPUTE_PGM_RSRC2:TIDIG_COMP_CNT: 0
	.section	.text._ZN7rocprim17ROCPRIM_400000_NS6detail17trampoline_kernelINS0_14default_configENS1_38merge_sort_block_merge_config_selectorIlNS0_10empty_typeEEEZZNS1_27merge_sort_block_merge_implIS3_PlPS5_mZN2at6native12_GLOBAL__N_124unique_dim_cuda_templateIlEESt5tupleIJNSA_6TensorESF_SF_EERKSF_lbbbEUlllE_EE10hipError_tT0_T1_T2_jT3_P12ihipStream_tbPNSt15iterator_traitsISL_E10value_typeEPNSR_ISM_E10value_typeEPSN_NS1_7vsmem_tEENKUlT_SL_SM_SN_E_clIS8_S8_S9_S9_EESK_S10_SL_SM_SN_EUlS10_E0_NS1_11comp_targetILNS1_3genE8ELNS1_11target_archE1030ELNS1_3gpuE2ELNS1_3repE0EEENS1_38merge_mergepath_config_static_selectorELNS0_4arch9wavefront6targetE0EEEvSM_,"axG",@progbits,_ZN7rocprim17ROCPRIM_400000_NS6detail17trampoline_kernelINS0_14default_configENS1_38merge_sort_block_merge_config_selectorIlNS0_10empty_typeEEEZZNS1_27merge_sort_block_merge_implIS3_PlPS5_mZN2at6native12_GLOBAL__N_124unique_dim_cuda_templateIlEESt5tupleIJNSA_6TensorESF_SF_EERKSF_lbbbEUlllE_EE10hipError_tT0_T1_T2_jT3_P12ihipStream_tbPNSt15iterator_traitsISL_E10value_typeEPNSR_ISM_E10value_typeEPSN_NS1_7vsmem_tEENKUlT_SL_SM_SN_E_clIS8_S8_S9_S9_EESK_S10_SL_SM_SN_EUlS10_E0_NS1_11comp_targetILNS1_3genE8ELNS1_11target_archE1030ELNS1_3gpuE2ELNS1_3repE0EEENS1_38merge_mergepath_config_static_selectorELNS0_4arch9wavefront6targetE0EEEvSM_,comdat
	.globl	_ZN7rocprim17ROCPRIM_400000_NS6detail17trampoline_kernelINS0_14default_configENS1_38merge_sort_block_merge_config_selectorIlNS0_10empty_typeEEEZZNS1_27merge_sort_block_merge_implIS3_PlPS5_mZN2at6native12_GLOBAL__N_124unique_dim_cuda_templateIlEESt5tupleIJNSA_6TensorESF_SF_EERKSF_lbbbEUlllE_EE10hipError_tT0_T1_T2_jT3_P12ihipStream_tbPNSt15iterator_traitsISL_E10value_typeEPNSR_ISM_E10value_typeEPSN_NS1_7vsmem_tEENKUlT_SL_SM_SN_E_clIS8_S8_S9_S9_EESK_S10_SL_SM_SN_EUlS10_E0_NS1_11comp_targetILNS1_3genE8ELNS1_11target_archE1030ELNS1_3gpuE2ELNS1_3repE0EEENS1_38merge_mergepath_config_static_selectorELNS0_4arch9wavefront6targetE0EEEvSM_ ; -- Begin function _ZN7rocprim17ROCPRIM_400000_NS6detail17trampoline_kernelINS0_14default_configENS1_38merge_sort_block_merge_config_selectorIlNS0_10empty_typeEEEZZNS1_27merge_sort_block_merge_implIS3_PlPS5_mZN2at6native12_GLOBAL__N_124unique_dim_cuda_templateIlEESt5tupleIJNSA_6TensorESF_SF_EERKSF_lbbbEUlllE_EE10hipError_tT0_T1_T2_jT3_P12ihipStream_tbPNSt15iterator_traitsISL_E10value_typeEPNSR_ISM_E10value_typeEPSN_NS1_7vsmem_tEENKUlT_SL_SM_SN_E_clIS8_S8_S9_S9_EESK_S10_SL_SM_SN_EUlS10_E0_NS1_11comp_targetILNS1_3genE8ELNS1_11target_archE1030ELNS1_3gpuE2ELNS1_3repE0EEENS1_38merge_mergepath_config_static_selectorELNS0_4arch9wavefront6targetE0EEEvSM_
	.p2align	8
	.type	_ZN7rocprim17ROCPRIM_400000_NS6detail17trampoline_kernelINS0_14default_configENS1_38merge_sort_block_merge_config_selectorIlNS0_10empty_typeEEEZZNS1_27merge_sort_block_merge_implIS3_PlPS5_mZN2at6native12_GLOBAL__N_124unique_dim_cuda_templateIlEESt5tupleIJNSA_6TensorESF_SF_EERKSF_lbbbEUlllE_EE10hipError_tT0_T1_T2_jT3_P12ihipStream_tbPNSt15iterator_traitsISL_E10value_typeEPNSR_ISM_E10value_typeEPSN_NS1_7vsmem_tEENKUlT_SL_SM_SN_E_clIS8_S8_S9_S9_EESK_S10_SL_SM_SN_EUlS10_E0_NS1_11comp_targetILNS1_3genE8ELNS1_11target_archE1030ELNS1_3gpuE2ELNS1_3repE0EEENS1_38merge_mergepath_config_static_selectorELNS0_4arch9wavefront6targetE0EEEvSM_,@function
_ZN7rocprim17ROCPRIM_400000_NS6detail17trampoline_kernelINS0_14default_configENS1_38merge_sort_block_merge_config_selectorIlNS0_10empty_typeEEEZZNS1_27merge_sort_block_merge_implIS3_PlPS5_mZN2at6native12_GLOBAL__N_124unique_dim_cuda_templateIlEESt5tupleIJNSA_6TensorESF_SF_EERKSF_lbbbEUlllE_EE10hipError_tT0_T1_T2_jT3_P12ihipStream_tbPNSt15iterator_traitsISL_E10value_typeEPNSR_ISM_E10value_typeEPSN_NS1_7vsmem_tEENKUlT_SL_SM_SN_E_clIS8_S8_S9_S9_EESK_S10_SL_SM_SN_EUlS10_E0_NS1_11comp_targetILNS1_3genE8ELNS1_11target_archE1030ELNS1_3gpuE2ELNS1_3repE0EEENS1_38merge_mergepath_config_static_selectorELNS0_4arch9wavefront6targetE0EEEvSM_: ; @_ZN7rocprim17ROCPRIM_400000_NS6detail17trampoline_kernelINS0_14default_configENS1_38merge_sort_block_merge_config_selectorIlNS0_10empty_typeEEEZZNS1_27merge_sort_block_merge_implIS3_PlPS5_mZN2at6native12_GLOBAL__N_124unique_dim_cuda_templateIlEESt5tupleIJNSA_6TensorESF_SF_EERKSF_lbbbEUlllE_EE10hipError_tT0_T1_T2_jT3_P12ihipStream_tbPNSt15iterator_traitsISL_E10value_typeEPNSR_ISM_E10value_typeEPSN_NS1_7vsmem_tEENKUlT_SL_SM_SN_E_clIS8_S8_S9_S9_EESK_S10_SL_SM_SN_EUlS10_E0_NS1_11comp_targetILNS1_3genE8ELNS1_11target_archE1030ELNS1_3gpuE2ELNS1_3repE0EEENS1_38merge_mergepath_config_static_selectorELNS0_4arch9wavefront6targetE0EEEvSM_
; %bb.0:
	.section	.rodata,"a",@progbits
	.p2align	6, 0x0
	.amdhsa_kernel _ZN7rocprim17ROCPRIM_400000_NS6detail17trampoline_kernelINS0_14default_configENS1_38merge_sort_block_merge_config_selectorIlNS0_10empty_typeEEEZZNS1_27merge_sort_block_merge_implIS3_PlPS5_mZN2at6native12_GLOBAL__N_124unique_dim_cuda_templateIlEESt5tupleIJNSA_6TensorESF_SF_EERKSF_lbbbEUlllE_EE10hipError_tT0_T1_T2_jT3_P12ihipStream_tbPNSt15iterator_traitsISL_E10value_typeEPNSR_ISM_E10value_typeEPSN_NS1_7vsmem_tEENKUlT_SL_SM_SN_E_clIS8_S8_S9_S9_EESK_S10_SL_SM_SN_EUlS10_E0_NS1_11comp_targetILNS1_3genE8ELNS1_11target_archE1030ELNS1_3gpuE2ELNS1_3repE0EEENS1_38merge_mergepath_config_static_selectorELNS0_4arch9wavefront6targetE0EEEvSM_
		.amdhsa_group_segment_fixed_size 0
		.amdhsa_private_segment_fixed_size 0
		.amdhsa_kernarg_size 88
		.amdhsa_user_sgpr_count 2
		.amdhsa_user_sgpr_dispatch_ptr 0
		.amdhsa_user_sgpr_queue_ptr 0
		.amdhsa_user_sgpr_kernarg_segment_ptr 1
		.amdhsa_user_sgpr_dispatch_id 0
		.amdhsa_user_sgpr_kernarg_preload_length 0
		.amdhsa_user_sgpr_kernarg_preload_offset 0
		.amdhsa_user_sgpr_private_segment_size 0
		.amdhsa_wavefront_size32 1
		.amdhsa_uses_dynamic_stack 0
		.amdhsa_enable_private_segment 0
		.amdhsa_system_sgpr_workgroup_id_x 1
		.amdhsa_system_sgpr_workgroup_id_y 0
		.amdhsa_system_sgpr_workgroup_id_z 0
		.amdhsa_system_sgpr_workgroup_info 0
		.amdhsa_system_vgpr_workitem_id 0
		.amdhsa_next_free_vgpr 1
		.amdhsa_next_free_sgpr 1
		.amdhsa_named_barrier_count 0
		.amdhsa_reserve_vcc 0
		.amdhsa_float_round_mode_32 0
		.amdhsa_float_round_mode_16_64 0
		.amdhsa_float_denorm_mode_32 3
		.amdhsa_float_denorm_mode_16_64 3
		.amdhsa_fp16_overflow 0
		.amdhsa_memory_ordered 1
		.amdhsa_forward_progress 1
		.amdhsa_inst_pref_size 0
		.amdhsa_round_robin_scheduling 0
		.amdhsa_exception_fp_ieee_invalid_op 0
		.amdhsa_exception_fp_denorm_src 0
		.amdhsa_exception_fp_ieee_div_zero 0
		.amdhsa_exception_fp_ieee_overflow 0
		.amdhsa_exception_fp_ieee_underflow 0
		.amdhsa_exception_fp_ieee_inexact 0
		.amdhsa_exception_int_div_zero 0
	.end_amdhsa_kernel
	.section	.text._ZN7rocprim17ROCPRIM_400000_NS6detail17trampoline_kernelINS0_14default_configENS1_38merge_sort_block_merge_config_selectorIlNS0_10empty_typeEEEZZNS1_27merge_sort_block_merge_implIS3_PlPS5_mZN2at6native12_GLOBAL__N_124unique_dim_cuda_templateIlEESt5tupleIJNSA_6TensorESF_SF_EERKSF_lbbbEUlllE_EE10hipError_tT0_T1_T2_jT3_P12ihipStream_tbPNSt15iterator_traitsISL_E10value_typeEPNSR_ISM_E10value_typeEPSN_NS1_7vsmem_tEENKUlT_SL_SM_SN_E_clIS8_S8_S9_S9_EESK_S10_SL_SM_SN_EUlS10_E0_NS1_11comp_targetILNS1_3genE8ELNS1_11target_archE1030ELNS1_3gpuE2ELNS1_3repE0EEENS1_38merge_mergepath_config_static_selectorELNS0_4arch9wavefront6targetE0EEEvSM_,"axG",@progbits,_ZN7rocprim17ROCPRIM_400000_NS6detail17trampoline_kernelINS0_14default_configENS1_38merge_sort_block_merge_config_selectorIlNS0_10empty_typeEEEZZNS1_27merge_sort_block_merge_implIS3_PlPS5_mZN2at6native12_GLOBAL__N_124unique_dim_cuda_templateIlEESt5tupleIJNSA_6TensorESF_SF_EERKSF_lbbbEUlllE_EE10hipError_tT0_T1_T2_jT3_P12ihipStream_tbPNSt15iterator_traitsISL_E10value_typeEPNSR_ISM_E10value_typeEPSN_NS1_7vsmem_tEENKUlT_SL_SM_SN_E_clIS8_S8_S9_S9_EESK_S10_SL_SM_SN_EUlS10_E0_NS1_11comp_targetILNS1_3genE8ELNS1_11target_archE1030ELNS1_3gpuE2ELNS1_3repE0EEENS1_38merge_mergepath_config_static_selectorELNS0_4arch9wavefront6targetE0EEEvSM_,comdat
.Lfunc_end529:
	.size	_ZN7rocprim17ROCPRIM_400000_NS6detail17trampoline_kernelINS0_14default_configENS1_38merge_sort_block_merge_config_selectorIlNS0_10empty_typeEEEZZNS1_27merge_sort_block_merge_implIS3_PlPS5_mZN2at6native12_GLOBAL__N_124unique_dim_cuda_templateIlEESt5tupleIJNSA_6TensorESF_SF_EERKSF_lbbbEUlllE_EE10hipError_tT0_T1_T2_jT3_P12ihipStream_tbPNSt15iterator_traitsISL_E10value_typeEPNSR_ISM_E10value_typeEPSN_NS1_7vsmem_tEENKUlT_SL_SM_SN_E_clIS8_S8_S9_S9_EESK_S10_SL_SM_SN_EUlS10_E0_NS1_11comp_targetILNS1_3genE8ELNS1_11target_archE1030ELNS1_3gpuE2ELNS1_3repE0EEENS1_38merge_mergepath_config_static_selectorELNS0_4arch9wavefront6targetE0EEEvSM_, .Lfunc_end529-_ZN7rocprim17ROCPRIM_400000_NS6detail17trampoline_kernelINS0_14default_configENS1_38merge_sort_block_merge_config_selectorIlNS0_10empty_typeEEEZZNS1_27merge_sort_block_merge_implIS3_PlPS5_mZN2at6native12_GLOBAL__N_124unique_dim_cuda_templateIlEESt5tupleIJNSA_6TensorESF_SF_EERKSF_lbbbEUlllE_EE10hipError_tT0_T1_T2_jT3_P12ihipStream_tbPNSt15iterator_traitsISL_E10value_typeEPNSR_ISM_E10value_typeEPSN_NS1_7vsmem_tEENKUlT_SL_SM_SN_E_clIS8_S8_S9_S9_EESK_S10_SL_SM_SN_EUlS10_E0_NS1_11comp_targetILNS1_3genE8ELNS1_11target_archE1030ELNS1_3gpuE2ELNS1_3repE0EEENS1_38merge_mergepath_config_static_selectorELNS0_4arch9wavefront6targetE0EEEvSM_
                                        ; -- End function
	.set _ZN7rocprim17ROCPRIM_400000_NS6detail17trampoline_kernelINS0_14default_configENS1_38merge_sort_block_merge_config_selectorIlNS0_10empty_typeEEEZZNS1_27merge_sort_block_merge_implIS3_PlPS5_mZN2at6native12_GLOBAL__N_124unique_dim_cuda_templateIlEESt5tupleIJNSA_6TensorESF_SF_EERKSF_lbbbEUlllE_EE10hipError_tT0_T1_T2_jT3_P12ihipStream_tbPNSt15iterator_traitsISL_E10value_typeEPNSR_ISM_E10value_typeEPSN_NS1_7vsmem_tEENKUlT_SL_SM_SN_E_clIS8_S8_S9_S9_EESK_S10_SL_SM_SN_EUlS10_E0_NS1_11comp_targetILNS1_3genE8ELNS1_11target_archE1030ELNS1_3gpuE2ELNS1_3repE0EEENS1_38merge_mergepath_config_static_selectorELNS0_4arch9wavefront6targetE0EEEvSM_.num_vgpr, 0
	.set _ZN7rocprim17ROCPRIM_400000_NS6detail17trampoline_kernelINS0_14default_configENS1_38merge_sort_block_merge_config_selectorIlNS0_10empty_typeEEEZZNS1_27merge_sort_block_merge_implIS3_PlPS5_mZN2at6native12_GLOBAL__N_124unique_dim_cuda_templateIlEESt5tupleIJNSA_6TensorESF_SF_EERKSF_lbbbEUlllE_EE10hipError_tT0_T1_T2_jT3_P12ihipStream_tbPNSt15iterator_traitsISL_E10value_typeEPNSR_ISM_E10value_typeEPSN_NS1_7vsmem_tEENKUlT_SL_SM_SN_E_clIS8_S8_S9_S9_EESK_S10_SL_SM_SN_EUlS10_E0_NS1_11comp_targetILNS1_3genE8ELNS1_11target_archE1030ELNS1_3gpuE2ELNS1_3repE0EEENS1_38merge_mergepath_config_static_selectorELNS0_4arch9wavefront6targetE0EEEvSM_.num_agpr, 0
	.set _ZN7rocprim17ROCPRIM_400000_NS6detail17trampoline_kernelINS0_14default_configENS1_38merge_sort_block_merge_config_selectorIlNS0_10empty_typeEEEZZNS1_27merge_sort_block_merge_implIS3_PlPS5_mZN2at6native12_GLOBAL__N_124unique_dim_cuda_templateIlEESt5tupleIJNSA_6TensorESF_SF_EERKSF_lbbbEUlllE_EE10hipError_tT0_T1_T2_jT3_P12ihipStream_tbPNSt15iterator_traitsISL_E10value_typeEPNSR_ISM_E10value_typeEPSN_NS1_7vsmem_tEENKUlT_SL_SM_SN_E_clIS8_S8_S9_S9_EESK_S10_SL_SM_SN_EUlS10_E0_NS1_11comp_targetILNS1_3genE8ELNS1_11target_archE1030ELNS1_3gpuE2ELNS1_3repE0EEENS1_38merge_mergepath_config_static_selectorELNS0_4arch9wavefront6targetE0EEEvSM_.numbered_sgpr, 0
	.set _ZN7rocprim17ROCPRIM_400000_NS6detail17trampoline_kernelINS0_14default_configENS1_38merge_sort_block_merge_config_selectorIlNS0_10empty_typeEEEZZNS1_27merge_sort_block_merge_implIS3_PlPS5_mZN2at6native12_GLOBAL__N_124unique_dim_cuda_templateIlEESt5tupleIJNSA_6TensorESF_SF_EERKSF_lbbbEUlllE_EE10hipError_tT0_T1_T2_jT3_P12ihipStream_tbPNSt15iterator_traitsISL_E10value_typeEPNSR_ISM_E10value_typeEPSN_NS1_7vsmem_tEENKUlT_SL_SM_SN_E_clIS8_S8_S9_S9_EESK_S10_SL_SM_SN_EUlS10_E0_NS1_11comp_targetILNS1_3genE8ELNS1_11target_archE1030ELNS1_3gpuE2ELNS1_3repE0EEENS1_38merge_mergepath_config_static_selectorELNS0_4arch9wavefront6targetE0EEEvSM_.num_named_barrier, 0
	.set _ZN7rocprim17ROCPRIM_400000_NS6detail17trampoline_kernelINS0_14default_configENS1_38merge_sort_block_merge_config_selectorIlNS0_10empty_typeEEEZZNS1_27merge_sort_block_merge_implIS3_PlPS5_mZN2at6native12_GLOBAL__N_124unique_dim_cuda_templateIlEESt5tupleIJNSA_6TensorESF_SF_EERKSF_lbbbEUlllE_EE10hipError_tT0_T1_T2_jT3_P12ihipStream_tbPNSt15iterator_traitsISL_E10value_typeEPNSR_ISM_E10value_typeEPSN_NS1_7vsmem_tEENKUlT_SL_SM_SN_E_clIS8_S8_S9_S9_EESK_S10_SL_SM_SN_EUlS10_E0_NS1_11comp_targetILNS1_3genE8ELNS1_11target_archE1030ELNS1_3gpuE2ELNS1_3repE0EEENS1_38merge_mergepath_config_static_selectorELNS0_4arch9wavefront6targetE0EEEvSM_.private_seg_size, 0
	.set _ZN7rocprim17ROCPRIM_400000_NS6detail17trampoline_kernelINS0_14default_configENS1_38merge_sort_block_merge_config_selectorIlNS0_10empty_typeEEEZZNS1_27merge_sort_block_merge_implIS3_PlPS5_mZN2at6native12_GLOBAL__N_124unique_dim_cuda_templateIlEESt5tupleIJNSA_6TensorESF_SF_EERKSF_lbbbEUlllE_EE10hipError_tT0_T1_T2_jT3_P12ihipStream_tbPNSt15iterator_traitsISL_E10value_typeEPNSR_ISM_E10value_typeEPSN_NS1_7vsmem_tEENKUlT_SL_SM_SN_E_clIS8_S8_S9_S9_EESK_S10_SL_SM_SN_EUlS10_E0_NS1_11comp_targetILNS1_3genE8ELNS1_11target_archE1030ELNS1_3gpuE2ELNS1_3repE0EEENS1_38merge_mergepath_config_static_selectorELNS0_4arch9wavefront6targetE0EEEvSM_.uses_vcc, 0
	.set _ZN7rocprim17ROCPRIM_400000_NS6detail17trampoline_kernelINS0_14default_configENS1_38merge_sort_block_merge_config_selectorIlNS0_10empty_typeEEEZZNS1_27merge_sort_block_merge_implIS3_PlPS5_mZN2at6native12_GLOBAL__N_124unique_dim_cuda_templateIlEESt5tupleIJNSA_6TensorESF_SF_EERKSF_lbbbEUlllE_EE10hipError_tT0_T1_T2_jT3_P12ihipStream_tbPNSt15iterator_traitsISL_E10value_typeEPNSR_ISM_E10value_typeEPSN_NS1_7vsmem_tEENKUlT_SL_SM_SN_E_clIS8_S8_S9_S9_EESK_S10_SL_SM_SN_EUlS10_E0_NS1_11comp_targetILNS1_3genE8ELNS1_11target_archE1030ELNS1_3gpuE2ELNS1_3repE0EEENS1_38merge_mergepath_config_static_selectorELNS0_4arch9wavefront6targetE0EEEvSM_.uses_flat_scratch, 0
	.set _ZN7rocprim17ROCPRIM_400000_NS6detail17trampoline_kernelINS0_14default_configENS1_38merge_sort_block_merge_config_selectorIlNS0_10empty_typeEEEZZNS1_27merge_sort_block_merge_implIS3_PlPS5_mZN2at6native12_GLOBAL__N_124unique_dim_cuda_templateIlEESt5tupleIJNSA_6TensorESF_SF_EERKSF_lbbbEUlllE_EE10hipError_tT0_T1_T2_jT3_P12ihipStream_tbPNSt15iterator_traitsISL_E10value_typeEPNSR_ISM_E10value_typeEPSN_NS1_7vsmem_tEENKUlT_SL_SM_SN_E_clIS8_S8_S9_S9_EESK_S10_SL_SM_SN_EUlS10_E0_NS1_11comp_targetILNS1_3genE8ELNS1_11target_archE1030ELNS1_3gpuE2ELNS1_3repE0EEENS1_38merge_mergepath_config_static_selectorELNS0_4arch9wavefront6targetE0EEEvSM_.has_dyn_sized_stack, 0
	.set _ZN7rocprim17ROCPRIM_400000_NS6detail17trampoline_kernelINS0_14default_configENS1_38merge_sort_block_merge_config_selectorIlNS0_10empty_typeEEEZZNS1_27merge_sort_block_merge_implIS3_PlPS5_mZN2at6native12_GLOBAL__N_124unique_dim_cuda_templateIlEESt5tupleIJNSA_6TensorESF_SF_EERKSF_lbbbEUlllE_EE10hipError_tT0_T1_T2_jT3_P12ihipStream_tbPNSt15iterator_traitsISL_E10value_typeEPNSR_ISM_E10value_typeEPSN_NS1_7vsmem_tEENKUlT_SL_SM_SN_E_clIS8_S8_S9_S9_EESK_S10_SL_SM_SN_EUlS10_E0_NS1_11comp_targetILNS1_3genE8ELNS1_11target_archE1030ELNS1_3gpuE2ELNS1_3repE0EEENS1_38merge_mergepath_config_static_selectorELNS0_4arch9wavefront6targetE0EEEvSM_.has_recursion, 0
	.set _ZN7rocprim17ROCPRIM_400000_NS6detail17trampoline_kernelINS0_14default_configENS1_38merge_sort_block_merge_config_selectorIlNS0_10empty_typeEEEZZNS1_27merge_sort_block_merge_implIS3_PlPS5_mZN2at6native12_GLOBAL__N_124unique_dim_cuda_templateIlEESt5tupleIJNSA_6TensorESF_SF_EERKSF_lbbbEUlllE_EE10hipError_tT0_T1_T2_jT3_P12ihipStream_tbPNSt15iterator_traitsISL_E10value_typeEPNSR_ISM_E10value_typeEPSN_NS1_7vsmem_tEENKUlT_SL_SM_SN_E_clIS8_S8_S9_S9_EESK_S10_SL_SM_SN_EUlS10_E0_NS1_11comp_targetILNS1_3genE8ELNS1_11target_archE1030ELNS1_3gpuE2ELNS1_3repE0EEENS1_38merge_mergepath_config_static_selectorELNS0_4arch9wavefront6targetE0EEEvSM_.has_indirect_call, 0
	.section	.AMDGPU.csdata,"",@progbits
; Kernel info:
; codeLenInByte = 0
; TotalNumSgprs: 0
; NumVgprs: 0
; ScratchSize: 0
; MemoryBound: 0
; FloatMode: 240
; IeeeMode: 1
; LDSByteSize: 0 bytes/workgroup (compile time only)
; SGPRBlocks: 0
; VGPRBlocks: 0
; NumSGPRsForWavesPerEU: 1
; NumVGPRsForWavesPerEU: 1
; NamedBarCnt: 0
; Occupancy: 16
; WaveLimiterHint : 0
; COMPUTE_PGM_RSRC2:SCRATCH_EN: 0
; COMPUTE_PGM_RSRC2:USER_SGPR: 2
; COMPUTE_PGM_RSRC2:TRAP_HANDLER: 0
; COMPUTE_PGM_RSRC2:TGID_X_EN: 1
; COMPUTE_PGM_RSRC2:TGID_Y_EN: 0
; COMPUTE_PGM_RSRC2:TGID_Z_EN: 0
; COMPUTE_PGM_RSRC2:TIDIG_COMP_CNT: 0
	.section	.text._ZN7rocprim17ROCPRIM_400000_NS6detail17trampoline_kernelINS0_14default_configENS1_38merge_sort_block_merge_config_selectorIlNS0_10empty_typeEEEZZNS1_27merge_sort_block_merge_implIS3_PlPS5_mZN2at6native12_GLOBAL__N_124unique_dim_cuda_templateIlEESt5tupleIJNSA_6TensorESF_SF_EERKSF_lbbbEUlllE_EE10hipError_tT0_T1_T2_jT3_P12ihipStream_tbPNSt15iterator_traitsISL_E10value_typeEPNSR_ISM_E10value_typeEPSN_NS1_7vsmem_tEENKUlT_SL_SM_SN_E_clIS8_S8_S9_S9_EESK_S10_SL_SM_SN_EUlS10_E1_NS1_11comp_targetILNS1_3genE0ELNS1_11target_archE4294967295ELNS1_3gpuE0ELNS1_3repE0EEENS1_36merge_oddeven_config_static_selectorELNS0_4arch9wavefront6targetE0EEEvSM_,"axG",@progbits,_ZN7rocprim17ROCPRIM_400000_NS6detail17trampoline_kernelINS0_14default_configENS1_38merge_sort_block_merge_config_selectorIlNS0_10empty_typeEEEZZNS1_27merge_sort_block_merge_implIS3_PlPS5_mZN2at6native12_GLOBAL__N_124unique_dim_cuda_templateIlEESt5tupleIJNSA_6TensorESF_SF_EERKSF_lbbbEUlllE_EE10hipError_tT0_T1_T2_jT3_P12ihipStream_tbPNSt15iterator_traitsISL_E10value_typeEPNSR_ISM_E10value_typeEPSN_NS1_7vsmem_tEENKUlT_SL_SM_SN_E_clIS8_S8_S9_S9_EESK_S10_SL_SM_SN_EUlS10_E1_NS1_11comp_targetILNS1_3genE0ELNS1_11target_archE4294967295ELNS1_3gpuE0ELNS1_3repE0EEENS1_36merge_oddeven_config_static_selectorELNS0_4arch9wavefront6targetE0EEEvSM_,comdat
	.globl	_ZN7rocprim17ROCPRIM_400000_NS6detail17trampoline_kernelINS0_14default_configENS1_38merge_sort_block_merge_config_selectorIlNS0_10empty_typeEEEZZNS1_27merge_sort_block_merge_implIS3_PlPS5_mZN2at6native12_GLOBAL__N_124unique_dim_cuda_templateIlEESt5tupleIJNSA_6TensorESF_SF_EERKSF_lbbbEUlllE_EE10hipError_tT0_T1_T2_jT3_P12ihipStream_tbPNSt15iterator_traitsISL_E10value_typeEPNSR_ISM_E10value_typeEPSN_NS1_7vsmem_tEENKUlT_SL_SM_SN_E_clIS8_S8_S9_S9_EESK_S10_SL_SM_SN_EUlS10_E1_NS1_11comp_targetILNS1_3genE0ELNS1_11target_archE4294967295ELNS1_3gpuE0ELNS1_3repE0EEENS1_36merge_oddeven_config_static_selectorELNS0_4arch9wavefront6targetE0EEEvSM_ ; -- Begin function _ZN7rocprim17ROCPRIM_400000_NS6detail17trampoline_kernelINS0_14default_configENS1_38merge_sort_block_merge_config_selectorIlNS0_10empty_typeEEEZZNS1_27merge_sort_block_merge_implIS3_PlPS5_mZN2at6native12_GLOBAL__N_124unique_dim_cuda_templateIlEESt5tupleIJNSA_6TensorESF_SF_EERKSF_lbbbEUlllE_EE10hipError_tT0_T1_T2_jT3_P12ihipStream_tbPNSt15iterator_traitsISL_E10value_typeEPNSR_ISM_E10value_typeEPSN_NS1_7vsmem_tEENKUlT_SL_SM_SN_E_clIS8_S8_S9_S9_EESK_S10_SL_SM_SN_EUlS10_E1_NS1_11comp_targetILNS1_3genE0ELNS1_11target_archE4294967295ELNS1_3gpuE0ELNS1_3repE0EEENS1_36merge_oddeven_config_static_selectorELNS0_4arch9wavefront6targetE0EEEvSM_
	.p2align	8
	.type	_ZN7rocprim17ROCPRIM_400000_NS6detail17trampoline_kernelINS0_14default_configENS1_38merge_sort_block_merge_config_selectorIlNS0_10empty_typeEEEZZNS1_27merge_sort_block_merge_implIS3_PlPS5_mZN2at6native12_GLOBAL__N_124unique_dim_cuda_templateIlEESt5tupleIJNSA_6TensorESF_SF_EERKSF_lbbbEUlllE_EE10hipError_tT0_T1_T2_jT3_P12ihipStream_tbPNSt15iterator_traitsISL_E10value_typeEPNSR_ISM_E10value_typeEPSN_NS1_7vsmem_tEENKUlT_SL_SM_SN_E_clIS8_S8_S9_S9_EESK_S10_SL_SM_SN_EUlS10_E1_NS1_11comp_targetILNS1_3genE0ELNS1_11target_archE4294967295ELNS1_3gpuE0ELNS1_3repE0EEENS1_36merge_oddeven_config_static_selectorELNS0_4arch9wavefront6targetE0EEEvSM_,@function
_ZN7rocprim17ROCPRIM_400000_NS6detail17trampoline_kernelINS0_14default_configENS1_38merge_sort_block_merge_config_selectorIlNS0_10empty_typeEEEZZNS1_27merge_sort_block_merge_implIS3_PlPS5_mZN2at6native12_GLOBAL__N_124unique_dim_cuda_templateIlEESt5tupleIJNSA_6TensorESF_SF_EERKSF_lbbbEUlllE_EE10hipError_tT0_T1_T2_jT3_P12ihipStream_tbPNSt15iterator_traitsISL_E10value_typeEPNSR_ISM_E10value_typeEPSN_NS1_7vsmem_tEENKUlT_SL_SM_SN_E_clIS8_S8_S9_S9_EESK_S10_SL_SM_SN_EUlS10_E1_NS1_11comp_targetILNS1_3genE0ELNS1_11target_archE4294967295ELNS1_3gpuE0ELNS1_3repE0EEENS1_36merge_oddeven_config_static_selectorELNS0_4arch9wavefront6targetE0EEEvSM_: ; @_ZN7rocprim17ROCPRIM_400000_NS6detail17trampoline_kernelINS0_14default_configENS1_38merge_sort_block_merge_config_selectorIlNS0_10empty_typeEEEZZNS1_27merge_sort_block_merge_implIS3_PlPS5_mZN2at6native12_GLOBAL__N_124unique_dim_cuda_templateIlEESt5tupleIJNSA_6TensorESF_SF_EERKSF_lbbbEUlllE_EE10hipError_tT0_T1_T2_jT3_P12ihipStream_tbPNSt15iterator_traitsISL_E10value_typeEPNSR_ISM_E10value_typeEPSN_NS1_7vsmem_tEENKUlT_SL_SM_SN_E_clIS8_S8_S9_S9_EESK_S10_SL_SM_SN_EUlS10_E1_NS1_11comp_targetILNS1_3genE0ELNS1_11target_archE4294967295ELNS1_3gpuE0ELNS1_3repE0EEENS1_36merge_oddeven_config_static_selectorELNS0_4arch9wavefront6targetE0EEEvSM_
; %bb.0:
	s_load_b32 s3, s[0:1], 0x20
	s_bfe_u32 s2, ttmp6, 0x4000c
	s_and_b32 s4, ttmp6, 15
	s_add_co_i32 s2, s2, 1
	s_getreg_b32 s5, hwreg(HW_REG_IB_STS2, 6, 4)
	s_mul_i32 s2, ttmp9, s2
	s_mov_b32 s13, 0
	s_add_co_i32 s4, s4, s2
	s_cmp_eq_u32 s5, 0
	s_cselect_b32 s9, ttmp9, s4
	s_wait_kmcnt 0x0
	s_lshr_b32 s2, s3, 8
	s_delay_alu instid0(SALU_CYCLE_1) | instskip(SKIP_4) | instid1(SALU_CYCLE_1)
	s_cmp_lg_u32 s9, s2
	s_cselect_b32 s8, -1, 0
	s_cmp_eq_u32 s9, s2
	s_cselect_b32 s14, -1, 0
	s_lshl_b32 s12, s9, 8
	s_sub_co_i32 s2, s3, s12
	s_delay_alu instid0(SALU_CYCLE_1) | instskip(SKIP_1) | instid1(SALU_CYCLE_1)
	v_cmp_gt_u32_e64 s2, s2, v0
	s_or_b32 s4, s8, s2
	s_and_saveexec_b32 s5, s4
	s_cbranch_execz .LBB530_54
; %bb.1:
	s_clause 0x1
	s_load_b128 s[4:7], s[0:1], 0x0
	s_load_b32 s15, s[0:1], 0x28
	s_lshl_b64 s[10:11], s[12:13], 3
	s_wait_kmcnt 0x0
	s_add_nc_u64 s[10:11], s[4:5], s[10:11]
	global_load_b64 v[2:3], v0, s[10:11] scale_offset
	s_wait_xcnt 0x0
	s_lshr_b32 s10, s15, 8
	s_delay_alu instid0(SALU_CYCLE_1) | instskip(NEXT) | instid1(SALU_CYCLE_1)
	s_sub_co_i32 s11, 0, s10
	s_and_b32 s9, s9, s11
	s_delay_alu instid0(SALU_CYCLE_1) | instskip(NEXT) | instid1(SALU_CYCLE_1)
	s_and_b32 s10, s9, s10
	s_cmp_lg_u32 s10, 0
	s_cselect_b32 s16, -1, 0
	s_lshl_b32 s18, s9, 8
	s_sub_co_i32 s9, 0, s15
	s_cmp_eq_u32 s10, 0
	s_cselect_b32 s17, s15, s9
	s_delay_alu instid0(SALU_CYCLE_1) | instskip(NEXT) | instid1(SALU_CYCLE_1)
	s_add_co_i32 s17, s17, s18
	s_cmp_lt_u32 s17, s3
	s_cbranch_scc1 .LBB530_3
; %bb.2:
	v_add_nc_u32_e32 v1, s12, v0
	s_delay_alu instid0(VALU_DEP_1) | instskip(SKIP_1) | instid1(SALU_CYCLE_1)
	v_cmp_gt_u32_e32 vcc_lo, s3, v1
	s_or_b32 s9, vcc_lo, s8
	s_and_b32 s13, s9, exec_lo
	s_cbranch_execz .LBB530_4
	s_branch .LBB530_52
.LBB530_3:
                                        ; implicit-def: $vgpr1
.LBB530_4:
	s_load_b128 s[8:11], s[0:1], 0x30
	v_add_nc_u32_e32 v0, s12, v0
	s_min_u32 s12, s17, s3
	s_and_b32 vcc_lo, exec_lo, s14
	s_wait_xcnt 0x0
	s_add_co_i32 s0, s18, s12
	s_delay_alu instid0(SALU_CYCLE_1) | instskip(SKIP_3) | instid1(VALU_DEP_1)
	v_subrev_nc_u32_e32 v0, s0, v0
	s_add_co_i32 s0, s12, s15
	s_min_u32 s15, s18, s12
	s_min_u32 s18, s0, s3
	v_add_nc_u32_e32 v10, s15, v0
	s_wait_kmcnt 0x0
	v_cmp_gt_i64_e64 s1, s[8:9], 0
	s_cbranch_vccz .LBB530_26
; %bb.5:
                                        ; implicit-def: $vgpr1
	s_and_saveexec_b32 s19, s2
	s_cbranch_execz .LBB530_29
; %bb.6:
	v_mov_b32_e32 v11, s12
	s_cmp_ge_u32 s17, s18
	s_cbranch_scc1 .LBB530_28
; %bb.7:
	s_wait_loadcnt 0x0
	v_mul_u64_e32 v[0:1], s[8:9], v[2:3]
	v_dual_mov_b32 v12, s18 :: v_dual_mov_b32 v11, s12
	s_lshl_b64 s[2:3], s[8:9], 3
	s_mov_b32 s20, 0
	s_delay_alu instid0(VALU_DEP_2)
	v_lshl_add_u64 v[0:1], v[0:1], 3, s[10:11]
	s_branch .LBB530_10
.LBB530_8:                              ;   in Loop: Header=BB530_10 Depth=1
	s_or_b32 exec_lo, exec_lo, s22
.LBB530_9:                              ;   in Loop: Header=BB530_10 Depth=1
	s_wait_loadcnt 0x0
	v_dual_add_nc_u32 v4, 1, v13 :: v_dual_cndmask_b32 v12, v13, v12, s21
	s_delay_alu instid0(VALU_DEP_1) | instskip(NEXT) | instid1(VALU_DEP_1)
	v_cndmask_b32_e64 v11, v11, v4, s21
	v_cmp_ge_u32_e32 vcc_lo, v11, v12
	s_or_b32 s20, vcc_lo, s20
	s_delay_alu instid0(SALU_CYCLE_1)
	s_and_not1_b32 exec_lo, exec_lo, s20
	s_cbranch_execz .LBB530_27
.LBB530_10:                             ; =>This Loop Header: Depth=1
                                        ;     Child Loop BB530_14 Depth 2
                                        ;     Child Loop BB530_23 Depth 2
	v_add_nc_u32_e32 v4, v11, v12
	s_and_not1_b32 vcc_lo, exec_lo, s16
	s_mov_b32 s0, -1
                                        ; implicit-def: $sgpr21
	s_delay_alu instid0(VALU_DEP_1)
	v_lshrrev_b32_e32 v13, 1, v4
	global_load_b64 v[4:5], v13, s[4:5] scale_offset
	s_cbranch_vccnz .LBB530_19
; %bb.11:                               ;   in Loop: Header=BB530_10 Depth=1
	s_and_not1_b32 vcc_lo, exec_lo, s1
	s_cbranch_vccnz .LBB530_17
; %bb.12:                               ;   in Loop: Header=BB530_10 Depth=1
	s_wait_loadcnt 0x0
	v_mad_nc_u64_u32 v[6:7], s2, v4, s[10:11]
	v_mov_b64_e32 v[8:9], v[0:1]
	s_mov_b32 s21, 0
	s_mov_b64 s[14:15], s[8:9]
                                        ; implicit-def: $sgpr22
                                        ; implicit-def: $sgpr23
                                        ; implicit-def: $sgpr24
                                        ; implicit-def: $sgpr25
	s_delay_alu instid0(VALU_DEP_2) | instskip(NEXT) | instid1(VALU_DEP_1)
	v_mad_u32 v7, s3, v4, v7
	v_mad_u32 v7, s2, v5, v7
	s_branch .LBB530_14
.LBB530_13:                             ;   in Loop: Header=BB530_14 Depth=2
	s_or_b32 exec_lo, exec_lo, s26
	s_delay_alu instid0(SALU_CYCLE_1) | instskip(NEXT) | instid1(SALU_CYCLE_1)
	s_and_b32 s26, exec_lo, s23
	s_or_b32 s21, s26, s21
	s_and_not1_b32 s25, s25, exec_lo
	s_and_b32 s0, s0, exec_lo
	s_and_not1_b32 s22, s22, exec_lo
	s_and_b32 s26, s24, exec_lo
	s_or_b32 s25, s25, s0
	s_or_b32 s22, s22, s26
	s_and_not1_b32 exec_lo, exec_lo, s21
	s_cbranch_execz .LBB530_16
.LBB530_14:                             ;   Parent Loop BB530_10 Depth=1
                                        ; =>  This Inner Loop Header: Depth=2
	global_load_b64 v[14:15], v[8:9], off
	global_load_b64 v[16:17], v[6:7], off
	s_and_not1_b32 s24, s24, exec_lo
	s_or_b32 s23, s23, exec_lo
	s_wait_loadcnt 0x0
	v_cmp_le_i64_e32 vcc_lo, v[14:15], v[16:17]
	v_cmp_lt_i64_e64 s0, v[14:15], v[16:17]
	s_and_b32 s26, vcc_lo, s25
	s_delay_alu instid0(SALU_CYCLE_1) | instskip(NEXT) | instid1(SALU_CYCLE_1)
	s_or_b32 s0, s0, s26
	s_and_b32 s26, s0, exec_lo
	s_delay_alu instid0(SALU_CYCLE_1)
	s_or_b32 s24, s24, s26
	s_mov_b32 s26, exec_lo
	v_cmpx_eq_u64_e64 v[14:15], v[16:17]
	s_cbranch_execz .LBB530_13
; %bb.15:                               ;   in Loop: Header=BB530_14 Depth=2
	s_add_nc_u64 s[14:15], s[14:15], -1
	v_add_nc_u64_e32 v[8:9], 8, v[8:9]
	s_cmp_eq_u64 s[14:15], 0
	v_add_nc_u64_e32 v[6:7], 8, v[6:7]
	s_cselect_b32 s25, -1, 0
	s_and_not1_b32 s23, s23, exec_lo
	s_and_b32 s25, s25, exec_lo
	s_and_not1_b32 s24, s24, exec_lo
	s_or_b32 s23, s23, s25
                                        ; implicit-def: $sgpr25
	s_branch .LBB530_13
.LBB530_16:                             ;   in Loop: Header=BB530_10 Depth=1
	s_or_b32 exec_lo, exec_lo, s21
	s_xor_b32 s21, s22, -1
	s_branch .LBB530_18
.LBB530_17:                             ;   in Loop: Header=BB530_10 Depth=1
	s_mov_b32 s21, -1
.LBB530_18:                             ;   in Loop: Header=BB530_10 Depth=1
	s_mov_b32 s0, 0
.LBB530_19:                             ;   in Loop: Header=BB530_10 Depth=1
	s_delay_alu instid0(SALU_CYCLE_1)
	s_and_not1_b32 vcc_lo, exec_lo, s0
	s_cbranch_vccnz .LBB530_9
; %bb.20:                               ;   in Loop: Header=BB530_10 Depth=1
	s_and_not1_b32 vcc_lo, exec_lo, s1
	s_cbranch_vccnz .LBB530_25
; %bb.21:                               ;   in Loop: Header=BB530_10 Depth=1
	s_wait_loadcnt 0x0
	v_mad_nc_u64_u32 v[6:7], s2, v4, s[10:11]
	s_mov_b32 s22, 0
	s_mov_b64 s[14:15], s[8:9]
                                        ; implicit-def: $sgpr21
                                        ; implicit-def: $sgpr23
                                        ; implicit-def: $sgpr24
                                        ; implicit-def: $sgpr25
	s_delay_alu instid0(VALU_DEP_1) | instskip(NEXT) | instid1(VALU_DEP_1)
	v_mad_u32 v4, s3, v4, v7
	v_mad_u32 v7, s2, v5, v4
	v_mov_b64_e32 v[4:5], v[0:1]
	s_branch .LBB530_23
.LBB530_22:                             ;   in Loop: Header=BB530_23 Depth=2
	s_or_b32 exec_lo, exec_lo, s26
	s_delay_alu instid0(SALU_CYCLE_1) | instskip(NEXT) | instid1(SALU_CYCLE_1)
	s_and_b32 s26, exec_lo, s23
	s_or_b32 s22, s26, s22
	s_and_not1_b32 s25, s25, exec_lo
	s_and_b32 s0, s0, exec_lo
	s_and_not1_b32 s21, s21, exec_lo
	s_and_b32 s26, s24, exec_lo
	s_or_b32 s25, s25, s0
	s_or_b32 s21, s21, s26
	s_and_not1_b32 exec_lo, exec_lo, s22
	s_cbranch_execz .LBB530_8
.LBB530_23:                             ;   Parent Loop BB530_10 Depth=1
                                        ; =>  This Inner Loop Header: Depth=2
	global_load_b64 v[8:9], v[6:7], off
	global_load_b64 v[14:15], v[4:5], off
	s_and_not1_b32 s24, s24, exec_lo
	s_or_b32 s23, s23, exec_lo
	s_wait_loadcnt 0x0
	v_cmp_le_i64_e32 vcc_lo, v[8:9], v[14:15]
	v_cmp_lt_i64_e64 s0, v[8:9], v[14:15]
	s_and_b32 s26, vcc_lo, s25
	s_delay_alu instid0(SALU_CYCLE_1) | instskip(NEXT) | instid1(SALU_CYCLE_1)
	s_or_b32 s0, s0, s26
	s_and_b32 s26, s0, exec_lo
	s_delay_alu instid0(SALU_CYCLE_1)
	s_or_b32 s24, s24, s26
	s_mov_b32 s26, exec_lo
	v_cmpx_eq_u64_e64 v[8:9], v[14:15]
	s_cbranch_execz .LBB530_22
; %bb.24:                               ;   in Loop: Header=BB530_23 Depth=2
	s_add_nc_u64 s[14:15], s[14:15], -1
	v_add_nc_u64_e32 v[6:7], 8, v[6:7]
	s_cmp_eq_u64 s[14:15], 0
	v_add_nc_u64_e32 v[4:5], 8, v[4:5]
	s_cselect_b32 s25, -1, 0
	s_and_not1_b32 s23, s23, exec_lo
	s_and_b32 s25, s25, exec_lo
	s_and_not1_b32 s24, s24, exec_lo
	s_or_b32 s23, s23, s25
                                        ; implicit-def: $sgpr25
	s_branch .LBB530_22
.LBB530_25:                             ;   in Loop: Header=BB530_10 Depth=1
	s_mov_b32 s21, 0
	s_branch .LBB530_9
.LBB530_26:
                                        ; implicit-def: $vgpr1
	s_cbranch_execnz .LBB530_30
	s_branch .LBB530_52
.LBB530_27:
	s_or_b32 exec_lo, exec_lo, s20
.LBB530_28:
	s_delay_alu instid0(VALU_DEP_1)
	v_add_nc_u32_e32 v1, v11, v10
	s_or_b32 s13, s13, exec_lo
.LBB530_29:
	s_or_b32 exec_lo, exec_lo, s19
	s_branch .LBB530_52
.LBB530_30:
	v_mov_b32_e32 v11, s12
	s_cmp_ge_u32 s17, s18
	s_cbranch_scc1 .LBB530_51
; %bb.31:
	s_wait_loadcnt 0x0
	v_mul_u64_e32 v[0:1], s[8:9], v[2:3]
	v_dual_mov_b32 v12, s18 :: v_dual_mov_b32 v11, s12
	v_cndmask_b32_e64 v13, 0, 1, s1
	s_lshl_b64 s[2:3], s[8:9], 3
	s_mov_b32 s14, 0
	s_delay_alu instid0(VALU_DEP_3)
	v_lshl_add_u64 v[0:1], v[0:1], 3, s[10:11]
	s_branch .LBB530_34
.LBB530_32:                             ;   in Loop: Header=BB530_34 Depth=1
	s_or_b32 exec_lo, exec_lo, s17
.LBB530_33:                             ;   in Loop: Header=BB530_34 Depth=1
	s_wait_loadcnt 0x0
	v_dual_add_nc_u32 v4, 1, v14 :: v_dual_cndmask_b32 v12, v14, v12, s15
	s_delay_alu instid0(VALU_DEP_1) | instskip(NEXT) | instid1(VALU_DEP_1)
	v_cndmask_b32_e64 v11, v11, v4, s15
	v_cmp_ge_u32_e32 vcc_lo, v11, v12
	s_or_b32 s14, vcc_lo, s14
	s_delay_alu instid0(SALU_CYCLE_1)
	s_and_not1_b32 exec_lo, exec_lo, s14
	s_cbranch_execz .LBB530_50
.LBB530_34:                             ; =>This Loop Header: Depth=1
                                        ;     Child Loop BB530_38 Depth 2
                                        ;     Child Loop BB530_47 Depth 2
	v_add_nc_u32_e32 v4, v11, v12
	v_cmp_ne_u32_e64 s0, 1, v13
	s_and_not1_b32 vcc_lo, exec_lo, s16
	s_mov_b32 s12, -1
                                        ; implicit-def: $sgpr15
	v_lshrrev_b32_e32 v14, 1, v4
	global_load_b64 v[4:5], v14, s[4:5] scale_offset
	s_cbranch_vccnz .LBB530_43
; %bb.35:                               ;   in Loop: Header=BB530_34 Depth=1
	s_and_b32 vcc_lo, exec_lo, s0
	s_cbranch_vccnz .LBB530_41
; %bb.36:                               ;   in Loop: Header=BB530_34 Depth=1
	s_wait_loadcnt 0x0
	v_mad_nc_u64_u32 v[6:7], s2, v4, s[10:11]
	v_mov_b64_e32 v[8:9], v[0:1]
	s_mov_b32 s15, 0
	s_mov_b64 s[12:13], s[8:9]
                                        ; implicit-def: $sgpr17
                                        ; implicit-def: $sgpr18
                                        ; implicit-def: $sgpr19
                                        ; implicit-def: $sgpr20
	s_delay_alu instid0(VALU_DEP_2) | instskip(NEXT) | instid1(VALU_DEP_1)
	v_mad_u32 v7, s3, v4, v7
	v_mad_u32 v7, s2, v5, v7
	s_branch .LBB530_38
.LBB530_37:                             ;   in Loop: Header=BB530_38 Depth=2
	s_or_b32 exec_lo, exec_lo, s21
	s_delay_alu instid0(SALU_CYCLE_1) | instskip(NEXT) | instid1(SALU_CYCLE_1)
	s_and_b32 s21, exec_lo, s18
	s_or_b32 s15, s21, s15
	s_and_not1_b32 s20, s20, exec_lo
	s_and_b32 s0, s0, exec_lo
	s_and_not1_b32 s17, s17, exec_lo
	s_and_b32 s21, s19, exec_lo
	s_or_b32 s20, s20, s0
	s_or_b32 s17, s17, s21
	s_and_not1_b32 exec_lo, exec_lo, s15
	s_cbranch_execz .LBB530_40
.LBB530_38:                             ;   Parent Loop BB530_34 Depth=1
                                        ; =>  This Inner Loop Header: Depth=2
	global_load_b64 v[16:17], v[8:9], off
	global_load_b64 v[18:19], v[6:7], off
	s_and_not1_b32 s19, s19, exec_lo
	s_or_b32 s18, s18, exec_lo
	s_wait_loadcnt 0x0
	v_cmp_le_i64_e32 vcc_lo, v[16:17], v[18:19]
	v_cmp_lt_i64_e64 s0, v[16:17], v[18:19]
	s_and_b32 s21, vcc_lo, s20
	s_delay_alu instid0(SALU_CYCLE_1) | instskip(NEXT) | instid1(SALU_CYCLE_1)
	s_or_b32 s0, s0, s21
	s_and_b32 s21, s0, exec_lo
	s_delay_alu instid0(SALU_CYCLE_1)
	s_or_b32 s19, s19, s21
	s_mov_b32 s21, exec_lo
	v_cmpx_eq_u64_e64 v[16:17], v[18:19]
	s_cbranch_execz .LBB530_37
; %bb.39:                               ;   in Loop: Header=BB530_38 Depth=2
	s_add_nc_u64 s[12:13], s[12:13], -1
	v_add_nc_u64_e32 v[8:9], 8, v[8:9]
	s_cmp_eq_u64 s[12:13], 0
	v_add_nc_u64_e32 v[6:7], 8, v[6:7]
	s_cselect_b32 s20, -1, 0
	s_and_not1_b32 s18, s18, exec_lo
	s_and_b32 s20, s20, exec_lo
	s_and_not1_b32 s19, s19, exec_lo
	s_or_b32 s18, s18, s20
                                        ; implicit-def: $sgpr20
	s_branch .LBB530_37
.LBB530_40:                             ;   in Loop: Header=BB530_34 Depth=1
	s_or_b32 exec_lo, exec_lo, s15
	s_xor_b32 s15, s17, -1
	s_branch .LBB530_42
.LBB530_41:                             ;   in Loop: Header=BB530_34 Depth=1
	s_mov_b32 s15, -1
.LBB530_42:                             ;   in Loop: Header=BB530_34 Depth=1
	s_mov_b32 s12, 0
.LBB530_43:                             ;   in Loop: Header=BB530_34 Depth=1
	s_delay_alu instid0(SALU_CYCLE_1)
	s_and_not1_b32 vcc_lo, exec_lo, s12
	s_cbranch_vccnz .LBB530_33
; %bb.44:                               ;   in Loop: Header=BB530_34 Depth=1
	s_and_not1_b32 vcc_lo, exec_lo, s1
	s_cbranch_vccnz .LBB530_49
; %bb.45:                               ;   in Loop: Header=BB530_34 Depth=1
	s_wait_loadcnt 0x0
	v_mad_nc_u64_u32 v[6:7], s2, v4, s[10:11]
	s_mov_b32 s17, 0
	s_mov_b64 s[12:13], s[8:9]
                                        ; implicit-def: $sgpr15
                                        ; implicit-def: $sgpr18
                                        ; implicit-def: $sgpr19
                                        ; implicit-def: $sgpr20
	s_delay_alu instid0(VALU_DEP_1) | instskip(NEXT) | instid1(VALU_DEP_1)
	v_mad_u32 v4, s3, v4, v7
	v_mad_u32 v7, s2, v5, v4
	v_mov_b64_e32 v[4:5], v[0:1]
	s_branch .LBB530_47
.LBB530_46:                             ;   in Loop: Header=BB530_47 Depth=2
	s_or_b32 exec_lo, exec_lo, s21
	s_delay_alu instid0(SALU_CYCLE_1) | instskip(NEXT) | instid1(SALU_CYCLE_1)
	s_and_b32 s21, exec_lo, s18
	s_or_b32 s17, s21, s17
	s_and_not1_b32 s20, s20, exec_lo
	s_and_b32 s0, s0, exec_lo
	s_and_not1_b32 s15, s15, exec_lo
	s_and_b32 s21, s19, exec_lo
	s_or_b32 s20, s20, s0
	s_or_b32 s15, s15, s21
	s_and_not1_b32 exec_lo, exec_lo, s17
	s_cbranch_execz .LBB530_32
.LBB530_47:                             ;   Parent Loop BB530_34 Depth=1
                                        ; =>  This Inner Loop Header: Depth=2
	global_load_b64 v[8:9], v[6:7], off
	global_load_b64 v[16:17], v[4:5], off
	s_and_not1_b32 s19, s19, exec_lo
	s_or_b32 s18, s18, exec_lo
	s_wait_loadcnt 0x0
	v_cmp_le_i64_e32 vcc_lo, v[8:9], v[16:17]
	v_cmp_lt_i64_e64 s0, v[8:9], v[16:17]
	s_and_b32 s21, vcc_lo, s20
	s_delay_alu instid0(SALU_CYCLE_1) | instskip(NEXT) | instid1(SALU_CYCLE_1)
	s_or_b32 s0, s0, s21
	s_and_b32 s21, s0, exec_lo
	s_delay_alu instid0(SALU_CYCLE_1)
	s_or_b32 s19, s19, s21
	s_mov_b32 s21, exec_lo
	v_cmpx_eq_u64_e64 v[8:9], v[16:17]
	s_cbranch_execz .LBB530_46
; %bb.48:                               ;   in Loop: Header=BB530_47 Depth=2
	s_add_nc_u64 s[12:13], s[12:13], -1
	v_add_nc_u64_e32 v[6:7], 8, v[6:7]
	s_cmp_eq_u64 s[12:13], 0
	v_add_nc_u64_e32 v[4:5], 8, v[4:5]
	s_cselect_b32 s20, -1, 0
	s_and_not1_b32 s18, s18, exec_lo
	s_and_b32 s20, s20, exec_lo
	s_and_not1_b32 s19, s19, exec_lo
	s_or_b32 s18, s18, s20
                                        ; implicit-def: $sgpr20
	s_branch .LBB530_46
.LBB530_49:                             ;   in Loop: Header=BB530_34 Depth=1
	s_mov_b32 s15, 0
	s_branch .LBB530_33
.LBB530_50:
	s_or_b32 exec_lo, exec_lo, s14
.LBB530_51:
	s_delay_alu instid0(VALU_DEP_1)
	v_add_nc_u32_e32 v1, v11, v10
	s_mov_b32 s13, -1
.LBB530_52:
	s_delay_alu instid0(SALU_CYCLE_1)
	s_and_b32 exec_lo, exec_lo, s13
	s_cbranch_execz .LBB530_54
; %bb.53:
	s_wait_loadcnt 0x0
	global_store_b64 v1, v[2:3], s[6:7] scale_offset
.LBB530_54:
	s_endpgm
	.section	.rodata,"a",@progbits
	.p2align	6, 0x0
	.amdhsa_kernel _ZN7rocprim17ROCPRIM_400000_NS6detail17trampoline_kernelINS0_14default_configENS1_38merge_sort_block_merge_config_selectorIlNS0_10empty_typeEEEZZNS1_27merge_sort_block_merge_implIS3_PlPS5_mZN2at6native12_GLOBAL__N_124unique_dim_cuda_templateIlEESt5tupleIJNSA_6TensorESF_SF_EERKSF_lbbbEUlllE_EE10hipError_tT0_T1_T2_jT3_P12ihipStream_tbPNSt15iterator_traitsISL_E10value_typeEPNSR_ISM_E10value_typeEPSN_NS1_7vsmem_tEENKUlT_SL_SM_SN_E_clIS8_S8_S9_S9_EESK_S10_SL_SM_SN_EUlS10_E1_NS1_11comp_targetILNS1_3genE0ELNS1_11target_archE4294967295ELNS1_3gpuE0ELNS1_3repE0EEENS1_36merge_oddeven_config_static_selectorELNS0_4arch9wavefront6targetE0EEEvSM_
		.amdhsa_group_segment_fixed_size 0
		.amdhsa_private_segment_fixed_size 0
		.amdhsa_kernarg_size 64
		.amdhsa_user_sgpr_count 2
		.amdhsa_user_sgpr_dispatch_ptr 0
		.amdhsa_user_sgpr_queue_ptr 0
		.amdhsa_user_sgpr_kernarg_segment_ptr 1
		.amdhsa_user_sgpr_dispatch_id 0
		.amdhsa_user_sgpr_kernarg_preload_length 0
		.amdhsa_user_sgpr_kernarg_preload_offset 0
		.amdhsa_user_sgpr_private_segment_size 0
		.amdhsa_wavefront_size32 1
		.amdhsa_uses_dynamic_stack 0
		.amdhsa_enable_private_segment 0
		.amdhsa_system_sgpr_workgroup_id_x 1
		.amdhsa_system_sgpr_workgroup_id_y 0
		.amdhsa_system_sgpr_workgroup_id_z 0
		.amdhsa_system_sgpr_workgroup_info 0
		.amdhsa_system_vgpr_workitem_id 0
		.amdhsa_next_free_vgpr 20
		.amdhsa_next_free_sgpr 27
		.amdhsa_named_barrier_count 0
		.amdhsa_reserve_vcc 1
		.amdhsa_float_round_mode_32 0
		.amdhsa_float_round_mode_16_64 0
		.amdhsa_float_denorm_mode_32 3
		.amdhsa_float_denorm_mode_16_64 3
		.amdhsa_fp16_overflow 0
		.amdhsa_memory_ordered 1
		.amdhsa_forward_progress 1
		.amdhsa_inst_pref_size 14
		.amdhsa_round_robin_scheduling 0
		.amdhsa_exception_fp_ieee_invalid_op 0
		.amdhsa_exception_fp_denorm_src 0
		.amdhsa_exception_fp_ieee_div_zero 0
		.amdhsa_exception_fp_ieee_overflow 0
		.amdhsa_exception_fp_ieee_underflow 0
		.amdhsa_exception_fp_ieee_inexact 0
		.amdhsa_exception_int_div_zero 0
	.end_amdhsa_kernel
	.section	.text._ZN7rocprim17ROCPRIM_400000_NS6detail17trampoline_kernelINS0_14default_configENS1_38merge_sort_block_merge_config_selectorIlNS0_10empty_typeEEEZZNS1_27merge_sort_block_merge_implIS3_PlPS5_mZN2at6native12_GLOBAL__N_124unique_dim_cuda_templateIlEESt5tupleIJNSA_6TensorESF_SF_EERKSF_lbbbEUlllE_EE10hipError_tT0_T1_T2_jT3_P12ihipStream_tbPNSt15iterator_traitsISL_E10value_typeEPNSR_ISM_E10value_typeEPSN_NS1_7vsmem_tEENKUlT_SL_SM_SN_E_clIS8_S8_S9_S9_EESK_S10_SL_SM_SN_EUlS10_E1_NS1_11comp_targetILNS1_3genE0ELNS1_11target_archE4294967295ELNS1_3gpuE0ELNS1_3repE0EEENS1_36merge_oddeven_config_static_selectorELNS0_4arch9wavefront6targetE0EEEvSM_,"axG",@progbits,_ZN7rocprim17ROCPRIM_400000_NS6detail17trampoline_kernelINS0_14default_configENS1_38merge_sort_block_merge_config_selectorIlNS0_10empty_typeEEEZZNS1_27merge_sort_block_merge_implIS3_PlPS5_mZN2at6native12_GLOBAL__N_124unique_dim_cuda_templateIlEESt5tupleIJNSA_6TensorESF_SF_EERKSF_lbbbEUlllE_EE10hipError_tT0_T1_T2_jT3_P12ihipStream_tbPNSt15iterator_traitsISL_E10value_typeEPNSR_ISM_E10value_typeEPSN_NS1_7vsmem_tEENKUlT_SL_SM_SN_E_clIS8_S8_S9_S9_EESK_S10_SL_SM_SN_EUlS10_E1_NS1_11comp_targetILNS1_3genE0ELNS1_11target_archE4294967295ELNS1_3gpuE0ELNS1_3repE0EEENS1_36merge_oddeven_config_static_selectorELNS0_4arch9wavefront6targetE0EEEvSM_,comdat
.Lfunc_end530:
	.size	_ZN7rocprim17ROCPRIM_400000_NS6detail17trampoline_kernelINS0_14default_configENS1_38merge_sort_block_merge_config_selectorIlNS0_10empty_typeEEEZZNS1_27merge_sort_block_merge_implIS3_PlPS5_mZN2at6native12_GLOBAL__N_124unique_dim_cuda_templateIlEESt5tupleIJNSA_6TensorESF_SF_EERKSF_lbbbEUlllE_EE10hipError_tT0_T1_T2_jT3_P12ihipStream_tbPNSt15iterator_traitsISL_E10value_typeEPNSR_ISM_E10value_typeEPSN_NS1_7vsmem_tEENKUlT_SL_SM_SN_E_clIS8_S8_S9_S9_EESK_S10_SL_SM_SN_EUlS10_E1_NS1_11comp_targetILNS1_3genE0ELNS1_11target_archE4294967295ELNS1_3gpuE0ELNS1_3repE0EEENS1_36merge_oddeven_config_static_selectorELNS0_4arch9wavefront6targetE0EEEvSM_, .Lfunc_end530-_ZN7rocprim17ROCPRIM_400000_NS6detail17trampoline_kernelINS0_14default_configENS1_38merge_sort_block_merge_config_selectorIlNS0_10empty_typeEEEZZNS1_27merge_sort_block_merge_implIS3_PlPS5_mZN2at6native12_GLOBAL__N_124unique_dim_cuda_templateIlEESt5tupleIJNSA_6TensorESF_SF_EERKSF_lbbbEUlllE_EE10hipError_tT0_T1_T2_jT3_P12ihipStream_tbPNSt15iterator_traitsISL_E10value_typeEPNSR_ISM_E10value_typeEPSN_NS1_7vsmem_tEENKUlT_SL_SM_SN_E_clIS8_S8_S9_S9_EESK_S10_SL_SM_SN_EUlS10_E1_NS1_11comp_targetILNS1_3genE0ELNS1_11target_archE4294967295ELNS1_3gpuE0ELNS1_3repE0EEENS1_36merge_oddeven_config_static_selectorELNS0_4arch9wavefront6targetE0EEEvSM_
                                        ; -- End function
	.set _ZN7rocprim17ROCPRIM_400000_NS6detail17trampoline_kernelINS0_14default_configENS1_38merge_sort_block_merge_config_selectorIlNS0_10empty_typeEEEZZNS1_27merge_sort_block_merge_implIS3_PlPS5_mZN2at6native12_GLOBAL__N_124unique_dim_cuda_templateIlEESt5tupleIJNSA_6TensorESF_SF_EERKSF_lbbbEUlllE_EE10hipError_tT0_T1_T2_jT3_P12ihipStream_tbPNSt15iterator_traitsISL_E10value_typeEPNSR_ISM_E10value_typeEPSN_NS1_7vsmem_tEENKUlT_SL_SM_SN_E_clIS8_S8_S9_S9_EESK_S10_SL_SM_SN_EUlS10_E1_NS1_11comp_targetILNS1_3genE0ELNS1_11target_archE4294967295ELNS1_3gpuE0ELNS1_3repE0EEENS1_36merge_oddeven_config_static_selectorELNS0_4arch9wavefront6targetE0EEEvSM_.num_vgpr, 20
	.set _ZN7rocprim17ROCPRIM_400000_NS6detail17trampoline_kernelINS0_14default_configENS1_38merge_sort_block_merge_config_selectorIlNS0_10empty_typeEEEZZNS1_27merge_sort_block_merge_implIS3_PlPS5_mZN2at6native12_GLOBAL__N_124unique_dim_cuda_templateIlEESt5tupleIJNSA_6TensorESF_SF_EERKSF_lbbbEUlllE_EE10hipError_tT0_T1_T2_jT3_P12ihipStream_tbPNSt15iterator_traitsISL_E10value_typeEPNSR_ISM_E10value_typeEPSN_NS1_7vsmem_tEENKUlT_SL_SM_SN_E_clIS8_S8_S9_S9_EESK_S10_SL_SM_SN_EUlS10_E1_NS1_11comp_targetILNS1_3genE0ELNS1_11target_archE4294967295ELNS1_3gpuE0ELNS1_3repE0EEENS1_36merge_oddeven_config_static_selectorELNS0_4arch9wavefront6targetE0EEEvSM_.num_agpr, 0
	.set _ZN7rocprim17ROCPRIM_400000_NS6detail17trampoline_kernelINS0_14default_configENS1_38merge_sort_block_merge_config_selectorIlNS0_10empty_typeEEEZZNS1_27merge_sort_block_merge_implIS3_PlPS5_mZN2at6native12_GLOBAL__N_124unique_dim_cuda_templateIlEESt5tupleIJNSA_6TensorESF_SF_EERKSF_lbbbEUlllE_EE10hipError_tT0_T1_T2_jT3_P12ihipStream_tbPNSt15iterator_traitsISL_E10value_typeEPNSR_ISM_E10value_typeEPSN_NS1_7vsmem_tEENKUlT_SL_SM_SN_E_clIS8_S8_S9_S9_EESK_S10_SL_SM_SN_EUlS10_E1_NS1_11comp_targetILNS1_3genE0ELNS1_11target_archE4294967295ELNS1_3gpuE0ELNS1_3repE0EEENS1_36merge_oddeven_config_static_selectorELNS0_4arch9wavefront6targetE0EEEvSM_.numbered_sgpr, 27
	.set _ZN7rocprim17ROCPRIM_400000_NS6detail17trampoline_kernelINS0_14default_configENS1_38merge_sort_block_merge_config_selectorIlNS0_10empty_typeEEEZZNS1_27merge_sort_block_merge_implIS3_PlPS5_mZN2at6native12_GLOBAL__N_124unique_dim_cuda_templateIlEESt5tupleIJNSA_6TensorESF_SF_EERKSF_lbbbEUlllE_EE10hipError_tT0_T1_T2_jT3_P12ihipStream_tbPNSt15iterator_traitsISL_E10value_typeEPNSR_ISM_E10value_typeEPSN_NS1_7vsmem_tEENKUlT_SL_SM_SN_E_clIS8_S8_S9_S9_EESK_S10_SL_SM_SN_EUlS10_E1_NS1_11comp_targetILNS1_3genE0ELNS1_11target_archE4294967295ELNS1_3gpuE0ELNS1_3repE0EEENS1_36merge_oddeven_config_static_selectorELNS0_4arch9wavefront6targetE0EEEvSM_.num_named_barrier, 0
	.set _ZN7rocprim17ROCPRIM_400000_NS6detail17trampoline_kernelINS0_14default_configENS1_38merge_sort_block_merge_config_selectorIlNS0_10empty_typeEEEZZNS1_27merge_sort_block_merge_implIS3_PlPS5_mZN2at6native12_GLOBAL__N_124unique_dim_cuda_templateIlEESt5tupleIJNSA_6TensorESF_SF_EERKSF_lbbbEUlllE_EE10hipError_tT0_T1_T2_jT3_P12ihipStream_tbPNSt15iterator_traitsISL_E10value_typeEPNSR_ISM_E10value_typeEPSN_NS1_7vsmem_tEENKUlT_SL_SM_SN_E_clIS8_S8_S9_S9_EESK_S10_SL_SM_SN_EUlS10_E1_NS1_11comp_targetILNS1_3genE0ELNS1_11target_archE4294967295ELNS1_3gpuE0ELNS1_3repE0EEENS1_36merge_oddeven_config_static_selectorELNS0_4arch9wavefront6targetE0EEEvSM_.private_seg_size, 0
	.set _ZN7rocprim17ROCPRIM_400000_NS6detail17trampoline_kernelINS0_14default_configENS1_38merge_sort_block_merge_config_selectorIlNS0_10empty_typeEEEZZNS1_27merge_sort_block_merge_implIS3_PlPS5_mZN2at6native12_GLOBAL__N_124unique_dim_cuda_templateIlEESt5tupleIJNSA_6TensorESF_SF_EERKSF_lbbbEUlllE_EE10hipError_tT0_T1_T2_jT3_P12ihipStream_tbPNSt15iterator_traitsISL_E10value_typeEPNSR_ISM_E10value_typeEPSN_NS1_7vsmem_tEENKUlT_SL_SM_SN_E_clIS8_S8_S9_S9_EESK_S10_SL_SM_SN_EUlS10_E1_NS1_11comp_targetILNS1_3genE0ELNS1_11target_archE4294967295ELNS1_3gpuE0ELNS1_3repE0EEENS1_36merge_oddeven_config_static_selectorELNS0_4arch9wavefront6targetE0EEEvSM_.uses_vcc, 1
	.set _ZN7rocprim17ROCPRIM_400000_NS6detail17trampoline_kernelINS0_14default_configENS1_38merge_sort_block_merge_config_selectorIlNS0_10empty_typeEEEZZNS1_27merge_sort_block_merge_implIS3_PlPS5_mZN2at6native12_GLOBAL__N_124unique_dim_cuda_templateIlEESt5tupleIJNSA_6TensorESF_SF_EERKSF_lbbbEUlllE_EE10hipError_tT0_T1_T2_jT3_P12ihipStream_tbPNSt15iterator_traitsISL_E10value_typeEPNSR_ISM_E10value_typeEPSN_NS1_7vsmem_tEENKUlT_SL_SM_SN_E_clIS8_S8_S9_S9_EESK_S10_SL_SM_SN_EUlS10_E1_NS1_11comp_targetILNS1_3genE0ELNS1_11target_archE4294967295ELNS1_3gpuE0ELNS1_3repE0EEENS1_36merge_oddeven_config_static_selectorELNS0_4arch9wavefront6targetE0EEEvSM_.uses_flat_scratch, 0
	.set _ZN7rocprim17ROCPRIM_400000_NS6detail17trampoline_kernelINS0_14default_configENS1_38merge_sort_block_merge_config_selectorIlNS0_10empty_typeEEEZZNS1_27merge_sort_block_merge_implIS3_PlPS5_mZN2at6native12_GLOBAL__N_124unique_dim_cuda_templateIlEESt5tupleIJNSA_6TensorESF_SF_EERKSF_lbbbEUlllE_EE10hipError_tT0_T1_T2_jT3_P12ihipStream_tbPNSt15iterator_traitsISL_E10value_typeEPNSR_ISM_E10value_typeEPSN_NS1_7vsmem_tEENKUlT_SL_SM_SN_E_clIS8_S8_S9_S9_EESK_S10_SL_SM_SN_EUlS10_E1_NS1_11comp_targetILNS1_3genE0ELNS1_11target_archE4294967295ELNS1_3gpuE0ELNS1_3repE0EEENS1_36merge_oddeven_config_static_selectorELNS0_4arch9wavefront6targetE0EEEvSM_.has_dyn_sized_stack, 0
	.set _ZN7rocprim17ROCPRIM_400000_NS6detail17trampoline_kernelINS0_14default_configENS1_38merge_sort_block_merge_config_selectorIlNS0_10empty_typeEEEZZNS1_27merge_sort_block_merge_implIS3_PlPS5_mZN2at6native12_GLOBAL__N_124unique_dim_cuda_templateIlEESt5tupleIJNSA_6TensorESF_SF_EERKSF_lbbbEUlllE_EE10hipError_tT0_T1_T2_jT3_P12ihipStream_tbPNSt15iterator_traitsISL_E10value_typeEPNSR_ISM_E10value_typeEPSN_NS1_7vsmem_tEENKUlT_SL_SM_SN_E_clIS8_S8_S9_S9_EESK_S10_SL_SM_SN_EUlS10_E1_NS1_11comp_targetILNS1_3genE0ELNS1_11target_archE4294967295ELNS1_3gpuE0ELNS1_3repE0EEENS1_36merge_oddeven_config_static_selectorELNS0_4arch9wavefront6targetE0EEEvSM_.has_recursion, 0
	.set _ZN7rocprim17ROCPRIM_400000_NS6detail17trampoline_kernelINS0_14default_configENS1_38merge_sort_block_merge_config_selectorIlNS0_10empty_typeEEEZZNS1_27merge_sort_block_merge_implIS3_PlPS5_mZN2at6native12_GLOBAL__N_124unique_dim_cuda_templateIlEESt5tupleIJNSA_6TensorESF_SF_EERKSF_lbbbEUlllE_EE10hipError_tT0_T1_T2_jT3_P12ihipStream_tbPNSt15iterator_traitsISL_E10value_typeEPNSR_ISM_E10value_typeEPSN_NS1_7vsmem_tEENKUlT_SL_SM_SN_E_clIS8_S8_S9_S9_EESK_S10_SL_SM_SN_EUlS10_E1_NS1_11comp_targetILNS1_3genE0ELNS1_11target_archE4294967295ELNS1_3gpuE0ELNS1_3repE0EEENS1_36merge_oddeven_config_static_selectorELNS0_4arch9wavefront6targetE0EEEvSM_.has_indirect_call, 0
	.section	.AMDGPU.csdata,"",@progbits
; Kernel info:
; codeLenInByte = 1704
; TotalNumSgprs: 29
; NumVgprs: 20
; ScratchSize: 0
; MemoryBound: 0
; FloatMode: 240
; IeeeMode: 1
; LDSByteSize: 0 bytes/workgroup (compile time only)
; SGPRBlocks: 0
; VGPRBlocks: 1
; NumSGPRsForWavesPerEU: 29
; NumVGPRsForWavesPerEU: 20
; NamedBarCnt: 0
; Occupancy: 16
; WaveLimiterHint : 0
; COMPUTE_PGM_RSRC2:SCRATCH_EN: 0
; COMPUTE_PGM_RSRC2:USER_SGPR: 2
; COMPUTE_PGM_RSRC2:TRAP_HANDLER: 0
; COMPUTE_PGM_RSRC2:TGID_X_EN: 1
; COMPUTE_PGM_RSRC2:TGID_Y_EN: 0
; COMPUTE_PGM_RSRC2:TGID_Z_EN: 0
; COMPUTE_PGM_RSRC2:TIDIG_COMP_CNT: 0
	.section	.text._ZN7rocprim17ROCPRIM_400000_NS6detail17trampoline_kernelINS0_14default_configENS1_38merge_sort_block_merge_config_selectorIlNS0_10empty_typeEEEZZNS1_27merge_sort_block_merge_implIS3_PlPS5_mZN2at6native12_GLOBAL__N_124unique_dim_cuda_templateIlEESt5tupleIJNSA_6TensorESF_SF_EERKSF_lbbbEUlllE_EE10hipError_tT0_T1_T2_jT3_P12ihipStream_tbPNSt15iterator_traitsISL_E10value_typeEPNSR_ISM_E10value_typeEPSN_NS1_7vsmem_tEENKUlT_SL_SM_SN_E_clIS8_S8_S9_S9_EESK_S10_SL_SM_SN_EUlS10_E1_NS1_11comp_targetILNS1_3genE10ELNS1_11target_archE1201ELNS1_3gpuE5ELNS1_3repE0EEENS1_36merge_oddeven_config_static_selectorELNS0_4arch9wavefront6targetE0EEEvSM_,"axG",@progbits,_ZN7rocprim17ROCPRIM_400000_NS6detail17trampoline_kernelINS0_14default_configENS1_38merge_sort_block_merge_config_selectorIlNS0_10empty_typeEEEZZNS1_27merge_sort_block_merge_implIS3_PlPS5_mZN2at6native12_GLOBAL__N_124unique_dim_cuda_templateIlEESt5tupleIJNSA_6TensorESF_SF_EERKSF_lbbbEUlllE_EE10hipError_tT0_T1_T2_jT3_P12ihipStream_tbPNSt15iterator_traitsISL_E10value_typeEPNSR_ISM_E10value_typeEPSN_NS1_7vsmem_tEENKUlT_SL_SM_SN_E_clIS8_S8_S9_S9_EESK_S10_SL_SM_SN_EUlS10_E1_NS1_11comp_targetILNS1_3genE10ELNS1_11target_archE1201ELNS1_3gpuE5ELNS1_3repE0EEENS1_36merge_oddeven_config_static_selectorELNS0_4arch9wavefront6targetE0EEEvSM_,comdat
	.globl	_ZN7rocprim17ROCPRIM_400000_NS6detail17trampoline_kernelINS0_14default_configENS1_38merge_sort_block_merge_config_selectorIlNS0_10empty_typeEEEZZNS1_27merge_sort_block_merge_implIS3_PlPS5_mZN2at6native12_GLOBAL__N_124unique_dim_cuda_templateIlEESt5tupleIJNSA_6TensorESF_SF_EERKSF_lbbbEUlllE_EE10hipError_tT0_T1_T2_jT3_P12ihipStream_tbPNSt15iterator_traitsISL_E10value_typeEPNSR_ISM_E10value_typeEPSN_NS1_7vsmem_tEENKUlT_SL_SM_SN_E_clIS8_S8_S9_S9_EESK_S10_SL_SM_SN_EUlS10_E1_NS1_11comp_targetILNS1_3genE10ELNS1_11target_archE1201ELNS1_3gpuE5ELNS1_3repE0EEENS1_36merge_oddeven_config_static_selectorELNS0_4arch9wavefront6targetE0EEEvSM_ ; -- Begin function _ZN7rocprim17ROCPRIM_400000_NS6detail17trampoline_kernelINS0_14default_configENS1_38merge_sort_block_merge_config_selectorIlNS0_10empty_typeEEEZZNS1_27merge_sort_block_merge_implIS3_PlPS5_mZN2at6native12_GLOBAL__N_124unique_dim_cuda_templateIlEESt5tupleIJNSA_6TensorESF_SF_EERKSF_lbbbEUlllE_EE10hipError_tT0_T1_T2_jT3_P12ihipStream_tbPNSt15iterator_traitsISL_E10value_typeEPNSR_ISM_E10value_typeEPSN_NS1_7vsmem_tEENKUlT_SL_SM_SN_E_clIS8_S8_S9_S9_EESK_S10_SL_SM_SN_EUlS10_E1_NS1_11comp_targetILNS1_3genE10ELNS1_11target_archE1201ELNS1_3gpuE5ELNS1_3repE0EEENS1_36merge_oddeven_config_static_selectorELNS0_4arch9wavefront6targetE0EEEvSM_
	.p2align	8
	.type	_ZN7rocprim17ROCPRIM_400000_NS6detail17trampoline_kernelINS0_14default_configENS1_38merge_sort_block_merge_config_selectorIlNS0_10empty_typeEEEZZNS1_27merge_sort_block_merge_implIS3_PlPS5_mZN2at6native12_GLOBAL__N_124unique_dim_cuda_templateIlEESt5tupleIJNSA_6TensorESF_SF_EERKSF_lbbbEUlllE_EE10hipError_tT0_T1_T2_jT3_P12ihipStream_tbPNSt15iterator_traitsISL_E10value_typeEPNSR_ISM_E10value_typeEPSN_NS1_7vsmem_tEENKUlT_SL_SM_SN_E_clIS8_S8_S9_S9_EESK_S10_SL_SM_SN_EUlS10_E1_NS1_11comp_targetILNS1_3genE10ELNS1_11target_archE1201ELNS1_3gpuE5ELNS1_3repE0EEENS1_36merge_oddeven_config_static_selectorELNS0_4arch9wavefront6targetE0EEEvSM_,@function
_ZN7rocprim17ROCPRIM_400000_NS6detail17trampoline_kernelINS0_14default_configENS1_38merge_sort_block_merge_config_selectorIlNS0_10empty_typeEEEZZNS1_27merge_sort_block_merge_implIS3_PlPS5_mZN2at6native12_GLOBAL__N_124unique_dim_cuda_templateIlEESt5tupleIJNSA_6TensorESF_SF_EERKSF_lbbbEUlllE_EE10hipError_tT0_T1_T2_jT3_P12ihipStream_tbPNSt15iterator_traitsISL_E10value_typeEPNSR_ISM_E10value_typeEPSN_NS1_7vsmem_tEENKUlT_SL_SM_SN_E_clIS8_S8_S9_S9_EESK_S10_SL_SM_SN_EUlS10_E1_NS1_11comp_targetILNS1_3genE10ELNS1_11target_archE1201ELNS1_3gpuE5ELNS1_3repE0EEENS1_36merge_oddeven_config_static_selectorELNS0_4arch9wavefront6targetE0EEEvSM_: ; @_ZN7rocprim17ROCPRIM_400000_NS6detail17trampoline_kernelINS0_14default_configENS1_38merge_sort_block_merge_config_selectorIlNS0_10empty_typeEEEZZNS1_27merge_sort_block_merge_implIS3_PlPS5_mZN2at6native12_GLOBAL__N_124unique_dim_cuda_templateIlEESt5tupleIJNSA_6TensorESF_SF_EERKSF_lbbbEUlllE_EE10hipError_tT0_T1_T2_jT3_P12ihipStream_tbPNSt15iterator_traitsISL_E10value_typeEPNSR_ISM_E10value_typeEPSN_NS1_7vsmem_tEENKUlT_SL_SM_SN_E_clIS8_S8_S9_S9_EESK_S10_SL_SM_SN_EUlS10_E1_NS1_11comp_targetILNS1_3genE10ELNS1_11target_archE1201ELNS1_3gpuE5ELNS1_3repE0EEENS1_36merge_oddeven_config_static_selectorELNS0_4arch9wavefront6targetE0EEEvSM_
; %bb.0:
	.section	.rodata,"a",@progbits
	.p2align	6, 0x0
	.amdhsa_kernel _ZN7rocprim17ROCPRIM_400000_NS6detail17trampoline_kernelINS0_14default_configENS1_38merge_sort_block_merge_config_selectorIlNS0_10empty_typeEEEZZNS1_27merge_sort_block_merge_implIS3_PlPS5_mZN2at6native12_GLOBAL__N_124unique_dim_cuda_templateIlEESt5tupleIJNSA_6TensorESF_SF_EERKSF_lbbbEUlllE_EE10hipError_tT0_T1_T2_jT3_P12ihipStream_tbPNSt15iterator_traitsISL_E10value_typeEPNSR_ISM_E10value_typeEPSN_NS1_7vsmem_tEENKUlT_SL_SM_SN_E_clIS8_S8_S9_S9_EESK_S10_SL_SM_SN_EUlS10_E1_NS1_11comp_targetILNS1_3genE10ELNS1_11target_archE1201ELNS1_3gpuE5ELNS1_3repE0EEENS1_36merge_oddeven_config_static_selectorELNS0_4arch9wavefront6targetE0EEEvSM_
		.amdhsa_group_segment_fixed_size 0
		.amdhsa_private_segment_fixed_size 0
		.amdhsa_kernarg_size 64
		.amdhsa_user_sgpr_count 2
		.amdhsa_user_sgpr_dispatch_ptr 0
		.amdhsa_user_sgpr_queue_ptr 0
		.amdhsa_user_sgpr_kernarg_segment_ptr 1
		.amdhsa_user_sgpr_dispatch_id 0
		.amdhsa_user_sgpr_kernarg_preload_length 0
		.amdhsa_user_sgpr_kernarg_preload_offset 0
		.amdhsa_user_sgpr_private_segment_size 0
		.amdhsa_wavefront_size32 1
		.amdhsa_uses_dynamic_stack 0
		.amdhsa_enable_private_segment 0
		.amdhsa_system_sgpr_workgroup_id_x 1
		.amdhsa_system_sgpr_workgroup_id_y 0
		.amdhsa_system_sgpr_workgroup_id_z 0
		.amdhsa_system_sgpr_workgroup_info 0
		.amdhsa_system_vgpr_workitem_id 0
		.amdhsa_next_free_vgpr 1
		.amdhsa_next_free_sgpr 1
		.amdhsa_named_barrier_count 0
		.amdhsa_reserve_vcc 0
		.amdhsa_float_round_mode_32 0
		.amdhsa_float_round_mode_16_64 0
		.amdhsa_float_denorm_mode_32 3
		.amdhsa_float_denorm_mode_16_64 3
		.amdhsa_fp16_overflow 0
		.amdhsa_memory_ordered 1
		.amdhsa_forward_progress 1
		.amdhsa_inst_pref_size 0
		.amdhsa_round_robin_scheduling 0
		.amdhsa_exception_fp_ieee_invalid_op 0
		.amdhsa_exception_fp_denorm_src 0
		.amdhsa_exception_fp_ieee_div_zero 0
		.amdhsa_exception_fp_ieee_overflow 0
		.amdhsa_exception_fp_ieee_underflow 0
		.amdhsa_exception_fp_ieee_inexact 0
		.amdhsa_exception_int_div_zero 0
	.end_amdhsa_kernel
	.section	.text._ZN7rocprim17ROCPRIM_400000_NS6detail17trampoline_kernelINS0_14default_configENS1_38merge_sort_block_merge_config_selectorIlNS0_10empty_typeEEEZZNS1_27merge_sort_block_merge_implIS3_PlPS5_mZN2at6native12_GLOBAL__N_124unique_dim_cuda_templateIlEESt5tupleIJNSA_6TensorESF_SF_EERKSF_lbbbEUlllE_EE10hipError_tT0_T1_T2_jT3_P12ihipStream_tbPNSt15iterator_traitsISL_E10value_typeEPNSR_ISM_E10value_typeEPSN_NS1_7vsmem_tEENKUlT_SL_SM_SN_E_clIS8_S8_S9_S9_EESK_S10_SL_SM_SN_EUlS10_E1_NS1_11comp_targetILNS1_3genE10ELNS1_11target_archE1201ELNS1_3gpuE5ELNS1_3repE0EEENS1_36merge_oddeven_config_static_selectorELNS0_4arch9wavefront6targetE0EEEvSM_,"axG",@progbits,_ZN7rocprim17ROCPRIM_400000_NS6detail17trampoline_kernelINS0_14default_configENS1_38merge_sort_block_merge_config_selectorIlNS0_10empty_typeEEEZZNS1_27merge_sort_block_merge_implIS3_PlPS5_mZN2at6native12_GLOBAL__N_124unique_dim_cuda_templateIlEESt5tupleIJNSA_6TensorESF_SF_EERKSF_lbbbEUlllE_EE10hipError_tT0_T1_T2_jT3_P12ihipStream_tbPNSt15iterator_traitsISL_E10value_typeEPNSR_ISM_E10value_typeEPSN_NS1_7vsmem_tEENKUlT_SL_SM_SN_E_clIS8_S8_S9_S9_EESK_S10_SL_SM_SN_EUlS10_E1_NS1_11comp_targetILNS1_3genE10ELNS1_11target_archE1201ELNS1_3gpuE5ELNS1_3repE0EEENS1_36merge_oddeven_config_static_selectorELNS0_4arch9wavefront6targetE0EEEvSM_,comdat
.Lfunc_end531:
	.size	_ZN7rocprim17ROCPRIM_400000_NS6detail17trampoline_kernelINS0_14default_configENS1_38merge_sort_block_merge_config_selectorIlNS0_10empty_typeEEEZZNS1_27merge_sort_block_merge_implIS3_PlPS5_mZN2at6native12_GLOBAL__N_124unique_dim_cuda_templateIlEESt5tupleIJNSA_6TensorESF_SF_EERKSF_lbbbEUlllE_EE10hipError_tT0_T1_T2_jT3_P12ihipStream_tbPNSt15iterator_traitsISL_E10value_typeEPNSR_ISM_E10value_typeEPSN_NS1_7vsmem_tEENKUlT_SL_SM_SN_E_clIS8_S8_S9_S9_EESK_S10_SL_SM_SN_EUlS10_E1_NS1_11comp_targetILNS1_3genE10ELNS1_11target_archE1201ELNS1_3gpuE5ELNS1_3repE0EEENS1_36merge_oddeven_config_static_selectorELNS0_4arch9wavefront6targetE0EEEvSM_, .Lfunc_end531-_ZN7rocprim17ROCPRIM_400000_NS6detail17trampoline_kernelINS0_14default_configENS1_38merge_sort_block_merge_config_selectorIlNS0_10empty_typeEEEZZNS1_27merge_sort_block_merge_implIS3_PlPS5_mZN2at6native12_GLOBAL__N_124unique_dim_cuda_templateIlEESt5tupleIJNSA_6TensorESF_SF_EERKSF_lbbbEUlllE_EE10hipError_tT0_T1_T2_jT3_P12ihipStream_tbPNSt15iterator_traitsISL_E10value_typeEPNSR_ISM_E10value_typeEPSN_NS1_7vsmem_tEENKUlT_SL_SM_SN_E_clIS8_S8_S9_S9_EESK_S10_SL_SM_SN_EUlS10_E1_NS1_11comp_targetILNS1_3genE10ELNS1_11target_archE1201ELNS1_3gpuE5ELNS1_3repE0EEENS1_36merge_oddeven_config_static_selectorELNS0_4arch9wavefront6targetE0EEEvSM_
                                        ; -- End function
	.set _ZN7rocprim17ROCPRIM_400000_NS6detail17trampoline_kernelINS0_14default_configENS1_38merge_sort_block_merge_config_selectorIlNS0_10empty_typeEEEZZNS1_27merge_sort_block_merge_implIS3_PlPS5_mZN2at6native12_GLOBAL__N_124unique_dim_cuda_templateIlEESt5tupleIJNSA_6TensorESF_SF_EERKSF_lbbbEUlllE_EE10hipError_tT0_T1_T2_jT3_P12ihipStream_tbPNSt15iterator_traitsISL_E10value_typeEPNSR_ISM_E10value_typeEPSN_NS1_7vsmem_tEENKUlT_SL_SM_SN_E_clIS8_S8_S9_S9_EESK_S10_SL_SM_SN_EUlS10_E1_NS1_11comp_targetILNS1_3genE10ELNS1_11target_archE1201ELNS1_3gpuE5ELNS1_3repE0EEENS1_36merge_oddeven_config_static_selectorELNS0_4arch9wavefront6targetE0EEEvSM_.num_vgpr, 0
	.set _ZN7rocprim17ROCPRIM_400000_NS6detail17trampoline_kernelINS0_14default_configENS1_38merge_sort_block_merge_config_selectorIlNS0_10empty_typeEEEZZNS1_27merge_sort_block_merge_implIS3_PlPS5_mZN2at6native12_GLOBAL__N_124unique_dim_cuda_templateIlEESt5tupleIJNSA_6TensorESF_SF_EERKSF_lbbbEUlllE_EE10hipError_tT0_T1_T2_jT3_P12ihipStream_tbPNSt15iterator_traitsISL_E10value_typeEPNSR_ISM_E10value_typeEPSN_NS1_7vsmem_tEENKUlT_SL_SM_SN_E_clIS8_S8_S9_S9_EESK_S10_SL_SM_SN_EUlS10_E1_NS1_11comp_targetILNS1_3genE10ELNS1_11target_archE1201ELNS1_3gpuE5ELNS1_3repE0EEENS1_36merge_oddeven_config_static_selectorELNS0_4arch9wavefront6targetE0EEEvSM_.num_agpr, 0
	.set _ZN7rocprim17ROCPRIM_400000_NS6detail17trampoline_kernelINS0_14default_configENS1_38merge_sort_block_merge_config_selectorIlNS0_10empty_typeEEEZZNS1_27merge_sort_block_merge_implIS3_PlPS5_mZN2at6native12_GLOBAL__N_124unique_dim_cuda_templateIlEESt5tupleIJNSA_6TensorESF_SF_EERKSF_lbbbEUlllE_EE10hipError_tT0_T1_T2_jT3_P12ihipStream_tbPNSt15iterator_traitsISL_E10value_typeEPNSR_ISM_E10value_typeEPSN_NS1_7vsmem_tEENKUlT_SL_SM_SN_E_clIS8_S8_S9_S9_EESK_S10_SL_SM_SN_EUlS10_E1_NS1_11comp_targetILNS1_3genE10ELNS1_11target_archE1201ELNS1_3gpuE5ELNS1_3repE0EEENS1_36merge_oddeven_config_static_selectorELNS0_4arch9wavefront6targetE0EEEvSM_.numbered_sgpr, 0
	.set _ZN7rocprim17ROCPRIM_400000_NS6detail17trampoline_kernelINS0_14default_configENS1_38merge_sort_block_merge_config_selectorIlNS0_10empty_typeEEEZZNS1_27merge_sort_block_merge_implIS3_PlPS5_mZN2at6native12_GLOBAL__N_124unique_dim_cuda_templateIlEESt5tupleIJNSA_6TensorESF_SF_EERKSF_lbbbEUlllE_EE10hipError_tT0_T1_T2_jT3_P12ihipStream_tbPNSt15iterator_traitsISL_E10value_typeEPNSR_ISM_E10value_typeEPSN_NS1_7vsmem_tEENKUlT_SL_SM_SN_E_clIS8_S8_S9_S9_EESK_S10_SL_SM_SN_EUlS10_E1_NS1_11comp_targetILNS1_3genE10ELNS1_11target_archE1201ELNS1_3gpuE5ELNS1_3repE0EEENS1_36merge_oddeven_config_static_selectorELNS0_4arch9wavefront6targetE0EEEvSM_.num_named_barrier, 0
	.set _ZN7rocprim17ROCPRIM_400000_NS6detail17trampoline_kernelINS0_14default_configENS1_38merge_sort_block_merge_config_selectorIlNS0_10empty_typeEEEZZNS1_27merge_sort_block_merge_implIS3_PlPS5_mZN2at6native12_GLOBAL__N_124unique_dim_cuda_templateIlEESt5tupleIJNSA_6TensorESF_SF_EERKSF_lbbbEUlllE_EE10hipError_tT0_T1_T2_jT3_P12ihipStream_tbPNSt15iterator_traitsISL_E10value_typeEPNSR_ISM_E10value_typeEPSN_NS1_7vsmem_tEENKUlT_SL_SM_SN_E_clIS8_S8_S9_S9_EESK_S10_SL_SM_SN_EUlS10_E1_NS1_11comp_targetILNS1_3genE10ELNS1_11target_archE1201ELNS1_3gpuE5ELNS1_3repE0EEENS1_36merge_oddeven_config_static_selectorELNS0_4arch9wavefront6targetE0EEEvSM_.private_seg_size, 0
	.set _ZN7rocprim17ROCPRIM_400000_NS6detail17trampoline_kernelINS0_14default_configENS1_38merge_sort_block_merge_config_selectorIlNS0_10empty_typeEEEZZNS1_27merge_sort_block_merge_implIS3_PlPS5_mZN2at6native12_GLOBAL__N_124unique_dim_cuda_templateIlEESt5tupleIJNSA_6TensorESF_SF_EERKSF_lbbbEUlllE_EE10hipError_tT0_T1_T2_jT3_P12ihipStream_tbPNSt15iterator_traitsISL_E10value_typeEPNSR_ISM_E10value_typeEPSN_NS1_7vsmem_tEENKUlT_SL_SM_SN_E_clIS8_S8_S9_S9_EESK_S10_SL_SM_SN_EUlS10_E1_NS1_11comp_targetILNS1_3genE10ELNS1_11target_archE1201ELNS1_3gpuE5ELNS1_3repE0EEENS1_36merge_oddeven_config_static_selectorELNS0_4arch9wavefront6targetE0EEEvSM_.uses_vcc, 0
	.set _ZN7rocprim17ROCPRIM_400000_NS6detail17trampoline_kernelINS0_14default_configENS1_38merge_sort_block_merge_config_selectorIlNS0_10empty_typeEEEZZNS1_27merge_sort_block_merge_implIS3_PlPS5_mZN2at6native12_GLOBAL__N_124unique_dim_cuda_templateIlEESt5tupleIJNSA_6TensorESF_SF_EERKSF_lbbbEUlllE_EE10hipError_tT0_T1_T2_jT3_P12ihipStream_tbPNSt15iterator_traitsISL_E10value_typeEPNSR_ISM_E10value_typeEPSN_NS1_7vsmem_tEENKUlT_SL_SM_SN_E_clIS8_S8_S9_S9_EESK_S10_SL_SM_SN_EUlS10_E1_NS1_11comp_targetILNS1_3genE10ELNS1_11target_archE1201ELNS1_3gpuE5ELNS1_3repE0EEENS1_36merge_oddeven_config_static_selectorELNS0_4arch9wavefront6targetE0EEEvSM_.uses_flat_scratch, 0
	.set _ZN7rocprim17ROCPRIM_400000_NS6detail17trampoline_kernelINS0_14default_configENS1_38merge_sort_block_merge_config_selectorIlNS0_10empty_typeEEEZZNS1_27merge_sort_block_merge_implIS3_PlPS5_mZN2at6native12_GLOBAL__N_124unique_dim_cuda_templateIlEESt5tupleIJNSA_6TensorESF_SF_EERKSF_lbbbEUlllE_EE10hipError_tT0_T1_T2_jT3_P12ihipStream_tbPNSt15iterator_traitsISL_E10value_typeEPNSR_ISM_E10value_typeEPSN_NS1_7vsmem_tEENKUlT_SL_SM_SN_E_clIS8_S8_S9_S9_EESK_S10_SL_SM_SN_EUlS10_E1_NS1_11comp_targetILNS1_3genE10ELNS1_11target_archE1201ELNS1_3gpuE5ELNS1_3repE0EEENS1_36merge_oddeven_config_static_selectorELNS0_4arch9wavefront6targetE0EEEvSM_.has_dyn_sized_stack, 0
	.set _ZN7rocprim17ROCPRIM_400000_NS6detail17trampoline_kernelINS0_14default_configENS1_38merge_sort_block_merge_config_selectorIlNS0_10empty_typeEEEZZNS1_27merge_sort_block_merge_implIS3_PlPS5_mZN2at6native12_GLOBAL__N_124unique_dim_cuda_templateIlEESt5tupleIJNSA_6TensorESF_SF_EERKSF_lbbbEUlllE_EE10hipError_tT0_T1_T2_jT3_P12ihipStream_tbPNSt15iterator_traitsISL_E10value_typeEPNSR_ISM_E10value_typeEPSN_NS1_7vsmem_tEENKUlT_SL_SM_SN_E_clIS8_S8_S9_S9_EESK_S10_SL_SM_SN_EUlS10_E1_NS1_11comp_targetILNS1_3genE10ELNS1_11target_archE1201ELNS1_3gpuE5ELNS1_3repE0EEENS1_36merge_oddeven_config_static_selectorELNS0_4arch9wavefront6targetE0EEEvSM_.has_recursion, 0
	.set _ZN7rocprim17ROCPRIM_400000_NS6detail17trampoline_kernelINS0_14default_configENS1_38merge_sort_block_merge_config_selectorIlNS0_10empty_typeEEEZZNS1_27merge_sort_block_merge_implIS3_PlPS5_mZN2at6native12_GLOBAL__N_124unique_dim_cuda_templateIlEESt5tupleIJNSA_6TensorESF_SF_EERKSF_lbbbEUlllE_EE10hipError_tT0_T1_T2_jT3_P12ihipStream_tbPNSt15iterator_traitsISL_E10value_typeEPNSR_ISM_E10value_typeEPSN_NS1_7vsmem_tEENKUlT_SL_SM_SN_E_clIS8_S8_S9_S9_EESK_S10_SL_SM_SN_EUlS10_E1_NS1_11comp_targetILNS1_3genE10ELNS1_11target_archE1201ELNS1_3gpuE5ELNS1_3repE0EEENS1_36merge_oddeven_config_static_selectorELNS0_4arch9wavefront6targetE0EEEvSM_.has_indirect_call, 0
	.section	.AMDGPU.csdata,"",@progbits
; Kernel info:
; codeLenInByte = 0
; TotalNumSgprs: 0
; NumVgprs: 0
; ScratchSize: 0
; MemoryBound: 0
; FloatMode: 240
; IeeeMode: 1
; LDSByteSize: 0 bytes/workgroup (compile time only)
; SGPRBlocks: 0
; VGPRBlocks: 0
; NumSGPRsForWavesPerEU: 1
; NumVGPRsForWavesPerEU: 1
; NamedBarCnt: 0
; Occupancy: 16
; WaveLimiterHint : 0
; COMPUTE_PGM_RSRC2:SCRATCH_EN: 0
; COMPUTE_PGM_RSRC2:USER_SGPR: 2
; COMPUTE_PGM_RSRC2:TRAP_HANDLER: 0
; COMPUTE_PGM_RSRC2:TGID_X_EN: 1
; COMPUTE_PGM_RSRC2:TGID_Y_EN: 0
; COMPUTE_PGM_RSRC2:TGID_Z_EN: 0
; COMPUTE_PGM_RSRC2:TIDIG_COMP_CNT: 0
	.section	.text._ZN7rocprim17ROCPRIM_400000_NS6detail17trampoline_kernelINS0_14default_configENS1_38merge_sort_block_merge_config_selectorIlNS0_10empty_typeEEEZZNS1_27merge_sort_block_merge_implIS3_PlPS5_mZN2at6native12_GLOBAL__N_124unique_dim_cuda_templateIlEESt5tupleIJNSA_6TensorESF_SF_EERKSF_lbbbEUlllE_EE10hipError_tT0_T1_T2_jT3_P12ihipStream_tbPNSt15iterator_traitsISL_E10value_typeEPNSR_ISM_E10value_typeEPSN_NS1_7vsmem_tEENKUlT_SL_SM_SN_E_clIS8_S8_S9_S9_EESK_S10_SL_SM_SN_EUlS10_E1_NS1_11comp_targetILNS1_3genE5ELNS1_11target_archE942ELNS1_3gpuE9ELNS1_3repE0EEENS1_36merge_oddeven_config_static_selectorELNS0_4arch9wavefront6targetE0EEEvSM_,"axG",@progbits,_ZN7rocprim17ROCPRIM_400000_NS6detail17trampoline_kernelINS0_14default_configENS1_38merge_sort_block_merge_config_selectorIlNS0_10empty_typeEEEZZNS1_27merge_sort_block_merge_implIS3_PlPS5_mZN2at6native12_GLOBAL__N_124unique_dim_cuda_templateIlEESt5tupleIJNSA_6TensorESF_SF_EERKSF_lbbbEUlllE_EE10hipError_tT0_T1_T2_jT3_P12ihipStream_tbPNSt15iterator_traitsISL_E10value_typeEPNSR_ISM_E10value_typeEPSN_NS1_7vsmem_tEENKUlT_SL_SM_SN_E_clIS8_S8_S9_S9_EESK_S10_SL_SM_SN_EUlS10_E1_NS1_11comp_targetILNS1_3genE5ELNS1_11target_archE942ELNS1_3gpuE9ELNS1_3repE0EEENS1_36merge_oddeven_config_static_selectorELNS0_4arch9wavefront6targetE0EEEvSM_,comdat
	.globl	_ZN7rocprim17ROCPRIM_400000_NS6detail17trampoline_kernelINS0_14default_configENS1_38merge_sort_block_merge_config_selectorIlNS0_10empty_typeEEEZZNS1_27merge_sort_block_merge_implIS3_PlPS5_mZN2at6native12_GLOBAL__N_124unique_dim_cuda_templateIlEESt5tupleIJNSA_6TensorESF_SF_EERKSF_lbbbEUlllE_EE10hipError_tT0_T1_T2_jT3_P12ihipStream_tbPNSt15iterator_traitsISL_E10value_typeEPNSR_ISM_E10value_typeEPSN_NS1_7vsmem_tEENKUlT_SL_SM_SN_E_clIS8_S8_S9_S9_EESK_S10_SL_SM_SN_EUlS10_E1_NS1_11comp_targetILNS1_3genE5ELNS1_11target_archE942ELNS1_3gpuE9ELNS1_3repE0EEENS1_36merge_oddeven_config_static_selectorELNS0_4arch9wavefront6targetE0EEEvSM_ ; -- Begin function _ZN7rocprim17ROCPRIM_400000_NS6detail17trampoline_kernelINS0_14default_configENS1_38merge_sort_block_merge_config_selectorIlNS0_10empty_typeEEEZZNS1_27merge_sort_block_merge_implIS3_PlPS5_mZN2at6native12_GLOBAL__N_124unique_dim_cuda_templateIlEESt5tupleIJNSA_6TensorESF_SF_EERKSF_lbbbEUlllE_EE10hipError_tT0_T1_T2_jT3_P12ihipStream_tbPNSt15iterator_traitsISL_E10value_typeEPNSR_ISM_E10value_typeEPSN_NS1_7vsmem_tEENKUlT_SL_SM_SN_E_clIS8_S8_S9_S9_EESK_S10_SL_SM_SN_EUlS10_E1_NS1_11comp_targetILNS1_3genE5ELNS1_11target_archE942ELNS1_3gpuE9ELNS1_3repE0EEENS1_36merge_oddeven_config_static_selectorELNS0_4arch9wavefront6targetE0EEEvSM_
	.p2align	8
	.type	_ZN7rocprim17ROCPRIM_400000_NS6detail17trampoline_kernelINS0_14default_configENS1_38merge_sort_block_merge_config_selectorIlNS0_10empty_typeEEEZZNS1_27merge_sort_block_merge_implIS3_PlPS5_mZN2at6native12_GLOBAL__N_124unique_dim_cuda_templateIlEESt5tupleIJNSA_6TensorESF_SF_EERKSF_lbbbEUlllE_EE10hipError_tT0_T1_T2_jT3_P12ihipStream_tbPNSt15iterator_traitsISL_E10value_typeEPNSR_ISM_E10value_typeEPSN_NS1_7vsmem_tEENKUlT_SL_SM_SN_E_clIS8_S8_S9_S9_EESK_S10_SL_SM_SN_EUlS10_E1_NS1_11comp_targetILNS1_3genE5ELNS1_11target_archE942ELNS1_3gpuE9ELNS1_3repE0EEENS1_36merge_oddeven_config_static_selectorELNS0_4arch9wavefront6targetE0EEEvSM_,@function
_ZN7rocprim17ROCPRIM_400000_NS6detail17trampoline_kernelINS0_14default_configENS1_38merge_sort_block_merge_config_selectorIlNS0_10empty_typeEEEZZNS1_27merge_sort_block_merge_implIS3_PlPS5_mZN2at6native12_GLOBAL__N_124unique_dim_cuda_templateIlEESt5tupleIJNSA_6TensorESF_SF_EERKSF_lbbbEUlllE_EE10hipError_tT0_T1_T2_jT3_P12ihipStream_tbPNSt15iterator_traitsISL_E10value_typeEPNSR_ISM_E10value_typeEPSN_NS1_7vsmem_tEENKUlT_SL_SM_SN_E_clIS8_S8_S9_S9_EESK_S10_SL_SM_SN_EUlS10_E1_NS1_11comp_targetILNS1_3genE5ELNS1_11target_archE942ELNS1_3gpuE9ELNS1_3repE0EEENS1_36merge_oddeven_config_static_selectorELNS0_4arch9wavefront6targetE0EEEvSM_: ; @_ZN7rocprim17ROCPRIM_400000_NS6detail17trampoline_kernelINS0_14default_configENS1_38merge_sort_block_merge_config_selectorIlNS0_10empty_typeEEEZZNS1_27merge_sort_block_merge_implIS3_PlPS5_mZN2at6native12_GLOBAL__N_124unique_dim_cuda_templateIlEESt5tupleIJNSA_6TensorESF_SF_EERKSF_lbbbEUlllE_EE10hipError_tT0_T1_T2_jT3_P12ihipStream_tbPNSt15iterator_traitsISL_E10value_typeEPNSR_ISM_E10value_typeEPSN_NS1_7vsmem_tEENKUlT_SL_SM_SN_E_clIS8_S8_S9_S9_EESK_S10_SL_SM_SN_EUlS10_E1_NS1_11comp_targetILNS1_3genE5ELNS1_11target_archE942ELNS1_3gpuE9ELNS1_3repE0EEENS1_36merge_oddeven_config_static_selectorELNS0_4arch9wavefront6targetE0EEEvSM_
; %bb.0:
	.section	.rodata,"a",@progbits
	.p2align	6, 0x0
	.amdhsa_kernel _ZN7rocprim17ROCPRIM_400000_NS6detail17trampoline_kernelINS0_14default_configENS1_38merge_sort_block_merge_config_selectorIlNS0_10empty_typeEEEZZNS1_27merge_sort_block_merge_implIS3_PlPS5_mZN2at6native12_GLOBAL__N_124unique_dim_cuda_templateIlEESt5tupleIJNSA_6TensorESF_SF_EERKSF_lbbbEUlllE_EE10hipError_tT0_T1_T2_jT3_P12ihipStream_tbPNSt15iterator_traitsISL_E10value_typeEPNSR_ISM_E10value_typeEPSN_NS1_7vsmem_tEENKUlT_SL_SM_SN_E_clIS8_S8_S9_S9_EESK_S10_SL_SM_SN_EUlS10_E1_NS1_11comp_targetILNS1_3genE5ELNS1_11target_archE942ELNS1_3gpuE9ELNS1_3repE0EEENS1_36merge_oddeven_config_static_selectorELNS0_4arch9wavefront6targetE0EEEvSM_
		.amdhsa_group_segment_fixed_size 0
		.amdhsa_private_segment_fixed_size 0
		.amdhsa_kernarg_size 64
		.amdhsa_user_sgpr_count 2
		.amdhsa_user_sgpr_dispatch_ptr 0
		.amdhsa_user_sgpr_queue_ptr 0
		.amdhsa_user_sgpr_kernarg_segment_ptr 1
		.amdhsa_user_sgpr_dispatch_id 0
		.amdhsa_user_sgpr_kernarg_preload_length 0
		.amdhsa_user_sgpr_kernarg_preload_offset 0
		.amdhsa_user_sgpr_private_segment_size 0
		.amdhsa_wavefront_size32 1
		.amdhsa_uses_dynamic_stack 0
		.amdhsa_enable_private_segment 0
		.amdhsa_system_sgpr_workgroup_id_x 1
		.amdhsa_system_sgpr_workgroup_id_y 0
		.amdhsa_system_sgpr_workgroup_id_z 0
		.amdhsa_system_sgpr_workgroup_info 0
		.amdhsa_system_vgpr_workitem_id 0
		.amdhsa_next_free_vgpr 1
		.amdhsa_next_free_sgpr 1
		.amdhsa_named_barrier_count 0
		.amdhsa_reserve_vcc 0
		.amdhsa_float_round_mode_32 0
		.amdhsa_float_round_mode_16_64 0
		.amdhsa_float_denorm_mode_32 3
		.amdhsa_float_denorm_mode_16_64 3
		.amdhsa_fp16_overflow 0
		.amdhsa_memory_ordered 1
		.amdhsa_forward_progress 1
		.amdhsa_inst_pref_size 0
		.amdhsa_round_robin_scheduling 0
		.amdhsa_exception_fp_ieee_invalid_op 0
		.amdhsa_exception_fp_denorm_src 0
		.amdhsa_exception_fp_ieee_div_zero 0
		.amdhsa_exception_fp_ieee_overflow 0
		.amdhsa_exception_fp_ieee_underflow 0
		.amdhsa_exception_fp_ieee_inexact 0
		.amdhsa_exception_int_div_zero 0
	.end_amdhsa_kernel
	.section	.text._ZN7rocprim17ROCPRIM_400000_NS6detail17trampoline_kernelINS0_14default_configENS1_38merge_sort_block_merge_config_selectorIlNS0_10empty_typeEEEZZNS1_27merge_sort_block_merge_implIS3_PlPS5_mZN2at6native12_GLOBAL__N_124unique_dim_cuda_templateIlEESt5tupleIJNSA_6TensorESF_SF_EERKSF_lbbbEUlllE_EE10hipError_tT0_T1_T2_jT3_P12ihipStream_tbPNSt15iterator_traitsISL_E10value_typeEPNSR_ISM_E10value_typeEPSN_NS1_7vsmem_tEENKUlT_SL_SM_SN_E_clIS8_S8_S9_S9_EESK_S10_SL_SM_SN_EUlS10_E1_NS1_11comp_targetILNS1_3genE5ELNS1_11target_archE942ELNS1_3gpuE9ELNS1_3repE0EEENS1_36merge_oddeven_config_static_selectorELNS0_4arch9wavefront6targetE0EEEvSM_,"axG",@progbits,_ZN7rocprim17ROCPRIM_400000_NS6detail17trampoline_kernelINS0_14default_configENS1_38merge_sort_block_merge_config_selectorIlNS0_10empty_typeEEEZZNS1_27merge_sort_block_merge_implIS3_PlPS5_mZN2at6native12_GLOBAL__N_124unique_dim_cuda_templateIlEESt5tupleIJNSA_6TensorESF_SF_EERKSF_lbbbEUlllE_EE10hipError_tT0_T1_T2_jT3_P12ihipStream_tbPNSt15iterator_traitsISL_E10value_typeEPNSR_ISM_E10value_typeEPSN_NS1_7vsmem_tEENKUlT_SL_SM_SN_E_clIS8_S8_S9_S9_EESK_S10_SL_SM_SN_EUlS10_E1_NS1_11comp_targetILNS1_3genE5ELNS1_11target_archE942ELNS1_3gpuE9ELNS1_3repE0EEENS1_36merge_oddeven_config_static_selectorELNS0_4arch9wavefront6targetE0EEEvSM_,comdat
.Lfunc_end532:
	.size	_ZN7rocprim17ROCPRIM_400000_NS6detail17trampoline_kernelINS0_14default_configENS1_38merge_sort_block_merge_config_selectorIlNS0_10empty_typeEEEZZNS1_27merge_sort_block_merge_implIS3_PlPS5_mZN2at6native12_GLOBAL__N_124unique_dim_cuda_templateIlEESt5tupleIJNSA_6TensorESF_SF_EERKSF_lbbbEUlllE_EE10hipError_tT0_T1_T2_jT3_P12ihipStream_tbPNSt15iterator_traitsISL_E10value_typeEPNSR_ISM_E10value_typeEPSN_NS1_7vsmem_tEENKUlT_SL_SM_SN_E_clIS8_S8_S9_S9_EESK_S10_SL_SM_SN_EUlS10_E1_NS1_11comp_targetILNS1_3genE5ELNS1_11target_archE942ELNS1_3gpuE9ELNS1_3repE0EEENS1_36merge_oddeven_config_static_selectorELNS0_4arch9wavefront6targetE0EEEvSM_, .Lfunc_end532-_ZN7rocprim17ROCPRIM_400000_NS6detail17trampoline_kernelINS0_14default_configENS1_38merge_sort_block_merge_config_selectorIlNS0_10empty_typeEEEZZNS1_27merge_sort_block_merge_implIS3_PlPS5_mZN2at6native12_GLOBAL__N_124unique_dim_cuda_templateIlEESt5tupleIJNSA_6TensorESF_SF_EERKSF_lbbbEUlllE_EE10hipError_tT0_T1_T2_jT3_P12ihipStream_tbPNSt15iterator_traitsISL_E10value_typeEPNSR_ISM_E10value_typeEPSN_NS1_7vsmem_tEENKUlT_SL_SM_SN_E_clIS8_S8_S9_S9_EESK_S10_SL_SM_SN_EUlS10_E1_NS1_11comp_targetILNS1_3genE5ELNS1_11target_archE942ELNS1_3gpuE9ELNS1_3repE0EEENS1_36merge_oddeven_config_static_selectorELNS0_4arch9wavefront6targetE0EEEvSM_
                                        ; -- End function
	.set _ZN7rocprim17ROCPRIM_400000_NS6detail17trampoline_kernelINS0_14default_configENS1_38merge_sort_block_merge_config_selectorIlNS0_10empty_typeEEEZZNS1_27merge_sort_block_merge_implIS3_PlPS5_mZN2at6native12_GLOBAL__N_124unique_dim_cuda_templateIlEESt5tupleIJNSA_6TensorESF_SF_EERKSF_lbbbEUlllE_EE10hipError_tT0_T1_T2_jT3_P12ihipStream_tbPNSt15iterator_traitsISL_E10value_typeEPNSR_ISM_E10value_typeEPSN_NS1_7vsmem_tEENKUlT_SL_SM_SN_E_clIS8_S8_S9_S9_EESK_S10_SL_SM_SN_EUlS10_E1_NS1_11comp_targetILNS1_3genE5ELNS1_11target_archE942ELNS1_3gpuE9ELNS1_3repE0EEENS1_36merge_oddeven_config_static_selectorELNS0_4arch9wavefront6targetE0EEEvSM_.num_vgpr, 0
	.set _ZN7rocprim17ROCPRIM_400000_NS6detail17trampoline_kernelINS0_14default_configENS1_38merge_sort_block_merge_config_selectorIlNS0_10empty_typeEEEZZNS1_27merge_sort_block_merge_implIS3_PlPS5_mZN2at6native12_GLOBAL__N_124unique_dim_cuda_templateIlEESt5tupleIJNSA_6TensorESF_SF_EERKSF_lbbbEUlllE_EE10hipError_tT0_T1_T2_jT3_P12ihipStream_tbPNSt15iterator_traitsISL_E10value_typeEPNSR_ISM_E10value_typeEPSN_NS1_7vsmem_tEENKUlT_SL_SM_SN_E_clIS8_S8_S9_S9_EESK_S10_SL_SM_SN_EUlS10_E1_NS1_11comp_targetILNS1_3genE5ELNS1_11target_archE942ELNS1_3gpuE9ELNS1_3repE0EEENS1_36merge_oddeven_config_static_selectorELNS0_4arch9wavefront6targetE0EEEvSM_.num_agpr, 0
	.set _ZN7rocprim17ROCPRIM_400000_NS6detail17trampoline_kernelINS0_14default_configENS1_38merge_sort_block_merge_config_selectorIlNS0_10empty_typeEEEZZNS1_27merge_sort_block_merge_implIS3_PlPS5_mZN2at6native12_GLOBAL__N_124unique_dim_cuda_templateIlEESt5tupleIJNSA_6TensorESF_SF_EERKSF_lbbbEUlllE_EE10hipError_tT0_T1_T2_jT3_P12ihipStream_tbPNSt15iterator_traitsISL_E10value_typeEPNSR_ISM_E10value_typeEPSN_NS1_7vsmem_tEENKUlT_SL_SM_SN_E_clIS8_S8_S9_S9_EESK_S10_SL_SM_SN_EUlS10_E1_NS1_11comp_targetILNS1_3genE5ELNS1_11target_archE942ELNS1_3gpuE9ELNS1_3repE0EEENS1_36merge_oddeven_config_static_selectorELNS0_4arch9wavefront6targetE0EEEvSM_.numbered_sgpr, 0
	.set _ZN7rocprim17ROCPRIM_400000_NS6detail17trampoline_kernelINS0_14default_configENS1_38merge_sort_block_merge_config_selectorIlNS0_10empty_typeEEEZZNS1_27merge_sort_block_merge_implIS3_PlPS5_mZN2at6native12_GLOBAL__N_124unique_dim_cuda_templateIlEESt5tupleIJNSA_6TensorESF_SF_EERKSF_lbbbEUlllE_EE10hipError_tT0_T1_T2_jT3_P12ihipStream_tbPNSt15iterator_traitsISL_E10value_typeEPNSR_ISM_E10value_typeEPSN_NS1_7vsmem_tEENKUlT_SL_SM_SN_E_clIS8_S8_S9_S9_EESK_S10_SL_SM_SN_EUlS10_E1_NS1_11comp_targetILNS1_3genE5ELNS1_11target_archE942ELNS1_3gpuE9ELNS1_3repE0EEENS1_36merge_oddeven_config_static_selectorELNS0_4arch9wavefront6targetE0EEEvSM_.num_named_barrier, 0
	.set _ZN7rocprim17ROCPRIM_400000_NS6detail17trampoline_kernelINS0_14default_configENS1_38merge_sort_block_merge_config_selectorIlNS0_10empty_typeEEEZZNS1_27merge_sort_block_merge_implIS3_PlPS5_mZN2at6native12_GLOBAL__N_124unique_dim_cuda_templateIlEESt5tupleIJNSA_6TensorESF_SF_EERKSF_lbbbEUlllE_EE10hipError_tT0_T1_T2_jT3_P12ihipStream_tbPNSt15iterator_traitsISL_E10value_typeEPNSR_ISM_E10value_typeEPSN_NS1_7vsmem_tEENKUlT_SL_SM_SN_E_clIS8_S8_S9_S9_EESK_S10_SL_SM_SN_EUlS10_E1_NS1_11comp_targetILNS1_3genE5ELNS1_11target_archE942ELNS1_3gpuE9ELNS1_3repE0EEENS1_36merge_oddeven_config_static_selectorELNS0_4arch9wavefront6targetE0EEEvSM_.private_seg_size, 0
	.set _ZN7rocprim17ROCPRIM_400000_NS6detail17trampoline_kernelINS0_14default_configENS1_38merge_sort_block_merge_config_selectorIlNS0_10empty_typeEEEZZNS1_27merge_sort_block_merge_implIS3_PlPS5_mZN2at6native12_GLOBAL__N_124unique_dim_cuda_templateIlEESt5tupleIJNSA_6TensorESF_SF_EERKSF_lbbbEUlllE_EE10hipError_tT0_T1_T2_jT3_P12ihipStream_tbPNSt15iterator_traitsISL_E10value_typeEPNSR_ISM_E10value_typeEPSN_NS1_7vsmem_tEENKUlT_SL_SM_SN_E_clIS8_S8_S9_S9_EESK_S10_SL_SM_SN_EUlS10_E1_NS1_11comp_targetILNS1_3genE5ELNS1_11target_archE942ELNS1_3gpuE9ELNS1_3repE0EEENS1_36merge_oddeven_config_static_selectorELNS0_4arch9wavefront6targetE0EEEvSM_.uses_vcc, 0
	.set _ZN7rocprim17ROCPRIM_400000_NS6detail17trampoline_kernelINS0_14default_configENS1_38merge_sort_block_merge_config_selectorIlNS0_10empty_typeEEEZZNS1_27merge_sort_block_merge_implIS3_PlPS5_mZN2at6native12_GLOBAL__N_124unique_dim_cuda_templateIlEESt5tupleIJNSA_6TensorESF_SF_EERKSF_lbbbEUlllE_EE10hipError_tT0_T1_T2_jT3_P12ihipStream_tbPNSt15iterator_traitsISL_E10value_typeEPNSR_ISM_E10value_typeEPSN_NS1_7vsmem_tEENKUlT_SL_SM_SN_E_clIS8_S8_S9_S9_EESK_S10_SL_SM_SN_EUlS10_E1_NS1_11comp_targetILNS1_3genE5ELNS1_11target_archE942ELNS1_3gpuE9ELNS1_3repE0EEENS1_36merge_oddeven_config_static_selectorELNS0_4arch9wavefront6targetE0EEEvSM_.uses_flat_scratch, 0
	.set _ZN7rocprim17ROCPRIM_400000_NS6detail17trampoline_kernelINS0_14default_configENS1_38merge_sort_block_merge_config_selectorIlNS0_10empty_typeEEEZZNS1_27merge_sort_block_merge_implIS3_PlPS5_mZN2at6native12_GLOBAL__N_124unique_dim_cuda_templateIlEESt5tupleIJNSA_6TensorESF_SF_EERKSF_lbbbEUlllE_EE10hipError_tT0_T1_T2_jT3_P12ihipStream_tbPNSt15iterator_traitsISL_E10value_typeEPNSR_ISM_E10value_typeEPSN_NS1_7vsmem_tEENKUlT_SL_SM_SN_E_clIS8_S8_S9_S9_EESK_S10_SL_SM_SN_EUlS10_E1_NS1_11comp_targetILNS1_3genE5ELNS1_11target_archE942ELNS1_3gpuE9ELNS1_3repE0EEENS1_36merge_oddeven_config_static_selectorELNS0_4arch9wavefront6targetE0EEEvSM_.has_dyn_sized_stack, 0
	.set _ZN7rocprim17ROCPRIM_400000_NS6detail17trampoline_kernelINS0_14default_configENS1_38merge_sort_block_merge_config_selectorIlNS0_10empty_typeEEEZZNS1_27merge_sort_block_merge_implIS3_PlPS5_mZN2at6native12_GLOBAL__N_124unique_dim_cuda_templateIlEESt5tupleIJNSA_6TensorESF_SF_EERKSF_lbbbEUlllE_EE10hipError_tT0_T1_T2_jT3_P12ihipStream_tbPNSt15iterator_traitsISL_E10value_typeEPNSR_ISM_E10value_typeEPSN_NS1_7vsmem_tEENKUlT_SL_SM_SN_E_clIS8_S8_S9_S9_EESK_S10_SL_SM_SN_EUlS10_E1_NS1_11comp_targetILNS1_3genE5ELNS1_11target_archE942ELNS1_3gpuE9ELNS1_3repE0EEENS1_36merge_oddeven_config_static_selectorELNS0_4arch9wavefront6targetE0EEEvSM_.has_recursion, 0
	.set _ZN7rocprim17ROCPRIM_400000_NS6detail17trampoline_kernelINS0_14default_configENS1_38merge_sort_block_merge_config_selectorIlNS0_10empty_typeEEEZZNS1_27merge_sort_block_merge_implIS3_PlPS5_mZN2at6native12_GLOBAL__N_124unique_dim_cuda_templateIlEESt5tupleIJNSA_6TensorESF_SF_EERKSF_lbbbEUlllE_EE10hipError_tT0_T1_T2_jT3_P12ihipStream_tbPNSt15iterator_traitsISL_E10value_typeEPNSR_ISM_E10value_typeEPSN_NS1_7vsmem_tEENKUlT_SL_SM_SN_E_clIS8_S8_S9_S9_EESK_S10_SL_SM_SN_EUlS10_E1_NS1_11comp_targetILNS1_3genE5ELNS1_11target_archE942ELNS1_3gpuE9ELNS1_3repE0EEENS1_36merge_oddeven_config_static_selectorELNS0_4arch9wavefront6targetE0EEEvSM_.has_indirect_call, 0
	.section	.AMDGPU.csdata,"",@progbits
; Kernel info:
; codeLenInByte = 0
; TotalNumSgprs: 0
; NumVgprs: 0
; ScratchSize: 0
; MemoryBound: 0
; FloatMode: 240
; IeeeMode: 1
; LDSByteSize: 0 bytes/workgroup (compile time only)
; SGPRBlocks: 0
; VGPRBlocks: 0
; NumSGPRsForWavesPerEU: 1
; NumVGPRsForWavesPerEU: 1
; NamedBarCnt: 0
; Occupancy: 16
; WaveLimiterHint : 0
; COMPUTE_PGM_RSRC2:SCRATCH_EN: 0
; COMPUTE_PGM_RSRC2:USER_SGPR: 2
; COMPUTE_PGM_RSRC2:TRAP_HANDLER: 0
; COMPUTE_PGM_RSRC2:TGID_X_EN: 1
; COMPUTE_PGM_RSRC2:TGID_Y_EN: 0
; COMPUTE_PGM_RSRC2:TGID_Z_EN: 0
; COMPUTE_PGM_RSRC2:TIDIG_COMP_CNT: 0
	.section	.text._ZN7rocprim17ROCPRIM_400000_NS6detail17trampoline_kernelINS0_14default_configENS1_38merge_sort_block_merge_config_selectorIlNS0_10empty_typeEEEZZNS1_27merge_sort_block_merge_implIS3_PlPS5_mZN2at6native12_GLOBAL__N_124unique_dim_cuda_templateIlEESt5tupleIJNSA_6TensorESF_SF_EERKSF_lbbbEUlllE_EE10hipError_tT0_T1_T2_jT3_P12ihipStream_tbPNSt15iterator_traitsISL_E10value_typeEPNSR_ISM_E10value_typeEPSN_NS1_7vsmem_tEENKUlT_SL_SM_SN_E_clIS8_S8_S9_S9_EESK_S10_SL_SM_SN_EUlS10_E1_NS1_11comp_targetILNS1_3genE4ELNS1_11target_archE910ELNS1_3gpuE8ELNS1_3repE0EEENS1_36merge_oddeven_config_static_selectorELNS0_4arch9wavefront6targetE0EEEvSM_,"axG",@progbits,_ZN7rocprim17ROCPRIM_400000_NS6detail17trampoline_kernelINS0_14default_configENS1_38merge_sort_block_merge_config_selectorIlNS0_10empty_typeEEEZZNS1_27merge_sort_block_merge_implIS3_PlPS5_mZN2at6native12_GLOBAL__N_124unique_dim_cuda_templateIlEESt5tupleIJNSA_6TensorESF_SF_EERKSF_lbbbEUlllE_EE10hipError_tT0_T1_T2_jT3_P12ihipStream_tbPNSt15iterator_traitsISL_E10value_typeEPNSR_ISM_E10value_typeEPSN_NS1_7vsmem_tEENKUlT_SL_SM_SN_E_clIS8_S8_S9_S9_EESK_S10_SL_SM_SN_EUlS10_E1_NS1_11comp_targetILNS1_3genE4ELNS1_11target_archE910ELNS1_3gpuE8ELNS1_3repE0EEENS1_36merge_oddeven_config_static_selectorELNS0_4arch9wavefront6targetE0EEEvSM_,comdat
	.globl	_ZN7rocprim17ROCPRIM_400000_NS6detail17trampoline_kernelINS0_14default_configENS1_38merge_sort_block_merge_config_selectorIlNS0_10empty_typeEEEZZNS1_27merge_sort_block_merge_implIS3_PlPS5_mZN2at6native12_GLOBAL__N_124unique_dim_cuda_templateIlEESt5tupleIJNSA_6TensorESF_SF_EERKSF_lbbbEUlllE_EE10hipError_tT0_T1_T2_jT3_P12ihipStream_tbPNSt15iterator_traitsISL_E10value_typeEPNSR_ISM_E10value_typeEPSN_NS1_7vsmem_tEENKUlT_SL_SM_SN_E_clIS8_S8_S9_S9_EESK_S10_SL_SM_SN_EUlS10_E1_NS1_11comp_targetILNS1_3genE4ELNS1_11target_archE910ELNS1_3gpuE8ELNS1_3repE0EEENS1_36merge_oddeven_config_static_selectorELNS0_4arch9wavefront6targetE0EEEvSM_ ; -- Begin function _ZN7rocprim17ROCPRIM_400000_NS6detail17trampoline_kernelINS0_14default_configENS1_38merge_sort_block_merge_config_selectorIlNS0_10empty_typeEEEZZNS1_27merge_sort_block_merge_implIS3_PlPS5_mZN2at6native12_GLOBAL__N_124unique_dim_cuda_templateIlEESt5tupleIJNSA_6TensorESF_SF_EERKSF_lbbbEUlllE_EE10hipError_tT0_T1_T2_jT3_P12ihipStream_tbPNSt15iterator_traitsISL_E10value_typeEPNSR_ISM_E10value_typeEPSN_NS1_7vsmem_tEENKUlT_SL_SM_SN_E_clIS8_S8_S9_S9_EESK_S10_SL_SM_SN_EUlS10_E1_NS1_11comp_targetILNS1_3genE4ELNS1_11target_archE910ELNS1_3gpuE8ELNS1_3repE0EEENS1_36merge_oddeven_config_static_selectorELNS0_4arch9wavefront6targetE0EEEvSM_
	.p2align	8
	.type	_ZN7rocprim17ROCPRIM_400000_NS6detail17trampoline_kernelINS0_14default_configENS1_38merge_sort_block_merge_config_selectorIlNS0_10empty_typeEEEZZNS1_27merge_sort_block_merge_implIS3_PlPS5_mZN2at6native12_GLOBAL__N_124unique_dim_cuda_templateIlEESt5tupleIJNSA_6TensorESF_SF_EERKSF_lbbbEUlllE_EE10hipError_tT0_T1_T2_jT3_P12ihipStream_tbPNSt15iterator_traitsISL_E10value_typeEPNSR_ISM_E10value_typeEPSN_NS1_7vsmem_tEENKUlT_SL_SM_SN_E_clIS8_S8_S9_S9_EESK_S10_SL_SM_SN_EUlS10_E1_NS1_11comp_targetILNS1_3genE4ELNS1_11target_archE910ELNS1_3gpuE8ELNS1_3repE0EEENS1_36merge_oddeven_config_static_selectorELNS0_4arch9wavefront6targetE0EEEvSM_,@function
_ZN7rocprim17ROCPRIM_400000_NS6detail17trampoline_kernelINS0_14default_configENS1_38merge_sort_block_merge_config_selectorIlNS0_10empty_typeEEEZZNS1_27merge_sort_block_merge_implIS3_PlPS5_mZN2at6native12_GLOBAL__N_124unique_dim_cuda_templateIlEESt5tupleIJNSA_6TensorESF_SF_EERKSF_lbbbEUlllE_EE10hipError_tT0_T1_T2_jT3_P12ihipStream_tbPNSt15iterator_traitsISL_E10value_typeEPNSR_ISM_E10value_typeEPSN_NS1_7vsmem_tEENKUlT_SL_SM_SN_E_clIS8_S8_S9_S9_EESK_S10_SL_SM_SN_EUlS10_E1_NS1_11comp_targetILNS1_3genE4ELNS1_11target_archE910ELNS1_3gpuE8ELNS1_3repE0EEENS1_36merge_oddeven_config_static_selectorELNS0_4arch9wavefront6targetE0EEEvSM_: ; @_ZN7rocprim17ROCPRIM_400000_NS6detail17trampoline_kernelINS0_14default_configENS1_38merge_sort_block_merge_config_selectorIlNS0_10empty_typeEEEZZNS1_27merge_sort_block_merge_implIS3_PlPS5_mZN2at6native12_GLOBAL__N_124unique_dim_cuda_templateIlEESt5tupleIJNSA_6TensorESF_SF_EERKSF_lbbbEUlllE_EE10hipError_tT0_T1_T2_jT3_P12ihipStream_tbPNSt15iterator_traitsISL_E10value_typeEPNSR_ISM_E10value_typeEPSN_NS1_7vsmem_tEENKUlT_SL_SM_SN_E_clIS8_S8_S9_S9_EESK_S10_SL_SM_SN_EUlS10_E1_NS1_11comp_targetILNS1_3genE4ELNS1_11target_archE910ELNS1_3gpuE8ELNS1_3repE0EEENS1_36merge_oddeven_config_static_selectorELNS0_4arch9wavefront6targetE0EEEvSM_
; %bb.0:
	.section	.rodata,"a",@progbits
	.p2align	6, 0x0
	.amdhsa_kernel _ZN7rocprim17ROCPRIM_400000_NS6detail17trampoline_kernelINS0_14default_configENS1_38merge_sort_block_merge_config_selectorIlNS0_10empty_typeEEEZZNS1_27merge_sort_block_merge_implIS3_PlPS5_mZN2at6native12_GLOBAL__N_124unique_dim_cuda_templateIlEESt5tupleIJNSA_6TensorESF_SF_EERKSF_lbbbEUlllE_EE10hipError_tT0_T1_T2_jT3_P12ihipStream_tbPNSt15iterator_traitsISL_E10value_typeEPNSR_ISM_E10value_typeEPSN_NS1_7vsmem_tEENKUlT_SL_SM_SN_E_clIS8_S8_S9_S9_EESK_S10_SL_SM_SN_EUlS10_E1_NS1_11comp_targetILNS1_3genE4ELNS1_11target_archE910ELNS1_3gpuE8ELNS1_3repE0EEENS1_36merge_oddeven_config_static_selectorELNS0_4arch9wavefront6targetE0EEEvSM_
		.amdhsa_group_segment_fixed_size 0
		.amdhsa_private_segment_fixed_size 0
		.amdhsa_kernarg_size 64
		.amdhsa_user_sgpr_count 2
		.amdhsa_user_sgpr_dispatch_ptr 0
		.amdhsa_user_sgpr_queue_ptr 0
		.amdhsa_user_sgpr_kernarg_segment_ptr 1
		.amdhsa_user_sgpr_dispatch_id 0
		.amdhsa_user_sgpr_kernarg_preload_length 0
		.amdhsa_user_sgpr_kernarg_preload_offset 0
		.amdhsa_user_sgpr_private_segment_size 0
		.amdhsa_wavefront_size32 1
		.amdhsa_uses_dynamic_stack 0
		.amdhsa_enable_private_segment 0
		.amdhsa_system_sgpr_workgroup_id_x 1
		.amdhsa_system_sgpr_workgroup_id_y 0
		.amdhsa_system_sgpr_workgroup_id_z 0
		.amdhsa_system_sgpr_workgroup_info 0
		.amdhsa_system_vgpr_workitem_id 0
		.amdhsa_next_free_vgpr 1
		.amdhsa_next_free_sgpr 1
		.amdhsa_named_barrier_count 0
		.amdhsa_reserve_vcc 0
		.amdhsa_float_round_mode_32 0
		.amdhsa_float_round_mode_16_64 0
		.amdhsa_float_denorm_mode_32 3
		.amdhsa_float_denorm_mode_16_64 3
		.amdhsa_fp16_overflow 0
		.amdhsa_memory_ordered 1
		.amdhsa_forward_progress 1
		.amdhsa_inst_pref_size 0
		.amdhsa_round_robin_scheduling 0
		.amdhsa_exception_fp_ieee_invalid_op 0
		.amdhsa_exception_fp_denorm_src 0
		.amdhsa_exception_fp_ieee_div_zero 0
		.amdhsa_exception_fp_ieee_overflow 0
		.amdhsa_exception_fp_ieee_underflow 0
		.amdhsa_exception_fp_ieee_inexact 0
		.amdhsa_exception_int_div_zero 0
	.end_amdhsa_kernel
	.section	.text._ZN7rocprim17ROCPRIM_400000_NS6detail17trampoline_kernelINS0_14default_configENS1_38merge_sort_block_merge_config_selectorIlNS0_10empty_typeEEEZZNS1_27merge_sort_block_merge_implIS3_PlPS5_mZN2at6native12_GLOBAL__N_124unique_dim_cuda_templateIlEESt5tupleIJNSA_6TensorESF_SF_EERKSF_lbbbEUlllE_EE10hipError_tT0_T1_T2_jT3_P12ihipStream_tbPNSt15iterator_traitsISL_E10value_typeEPNSR_ISM_E10value_typeEPSN_NS1_7vsmem_tEENKUlT_SL_SM_SN_E_clIS8_S8_S9_S9_EESK_S10_SL_SM_SN_EUlS10_E1_NS1_11comp_targetILNS1_3genE4ELNS1_11target_archE910ELNS1_3gpuE8ELNS1_3repE0EEENS1_36merge_oddeven_config_static_selectorELNS0_4arch9wavefront6targetE0EEEvSM_,"axG",@progbits,_ZN7rocprim17ROCPRIM_400000_NS6detail17trampoline_kernelINS0_14default_configENS1_38merge_sort_block_merge_config_selectorIlNS0_10empty_typeEEEZZNS1_27merge_sort_block_merge_implIS3_PlPS5_mZN2at6native12_GLOBAL__N_124unique_dim_cuda_templateIlEESt5tupleIJNSA_6TensorESF_SF_EERKSF_lbbbEUlllE_EE10hipError_tT0_T1_T2_jT3_P12ihipStream_tbPNSt15iterator_traitsISL_E10value_typeEPNSR_ISM_E10value_typeEPSN_NS1_7vsmem_tEENKUlT_SL_SM_SN_E_clIS8_S8_S9_S9_EESK_S10_SL_SM_SN_EUlS10_E1_NS1_11comp_targetILNS1_3genE4ELNS1_11target_archE910ELNS1_3gpuE8ELNS1_3repE0EEENS1_36merge_oddeven_config_static_selectorELNS0_4arch9wavefront6targetE0EEEvSM_,comdat
.Lfunc_end533:
	.size	_ZN7rocprim17ROCPRIM_400000_NS6detail17trampoline_kernelINS0_14default_configENS1_38merge_sort_block_merge_config_selectorIlNS0_10empty_typeEEEZZNS1_27merge_sort_block_merge_implIS3_PlPS5_mZN2at6native12_GLOBAL__N_124unique_dim_cuda_templateIlEESt5tupleIJNSA_6TensorESF_SF_EERKSF_lbbbEUlllE_EE10hipError_tT0_T1_T2_jT3_P12ihipStream_tbPNSt15iterator_traitsISL_E10value_typeEPNSR_ISM_E10value_typeEPSN_NS1_7vsmem_tEENKUlT_SL_SM_SN_E_clIS8_S8_S9_S9_EESK_S10_SL_SM_SN_EUlS10_E1_NS1_11comp_targetILNS1_3genE4ELNS1_11target_archE910ELNS1_3gpuE8ELNS1_3repE0EEENS1_36merge_oddeven_config_static_selectorELNS0_4arch9wavefront6targetE0EEEvSM_, .Lfunc_end533-_ZN7rocprim17ROCPRIM_400000_NS6detail17trampoline_kernelINS0_14default_configENS1_38merge_sort_block_merge_config_selectorIlNS0_10empty_typeEEEZZNS1_27merge_sort_block_merge_implIS3_PlPS5_mZN2at6native12_GLOBAL__N_124unique_dim_cuda_templateIlEESt5tupleIJNSA_6TensorESF_SF_EERKSF_lbbbEUlllE_EE10hipError_tT0_T1_T2_jT3_P12ihipStream_tbPNSt15iterator_traitsISL_E10value_typeEPNSR_ISM_E10value_typeEPSN_NS1_7vsmem_tEENKUlT_SL_SM_SN_E_clIS8_S8_S9_S9_EESK_S10_SL_SM_SN_EUlS10_E1_NS1_11comp_targetILNS1_3genE4ELNS1_11target_archE910ELNS1_3gpuE8ELNS1_3repE0EEENS1_36merge_oddeven_config_static_selectorELNS0_4arch9wavefront6targetE0EEEvSM_
                                        ; -- End function
	.set _ZN7rocprim17ROCPRIM_400000_NS6detail17trampoline_kernelINS0_14default_configENS1_38merge_sort_block_merge_config_selectorIlNS0_10empty_typeEEEZZNS1_27merge_sort_block_merge_implIS3_PlPS5_mZN2at6native12_GLOBAL__N_124unique_dim_cuda_templateIlEESt5tupleIJNSA_6TensorESF_SF_EERKSF_lbbbEUlllE_EE10hipError_tT0_T1_T2_jT3_P12ihipStream_tbPNSt15iterator_traitsISL_E10value_typeEPNSR_ISM_E10value_typeEPSN_NS1_7vsmem_tEENKUlT_SL_SM_SN_E_clIS8_S8_S9_S9_EESK_S10_SL_SM_SN_EUlS10_E1_NS1_11comp_targetILNS1_3genE4ELNS1_11target_archE910ELNS1_3gpuE8ELNS1_3repE0EEENS1_36merge_oddeven_config_static_selectorELNS0_4arch9wavefront6targetE0EEEvSM_.num_vgpr, 0
	.set _ZN7rocprim17ROCPRIM_400000_NS6detail17trampoline_kernelINS0_14default_configENS1_38merge_sort_block_merge_config_selectorIlNS0_10empty_typeEEEZZNS1_27merge_sort_block_merge_implIS3_PlPS5_mZN2at6native12_GLOBAL__N_124unique_dim_cuda_templateIlEESt5tupleIJNSA_6TensorESF_SF_EERKSF_lbbbEUlllE_EE10hipError_tT0_T1_T2_jT3_P12ihipStream_tbPNSt15iterator_traitsISL_E10value_typeEPNSR_ISM_E10value_typeEPSN_NS1_7vsmem_tEENKUlT_SL_SM_SN_E_clIS8_S8_S9_S9_EESK_S10_SL_SM_SN_EUlS10_E1_NS1_11comp_targetILNS1_3genE4ELNS1_11target_archE910ELNS1_3gpuE8ELNS1_3repE0EEENS1_36merge_oddeven_config_static_selectorELNS0_4arch9wavefront6targetE0EEEvSM_.num_agpr, 0
	.set _ZN7rocprim17ROCPRIM_400000_NS6detail17trampoline_kernelINS0_14default_configENS1_38merge_sort_block_merge_config_selectorIlNS0_10empty_typeEEEZZNS1_27merge_sort_block_merge_implIS3_PlPS5_mZN2at6native12_GLOBAL__N_124unique_dim_cuda_templateIlEESt5tupleIJNSA_6TensorESF_SF_EERKSF_lbbbEUlllE_EE10hipError_tT0_T1_T2_jT3_P12ihipStream_tbPNSt15iterator_traitsISL_E10value_typeEPNSR_ISM_E10value_typeEPSN_NS1_7vsmem_tEENKUlT_SL_SM_SN_E_clIS8_S8_S9_S9_EESK_S10_SL_SM_SN_EUlS10_E1_NS1_11comp_targetILNS1_3genE4ELNS1_11target_archE910ELNS1_3gpuE8ELNS1_3repE0EEENS1_36merge_oddeven_config_static_selectorELNS0_4arch9wavefront6targetE0EEEvSM_.numbered_sgpr, 0
	.set _ZN7rocprim17ROCPRIM_400000_NS6detail17trampoline_kernelINS0_14default_configENS1_38merge_sort_block_merge_config_selectorIlNS0_10empty_typeEEEZZNS1_27merge_sort_block_merge_implIS3_PlPS5_mZN2at6native12_GLOBAL__N_124unique_dim_cuda_templateIlEESt5tupleIJNSA_6TensorESF_SF_EERKSF_lbbbEUlllE_EE10hipError_tT0_T1_T2_jT3_P12ihipStream_tbPNSt15iterator_traitsISL_E10value_typeEPNSR_ISM_E10value_typeEPSN_NS1_7vsmem_tEENKUlT_SL_SM_SN_E_clIS8_S8_S9_S9_EESK_S10_SL_SM_SN_EUlS10_E1_NS1_11comp_targetILNS1_3genE4ELNS1_11target_archE910ELNS1_3gpuE8ELNS1_3repE0EEENS1_36merge_oddeven_config_static_selectorELNS0_4arch9wavefront6targetE0EEEvSM_.num_named_barrier, 0
	.set _ZN7rocprim17ROCPRIM_400000_NS6detail17trampoline_kernelINS0_14default_configENS1_38merge_sort_block_merge_config_selectorIlNS0_10empty_typeEEEZZNS1_27merge_sort_block_merge_implIS3_PlPS5_mZN2at6native12_GLOBAL__N_124unique_dim_cuda_templateIlEESt5tupleIJNSA_6TensorESF_SF_EERKSF_lbbbEUlllE_EE10hipError_tT0_T1_T2_jT3_P12ihipStream_tbPNSt15iterator_traitsISL_E10value_typeEPNSR_ISM_E10value_typeEPSN_NS1_7vsmem_tEENKUlT_SL_SM_SN_E_clIS8_S8_S9_S9_EESK_S10_SL_SM_SN_EUlS10_E1_NS1_11comp_targetILNS1_3genE4ELNS1_11target_archE910ELNS1_3gpuE8ELNS1_3repE0EEENS1_36merge_oddeven_config_static_selectorELNS0_4arch9wavefront6targetE0EEEvSM_.private_seg_size, 0
	.set _ZN7rocprim17ROCPRIM_400000_NS6detail17trampoline_kernelINS0_14default_configENS1_38merge_sort_block_merge_config_selectorIlNS0_10empty_typeEEEZZNS1_27merge_sort_block_merge_implIS3_PlPS5_mZN2at6native12_GLOBAL__N_124unique_dim_cuda_templateIlEESt5tupleIJNSA_6TensorESF_SF_EERKSF_lbbbEUlllE_EE10hipError_tT0_T1_T2_jT3_P12ihipStream_tbPNSt15iterator_traitsISL_E10value_typeEPNSR_ISM_E10value_typeEPSN_NS1_7vsmem_tEENKUlT_SL_SM_SN_E_clIS8_S8_S9_S9_EESK_S10_SL_SM_SN_EUlS10_E1_NS1_11comp_targetILNS1_3genE4ELNS1_11target_archE910ELNS1_3gpuE8ELNS1_3repE0EEENS1_36merge_oddeven_config_static_selectorELNS0_4arch9wavefront6targetE0EEEvSM_.uses_vcc, 0
	.set _ZN7rocprim17ROCPRIM_400000_NS6detail17trampoline_kernelINS0_14default_configENS1_38merge_sort_block_merge_config_selectorIlNS0_10empty_typeEEEZZNS1_27merge_sort_block_merge_implIS3_PlPS5_mZN2at6native12_GLOBAL__N_124unique_dim_cuda_templateIlEESt5tupleIJNSA_6TensorESF_SF_EERKSF_lbbbEUlllE_EE10hipError_tT0_T1_T2_jT3_P12ihipStream_tbPNSt15iterator_traitsISL_E10value_typeEPNSR_ISM_E10value_typeEPSN_NS1_7vsmem_tEENKUlT_SL_SM_SN_E_clIS8_S8_S9_S9_EESK_S10_SL_SM_SN_EUlS10_E1_NS1_11comp_targetILNS1_3genE4ELNS1_11target_archE910ELNS1_3gpuE8ELNS1_3repE0EEENS1_36merge_oddeven_config_static_selectorELNS0_4arch9wavefront6targetE0EEEvSM_.uses_flat_scratch, 0
	.set _ZN7rocprim17ROCPRIM_400000_NS6detail17trampoline_kernelINS0_14default_configENS1_38merge_sort_block_merge_config_selectorIlNS0_10empty_typeEEEZZNS1_27merge_sort_block_merge_implIS3_PlPS5_mZN2at6native12_GLOBAL__N_124unique_dim_cuda_templateIlEESt5tupleIJNSA_6TensorESF_SF_EERKSF_lbbbEUlllE_EE10hipError_tT0_T1_T2_jT3_P12ihipStream_tbPNSt15iterator_traitsISL_E10value_typeEPNSR_ISM_E10value_typeEPSN_NS1_7vsmem_tEENKUlT_SL_SM_SN_E_clIS8_S8_S9_S9_EESK_S10_SL_SM_SN_EUlS10_E1_NS1_11comp_targetILNS1_3genE4ELNS1_11target_archE910ELNS1_3gpuE8ELNS1_3repE0EEENS1_36merge_oddeven_config_static_selectorELNS0_4arch9wavefront6targetE0EEEvSM_.has_dyn_sized_stack, 0
	.set _ZN7rocprim17ROCPRIM_400000_NS6detail17trampoline_kernelINS0_14default_configENS1_38merge_sort_block_merge_config_selectorIlNS0_10empty_typeEEEZZNS1_27merge_sort_block_merge_implIS3_PlPS5_mZN2at6native12_GLOBAL__N_124unique_dim_cuda_templateIlEESt5tupleIJNSA_6TensorESF_SF_EERKSF_lbbbEUlllE_EE10hipError_tT0_T1_T2_jT3_P12ihipStream_tbPNSt15iterator_traitsISL_E10value_typeEPNSR_ISM_E10value_typeEPSN_NS1_7vsmem_tEENKUlT_SL_SM_SN_E_clIS8_S8_S9_S9_EESK_S10_SL_SM_SN_EUlS10_E1_NS1_11comp_targetILNS1_3genE4ELNS1_11target_archE910ELNS1_3gpuE8ELNS1_3repE0EEENS1_36merge_oddeven_config_static_selectorELNS0_4arch9wavefront6targetE0EEEvSM_.has_recursion, 0
	.set _ZN7rocprim17ROCPRIM_400000_NS6detail17trampoline_kernelINS0_14default_configENS1_38merge_sort_block_merge_config_selectorIlNS0_10empty_typeEEEZZNS1_27merge_sort_block_merge_implIS3_PlPS5_mZN2at6native12_GLOBAL__N_124unique_dim_cuda_templateIlEESt5tupleIJNSA_6TensorESF_SF_EERKSF_lbbbEUlllE_EE10hipError_tT0_T1_T2_jT3_P12ihipStream_tbPNSt15iterator_traitsISL_E10value_typeEPNSR_ISM_E10value_typeEPSN_NS1_7vsmem_tEENKUlT_SL_SM_SN_E_clIS8_S8_S9_S9_EESK_S10_SL_SM_SN_EUlS10_E1_NS1_11comp_targetILNS1_3genE4ELNS1_11target_archE910ELNS1_3gpuE8ELNS1_3repE0EEENS1_36merge_oddeven_config_static_selectorELNS0_4arch9wavefront6targetE0EEEvSM_.has_indirect_call, 0
	.section	.AMDGPU.csdata,"",@progbits
; Kernel info:
; codeLenInByte = 0
; TotalNumSgprs: 0
; NumVgprs: 0
; ScratchSize: 0
; MemoryBound: 0
; FloatMode: 240
; IeeeMode: 1
; LDSByteSize: 0 bytes/workgroup (compile time only)
; SGPRBlocks: 0
; VGPRBlocks: 0
; NumSGPRsForWavesPerEU: 1
; NumVGPRsForWavesPerEU: 1
; NamedBarCnt: 0
; Occupancy: 16
; WaveLimiterHint : 0
; COMPUTE_PGM_RSRC2:SCRATCH_EN: 0
; COMPUTE_PGM_RSRC2:USER_SGPR: 2
; COMPUTE_PGM_RSRC2:TRAP_HANDLER: 0
; COMPUTE_PGM_RSRC2:TGID_X_EN: 1
; COMPUTE_PGM_RSRC2:TGID_Y_EN: 0
; COMPUTE_PGM_RSRC2:TGID_Z_EN: 0
; COMPUTE_PGM_RSRC2:TIDIG_COMP_CNT: 0
	.section	.text._ZN7rocprim17ROCPRIM_400000_NS6detail17trampoline_kernelINS0_14default_configENS1_38merge_sort_block_merge_config_selectorIlNS0_10empty_typeEEEZZNS1_27merge_sort_block_merge_implIS3_PlPS5_mZN2at6native12_GLOBAL__N_124unique_dim_cuda_templateIlEESt5tupleIJNSA_6TensorESF_SF_EERKSF_lbbbEUlllE_EE10hipError_tT0_T1_T2_jT3_P12ihipStream_tbPNSt15iterator_traitsISL_E10value_typeEPNSR_ISM_E10value_typeEPSN_NS1_7vsmem_tEENKUlT_SL_SM_SN_E_clIS8_S8_S9_S9_EESK_S10_SL_SM_SN_EUlS10_E1_NS1_11comp_targetILNS1_3genE3ELNS1_11target_archE908ELNS1_3gpuE7ELNS1_3repE0EEENS1_36merge_oddeven_config_static_selectorELNS0_4arch9wavefront6targetE0EEEvSM_,"axG",@progbits,_ZN7rocprim17ROCPRIM_400000_NS6detail17trampoline_kernelINS0_14default_configENS1_38merge_sort_block_merge_config_selectorIlNS0_10empty_typeEEEZZNS1_27merge_sort_block_merge_implIS3_PlPS5_mZN2at6native12_GLOBAL__N_124unique_dim_cuda_templateIlEESt5tupleIJNSA_6TensorESF_SF_EERKSF_lbbbEUlllE_EE10hipError_tT0_T1_T2_jT3_P12ihipStream_tbPNSt15iterator_traitsISL_E10value_typeEPNSR_ISM_E10value_typeEPSN_NS1_7vsmem_tEENKUlT_SL_SM_SN_E_clIS8_S8_S9_S9_EESK_S10_SL_SM_SN_EUlS10_E1_NS1_11comp_targetILNS1_3genE3ELNS1_11target_archE908ELNS1_3gpuE7ELNS1_3repE0EEENS1_36merge_oddeven_config_static_selectorELNS0_4arch9wavefront6targetE0EEEvSM_,comdat
	.globl	_ZN7rocprim17ROCPRIM_400000_NS6detail17trampoline_kernelINS0_14default_configENS1_38merge_sort_block_merge_config_selectorIlNS0_10empty_typeEEEZZNS1_27merge_sort_block_merge_implIS3_PlPS5_mZN2at6native12_GLOBAL__N_124unique_dim_cuda_templateIlEESt5tupleIJNSA_6TensorESF_SF_EERKSF_lbbbEUlllE_EE10hipError_tT0_T1_T2_jT3_P12ihipStream_tbPNSt15iterator_traitsISL_E10value_typeEPNSR_ISM_E10value_typeEPSN_NS1_7vsmem_tEENKUlT_SL_SM_SN_E_clIS8_S8_S9_S9_EESK_S10_SL_SM_SN_EUlS10_E1_NS1_11comp_targetILNS1_3genE3ELNS1_11target_archE908ELNS1_3gpuE7ELNS1_3repE0EEENS1_36merge_oddeven_config_static_selectorELNS0_4arch9wavefront6targetE0EEEvSM_ ; -- Begin function _ZN7rocprim17ROCPRIM_400000_NS6detail17trampoline_kernelINS0_14default_configENS1_38merge_sort_block_merge_config_selectorIlNS0_10empty_typeEEEZZNS1_27merge_sort_block_merge_implIS3_PlPS5_mZN2at6native12_GLOBAL__N_124unique_dim_cuda_templateIlEESt5tupleIJNSA_6TensorESF_SF_EERKSF_lbbbEUlllE_EE10hipError_tT0_T1_T2_jT3_P12ihipStream_tbPNSt15iterator_traitsISL_E10value_typeEPNSR_ISM_E10value_typeEPSN_NS1_7vsmem_tEENKUlT_SL_SM_SN_E_clIS8_S8_S9_S9_EESK_S10_SL_SM_SN_EUlS10_E1_NS1_11comp_targetILNS1_3genE3ELNS1_11target_archE908ELNS1_3gpuE7ELNS1_3repE0EEENS1_36merge_oddeven_config_static_selectorELNS0_4arch9wavefront6targetE0EEEvSM_
	.p2align	8
	.type	_ZN7rocprim17ROCPRIM_400000_NS6detail17trampoline_kernelINS0_14default_configENS1_38merge_sort_block_merge_config_selectorIlNS0_10empty_typeEEEZZNS1_27merge_sort_block_merge_implIS3_PlPS5_mZN2at6native12_GLOBAL__N_124unique_dim_cuda_templateIlEESt5tupleIJNSA_6TensorESF_SF_EERKSF_lbbbEUlllE_EE10hipError_tT0_T1_T2_jT3_P12ihipStream_tbPNSt15iterator_traitsISL_E10value_typeEPNSR_ISM_E10value_typeEPSN_NS1_7vsmem_tEENKUlT_SL_SM_SN_E_clIS8_S8_S9_S9_EESK_S10_SL_SM_SN_EUlS10_E1_NS1_11comp_targetILNS1_3genE3ELNS1_11target_archE908ELNS1_3gpuE7ELNS1_3repE0EEENS1_36merge_oddeven_config_static_selectorELNS0_4arch9wavefront6targetE0EEEvSM_,@function
_ZN7rocprim17ROCPRIM_400000_NS6detail17trampoline_kernelINS0_14default_configENS1_38merge_sort_block_merge_config_selectorIlNS0_10empty_typeEEEZZNS1_27merge_sort_block_merge_implIS3_PlPS5_mZN2at6native12_GLOBAL__N_124unique_dim_cuda_templateIlEESt5tupleIJNSA_6TensorESF_SF_EERKSF_lbbbEUlllE_EE10hipError_tT0_T1_T2_jT3_P12ihipStream_tbPNSt15iterator_traitsISL_E10value_typeEPNSR_ISM_E10value_typeEPSN_NS1_7vsmem_tEENKUlT_SL_SM_SN_E_clIS8_S8_S9_S9_EESK_S10_SL_SM_SN_EUlS10_E1_NS1_11comp_targetILNS1_3genE3ELNS1_11target_archE908ELNS1_3gpuE7ELNS1_3repE0EEENS1_36merge_oddeven_config_static_selectorELNS0_4arch9wavefront6targetE0EEEvSM_: ; @_ZN7rocprim17ROCPRIM_400000_NS6detail17trampoline_kernelINS0_14default_configENS1_38merge_sort_block_merge_config_selectorIlNS0_10empty_typeEEEZZNS1_27merge_sort_block_merge_implIS3_PlPS5_mZN2at6native12_GLOBAL__N_124unique_dim_cuda_templateIlEESt5tupleIJNSA_6TensorESF_SF_EERKSF_lbbbEUlllE_EE10hipError_tT0_T1_T2_jT3_P12ihipStream_tbPNSt15iterator_traitsISL_E10value_typeEPNSR_ISM_E10value_typeEPSN_NS1_7vsmem_tEENKUlT_SL_SM_SN_E_clIS8_S8_S9_S9_EESK_S10_SL_SM_SN_EUlS10_E1_NS1_11comp_targetILNS1_3genE3ELNS1_11target_archE908ELNS1_3gpuE7ELNS1_3repE0EEENS1_36merge_oddeven_config_static_selectorELNS0_4arch9wavefront6targetE0EEEvSM_
; %bb.0:
	.section	.rodata,"a",@progbits
	.p2align	6, 0x0
	.amdhsa_kernel _ZN7rocprim17ROCPRIM_400000_NS6detail17trampoline_kernelINS0_14default_configENS1_38merge_sort_block_merge_config_selectorIlNS0_10empty_typeEEEZZNS1_27merge_sort_block_merge_implIS3_PlPS5_mZN2at6native12_GLOBAL__N_124unique_dim_cuda_templateIlEESt5tupleIJNSA_6TensorESF_SF_EERKSF_lbbbEUlllE_EE10hipError_tT0_T1_T2_jT3_P12ihipStream_tbPNSt15iterator_traitsISL_E10value_typeEPNSR_ISM_E10value_typeEPSN_NS1_7vsmem_tEENKUlT_SL_SM_SN_E_clIS8_S8_S9_S9_EESK_S10_SL_SM_SN_EUlS10_E1_NS1_11comp_targetILNS1_3genE3ELNS1_11target_archE908ELNS1_3gpuE7ELNS1_3repE0EEENS1_36merge_oddeven_config_static_selectorELNS0_4arch9wavefront6targetE0EEEvSM_
		.amdhsa_group_segment_fixed_size 0
		.amdhsa_private_segment_fixed_size 0
		.amdhsa_kernarg_size 64
		.amdhsa_user_sgpr_count 2
		.amdhsa_user_sgpr_dispatch_ptr 0
		.amdhsa_user_sgpr_queue_ptr 0
		.amdhsa_user_sgpr_kernarg_segment_ptr 1
		.amdhsa_user_sgpr_dispatch_id 0
		.amdhsa_user_sgpr_kernarg_preload_length 0
		.amdhsa_user_sgpr_kernarg_preload_offset 0
		.amdhsa_user_sgpr_private_segment_size 0
		.amdhsa_wavefront_size32 1
		.amdhsa_uses_dynamic_stack 0
		.amdhsa_enable_private_segment 0
		.amdhsa_system_sgpr_workgroup_id_x 1
		.amdhsa_system_sgpr_workgroup_id_y 0
		.amdhsa_system_sgpr_workgroup_id_z 0
		.amdhsa_system_sgpr_workgroup_info 0
		.amdhsa_system_vgpr_workitem_id 0
		.amdhsa_next_free_vgpr 1
		.amdhsa_next_free_sgpr 1
		.amdhsa_named_barrier_count 0
		.amdhsa_reserve_vcc 0
		.amdhsa_float_round_mode_32 0
		.amdhsa_float_round_mode_16_64 0
		.amdhsa_float_denorm_mode_32 3
		.amdhsa_float_denorm_mode_16_64 3
		.amdhsa_fp16_overflow 0
		.amdhsa_memory_ordered 1
		.amdhsa_forward_progress 1
		.amdhsa_inst_pref_size 0
		.amdhsa_round_robin_scheduling 0
		.amdhsa_exception_fp_ieee_invalid_op 0
		.amdhsa_exception_fp_denorm_src 0
		.amdhsa_exception_fp_ieee_div_zero 0
		.amdhsa_exception_fp_ieee_overflow 0
		.amdhsa_exception_fp_ieee_underflow 0
		.amdhsa_exception_fp_ieee_inexact 0
		.amdhsa_exception_int_div_zero 0
	.end_amdhsa_kernel
	.section	.text._ZN7rocprim17ROCPRIM_400000_NS6detail17trampoline_kernelINS0_14default_configENS1_38merge_sort_block_merge_config_selectorIlNS0_10empty_typeEEEZZNS1_27merge_sort_block_merge_implIS3_PlPS5_mZN2at6native12_GLOBAL__N_124unique_dim_cuda_templateIlEESt5tupleIJNSA_6TensorESF_SF_EERKSF_lbbbEUlllE_EE10hipError_tT0_T1_T2_jT3_P12ihipStream_tbPNSt15iterator_traitsISL_E10value_typeEPNSR_ISM_E10value_typeEPSN_NS1_7vsmem_tEENKUlT_SL_SM_SN_E_clIS8_S8_S9_S9_EESK_S10_SL_SM_SN_EUlS10_E1_NS1_11comp_targetILNS1_3genE3ELNS1_11target_archE908ELNS1_3gpuE7ELNS1_3repE0EEENS1_36merge_oddeven_config_static_selectorELNS0_4arch9wavefront6targetE0EEEvSM_,"axG",@progbits,_ZN7rocprim17ROCPRIM_400000_NS6detail17trampoline_kernelINS0_14default_configENS1_38merge_sort_block_merge_config_selectorIlNS0_10empty_typeEEEZZNS1_27merge_sort_block_merge_implIS3_PlPS5_mZN2at6native12_GLOBAL__N_124unique_dim_cuda_templateIlEESt5tupleIJNSA_6TensorESF_SF_EERKSF_lbbbEUlllE_EE10hipError_tT0_T1_T2_jT3_P12ihipStream_tbPNSt15iterator_traitsISL_E10value_typeEPNSR_ISM_E10value_typeEPSN_NS1_7vsmem_tEENKUlT_SL_SM_SN_E_clIS8_S8_S9_S9_EESK_S10_SL_SM_SN_EUlS10_E1_NS1_11comp_targetILNS1_3genE3ELNS1_11target_archE908ELNS1_3gpuE7ELNS1_3repE0EEENS1_36merge_oddeven_config_static_selectorELNS0_4arch9wavefront6targetE0EEEvSM_,comdat
.Lfunc_end534:
	.size	_ZN7rocprim17ROCPRIM_400000_NS6detail17trampoline_kernelINS0_14default_configENS1_38merge_sort_block_merge_config_selectorIlNS0_10empty_typeEEEZZNS1_27merge_sort_block_merge_implIS3_PlPS5_mZN2at6native12_GLOBAL__N_124unique_dim_cuda_templateIlEESt5tupleIJNSA_6TensorESF_SF_EERKSF_lbbbEUlllE_EE10hipError_tT0_T1_T2_jT3_P12ihipStream_tbPNSt15iterator_traitsISL_E10value_typeEPNSR_ISM_E10value_typeEPSN_NS1_7vsmem_tEENKUlT_SL_SM_SN_E_clIS8_S8_S9_S9_EESK_S10_SL_SM_SN_EUlS10_E1_NS1_11comp_targetILNS1_3genE3ELNS1_11target_archE908ELNS1_3gpuE7ELNS1_3repE0EEENS1_36merge_oddeven_config_static_selectorELNS0_4arch9wavefront6targetE0EEEvSM_, .Lfunc_end534-_ZN7rocprim17ROCPRIM_400000_NS6detail17trampoline_kernelINS0_14default_configENS1_38merge_sort_block_merge_config_selectorIlNS0_10empty_typeEEEZZNS1_27merge_sort_block_merge_implIS3_PlPS5_mZN2at6native12_GLOBAL__N_124unique_dim_cuda_templateIlEESt5tupleIJNSA_6TensorESF_SF_EERKSF_lbbbEUlllE_EE10hipError_tT0_T1_T2_jT3_P12ihipStream_tbPNSt15iterator_traitsISL_E10value_typeEPNSR_ISM_E10value_typeEPSN_NS1_7vsmem_tEENKUlT_SL_SM_SN_E_clIS8_S8_S9_S9_EESK_S10_SL_SM_SN_EUlS10_E1_NS1_11comp_targetILNS1_3genE3ELNS1_11target_archE908ELNS1_3gpuE7ELNS1_3repE0EEENS1_36merge_oddeven_config_static_selectorELNS0_4arch9wavefront6targetE0EEEvSM_
                                        ; -- End function
	.set _ZN7rocprim17ROCPRIM_400000_NS6detail17trampoline_kernelINS0_14default_configENS1_38merge_sort_block_merge_config_selectorIlNS0_10empty_typeEEEZZNS1_27merge_sort_block_merge_implIS3_PlPS5_mZN2at6native12_GLOBAL__N_124unique_dim_cuda_templateIlEESt5tupleIJNSA_6TensorESF_SF_EERKSF_lbbbEUlllE_EE10hipError_tT0_T1_T2_jT3_P12ihipStream_tbPNSt15iterator_traitsISL_E10value_typeEPNSR_ISM_E10value_typeEPSN_NS1_7vsmem_tEENKUlT_SL_SM_SN_E_clIS8_S8_S9_S9_EESK_S10_SL_SM_SN_EUlS10_E1_NS1_11comp_targetILNS1_3genE3ELNS1_11target_archE908ELNS1_3gpuE7ELNS1_3repE0EEENS1_36merge_oddeven_config_static_selectorELNS0_4arch9wavefront6targetE0EEEvSM_.num_vgpr, 0
	.set _ZN7rocprim17ROCPRIM_400000_NS6detail17trampoline_kernelINS0_14default_configENS1_38merge_sort_block_merge_config_selectorIlNS0_10empty_typeEEEZZNS1_27merge_sort_block_merge_implIS3_PlPS5_mZN2at6native12_GLOBAL__N_124unique_dim_cuda_templateIlEESt5tupleIJNSA_6TensorESF_SF_EERKSF_lbbbEUlllE_EE10hipError_tT0_T1_T2_jT3_P12ihipStream_tbPNSt15iterator_traitsISL_E10value_typeEPNSR_ISM_E10value_typeEPSN_NS1_7vsmem_tEENKUlT_SL_SM_SN_E_clIS8_S8_S9_S9_EESK_S10_SL_SM_SN_EUlS10_E1_NS1_11comp_targetILNS1_3genE3ELNS1_11target_archE908ELNS1_3gpuE7ELNS1_3repE0EEENS1_36merge_oddeven_config_static_selectorELNS0_4arch9wavefront6targetE0EEEvSM_.num_agpr, 0
	.set _ZN7rocprim17ROCPRIM_400000_NS6detail17trampoline_kernelINS0_14default_configENS1_38merge_sort_block_merge_config_selectorIlNS0_10empty_typeEEEZZNS1_27merge_sort_block_merge_implIS3_PlPS5_mZN2at6native12_GLOBAL__N_124unique_dim_cuda_templateIlEESt5tupleIJNSA_6TensorESF_SF_EERKSF_lbbbEUlllE_EE10hipError_tT0_T1_T2_jT3_P12ihipStream_tbPNSt15iterator_traitsISL_E10value_typeEPNSR_ISM_E10value_typeEPSN_NS1_7vsmem_tEENKUlT_SL_SM_SN_E_clIS8_S8_S9_S9_EESK_S10_SL_SM_SN_EUlS10_E1_NS1_11comp_targetILNS1_3genE3ELNS1_11target_archE908ELNS1_3gpuE7ELNS1_3repE0EEENS1_36merge_oddeven_config_static_selectorELNS0_4arch9wavefront6targetE0EEEvSM_.numbered_sgpr, 0
	.set _ZN7rocprim17ROCPRIM_400000_NS6detail17trampoline_kernelINS0_14default_configENS1_38merge_sort_block_merge_config_selectorIlNS0_10empty_typeEEEZZNS1_27merge_sort_block_merge_implIS3_PlPS5_mZN2at6native12_GLOBAL__N_124unique_dim_cuda_templateIlEESt5tupleIJNSA_6TensorESF_SF_EERKSF_lbbbEUlllE_EE10hipError_tT0_T1_T2_jT3_P12ihipStream_tbPNSt15iterator_traitsISL_E10value_typeEPNSR_ISM_E10value_typeEPSN_NS1_7vsmem_tEENKUlT_SL_SM_SN_E_clIS8_S8_S9_S9_EESK_S10_SL_SM_SN_EUlS10_E1_NS1_11comp_targetILNS1_3genE3ELNS1_11target_archE908ELNS1_3gpuE7ELNS1_3repE0EEENS1_36merge_oddeven_config_static_selectorELNS0_4arch9wavefront6targetE0EEEvSM_.num_named_barrier, 0
	.set _ZN7rocprim17ROCPRIM_400000_NS6detail17trampoline_kernelINS0_14default_configENS1_38merge_sort_block_merge_config_selectorIlNS0_10empty_typeEEEZZNS1_27merge_sort_block_merge_implIS3_PlPS5_mZN2at6native12_GLOBAL__N_124unique_dim_cuda_templateIlEESt5tupleIJNSA_6TensorESF_SF_EERKSF_lbbbEUlllE_EE10hipError_tT0_T1_T2_jT3_P12ihipStream_tbPNSt15iterator_traitsISL_E10value_typeEPNSR_ISM_E10value_typeEPSN_NS1_7vsmem_tEENKUlT_SL_SM_SN_E_clIS8_S8_S9_S9_EESK_S10_SL_SM_SN_EUlS10_E1_NS1_11comp_targetILNS1_3genE3ELNS1_11target_archE908ELNS1_3gpuE7ELNS1_3repE0EEENS1_36merge_oddeven_config_static_selectorELNS0_4arch9wavefront6targetE0EEEvSM_.private_seg_size, 0
	.set _ZN7rocprim17ROCPRIM_400000_NS6detail17trampoline_kernelINS0_14default_configENS1_38merge_sort_block_merge_config_selectorIlNS0_10empty_typeEEEZZNS1_27merge_sort_block_merge_implIS3_PlPS5_mZN2at6native12_GLOBAL__N_124unique_dim_cuda_templateIlEESt5tupleIJNSA_6TensorESF_SF_EERKSF_lbbbEUlllE_EE10hipError_tT0_T1_T2_jT3_P12ihipStream_tbPNSt15iterator_traitsISL_E10value_typeEPNSR_ISM_E10value_typeEPSN_NS1_7vsmem_tEENKUlT_SL_SM_SN_E_clIS8_S8_S9_S9_EESK_S10_SL_SM_SN_EUlS10_E1_NS1_11comp_targetILNS1_3genE3ELNS1_11target_archE908ELNS1_3gpuE7ELNS1_3repE0EEENS1_36merge_oddeven_config_static_selectorELNS0_4arch9wavefront6targetE0EEEvSM_.uses_vcc, 0
	.set _ZN7rocprim17ROCPRIM_400000_NS6detail17trampoline_kernelINS0_14default_configENS1_38merge_sort_block_merge_config_selectorIlNS0_10empty_typeEEEZZNS1_27merge_sort_block_merge_implIS3_PlPS5_mZN2at6native12_GLOBAL__N_124unique_dim_cuda_templateIlEESt5tupleIJNSA_6TensorESF_SF_EERKSF_lbbbEUlllE_EE10hipError_tT0_T1_T2_jT3_P12ihipStream_tbPNSt15iterator_traitsISL_E10value_typeEPNSR_ISM_E10value_typeEPSN_NS1_7vsmem_tEENKUlT_SL_SM_SN_E_clIS8_S8_S9_S9_EESK_S10_SL_SM_SN_EUlS10_E1_NS1_11comp_targetILNS1_3genE3ELNS1_11target_archE908ELNS1_3gpuE7ELNS1_3repE0EEENS1_36merge_oddeven_config_static_selectorELNS0_4arch9wavefront6targetE0EEEvSM_.uses_flat_scratch, 0
	.set _ZN7rocprim17ROCPRIM_400000_NS6detail17trampoline_kernelINS0_14default_configENS1_38merge_sort_block_merge_config_selectorIlNS0_10empty_typeEEEZZNS1_27merge_sort_block_merge_implIS3_PlPS5_mZN2at6native12_GLOBAL__N_124unique_dim_cuda_templateIlEESt5tupleIJNSA_6TensorESF_SF_EERKSF_lbbbEUlllE_EE10hipError_tT0_T1_T2_jT3_P12ihipStream_tbPNSt15iterator_traitsISL_E10value_typeEPNSR_ISM_E10value_typeEPSN_NS1_7vsmem_tEENKUlT_SL_SM_SN_E_clIS8_S8_S9_S9_EESK_S10_SL_SM_SN_EUlS10_E1_NS1_11comp_targetILNS1_3genE3ELNS1_11target_archE908ELNS1_3gpuE7ELNS1_3repE0EEENS1_36merge_oddeven_config_static_selectorELNS0_4arch9wavefront6targetE0EEEvSM_.has_dyn_sized_stack, 0
	.set _ZN7rocprim17ROCPRIM_400000_NS6detail17trampoline_kernelINS0_14default_configENS1_38merge_sort_block_merge_config_selectorIlNS0_10empty_typeEEEZZNS1_27merge_sort_block_merge_implIS3_PlPS5_mZN2at6native12_GLOBAL__N_124unique_dim_cuda_templateIlEESt5tupleIJNSA_6TensorESF_SF_EERKSF_lbbbEUlllE_EE10hipError_tT0_T1_T2_jT3_P12ihipStream_tbPNSt15iterator_traitsISL_E10value_typeEPNSR_ISM_E10value_typeEPSN_NS1_7vsmem_tEENKUlT_SL_SM_SN_E_clIS8_S8_S9_S9_EESK_S10_SL_SM_SN_EUlS10_E1_NS1_11comp_targetILNS1_3genE3ELNS1_11target_archE908ELNS1_3gpuE7ELNS1_3repE0EEENS1_36merge_oddeven_config_static_selectorELNS0_4arch9wavefront6targetE0EEEvSM_.has_recursion, 0
	.set _ZN7rocprim17ROCPRIM_400000_NS6detail17trampoline_kernelINS0_14default_configENS1_38merge_sort_block_merge_config_selectorIlNS0_10empty_typeEEEZZNS1_27merge_sort_block_merge_implIS3_PlPS5_mZN2at6native12_GLOBAL__N_124unique_dim_cuda_templateIlEESt5tupleIJNSA_6TensorESF_SF_EERKSF_lbbbEUlllE_EE10hipError_tT0_T1_T2_jT3_P12ihipStream_tbPNSt15iterator_traitsISL_E10value_typeEPNSR_ISM_E10value_typeEPSN_NS1_7vsmem_tEENKUlT_SL_SM_SN_E_clIS8_S8_S9_S9_EESK_S10_SL_SM_SN_EUlS10_E1_NS1_11comp_targetILNS1_3genE3ELNS1_11target_archE908ELNS1_3gpuE7ELNS1_3repE0EEENS1_36merge_oddeven_config_static_selectorELNS0_4arch9wavefront6targetE0EEEvSM_.has_indirect_call, 0
	.section	.AMDGPU.csdata,"",@progbits
; Kernel info:
; codeLenInByte = 0
; TotalNumSgprs: 0
; NumVgprs: 0
; ScratchSize: 0
; MemoryBound: 0
; FloatMode: 240
; IeeeMode: 1
; LDSByteSize: 0 bytes/workgroup (compile time only)
; SGPRBlocks: 0
; VGPRBlocks: 0
; NumSGPRsForWavesPerEU: 1
; NumVGPRsForWavesPerEU: 1
; NamedBarCnt: 0
; Occupancy: 16
; WaveLimiterHint : 0
; COMPUTE_PGM_RSRC2:SCRATCH_EN: 0
; COMPUTE_PGM_RSRC2:USER_SGPR: 2
; COMPUTE_PGM_RSRC2:TRAP_HANDLER: 0
; COMPUTE_PGM_RSRC2:TGID_X_EN: 1
; COMPUTE_PGM_RSRC2:TGID_Y_EN: 0
; COMPUTE_PGM_RSRC2:TGID_Z_EN: 0
; COMPUTE_PGM_RSRC2:TIDIG_COMP_CNT: 0
	.section	.text._ZN7rocprim17ROCPRIM_400000_NS6detail17trampoline_kernelINS0_14default_configENS1_38merge_sort_block_merge_config_selectorIlNS0_10empty_typeEEEZZNS1_27merge_sort_block_merge_implIS3_PlPS5_mZN2at6native12_GLOBAL__N_124unique_dim_cuda_templateIlEESt5tupleIJNSA_6TensorESF_SF_EERKSF_lbbbEUlllE_EE10hipError_tT0_T1_T2_jT3_P12ihipStream_tbPNSt15iterator_traitsISL_E10value_typeEPNSR_ISM_E10value_typeEPSN_NS1_7vsmem_tEENKUlT_SL_SM_SN_E_clIS8_S8_S9_S9_EESK_S10_SL_SM_SN_EUlS10_E1_NS1_11comp_targetILNS1_3genE2ELNS1_11target_archE906ELNS1_3gpuE6ELNS1_3repE0EEENS1_36merge_oddeven_config_static_selectorELNS0_4arch9wavefront6targetE0EEEvSM_,"axG",@progbits,_ZN7rocprim17ROCPRIM_400000_NS6detail17trampoline_kernelINS0_14default_configENS1_38merge_sort_block_merge_config_selectorIlNS0_10empty_typeEEEZZNS1_27merge_sort_block_merge_implIS3_PlPS5_mZN2at6native12_GLOBAL__N_124unique_dim_cuda_templateIlEESt5tupleIJNSA_6TensorESF_SF_EERKSF_lbbbEUlllE_EE10hipError_tT0_T1_T2_jT3_P12ihipStream_tbPNSt15iterator_traitsISL_E10value_typeEPNSR_ISM_E10value_typeEPSN_NS1_7vsmem_tEENKUlT_SL_SM_SN_E_clIS8_S8_S9_S9_EESK_S10_SL_SM_SN_EUlS10_E1_NS1_11comp_targetILNS1_3genE2ELNS1_11target_archE906ELNS1_3gpuE6ELNS1_3repE0EEENS1_36merge_oddeven_config_static_selectorELNS0_4arch9wavefront6targetE0EEEvSM_,comdat
	.globl	_ZN7rocprim17ROCPRIM_400000_NS6detail17trampoline_kernelINS0_14default_configENS1_38merge_sort_block_merge_config_selectorIlNS0_10empty_typeEEEZZNS1_27merge_sort_block_merge_implIS3_PlPS5_mZN2at6native12_GLOBAL__N_124unique_dim_cuda_templateIlEESt5tupleIJNSA_6TensorESF_SF_EERKSF_lbbbEUlllE_EE10hipError_tT0_T1_T2_jT3_P12ihipStream_tbPNSt15iterator_traitsISL_E10value_typeEPNSR_ISM_E10value_typeEPSN_NS1_7vsmem_tEENKUlT_SL_SM_SN_E_clIS8_S8_S9_S9_EESK_S10_SL_SM_SN_EUlS10_E1_NS1_11comp_targetILNS1_3genE2ELNS1_11target_archE906ELNS1_3gpuE6ELNS1_3repE0EEENS1_36merge_oddeven_config_static_selectorELNS0_4arch9wavefront6targetE0EEEvSM_ ; -- Begin function _ZN7rocprim17ROCPRIM_400000_NS6detail17trampoline_kernelINS0_14default_configENS1_38merge_sort_block_merge_config_selectorIlNS0_10empty_typeEEEZZNS1_27merge_sort_block_merge_implIS3_PlPS5_mZN2at6native12_GLOBAL__N_124unique_dim_cuda_templateIlEESt5tupleIJNSA_6TensorESF_SF_EERKSF_lbbbEUlllE_EE10hipError_tT0_T1_T2_jT3_P12ihipStream_tbPNSt15iterator_traitsISL_E10value_typeEPNSR_ISM_E10value_typeEPSN_NS1_7vsmem_tEENKUlT_SL_SM_SN_E_clIS8_S8_S9_S9_EESK_S10_SL_SM_SN_EUlS10_E1_NS1_11comp_targetILNS1_3genE2ELNS1_11target_archE906ELNS1_3gpuE6ELNS1_3repE0EEENS1_36merge_oddeven_config_static_selectorELNS0_4arch9wavefront6targetE0EEEvSM_
	.p2align	8
	.type	_ZN7rocprim17ROCPRIM_400000_NS6detail17trampoline_kernelINS0_14default_configENS1_38merge_sort_block_merge_config_selectorIlNS0_10empty_typeEEEZZNS1_27merge_sort_block_merge_implIS3_PlPS5_mZN2at6native12_GLOBAL__N_124unique_dim_cuda_templateIlEESt5tupleIJNSA_6TensorESF_SF_EERKSF_lbbbEUlllE_EE10hipError_tT0_T1_T2_jT3_P12ihipStream_tbPNSt15iterator_traitsISL_E10value_typeEPNSR_ISM_E10value_typeEPSN_NS1_7vsmem_tEENKUlT_SL_SM_SN_E_clIS8_S8_S9_S9_EESK_S10_SL_SM_SN_EUlS10_E1_NS1_11comp_targetILNS1_3genE2ELNS1_11target_archE906ELNS1_3gpuE6ELNS1_3repE0EEENS1_36merge_oddeven_config_static_selectorELNS0_4arch9wavefront6targetE0EEEvSM_,@function
_ZN7rocprim17ROCPRIM_400000_NS6detail17trampoline_kernelINS0_14default_configENS1_38merge_sort_block_merge_config_selectorIlNS0_10empty_typeEEEZZNS1_27merge_sort_block_merge_implIS3_PlPS5_mZN2at6native12_GLOBAL__N_124unique_dim_cuda_templateIlEESt5tupleIJNSA_6TensorESF_SF_EERKSF_lbbbEUlllE_EE10hipError_tT0_T1_T2_jT3_P12ihipStream_tbPNSt15iterator_traitsISL_E10value_typeEPNSR_ISM_E10value_typeEPSN_NS1_7vsmem_tEENKUlT_SL_SM_SN_E_clIS8_S8_S9_S9_EESK_S10_SL_SM_SN_EUlS10_E1_NS1_11comp_targetILNS1_3genE2ELNS1_11target_archE906ELNS1_3gpuE6ELNS1_3repE0EEENS1_36merge_oddeven_config_static_selectorELNS0_4arch9wavefront6targetE0EEEvSM_: ; @_ZN7rocprim17ROCPRIM_400000_NS6detail17trampoline_kernelINS0_14default_configENS1_38merge_sort_block_merge_config_selectorIlNS0_10empty_typeEEEZZNS1_27merge_sort_block_merge_implIS3_PlPS5_mZN2at6native12_GLOBAL__N_124unique_dim_cuda_templateIlEESt5tupleIJNSA_6TensorESF_SF_EERKSF_lbbbEUlllE_EE10hipError_tT0_T1_T2_jT3_P12ihipStream_tbPNSt15iterator_traitsISL_E10value_typeEPNSR_ISM_E10value_typeEPSN_NS1_7vsmem_tEENKUlT_SL_SM_SN_E_clIS8_S8_S9_S9_EESK_S10_SL_SM_SN_EUlS10_E1_NS1_11comp_targetILNS1_3genE2ELNS1_11target_archE906ELNS1_3gpuE6ELNS1_3repE0EEENS1_36merge_oddeven_config_static_selectorELNS0_4arch9wavefront6targetE0EEEvSM_
; %bb.0:
	.section	.rodata,"a",@progbits
	.p2align	6, 0x0
	.amdhsa_kernel _ZN7rocprim17ROCPRIM_400000_NS6detail17trampoline_kernelINS0_14default_configENS1_38merge_sort_block_merge_config_selectorIlNS0_10empty_typeEEEZZNS1_27merge_sort_block_merge_implIS3_PlPS5_mZN2at6native12_GLOBAL__N_124unique_dim_cuda_templateIlEESt5tupleIJNSA_6TensorESF_SF_EERKSF_lbbbEUlllE_EE10hipError_tT0_T1_T2_jT3_P12ihipStream_tbPNSt15iterator_traitsISL_E10value_typeEPNSR_ISM_E10value_typeEPSN_NS1_7vsmem_tEENKUlT_SL_SM_SN_E_clIS8_S8_S9_S9_EESK_S10_SL_SM_SN_EUlS10_E1_NS1_11comp_targetILNS1_3genE2ELNS1_11target_archE906ELNS1_3gpuE6ELNS1_3repE0EEENS1_36merge_oddeven_config_static_selectorELNS0_4arch9wavefront6targetE0EEEvSM_
		.amdhsa_group_segment_fixed_size 0
		.amdhsa_private_segment_fixed_size 0
		.amdhsa_kernarg_size 64
		.amdhsa_user_sgpr_count 2
		.amdhsa_user_sgpr_dispatch_ptr 0
		.amdhsa_user_sgpr_queue_ptr 0
		.amdhsa_user_sgpr_kernarg_segment_ptr 1
		.amdhsa_user_sgpr_dispatch_id 0
		.amdhsa_user_sgpr_kernarg_preload_length 0
		.amdhsa_user_sgpr_kernarg_preload_offset 0
		.amdhsa_user_sgpr_private_segment_size 0
		.amdhsa_wavefront_size32 1
		.amdhsa_uses_dynamic_stack 0
		.amdhsa_enable_private_segment 0
		.amdhsa_system_sgpr_workgroup_id_x 1
		.amdhsa_system_sgpr_workgroup_id_y 0
		.amdhsa_system_sgpr_workgroup_id_z 0
		.amdhsa_system_sgpr_workgroup_info 0
		.amdhsa_system_vgpr_workitem_id 0
		.amdhsa_next_free_vgpr 1
		.amdhsa_next_free_sgpr 1
		.amdhsa_named_barrier_count 0
		.amdhsa_reserve_vcc 0
		.amdhsa_float_round_mode_32 0
		.amdhsa_float_round_mode_16_64 0
		.amdhsa_float_denorm_mode_32 3
		.amdhsa_float_denorm_mode_16_64 3
		.amdhsa_fp16_overflow 0
		.amdhsa_memory_ordered 1
		.amdhsa_forward_progress 1
		.amdhsa_inst_pref_size 0
		.amdhsa_round_robin_scheduling 0
		.amdhsa_exception_fp_ieee_invalid_op 0
		.amdhsa_exception_fp_denorm_src 0
		.amdhsa_exception_fp_ieee_div_zero 0
		.amdhsa_exception_fp_ieee_overflow 0
		.amdhsa_exception_fp_ieee_underflow 0
		.amdhsa_exception_fp_ieee_inexact 0
		.amdhsa_exception_int_div_zero 0
	.end_amdhsa_kernel
	.section	.text._ZN7rocprim17ROCPRIM_400000_NS6detail17trampoline_kernelINS0_14default_configENS1_38merge_sort_block_merge_config_selectorIlNS0_10empty_typeEEEZZNS1_27merge_sort_block_merge_implIS3_PlPS5_mZN2at6native12_GLOBAL__N_124unique_dim_cuda_templateIlEESt5tupleIJNSA_6TensorESF_SF_EERKSF_lbbbEUlllE_EE10hipError_tT0_T1_T2_jT3_P12ihipStream_tbPNSt15iterator_traitsISL_E10value_typeEPNSR_ISM_E10value_typeEPSN_NS1_7vsmem_tEENKUlT_SL_SM_SN_E_clIS8_S8_S9_S9_EESK_S10_SL_SM_SN_EUlS10_E1_NS1_11comp_targetILNS1_3genE2ELNS1_11target_archE906ELNS1_3gpuE6ELNS1_3repE0EEENS1_36merge_oddeven_config_static_selectorELNS0_4arch9wavefront6targetE0EEEvSM_,"axG",@progbits,_ZN7rocprim17ROCPRIM_400000_NS6detail17trampoline_kernelINS0_14default_configENS1_38merge_sort_block_merge_config_selectorIlNS0_10empty_typeEEEZZNS1_27merge_sort_block_merge_implIS3_PlPS5_mZN2at6native12_GLOBAL__N_124unique_dim_cuda_templateIlEESt5tupleIJNSA_6TensorESF_SF_EERKSF_lbbbEUlllE_EE10hipError_tT0_T1_T2_jT3_P12ihipStream_tbPNSt15iterator_traitsISL_E10value_typeEPNSR_ISM_E10value_typeEPSN_NS1_7vsmem_tEENKUlT_SL_SM_SN_E_clIS8_S8_S9_S9_EESK_S10_SL_SM_SN_EUlS10_E1_NS1_11comp_targetILNS1_3genE2ELNS1_11target_archE906ELNS1_3gpuE6ELNS1_3repE0EEENS1_36merge_oddeven_config_static_selectorELNS0_4arch9wavefront6targetE0EEEvSM_,comdat
.Lfunc_end535:
	.size	_ZN7rocprim17ROCPRIM_400000_NS6detail17trampoline_kernelINS0_14default_configENS1_38merge_sort_block_merge_config_selectorIlNS0_10empty_typeEEEZZNS1_27merge_sort_block_merge_implIS3_PlPS5_mZN2at6native12_GLOBAL__N_124unique_dim_cuda_templateIlEESt5tupleIJNSA_6TensorESF_SF_EERKSF_lbbbEUlllE_EE10hipError_tT0_T1_T2_jT3_P12ihipStream_tbPNSt15iterator_traitsISL_E10value_typeEPNSR_ISM_E10value_typeEPSN_NS1_7vsmem_tEENKUlT_SL_SM_SN_E_clIS8_S8_S9_S9_EESK_S10_SL_SM_SN_EUlS10_E1_NS1_11comp_targetILNS1_3genE2ELNS1_11target_archE906ELNS1_3gpuE6ELNS1_3repE0EEENS1_36merge_oddeven_config_static_selectorELNS0_4arch9wavefront6targetE0EEEvSM_, .Lfunc_end535-_ZN7rocprim17ROCPRIM_400000_NS6detail17trampoline_kernelINS0_14default_configENS1_38merge_sort_block_merge_config_selectorIlNS0_10empty_typeEEEZZNS1_27merge_sort_block_merge_implIS3_PlPS5_mZN2at6native12_GLOBAL__N_124unique_dim_cuda_templateIlEESt5tupleIJNSA_6TensorESF_SF_EERKSF_lbbbEUlllE_EE10hipError_tT0_T1_T2_jT3_P12ihipStream_tbPNSt15iterator_traitsISL_E10value_typeEPNSR_ISM_E10value_typeEPSN_NS1_7vsmem_tEENKUlT_SL_SM_SN_E_clIS8_S8_S9_S9_EESK_S10_SL_SM_SN_EUlS10_E1_NS1_11comp_targetILNS1_3genE2ELNS1_11target_archE906ELNS1_3gpuE6ELNS1_3repE0EEENS1_36merge_oddeven_config_static_selectorELNS0_4arch9wavefront6targetE0EEEvSM_
                                        ; -- End function
	.set _ZN7rocprim17ROCPRIM_400000_NS6detail17trampoline_kernelINS0_14default_configENS1_38merge_sort_block_merge_config_selectorIlNS0_10empty_typeEEEZZNS1_27merge_sort_block_merge_implIS3_PlPS5_mZN2at6native12_GLOBAL__N_124unique_dim_cuda_templateIlEESt5tupleIJNSA_6TensorESF_SF_EERKSF_lbbbEUlllE_EE10hipError_tT0_T1_T2_jT3_P12ihipStream_tbPNSt15iterator_traitsISL_E10value_typeEPNSR_ISM_E10value_typeEPSN_NS1_7vsmem_tEENKUlT_SL_SM_SN_E_clIS8_S8_S9_S9_EESK_S10_SL_SM_SN_EUlS10_E1_NS1_11comp_targetILNS1_3genE2ELNS1_11target_archE906ELNS1_3gpuE6ELNS1_3repE0EEENS1_36merge_oddeven_config_static_selectorELNS0_4arch9wavefront6targetE0EEEvSM_.num_vgpr, 0
	.set _ZN7rocprim17ROCPRIM_400000_NS6detail17trampoline_kernelINS0_14default_configENS1_38merge_sort_block_merge_config_selectorIlNS0_10empty_typeEEEZZNS1_27merge_sort_block_merge_implIS3_PlPS5_mZN2at6native12_GLOBAL__N_124unique_dim_cuda_templateIlEESt5tupleIJNSA_6TensorESF_SF_EERKSF_lbbbEUlllE_EE10hipError_tT0_T1_T2_jT3_P12ihipStream_tbPNSt15iterator_traitsISL_E10value_typeEPNSR_ISM_E10value_typeEPSN_NS1_7vsmem_tEENKUlT_SL_SM_SN_E_clIS8_S8_S9_S9_EESK_S10_SL_SM_SN_EUlS10_E1_NS1_11comp_targetILNS1_3genE2ELNS1_11target_archE906ELNS1_3gpuE6ELNS1_3repE0EEENS1_36merge_oddeven_config_static_selectorELNS0_4arch9wavefront6targetE0EEEvSM_.num_agpr, 0
	.set _ZN7rocprim17ROCPRIM_400000_NS6detail17trampoline_kernelINS0_14default_configENS1_38merge_sort_block_merge_config_selectorIlNS0_10empty_typeEEEZZNS1_27merge_sort_block_merge_implIS3_PlPS5_mZN2at6native12_GLOBAL__N_124unique_dim_cuda_templateIlEESt5tupleIJNSA_6TensorESF_SF_EERKSF_lbbbEUlllE_EE10hipError_tT0_T1_T2_jT3_P12ihipStream_tbPNSt15iterator_traitsISL_E10value_typeEPNSR_ISM_E10value_typeEPSN_NS1_7vsmem_tEENKUlT_SL_SM_SN_E_clIS8_S8_S9_S9_EESK_S10_SL_SM_SN_EUlS10_E1_NS1_11comp_targetILNS1_3genE2ELNS1_11target_archE906ELNS1_3gpuE6ELNS1_3repE0EEENS1_36merge_oddeven_config_static_selectorELNS0_4arch9wavefront6targetE0EEEvSM_.numbered_sgpr, 0
	.set _ZN7rocprim17ROCPRIM_400000_NS6detail17trampoline_kernelINS0_14default_configENS1_38merge_sort_block_merge_config_selectorIlNS0_10empty_typeEEEZZNS1_27merge_sort_block_merge_implIS3_PlPS5_mZN2at6native12_GLOBAL__N_124unique_dim_cuda_templateIlEESt5tupleIJNSA_6TensorESF_SF_EERKSF_lbbbEUlllE_EE10hipError_tT0_T1_T2_jT3_P12ihipStream_tbPNSt15iterator_traitsISL_E10value_typeEPNSR_ISM_E10value_typeEPSN_NS1_7vsmem_tEENKUlT_SL_SM_SN_E_clIS8_S8_S9_S9_EESK_S10_SL_SM_SN_EUlS10_E1_NS1_11comp_targetILNS1_3genE2ELNS1_11target_archE906ELNS1_3gpuE6ELNS1_3repE0EEENS1_36merge_oddeven_config_static_selectorELNS0_4arch9wavefront6targetE0EEEvSM_.num_named_barrier, 0
	.set _ZN7rocprim17ROCPRIM_400000_NS6detail17trampoline_kernelINS0_14default_configENS1_38merge_sort_block_merge_config_selectorIlNS0_10empty_typeEEEZZNS1_27merge_sort_block_merge_implIS3_PlPS5_mZN2at6native12_GLOBAL__N_124unique_dim_cuda_templateIlEESt5tupleIJNSA_6TensorESF_SF_EERKSF_lbbbEUlllE_EE10hipError_tT0_T1_T2_jT3_P12ihipStream_tbPNSt15iterator_traitsISL_E10value_typeEPNSR_ISM_E10value_typeEPSN_NS1_7vsmem_tEENKUlT_SL_SM_SN_E_clIS8_S8_S9_S9_EESK_S10_SL_SM_SN_EUlS10_E1_NS1_11comp_targetILNS1_3genE2ELNS1_11target_archE906ELNS1_3gpuE6ELNS1_3repE0EEENS1_36merge_oddeven_config_static_selectorELNS0_4arch9wavefront6targetE0EEEvSM_.private_seg_size, 0
	.set _ZN7rocprim17ROCPRIM_400000_NS6detail17trampoline_kernelINS0_14default_configENS1_38merge_sort_block_merge_config_selectorIlNS0_10empty_typeEEEZZNS1_27merge_sort_block_merge_implIS3_PlPS5_mZN2at6native12_GLOBAL__N_124unique_dim_cuda_templateIlEESt5tupleIJNSA_6TensorESF_SF_EERKSF_lbbbEUlllE_EE10hipError_tT0_T1_T2_jT3_P12ihipStream_tbPNSt15iterator_traitsISL_E10value_typeEPNSR_ISM_E10value_typeEPSN_NS1_7vsmem_tEENKUlT_SL_SM_SN_E_clIS8_S8_S9_S9_EESK_S10_SL_SM_SN_EUlS10_E1_NS1_11comp_targetILNS1_3genE2ELNS1_11target_archE906ELNS1_3gpuE6ELNS1_3repE0EEENS1_36merge_oddeven_config_static_selectorELNS0_4arch9wavefront6targetE0EEEvSM_.uses_vcc, 0
	.set _ZN7rocprim17ROCPRIM_400000_NS6detail17trampoline_kernelINS0_14default_configENS1_38merge_sort_block_merge_config_selectorIlNS0_10empty_typeEEEZZNS1_27merge_sort_block_merge_implIS3_PlPS5_mZN2at6native12_GLOBAL__N_124unique_dim_cuda_templateIlEESt5tupleIJNSA_6TensorESF_SF_EERKSF_lbbbEUlllE_EE10hipError_tT0_T1_T2_jT3_P12ihipStream_tbPNSt15iterator_traitsISL_E10value_typeEPNSR_ISM_E10value_typeEPSN_NS1_7vsmem_tEENKUlT_SL_SM_SN_E_clIS8_S8_S9_S9_EESK_S10_SL_SM_SN_EUlS10_E1_NS1_11comp_targetILNS1_3genE2ELNS1_11target_archE906ELNS1_3gpuE6ELNS1_3repE0EEENS1_36merge_oddeven_config_static_selectorELNS0_4arch9wavefront6targetE0EEEvSM_.uses_flat_scratch, 0
	.set _ZN7rocprim17ROCPRIM_400000_NS6detail17trampoline_kernelINS0_14default_configENS1_38merge_sort_block_merge_config_selectorIlNS0_10empty_typeEEEZZNS1_27merge_sort_block_merge_implIS3_PlPS5_mZN2at6native12_GLOBAL__N_124unique_dim_cuda_templateIlEESt5tupleIJNSA_6TensorESF_SF_EERKSF_lbbbEUlllE_EE10hipError_tT0_T1_T2_jT3_P12ihipStream_tbPNSt15iterator_traitsISL_E10value_typeEPNSR_ISM_E10value_typeEPSN_NS1_7vsmem_tEENKUlT_SL_SM_SN_E_clIS8_S8_S9_S9_EESK_S10_SL_SM_SN_EUlS10_E1_NS1_11comp_targetILNS1_3genE2ELNS1_11target_archE906ELNS1_3gpuE6ELNS1_3repE0EEENS1_36merge_oddeven_config_static_selectorELNS0_4arch9wavefront6targetE0EEEvSM_.has_dyn_sized_stack, 0
	.set _ZN7rocprim17ROCPRIM_400000_NS6detail17trampoline_kernelINS0_14default_configENS1_38merge_sort_block_merge_config_selectorIlNS0_10empty_typeEEEZZNS1_27merge_sort_block_merge_implIS3_PlPS5_mZN2at6native12_GLOBAL__N_124unique_dim_cuda_templateIlEESt5tupleIJNSA_6TensorESF_SF_EERKSF_lbbbEUlllE_EE10hipError_tT0_T1_T2_jT3_P12ihipStream_tbPNSt15iterator_traitsISL_E10value_typeEPNSR_ISM_E10value_typeEPSN_NS1_7vsmem_tEENKUlT_SL_SM_SN_E_clIS8_S8_S9_S9_EESK_S10_SL_SM_SN_EUlS10_E1_NS1_11comp_targetILNS1_3genE2ELNS1_11target_archE906ELNS1_3gpuE6ELNS1_3repE0EEENS1_36merge_oddeven_config_static_selectorELNS0_4arch9wavefront6targetE0EEEvSM_.has_recursion, 0
	.set _ZN7rocprim17ROCPRIM_400000_NS6detail17trampoline_kernelINS0_14default_configENS1_38merge_sort_block_merge_config_selectorIlNS0_10empty_typeEEEZZNS1_27merge_sort_block_merge_implIS3_PlPS5_mZN2at6native12_GLOBAL__N_124unique_dim_cuda_templateIlEESt5tupleIJNSA_6TensorESF_SF_EERKSF_lbbbEUlllE_EE10hipError_tT0_T1_T2_jT3_P12ihipStream_tbPNSt15iterator_traitsISL_E10value_typeEPNSR_ISM_E10value_typeEPSN_NS1_7vsmem_tEENKUlT_SL_SM_SN_E_clIS8_S8_S9_S9_EESK_S10_SL_SM_SN_EUlS10_E1_NS1_11comp_targetILNS1_3genE2ELNS1_11target_archE906ELNS1_3gpuE6ELNS1_3repE0EEENS1_36merge_oddeven_config_static_selectorELNS0_4arch9wavefront6targetE0EEEvSM_.has_indirect_call, 0
	.section	.AMDGPU.csdata,"",@progbits
; Kernel info:
; codeLenInByte = 0
; TotalNumSgprs: 0
; NumVgprs: 0
; ScratchSize: 0
; MemoryBound: 0
; FloatMode: 240
; IeeeMode: 1
; LDSByteSize: 0 bytes/workgroup (compile time only)
; SGPRBlocks: 0
; VGPRBlocks: 0
; NumSGPRsForWavesPerEU: 1
; NumVGPRsForWavesPerEU: 1
; NamedBarCnt: 0
; Occupancy: 16
; WaveLimiterHint : 0
; COMPUTE_PGM_RSRC2:SCRATCH_EN: 0
; COMPUTE_PGM_RSRC2:USER_SGPR: 2
; COMPUTE_PGM_RSRC2:TRAP_HANDLER: 0
; COMPUTE_PGM_RSRC2:TGID_X_EN: 1
; COMPUTE_PGM_RSRC2:TGID_Y_EN: 0
; COMPUTE_PGM_RSRC2:TGID_Z_EN: 0
; COMPUTE_PGM_RSRC2:TIDIG_COMP_CNT: 0
	.section	.text._ZN7rocprim17ROCPRIM_400000_NS6detail17trampoline_kernelINS0_14default_configENS1_38merge_sort_block_merge_config_selectorIlNS0_10empty_typeEEEZZNS1_27merge_sort_block_merge_implIS3_PlPS5_mZN2at6native12_GLOBAL__N_124unique_dim_cuda_templateIlEESt5tupleIJNSA_6TensorESF_SF_EERKSF_lbbbEUlllE_EE10hipError_tT0_T1_T2_jT3_P12ihipStream_tbPNSt15iterator_traitsISL_E10value_typeEPNSR_ISM_E10value_typeEPSN_NS1_7vsmem_tEENKUlT_SL_SM_SN_E_clIS8_S8_S9_S9_EESK_S10_SL_SM_SN_EUlS10_E1_NS1_11comp_targetILNS1_3genE9ELNS1_11target_archE1100ELNS1_3gpuE3ELNS1_3repE0EEENS1_36merge_oddeven_config_static_selectorELNS0_4arch9wavefront6targetE0EEEvSM_,"axG",@progbits,_ZN7rocprim17ROCPRIM_400000_NS6detail17trampoline_kernelINS0_14default_configENS1_38merge_sort_block_merge_config_selectorIlNS0_10empty_typeEEEZZNS1_27merge_sort_block_merge_implIS3_PlPS5_mZN2at6native12_GLOBAL__N_124unique_dim_cuda_templateIlEESt5tupleIJNSA_6TensorESF_SF_EERKSF_lbbbEUlllE_EE10hipError_tT0_T1_T2_jT3_P12ihipStream_tbPNSt15iterator_traitsISL_E10value_typeEPNSR_ISM_E10value_typeEPSN_NS1_7vsmem_tEENKUlT_SL_SM_SN_E_clIS8_S8_S9_S9_EESK_S10_SL_SM_SN_EUlS10_E1_NS1_11comp_targetILNS1_3genE9ELNS1_11target_archE1100ELNS1_3gpuE3ELNS1_3repE0EEENS1_36merge_oddeven_config_static_selectorELNS0_4arch9wavefront6targetE0EEEvSM_,comdat
	.globl	_ZN7rocprim17ROCPRIM_400000_NS6detail17trampoline_kernelINS0_14default_configENS1_38merge_sort_block_merge_config_selectorIlNS0_10empty_typeEEEZZNS1_27merge_sort_block_merge_implIS3_PlPS5_mZN2at6native12_GLOBAL__N_124unique_dim_cuda_templateIlEESt5tupleIJNSA_6TensorESF_SF_EERKSF_lbbbEUlllE_EE10hipError_tT0_T1_T2_jT3_P12ihipStream_tbPNSt15iterator_traitsISL_E10value_typeEPNSR_ISM_E10value_typeEPSN_NS1_7vsmem_tEENKUlT_SL_SM_SN_E_clIS8_S8_S9_S9_EESK_S10_SL_SM_SN_EUlS10_E1_NS1_11comp_targetILNS1_3genE9ELNS1_11target_archE1100ELNS1_3gpuE3ELNS1_3repE0EEENS1_36merge_oddeven_config_static_selectorELNS0_4arch9wavefront6targetE0EEEvSM_ ; -- Begin function _ZN7rocprim17ROCPRIM_400000_NS6detail17trampoline_kernelINS0_14default_configENS1_38merge_sort_block_merge_config_selectorIlNS0_10empty_typeEEEZZNS1_27merge_sort_block_merge_implIS3_PlPS5_mZN2at6native12_GLOBAL__N_124unique_dim_cuda_templateIlEESt5tupleIJNSA_6TensorESF_SF_EERKSF_lbbbEUlllE_EE10hipError_tT0_T1_T2_jT3_P12ihipStream_tbPNSt15iterator_traitsISL_E10value_typeEPNSR_ISM_E10value_typeEPSN_NS1_7vsmem_tEENKUlT_SL_SM_SN_E_clIS8_S8_S9_S9_EESK_S10_SL_SM_SN_EUlS10_E1_NS1_11comp_targetILNS1_3genE9ELNS1_11target_archE1100ELNS1_3gpuE3ELNS1_3repE0EEENS1_36merge_oddeven_config_static_selectorELNS0_4arch9wavefront6targetE0EEEvSM_
	.p2align	8
	.type	_ZN7rocprim17ROCPRIM_400000_NS6detail17trampoline_kernelINS0_14default_configENS1_38merge_sort_block_merge_config_selectorIlNS0_10empty_typeEEEZZNS1_27merge_sort_block_merge_implIS3_PlPS5_mZN2at6native12_GLOBAL__N_124unique_dim_cuda_templateIlEESt5tupleIJNSA_6TensorESF_SF_EERKSF_lbbbEUlllE_EE10hipError_tT0_T1_T2_jT3_P12ihipStream_tbPNSt15iterator_traitsISL_E10value_typeEPNSR_ISM_E10value_typeEPSN_NS1_7vsmem_tEENKUlT_SL_SM_SN_E_clIS8_S8_S9_S9_EESK_S10_SL_SM_SN_EUlS10_E1_NS1_11comp_targetILNS1_3genE9ELNS1_11target_archE1100ELNS1_3gpuE3ELNS1_3repE0EEENS1_36merge_oddeven_config_static_selectorELNS0_4arch9wavefront6targetE0EEEvSM_,@function
_ZN7rocprim17ROCPRIM_400000_NS6detail17trampoline_kernelINS0_14default_configENS1_38merge_sort_block_merge_config_selectorIlNS0_10empty_typeEEEZZNS1_27merge_sort_block_merge_implIS3_PlPS5_mZN2at6native12_GLOBAL__N_124unique_dim_cuda_templateIlEESt5tupleIJNSA_6TensorESF_SF_EERKSF_lbbbEUlllE_EE10hipError_tT0_T1_T2_jT3_P12ihipStream_tbPNSt15iterator_traitsISL_E10value_typeEPNSR_ISM_E10value_typeEPSN_NS1_7vsmem_tEENKUlT_SL_SM_SN_E_clIS8_S8_S9_S9_EESK_S10_SL_SM_SN_EUlS10_E1_NS1_11comp_targetILNS1_3genE9ELNS1_11target_archE1100ELNS1_3gpuE3ELNS1_3repE0EEENS1_36merge_oddeven_config_static_selectorELNS0_4arch9wavefront6targetE0EEEvSM_: ; @_ZN7rocprim17ROCPRIM_400000_NS6detail17trampoline_kernelINS0_14default_configENS1_38merge_sort_block_merge_config_selectorIlNS0_10empty_typeEEEZZNS1_27merge_sort_block_merge_implIS3_PlPS5_mZN2at6native12_GLOBAL__N_124unique_dim_cuda_templateIlEESt5tupleIJNSA_6TensorESF_SF_EERKSF_lbbbEUlllE_EE10hipError_tT0_T1_T2_jT3_P12ihipStream_tbPNSt15iterator_traitsISL_E10value_typeEPNSR_ISM_E10value_typeEPSN_NS1_7vsmem_tEENKUlT_SL_SM_SN_E_clIS8_S8_S9_S9_EESK_S10_SL_SM_SN_EUlS10_E1_NS1_11comp_targetILNS1_3genE9ELNS1_11target_archE1100ELNS1_3gpuE3ELNS1_3repE0EEENS1_36merge_oddeven_config_static_selectorELNS0_4arch9wavefront6targetE0EEEvSM_
; %bb.0:
	.section	.rodata,"a",@progbits
	.p2align	6, 0x0
	.amdhsa_kernel _ZN7rocprim17ROCPRIM_400000_NS6detail17trampoline_kernelINS0_14default_configENS1_38merge_sort_block_merge_config_selectorIlNS0_10empty_typeEEEZZNS1_27merge_sort_block_merge_implIS3_PlPS5_mZN2at6native12_GLOBAL__N_124unique_dim_cuda_templateIlEESt5tupleIJNSA_6TensorESF_SF_EERKSF_lbbbEUlllE_EE10hipError_tT0_T1_T2_jT3_P12ihipStream_tbPNSt15iterator_traitsISL_E10value_typeEPNSR_ISM_E10value_typeEPSN_NS1_7vsmem_tEENKUlT_SL_SM_SN_E_clIS8_S8_S9_S9_EESK_S10_SL_SM_SN_EUlS10_E1_NS1_11comp_targetILNS1_3genE9ELNS1_11target_archE1100ELNS1_3gpuE3ELNS1_3repE0EEENS1_36merge_oddeven_config_static_selectorELNS0_4arch9wavefront6targetE0EEEvSM_
		.amdhsa_group_segment_fixed_size 0
		.amdhsa_private_segment_fixed_size 0
		.amdhsa_kernarg_size 64
		.amdhsa_user_sgpr_count 2
		.amdhsa_user_sgpr_dispatch_ptr 0
		.amdhsa_user_sgpr_queue_ptr 0
		.amdhsa_user_sgpr_kernarg_segment_ptr 1
		.amdhsa_user_sgpr_dispatch_id 0
		.amdhsa_user_sgpr_kernarg_preload_length 0
		.amdhsa_user_sgpr_kernarg_preload_offset 0
		.amdhsa_user_sgpr_private_segment_size 0
		.amdhsa_wavefront_size32 1
		.amdhsa_uses_dynamic_stack 0
		.amdhsa_enable_private_segment 0
		.amdhsa_system_sgpr_workgroup_id_x 1
		.amdhsa_system_sgpr_workgroup_id_y 0
		.amdhsa_system_sgpr_workgroup_id_z 0
		.amdhsa_system_sgpr_workgroup_info 0
		.amdhsa_system_vgpr_workitem_id 0
		.amdhsa_next_free_vgpr 1
		.amdhsa_next_free_sgpr 1
		.amdhsa_named_barrier_count 0
		.amdhsa_reserve_vcc 0
		.amdhsa_float_round_mode_32 0
		.amdhsa_float_round_mode_16_64 0
		.amdhsa_float_denorm_mode_32 3
		.amdhsa_float_denorm_mode_16_64 3
		.amdhsa_fp16_overflow 0
		.amdhsa_memory_ordered 1
		.amdhsa_forward_progress 1
		.amdhsa_inst_pref_size 0
		.amdhsa_round_robin_scheduling 0
		.amdhsa_exception_fp_ieee_invalid_op 0
		.amdhsa_exception_fp_denorm_src 0
		.amdhsa_exception_fp_ieee_div_zero 0
		.amdhsa_exception_fp_ieee_overflow 0
		.amdhsa_exception_fp_ieee_underflow 0
		.amdhsa_exception_fp_ieee_inexact 0
		.amdhsa_exception_int_div_zero 0
	.end_amdhsa_kernel
	.section	.text._ZN7rocprim17ROCPRIM_400000_NS6detail17trampoline_kernelINS0_14default_configENS1_38merge_sort_block_merge_config_selectorIlNS0_10empty_typeEEEZZNS1_27merge_sort_block_merge_implIS3_PlPS5_mZN2at6native12_GLOBAL__N_124unique_dim_cuda_templateIlEESt5tupleIJNSA_6TensorESF_SF_EERKSF_lbbbEUlllE_EE10hipError_tT0_T1_T2_jT3_P12ihipStream_tbPNSt15iterator_traitsISL_E10value_typeEPNSR_ISM_E10value_typeEPSN_NS1_7vsmem_tEENKUlT_SL_SM_SN_E_clIS8_S8_S9_S9_EESK_S10_SL_SM_SN_EUlS10_E1_NS1_11comp_targetILNS1_3genE9ELNS1_11target_archE1100ELNS1_3gpuE3ELNS1_3repE0EEENS1_36merge_oddeven_config_static_selectorELNS0_4arch9wavefront6targetE0EEEvSM_,"axG",@progbits,_ZN7rocprim17ROCPRIM_400000_NS6detail17trampoline_kernelINS0_14default_configENS1_38merge_sort_block_merge_config_selectorIlNS0_10empty_typeEEEZZNS1_27merge_sort_block_merge_implIS3_PlPS5_mZN2at6native12_GLOBAL__N_124unique_dim_cuda_templateIlEESt5tupleIJNSA_6TensorESF_SF_EERKSF_lbbbEUlllE_EE10hipError_tT0_T1_T2_jT3_P12ihipStream_tbPNSt15iterator_traitsISL_E10value_typeEPNSR_ISM_E10value_typeEPSN_NS1_7vsmem_tEENKUlT_SL_SM_SN_E_clIS8_S8_S9_S9_EESK_S10_SL_SM_SN_EUlS10_E1_NS1_11comp_targetILNS1_3genE9ELNS1_11target_archE1100ELNS1_3gpuE3ELNS1_3repE0EEENS1_36merge_oddeven_config_static_selectorELNS0_4arch9wavefront6targetE0EEEvSM_,comdat
.Lfunc_end536:
	.size	_ZN7rocprim17ROCPRIM_400000_NS6detail17trampoline_kernelINS0_14default_configENS1_38merge_sort_block_merge_config_selectorIlNS0_10empty_typeEEEZZNS1_27merge_sort_block_merge_implIS3_PlPS5_mZN2at6native12_GLOBAL__N_124unique_dim_cuda_templateIlEESt5tupleIJNSA_6TensorESF_SF_EERKSF_lbbbEUlllE_EE10hipError_tT0_T1_T2_jT3_P12ihipStream_tbPNSt15iterator_traitsISL_E10value_typeEPNSR_ISM_E10value_typeEPSN_NS1_7vsmem_tEENKUlT_SL_SM_SN_E_clIS8_S8_S9_S9_EESK_S10_SL_SM_SN_EUlS10_E1_NS1_11comp_targetILNS1_3genE9ELNS1_11target_archE1100ELNS1_3gpuE3ELNS1_3repE0EEENS1_36merge_oddeven_config_static_selectorELNS0_4arch9wavefront6targetE0EEEvSM_, .Lfunc_end536-_ZN7rocprim17ROCPRIM_400000_NS6detail17trampoline_kernelINS0_14default_configENS1_38merge_sort_block_merge_config_selectorIlNS0_10empty_typeEEEZZNS1_27merge_sort_block_merge_implIS3_PlPS5_mZN2at6native12_GLOBAL__N_124unique_dim_cuda_templateIlEESt5tupleIJNSA_6TensorESF_SF_EERKSF_lbbbEUlllE_EE10hipError_tT0_T1_T2_jT3_P12ihipStream_tbPNSt15iterator_traitsISL_E10value_typeEPNSR_ISM_E10value_typeEPSN_NS1_7vsmem_tEENKUlT_SL_SM_SN_E_clIS8_S8_S9_S9_EESK_S10_SL_SM_SN_EUlS10_E1_NS1_11comp_targetILNS1_3genE9ELNS1_11target_archE1100ELNS1_3gpuE3ELNS1_3repE0EEENS1_36merge_oddeven_config_static_selectorELNS0_4arch9wavefront6targetE0EEEvSM_
                                        ; -- End function
	.set _ZN7rocprim17ROCPRIM_400000_NS6detail17trampoline_kernelINS0_14default_configENS1_38merge_sort_block_merge_config_selectorIlNS0_10empty_typeEEEZZNS1_27merge_sort_block_merge_implIS3_PlPS5_mZN2at6native12_GLOBAL__N_124unique_dim_cuda_templateIlEESt5tupleIJNSA_6TensorESF_SF_EERKSF_lbbbEUlllE_EE10hipError_tT0_T1_T2_jT3_P12ihipStream_tbPNSt15iterator_traitsISL_E10value_typeEPNSR_ISM_E10value_typeEPSN_NS1_7vsmem_tEENKUlT_SL_SM_SN_E_clIS8_S8_S9_S9_EESK_S10_SL_SM_SN_EUlS10_E1_NS1_11comp_targetILNS1_3genE9ELNS1_11target_archE1100ELNS1_3gpuE3ELNS1_3repE0EEENS1_36merge_oddeven_config_static_selectorELNS0_4arch9wavefront6targetE0EEEvSM_.num_vgpr, 0
	.set _ZN7rocprim17ROCPRIM_400000_NS6detail17trampoline_kernelINS0_14default_configENS1_38merge_sort_block_merge_config_selectorIlNS0_10empty_typeEEEZZNS1_27merge_sort_block_merge_implIS3_PlPS5_mZN2at6native12_GLOBAL__N_124unique_dim_cuda_templateIlEESt5tupleIJNSA_6TensorESF_SF_EERKSF_lbbbEUlllE_EE10hipError_tT0_T1_T2_jT3_P12ihipStream_tbPNSt15iterator_traitsISL_E10value_typeEPNSR_ISM_E10value_typeEPSN_NS1_7vsmem_tEENKUlT_SL_SM_SN_E_clIS8_S8_S9_S9_EESK_S10_SL_SM_SN_EUlS10_E1_NS1_11comp_targetILNS1_3genE9ELNS1_11target_archE1100ELNS1_3gpuE3ELNS1_3repE0EEENS1_36merge_oddeven_config_static_selectorELNS0_4arch9wavefront6targetE0EEEvSM_.num_agpr, 0
	.set _ZN7rocprim17ROCPRIM_400000_NS6detail17trampoline_kernelINS0_14default_configENS1_38merge_sort_block_merge_config_selectorIlNS0_10empty_typeEEEZZNS1_27merge_sort_block_merge_implIS3_PlPS5_mZN2at6native12_GLOBAL__N_124unique_dim_cuda_templateIlEESt5tupleIJNSA_6TensorESF_SF_EERKSF_lbbbEUlllE_EE10hipError_tT0_T1_T2_jT3_P12ihipStream_tbPNSt15iterator_traitsISL_E10value_typeEPNSR_ISM_E10value_typeEPSN_NS1_7vsmem_tEENKUlT_SL_SM_SN_E_clIS8_S8_S9_S9_EESK_S10_SL_SM_SN_EUlS10_E1_NS1_11comp_targetILNS1_3genE9ELNS1_11target_archE1100ELNS1_3gpuE3ELNS1_3repE0EEENS1_36merge_oddeven_config_static_selectorELNS0_4arch9wavefront6targetE0EEEvSM_.numbered_sgpr, 0
	.set _ZN7rocprim17ROCPRIM_400000_NS6detail17trampoline_kernelINS0_14default_configENS1_38merge_sort_block_merge_config_selectorIlNS0_10empty_typeEEEZZNS1_27merge_sort_block_merge_implIS3_PlPS5_mZN2at6native12_GLOBAL__N_124unique_dim_cuda_templateIlEESt5tupleIJNSA_6TensorESF_SF_EERKSF_lbbbEUlllE_EE10hipError_tT0_T1_T2_jT3_P12ihipStream_tbPNSt15iterator_traitsISL_E10value_typeEPNSR_ISM_E10value_typeEPSN_NS1_7vsmem_tEENKUlT_SL_SM_SN_E_clIS8_S8_S9_S9_EESK_S10_SL_SM_SN_EUlS10_E1_NS1_11comp_targetILNS1_3genE9ELNS1_11target_archE1100ELNS1_3gpuE3ELNS1_3repE0EEENS1_36merge_oddeven_config_static_selectorELNS0_4arch9wavefront6targetE0EEEvSM_.num_named_barrier, 0
	.set _ZN7rocprim17ROCPRIM_400000_NS6detail17trampoline_kernelINS0_14default_configENS1_38merge_sort_block_merge_config_selectorIlNS0_10empty_typeEEEZZNS1_27merge_sort_block_merge_implIS3_PlPS5_mZN2at6native12_GLOBAL__N_124unique_dim_cuda_templateIlEESt5tupleIJNSA_6TensorESF_SF_EERKSF_lbbbEUlllE_EE10hipError_tT0_T1_T2_jT3_P12ihipStream_tbPNSt15iterator_traitsISL_E10value_typeEPNSR_ISM_E10value_typeEPSN_NS1_7vsmem_tEENKUlT_SL_SM_SN_E_clIS8_S8_S9_S9_EESK_S10_SL_SM_SN_EUlS10_E1_NS1_11comp_targetILNS1_3genE9ELNS1_11target_archE1100ELNS1_3gpuE3ELNS1_3repE0EEENS1_36merge_oddeven_config_static_selectorELNS0_4arch9wavefront6targetE0EEEvSM_.private_seg_size, 0
	.set _ZN7rocprim17ROCPRIM_400000_NS6detail17trampoline_kernelINS0_14default_configENS1_38merge_sort_block_merge_config_selectorIlNS0_10empty_typeEEEZZNS1_27merge_sort_block_merge_implIS3_PlPS5_mZN2at6native12_GLOBAL__N_124unique_dim_cuda_templateIlEESt5tupleIJNSA_6TensorESF_SF_EERKSF_lbbbEUlllE_EE10hipError_tT0_T1_T2_jT3_P12ihipStream_tbPNSt15iterator_traitsISL_E10value_typeEPNSR_ISM_E10value_typeEPSN_NS1_7vsmem_tEENKUlT_SL_SM_SN_E_clIS8_S8_S9_S9_EESK_S10_SL_SM_SN_EUlS10_E1_NS1_11comp_targetILNS1_3genE9ELNS1_11target_archE1100ELNS1_3gpuE3ELNS1_3repE0EEENS1_36merge_oddeven_config_static_selectorELNS0_4arch9wavefront6targetE0EEEvSM_.uses_vcc, 0
	.set _ZN7rocprim17ROCPRIM_400000_NS6detail17trampoline_kernelINS0_14default_configENS1_38merge_sort_block_merge_config_selectorIlNS0_10empty_typeEEEZZNS1_27merge_sort_block_merge_implIS3_PlPS5_mZN2at6native12_GLOBAL__N_124unique_dim_cuda_templateIlEESt5tupleIJNSA_6TensorESF_SF_EERKSF_lbbbEUlllE_EE10hipError_tT0_T1_T2_jT3_P12ihipStream_tbPNSt15iterator_traitsISL_E10value_typeEPNSR_ISM_E10value_typeEPSN_NS1_7vsmem_tEENKUlT_SL_SM_SN_E_clIS8_S8_S9_S9_EESK_S10_SL_SM_SN_EUlS10_E1_NS1_11comp_targetILNS1_3genE9ELNS1_11target_archE1100ELNS1_3gpuE3ELNS1_3repE0EEENS1_36merge_oddeven_config_static_selectorELNS0_4arch9wavefront6targetE0EEEvSM_.uses_flat_scratch, 0
	.set _ZN7rocprim17ROCPRIM_400000_NS6detail17trampoline_kernelINS0_14default_configENS1_38merge_sort_block_merge_config_selectorIlNS0_10empty_typeEEEZZNS1_27merge_sort_block_merge_implIS3_PlPS5_mZN2at6native12_GLOBAL__N_124unique_dim_cuda_templateIlEESt5tupleIJNSA_6TensorESF_SF_EERKSF_lbbbEUlllE_EE10hipError_tT0_T1_T2_jT3_P12ihipStream_tbPNSt15iterator_traitsISL_E10value_typeEPNSR_ISM_E10value_typeEPSN_NS1_7vsmem_tEENKUlT_SL_SM_SN_E_clIS8_S8_S9_S9_EESK_S10_SL_SM_SN_EUlS10_E1_NS1_11comp_targetILNS1_3genE9ELNS1_11target_archE1100ELNS1_3gpuE3ELNS1_3repE0EEENS1_36merge_oddeven_config_static_selectorELNS0_4arch9wavefront6targetE0EEEvSM_.has_dyn_sized_stack, 0
	.set _ZN7rocprim17ROCPRIM_400000_NS6detail17trampoline_kernelINS0_14default_configENS1_38merge_sort_block_merge_config_selectorIlNS0_10empty_typeEEEZZNS1_27merge_sort_block_merge_implIS3_PlPS5_mZN2at6native12_GLOBAL__N_124unique_dim_cuda_templateIlEESt5tupleIJNSA_6TensorESF_SF_EERKSF_lbbbEUlllE_EE10hipError_tT0_T1_T2_jT3_P12ihipStream_tbPNSt15iterator_traitsISL_E10value_typeEPNSR_ISM_E10value_typeEPSN_NS1_7vsmem_tEENKUlT_SL_SM_SN_E_clIS8_S8_S9_S9_EESK_S10_SL_SM_SN_EUlS10_E1_NS1_11comp_targetILNS1_3genE9ELNS1_11target_archE1100ELNS1_3gpuE3ELNS1_3repE0EEENS1_36merge_oddeven_config_static_selectorELNS0_4arch9wavefront6targetE0EEEvSM_.has_recursion, 0
	.set _ZN7rocprim17ROCPRIM_400000_NS6detail17trampoline_kernelINS0_14default_configENS1_38merge_sort_block_merge_config_selectorIlNS0_10empty_typeEEEZZNS1_27merge_sort_block_merge_implIS3_PlPS5_mZN2at6native12_GLOBAL__N_124unique_dim_cuda_templateIlEESt5tupleIJNSA_6TensorESF_SF_EERKSF_lbbbEUlllE_EE10hipError_tT0_T1_T2_jT3_P12ihipStream_tbPNSt15iterator_traitsISL_E10value_typeEPNSR_ISM_E10value_typeEPSN_NS1_7vsmem_tEENKUlT_SL_SM_SN_E_clIS8_S8_S9_S9_EESK_S10_SL_SM_SN_EUlS10_E1_NS1_11comp_targetILNS1_3genE9ELNS1_11target_archE1100ELNS1_3gpuE3ELNS1_3repE0EEENS1_36merge_oddeven_config_static_selectorELNS0_4arch9wavefront6targetE0EEEvSM_.has_indirect_call, 0
	.section	.AMDGPU.csdata,"",@progbits
; Kernel info:
; codeLenInByte = 0
; TotalNumSgprs: 0
; NumVgprs: 0
; ScratchSize: 0
; MemoryBound: 0
; FloatMode: 240
; IeeeMode: 1
; LDSByteSize: 0 bytes/workgroup (compile time only)
; SGPRBlocks: 0
; VGPRBlocks: 0
; NumSGPRsForWavesPerEU: 1
; NumVGPRsForWavesPerEU: 1
; NamedBarCnt: 0
; Occupancy: 16
; WaveLimiterHint : 0
; COMPUTE_PGM_RSRC2:SCRATCH_EN: 0
; COMPUTE_PGM_RSRC2:USER_SGPR: 2
; COMPUTE_PGM_RSRC2:TRAP_HANDLER: 0
; COMPUTE_PGM_RSRC2:TGID_X_EN: 1
; COMPUTE_PGM_RSRC2:TGID_Y_EN: 0
; COMPUTE_PGM_RSRC2:TGID_Z_EN: 0
; COMPUTE_PGM_RSRC2:TIDIG_COMP_CNT: 0
	.section	.text._ZN7rocprim17ROCPRIM_400000_NS6detail17trampoline_kernelINS0_14default_configENS1_38merge_sort_block_merge_config_selectorIlNS0_10empty_typeEEEZZNS1_27merge_sort_block_merge_implIS3_PlPS5_mZN2at6native12_GLOBAL__N_124unique_dim_cuda_templateIlEESt5tupleIJNSA_6TensorESF_SF_EERKSF_lbbbEUlllE_EE10hipError_tT0_T1_T2_jT3_P12ihipStream_tbPNSt15iterator_traitsISL_E10value_typeEPNSR_ISM_E10value_typeEPSN_NS1_7vsmem_tEENKUlT_SL_SM_SN_E_clIS8_S8_S9_S9_EESK_S10_SL_SM_SN_EUlS10_E1_NS1_11comp_targetILNS1_3genE8ELNS1_11target_archE1030ELNS1_3gpuE2ELNS1_3repE0EEENS1_36merge_oddeven_config_static_selectorELNS0_4arch9wavefront6targetE0EEEvSM_,"axG",@progbits,_ZN7rocprim17ROCPRIM_400000_NS6detail17trampoline_kernelINS0_14default_configENS1_38merge_sort_block_merge_config_selectorIlNS0_10empty_typeEEEZZNS1_27merge_sort_block_merge_implIS3_PlPS5_mZN2at6native12_GLOBAL__N_124unique_dim_cuda_templateIlEESt5tupleIJNSA_6TensorESF_SF_EERKSF_lbbbEUlllE_EE10hipError_tT0_T1_T2_jT3_P12ihipStream_tbPNSt15iterator_traitsISL_E10value_typeEPNSR_ISM_E10value_typeEPSN_NS1_7vsmem_tEENKUlT_SL_SM_SN_E_clIS8_S8_S9_S9_EESK_S10_SL_SM_SN_EUlS10_E1_NS1_11comp_targetILNS1_3genE8ELNS1_11target_archE1030ELNS1_3gpuE2ELNS1_3repE0EEENS1_36merge_oddeven_config_static_selectorELNS0_4arch9wavefront6targetE0EEEvSM_,comdat
	.globl	_ZN7rocprim17ROCPRIM_400000_NS6detail17trampoline_kernelINS0_14default_configENS1_38merge_sort_block_merge_config_selectorIlNS0_10empty_typeEEEZZNS1_27merge_sort_block_merge_implIS3_PlPS5_mZN2at6native12_GLOBAL__N_124unique_dim_cuda_templateIlEESt5tupleIJNSA_6TensorESF_SF_EERKSF_lbbbEUlllE_EE10hipError_tT0_T1_T2_jT3_P12ihipStream_tbPNSt15iterator_traitsISL_E10value_typeEPNSR_ISM_E10value_typeEPSN_NS1_7vsmem_tEENKUlT_SL_SM_SN_E_clIS8_S8_S9_S9_EESK_S10_SL_SM_SN_EUlS10_E1_NS1_11comp_targetILNS1_3genE8ELNS1_11target_archE1030ELNS1_3gpuE2ELNS1_3repE0EEENS1_36merge_oddeven_config_static_selectorELNS0_4arch9wavefront6targetE0EEEvSM_ ; -- Begin function _ZN7rocprim17ROCPRIM_400000_NS6detail17trampoline_kernelINS0_14default_configENS1_38merge_sort_block_merge_config_selectorIlNS0_10empty_typeEEEZZNS1_27merge_sort_block_merge_implIS3_PlPS5_mZN2at6native12_GLOBAL__N_124unique_dim_cuda_templateIlEESt5tupleIJNSA_6TensorESF_SF_EERKSF_lbbbEUlllE_EE10hipError_tT0_T1_T2_jT3_P12ihipStream_tbPNSt15iterator_traitsISL_E10value_typeEPNSR_ISM_E10value_typeEPSN_NS1_7vsmem_tEENKUlT_SL_SM_SN_E_clIS8_S8_S9_S9_EESK_S10_SL_SM_SN_EUlS10_E1_NS1_11comp_targetILNS1_3genE8ELNS1_11target_archE1030ELNS1_3gpuE2ELNS1_3repE0EEENS1_36merge_oddeven_config_static_selectorELNS0_4arch9wavefront6targetE0EEEvSM_
	.p2align	8
	.type	_ZN7rocprim17ROCPRIM_400000_NS6detail17trampoline_kernelINS0_14default_configENS1_38merge_sort_block_merge_config_selectorIlNS0_10empty_typeEEEZZNS1_27merge_sort_block_merge_implIS3_PlPS5_mZN2at6native12_GLOBAL__N_124unique_dim_cuda_templateIlEESt5tupleIJNSA_6TensorESF_SF_EERKSF_lbbbEUlllE_EE10hipError_tT0_T1_T2_jT3_P12ihipStream_tbPNSt15iterator_traitsISL_E10value_typeEPNSR_ISM_E10value_typeEPSN_NS1_7vsmem_tEENKUlT_SL_SM_SN_E_clIS8_S8_S9_S9_EESK_S10_SL_SM_SN_EUlS10_E1_NS1_11comp_targetILNS1_3genE8ELNS1_11target_archE1030ELNS1_3gpuE2ELNS1_3repE0EEENS1_36merge_oddeven_config_static_selectorELNS0_4arch9wavefront6targetE0EEEvSM_,@function
_ZN7rocprim17ROCPRIM_400000_NS6detail17trampoline_kernelINS0_14default_configENS1_38merge_sort_block_merge_config_selectorIlNS0_10empty_typeEEEZZNS1_27merge_sort_block_merge_implIS3_PlPS5_mZN2at6native12_GLOBAL__N_124unique_dim_cuda_templateIlEESt5tupleIJNSA_6TensorESF_SF_EERKSF_lbbbEUlllE_EE10hipError_tT0_T1_T2_jT3_P12ihipStream_tbPNSt15iterator_traitsISL_E10value_typeEPNSR_ISM_E10value_typeEPSN_NS1_7vsmem_tEENKUlT_SL_SM_SN_E_clIS8_S8_S9_S9_EESK_S10_SL_SM_SN_EUlS10_E1_NS1_11comp_targetILNS1_3genE8ELNS1_11target_archE1030ELNS1_3gpuE2ELNS1_3repE0EEENS1_36merge_oddeven_config_static_selectorELNS0_4arch9wavefront6targetE0EEEvSM_: ; @_ZN7rocprim17ROCPRIM_400000_NS6detail17trampoline_kernelINS0_14default_configENS1_38merge_sort_block_merge_config_selectorIlNS0_10empty_typeEEEZZNS1_27merge_sort_block_merge_implIS3_PlPS5_mZN2at6native12_GLOBAL__N_124unique_dim_cuda_templateIlEESt5tupleIJNSA_6TensorESF_SF_EERKSF_lbbbEUlllE_EE10hipError_tT0_T1_T2_jT3_P12ihipStream_tbPNSt15iterator_traitsISL_E10value_typeEPNSR_ISM_E10value_typeEPSN_NS1_7vsmem_tEENKUlT_SL_SM_SN_E_clIS8_S8_S9_S9_EESK_S10_SL_SM_SN_EUlS10_E1_NS1_11comp_targetILNS1_3genE8ELNS1_11target_archE1030ELNS1_3gpuE2ELNS1_3repE0EEENS1_36merge_oddeven_config_static_selectorELNS0_4arch9wavefront6targetE0EEEvSM_
; %bb.0:
	.section	.rodata,"a",@progbits
	.p2align	6, 0x0
	.amdhsa_kernel _ZN7rocprim17ROCPRIM_400000_NS6detail17trampoline_kernelINS0_14default_configENS1_38merge_sort_block_merge_config_selectorIlNS0_10empty_typeEEEZZNS1_27merge_sort_block_merge_implIS3_PlPS5_mZN2at6native12_GLOBAL__N_124unique_dim_cuda_templateIlEESt5tupleIJNSA_6TensorESF_SF_EERKSF_lbbbEUlllE_EE10hipError_tT0_T1_T2_jT3_P12ihipStream_tbPNSt15iterator_traitsISL_E10value_typeEPNSR_ISM_E10value_typeEPSN_NS1_7vsmem_tEENKUlT_SL_SM_SN_E_clIS8_S8_S9_S9_EESK_S10_SL_SM_SN_EUlS10_E1_NS1_11comp_targetILNS1_3genE8ELNS1_11target_archE1030ELNS1_3gpuE2ELNS1_3repE0EEENS1_36merge_oddeven_config_static_selectorELNS0_4arch9wavefront6targetE0EEEvSM_
		.amdhsa_group_segment_fixed_size 0
		.amdhsa_private_segment_fixed_size 0
		.amdhsa_kernarg_size 64
		.amdhsa_user_sgpr_count 2
		.amdhsa_user_sgpr_dispatch_ptr 0
		.amdhsa_user_sgpr_queue_ptr 0
		.amdhsa_user_sgpr_kernarg_segment_ptr 1
		.amdhsa_user_sgpr_dispatch_id 0
		.amdhsa_user_sgpr_kernarg_preload_length 0
		.amdhsa_user_sgpr_kernarg_preload_offset 0
		.amdhsa_user_sgpr_private_segment_size 0
		.amdhsa_wavefront_size32 1
		.amdhsa_uses_dynamic_stack 0
		.amdhsa_enable_private_segment 0
		.amdhsa_system_sgpr_workgroup_id_x 1
		.amdhsa_system_sgpr_workgroup_id_y 0
		.amdhsa_system_sgpr_workgroup_id_z 0
		.amdhsa_system_sgpr_workgroup_info 0
		.amdhsa_system_vgpr_workitem_id 0
		.amdhsa_next_free_vgpr 1
		.amdhsa_next_free_sgpr 1
		.amdhsa_named_barrier_count 0
		.amdhsa_reserve_vcc 0
		.amdhsa_float_round_mode_32 0
		.amdhsa_float_round_mode_16_64 0
		.amdhsa_float_denorm_mode_32 3
		.amdhsa_float_denorm_mode_16_64 3
		.amdhsa_fp16_overflow 0
		.amdhsa_memory_ordered 1
		.amdhsa_forward_progress 1
		.amdhsa_inst_pref_size 0
		.amdhsa_round_robin_scheduling 0
		.amdhsa_exception_fp_ieee_invalid_op 0
		.amdhsa_exception_fp_denorm_src 0
		.amdhsa_exception_fp_ieee_div_zero 0
		.amdhsa_exception_fp_ieee_overflow 0
		.amdhsa_exception_fp_ieee_underflow 0
		.amdhsa_exception_fp_ieee_inexact 0
		.amdhsa_exception_int_div_zero 0
	.end_amdhsa_kernel
	.section	.text._ZN7rocprim17ROCPRIM_400000_NS6detail17trampoline_kernelINS0_14default_configENS1_38merge_sort_block_merge_config_selectorIlNS0_10empty_typeEEEZZNS1_27merge_sort_block_merge_implIS3_PlPS5_mZN2at6native12_GLOBAL__N_124unique_dim_cuda_templateIlEESt5tupleIJNSA_6TensorESF_SF_EERKSF_lbbbEUlllE_EE10hipError_tT0_T1_T2_jT3_P12ihipStream_tbPNSt15iterator_traitsISL_E10value_typeEPNSR_ISM_E10value_typeEPSN_NS1_7vsmem_tEENKUlT_SL_SM_SN_E_clIS8_S8_S9_S9_EESK_S10_SL_SM_SN_EUlS10_E1_NS1_11comp_targetILNS1_3genE8ELNS1_11target_archE1030ELNS1_3gpuE2ELNS1_3repE0EEENS1_36merge_oddeven_config_static_selectorELNS0_4arch9wavefront6targetE0EEEvSM_,"axG",@progbits,_ZN7rocprim17ROCPRIM_400000_NS6detail17trampoline_kernelINS0_14default_configENS1_38merge_sort_block_merge_config_selectorIlNS0_10empty_typeEEEZZNS1_27merge_sort_block_merge_implIS3_PlPS5_mZN2at6native12_GLOBAL__N_124unique_dim_cuda_templateIlEESt5tupleIJNSA_6TensorESF_SF_EERKSF_lbbbEUlllE_EE10hipError_tT0_T1_T2_jT3_P12ihipStream_tbPNSt15iterator_traitsISL_E10value_typeEPNSR_ISM_E10value_typeEPSN_NS1_7vsmem_tEENKUlT_SL_SM_SN_E_clIS8_S8_S9_S9_EESK_S10_SL_SM_SN_EUlS10_E1_NS1_11comp_targetILNS1_3genE8ELNS1_11target_archE1030ELNS1_3gpuE2ELNS1_3repE0EEENS1_36merge_oddeven_config_static_selectorELNS0_4arch9wavefront6targetE0EEEvSM_,comdat
.Lfunc_end537:
	.size	_ZN7rocprim17ROCPRIM_400000_NS6detail17trampoline_kernelINS0_14default_configENS1_38merge_sort_block_merge_config_selectorIlNS0_10empty_typeEEEZZNS1_27merge_sort_block_merge_implIS3_PlPS5_mZN2at6native12_GLOBAL__N_124unique_dim_cuda_templateIlEESt5tupleIJNSA_6TensorESF_SF_EERKSF_lbbbEUlllE_EE10hipError_tT0_T1_T2_jT3_P12ihipStream_tbPNSt15iterator_traitsISL_E10value_typeEPNSR_ISM_E10value_typeEPSN_NS1_7vsmem_tEENKUlT_SL_SM_SN_E_clIS8_S8_S9_S9_EESK_S10_SL_SM_SN_EUlS10_E1_NS1_11comp_targetILNS1_3genE8ELNS1_11target_archE1030ELNS1_3gpuE2ELNS1_3repE0EEENS1_36merge_oddeven_config_static_selectorELNS0_4arch9wavefront6targetE0EEEvSM_, .Lfunc_end537-_ZN7rocprim17ROCPRIM_400000_NS6detail17trampoline_kernelINS0_14default_configENS1_38merge_sort_block_merge_config_selectorIlNS0_10empty_typeEEEZZNS1_27merge_sort_block_merge_implIS3_PlPS5_mZN2at6native12_GLOBAL__N_124unique_dim_cuda_templateIlEESt5tupleIJNSA_6TensorESF_SF_EERKSF_lbbbEUlllE_EE10hipError_tT0_T1_T2_jT3_P12ihipStream_tbPNSt15iterator_traitsISL_E10value_typeEPNSR_ISM_E10value_typeEPSN_NS1_7vsmem_tEENKUlT_SL_SM_SN_E_clIS8_S8_S9_S9_EESK_S10_SL_SM_SN_EUlS10_E1_NS1_11comp_targetILNS1_3genE8ELNS1_11target_archE1030ELNS1_3gpuE2ELNS1_3repE0EEENS1_36merge_oddeven_config_static_selectorELNS0_4arch9wavefront6targetE0EEEvSM_
                                        ; -- End function
	.set _ZN7rocprim17ROCPRIM_400000_NS6detail17trampoline_kernelINS0_14default_configENS1_38merge_sort_block_merge_config_selectorIlNS0_10empty_typeEEEZZNS1_27merge_sort_block_merge_implIS3_PlPS5_mZN2at6native12_GLOBAL__N_124unique_dim_cuda_templateIlEESt5tupleIJNSA_6TensorESF_SF_EERKSF_lbbbEUlllE_EE10hipError_tT0_T1_T2_jT3_P12ihipStream_tbPNSt15iterator_traitsISL_E10value_typeEPNSR_ISM_E10value_typeEPSN_NS1_7vsmem_tEENKUlT_SL_SM_SN_E_clIS8_S8_S9_S9_EESK_S10_SL_SM_SN_EUlS10_E1_NS1_11comp_targetILNS1_3genE8ELNS1_11target_archE1030ELNS1_3gpuE2ELNS1_3repE0EEENS1_36merge_oddeven_config_static_selectorELNS0_4arch9wavefront6targetE0EEEvSM_.num_vgpr, 0
	.set _ZN7rocprim17ROCPRIM_400000_NS6detail17trampoline_kernelINS0_14default_configENS1_38merge_sort_block_merge_config_selectorIlNS0_10empty_typeEEEZZNS1_27merge_sort_block_merge_implIS3_PlPS5_mZN2at6native12_GLOBAL__N_124unique_dim_cuda_templateIlEESt5tupleIJNSA_6TensorESF_SF_EERKSF_lbbbEUlllE_EE10hipError_tT0_T1_T2_jT3_P12ihipStream_tbPNSt15iterator_traitsISL_E10value_typeEPNSR_ISM_E10value_typeEPSN_NS1_7vsmem_tEENKUlT_SL_SM_SN_E_clIS8_S8_S9_S9_EESK_S10_SL_SM_SN_EUlS10_E1_NS1_11comp_targetILNS1_3genE8ELNS1_11target_archE1030ELNS1_3gpuE2ELNS1_3repE0EEENS1_36merge_oddeven_config_static_selectorELNS0_4arch9wavefront6targetE0EEEvSM_.num_agpr, 0
	.set _ZN7rocprim17ROCPRIM_400000_NS6detail17trampoline_kernelINS0_14default_configENS1_38merge_sort_block_merge_config_selectorIlNS0_10empty_typeEEEZZNS1_27merge_sort_block_merge_implIS3_PlPS5_mZN2at6native12_GLOBAL__N_124unique_dim_cuda_templateIlEESt5tupleIJNSA_6TensorESF_SF_EERKSF_lbbbEUlllE_EE10hipError_tT0_T1_T2_jT3_P12ihipStream_tbPNSt15iterator_traitsISL_E10value_typeEPNSR_ISM_E10value_typeEPSN_NS1_7vsmem_tEENKUlT_SL_SM_SN_E_clIS8_S8_S9_S9_EESK_S10_SL_SM_SN_EUlS10_E1_NS1_11comp_targetILNS1_3genE8ELNS1_11target_archE1030ELNS1_3gpuE2ELNS1_3repE0EEENS1_36merge_oddeven_config_static_selectorELNS0_4arch9wavefront6targetE0EEEvSM_.numbered_sgpr, 0
	.set _ZN7rocprim17ROCPRIM_400000_NS6detail17trampoline_kernelINS0_14default_configENS1_38merge_sort_block_merge_config_selectorIlNS0_10empty_typeEEEZZNS1_27merge_sort_block_merge_implIS3_PlPS5_mZN2at6native12_GLOBAL__N_124unique_dim_cuda_templateIlEESt5tupleIJNSA_6TensorESF_SF_EERKSF_lbbbEUlllE_EE10hipError_tT0_T1_T2_jT3_P12ihipStream_tbPNSt15iterator_traitsISL_E10value_typeEPNSR_ISM_E10value_typeEPSN_NS1_7vsmem_tEENKUlT_SL_SM_SN_E_clIS8_S8_S9_S9_EESK_S10_SL_SM_SN_EUlS10_E1_NS1_11comp_targetILNS1_3genE8ELNS1_11target_archE1030ELNS1_3gpuE2ELNS1_3repE0EEENS1_36merge_oddeven_config_static_selectorELNS0_4arch9wavefront6targetE0EEEvSM_.num_named_barrier, 0
	.set _ZN7rocprim17ROCPRIM_400000_NS6detail17trampoline_kernelINS0_14default_configENS1_38merge_sort_block_merge_config_selectorIlNS0_10empty_typeEEEZZNS1_27merge_sort_block_merge_implIS3_PlPS5_mZN2at6native12_GLOBAL__N_124unique_dim_cuda_templateIlEESt5tupleIJNSA_6TensorESF_SF_EERKSF_lbbbEUlllE_EE10hipError_tT0_T1_T2_jT3_P12ihipStream_tbPNSt15iterator_traitsISL_E10value_typeEPNSR_ISM_E10value_typeEPSN_NS1_7vsmem_tEENKUlT_SL_SM_SN_E_clIS8_S8_S9_S9_EESK_S10_SL_SM_SN_EUlS10_E1_NS1_11comp_targetILNS1_3genE8ELNS1_11target_archE1030ELNS1_3gpuE2ELNS1_3repE0EEENS1_36merge_oddeven_config_static_selectorELNS0_4arch9wavefront6targetE0EEEvSM_.private_seg_size, 0
	.set _ZN7rocprim17ROCPRIM_400000_NS6detail17trampoline_kernelINS0_14default_configENS1_38merge_sort_block_merge_config_selectorIlNS0_10empty_typeEEEZZNS1_27merge_sort_block_merge_implIS3_PlPS5_mZN2at6native12_GLOBAL__N_124unique_dim_cuda_templateIlEESt5tupleIJNSA_6TensorESF_SF_EERKSF_lbbbEUlllE_EE10hipError_tT0_T1_T2_jT3_P12ihipStream_tbPNSt15iterator_traitsISL_E10value_typeEPNSR_ISM_E10value_typeEPSN_NS1_7vsmem_tEENKUlT_SL_SM_SN_E_clIS8_S8_S9_S9_EESK_S10_SL_SM_SN_EUlS10_E1_NS1_11comp_targetILNS1_3genE8ELNS1_11target_archE1030ELNS1_3gpuE2ELNS1_3repE0EEENS1_36merge_oddeven_config_static_selectorELNS0_4arch9wavefront6targetE0EEEvSM_.uses_vcc, 0
	.set _ZN7rocprim17ROCPRIM_400000_NS6detail17trampoline_kernelINS0_14default_configENS1_38merge_sort_block_merge_config_selectorIlNS0_10empty_typeEEEZZNS1_27merge_sort_block_merge_implIS3_PlPS5_mZN2at6native12_GLOBAL__N_124unique_dim_cuda_templateIlEESt5tupleIJNSA_6TensorESF_SF_EERKSF_lbbbEUlllE_EE10hipError_tT0_T1_T2_jT3_P12ihipStream_tbPNSt15iterator_traitsISL_E10value_typeEPNSR_ISM_E10value_typeEPSN_NS1_7vsmem_tEENKUlT_SL_SM_SN_E_clIS8_S8_S9_S9_EESK_S10_SL_SM_SN_EUlS10_E1_NS1_11comp_targetILNS1_3genE8ELNS1_11target_archE1030ELNS1_3gpuE2ELNS1_3repE0EEENS1_36merge_oddeven_config_static_selectorELNS0_4arch9wavefront6targetE0EEEvSM_.uses_flat_scratch, 0
	.set _ZN7rocprim17ROCPRIM_400000_NS6detail17trampoline_kernelINS0_14default_configENS1_38merge_sort_block_merge_config_selectorIlNS0_10empty_typeEEEZZNS1_27merge_sort_block_merge_implIS3_PlPS5_mZN2at6native12_GLOBAL__N_124unique_dim_cuda_templateIlEESt5tupleIJNSA_6TensorESF_SF_EERKSF_lbbbEUlllE_EE10hipError_tT0_T1_T2_jT3_P12ihipStream_tbPNSt15iterator_traitsISL_E10value_typeEPNSR_ISM_E10value_typeEPSN_NS1_7vsmem_tEENKUlT_SL_SM_SN_E_clIS8_S8_S9_S9_EESK_S10_SL_SM_SN_EUlS10_E1_NS1_11comp_targetILNS1_3genE8ELNS1_11target_archE1030ELNS1_3gpuE2ELNS1_3repE0EEENS1_36merge_oddeven_config_static_selectorELNS0_4arch9wavefront6targetE0EEEvSM_.has_dyn_sized_stack, 0
	.set _ZN7rocprim17ROCPRIM_400000_NS6detail17trampoline_kernelINS0_14default_configENS1_38merge_sort_block_merge_config_selectorIlNS0_10empty_typeEEEZZNS1_27merge_sort_block_merge_implIS3_PlPS5_mZN2at6native12_GLOBAL__N_124unique_dim_cuda_templateIlEESt5tupleIJNSA_6TensorESF_SF_EERKSF_lbbbEUlllE_EE10hipError_tT0_T1_T2_jT3_P12ihipStream_tbPNSt15iterator_traitsISL_E10value_typeEPNSR_ISM_E10value_typeEPSN_NS1_7vsmem_tEENKUlT_SL_SM_SN_E_clIS8_S8_S9_S9_EESK_S10_SL_SM_SN_EUlS10_E1_NS1_11comp_targetILNS1_3genE8ELNS1_11target_archE1030ELNS1_3gpuE2ELNS1_3repE0EEENS1_36merge_oddeven_config_static_selectorELNS0_4arch9wavefront6targetE0EEEvSM_.has_recursion, 0
	.set _ZN7rocprim17ROCPRIM_400000_NS6detail17trampoline_kernelINS0_14default_configENS1_38merge_sort_block_merge_config_selectorIlNS0_10empty_typeEEEZZNS1_27merge_sort_block_merge_implIS3_PlPS5_mZN2at6native12_GLOBAL__N_124unique_dim_cuda_templateIlEESt5tupleIJNSA_6TensorESF_SF_EERKSF_lbbbEUlllE_EE10hipError_tT0_T1_T2_jT3_P12ihipStream_tbPNSt15iterator_traitsISL_E10value_typeEPNSR_ISM_E10value_typeEPSN_NS1_7vsmem_tEENKUlT_SL_SM_SN_E_clIS8_S8_S9_S9_EESK_S10_SL_SM_SN_EUlS10_E1_NS1_11comp_targetILNS1_3genE8ELNS1_11target_archE1030ELNS1_3gpuE2ELNS1_3repE0EEENS1_36merge_oddeven_config_static_selectorELNS0_4arch9wavefront6targetE0EEEvSM_.has_indirect_call, 0
	.section	.AMDGPU.csdata,"",@progbits
; Kernel info:
; codeLenInByte = 0
; TotalNumSgprs: 0
; NumVgprs: 0
; ScratchSize: 0
; MemoryBound: 0
; FloatMode: 240
; IeeeMode: 1
; LDSByteSize: 0 bytes/workgroup (compile time only)
; SGPRBlocks: 0
; VGPRBlocks: 0
; NumSGPRsForWavesPerEU: 1
; NumVGPRsForWavesPerEU: 1
; NamedBarCnt: 0
; Occupancy: 16
; WaveLimiterHint : 0
; COMPUTE_PGM_RSRC2:SCRATCH_EN: 0
; COMPUTE_PGM_RSRC2:USER_SGPR: 2
; COMPUTE_PGM_RSRC2:TRAP_HANDLER: 0
; COMPUTE_PGM_RSRC2:TGID_X_EN: 1
; COMPUTE_PGM_RSRC2:TGID_Y_EN: 0
; COMPUTE_PGM_RSRC2:TGID_Z_EN: 0
; COMPUTE_PGM_RSRC2:TIDIG_COMP_CNT: 0
	.section	.text._ZN7rocprim17ROCPRIM_400000_NS6detail17trampoline_kernelINS0_14default_configENS1_35adjacent_difference_config_selectorILb0ElEEZNS1_24adjacent_difference_implIS3_Lb0ELb0EPlS7_ZN2at6native12_GLOBAL__N_124unique_dim_cuda_templateIlEESt5tupleIJNS8_6TensorESD_SD_EERKSD_lbbbEUlllE1_EE10hipError_tPvRmT2_T3_mT4_P12ihipStream_tbEUlT_E_NS1_11comp_targetILNS1_3genE0ELNS1_11target_archE4294967295ELNS1_3gpuE0ELNS1_3repE0EEENS1_30default_config_static_selectorELNS0_4arch9wavefront6targetE0EEEvT1_,"axG",@progbits,_ZN7rocprim17ROCPRIM_400000_NS6detail17trampoline_kernelINS0_14default_configENS1_35adjacent_difference_config_selectorILb0ElEEZNS1_24adjacent_difference_implIS3_Lb0ELb0EPlS7_ZN2at6native12_GLOBAL__N_124unique_dim_cuda_templateIlEESt5tupleIJNS8_6TensorESD_SD_EERKSD_lbbbEUlllE1_EE10hipError_tPvRmT2_T3_mT4_P12ihipStream_tbEUlT_E_NS1_11comp_targetILNS1_3genE0ELNS1_11target_archE4294967295ELNS1_3gpuE0ELNS1_3repE0EEENS1_30default_config_static_selectorELNS0_4arch9wavefront6targetE0EEEvT1_,comdat
	.globl	_ZN7rocprim17ROCPRIM_400000_NS6detail17trampoline_kernelINS0_14default_configENS1_35adjacent_difference_config_selectorILb0ElEEZNS1_24adjacent_difference_implIS3_Lb0ELb0EPlS7_ZN2at6native12_GLOBAL__N_124unique_dim_cuda_templateIlEESt5tupleIJNS8_6TensorESD_SD_EERKSD_lbbbEUlllE1_EE10hipError_tPvRmT2_T3_mT4_P12ihipStream_tbEUlT_E_NS1_11comp_targetILNS1_3genE0ELNS1_11target_archE4294967295ELNS1_3gpuE0ELNS1_3repE0EEENS1_30default_config_static_selectorELNS0_4arch9wavefront6targetE0EEEvT1_ ; -- Begin function _ZN7rocprim17ROCPRIM_400000_NS6detail17trampoline_kernelINS0_14default_configENS1_35adjacent_difference_config_selectorILb0ElEEZNS1_24adjacent_difference_implIS3_Lb0ELb0EPlS7_ZN2at6native12_GLOBAL__N_124unique_dim_cuda_templateIlEESt5tupleIJNS8_6TensorESD_SD_EERKSD_lbbbEUlllE1_EE10hipError_tPvRmT2_T3_mT4_P12ihipStream_tbEUlT_E_NS1_11comp_targetILNS1_3genE0ELNS1_11target_archE4294967295ELNS1_3gpuE0ELNS1_3repE0EEENS1_30default_config_static_selectorELNS0_4arch9wavefront6targetE0EEEvT1_
	.p2align	8
	.type	_ZN7rocprim17ROCPRIM_400000_NS6detail17trampoline_kernelINS0_14default_configENS1_35adjacent_difference_config_selectorILb0ElEEZNS1_24adjacent_difference_implIS3_Lb0ELb0EPlS7_ZN2at6native12_GLOBAL__N_124unique_dim_cuda_templateIlEESt5tupleIJNS8_6TensorESD_SD_EERKSD_lbbbEUlllE1_EE10hipError_tPvRmT2_T3_mT4_P12ihipStream_tbEUlT_E_NS1_11comp_targetILNS1_3genE0ELNS1_11target_archE4294967295ELNS1_3gpuE0ELNS1_3repE0EEENS1_30default_config_static_selectorELNS0_4arch9wavefront6targetE0EEEvT1_,@function
_ZN7rocprim17ROCPRIM_400000_NS6detail17trampoline_kernelINS0_14default_configENS1_35adjacent_difference_config_selectorILb0ElEEZNS1_24adjacent_difference_implIS3_Lb0ELb0EPlS7_ZN2at6native12_GLOBAL__N_124unique_dim_cuda_templateIlEESt5tupleIJNS8_6TensorESD_SD_EERKSD_lbbbEUlllE1_EE10hipError_tPvRmT2_T3_mT4_P12ihipStream_tbEUlT_E_NS1_11comp_targetILNS1_3genE0ELNS1_11target_archE4294967295ELNS1_3gpuE0ELNS1_3repE0EEENS1_30default_config_static_selectorELNS0_4arch9wavefront6targetE0EEEvT1_: ; @_ZN7rocprim17ROCPRIM_400000_NS6detail17trampoline_kernelINS0_14default_configENS1_35adjacent_difference_config_selectorILb0ElEEZNS1_24adjacent_difference_implIS3_Lb0ELb0EPlS7_ZN2at6native12_GLOBAL__N_124unique_dim_cuda_templateIlEESt5tupleIJNS8_6TensorESD_SD_EERKSD_lbbbEUlllE1_EE10hipError_tPvRmT2_T3_mT4_P12ihipStream_tbEUlT_E_NS1_11comp_targetILNS1_3genE0ELNS1_11target_archE4294967295ELNS1_3gpuE0ELNS1_3repE0EEENS1_30default_config_static_selectorELNS0_4arch9wavefront6targetE0EEEvT1_
; %bb.0:
	s_load_b256 s[4:11], s[0:1], 0x0
	s_bfe_u32 s2, ttmp6, 0x4000c
	s_and_b32 s3, ttmp6, 15
	s_add_co_i32 s2, s2, 1
	s_getreg_b32 s12, hwreg(HW_REG_IB_STS2, 6, 4)
	s_mul_i32 s2, ttmp9, s2
	s_load_b64 s[16:17], s[0:1], 0x38
	s_add_co_i32 s3, s3, s2
	s_mov_b32 s23, 0
	s_delay_alu instid0(SALU_CYCLE_1)
	s_mov_b32 s19, s23
	s_wait_kmcnt 0x0
	s_lshl_b64 s[6:7], s[6:7], 3
	s_cmp_eq_u32 s12, 0
	s_add_nc_u64 s[4:5], s[4:5], s[6:7]
	s_cselect_b32 s18, ttmp9, s3
	s_and_b64 s[12:13], s[10:11], 0x7f
	s_lshr_b64 s[20:21], s[10:11], 7
	s_lshl_b32 s2, s18, 7
	s_cmp_lg_u64 s[12:13], 0
	s_load_b128 s[12:15], s[0:1], 0x20
	s_cselect_b32 s3, -1, 0
	s_add_nc_u64 s[18:19], s[16:17], s[18:19]
	v_cndmask_b32_e64 v1, 0, 1, s3
	s_delay_alu instid0(VALU_DEP_1) | instskip(SKIP_2) | instid1(SALU_CYCLE_1)
	v_readfirstlane_b32 s22, v1
	s_wait_xcnt 0x0
	s_add_nc_u64 s[0:1], s[20:21], s[22:23]
	s_add_nc_u64 s[16:17], s[0:1], -1
	s_delay_alu instid0(SALU_CYCLE_1)
	v_cmp_ge_u64_e64 s11, s[18:19], s[16:17]
	s_and_b32 vcc_lo, exec_lo, s11
	s_cbranch_vccz .LBB538_4
; %bb.1:
	s_lshl_b32 s3, s16, 7
	s_mov_b32 s20, exec_lo
	s_sub_co_i32 s3, s10, s3
                                        ; implicit-def: $vgpr2_vgpr3
	s_delay_alu instid0(SALU_CYCLE_1)
	v_cmpx_gt_u32_e64 s3, v0
	s_cbranch_execz .LBB538_3
; %bb.2:
	s_mov_b32 s3, 0
	s_delay_alu instid0(SALU_CYCLE_1) | instskip(NEXT) | instid1(SALU_CYCLE_1)
	s_lshl_b64 s[22:23], s[2:3], 3
	s_add_nc_u64 s[22:23], s[4:5], s[22:23]
	global_load_b64 v[2:3], v0, s[22:23] scale_offset
.LBB538_3:
	s_wait_xcnt 0x0
	s_or_b32 exec_lo, exec_lo, s20
	v_lshlrev_b32_e32 v1, 3, v0
	s_wait_loadcnt 0x0
	ds_store_b64 v1, v[2:3]
	s_wait_dscnt 0x0
	s_barrier_signal -1
	s_barrier_wait -1
	s_branch .LBB538_6
.LBB538_4:
                                        ; implicit-def: $vgpr1
	s_cbranch_execz .LBB538_6
; %bb.5:
	s_mov_b32 s3, 0
	v_lshlrev_b32_e32 v1, 3, v0
	s_lshl_b64 s[20:21], s[2:3], 3
	s_delay_alu instid0(SALU_CYCLE_1)
	s_add_nc_u64 s[20:21], s[4:5], s[20:21]
	global_load_b64 v[2:3], v0, s[20:21] scale_offset
	s_wait_loadcnt 0x0
	ds_store_b64 v1, v[2:3]
	s_wait_dscnt 0x0
	s_barrier_signal -1
	s_barrier_wait -1
.LBB538_6:
	ds_load_b64 v[2:3], v1
	s_cmp_eq_u64 s[18:19], 0
	s_wait_dscnt 0x0
	s_barrier_signal -1
	s_barrier_wait -1
	s_cbranch_scc1 .LBB538_15
; %bb.7:
	s_mov_b32 s3, 0
	s_delay_alu instid0(SALU_CYCLE_1) | instskip(SKIP_2) | instid1(SALU_CYCLE_1)
	s_lshl_b64 s[20:21], s[2:3], 3
	s_cmp_eq_u64 s[18:19], s[16:17]
	s_add_nc_u64 s[4:5], s[4:5], s[20:21]
	s_add_nc_u64 s[4:5], s[4:5], -8
	s_load_b64 s[4:5], s[4:5], 0x0
	s_cbranch_scc1 .LBB538_16
; %bb.8:
	s_wait_kmcnt 0x0
	v_mov_b64_e32 v[4:5], s[4:5]
	v_lshlrev_b32_e32 v1, 3, v0
	s_mov_b32 s3, exec_lo
	ds_store_b64 v1, v[2:3]
	s_wait_dscnt 0x0
	s_barrier_signal -1
	s_barrier_wait -1
	v_cmpx_ne_u32_e32 0, v0
; %bb.9:
	v_add_nc_u32_e32 v1, -8, v1
	ds_load_b64 v[4:5], v1
; %bb.10:
	s_or_b32 exec_lo, exec_lo, s3
	v_cmp_lt_i64_e64 s3, s[12:13], 1
	s_and_b32 vcc_lo, exec_lo, s3
	s_cbranch_vccnz .LBB538_18
; %bb.11:
	v_mul_u64_e32 v[6:7], s[12:13], v[2:3]
	s_wait_dscnt 0x0
	v_mul_u64_e32 v[4:5], s[12:13], v[4:5]
	s_mov_b32 s3, 0
	s_mov_b64 s[20:21], s[12:13]
                                        ; implicit-def: $sgpr17
	s_delay_alu instid0(VALU_DEP_2) | instskip(NEXT) | instid1(VALU_DEP_2)
	v_lshl_add_u64 v[6:7], v[6:7], 3, s[14:15]
	v_lshl_add_u64 v[8:9], v[4:5], 3, s[14:15]
	s_branch .LBB538_13
.LBB538_12:                             ;   in Loop: Header=BB538_13 Depth=1
	s_or_b32 exec_lo, exec_lo, s19
	s_delay_alu instid0(SALU_CYCLE_1) | instskip(NEXT) | instid1(SALU_CYCLE_1)
	s_and_b32 s19, exec_lo, s17
	s_or_b32 s3, s19, s3
	s_delay_alu instid0(SALU_CYCLE_1)
	s_and_not1_b32 exec_lo, exec_lo, s3
	s_cbranch_execz .LBB538_17
.LBB538_13:                             ; =>This Inner Loop Header: Depth=1
	global_load_b64 v[4:5], v[6:7], off
	global_load_b64 v[10:11], v[8:9], off
	s_or_b32 s17, s17, exec_lo
	s_wait_loadcnt 0x0
	v_cmp_eq_u64_e32 vcc_lo, v[4:5], v[10:11]
	v_mov_b64_e32 v[4:5], 1
	s_and_saveexec_b32 s19, vcc_lo
	s_cbranch_execz .LBB538_12
; %bb.14:                               ;   in Loop: Header=BB538_13 Depth=1
	s_add_nc_u64 s[20:21], s[20:21], -1
	v_add_nc_u64_e32 v[6:7], 8, v[6:7]
	s_cmp_eq_u64 s[20:21], 0
	v_add_nc_u64_e32 v[8:9], 8, v[8:9]
	v_mov_b64_e32 v[4:5], 0
	s_cselect_b32 s22, -1, 0
	s_and_not1_b32 s17, s17, exec_lo
	s_and_b32 s22, s22, exec_lo
	s_delay_alu instid0(SALU_CYCLE_1)
	s_or_b32 s17, s17, s22
	s_branch .LBB538_12
.LBB538_15:
                                        ; implicit-def: $vgpr4_vgpr5
	s_branch .LBB538_31
.LBB538_16:
                                        ; implicit-def: $vgpr4_vgpr5
	s_cbranch_execnz .LBB538_19
	s_branch .LBB538_30
.LBB538_17:
	s_or_b32 exec_lo, exec_lo, s3
	s_branch .LBB538_30
.LBB538_18:
	s_wait_dscnt 0x0
	v_mov_b64_e32 v[4:5], 0
	s_branch .LBB538_30
.LBB538_19:
	s_wait_kmcnt 0x0
	v_mov_b64_e32 v[6:7], s[4:5]
	v_lshlrev_b32_e32 v1, 3, v0
	s_mov_b32 s3, exec_lo
	ds_store_b64 v1, v[2:3]
	s_wait_dscnt 0x0
	s_barrier_signal -1
	s_barrier_wait -1
	v_cmpx_ne_u32_e32 0, v0
; %bb.20:
	v_add_nc_u32_e32 v1, -8, v1
	ds_load_b64 v[6:7], v1
; %bb.21:
	s_or_b32 exec_lo, exec_lo, s3
	s_lshl_b32 s3, s18, 7
	v_mov_b64_e32 v[4:5], v[2:3]
	s_sub_co_i32 s3, s10, s3
	s_delay_alu instid0(SALU_CYCLE_1)
	v_cmp_gt_u32_e32 vcc_lo, s3, v0
	s_and_saveexec_b32 s3, vcc_lo
	s_cbranch_execz .LBB538_29
; %bb.22:
	v_cmp_lt_i64_e64 s4, s[12:13], 1
	s_and_b32 vcc_lo, exec_lo, s4
	s_cbranch_vccnz .LBB538_28
; %bb.23:
	v_mul_u64_e32 v[4:5], s[12:13], v[2:3]
	s_wait_dscnt 0x0
	v_mul_u64_e32 v[8:9], s[12:13], v[6:7]
	s_mov_b32 s17, 0
	s_mov_b64 s[4:5], s[12:13]
                                        ; implicit-def: $sgpr18
	s_delay_alu instid0(VALU_DEP_2) | instskip(NEXT) | instid1(VALU_DEP_2)
	v_lshl_add_u64 v[6:7], v[4:5], 3, s[14:15]
	v_lshl_add_u64 v[8:9], v[8:9], 3, s[14:15]
	s_branch .LBB538_25
.LBB538_24:                             ;   in Loop: Header=BB538_25 Depth=1
	s_or_b32 exec_lo, exec_lo, s19
	s_delay_alu instid0(SALU_CYCLE_1) | instskip(NEXT) | instid1(SALU_CYCLE_1)
	s_and_b32 s19, exec_lo, s18
	s_or_b32 s17, s19, s17
	s_delay_alu instid0(SALU_CYCLE_1)
	s_and_not1_b32 exec_lo, exec_lo, s17
	s_cbranch_execz .LBB538_27
.LBB538_25:                             ; =>This Inner Loop Header: Depth=1
	global_load_b64 v[4:5], v[6:7], off
	global_load_b64 v[10:11], v[8:9], off
	s_or_b32 s18, s18, exec_lo
	s_wait_loadcnt 0x0
	v_cmp_eq_u64_e32 vcc_lo, v[4:5], v[10:11]
	v_mov_b64_e32 v[4:5], 1
	s_and_saveexec_b32 s19, vcc_lo
	s_cbranch_execz .LBB538_24
; %bb.26:                               ;   in Loop: Header=BB538_25 Depth=1
	s_add_nc_u64 s[4:5], s[4:5], -1
	v_add_nc_u64_e32 v[6:7], 8, v[6:7]
	s_cmp_eq_u64 s[4:5], 0
	v_add_nc_u64_e32 v[8:9], 8, v[8:9]
	v_mov_b64_e32 v[4:5], 0
	s_cselect_b32 s20, -1, 0
	s_and_not1_b32 s18, s18, exec_lo
	s_and_b32 s20, s20, exec_lo
	s_delay_alu instid0(SALU_CYCLE_1)
	s_or_b32 s18, s18, s20
	s_branch .LBB538_24
.LBB538_27:
	s_or_b32 exec_lo, exec_lo, s17
	s_branch .LBB538_29
.LBB538_28:
	v_mov_b64_e32 v[4:5], 0
.LBB538_29:
	s_or_b32 exec_lo, exec_lo, s3
.LBB538_30:
	s_cbranch_execnz .LBB538_51
.LBB538_31:
	s_cmp_eq_u64 s[0:1], 1
	v_cmp_ne_u32_e32 vcc_lo, 0, v0
	s_cbranch_scc1 .LBB538_38
; %bb.32:
	v_mov_b64_e32 v[4:5], v[2:3]
	v_lshlrev_b32_e32 v1, 3, v0
	s_mov_b32 s3, 0
	ds_store_b64 v1, v[2:3]
	s_wait_dscnt 0x0
	s_barrier_signal -1
	s_barrier_wait -1
	s_wait_kmcnt 0x0
	s_and_saveexec_b32 s4, vcc_lo
	s_cbranch_execz .LBB538_40
; %bb.33:
	v_cmp_lt_i64_e64 s0, s[12:13], 1
	s_and_b32 vcc_lo, exec_lo, s0
	s_cbranch_vccnz .LBB538_48
; %bb.34:
	v_add_nc_u32_e32 v1, -8, v1
	v_mul_u64_e32 v[6:7], s[12:13], v[2:3]
	s_mov_b32 s5, 0
	s_mov_b64 s[0:1], s[12:13]
                                        ; implicit-def: $sgpr17
	ds_load_b64 v[4:5], v1
	s_wait_dscnt 0x0
	v_mul_u64_e32 v[4:5], s[12:13], v[4:5]
	v_lshl_add_u64 v[6:7], v[6:7], 3, s[14:15]
	s_delay_alu instid0(VALU_DEP_2)
	v_lshl_add_u64 v[8:9], v[4:5], 3, s[14:15]
	s_branch .LBB538_36
.LBB538_35:                             ;   in Loop: Header=BB538_36 Depth=1
	s_or_b32 exec_lo, exec_lo, s18
	s_delay_alu instid0(SALU_CYCLE_1) | instskip(NEXT) | instid1(SALU_CYCLE_1)
	s_and_b32 s18, exec_lo, s17
	s_or_b32 s5, s18, s5
	s_delay_alu instid0(SALU_CYCLE_1)
	s_and_not1_b32 exec_lo, exec_lo, s5
	s_cbranch_execz .LBB538_39
.LBB538_36:                             ; =>This Inner Loop Header: Depth=1
	global_load_b64 v[4:5], v[6:7], off
	global_load_b64 v[10:11], v[8:9], off
	s_or_b32 s17, s17, exec_lo
	s_wait_loadcnt 0x0
	v_cmp_eq_u64_e32 vcc_lo, v[4:5], v[10:11]
	v_mov_b64_e32 v[4:5], 1
	s_and_saveexec_b32 s18, vcc_lo
	s_cbranch_execz .LBB538_35
; %bb.37:                               ;   in Loop: Header=BB538_36 Depth=1
	s_add_nc_u64 s[0:1], s[0:1], -1
	v_add_nc_u64_e32 v[6:7], 8, v[6:7]
	s_cmp_eq_u64 s[0:1], 0
	v_add_nc_u64_e32 v[8:9], 8, v[8:9]
	v_mov_b64_e32 v[4:5], 0
	s_cselect_b32 s19, -1, 0
	s_and_not1_b32 s17, s17, exec_lo
	s_and_b32 s19, s19, exec_lo
	s_delay_alu instid0(SALU_CYCLE_1)
	s_or_b32 s17, s17, s19
	s_branch .LBB538_35
.LBB538_38:
                                        ; implicit-def: $vgpr4_vgpr5
	s_branch .LBB538_41
.LBB538_39:
	s_or_b32 exec_lo, exec_lo, s5
.LBB538_40:
	s_delay_alu instid0(SALU_CYCLE_1) | instskip(NEXT) | instid1(SALU_CYCLE_1)
	s_or_b32 exec_lo, exec_lo, s4
	s_and_not1_b32 vcc_lo, exec_lo, s3
	s_cbranch_vccnz .LBB538_51
.LBB538_41:
	v_cmp_ne_u32_e32 vcc_lo, 0, v0
	v_cmp_gt_u32_e64 s0, s10, v0
	v_lshlrev_b32_e32 v1, 3, v0
	s_and_b32 s1, vcc_lo, s0
	ds_store_b64 v1, v[2:3]
	s_wait_dscnt 0x0
	s_barrier_signal -1
	s_barrier_wait -1
	s_and_saveexec_b32 s0, s1
	s_cbranch_execz .LBB538_50
; %bb.42:
	s_wait_kmcnt 0x0
	v_cmp_lt_i64_e64 s1, s[12:13], 1
	s_and_b32 vcc_lo, exec_lo, s1
	s_cbranch_vccnz .LBB538_49
; %bb.43:
	v_add_nc_u32_e32 v1, -8, v1
	v_mul_u64_e32 v[2:3], s[12:13], v[2:3]
	s_mov_b32 s1, 0
                                        ; implicit-def: $sgpr3
	ds_load_b64 v[4:5], v1
	s_wait_dscnt 0x0
	v_mul_u64_e32 v[6:7], s[12:13], v[4:5]
	v_lshl_add_u64 v[4:5], v[2:3], 3, s[14:15]
	s_delay_alu instid0(VALU_DEP_2)
	v_lshl_add_u64 v[6:7], v[6:7], 3, s[14:15]
	s_branch .LBB538_45
.LBB538_44:                             ;   in Loop: Header=BB538_45 Depth=1
	s_or_b32 exec_lo, exec_lo, s4
	s_delay_alu instid0(SALU_CYCLE_1) | instskip(NEXT) | instid1(SALU_CYCLE_1)
	s_and_b32 s4, exec_lo, s3
	s_or_b32 s1, s4, s1
	s_delay_alu instid0(SALU_CYCLE_1)
	s_and_not1_b32 exec_lo, exec_lo, s1
	s_cbranch_execz .LBB538_47
.LBB538_45:                             ; =>This Inner Loop Header: Depth=1
	global_load_b64 v[2:3], v[4:5], off
	global_load_b64 v[8:9], v[6:7], off
	s_or_b32 s3, s3, exec_lo
	s_wait_loadcnt 0x0
	v_cmp_eq_u64_e32 vcc_lo, v[2:3], v[8:9]
	v_mov_b64_e32 v[2:3], 1
	s_and_saveexec_b32 s4, vcc_lo
	s_cbranch_execz .LBB538_44
; %bb.46:                               ;   in Loop: Header=BB538_45 Depth=1
	s_add_nc_u64 s[12:13], s[12:13], -1
	v_add_nc_u64_e32 v[4:5], 8, v[4:5]
	s_cmp_eq_u64 s[12:13], 0
	v_add_nc_u64_e32 v[6:7], 8, v[6:7]
	v_mov_b64_e32 v[2:3], 0
	s_cselect_b32 s5, -1, 0
	s_and_not1_b32 s3, s3, exec_lo
	s_and_b32 s5, s5, exec_lo
	s_delay_alu instid0(SALU_CYCLE_1)
	s_or_b32 s3, s3, s5
	s_branch .LBB538_44
.LBB538_47:
	s_or_b32 exec_lo, exec_lo, s1
	s_branch .LBB538_50
.LBB538_48:
	v_mov_b64_e32 v[4:5], 0
	s_or_b32 exec_lo, exec_lo, s4
	s_delay_alu instid0(SALU_CYCLE_1)
	s_and_not1_b32 vcc_lo, exec_lo, s3
	s_cbranch_vccz .LBB538_41
	s_branch .LBB538_51
.LBB538_49:
	v_mov_b64_e32 v[2:3], 0
.LBB538_50:
	s_or_b32 exec_lo, exec_lo, s0
	s_delay_alu instid0(VALU_DEP_1)
	v_mov_b64_e32 v[4:5], v[2:3]
.LBB538_51:
	s_add_nc_u64 s[0:1], s[8:9], s[6:7]
	s_and_b32 vcc_lo, exec_lo, s11
	s_mov_b32 s3, -1
	s_wait_dscnt 0x0
	s_barrier_signal -1
	s_barrier_wait -1
	s_cbranch_vccnz .LBB538_54
; %bb.52:
	s_and_not1_b32 vcc_lo, exec_lo, s3
	s_cbranch_vccz .LBB538_57
.LBB538_53:
	s_endpgm
.LBB538_54:
	v_lshlrev_b32_e32 v1, 3, v0
	s_lshl_b32 s3, s16, 7
	s_wait_kmcnt 0x0
	s_mov_b32 s4, exec_lo
	s_sub_co_i32 s3, s10, s3
	ds_store_b64 v1, v[4:5]
	s_wait_dscnt 0x0
	s_barrier_signal -1
	s_barrier_wait -1
	v_cmpx_gt_u32_e64 s3, v0
	s_cbranch_execz .LBB538_56
; %bb.55:
	ds_load_b64 v[2:3], v1
	s_mov_b32 s3, 0
	s_delay_alu instid0(SALU_CYCLE_1) | instskip(NEXT) | instid1(SALU_CYCLE_1)
	s_lshl_b64 s[6:7], s[2:3], 3
	s_add_nc_u64 s[6:7], s[0:1], s[6:7]
	s_wait_dscnt 0x0
	global_store_b64 v0, v[2:3], s[6:7] scale_offset
.LBB538_56:
	s_wait_xcnt 0x0
	s_or_b32 exec_lo, exec_lo, s4
	s_cbranch_execnz .LBB538_53
.LBB538_57:
	v_lshlrev_b32_e32 v1, 3, v0
	s_mov_b32 s3, 0
	s_delay_alu instid0(SALU_CYCLE_1) | instskip(NEXT) | instid1(SALU_CYCLE_1)
	s_lshl_b64 s[2:3], s[2:3], 3
	s_add_nc_u64 s[0:1], s[0:1], s[2:3]
	ds_store_b64 v1, v[4:5]
	s_wait_storecnt_dscnt 0x0
	s_barrier_signal -1
	s_barrier_wait -1
	ds_load_b64 v[2:3], v1
	s_wait_dscnt 0x0
	global_store_b64 v0, v[2:3], s[0:1] scale_offset
	s_endpgm
	.section	.rodata,"a",@progbits
	.p2align	6, 0x0
	.amdhsa_kernel _ZN7rocprim17ROCPRIM_400000_NS6detail17trampoline_kernelINS0_14default_configENS1_35adjacent_difference_config_selectorILb0ElEEZNS1_24adjacent_difference_implIS3_Lb0ELb0EPlS7_ZN2at6native12_GLOBAL__N_124unique_dim_cuda_templateIlEESt5tupleIJNS8_6TensorESD_SD_EERKSD_lbbbEUlllE1_EE10hipError_tPvRmT2_T3_mT4_P12ihipStream_tbEUlT_E_NS1_11comp_targetILNS1_3genE0ELNS1_11target_archE4294967295ELNS1_3gpuE0ELNS1_3repE0EEENS1_30default_config_static_selectorELNS0_4arch9wavefront6targetE0EEEvT1_
		.amdhsa_group_segment_fixed_size 2048
		.amdhsa_private_segment_fixed_size 0
		.amdhsa_kernarg_size 64
		.amdhsa_user_sgpr_count 2
		.amdhsa_user_sgpr_dispatch_ptr 0
		.amdhsa_user_sgpr_queue_ptr 0
		.amdhsa_user_sgpr_kernarg_segment_ptr 1
		.amdhsa_user_sgpr_dispatch_id 0
		.amdhsa_user_sgpr_kernarg_preload_length 0
		.amdhsa_user_sgpr_kernarg_preload_offset 0
		.amdhsa_user_sgpr_private_segment_size 0
		.amdhsa_wavefront_size32 1
		.amdhsa_uses_dynamic_stack 0
		.amdhsa_enable_private_segment 0
		.amdhsa_system_sgpr_workgroup_id_x 1
		.amdhsa_system_sgpr_workgroup_id_y 0
		.amdhsa_system_sgpr_workgroup_id_z 0
		.amdhsa_system_sgpr_workgroup_info 0
		.amdhsa_system_vgpr_workitem_id 0
		.amdhsa_next_free_vgpr 12
		.amdhsa_next_free_sgpr 24
		.amdhsa_named_barrier_count 0
		.amdhsa_reserve_vcc 1
		.amdhsa_float_round_mode_32 0
		.amdhsa_float_round_mode_16_64 0
		.amdhsa_float_denorm_mode_32 3
		.amdhsa_float_denorm_mode_16_64 3
		.amdhsa_fp16_overflow 0
		.amdhsa_memory_ordered 1
		.amdhsa_forward_progress 1
		.amdhsa_inst_pref_size 14
		.amdhsa_round_robin_scheduling 0
		.amdhsa_exception_fp_ieee_invalid_op 0
		.amdhsa_exception_fp_denorm_src 0
		.amdhsa_exception_fp_ieee_div_zero 0
		.amdhsa_exception_fp_ieee_overflow 0
		.amdhsa_exception_fp_ieee_underflow 0
		.amdhsa_exception_fp_ieee_inexact 0
		.amdhsa_exception_int_div_zero 0
	.end_amdhsa_kernel
	.section	.text._ZN7rocprim17ROCPRIM_400000_NS6detail17trampoline_kernelINS0_14default_configENS1_35adjacent_difference_config_selectorILb0ElEEZNS1_24adjacent_difference_implIS3_Lb0ELb0EPlS7_ZN2at6native12_GLOBAL__N_124unique_dim_cuda_templateIlEESt5tupleIJNS8_6TensorESD_SD_EERKSD_lbbbEUlllE1_EE10hipError_tPvRmT2_T3_mT4_P12ihipStream_tbEUlT_E_NS1_11comp_targetILNS1_3genE0ELNS1_11target_archE4294967295ELNS1_3gpuE0ELNS1_3repE0EEENS1_30default_config_static_selectorELNS0_4arch9wavefront6targetE0EEEvT1_,"axG",@progbits,_ZN7rocprim17ROCPRIM_400000_NS6detail17trampoline_kernelINS0_14default_configENS1_35adjacent_difference_config_selectorILb0ElEEZNS1_24adjacent_difference_implIS3_Lb0ELb0EPlS7_ZN2at6native12_GLOBAL__N_124unique_dim_cuda_templateIlEESt5tupleIJNS8_6TensorESD_SD_EERKSD_lbbbEUlllE1_EE10hipError_tPvRmT2_T3_mT4_P12ihipStream_tbEUlT_E_NS1_11comp_targetILNS1_3genE0ELNS1_11target_archE4294967295ELNS1_3gpuE0ELNS1_3repE0EEENS1_30default_config_static_selectorELNS0_4arch9wavefront6targetE0EEEvT1_,comdat
.Lfunc_end538:
	.size	_ZN7rocprim17ROCPRIM_400000_NS6detail17trampoline_kernelINS0_14default_configENS1_35adjacent_difference_config_selectorILb0ElEEZNS1_24adjacent_difference_implIS3_Lb0ELb0EPlS7_ZN2at6native12_GLOBAL__N_124unique_dim_cuda_templateIlEESt5tupleIJNS8_6TensorESD_SD_EERKSD_lbbbEUlllE1_EE10hipError_tPvRmT2_T3_mT4_P12ihipStream_tbEUlT_E_NS1_11comp_targetILNS1_3genE0ELNS1_11target_archE4294967295ELNS1_3gpuE0ELNS1_3repE0EEENS1_30default_config_static_selectorELNS0_4arch9wavefront6targetE0EEEvT1_, .Lfunc_end538-_ZN7rocprim17ROCPRIM_400000_NS6detail17trampoline_kernelINS0_14default_configENS1_35adjacent_difference_config_selectorILb0ElEEZNS1_24adjacent_difference_implIS3_Lb0ELb0EPlS7_ZN2at6native12_GLOBAL__N_124unique_dim_cuda_templateIlEESt5tupleIJNS8_6TensorESD_SD_EERKSD_lbbbEUlllE1_EE10hipError_tPvRmT2_T3_mT4_P12ihipStream_tbEUlT_E_NS1_11comp_targetILNS1_3genE0ELNS1_11target_archE4294967295ELNS1_3gpuE0ELNS1_3repE0EEENS1_30default_config_static_selectorELNS0_4arch9wavefront6targetE0EEEvT1_
                                        ; -- End function
	.set _ZN7rocprim17ROCPRIM_400000_NS6detail17trampoline_kernelINS0_14default_configENS1_35adjacent_difference_config_selectorILb0ElEEZNS1_24adjacent_difference_implIS3_Lb0ELb0EPlS7_ZN2at6native12_GLOBAL__N_124unique_dim_cuda_templateIlEESt5tupleIJNS8_6TensorESD_SD_EERKSD_lbbbEUlllE1_EE10hipError_tPvRmT2_T3_mT4_P12ihipStream_tbEUlT_E_NS1_11comp_targetILNS1_3genE0ELNS1_11target_archE4294967295ELNS1_3gpuE0ELNS1_3repE0EEENS1_30default_config_static_selectorELNS0_4arch9wavefront6targetE0EEEvT1_.num_vgpr, 12
	.set _ZN7rocprim17ROCPRIM_400000_NS6detail17trampoline_kernelINS0_14default_configENS1_35adjacent_difference_config_selectorILb0ElEEZNS1_24adjacent_difference_implIS3_Lb0ELb0EPlS7_ZN2at6native12_GLOBAL__N_124unique_dim_cuda_templateIlEESt5tupleIJNS8_6TensorESD_SD_EERKSD_lbbbEUlllE1_EE10hipError_tPvRmT2_T3_mT4_P12ihipStream_tbEUlT_E_NS1_11comp_targetILNS1_3genE0ELNS1_11target_archE4294967295ELNS1_3gpuE0ELNS1_3repE0EEENS1_30default_config_static_selectorELNS0_4arch9wavefront6targetE0EEEvT1_.num_agpr, 0
	.set _ZN7rocprim17ROCPRIM_400000_NS6detail17trampoline_kernelINS0_14default_configENS1_35adjacent_difference_config_selectorILb0ElEEZNS1_24adjacent_difference_implIS3_Lb0ELb0EPlS7_ZN2at6native12_GLOBAL__N_124unique_dim_cuda_templateIlEESt5tupleIJNS8_6TensorESD_SD_EERKSD_lbbbEUlllE1_EE10hipError_tPvRmT2_T3_mT4_P12ihipStream_tbEUlT_E_NS1_11comp_targetILNS1_3genE0ELNS1_11target_archE4294967295ELNS1_3gpuE0ELNS1_3repE0EEENS1_30default_config_static_selectorELNS0_4arch9wavefront6targetE0EEEvT1_.numbered_sgpr, 24
	.set _ZN7rocprim17ROCPRIM_400000_NS6detail17trampoline_kernelINS0_14default_configENS1_35adjacent_difference_config_selectorILb0ElEEZNS1_24adjacent_difference_implIS3_Lb0ELb0EPlS7_ZN2at6native12_GLOBAL__N_124unique_dim_cuda_templateIlEESt5tupleIJNS8_6TensorESD_SD_EERKSD_lbbbEUlllE1_EE10hipError_tPvRmT2_T3_mT4_P12ihipStream_tbEUlT_E_NS1_11comp_targetILNS1_3genE0ELNS1_11target_archE4294967295ELNS1_3gpuE0ELNS1_3repE0EEENS1_30default_config_static_selectorELNS0_4arch9wavefront6targetE0EEEvT1_.num_named_barrier, 0
	.set _ZN7rocprim17ROCPRIM_400000_NS6detail17trampoline_kernelINS0_14default_configENS1_35adjacent_difference_config_selectorILb0ElEEZNS1_24adjacent_difference_implIS3_Lb0ELb0EPlS7_ZN2at6native12_GLOBAL__N_124unique_dim_cuda_templateIlEESt5tupleIJNS8_6TensorESD_SD_EERKSD_lbbbEUlllE1_EE10hipError_tPvRmT2_T3_mT4_P12ihipStream_tbEUlT_E_NS1_11comp_targetILNS1_3genE0ELNS1_11target_archE4294967295ELNS1_3gpuE0ELNS1_3repE0EEENS1_30default_config_static_selectorELNS0_4arch9wavefront6targetE0EEEvT1_.private_seg_size, 0
	.set _ZN7rocprim17ROCPRIM_400000_NS6detail17trampoline_kernelINS0_14default_configENS1_35adjacent_difference_config_selectorILb0ElEEZNS1_24adjacent_difference_implIS3_Lb0ELb0EPlS7_ZN2at6native12_GLOBAL__N_124unique_dim_cuda_templateIlEESt5tupleIJNS8_6TensorESD_SD_EERKSD_lbbbEUlllE1_EE10hipError_tPvRmT2_T3_mT4_P12ihipStream_tbEUlT_E_NS1_11comp_targetILNS1_3genE0ELNS1_11target_archE4294967295ELNS1_3gpuE0ELNS1_3repE0EEENS1_30default_config_static_selectorELNS0_4arch9wavefront6targetE0EEEvT1_.uses_vcc, 1
	.set _ZN7rocprim17ROCPRIM_400000_NS6detail17trampoline_kernelINS0_14default_configENS1_35adjacent_difference_config_selectorILb0ElEEZNS1_24adjacent_difference_implIS3_Lb0ELb0EPlS7_ZN2at6native12_GLOBAL__N_124unique_dim_cuda_templateIlEESt5tupleIJNS8_6TensorESD_SD_EERKSD_lbbbEUlllE1_EE10hipError_tPvRmT2_T3_mT4_P12ihipStream_tbEUlT_E_NS1_11comp_targetILNS1_3genE0ELNS1_11target_archE4294967295ELNS1_3gpuE0ELNS1_3repE0EEENS1_30default_config_static_selectorELNS0_4arch9wavefront6targetE0EEEvT1_.uses_flat_scratch, 0
	.set _ZN7rocprim17ROCPRIM_400000_NS6detail17trampoline_kernelINS0_14default_configENS1_35adjacent_difference_config_selectorILb0ElEEZNS1_24adjacent_difference_implIS3_Lb0ELb0EPlS7_ZN2at6native12_GLOBAL__N_124unique_dim_cuda_templateIlEESt5tupleIJNS8_6TensorESD_SD_EERKSD_lbbbEUlllE1_EE10hipError_tPvRmT2_T3_mT4_P12ihipStream_tbEUlT_E_NS1_11comp_targetILNS1_3genE0ELNS1_11target_archE4294967295ELNS1_3gpuE0ELNS1_3repE0EEENS1_30default_config_static_selectorELNS0_4arch9wavefront6targetE0EEEvT1_.has_dyn_sized_stack, 0
	.set _ZN7rocprim17ROCPRIM_400000_NS6detail17trampoline_kernelINS0_14default_configENS1_35adjacent_difference_config_selectorILb0ElEEZNS1_24adjacent_difference_implIS3_Lb0ELb0EPlS7_ZN2at6native12_GLOBAL__N_124unique_dim_cuda_templateIlEESt5tupleIJNS8_6TensorESD_SD_EERKSD_lbbbEUlllE1_EE10hipError_tPvRmT2_T3_mT4_P12ihipStream_tbEUlT_E_NS1_11comp_targetILNS1_3genE0ELNS1_11target_archE4294967295ELNS1_3gpuE0ELNS1_3repE0EEENS1_30default_config_static_selectorELNS0_4arch9wavefront6targetE0EEEvT1_.has_recursion, 0
	.set _ZN7rocprim17ROCPRIM_400000_NS6detail17trampoline_kernelINS0_14default_configENS1_35adjacent_difference_config_selectorILb0ElEEZNS1_24adjacent_difference_implIS3_Lb0ELb0EPlS7_ZN2at6native12_GLOBAL__N_124unique_dim_cuda_templateIlEESt5tupleIJNS8_6TensorESD_SD_EERKSD_lbbbEUlllE1_EE10hipError_tPvRmT2_T3_mT4_P12ihipStream_tbEUlT_E_NS1_11comp_targetILNS1_3genE0ELNS1_11target_archE4294967295ELNS1_3gpuE0ELNS1_3repE0EEENS1_30default_config_static_selectorELNS0_4arch9wavefront6targetE0EEEvT1_.has_indirect_call, 0
	.section	.AMDGPU.csdata,"",@progbits
; Kernel info:
; codeLenInByte = 1704
; TotalNumSgprs: 26
; NumVgprs: 12
; ScratchSize: 0
; MemoryBound: 0
; FloatMode: 240
; IeeeMode: 1
; LDSByteSize: 2048 bytes/workgroup (compile time only)
; SGPRBlocks: 0
; VGPRBlocks: 0
; NumSGPRsForWavesPerEU: 26
; NumVGPRsForWavesPerEU: 12
; NamedBarCnt: 0
; Occupancy: 16
; WaveLimiterHint : 0
; COMPUTE_PGM_RSRC2:SCRATCH_EN: 0
; COMPUTE_PGM_RSRC2:USER_SGPR: 2
; COMPUTE_PGM_RSRC2:TRAP_HANDLER: 0
; COMPUTE_PGM_RSRC2:TGID_X_EN: 1
; COMPUTE_PGM_RSRC2:TGID_Y_EN: 0
; COMPUTE_PGM_RSRC2:TGID_Z_EN: 0
; COMPUTE_PGM_RSRC2:TIDIG_COMP_CNT: 0
	.section	.text._ZN7rocprim17ROCPRIM_400000_NS6detail17trampoline_kernelINS0_14default_configENS1_35adjacent_difference_config_selectorILb0ElEEZNS1_24adjacent_difference_implIS3_Lb0ELb0EPlS7_ZN2at6native12_GLOBAL__N_124unique_dim_cuda_templateIlEESt5tupleIJNS8_6TensorESD_SD_EERKSD_lbbbEUlllE1_EE10hipError_tPvRmT2_T3_mT4_P12ihipStream_tbEUlT_E_NS1_11comp_targetILNS1_3genE10ELNS1_11target_archE1201ELNS1_3gpuE5ELNS1_3repE0EEENS1_30default_config_static_selectorELNS0_4arch9wavefront6targetE0EEEvT1_,"axG",@progbits,_ZN7rocprim17ROCPRIM_400000_NS6detail17trampoline_kernelINS0_14default_configENS1_35adjacent_difference_config_selectorILb0ElEEZNS1_24adjacent_difference_implIS3_Lb0ELb0EPlS7_ZN2at6native12_GLOBAL__N_124unique_dim_cuda_templateIlEESt5tupleIJNS8_6TensorESD_SD_EERKSD_lbbbEUlllE1_EE10hipError_tPvRmT2_T3_mT4_P12ihipStream_tbEUlT_E_NS1_11comp_targetILNS1_3genE10ELNS1_11target_archE1201ELNS1_3gpuE5ELNS1_3repE0EEENS1_30default_config_static_selectorELNS0_4arch9wavefront6targetE0EEEvT1_,comdat
	.globl	_ZN7rocprim17ROCPRIM_400000_NS6detail17trampoline_kernelINS0_14default_configENS1_35adjacent_difference_config_selectorILb0ElEEZNS1_24adjacent_difference_implIS3_Lb0ELb0EPlS7_ZN2at6native12_GLOBAL__N_124unique_dim_cuda_templateIlEESt5tupleIJNS8_6TensorESD_SD_EERKSD_lbbbEUlllE1_EE10hipError_tPvRmT2_T3_mT4_P12ihipStream_tbEUlT_E_NS1_11comp_targetILNS1_3genE10ELNS1_11target_archE1201ELNS1_3gpuE5ELNS1_3repE0EEENS1_30default_config_static_selectorELNS0_4arch9wavefront6targetE0EEEvT1_ ; -- Begin function _ZN7rocprim17ROCPRIM_400000_NS6detail17trampoline_kernelINS0_14default_configENS1_35adjacent_difference_config_selectorILb0ElEEZNS1_24adjacent_difference_implIS3_Lb0ELb0EPlS7_ZN2at6native12_GLOBAL__N_124unique_dim_cuda_templateIlEESt5tupleIJNS8_6TensorESD_SD_EERKSD_lbbbEUlllE1_EE10hipError_tPvRmT2_T3_mT4_P12ihipStream_tbEUlT_E_NS1_11comp_targetILNS1_3genE10ELNS1_11target_archE1201ELNS1_3gpuE5ELNS1_3repE0EEENS1_30default_config_static_selectorELNS0_4arch9wavefront6targetE0EEEvT1_
	.p2align	8
	.type	_ZN7rocprim17ROCPRIM_400000_NS6detail17trampoline_kernelINS0_14default_configENS1_35adjacent_difference_config_selectorILb0ElEEZNS1_24adjacent_difference_implIS3_Lb0ELb0EPlS7_ZN2at6native12_GLOBAL__N_124unique_dim_cuda_templateIlEESt5tupleIJNS8_6TensorESD_SD_EERKSD_lbbbEUlllE1_EE10hipError_tPvRmT2_T3_mT4_P12ihipStream_tbEUlT_E_NS1_11comp_targetILNS1_3genE10ELNS1_11target_archE1201ELNS1_3gpuE5ELNS1_3repE0EEENS1_30default_config_static_selectorELNS0_4arch9wavefront6targetE0EEEvT1_,@function
_ZN7rocprim17ROCPRIM_400000_NS6detail17trampoline_kernelINS0_14default_configENS1_35adjacent_difference_config_selectorILb0ElEEZNS1_24adjacent_difference_implIS3_Lb0ELb0EPlS7_ZN2at6native12_GLOBAL__N_124unique_dim_cuda_templateIlEESt5tupleIJNS8_6TensorESD_SD_EERKSD_lbbbEUlllE1_EE10hipError_tPvRmT2_T3_mT4_P12ihipStream_tbEUlT_E_NS1_11comp_targetILNS1_3genE10ELNS1_11target_archE1201ELNS1_3gpuE5ELNS1_3repE0EEENS1_30default_config_static_selectorELNS0_4arch9wavefront6targetE0EEEvT1_: ; @_ZN7rocprim17ROCPRIM_400000_NS6detail17trampoline_kernelINS0_14default_configENS1_35adjacent_difference_config_selectorILb0ElEEZNS1_24adjacent_difference_implIS3_Lb0ELb0EPlS7_ZN2at6native12_GLOBAL__N_124unique_dim_cuda_templateIlEESt5tupleIJNS8_6TensorESD_SD_EERKSD_lbbbEUlllE1_EE10hipError_tPvRmT2_T3_mT4_P12ihipStream_tbEUlT_E_NS1_11comp_targetILNS1_3genE10ELNS1_11target_archE1201ELNS1_3gpuE5ELNS1_3repE0EEENS1_30default_config_static_selectorELNS0_4arch9wavefront6targetE0EEEvT1_
; %bb.0:
	.section	.rodata,"a",@progbits
	.p2align	6, 0x0
	.amdhsa_kernel _ZN7rocprim17ROCPRIM_400000_NS6detail17trampoline_kernelINS0_14default_configENS1_35adjacent_difference_config_selectorILb0ElEEZNS1_24adjacent_difference_implIS3_Lb0ELb0EPlS7_ZN2at6native12_GLOBAL__N_124unique_dim_cuda_templateIlEESt5tupleIJNS8_6TensorESD_SD_EERKSD_lbbbEUlllE1_EE10hipError_tPvRmT2_T3_mT4_P12ihipStream_tbEUlT_E_NS1_11comp_targetILNS1_3genE10ELNS1_11target_archE1201ELNS1_3gpuE5ELNS1_3repE0EEENS1_30default_config_static_selectorELNS0_4arch9wavefront6targetE0EEEvT1_
		.amdhsa_group_segment_fixed_size 0
		.amdhsa_private_segment_fixed_size 0
		.amdhsa_kernarg_size 64
		.amdhsa_user_sgpr_count 2
		.amdhsa_user_sgpr_dispatch_ptr 0
		.amdhsa_user_sgpr_queue_ptr 0
		.amdhsa_user_sgpr_kernarg_segment_ptr 1
		.amdhsa_user_sgpr_dispatch_id 0
		.amdhsa_user_sgpr_kernarg_preload_length 0
		.amdhsa_user_sgpr_kernarg_preload_offset 0
		.amdhsa_user_sgpr_private_segment_size 0
		.amdhsa_wavefront_size32 1
		.amdhsa_uses_dynamic_stack 0
		.amdhsa_enable_private_segment 0
		.amdhsa_system_sgpr_workgroup_id_x 1
		.amdhsa_system_sgpr_workgroup_id_y 0
		.amdhsa_system_sgpr_workgroup_id_z 0
		.amdhsa_system_sgpr_workgroup_info 0
		.amdhsa_system_vgpr_workitem_id 0
		.amdhsa_next_free_vgpr 1
		.amdhsa_next_free_sgpr 1
		.amdhsa_named_barrier_count 0
		.amdhsa_reserve_vcc 0
		.amdhsa_float_round_mode_32 0
		.amdhsa_float_round_mode_16_64 0
		.amdhsa_float_denorm_mode_32 3
		.amdhsa_float_denorm_mode_16_64 3
		.amdhsa_fp16_overflow 0
		.amdhsa_memory_ordered 1
		.amdhsa_forward_progress 1
		.amdhsa_inst_pref_size 0
		.amdhsa_round_robin_scheduling 0
		.amdhsa_exception_fp_ieee_invalid_op 0
		.amdhsa_exception_fp_denorm_src 0
		.amdhsa_exception_fp_ieee_div_zero 0
		.amdhsa_exception_fp_ieee_overflow 0
		.amdhsa_exception_fp_ieee_underflow 0
		.amdhsa_exception_fp_ieee_inexact 0
		.amdhsa_exception_int_div_zero 0
	.end_amdhsa_kernel
	.section	.text._ZN7rocprim17ROCPRIM_400000_NS6detail17trampoline_kernelINS0_14default_configENS1_35adjacent_difference_config_selectorILb0ElEEZNS1_24adjacent_difference_implIS3_Lb0ELb0EPlS7_ZN2at6native12_GLOBAL__N_124unique_dim_cuda_templateIlEESt5tupleIJNS8_6TensorESD_SD_EERKSD_lbbbEUlllE1_EE10hipError_tPvRmT2_T3_mT4_P12ihipStream_tbEUlT_E_NS1_11comp_targetILNS1_3genE10ELNS1_11target_archE1201ELNS1_3gpuE5ELNS1_3repE0EEENS1_30default_config_static_selectorELNS0_4arch9wavefront6targetE0EEEvT1_,"axG",@progbits,_ZN7rocprim17ROCPRIM_400000_NS6detail17trampoline_kernelINS0_14default_configENS1_35adjacent_difference_config_selectorILb0ElEEZNS1_24adjacent_difference_implIS3_Lb0ELb0EPlS7_ZN2at6native12_GLOBAL__N_124unique_dim_cuda_templateIlEESt5tupleIJNS8_6TensorESD_SD_EERKSD_lbbbEUlllE1_EE10hipError_tPvRmT2_T3_mT4_P12ihipStream_tbEUlT_E_NS1_11comp_targetILNS1_3genE10ELNS1_11target_archE1201ELNS1_3gpuE5ELNS1_3repE0EEENS1_30default_config_static_selectorELNS0_4arch9wavefront6targetE0EEEvT1_,comdat
.Lfunc_end539:
	.size	_ZN7rocprim17ROCPRIM_400000_NS6detail17trampoline_kernelINS0_14default_configENS1_35adjacent_difference_config_selectorILb0ElEEZNS1_24adjacent_difference_implIS3_Lb0ELb0EPlS7_ZN2at6native12_GLOBAL__N_124unique_dim_cuda_templateIlEESt5tupleIJNS8_6TensorESD_SD_EERKSD_lbbbEUlllE1_EE10hipError_tPvRmT2_T3_mT4_P12ihipStream_tbEUlT_E_NS1_11comp_targetILNS1_3genE10ELNS1_11target_archE1201ELNS1_3gpuE5ELNS1_3repE0EEENS1_30default_config_static_selectorELNS0_4arch9wavefront6targetE0EEEvT1_, .Lfunc_end539-_ZN7rocprim17ROCPRIM_400000_NS6detail17trampoline_kernelINS0_14default_configENS1_35adjacent_difference_config_selectorILb0ElEEZNS1_24adjacent_difference_implIS3_Lb0ELb0EPlS7_ZN2at6native12_GLOBAL__N_124unique_dim_cuda_templateIlEESt5tupleIJNS8_6TensorESD_SD_EERKSD_lbbbEUlllE1_EE10hipError_tPvRmT2_T3_mT4_P12ihipStream_tbEUlT_E_NS1_11comp_targetILNS1_3genE10ELNS1_11target_archE1201ELNS1_3gpuE5ELNS1_3repE0EEENS1_30default_config_static_selectorELNS0_4arch9wavefront6targetE0EEEvT1_
                                        ; -- End function
	.set _ZN7rocprim17ROCPRIM_400000_NS6detail17trampoline_kernelINS0_14default_configENS1_35adjacent_difference_config_selectorILb0ElEEZNS1_24adjacent_difference_implIS3_Lb0ELb0EPlS7_ZN2at6native12_GLOBAL__N_124unique_dim_cuda_templateIlEESt5tupleIJNS8_6TensorESD_SD_EERKSD_lbbbEUlllE1_EE10hipError_tPvRmT2_T3_mT4_P12ihipStream_tbEUlT_E_NS1_11comp_targetILNS1_3genE10ELNS1_11target_archE1201ELNS1_3gpuE5ELNS1_3repE0EEENS1_30default_config_static_selectorELNS0_4arch9wavefront6targetE0EEEvT1_.num_vgpr, 0
	.set _ZN7rocprim17ROCPRIM_400000_NS6detail17trampoline_kernelINS0_14default_configENS1_35adjacent_difference_config_selectorILb0ElEEZNS1_24adjacent_difference_implIS3_Lb0ELb0EPlS7_ZN2at6native12_GLOBAL__N_124unique_dim_cuda_templateIlEESt5tupleIJNS8_6TensorESD_SD_EERKSD_lbbbEUlllE1_EE10hipError_tPvRmT2_T3_mT4_P12ihipStream_tbEUlT_E_NS1_11comp_targetILNS1_3genE10ELNS1_11target_archE1201ELNS1_3gpuE5ELNS1_3repE0EEENS1_30default_config_static_selectorELNS0_4arch9wavefront6targetE0EEEvT1_.num_agpr, 0
	.set _ZN7rocprim17ROCPRIM_400000_NS6detail17trampoline_kernelINS0_14default_configENS1_35adjacent_difference_config_selectorILb0ElEEZNS1_24adjacent_difference_implIS3_Lb0ELb0EPlS7_ZN2at6native12_GLOBAL__N_124unique_dim_cuda_templateIlEESt5tupleIJNS8_6TensorESD_SD_EERKSD_lbbbEUlllE1_EE10hipError_tPvRmT2_T3_mT4_P12ihipStream_tbEUlT_E_NS1_11comp_targetILNS1_3genE10ELNS1_11target_archE1201ELNS1_3gpuE5ELNS1_3repE0EEENS1_30default_config_static_selectorELNS0_4arch9wavefront6targetE0EEEvT1_.numbered_sgpr, 0
	.set _ZN7rocprim17ROCPRIM_400000_NS6detail17trampoline_kernelINS0_14default_configENS1_35adjacent_difference_config_selectorILb0ElEEZNS1_24adjacent_difference_implIS3_Lb0ELb0EPlS7_ZN2at6native12_GLOBAL__N_124unique_dim_cuda_templateIlEESt5tupleIJNS8_6TensorESD_SD_EERKSD_lbbbEUlllE1_EE10hipError_tPvRmT2_T3_mT4_P12ihipStream_tbEUlT_E_NS1_11comp_targetILNS1_3genE10ELNS1_11target_archE1201ELNS1_3gpuE5ELNS1_3repE0EEENS1_30default_config_static_selectorELNS0_4arch9wavefront6targetE0EEEvT1_.num_named_barrier, 0
	.set _ZN7rocprim17ROCPRIM_400000_NS6detail17trampoline_kernelINS0_14default_configENS1_35adjacent_difference_config_selectorILb0ElEEZNS1_24adjacent_difference_implIS3_Lb0ELb0EPlS7_ZN2at6native12_GLOBAL__N_124unique_dim_cuda_templateIlEESt5tupleIJNS8_6TensorESD_SD_EERKSD_lbbbEUlllE1_EE10hipError_tPvRmT2_T3_mT4_P12ihipStream_tbEUlT_E_NS1_11comp_targetILNS1_3genE10ELNS1_11target_archE1201ELNS1_3gpuE5ELNS1_3repE0EEENS1_30default_config_static_selectorELNS0_4arch9wavefront6targetE0EEEvT1_.private_seg_size, 0
	.set _ZN7rocprim17ROCPRIM_400000_NS6detail17trampoline_kernelINS0_14default_configENS1_35adjacent_difference_config_selectorILb0ElEEZNS1_24adjacent_difference_implIS3_Lb0ELb0EPlS7_ZN2at6native12_GLOBAL__N_124unique_dim_cuda_templateIlEESt5tupleIJNS8_6TensorESD_SD_EERKSD_lbbbEUlllE1_EE10hipError_tPvRmT2_T3_mT4_P12ihipStream_tbEUlT_E_NS1_11comp_targetILNS1_3genE10ELNS1_11target_archE1201ELNS1_3gpuE5ELNS1_3repE0EEENS1_30default_config_static_selectorELNS0_4arch9wavefront6targetE0EEEvT1_.uses_vcc, 0
	.set _ZN7rocprim17ROCPRIM_400000_NS6detail17trampoline_kernelINS0_14default_configENS1_35adjacent_difference_config_selectorILb0ElEEZNS1_24adjacent_difference_implIS3_Lb0ELb0EPlS7_ZN2at6native12_GLOBAL__N_124unique_dim_cuda_templateIlEESt5tupleIJNS8_6TensorESD_SD_EERKSD_lbbbEUlllE1_EE10hipError_tPvRmT2_T3_mT4_P12ihipStream_tbEUlT_E_NS1_11comp_targetILNS1_3genE10ELNS1_11target_archE1201ELNS1_3gpuE5ELNS1_3repE0EEENS1_30default_config_static_selectorELNS0_4arch9wavefront6targetE0EEEvT1_.uses_flat_scratch, 0
	.set _ZN7rocprim17ROCPRIM_400000_NS6detail17trampoline_kernelINS0_14default_configENS1_35adjacent_difference_config_selectorILb0ElEEZNS1_24adjacent_difference_implIS3_Lb0ELb0EPlS7_ZN2at6native12_GLOBAL__N_124unique_dim_cuda_templateIlEESt5tupleIJNS8_6TensorESD_SD_EERKSD_lbbbEUlllE1_EE10hipError_tPvRmT2_T3_mT4_P12ihipStream_tbEUlT_E_NS1_11comp_targetILNS1_3genE10ELNS1_11target_archE1201ELNS1_3gpuE5ELNS1_3repE0EEENS1_30default_config_static_selectorELNS0_4arch9wavefront6targetE0EEEvT1_.has_dyn_sized_stack, 0
	.set _ZN7rocprim17ROCPRIM_400000_NS6detail17trampoline_kernelINS0_14default_configENS1_35adjacent_difference_config_selectorILb0ElEEZNS1_24adjacent_difference_implIS3_Lb0ELb0EPlS7_ZN2at6native12_GLOBAL__N_124unique_dim_cuda_templateIlEESt5tupleIJNS8_6TensorESD_SD_EERKSD_lbbbEUlllE1_EE10hipError_tPvRmT2_T3_mT4_P12ihipStream_tbEUlT_E_NS1_11comp_targetILNS1_3genE10ELNS1_11target_archE1201ELNS1_3gpuE5ELNS1_3repE0EEENS1_30default_config_static_selectorELNS0_4arch9wavefront6targetE0EEEvT1_.has_recursion, 0
	.set _ZN7rocprim17ROCPRIM_400000_NS6detail17trampoline_kernelINS0_14default_configENS1_35adjacent_difference_config_selectorILb0ElEEZNS1_24adjacent_difference_implIS3_Lb0ELb0EPlS7_ZN2at6native12_GLOBAL__N_124unique_dim_cuda_templateIlEESt5tupleIJNS8_6TensorESD_SD_EERKSD_lbbbEUlllE1_EE10hipError_tPvRmT2_T3_mT4_P12ihipStream_tbEUlT_E_NS1_11comp_targetILNS1_3genE10ELNS1_11target_archE1201ELNS1_3gpuE5ELNS1_3repE0EEENS1_30default_config_static_selectorELNS0_4arch9wavefront6targetE0EEEvT1_.has_indirect_call, 0
	.section	.AMDGPU.csdata,"",@progbits
; Kernel info:
; codeLenInByte = 0
; TotalNumSgprs: 0
; NumVgprs: 0
; ScratchSize: 0
; MemoryBound: 0
; FloatMode: 240
; IeeeMode: 1
; LDSByteSize: 0 bytes/workgroup (compile time only)
; SGPRBlocks: 0
; VGPRBlocks: 0
; NumSGPRsForWavesPerEU: 1
; NumVGPRsForWavesPerEU: 1
; NamedBarCnt: 0
; Occupancy: 16
; WaveLimiterHint : 0
; COMPUTE_PGM_RSRC2:SCRATCH_EN: 0
; COMPUTE_PGM_RSRC2:USER_SGPR: 2
; COMPUTE_PGM_RSRC2:TRAP_HANDLER: 0
; COMPUTE_PGM_RSRC2:TGID_X_EN: 1
; COMPUTE_PGM_RSRC2:TGID_Y_EN: 0
; COMPUTE_PGM_RSRC2:TGID_Z_EN: 0
; COMPUTE_PGM_RSRC2:TIDIG_COMP_CNT: 0
	.section	.text._ZN7rocprim17ROCPRIM_400000_NS6detail17trampoline_kernelINS0_14default_configENS1_35adjacent_difference_config_selectorILb0ElEEZNS1_24adjacent_difference_implIS3_Lb0ELb0EPlS7_ZN2at6native12_GLOBAL__N_124unique_dim_cuda_templateIlEESt5tupleIJNS8_6TensorESD_SD_EERKSD_lbbbEUlllE1_EE10hipError_tPvRmT2_T3_mT4_P12ihipStream_tbEUlT_E_NS1_11comp_targetILNS1_3genE5ELNS1_11target_archE942ELNS1_3gpuE9ELNS1_3repE0EEENS1_30default_config_static_selectorELNS0_4arch9wavefront6targetE0EEEvT1_,"axG",@progbits,_ZN7rocprim17ROCPRIM_400000_NS6detail17trampoline_kernelINS0_14default_configENS1_35adjacent_difference_config_selectorILb0ElEEZNS1_24adjacent_difference_implIS3_Lb0ELb0EPlS7_ZN2at6native12_GLOBAL__N_124unique_dim_cuda_templateIlEESt5tupleIJNS8_6TensorESD_SD_EERKSD_lbbbEUlllE1_EE10hipError_tPvRmT2_T3_mT4_P12ihipStream_tbEUlT_E_NS1_11comp_targetILNS1_3genE5ELNS1_11target_archE942ELNS1_3gpuE9ELNS1_3repE0EEENS1_30default_config_static_selectorELNS0_4arch9wavefront6targetE0EEEvT1_,comdat
	.globl	_ZN7rocprim17ROCPRIM_400000_NS6detail17trampoline_kernelINS0_14default_configENS1_35adjacent_difference_config_selectorILb0ElEEZNS1_24adjacent_difference_implIS3_Lb0ELb0EPlS7_ZN2at6native12_GLOBAL__N_124unique_dim_cuda_templateIlEESt5tupleIJNS8_6TensorESD_SD_EERKSD_lbbbEUlllE1_EE10hipError_tPvRmT2_T3_mT4_P12ihipStream_tbEUlT_E_NS1_11comp_targetILNS1_3genE5ELNS1_11target_archE942ELNS1_3gpuE9ELNS1_3repE0EEENS1_30default_config_static_selectorELNS0_4arch9wavefront6targetE0EEEvT1_ ; -- Begin function _ZN7rocprim17ROCPRIM_400000_NS6detail17trampoline_kernelINS0_14default_configENS1_35adjacent_difference_config_selectorILb0ElEEZNS1_24adjacent_difference_implIS3_Lb0ELb0EPlS7_ZN2at6native12_GLOBAL__N_124unique_dim_cuda_templateIlEESt5tupleIJNS8_6TensorESD_SD_EERKSD_lbbbEUlllE1_EE10hipError_tPvRmT2_T3_mT4_P12ihipStream_tbEUlT_E_NS1_11comp_targetILNS1_3genE5ELNS1_11target_archE942ELNS1_3gpuE9ELNS1_3repE0EEENS1_30default_config_static_selectorELNS0_4arch9wavefront6targetE0EEEvT1_
	.p2align	8
	.type	_ZN7rocprim17ROCPRIM_400000_NS6detail17trampoline_kernelINS0_14default_configENS1_35adjacent_difference_config_selectorILb0ElEEZNS1_24adjacent_difference_implIS3_Lb0ELb0EPlS7_ZN2at6native12_GLOBAL__N_124unique_dim_cuda_templateIlEESt5tupleIJNS8_6TensorESD_SD_EERKSD_lbbbEUlllE1_EE10hipError_tPvRmT2_T3_mT4_P12ihipStream_tbEUlT_E_NS1_11comp_targetILNS1_3genE5ELNS1_11target_archE942ELNS1_3gpuE9ELNS1_3repE0EEENS1_30default_config_static_selectorELNS0_4arch9wavefront6targetE0EEEvT1_,@function
_ZN7rocprim17ROCPRIM_400000_NS6detail17trampoline_kernelINS0_14default_configENS1_35adjacent_difference_config_selectorILb0ElEEZNS1_24adjacent_difference_implIS3_Lb0ELb0EPlS7_ZN2at6native12_GLOBAL__N_124unique_dim_cuda_templateIlEESt5tupleIJNS8_6TensorESD_SD_EERKSD_lbbbEUlllE1_EE10hipError_tPvRmT2_T3_mT4_P12ihipStream_tbEUlT_E_NS1_11comp_targetILNS1_3genE5ELNS1_11target_archE942ELNS1_3gpuE9ELNS1_3repE0EEENS1_30default_config_static_selectorELNS0_4arch9wavefront6targetE0EEEvT1_: ; @_ZN7rocprim17ROCPRIM_400000_NS6detail17trampoline_kernelINS0_14default_configENS1_35adjacent_difference_config_selectorILb0ElEEZNS1_24adjacent_difference_implIS3_Lb0ELb0EPlS7_ZN2at6native12_GLOBAL__N_124unique_dim_cuda_templateIlEESt5tupleIJNS8_6TensorESD_SD_EERKSD_lbbbEUlllE1_EE10hipError_tPvRmT2_T3_mT4_P12ihipStream_tbEUlT_E_NS1_11comp_targetILNS1_3genE5ELNS1_11target_archE942ELNS1_3gpuE9ELNS1_3repE0EEENS1_30default_config_static_selectorELNS0_4arch9wavefront6targetE0EEEvT1_
; %bb.0:
	.section	.rodata,"a",@progbits
	.p2align	6, 0x0
	.amdhsa_kernel _ZN7rocprim17ROCPRIM_400000_NS6detail17trampoline_kernelINS0_14default_configENS1_35adjacent_difference_config_selectorILb0ElEEZNS1_24adjacent_difference_implIS3_Lb0ELb0EPlS7_ZN2at6native12_GLOBAL__N_124unique_dim_cuda_templateIlEESt5tupleIJNS8_6TensorESD_SD_EERKSD_lbbbEUlllE1_EE10hipError_tPvRmT2_T3_mT4_P12ihipStream_tbEUlT_E_NS1_11comp_targetILNS1_3genE5ELNS1_11target_archE942ELNS1_3gpuE9ELNS1_3repE0EEENS1_30default_config_static_selectorELNS0_4arch9wavefront6targetE0EEEvT1_
		.amdhsa_group_segment_fixed_size 0
		.amdhsa_private_segment_fixed_size 0
		.amdhsa_kernarg_size 64
		.amdhsa_user_sgpr_count 2
		.amdhsa_user_sgpr_dispatch_ptr 0
		.amdhsa_user_sgpr_queue_ptr 0
		.amdhsa_user_sgpr_kernarg_segment_ptr 1
		.amdhsa_user_sgpr_dispatch_id 0
		.amdhsa_user_sgpr_kernarg_preload_length 0
		.amdhsa_user_sgpr_kernarg_preload_offset 0
		.amdhsa_user_sgpr_private_segment_size 0
		.amdhsa_wavefront_size32 1
		.amdhsa_uses_dynamic_stack 0
		.amdhsa_enable_private_segment 0
		.amdhsa_system_sgpr_workgroup_id_x 1
		.amdhsa_system_sgpr_workgroup_id_y 0
		.amdhsa_system_sgpr_workgroup_id_z 0
		.amdhsa_system_sgpr_workgroup_info 0
		.amdhsa_system_vgpr_workitem_id 0
		.amdhsa_next_free_vgpr 1
		.amdhsa_next_free_sgpr 1
		.amdhsa_named_barrier_count 0
		.amdhsa_reserve_vcc 0
		.amdhsa_float_round_mode_32 0
		.amdhsa_float_round_mode_16_64 0
		.amdhsa_float_denorm_mode_32 3
		.amdhsa_float_denorm_mode_16_64 3
		.amdhsa_fp16_overflow 0
		.amdhsa_memory_ordered 1
		.amdhsa_forward_progress 1
		.amdhsa_inst_pref_size 0
		.amdhsa_round_robin_scheduling 0
		.amdhsa_exception_fp_ieee_invalid_op 0
		.amdhsa_exception_fp_denorm_src 0
		.amdhsa_exception_fp_ieee_div_zero 0
		.amdhsa_exception_fp_ieee_overflow 0
		.amdhsa_exception_fp_ieee_underflow 0
		.amdhsa_exception_fp_ieee_inexact 0
		.amdhsa_exception_int_div_zero 0
	.end_amdhsa_kernel
	.section	.text._ZN7rocprim17ROCPRIM_400000_NS6detail17trampoline_kernelINS0_14default_configENS1_35adjacent_difference_config_selectorILb0ElEEZNS1_24adjacent_difference_implIS3_Lb0ELb0EPlS7_ZN2at6native12_GLOBAL__N_124unique_dim_cuda_templateIlEESt5tupleIJNS8_6TensorESD_SD_EERKSD_lbbbEUlllE1_EE10hipError_tPvRmT2_T3_mT4_P12ihipStream_tbEUlT_E_NS1_11comp_targetILNS1_3genE5ELNS1_11target_archE942ELNS1_3gpuE9ELNS1_3repE0EEENS1_30default_config_static_selectorELNS0_4arch9wavefront6targetE0EEEvT1_,"axG",@progbits,_ZN7rocprim17ROCPRIM_400000_NS6detail17trampoline_kernelINS0_14default_configENS1_35adjacent_difference_config_selectorILb0ElEEZNS1_24adjacent_difference_implIS3_Lb0ELb0EPlS7_ZN2at6native12_GLOBAL__N_124unique_dim_cuda_templateIlEESt5tupleIJNS8_6TensorESD_SD_EERKSD_lbbbEUlllE1_EE10hipError_tPvRmT2_T3_mT4_P12ihipStream_tbEUlT_E_NS1_11comp_targetILNS1_3genE5ELNS1_11target_archE942ELNS1_3gpuE9ELNS1_3repE0EEENS1_30default_config_static_selectorELNS0_4arch9wavefront6targetE0EEEvT1_,comdat
.Lfunc_end540:
	.size	_ZN7rocprim17ROCPRIM_400000_NS6detail17trampoline_kernelINS0_14default_configENS1_35adjacent_difference_config_selectorILb0ElEEZNS1_24adjacent_difference_implIS3_Lb0ELb0EPlS7_ZN2at6native12_GLOBAL__N_124unique_dim_cuda_templateIlEESt5tupleIJNS8_6TensorESD_SD_EERKSD_lbbbEUlllE1_EE10hipError_tPvRmT2_T3_mT4_P12ihipStream_tbEUlT_E_NS1_11comp_targetILNS1_3genE5ELNS1_11target_archE942ELNS1_3gpuE9ELNS1_3repE0EEENS1_30default_config_static_selectorELNS0_4arch9wavefront6targetE0EEEvT1_, .Lfunc_end540-_ZN7rocprim17ROCPRIM_400000_NS6detail17trampoline_kernelINS0_14default_configENS1_35adjacent_difference_config_selectorILb0ElEEZNS1_24adjacent_difference_implIS3_Lb0ELb0EPlS7_ZN2at6native12_GLOBAL__N_124unique_dim_cuda_templateIlEESt5tupleIJNS8_6TensorESD_SD_EERKSD_lbbbEUlllE1_EE10hipError_tPvRmT2_T3_mT4_P12ihipStream_tbEUlT_E_NS1_11comp_targetILNS1_3genE5ELNS1_11target_archE942ELNS1_3gpuE9ELNS1_3repE0EEENS1_30default_config_static_selectorELNS0_4arch9wavefront6targetE0EEEvT1_
                                        ; -- End function
	.set _ZN7rocprim17ROCPRIM_400000_NS6detail17trampoline_kernelINS0_14default_configENS1_35adjacent_difference_config_selectorILb0ElEEZNS1_24adjacent_difference_implIS3_Lb0ELb0EPlS7_ZN2at6native12_GLOBAL__N_124unique_dim_cuda_templateIlEESt5tupleIJNS8_6TensorESD_SD_EERKSD_lbbbEUlllE1_EE10hipError_tPvRmT2_T3_mT4_P12ihipStream_tbEUlT_E_NS1_11comp_targetILNS1_3genE5ELNS1_11target_archE942ELNS1_3gpuE9ELNS1_3repE0EEENS1_30default_config_static_selectorELNS0_4arch9wavefront6targetE0EEEvT1_.num_vgpr, 0
	.set _ZN7rocprim17ROCPRIM_400000_NS6detail17trampoline_kernelINS0_14default_configENS1_35adjacent_difference_config_selectorILb0ElEEZNS1_24adjacent_difference_implIS3_Lb0ELb0EPlS7_ZN2at6native12_GLOBAL__N_124unique_dim_cuda_templateIlEESt5tupleIJNS8_6TensorESD_SD_EERKSD_lbbbEUlllE1_EE10hipError_tPvRmT2_T3_mT4_P12ihipStream_tbEUlT_E_NS1_11comp_targetILNS1_3genE5ELNS1_11target_archE942ELNS1_3gpuE9ELNS1_3repE0EEENS1_30default_config_static_selectorELNS0_4arch9wavefront6targetE0EEEvT1_.num_agpr, 0
	.set _ZN7rocprim17ROCPRIM_400000_NS6detail17trampoline_kernelINS0_14default_configENS1_35adjacent_difference_config_selectorILb0ElEEZNS1_24adjacent_difference_implIS3_Lb0ELb0EPlS7_ZN2at6native12_GLOBAL__N_124unique_dim_cuda_templateIlEESt5tupleIJNS8_6TensorESD_SD_EERKSD_lbbbEUlllE1_EE10hipError_tPvRmT2_T3_mT4_P12ihipStream_tbEUlT_E_NS1_11comp_targetILNS1_3genE5ELNS1_11target_archE942ELNS1_3gpuE9ELNS1_3repE0EEENS1_30default_config_static_selectorELNS0_4arch9wavefront6targetE0EEEvT1_.numbered_sgpr, 0
	.set _ZN7rocprim17ROCPRIM_400000_NS6detail17trampoline_kernelINS0_14default_configENS1_35adjacent_difference_config_selectorILb0ElEEZNS1_24adjacent_difference_implIS3_Lb0ELb0EPlS7_ZN2at6native12_GLOBAL__N_124unique_dim_cuda_templateIlEESt5tupleIJNS8_6TensorESD_SD_EERKSD_lbbbEUlllE1_EE10hipError_tPvRmT2_T3_mT4_P12ihipStream_tbEUlT_E_NS1_11comp_targetILNS1_3genE5ELNS1_11target_archE942ELNS1_3gpuE9ELNS1_3repE0EEENS1_30default_config_static_selectorELNS0_4arch9wavefront6targetE0EEEvT1_.num_named_barrier, 0
	.set _ZN7rocprim17ROCPRIM_400000_NS6detail17trampoline_kernelINS0_14default_configENS1_35adjacent_difference_config_selectorILb0ElEEZNS1_24adjacent_difference_implIS3_Lb0ELb0EPlS7_ZN2at6native12_GLOBAL__N_124unique_dim_cuda_templateIlEESt5tupleIJNS8_6TensorESD_SD_EERKSD_lbbbEUlllE1_EE10hipError_tPvRmT2_T3_mT4_P12ihipStream_tbEUlT_E_NS1_11comp_targetILNS1_3genE5ELNS1_11target_archE942ELNS1_3gpuE9ELNS1_3repE0EEENS1_30default_config_static_selectorELNS0_4arch9wavefront6targetE0EEEvT1_.private_seg_size, 0
	.set _ZN7rocprim17ROCPRIM_400000_NS6detail17trampoline_kernelINS0_14default_configENS1_35adjacent_difference_config_selectorILb0ElEEZNS1_24adjacent_difference_implIS3_Lb0ELb0EPlS7_ZN2at6native12_GLOBAL__N_124unique_dim_cuda_templateIlEESt5tupleIJNS8_6TensorESD_SD_EERKSD_lbbbEUlllE1_EE10hipError_tPvRmT2_T3_mT4_P12ihipStream_tbEUlT_E_NS1_11comp_targetILNS1_3genE5ELNS1_11target_archE942ELNS1_3gpuE9ELNS1_3repE0EEENS1_30default_config_static_selectorELNS0_4arch9wavefront6targetE0EEEvT1_.uses_vcc, 0
	.set _ZN7rocprim17ROCPRIM_400000_NS6detail17trampoline_kernelINS0_14default_configENS1_35adjacent_difference_config_selectorILb0ElEEZNS1_24adjacent_difference_implIS3_Lb0ELb0EPlS7_ZN2at6native12_GLOBAL__N_124unique_dim_cuda_templateIlEESt5tupleIJNS8_6TensorESD_SD_EERKSD_lbbbEUlllE1_EE10hipError_tPvRmT2_T3_mT4_P12ihipStream_tbEUlT_E_NS1_11comp_targetILNS1_3genE5ELNS1_11target_archE942ELNS1_3gpuE9ELNS1_3repE0EEENS1_30default_config_static_selectorELNS0_4arch9wavefront6targetE0EEEvT1_.uses_flat_scratch, 0
	.set _ZN7rocprim17ROCPRIM_400000_NS6detail17trampoline_kernelINS0_14default_configENS1_35adjacent_difference_config_selectorILb0ElEEZNS1_24adjacent_difference_implIS3_Lb0ELb0EPlS7_ZN2at6native12_GLOBAL__N_124unique_dim_cuda_templateIlEESt5tupleIJNS8_6TensorESD_SD_EERKSD_lbbbEUlllE1_EE10hipError_tPvRmT2_T3_mT4_P12ihipStream_tbEUlT_E_NS1_11comp_targetILNS1_3genE5ELNS1_11target_archE942ELNS1_3gpuE9ELNS1_3repE0EEENS1_30default_config_static_selectorELNS0_4arch9wavefront6targetE0EEEvT1_.has_dyn_sized_stack, 0
	.set _ZN7rocprim17ROCPRIM_400000_NS6detail17trampoline_kernelINS0_14default_configENS1_35adjacent_difference_config_selectorILb0ElEEZNS1_24adjacent_difference_implIS3_Lb0ELb0EPlS7_ZN2at6native12_GLOBAL__N_124unique_dim_cuda_templateIlEESt5tupleIJNS8_6TensorESD_SD_EERKSD_lbbbEUlllE1_EE10hipError_tPvRmT2_T3_mT4_P12ihipStream_tbEUlT_E_NS1_11comp_targetILNS1_3genE5ELNS1_11target_archE942ELNS1_3gpuE9ELNS1_3repE0EEENS1_30default_config_static_selectorELNS0_4arch9wavefront6targetE0EEEvT1_.has_recursion, 0
	.set _ZN7rocprim17ROCPRIM_400000_NS6detail17trampoline_kernelINS0_14default_configENS1_35adjacent_difference_config_selectorILb0ElEEZNS1_24adjacent_difference_implIS3_Lb0ELb0EPlS7_ZN2at6native12_GLOBAL__N_124unique_dim_cuda_templateIlEESt5tupleIJNS8_6TensorESD_SD_EERKSD_lbbbEUlllE1_EE10hipError_tPvRmT2_T3_mT4_P12ihipStream_tbEUlT_E_NS1_11comp_targetILNS1_3genE5ELNS1_11target_archE942ELNS1_3gpuE9ELNS1_3repE0EEENS1_30default_config_static_selectorELNS0_4arch9wavefront6targetE0EEEvT1_.has_indirect_call, 0
	.section	.AMDGPU.csdata,"",@progbits
; Kernel info:
; codeLenInByte = 0
; TotalNumSgprs: 0
; NumVgprs: 0
; ScratchSize: 0
; MemoryBound: 0
; FloatMode: 240
; IeeeMode: 1
; LDSByteSize: 0 bytes/workgroup (compile time only)
; SGPRBlocks: 0
; VGPRBlocks: 0
; NumSGPRsForWavesPerEU: 1
; NumVGPRsForWavesPerEU: 1
; NamedBarCnt: 0
; Occupancy: 16
; WaveLimiterHint : 0
; COMPUTE_PGM_RSRC2:SCRATCH_EN: 0
; COMPUTE_PGM_RSRC2:USER_SGPR: 2
; COMPUTE_PGM_RSRC2:TRAP_HANDLER: 0
; COMPUTE_PGM_RSRC2:TGID_X_EN: 1
; COMPUTE_PGM_RSRC2:TGID_Y_EN: 0
; COMPUTE_PGM_RSRC2:TGID_Z_EN: 0
; COMPUTE_PGM_RSRC2:TIDIG_COMP_CNT: 0
	.section	.text._ZN7rocprim17ROCPRIM_400000_NS6detail17trampoline_kernelINS0_14default_configENS1_35adjacent_difference_config_selectorILb0ElEEZNS1_24adjacent_difference_implIS3_Lb0ELb0EPlS7_ZN2at6native12_GLOBAL__N_124unique_dim_cuda_templateIlEESt5tupleIJNS8_6TensorESD_SD_EERKSD_lbbbEUlllE1_EE10hipError_tPvRmT2_T3_mT4_P12ihipStream_tbEUlT_E_NS1_11comp_targetILNS1_3genE4ELNS1_11target_archE910ELNS1_3gpuE8ELNS1_3repE0EEENS1_30default_config_static_selectorELNS0_4arch9wavefront6targetE0EEEvT1_,"axG",@progbits,_ZN7rocprim17ROCPRIM_400000_NS6detail17trampoline_kernelINS0_14default_configENS1_35adjacent_difference_config_selectorILb0ElEEZNS1_24adjacent_difference_implIS3_Lb0ELb0EPlS7_ZN2at6native12_GLOBAL__N_124unique_dim_cuda_templateIlEESt5tupleIJNS8_6TensorESD_SD_EERKSD_lbbbEUlllE1_EE10hipError_tPvRmT2_T3_mT4_P12ihipStream_tbEUlT_E_NS1_11comp_targetILNS1_3genE4ELNS1_11target_archE910ELNS1_3gpuE8ELNS1_3repE0EEENS1_30default_config_static_selectorELNS0_4arch9wavefront6targetE0EEEvT1_,comdat
	.globl	_ZN7rocprim17ROCPRIM_400000_NS6detail17trampoline_kernelINS0_14default_configENS1_35adjacent_difference_config_selectorILb0ElEEZNS1_24adjacent_difference_implIS3_Lb0ELb0EPlS7_ZN2at6native12_GLOBAL__N_124unique_dim_cuda_templateIlEESt5tupleIJNS8_6TensorESD_SD_EERKSD_lbbbEUlllE1_EE10hipError_tPvRmT2_T3_mT4_P12ihipStream_tbEUlT_E_NS1_11comp_targetILNS1_3genE4ELNS1_11target_archE910ELNS1_3gpuE8ELNS1_3repE0EEENS1_30default_config_static_selectorELNS0_4arch9wavefront6targetE0EEEvT1_ ; -- Begin function _ZN7rocprim17ROCPRIM_400000_NS6detail17trampoline_kernelINS0_14default_configENS1_35adjacent_difference_config_selectorILb0ElEEZNS1_24adjacent_difference_implIS3_Lb0ELb0EPlS7_ZN2at6native12_GLOBAL__N_124unique_dim_cuda_templateIlEESt5tupleIJNS8_6TensorESD_SD_EERKSD_lbbbEUlllE1_EE10hipError_tPvRmT2_T3_mT4_P12ihipStream_tbEUlT_E_NS1_11comp_targetILNS1_3genE4ELNS1_11target_archE910ELNS1_3gpuE8ELNS1_3repE0EEENS1_30default_config_static_selectorELNS0_4arch9wavefront6targetE0EEEvT1_
	.p2align	8
	.type	_ZN7rocprim17ROCPRIM_400000_NS6detail17trampoline_kernelINS0_14default_configENS1_35adjacent_difference_config_selectorILb0ElEEZNS1_24adjacent_difference_implIS3_Lb0ELb0EPlS7_ZN2at6native12_GLOBAL__N_124unique_dim_cuda_templateIlEESt5tupleIJNS8_6TensorESD_SD_EERKSD_lbbbEUlllE1_EE10hipError_tPvRmT2_T3_mT4_P12ihipStream_tbEUlT_E_NS1_11comp_targetILNS1_3genE4ELNS1_11target_archE910ELNS1_3gpuE8ELNS1_3repE0EEENS1_30default_config_static_selectorELNS0_4arch9wavefront6targetE0EEEvT1_,@function
_ZN7rocprim17ROCPRIM_400000_NS6detail17trampoline_kernelINS0_14default_configENS1_35adjacent_difference_config_selectorILb0ElEEZNS1_24adjacent_difference_implIS3_Lb0ELb0EPlS7_ZN2at6native12_GLOBAL__N_124unique_dim_cuda_templateIlEESt5tupleIJNS8_6TensorESD_SD_EERKSD_lbbbEUlllE1_EE10hipError_tPvRmT2_T3_mT4_P12ihipStream_tbEUlT_E_NS1_11comp_targetILNS1_3genE4ELNS1_11target_archE910ELNS1_3gpuE8ELNS1_3repE0EEENS1_30default_config_static_selectorELNS0_4arch9wavefront6targetE0EEEvT1_: ; @_ZN7rocprim17ROCPRIM_400000_NS6detail17trampoline_kernelINS0_14default_configENS1_35adjacent_difference_config_selectorILb0ElEEZNS1_24adjacent_difference_implIS3_Lb0ELb0EPlS7_ZN2at6native12_GLOBAL__N_124unique_dim_cuda_templateIlEESt5tupleIJNS8_6TensorESD_SD_EERKSD_lbbbEUlllE1_EE10hipError_tPvRmT2_T3_mT4_P12ihipStream_tbEUlT_E_NS1_11comp_targetILNS1_3genE4ELNS1_11target_archE910ELNS1_3gpuE8ELNS1_3repE0EEENS1_30default_config_static_selectorELNS0_4arch9wavefront6targetE0EEEvT1_
; %bb.0:
	.section	.rodata,"a",@progbits
	.p2align	6, 0x0
	.amdhsa_kernel _ZN7rocprim17ROCPRIM_400000_NS6detail17trampoline_kernelINS0_14default_configENS1_35adjacent_difference_config_selectorILb0ElEEZNS1_24adjacent_difference_implIS3_Lb0ELb0EPlS7_ZN2at6native12_GLOBAL__N_124unique_dim_cuda_templateIlEESt5tupleIJNS8_6TensorESD_SD_EERKSD_lbbbEUlllE1_EE10hipError_tPvRmT2_T3_mT4_P12ihipStream_tbEUlT_E_NS1_11comp_targetILNS1_3genE4ELNS1_11target_archE910ELNS1_3gpuE8ELNS1_3repE0EEENS1_30default_config_static_selectorELNS0_4arch9wavefront6targetE0EEEvT1_
		.amdhsa_group_segment_fixed_size 0
		.amdhsa_private_segment_fixed_size 0
		.amdhsa_kernarg_size 64
		.amdhsa_user_sgpr_count 2
		.amdhsa_user_sgpr_dispatch_ptr 0
		.amdhsa_user_sgpr_queue_ptr 0
		.amdhsa_user_sgpr_kernarg_segment_ptr 1
		.amdhsa_user_sgpr_dispatch_id 0
		.amdhsa_user_sgpr_kernarg_preload_length 0
		.amdhsa_user_sgpr_kernarg_preload_offset 0
		.amdhsa_user_sgpr_private_segment_size 0
		.amdhsa_wavefront_size32 1
		.amdhsa_uses_dynamic_stack 0
		.amdhsa_enable_private_segment 0
		.amdhsa_system_sgpr_workgroup_id_x 1
		.amdhsa_system_sgpr_workgroup_id_y 0
		.amdhsa_system_sgpr_workgroup_id_z 0
		.amdhsa_system_sgpr_workgroup_info 0
		.amdhsa_system_vgpr_workitem_id 0
		.amdhsa_next_free_vgpr 1
		.amdhsa_next_free_sgpr 1
		.amdhsa_named_barrier_count 0
		.amdhsa_reserve_vcc 0
		.amdhsa_float_round_mode_32 0
		.amdhsa_float_round_mode_16_64 0
		.amdhsa_float_denorm_mode_32 3
		.amdhsa_float_denorm_mode_16_64 3
		.amdhsa_fp16_overflow 0
		.amdhsa_memory_ordered 1
		.amdhsa_forward_progress 1
		.amdhsa_inst_pref_size 0
		.amdhsa_round_robin_scheduling 0
		.amdhsa_exception_fp_ieee_invalid_op 0
		.amdhsa_exception_fp_denorm_src 0
		.amdhsa_exception_fp_ieee_div_zero 0
		.amdhsa_exception_fp_ieee_overflow 0
		.amdhsa_exception_fp_ieee_underflow 0
		.amdhsa_exception_fp_ieee_inexact 0
		.amdhsa_exception_int_div_zero 0
	.end_amdhsa_kernel
	.section	.text._ZN7rocprim17ROCPRIM_400000_NS6detail17trampoline_kernelINS0_14default_configENS1_35adjacent_difference_config_selectorILb0ElEEZNS1_24adjacent_difference_implIS3_Lb0ELb0EPlS7_ZN2at6native12_GLOBAL__N_124unique_dim_cuda_templateIlEESt5tupleIJNS8_6TensorESD_SD_EERKSD_lbbbEUlllE1_EE10hipError_tPvRmT2_T3_mT4_P12ihipStream_tbEUlT_E_NS1_11comp_targetILNS1_3genE4ELNS1_11target_archE910ELNS1_3gpuE8ELNS1_3repE0EEENS1_30default_config_static_selectorELNS0_4arch9wavefront6targetE0EEEvT1_,"axG",@progbits,_ZN7rocprim17ROCPRIM_400000_NS6detail17trampoline_kernelINS0_14default_configENS1_35adjacent_difference_config_selectorILb0ElEEZNS1_24adjacent_difference_implIS3_Lb0ELb0EPlS7_ZN2at6native12_GLOBAL__N_124unique_dim_cuda_templateIlEESt5tupleIJNS8_6TensorESD_SD_EERKSD_lbbbEUlllE1_EE10hipError_tPvRmT2_T3_mT4_P12ihipStream_tbEUlT_E_NS1_11comp_targetILNS1_3genE4ELNS1_11target_archE910ELNS1_3gpuE8ELNS1_3repE0EEENS1_30default_config_static_selectorELNS0_4arch9wavefront6targetE0EEEvT1_,comdat
.Lfunc_end541:
	.size	_ZN7rocprim17ROCPRIM_400000_NS6detail17trampoline_kernelINS0_14default_configENS1_35adjacent_difference_config_selectorILb0ElEEZNS1_24adjacent_difference_implIS3_Lb0ELb0EPlS7_ZN2at6native12_GLOBAL__N_124unique_dim_cuda_templateIlEESt5tupleIJNS8_6TensorESD_SD_EERKSD_lbbbEUlllE1_EE10hipError_tPvRmT2_T3_mT4_P12ihipStream_tbEUlT_E_NS1_11comp_targetILNS1_3genE4ELNS1_11target_archE910ELNS1_3gpuE8ELNS1_3repE0EEENS1_30default_config_static_selectorELNS0_4arch9wavefront6targetE0EEEvT1_, .Lfunc_end541-_ZN7rocprim17ROCPRIM_400000_NS6detail17trampoline_kernelINS0_14default_configENS1_35adjacent_difference_config_selectorILb0ElEEZNS1_24adjacent_difference_implIS3_Lb0ELb0EPlS7_ZN2at6native12_GLOBAL__N_124unique_dim_cuda_templateIlEESt5tupleIJNS8_6TensorESD_SD_EERKSD_lbbbEUlllE1_EE10hipError_tPvRmT2_T3_mT4_P12ihipStream_tbEUlT_E_NS1_11comp_targetILNS1_3genE4ELNS1_11target_archE910ELNS1_3gpuE8ELNS1_3repE0EEENS1_30default_config_static_selectorELNS0_4arch9wavefront6targetE0EEEvT1_
                                        ; -- End function
	.set _ZN7rocprim17ROCPRIM_400000_NS6detail17trampoline_kernelINS0_14default_configENS1_35adjacent_difference_config_selectorILb0ElEEZNS1_24adjacent_difference_implIS3_Lb0ELb0EPlS7_ZN2at6native12_GLOBAL__N_124unique_dim_cuda_templateIlEESt5tupleIJNS8_6TensorESD_SD_EERKSD_lbbbEUlllE1_EE10hipError_tPvRmT2_T3_mT4_P12ihipStream_tbEUlT_E_NS1_11comp_targetILNS1_3genE4ELNS1_11target_archE910ELNS1_3gpuE8ELNS1_3repE0EEENS1_30default_config_static_selectorELNS0_4arch9wavefront6targetE0EEEvT1_.num_vgpr, 0
	.set _ZN7rocprim17ROCPRIM_400000_NS6detail17trampoline_kernelINS0_14default_configENS1_35adjacent_difference_config_selectorILb0ElEEZNS1_24adjacent_difference_implIS3_Lb0ELb0EPlS7_ZN2at6native12_GLOBAL__N_124unique_dim_cuda_templateIlEESt5tupleIJNS8_6TensorESD_SD_EERKSD_lbbbEUlllE1_EE10hipError_tPvRmT2_T3_mT4_P12ihipStream_tbEUlT_E_NS1_11comp_targetILNS1_3genE4ELNS1_11target_archE910ELNS1_3gpuE8ELNS1_3repE0EEENS1_30default_config_static_selectorELNS0_4arch9wavefront6targetE0EEEvT1_.num_agpr, 0
	.set _ZN7rocprim17ROCPRIM_400000_NS6detail17trampoline_kernelINS0_14default_configENS1_35adjacent_difference_config_selectorILb0ElEEZNS1_24adjacent_difference_implIS3_Lb0ELb0EPlS7_ZN2at6native12_GLOBAL__N_124unique_dim_cuda_templateIlEESt5tupleIJNS8_6TensorESD_SD_EERKSD_lbbbEUlllE1_EE10hipError_tPvRmT2_T3_mT4_P12ihipStream_tbEUlT_E_NS1_11comp_targetILNS1_3genE4ELNS1_11target_archE910ELNS1_3gpuE8ELNS1_3repE0EEENS1_30default_config_static_selectorELNS0_4arch9wavefront6targetE0EEEvT1_.numbered_sgpr, 0
	.set _ZN7rocprim17ROCPRIM_400000_NS6detail17trampoline_kernelINS0_14default_configENS1_35adjacent_difference_config_selectorILb0ElEEZNS1_24adjacent_difference_implIS3_Lb0ELb0EPlS7_ZN2at6native12_GLOBAL__N_124unique_dim_cuda_templateIlEESt5tupleIJNS8_6TensorESD_SD_EERKSD_lbbbEUlllE1_EE10hipError_tPvRmT2_T3_mT4_P12ihipStream_tbEUlT_E_NS1_11comp_targetILNS1_3genE4ELNS1_11target_archE910ELNS1_3gpuE8ELNS1_3repE0EEENS1_30default_config_static_selectorELNS0_4arch9wavefront6targetE0EEEvT1_.num_named_barrier, 0
	.set _ZN7rocprim17ROCPRIM_400000_NS6detail17trampoline_kernelINS0_14default_configENS1_35adjacent_difference_config_selectorILb0ElEEZNS1_24adjacent_difference_implIS3_Lb0ELb0EPlS7_ZN2at6native12_GLOBAL__N_124unique_dim_cuda_templateIlEESt5tupleIJNS8_6TensorESD_SD_EERKSD_lbbbEUlllE1_EE10hipError_tPvRmT2_T3_mT4_P12ihipStream_tbEUlT_E_NS1_11comp_targetILNS1_3genE4ELNS1_11target_archE910ELNS1_3gpuE8ELNS1_3repE0EEENS1_30default_config_static_selectorELNS0_4arch9wavefront6targetE0EEEvT1_.private_seg_size, 0
	.set _ZN7rocprim17ROCPRIM_400000_NS6detail17trampoline_kernelINS0_14default_configENS1_35adjacent_difference_config_selectorILb0ElEEZNS1_24adjacent_difference_implIS3_Lb0ELb0EPlS7_ZN2at6native12_GLOBAL__N_124unique_dim_cuda_templateIlEESt5tupleIJNS8_6TensorESD_SD_EERKSD_lbbbEUlllE1_EE10hipError_tPvRmT2_T3_mT4_P12ihipStream_tbEUlT_E_NS1_11comp_targetILNS1_3genE4ELNS1_11target_archE910ELNS1_3gpuE8ELNS1_3repE0EEENS1_30default_config_static_selectorELNS0_4arch9wavefront6targetE0EEEvT1_.uses_vcc, 0
	.set _ZN7rocprim17ROCPRIM_400000_NS6detail17trampoline_kernelINS0_14default_configENS1_35adjacent_difference_config_selectorILb0ElEEZNS1_24adjacent_difference_implIS3_Lb0ELb0EPlS7_ZN2at6native12_GLOBAL__N_124unique_dim_cuda_templateIlEESt5tupleIJNS8_6TensorESD_SD_EERKSD_lbbbEUlllE1_EE10hipError_tPvRmT2_T3_mT4_P12ihipStream_tbEUlT_E_NS1_11comp_targetILNS1_3genE4ELNS1_11target_archE910ELNS1_3gpuE8ELNS1_3repE0EEENS1_30default_config_static_selectorELNS0_4arch9wavefront6targetE0EEEvT1_.uses_flat_scratch, 0
	.set _ZN7rocprim17ROCPRIM_400000_NS6detail17trampoline_kernelINS0_14default_configENS1_35adjacent_difference_config_selectorILb0ElEEZNS1_24adjacent_difference_implIS3_Lb0ELb0EPlS7_ZN2at6native12_GLOBAL__N_124unique_dim_cuda_templateIlEESt5tupleIJNS8_6TensorESD_SD_EERKSD_lbbbEUlllE1_EE10hipError_tPvRmT2_T3_mT4_P12ihipStream_tbEUlT_E_NS1_11comp_targetILNS1_3genE4ELNS1_11target_archE910ELNS1_3gpuE8ELNS1_3repE0EEENS1_30default_config_static_selectorELNS0_4arch9wavefront6targetE0EEEvT1_.has_dyn_sized_stack, 0
	.set _ZN7rocprim17ROCPRIM_400000_NS6detail17trampoline_kernelINS0_14default_configENS1_35adjacent_difference_config_selectorILb0ElEEZNS1_24adjacent_difference_implIS3_Lb0ELb0EPlS7_ZN2at6native12_GLOBAL__N_124unique_dim_cuda_templateIlEESt5tupleIJNS8_6TensorESD_SD_EERKSD_lbbbEUlllE1_EE10hipError_tPvRmT2_T3_mT4_P12ihipStream_tbEUlT_E_NS1_11comp_targetILNS1_3genE4ELNS1_11target_archE910ELNS1_3gpuE8ELNS1_3repE0EEENS1_30default_config_static_selectorELNS0_4arch9wavefront6targetE0EEEvT1_.has_recursion, 0
	.set _ZN7rocprim17ROCPRIM_400000_NS6detail17trampoline_kernelINS0_14default_configENS1_35adjacent_difference_config_selectorILb0ElEEZNS1_24adjacent_difference_implIS3_Lb0ELb0EPlS7_ZN2at6native12_GLOBAL__N_124unique_dim_cuda_templateIlEESt5tupleIJNS8_6TensorESD_SD_EERKSD_lbbbEUlllE1_EE10hipError_tPvRmT2_T3_mT4_P12ihipStream_tbEUlT_E_NS1_11comp_targetILNS1_3genE4ELNS1_11target_archE910ELNS1_3gpuE8ELNS1_3repE0EEENS1_30default_config_static_selectorELNS0_4arch9wavefront6targetE0EEEvT1_.has_indirect_call, 0
	.section	.AMDGPU.csdata,"",@progbits
; Kernel info:
; codeLenInByte = 0
; TotalNumSgprs: 0
; NumVgprs: 0
; ScratchSize: 0
; MemoryBound: 0
; FloatMode: 240
; IeeeMode: 1
; LDSByteSize: 0 bytes/workgroup (compile time only)
; SGPRBlocks: 0
; VGPRBlocks: 0
; NumSGPRsForWavesPerEU: 1
; NumVGPRsForWavesPerEU: 1
; NamedBarCnt: 0
; Occupancy: 16
; WaveLimiterHint : 0
; COMPUTE_PGM_RSRC2:SCRATCH_EN: 0
; COMPUTE_PGM_RSRC2:USER_SGPR: 2
; COMPUTE_PGM_RSRC2:TRAP_HANDLER: 0
; COMPUTE_PGM_RSRC2:TGID_X_EN: 1
; COMPUTE_PGM_RSRC2:TGID_Y_EN: 0
; COMPUTE_PGM_RSRC2:TGID_Z_EN: 0
; COMPUTE_PGM_RSRC2:TIDIG_COMP_CNT: 0
	.section	.text._ZN7rocprim17ROCPRIM_400000_NS6detail17trampoline_kernelINS0_14default_configENS1_35adjacent_difference_config_selectorILb0ElEEZNS1_24adjacent_difference_implIS3_Lb0ELb0EPlS7_ZN2at6native12_GLOBAL__N_124unique_dim_cuda_templateIlEESt5tupleIJNS8_6TensorESD_SD_EERKSD_lbbbEUlllE1_EE10hipError_tPvRmT2_T3_mT4_P12ihipStream_tbEUlT_E_NS1_11comp_targetILNS1_3genE3ELNS1_11target_archE908ELNS1_3gpuE7ELNS1_3repE0EEENS1_30default_config_static_selectorELNS0_4arch9wavefront6targetE0EEEvT1_,"axG",@progbits,_ZN7rocprim17ROCPRIM_400000_NS6detail17trampoline_kernelINS0_14default_configENS1_35adjacent_difference_config_selectorILb0ElEEZNS1_24adjacent_difference_implIS3_Lb0ELb0EPlS7_ZN2at6native12_GLOBAL__N_124unique_dim_cuda_templateIlEESt5tupleIJNS8_6TensorESD_SD_EERKSD_lbbbEUlllE1_EE10hipError_tPvRmT2_T3_mT4_P12ihipStream_tbEUlT_E_NS1_11comp_targetILNS1_3genE3ELNS1_11target_archE908ELNS1_3gpuE7ELNS1_3repE0EEENS1_30default_config_static_selectorELNS0_4arch9wavefront6targetE0EEEvT1_,comdat
	.globl	_ZN7rocprim17ROCPRIM_400000_NS6detail17trampoline_kernelINS0_14default_configENS1_35adjacent_difference_config_selectorILb0ElEEZNS1_24adjacent_difference_implIS3_Lb0ELb0EPlS7_ZN2at6native12_GLOBAL__N_124unique_dim_cuda_templateIlEESt5tupleIJNS8_6TensorESD_SD_EERKSD_lbbbEUlllE1_EE10hipError_tPvRmT2_T3_mT4_P12ihipStream_tbEUlT_E_NS1_11comp_targetILNS1_3genE3ELNS1_11target_archE908ELNS1_3gpuE7ELNS1_3repE0EEENS1_30default_config_static_selectorELNS0_4arch9wavefront6targetE0EEEvT1_ ; -- Begin function _ZN7rocprim17ROCPRIM_400000_NS6detail17trampoline_kernelINS0_14default_configENS1_35adjacent_difference_config_selectorILb0ElEEZNS1_24adjacent_difference_implIS3_Lb0ELb0EPlS7_ZN2at6native12_GLOBAL__N_124unique_dim_cuda_templateIlEESt5tupleIJNS8_6TensorESD_SD_EERKSD_lbbbEUlllE1_EE10hipError_tPvRmT2_T3_mT4_P12ihipStream_tbEUlT_E_NS1_11comp_targetILNS1_3genE3ELNS1_11target_archE908ELNS1_3gpuE7ELNS1_3repE0EEENS1_30default_config_static_selectorELNS0_4arch9wavefront6targetE0EEEvT1_
	.p2align	8
	.type	_ZN7rocprim17ROCPRIM_400000_NS6detail17trampoline_kernelINS0_14default_configENS1_35adjacent_difference_config_selectorILb0ElEEZNS1_24adjacent_difference_implIS3_Lb0ELb0EPlS7_ZN2at6native12_GLOBAL__N_124unique_dim_cuda_templateIlEESt5tupleIJNS8_6TensorESD_SD_EERKSD_lbbbEUlllE1_EE10hipError_tPvRmT2_T3_mT4_P12ihipStream_tbEUlT_E_NS1_11comp_targetILNS1_3genE3ELNS1_11target_archE908ELNS1_3gpuE7ELNS1_3repE0EEENS1_30default_config_static_selectorELNS0_4arch9wavefront6targetE0EEEvT1_,@function
_ZN7rocprim17ROCPRIM_400000_NS6detail17trampoline_kernelINS0_14default_configENS1_35adjacent_difference_config_selectorILb0ElEEZNS1_24adjacent_difference_implIS3_Lb0ELb0EPlS7_ZN2at6native12_GLOBAL__N_124unique_dim_cuda_templateIlEESt5tupleIJNS8_6TensorESD_SD_EERKSD_lbbbEUlllE1_EE10hipError_tPvRmT2_T3_mT4_P12ihipStream_tbEUlT_E_NS1_11comp_targetILNS1_3genE3ELNS1_11target_archE908ELNS1_3gpuE7ELNS1_3repE0EEENS1_30default_config_static_selectorELNS0_4arch9wavefront6targetE0EEEvT1_: ; @_ZN7rocprim17ROCPRIM_400000_NS6detail17trampoline_kernelINS0_14default_configENS1_35adjacent_difference_config_selectorILb0ElEEZNS1_24adjacent_difference_implIS3_Lb0ELb0EPlS7_ZN2at6native12_GLOBAL__N_124unique_dim_cuda_templateIlEESt5tupleIJNS8_6TensorESD_SD_EERKSD_lbbbEUlllE1_EE10hipError_tPvRmT2_T3_mT4_P12ihipStream_tbEUlT_E_NS1_11comp_targetILNS1_3genE3ELNS1_11target_archE908ELNS1_3gpuE7ELNS1_3repE0EEENS1_30default_config_static_selectorELNS0_4arch9wavefront6targetE0EEEvT1_
; %bb.0:
	.section	.rodata,"a",@progbits
	.p2align	6, 0x0
	.amdhsa_kernel _ZN7rocprim17ROCPRIM_400000_NS6detail17trampoline_kernelINS0_14default_configENS1_35adjacent_difference_config_selectorILb0ElEEZNS1_24adjacent_difference_implIS3_Lb0ELb0EPlS7_ZN2at6native12_GLOBAL__N_124unique_dim_cuda_templateIlEESt5tupleIJNS8_6TensorESD_SD_EERKSD_lbbbEUlllE1_EE10hipError_tPvRmT2_T3_mT4_P12ihipStream_tbEUlT_E_NS1_11comp_targetILNS1_3genE3ELNS1_11target_archE908ELNS1_3gpuE7ELNS1_3repE0EEENS1_30default_config_static_selectorELNS0_4arch9wavefront6targetE0EEEvT1_
		.amdhsa_group_segment_fixed_size 0
		.amdhsa_private_segment_fixed_size 0
		.amdhsa_kernarg_size 64
		.amdhsa_user_sgpr_count 2
		.amdhsa_user_sgpr_dispatch_ptr 0
		.amdhsa_user_sgpr_queue_ptr 0
		.amdhsa_user_sgpr_kernarg_segment_ptr 1
		.amdhsa_user_sgpr_dispatch_id 0
		.amdhsa_user_sgpr_kernarg_preload_length 0
		.amdhsa_user_sgpr_kernarg_preload_offset 0
		.amdhsa_user_sgpr_private_segment_size 0
		.amdhsa_wavefront_size32 1
		.amdhsa_uses_dynamic_stack 0
		.amdhsa_enable_private_segment 0
		.amdhsa_system_sgpr_workgroup_id_x 1
		.amdhsa_system_sgpr_workgroup_id_y 0
		.amdhsa_system_sgpr_workgroup_id_z 0
		.amdhsa_system_sgpr_workgroup_info 0
		.amdhsa_system_vgpr_workitem_id 0
		.amdhsa_next_free_vgpr 1
		.amdhsa_next_free_sgpr 1
		.amdhsa_named_barrier_count 0
		.amdhsa_reserve_vcc 0
		.amdhsa_float_round_mode_32 0
		.amdhsa_float_round_mode_16_64 0
		.amdhsa_float_denorm_mode_32 3
		.amdhsa_float_denorm_mode_16_64 3
		.amdhsa_fp16_overflow 0
		.amdhsa_memory_ordered 1
		.amdhsa_forward_progress 1
		.amdhsa_inst_pref_size 0
		.amdhsa_round_robin_scheduling 0
		.amdhsa_exception_fp_ieee_invalid_op 0
		.amdhsa_exception_fp_denorm_src 0
		.amdhsa_exception_fp_ieee_div_zero 0
		.amdhsa_exception_fp_ieee_overflow 0
		.amdhsa_exception_fp_ieee_underflow 0
		.amdhsa_exception_fp_ieee_inexact 0
		.amdhsa_exception_int_div_zero 0
	.end_amdhsa_kernel
	.section	.text._ZN7rocprim17ROCPRIM_400000_NS6detail17trampoline_kernelINS0_14default_configENS1_35adjacent_difference_config_selectorILb0ElEEZNS1_24adjacent_difference_implIS3_Lb0ELb0EPlS7_ZN2at6native12_GLOBAL__N_124unique_dim_cuda_templateIlEESt5tupleIJNS8_6TensorESD_SD_EERKSD_lbbbEUlllE1_EE10hipError_tPvRmT2_T3_mT4_P12ihipStream_tbEUlT_E_NS1_11comp_targetILNS1_3genE3ELNS1_11target_archE908ELNS1_3gpuE7ELNS1_3repE0EEENS1_30default_config_static_selectorELNS0_4arch9wavefront6targetE0EEEvT1_,"axG",@progbits,_ZN7rocprim17ROCPRIM_400000_NS6detail17trampoline_kernelINS0_14default_configENS1_35adjacent_difference_config_selectorILb0ElEEZNS1_24adjacent_difference_implIS3_Lb0ELb0EPlS7_ZN2at6native12_GLOBAL__N_124unique_dim_cuda_templateIlEESt5tupleIJNS8_6TensorESD_SD_EERKSD_lbbbEUlllE1_EE10hipError_tPvRmT2_T3_mT4_P12ihipStream_tbEUlT_E_NS1_11comp_targetILNS1_3genE3ELNS1_11target_archE908ELNS1_3gpuE7ELNS1_3repE0EEENS1_30default_config_static_selectorELNS0_4arch9wavefront6targetE0EEEvT1_,comdat
.Lfunc_end542:
	.size	_ZN7rocprim17ROCPRIM_400000_NS6detail17trampoline_kernelINS0_14default_configENS1_35adjacent_difference_config_selectorILb0ElEEZNS1_24adjacent_difference_implIS3_Lb0ELb0EPlS7_ZN2at6native12_GLOBAL__N_124unique_dim_cuda_templateIlEESt5tupleIJNS8_6TensorESD_SD_EERKSD_lbbbEUlllE1_EE10hipError_tPvRmT2_T3_mT4_P12ihipStream_tbEUlT_E_NS1_11comp_targetILNS1_3genE3ELNS1_11target_archE908ELNS1_3gpuE7ELNS1_3repE0EEENS1_30default_config_static_selectorELNS0_4arch9wavefront6targetE0EEEvT1_, .Lfunc_end542-_ZN7rocprim17ROCPRIM_400000_NS6detail17trampoline_kernelINS0_14default_configENS1_35adjacent_difference_config_selectorILb0ElEEZNS1_24adjacent_difference_implIS3_Lb0ELb0EPlS7_ZN2at6native12_GLOBAL__N_124unique_dim_cuda_templateIlEESt5tupleIJNS8_6TensorESD_SD_EERKSD_lbbbEUlllE1_EE10hipError_tPvRmT2_T3_mT4_P12ihipStream_tbEUlT_E_NS1_11comp_targetILNS1_3genE3ELNS1_11target_archE908ELNS1_3gpuE7ELNS1_3repE0EEENS1_30default_config_static_selectorELNS0_4arch9wavefront6targetE0EEEvT1_
                                        ; -- End function
	.set _ZN7rocprim17ROCPRIM_400000_NS6detail17trampoline_kernelINS0_14default_configENS1_35adjacent_difference_config_selectorILb0ElEEZNS1_24adjacent_difference_implIS3_Lb0ELb0EPlS7_ZN2at6native12_GLOBAL__N_124unique_dim_cuda_templateIlEESt5tupleIJNS8_6TensorESD_SD_EERKSD_lbbbEUlllE1_EE10hipError_tPvRmT2_T3_mT4_P12ihipStream_tbEUlT_E_NS1_11comp_targetILNS1_3genE3ELNS1_11target_archE908ELNS1_3gpuE7ELNS1_3repE0EEENS1_30default_config_static_selectorELNS0_4arch9wavefront6targetE0EEEvT1_.num_vgpr, 0
	.set _ZN7rocprim17ROCPRIM_400000_NS6detail17trampoline_kernelINS0_14default_configENS1_35adjacent_difference_config_selectorILb0ElEEZNS1_24adjacent_difference_implIS3_Lb0ELb0EPlS7_ZN2at6native12_GLOBAL__N_124unique_dim_cuda_templateIlEESt5tupleIJNS8_6TensorESD_SD_EERKSD_lbbbEUlllE1_EE10hipError_tPvRmT2_T3_mT4_P12ihipStream_tbEUlT_E_NS1_11comp_targetILNS1_3genE3ELNS1_11target_archE908ELNS1_3gpuE7ELNS1_3repE0EEENS1_30default_config_static_selectorELNS0_4arch9wavefront6targetE0EEEvT1_.num_agpr, 0
	.set _ZN7rocprim17ROCPRIM_400000_NS6detail17trampoline_kernelINS0_14default_configENS1_35adjacent_difference_config_selectorILb0ElEEZNS1_24adjacent_difference_implIS3_Lb0ELb0EPlS7_ZN2at6native12_GLOBAL__N_124unique_dim_cuda_templateIlEESt5tupleIJNS8_6TensorESD_SD_EERKSD_lbbbEUlllE1_EE10hipError_tPvRmT2_T3_mT4_P12ihipStream_tbEUlT_E_NS1_11comp_targetILNS1_3genE3ELNS1_11target_archE908ELNS1_3gpuE7ELNS1_3repE0EEENS1_30default_config_static_selectorELNS0_4arch9wavefront6targetE0EEEvT1_.numbered_sgpr, 0
	.set _ZN7rocprim17ROCPRIM_400000_NS6detail17trampoline_kernelINS0_14default_configENS1_35adjacent_difference_config_selectorILb0ElEEZNS1_24adjacent_difference_implIS3_Lb0ELb0EPlS7_ZN2at6native12_GLOBAL__N_124unique_dim_cuda_templateIlEESt5tupleIJNS8_6TensorESD_SD_EERKSD_lbbbEUlllE1_EE10hipError_tPvRmT2_T3_mT4_P12ihipStream_tbEUlT_E_NS1_11comp_targetILNS1_3genE3ELNS1_11target_archE908ELNS1_3gpuE7ELNS1_3repE0EEENS1_30default_config_static_selectorELNS0_4arch9wavefront6targetE0EEEvT1_.num_named_barrier, 0
	.set _ZN7rocprim17ROCPRIM_400000_NS6detail17trampoline_kernelINS0_14default_configENS1_35adjacent_difference_config_selectorILb0ElEEZNS1_24adjacent_difference_implIS3_Lb0ELb0EPlS7_ZN2at6native12_GLOBAL__N_124unique_dim_cuda_templateIlEESt5tupleIJNS8_6TensorESD_SD_EERKSD_lbbbEUlllE1_EE10hipError_tPvRmT2_T3_mT4_P12ihipStream_tbEUlT_E_NS1_11comp_targetILNS1_3genE3ELNS1_11target_archE908ELNS1_3gpuE7ELNS1_3repE0EEENS1_30default_config_static_selectorELNS0_4arch9wavefront6targetE0EEEvT1_.private_seg_size, 0
	.set _ZN7rocprim17ROCPRIM_400000_NS6detail17trampoline_kernelINS0_14default_configENS1_35adjacent_difference_config_selectorILb0ElEEZNS1_24adjacent_difference_implIS3_Lb0ELb0EPlS7_ZN2at6native12_GLOBAL__N_124unique_dim_cuda_templateIlEESt5tupleIJNS8_6TensorESD_SD_EERKSD_lbbbEUlllE1_EE10hipError_tPvRmT2_T3_mT4_P12ihipStream_tbEUlT_E_NS1_11comp_targetILNS1_3genE3ELNS1_11target_archE908ELNS1_3gpuE7ELNS1_3repE0EEENS1_30default_config_static_selectorELNS0_4arch9wavefront6targetE0EEEvT1_.uses_vcc, 0
	.set _ZN7rocprim17ROCPRIM_400000_NS6detail17trampoline_kernelINS0_14default_configENS1_35adjacent_difference_config_selectorILb0ElEEZNS1_24adjacent_difference_implIS3_Lb0ELb0EPlS7_ZN2at6native12_GLOBAL__N_124unique_dim_cuda_templateIlEESt5tupleIJNS8_6TensorESD_SD_EERKSD_lbbbEUlllE1_EE10hipError_tPvRmT2_T3_mT4_P12ihipStream_tbEUlT_E_NS1_11comp_targetILNS1_3genE3ELNS1_11target_archE908ELNS1_3gpuE7ELNS1_3repE0EEENS1_30default_config_static_selectorELNS0_4arch9wavefront6targetE0EEEvT1_.uses_flat_scratch, 0
	.set _ZN7rocprim17ROCPRIM_400000_NS6detail17trampoline_kernelINS0_14default_configENS1_35adjacent_difference_config_selectorILb0ElEEZNS1_24adjacent_difference_implIS3_Lb0ELb0EPlS7_ZN2at6native12_GLOBAL__N_124unique_dim_cuda_templateIlEESt5tupleIJNS8_6TensorESD_SD_EERKSD_lbbbEUlllE1_EE10hipError_tPvRmT2_T3_mT4_P12ihipStream_tbEUlT_E_NS1_11comp_targetILNS1_3genE3ELNS1_11target_archE908ELNS1_3gpuE7ELNS1_3repE0EEENS1_30default_config_static_selectorELNS0_4arch9wavefront6targetE0EEEvT1_.has_dyn_sized_stack, 0
	.set _ZN7rocprim17ROCPRIM_400000_NS6detail17trampoline_kernelINS0_14default_configENS1_35adjacent_difference_config_selectorILb0ElEEZNS1_24adjacent_difference_implIS3_Lb0ELb0EPlS7_ZN2at6native12_GLOBAL__N_124unique_dim_cuda_templateIlEESt5tupleIJNS8_6TensorESD_SD_EERKSD_lbbbEUlllE1_EE10hipError_tPvRmT2_T3_mT4_P12ihipStream_tbEUlT_E_NS1_11comp_targetILNS1_3genE3ELNS1_11target_archE908ELNS1_3gpuE7ELNS1_3repE0EEENS1_30default_config_static_selectorELNS0_4arch9wavefront6targetE0EEEvT1_.has_recursion, 0
	.set _ZN7rocprim17ROCPRIM_400000_NS6detail17trampoline_kernelINS0_14default_configENS1_35adjacent_difference_config_selectorILb0ElEEZNS1_24adjacent_difference_implIS3_Lb0ELb0EPlS7_ZN2at6native12_GLOBAL__N_124unique_dim_cuda_templateIlEESt5tupleIJNS8_6TensorESD_SD_EERKSD_lbbbEUlllE1_EE10hipError_tPvRmT2_T3_mT4_P12ihipStream_tbEUlT_E_NS1_11comp_targetILNS1_3genE3ELNS1_11target_archE908ELNS1_3gpuE7ELNS1_3repE0EEENS1_30default_config_static_selectorELNS0_4arch9wavefront6targetE0EEEvT1_.has_indirect_call, 0
	.section	.AMDGPU.csdata,"",@progbits
; Kernel info:
; codeLenInByte = 0
; TotalNumSgprs: 0
; NumVgprs: 0
; ScratchSize: 0
; MemoryBound: 0
; FloatMode: 240
; IeeeMode: 1
; LDSByteSize: 0 bytes/workgroup (compile time only)
; SGPRBlocks: 0
; VGPRBlocks: 0
; NumSGPRsForWavesPerEU: 1
; NumVGPRsForWavesPerEU: 1
; NamedBarCnt: 0
; Occupancy: 16
; WaveLimiterHint : 0
; COMPUTE_PGM_RSRC2:SCRATCH_EN: 0
; COMPUTE_PGM_RSRC2:USER_SGPR: 2
; COMPUTE_PGM_RSRC2:TRAP_HANDLER: 0
; COMPUTE_PGM_RSRC2:TGID_X_EN: 1
; COMPUTE_PGM_RSRC2:TGID_Y_EN: 0
; COMPUTE_PGM_RSRC2:TGID_Z_EN: 0
; COMPUTE_PGM_RSRC2:TIDIG_COMP_CNT: 0
	.section	.text._ZN7rocprim17ROCPRIM_400000_NS6detail17trampoline_kernelINS0_14default_configENS1_35adjacent_difference_config_selectorILb0ElEEZNS1_24adjacent_difference_implIS3_Lb0ELb0EPlS7_ZN2at6native12_GLOBAL__N_124unique_dim_cuda_templateIlEESt5tupleIJNS8_6TensorESD_SD_EERKSD_lbbbEUlllE1_EE10hipError_tPvRmT2_T3_mT4_P12ihipStream_tbEUlT_E_NS1_11comp_targetILNS1_3genE2ELNS1_11target_archE906ELNS1_3gpuE6ELNS1_3repE0EEENS1_30default_config_static_selectorELNS0_4arch9wavefront6targetE0EEEvT1_,"axG",@progbits,_ZN7rocprim17ROCPRIM_400000_NS6detail17trampoline_kernelINS0_14default_configENS1_35adjacent_difference_config_selectorILb0ElEEZNS1_24adjacent_difference_implIS3_Lb0ELb0EPlS7_ZN2at6native12_GLOBAL__N_124unique_dim_cuda_templateIlEESt5tupleIJNS8_6TensorESD_SD_EERKSD_lbbbEUlllE1_EE10hipError_tPvRmT2_T3_mT4_P12ihipStream_tbEUlT_E_NS1_11comp_targetILNS1_3genE2ELNS1_11target_archE906ELNS1_3gpuE6ELNS1_3repE0EEENS1_30default_config_static_selectorELNS0_4arch9wavefront6targetE0EEEvT1_,comdat
	.globl	_ZN7rocprim17ROCPRIM_400000_NS6detail17trampoline_kernelINS0_14default_configENS1_35adjacent_difference_config_selectorILb0ElEEZNS1_24adjacent_difference_implIS3_Lb0ELb0EPlS7_ZN2at6native12_GLOBAL__N_124unique_dim_cuda_templateIlEESt5tupleIJNS8_6TensorESD_SD_EERKSD_lbbbEUlllE1_EE10hipError_tPvRmT2_T3_mT4_P12ihipStream_tbEUlT_E_NS1_11comp_targetILNS1_3genE2ELNS1_11target_archE906ELNS1_3gpuE6ELNS1_3repE0EEENS1_30default_config_static_selectorELNS0_4arch9wavefront6targetE0EEEvT1_ ; -- Begin function _ZN7rocprim17ROCPRIM_400000_NS6detail17trampoline_kernelINS0_14default_configENS1_35adjacent_difference_config_selectorILb0ElEEZNS1_24adjacent_difference_implIS3_Lb0ELb0EPlS7_ZN2at6native12_GLOBAL__N_124unique_dim_cuda_templateIlEESt5tupleIJNS8_6TensorESD_SD_EERKSD_lbbbEUlllE1_EE10hipError_tPvRmT2_T3_mT4_P12ihipStream_tbEUlT_E_NS1_11comp_targetILNS1_3genE2ELNS1_11target_archE906ELNS1_3gpuE6ELNS1_3repE0EEENS1_30default_config_static_selectorELNS0_4arch9wavefront6targetE0EEEvT1_
	.p2align	8
	.type	_ZN7rocprim17ROCPRIM_400000_NS6detail17trampoline_kernelINS0_14default_configENS1_35adjacent_difference_config_selectorILb0ElEEZNS1_24adjacent_difference_implIS3_Lb0ELb0EPlS7_ZN2at6native12_GLOBAL__N_124unique_dim_cuda_templateIlEESt5tupleIJNS8_6TensorESD_SD_EERKSD_lbbbEUlllE1_EE10hipError_tPvRmT2_T3_mT4_P12ihipStream_tbEUlT_E_NS1_11comp_targetILNS1_3genE2ELNS1_11target_archE906ELNS1_3gpuE6ELNS1_3repE0EEENS1_30default_config_static_selectorELNS0_4arch9wavefront6targetE0EEEvT1_,@function
_ZN7rocprim17ROCPRIM_400000_NS6detail17trampoline_kernelINS0_14default_configENS1_35adjacent_difference_config_selectorILb0ElEEZNS1_24adjacent_difference_implIS3_Lb0ELb0EPlS7_ZN2at6native12_GLOBAL__N_124unique_dim_cuda_templateIlEESt5tupleIJNS8_6TensorESD_SD_EERKSD_lbbbEUlllE1_EE10hipError_tPvRmT2_T3_mT4_P12ihipStream_tbEUlT_E_NS1_11comp_targetILNS1_3genE2ELNS1_11target_archE906ELNS1_3gpuE6ELNS1_3repE0EEENS1_30default_config_static_selectorELNS0_4arch9wavefront6targetE0EEEvT1_: ; @_ZN7rocprim17ROCPRIM_400000_NS6detail17trampoline_kernelINS0_14default_configENS1_35adjacent_difference_config_selectorILb0ElEEZNS1_24adjacent_difference_implIS3_Lb0ELb0EPlS7_ZN2at6native12_GLOBAL__N_124unique_dim_cuda_templateIlEESt5tupleIJNS8_6TensorESD_SD_EERKSD_lbbbEUlllE1_EE10hipError_tPvRmT2_T3_mT4_P12ihipStream_tbEUlT_E_NS1_11comp_targetILNS1_3genE2ELNS1_11target_archE906ELNS1_3gpuE6ELNS1_3repE0EEENS1_30default_config_static_selectorELNS0_4arch9wavefront6targetE0EEEvT1_
; %bb.0:
	.section	.rodata,"a",@progbits
	.p2align	6, 0x0
	.amdhsa_kernel _ZN7rocprim17ROCPRIM_400000_NS6detail17trampoline_kernelINS0_14default_configENS1_35adjacent_difference_config_selectorILb0ElEEZNS1_24adjacent_difference_implIS3_Lb0ELb0EPlS7_ZN2at6native12_GLOBAL__N_124unique_dim_cuda_templateIlEESt5tupleIJNS8_6TensorESD_SD_EERKSD_lbbbEUlllE1_EE10hipError_tPvRmT2_T3_mT4_P12ihipStream_tbEUlT_E_NS1_11comp_targetILNS1_3genE2ELNS1_11target_archE906ELNS1_3gpuE6ELNS1_3repE0EEENS1_30default_config_static_selectorELNS0_4arch9wavefront6targetE0EEEvT1_
		.amdhsa_group_segment_fixed_size 0
		.amdhsa_private_segment_fixed_size 0
		.amdhsa_kernarg_size 64
		.amdhsa_user_sgpr_count 2
		.amdhsa_user_sgpr_dispatch_ptr 0
		.amdhsa_user_sgpr_queue_ptr 0
		.amdhsa_user_sgpr_kernarg_segment_ptr 1
		.amdhsa_user_sgpr_dispatch_id 0
		.amdhsa_user_sgpr_kernarg_preload_length 0
		.amdhsa_user_sgpr_kernarg_preload_offset 0
		.amdhsa_user_sgpr_private_segment_size 0
		.amdhsa_wavefront_size32 1
		.amdhsa_uses_dynamic_stack 0
		.amdhsa_enable_private_segment 0
		.amdhsa_system_sgpr_workgroup_id_x 1
		.amdhsa_system_sgpr_workgroup_id_y 0
		.amdhsa_system_sgpr_workgroup_id_z 0
		.amdhsa_system_sgpr_workgroup_info 0
		.amdhsa_system_vgpr_workitem_id 0
		.amdhsa_next_free_vgpr 1
		.amdhsa_next_free_sgpr 1
		.amdhsa_named_barrier_count 0
		.amdhsa_reserve_vcc 0
		.amdhsa_float_round_mode_32 0
		.amdhsa_float_round_mode_16_64 0
		.amdhsa_float_denorm_mode_32 3
		.amdhsa_float_denorm_mode_16_64 3
		.amdhsa_fp16_overflow 0
		.amdhsa_memory_ordered 1
		.amdhsa_forward_progress 1
		.amdhsa_inst_pref_size 0
		.amdhsa_round_robin_scheduling 0
		.amdhsa_exception_fp_ieee_invalid_op 0
		.amdhsa_exception_fp_denorm_src 0
		.amdhsa_exception_fp_ieee_div_zero 0
		.amdhsa_exception_fp_ieee_overflow 0
		.amdhsa_exception_fp_ieee_underflow 0
		.amdhsa_exception_fp_ieee_inexact 0
		.amdhsa_exception_int_div_zero 0
	.end_amdhsa_kernel
	.section	.text._ZN7rocprim17ROCPRIM_400000_NS6detail17trampoline_kernelINS0_14default_configENS1_35adjacent_difference_config_selectorILb0ElEEZNS1_24adjacent_difference_implIS3_Lb0ELb0EPlS7_ZN2at6native12_GLOBAL__N_124unique_dim_cuda_templateIlEESt5tupleIJNS8_6TensorESD_SD_EERKSD_lbbbEUlllE1_EE10hipError_tPvRmT2_T3_mT4_P12ihipStream_tbEUlT_E_NS1_11comp_targetILNS1_3genE2ELNS1_11target_archE906ELNS1_3gpuE6ELNS1_3repE0EEENS1_30default_config_static_selectorELNS0_4arch9wavefront6targetE0EEEvT1_,"axG",@progbits,_ZN7rocprim17ROCPRIM_400000_NS6detail17trampoline_kernelINS0_14default_configENS1_35adjacent_difference_config_selectorILb0ElEEZNS1_24adjacent_difference_implIS3_Lb0ELb0EPlS7_ZN2at6native12_GLOBAL__N_124unique_dim_cuda_templateIlEESt5tupleIJNS8_6TensorESD_SD_EERKSD_lbbbEUlllE1_EE10hipError_tPvRmT2_T3_mT4_P12ihipStream_tbEUlT_E_NS1_11comp_targetILNS1_3genE2ELNS1_11target_archE906ELNS1_3gpuE6ELNS1_3repE0EEENS1_30default_config_static_selectorELNS0_4arch9wavefront6targetE0EEEvT1_,comdat
.Lfunc_end543:
	.size	_ZN7rocprim17ROCPRIM_400000_NS6detail17trampoline_kernelINS0_14default_configENS1_35adjacent_difference_config_selectorILb0ElEEZNS1_24adjacent_difference_implIS3_Lb0ELb0EPlS7_ZN2at6native12_GLOBAL__N_124unique_dim_cuda_templateIlEESt5tupleIJNS8_6TensorESD_SD_EERKSD_lbbbEUlllE1_EE10hipError_tPvRmT2_T3_mT4_P12ihipStream_tbEUlT_E_NS1_11comp_targetILNS1_3genE2ELNS1_11target_archE906ELNS1_3gpuE6ELNS1_3repE0EEENS1_30default_config_static_selectorELNS0_4arch9wavefront6targetE0EEEvT1_, .Lfunc_end543-_ZN7rocprim17ROCPRIM_400000_NS6detail17trampoline_kernelINS0_14default_configENS1_35adjacent_difference_config_selectorILb0ElEEZNS1_24adjacent_difference_implIS3_Lb0ELb0EPlS7_ZN2at6native12_GLOBAL__N_124unique_dim_cuda_templateIlEESt5tupleIJNS8_6TensorESD_SD_EERKSD_lbbbEUlllE1_EE10hipError_tPvRmT2_T3_mT4_P12ihipStream_tbEUlT_E_NS1_11comp_targetILNS1_3genE2ELNS1_11target_archE906ELNS1_3gpuE6ELNS1_3repE0EEENS1_30default_config_static_selectorELNS0_4arch9wavefront6targetE0EEEvT1_
                                        ; -- End function
	.set _ZN7rocprim17ROCPRIM_400000_NS6detail17trampoline_kernelINS0_14default_configENS1_35adjacent_difference_config_selectorILb0ElEEZNS1_24adjacent_difference_implIS3_Lb0ELb0EPlS7_ZN2at6native12_GLOBAL__N_124unique_dim_cuda_templateIlEESt5tupleIJNS8_6TensorESD_SD_EERKSD_lbbbEUlllE1_EE10hipError_tPvRmT2_T3_mT4_P12ihipStream_tbEUlT_E_NS1_11comp_targetILNS1_3genE2ELNS1_11target_archE906ELNS1_3gpuE6ELNS1_3repE0EEENS1_30default_config_static_selectorELNS0_4arch9wavefront6targetE0EEEvT1_.num_vgpr, 0
	.set _ZN7rocprim17ROCPRIM_400000_NS6detail17trampoline_kernelINS0_14default_configENS1_35adjacent_difference_config_selectorILb0ElEEZNS1_24adjacent_difference_implIS3_Lb0ELb0EPlS7_ZN2at6native12_GLOBAL__N_124unique_dim_cuda_templateIlEESt5tupleIJNS8_6TensorESD_SD_EERKSD_lbbbEUlllE1_EE10hipError_tPvRmT2_T3_mT4_P12ihipStream_tbEUlT_E_NS1_11comp_targetILNS1_3genE2ELNS1_11target_archE906ELNS1_3gpuE6ELNS1_3repE0EEENS1_30default_config_static_selectorELNS0_4arch9wavefront6targetE0EEEvT1_.num_agpr, 0
	.set _ZN7rocprim17ROCPRIM_400000_NS6detail17trampoline_kernelINS0_14default_configENS1_35adjacent_difference_config_selectorILb0ElEEZNS1_24adjacent_difference_implIS3_Lb0ELb0EPlS7_ZN2at6native12_GLOBAL__N_124unique_dim_cuda_templateIlEESt5tupleIJNS8_6TensorESD_SD_EERKSD_lbbbEUlllE1_EE10hipError_tPvRmT2_T3_mT4_P12ihipStream_tbEUlT_E_NS1_11comp_targetILNS1_3genE2ELNS1_11target_archE906ELNS1_3gpuE6ELNS1_3repE0EEENS1_30default_config_static_selectorELNS0_4arch9wavefront6targetE0EEEvT1_.numbered_sgpr, 0
	.set _ZN7rocprim17ROCPRIM_400000_NS6detail17trampoline_kernelINS0_14default_configENS1_35adjacent_difference_config_selectorILb0ElEEZNS1_24adjacent_difference_implIS3_Lb0ELb0EPlS7_ZN2at6native12_GLOBAL__N_124unique_dim_cuda_templateIlEESt5tupleIJNS8_6TensorESD_SD_EERKSD_lbbbEUlllE1_EE10hipError_tPvRmT2_T3_mT4_P12ihipStream_tbEUlT_E_NS1_11comp_targetILNS1_3genE2ELNS1_11target_archE906ELNS1_3gpuE6ELNS1_3repE0EEENS1_30default_config_static_selectorELNS0_4arch9wavefront6targetE0EEEvT1_.num_named_barrier, 0
	.set _ZN7rocprim17ROCPRIM_400000_NS6detail17trampoline_kernelINS0_14default_configENS1_35adjacent_difference_config_selectorILb0ElEEZNS1_24adjacent_difference_implIS3_Lb0ELb0EPlS7_ZN2at6native12_GLOBAL__N_124unique_dim_cuda_templateIlEESt5tupleIJNS8_6TensorESD_SD_EERKSD_lbbbEUlllE1_EE10hipError_tPvRmT2_T3_mT4_P12ihipStream_tbEUlT_E_NS1_11comp_targetILNS1_3genE2ELNS1_11target_archE906ELNS1_3gpuE6ELNS1_3repE0EEENS1_30default_config_static_selectorELNS0_4arch9wavefront6targetE0EEEvT1_.private_seg_size, 0
	.set _ZN7rocprim17ROCPRIM_400000_NS6detail17trampoline_kernelINS0_14default_configENS1_35adjacent_difference_config_selectorILb0ElEEZNS1_24adjacent_difference_implIS3_Lb0ELb0EPlS7_ZN2at6native12_GLOBAL__N_124unique_dim_cuda_templateIlEESt5tupleIJNS8_6TensorESD_SD_EERKSD_lbbbEUlllE1_EE10hipError_tPvRmT2_T3_mT4_P12ihipStream_tbEUlT_E_NS1_11comp_targetILNS1_3genE2ELNS1_11target_archE906ELNS1_3gpuE6ELNS1_3repE0EEENS1_30default_config_static_selectorELNS0_4arch9wavefront6targetE0EEEvT1_.uses_vcc, 0
	.set _ZN7rocprim17ROCPRIM_400000_NS6detail17trampoline_kernelINS0_14default_configENS1_35adjacent_difference_config_selectorILb0ElEEZNS1_24adjacent_difference_implIS3_Lb0ELb0EPlS7_ZN2at6native12_GLOBAL__N_124unique_dim_cuda_templateIlEESt5tupleIJNS8_6TensorESD_SD_EERKSD_lbbbEUlllE1_EE10hipError_tPvRmT2_T3_mT4_P12ihipStream_tbEUlT_E_NS1_11comp_targetILNS1_3genE2ELNS1_11target_archE906ELNS1_3gpuE6ELNS1_3repE0EEENS1_30default_config_static_selectorELNS0_4arch9wavefront6targetE0EEEvT1_.uses_flat_scratch, 0
	.set _ZN7rocprim17ROCPRIM_400000_NS6detail17trampoline_kernelINS0_14default_configENS1_35adjacent_difference_config_selectorILb0ElEEZNS1_24adjacent_difference_implIS3_Lb0ELb0EPlS7_ZN2at6native12_GLOBAL__N_124unique_dim_cuda_templateIlEESt5tupleIJNS8_6TensorESD_SD_EERKSD_lbbbEUlllE1_EE10hipError_tPvRmT2_T3_mT4_P12ihipStream_tbEUlT_E_NS1_11comp_targetILNS1_3genE2ELNS1_11target_archE906ELNS1_3gpuE6ELNS1_3repE0EEENS1_30default_config_static_selectorELNS0_4arch9wavefront6targetE0EEEvT1_.has_dyn_sized_stack, 0
	.set _ZN7rocprim17ROCPRIM_400000_NS6detail17trampoline_kernelINS0_14default_configENS1_35adjacent_difference_config_selectorILb0ElEEZNS1_24adjacent_difference_implIS3_Lb0ELb0EPlS7_ZN2at6native12_GLOBAL__N_124unique_dim_cuda_templateIlEESt5tupleIJNS8_6TensorESD_SD_EERKSD_lbbbEUlllE1_EE10hipError_tPvRmT2_T3_mT4_P12ihipStream_tbEUlT_E_NS1_11comp_targetILNS1_3genE2ELNS1_11target_archE906ELNS1_3gpuE6ELNS1_3repE0EEENS1_30default_config_static_selectorELNS0_4arch9wavefront6targetE0EEEvT1_.has_recursion, 0
	.set _ZN7rocprim17ROCPRIM_400000_NS6detail17trampoline_kernelINS0_14default_configENS1_35adjacent_difference_config_selectorILb0ElEEZNS1_24adjacent_difference_implIS3_Lb0ELb0EPlS7_ZN2at6native12_GLOBAL__N_124unique_dim_cuda_templateIlEESt5tupleIJNS8_6TensorESD_SD_EERKSD_lbbbEUlllE1_EE10hipError_tPvRmT2_T3_mT4_P12ihipStream_tbEUlT_E_NS1_11comp_targetILNS1_3genE2ELNS1_11target_archE906ELNS1_3gpuE6ELNS1_3repE0EEENS1_30default_config_static_selectorELNS0_4arch9wavefront6targetE0EEEvT1_.has_indirect_call, 0
	.section	.AMDGPU.csdata,"",@progbits
; Kernel info:
; codeLenInByte = 0
; TotalNumSgprs: 0
; NumVgprs: 0
; ScratchSize: 0
; MemoryBound: 0
; FloatMode: 240
; IeeeMode: 1
; LDSByteSize: 0 bytes/workgroup (compile time only)
; SGPRBlocks: 0
; VGPRBlocks: 0
; NumSGPRsForWavesPerEU: 1
; NumVGPRsForWavesPerEU: 1
; NamedBarCnt: 0
; Occupancy: 16
; WaveLimiterHint : 0
; COMPUTE_PGM_RSRC2:SCRATCH_EN: 0
; COMPUTE_PGM_RSRC2:USER_SGPR: 2
; COMPUTE_PGM_RSRC2:TRAP_HANDLER: 0
; COMPUTE_PGM_RSRC2:TGID_X_EN: 1
; COMPUTE_PGM_RSRC2:TGID_Y_EN: 0
; COMPUTE_PGM_RSRC2:TGID_Z_EN: 0
; COMPUTE_PGM_RSRC2:TIDIG_COMP_CNT: 0
	.section	.text._ZN7rocprim17ROCPRIM_400000_NS6detail17trampoline_kernelINS0_14default_configENS1_35adjacent_difference_config_selectorILb0ElEEZNS1_24adjacent_difference_implIS3_Lb0ELb0EPlS7_ZN2at6native12_GLOBAL__N_124unique_dim_cuda_templateIlEESt5tupleIJNS8_6TensorESD_SD_EERKSD_lbbbEUlllE1_EE10hipError_tPvRmT2_T3_mT4_P12ihipStream_tbEUlT_E_NS1_11comp_targetILNS1_3genE9ELNS1_11target_archE1100ELNS1_3gpuE3ELNS1_3repE0EEENS1_30default_config_static_selectorELNS0_4arch9wavefront6targetE0EEEvT1_,"axG",@progbits,_ZN7rocprim17ROCPRIM_400000_NS6detail17trampoline_kernelINS0_14default_configENS1_35adjacent_difference_config_selectorILb0ElEEZNS1_24adjacent_difference_implIS3_Lb0ELb0EPlS7_ZN2at6native12_GLOBAL__N_124unique_dim_cuda_templateIlEESt5tupleIJNS8_6TensorESD_SD_EERKSD_lbbbEUlllE1_EE10hipError_tPvRmT2_T3_mT4_P12ihipStream_tbEUlT_E_NS1_11comp_targetILNS1_3genE9ELNS1_11target_archE1100ELNS1_3gpuE3ELNS1_3repE0EEENS1_30default_config_static_selectorELNS0_4arch9wavefront6targetE0EEEvT1_,comdat
	.globl	_ZN7rocprim17ROCPRIM_400000_NS6detail17trampoline_kernelINS0_14default_configENS1_35adjacent_difference_config_selectorILb0ElEEZNS1_24adjacent_difference_implIS3_Lb0ELb0EPlS7_ZN2at6native12_GLOBAL__N_124unique_dim_cuda_templateIlEESt5tupleIJNS8_6TensorESD_SD_EERKSD_lbbbEUlllE1_EE10hipError_tPvRmT2_T3_mT4_P12ihipStream_tbEUlT_E_NS1_11comp_targetILNS1_3genE9ELNS1_11target_archE1100ELNS1_3gpuE3ELNS1_3repE0EEENS1_30default_config_static_selectorELNS0_4arch9wavefront6targetE0EEEvT1_ ; -- Begin function _ZN7rocprim17ROCPRIM_400000_NS6detail17trampoline_kernelINS0_14default_configENS1_35adjacent_difference_config_selectorILb0ElEEZNS1_24adjacent_difference_implIS3_Lb0ELb0EPlS7_ZN2at6native12_GLOBAL__N_124unique_dim_cuda_templateIlEESt5tupleIJNS8_6TensorESD_SD_EERKSD_lbbbEUlllE1_EE10hipError_tPvRmT2_T3_mT4_P12ihipStream_tbEUlT_E_NS1_11comp_targetILNS1_3genE9ELNS1_11target_archE1100ELNS1_3gpuE3ELNS1_3repE0EEENS1_30default_config_static_selectorELNS0_4arch9wavefront6targetE0EEEvT1_
	.p2align	8
	.type	_ZN7rocprim17ROCPRIM_400000_NS6detail17trampoline_kernelINS0_14default_configENS1_35adjacent_difference_config_selectorILb0ElEEZNS1_24adjacent_difference_implIS3_Lb0ELb0EPlS7_ZN2at6native12_GLOBAL__N_124unique_dim_cuda_templateIlEESt5tupleIJNS8_6TensorESD_SD_EERKSD_lbbbEUlllE1_EE10hipError_tPvRmT2_T3_mT4_P12ihipStream_tbEUlT_E_NS1_11comp_targetILNS1_3genE9ELNS1_11target_archE1100ELNS1_3gpuE3ELNS1_3repE0EEENS1_30default_config_static_selectorELNS0_4arch9wavefront6targetE0EEEvT1_,@function
_ZN7rocprim17ROCPRIM_400000_NS6detail17trampoline_kernelINS0_14default_configENS1_35adjacent_difference_config_selectorILb0ElEEZNS1_24adjacent_difference_implIS3_Lb0ELb0EPlS7_ZN2at6native12_GLOBAL__N_124unique_dim_cuda_templateIlEESt5tupleIJNS8_6TensorESD_SD_EERKSD_lbbbEUlllE1_EE10hipError_tPvRmT2_T3_mT4_P12ihipStream_tbEUlT_E_NS1_11comp_targetILNS1_3genE9ELNS1_11target_archE1100ELNS1_3gpuE3ELNS1_3repE0EEENS1_30default_config_static_selectorELNS0_4arch9wavefront6targetE0EEEvT1_: ; @_ZN7rocprim17ROCPRIM_400000_NS6detail17trampoline_kernelINS0_14default_configENS1_35adjacent_difference_config_selectorILb0ElEEZNS1_24adjacent_difference_implIS3_Lb0ELb0EPlS7_ZN2at6native12_GLOBAL__N_124unique_dim_cuda_templateIlEESt5tupleIJNS8_6TensorESD_SD_EERKSD_lbbbEUlllE1_EE10hipError_tPvRmT2_T3_mT4_P12ihipStream_tbEUlT_E_NS1_11comp_targetILNS1_3genE9ELNS1_11target_archE1100ELNS1_3gpuE3ELNS1_3repE0EEENS1_30default_config_static_selectorELNS0_4arch9wavefront6targetE0EEEvT1_
; %bb.0:
	.section	.rodata,"a",@progbits
	.p2align	6, 0x0
	.amdhsa_kernel _ZN7rocprim17ROCPRIM_400000_NS6detail17trampoline_kernelINS0_14default_configENS1_35adjacent_difference_config_selectorILb0ElEEZNS1_24adjacent_difference_implIS3_Lb0ELb0EPlS7_ZN2at6native12_GLOBAL__N_124unique_dim_cuda_templateIlEESt5tupleIJNS8_6TensorESD_SD_EERKSD_lbbbEUlllE1_EE10hipError_tPvRmT2_T3_mT4_P12ihipStream_tbEUlT_E_NS1_11comp_targetILNS1_3genE9ELNS1_11target_archE1100ELNS1_3gpuE3ELNS1_3repE0EEENS1_30default_config_static_selectorELNS0_4arch9wavefront6targetE0EEEvT1_
		.amdhsa_group_segment_fixed_size 0
		.amdhsa_private_segment_fixed_size 0
		.amdhsa_kernarg_size 64
		.amdhsa_user_sgpr_count 2
		.amdhsa_user_sgpr_dispatch_ptr 0
		.amdhsa_user_sgpr_queue_ptr 0
		.amdhsa_user_sgpr_kernarg_segment_ptr 1
		.amdhsa_user_sgpr_dispatch_id 0
		.amdhsa_user_sgpr_kernarg_preload_length 0
		.amdhsa_user_sgpr_kernarg_preload_offset 0
		.amdhsa_user_sgpr_private_segment_size 0
		.amdhsa_wavefront_size32 1
		.amdhsa_uses_dynamic_stack 0
		.amdhsa_enable_private_segment 0
		.amdhsa_system_sgpr_workgroup_id_x 1
		.amdhsa_system_sgpr_workgroup_id_y 0
		.amdhsa_system_sgpr_workgroup_id_z 0
		.amdhsa_system_sgpr_workgroup_info 0
		.amdhsa_system_vgpr_workitem_id 0
		.amdhsa_next_free_vgpr 1
		.amdhsa_next_free_sgpr 1
		.amdhsa_named_barrier_count 0
		.amdhsa_reserve_vcc 0
		.amdhsa_float_round_mode_32 0
		.amdhsa_float_round_mode_16_64 0
		.amdhsa_float_denorm_mode_32 3
		.amdhsa_float_denorm_mode_16_64 3
		.amdhsa_fp16_overflow 0
		.amdhsa_memory_ordered 1
		.amdhsa_forward_progress 1
		.amdhsa_inst_pref_size 0
		.amdhsa_round_robin_scheduling 0
		.amdhsa_exception_fp_ieee_invalid_op 0
		.amdhsa_exception_fp_denorm_src 0
		.amdhsa_exception_fp_ieee_div_zero 0
		.amdhsa_exception_fp_ieee_overflow 0
		.amdhsa_exception_fp_ieee_underflow 0
		.amdhsa_exception_fp_ieee_inexact 0
		.amdhsa_exception_int_div_zero 0
	.end_amdhsa_kernel
	.section	.text._ZN7rocprim17ROCPRIM_400000_NS6detail17trampoline_kernelINS0_14default_configENS1_35adjacent_difference_config_selectorILb0ElEEZNS1_24adjacent_difference_implIS3_Lb0ELb0EPlS7_ZN2at6native12_GLOBAL__N_124unique_dim_cuda_templateIlEESt5tupleIJNS8_6TensorESD_SD_EERKSD_lbbbEUlllE1_EE10hipError_tPvRmT2_T3_mT4_P12ihipStream_tbEUlT_E_NS1_11comp_targetILNS1_3genE9ELNS1_11target_archE1100ELNS1_3gpuE3ELNS1_3repE0EEENS1_30default_config_static_selectorELNS0_4arch9wavefront6targetE0EEEvT1_,"axG",@progbits,_ZN7rocprim17ROCPRIM_400000_NS6detail17trampoline_kernelINS0_14default_configENS1_35adjacent_difference_config_selectorILb0ElEEZNS1_24adjacent_difference_implIS3_Lb0ELb0EPlS7_ZN2at6native12_GLOBAL__N_124unique_dim_cuda_templateIlEESt5tupleIJNS8_6TensorESD_SD_EERKSD_lbbbEUlllE1_EE10hipError_tPvRmT2_T3_mT4_P12ihipStream_tbEUlT_E_NS1_11comp_targetILNS1_3genE9ELNS1_11target_archE1100ELNS1_3gpuE3ELNS1_3repE0EEENS1_30default_config_static_selectorELNS0_4arch9wavefront6targetE0EEEvT1_,comdat
.Lfunc_end544:
	.size	_ZN7rocprim17ROCPRIM_400000_NS6detail17trampoline_kernelINS0_14default_configENS1_35adjacent_difference_config_selectorILb0ElEEZNS1_24adjacent_difference_implIS3_Lb0ELb0EPlS7_ZN2at6native12_GLOBAL__N_124unique_dim_cuda_templateIlEESt5tupleIJNS8_6TensorESD_SD_EERKSD_lbbbEUlllE1_EE10hipError_tPvRmT2_T3_mT4_P12ihipStream_tbEUlT_E_NS1_11comp_targetILNS1_3genE9ELNS1_11target_archE1100ELNS1_3gpuE3ELNS1_3repE0EEENS1_30default_config_static_selectorELNS0_4arch9wavefront6targetE0EEEvT1_, .Lfunc_end544-_ZN7rocprim17ROCPRIM_400000_NS6detail17trampoline_kernelINS0_14default_configENS1_35adjacent_difference_config_selectorILb0ElEEZNS1_24adjacent_difference_implIS3_Lb0ELb0EPlS7_ZN2at6native12_GLOBAL__N_124unique_dim_cuda_templateIlEESt5tupleIJNS8_6TensorESD_SD_EERKSD_lbbbEUlllE1_EE10hipError_tPvRmT2_T3_mT4_P12ihipStream_tbEUlT_E_NS1_11comp_targetILNS1_3genE9ELNS1_11target_archE1100ELNS1_3gpuE3ELNS1_3repE0EEENS1_30default_config_static_selectorELNS0_4arch9wavefront6targetE0EEEvT1_
                                        ; -- End function
	.set _ZN7rocprim17ROCPRIM_400000_NS6detail17trampoline_kernelINS0_14default_configENS1_35adjacent_difference_config_selectorILb0ElEEZNS1_24adjacent_difference_implIS3_Lb0ELb0EPlS7_ZN2at6native12_GLOBAL__N_124unique_dim_cuda_templateIlEESt5tupleIJNS8_6TensorESD_SD_EERKSD_lbbbEUlllE1_EE10hipError_tPvRmT2_T3_mT4_P12ihipStream_tbEUlT_E_NS1_11comp_targetILNS1_3genE9ELNS1_11target_archE1100ELNS1_3gpuE3ELNS1_3repE0EEENS1_30default_config_static_selectorELNS0_4arch9wavefront6targetE0EEEvT1_.num_vgpr, 0
	.set _ZN7rocprim17ROCPRIM_400000_NS6detail17trampoline_kernelINS0_14default_configENS1_35adjacent_difference_config_selectorILb0ElEEZNS1_24adjacent_difference_implIS3_Lb0ELb0EPlS7_ZN2at6native12_GLOBAL__N_124unique_dim_cuda_templateIlEESt5tupleIJNS8_6TensorESD_SD_EERKSD_lbbbEUlllE1_EE10hipError_tPvRmT2_T3_mT4_P12ihipStream_tbEUlT_E_NS1_11comp_targetILNS1_3genE9ELNS1_11target_archE1100ELNS1_3gpuE3ELNS1_3repE0EEENS1_30default_config_static_selectorELNS0_4arch9wavefront6targetE0EEEvT1_.num_agpr, 0
	.set _ZN7rocprim17ROCPRIM_400000_NS6detail17trampoline_kernelINS0_14default_configENS1_35adjacent_difference_config_selectorILb0ElEEZNS1_24adjacent_difference_implIS3_Lb0ELb0EPlS7_ZN2at6native12_GLOBAL__N_124unique_dim_cuda_templateIlEESt5tupleIJNS8_6TensorESD_SD_EERKSD_lbbbEUlllE1_EE10hipError_tPvRmT2_T3_mT4_P12ihipStream_tbEUlT_E_NS1_11comp_targetILNS1_3genE9ELNS1_11target_archE1100ELNS1_3gpuE3ELNS1_3repE0EEENS1_30default_config_static_selectorELNS0_4arch9wavefront6targetE0EEEvT1_.numbered_sgpr, 0
	.set _ZN7rocprim17ROCPRIM_400000_NS6detail17trampoline_kernelINS0_14default_configENS1_35adjacent_difference_config_selectorILb0ElEEZNS1_24adjacent_difference_implIS3_Lb0ELb0EPlS7_ZN2at6native12_GLOBAL__N_124unique_dim_cuda_templateIlEESt5tupleIJNS8_6TensorESD_SD_EERKSD_lbbbEUlllE1_EE10hipError_tPvRmT2_T3_mT4_P12ihipStream_tbEUlT_E_NS1_11comp_targetILNS1_3genE9ELNS1_11target_archE1100ELNS1_3gpuE3ELNS1_3repE0EEENS1_30default_config_static_selectorELNS0_4arch9wavefront6targetE0EEEvT1_.num_named_barrier, 0
	.set _ZN7rocprim17ROCPRIM_400000_NS6detail17trampoline_kernelINS0_14default_configENS1_35adjacent_difference_config_selectorILb0ElEEZNS1_24adjacent_difference_implIS3_Lb0ELb0EPlS7_ZN2at6native12_GLOBAL__N_124unique_dim_cuda_templateIlEESt5tupleIJNS8_6TensorESD_SD_EERKSD_lbbbEUlllE1_EE10hipError_tPvRmT2_T3_mT4_P12ihipStream_tbEUlT_E_NS1_11comp_targetILNS1_3genE9ELNS1_11target_archE1100ELNS1_3gpuE3ELNS1_3repE0EEENS1_30default_config_static_selectorELNS0_4arch9wavefront6targetE0EEEvT1_.private_seg_size, 0
	.set _ZN7rocprim17ROCPRIM_400000_NS6detail17trampoline_kernelINS0_14default_configENS1_35adjacent_difference_config_selectorILb0ElEEZNS1_24adjacent_difference_implIS3_Lb0ELb0EPlS7_ZN2at6native12_GLOBAL__N_124unique_dim_cuda_templateIlEESt5tupleIJNS8_6TensorESD_SD_EERKSD_lbbbEUlllE1_EE10hipError_tPvRmT2_T3_mT4_P12ihipStream_tbEUlT_E_NS1_11comp_targetILNS1_3genE9ELNS1_11target_archE1100ELNS1_3gpuE3ELNS1_3repE0EEENS1_30default_config_static_selectorELNS0_4arch9wavefront6targetE0EEEvT1_.uses_vcc, 0
	.set _ZN7rocprim17ROCPRIM_400000_NS6detail17trampoline_kernelINS0_14default_configENS1_35adjacent_difference_config_selectorILb0ElEEZNS1_24adjacent_difference_implIS3_Lb0ELb0EPlS7_ZN2at6native12_GLOBAL__N_124unique_dim_cuda_templateIlEESt5tupleIJNS8_6TensorESD_SD_EERKSD_lbbbEUlllE1_EE10hipError_tPvRmT2_T3_mT4_P12ihipStream_tbEUlT_E_NS1_11comp_targetILNS1_3genE9ELNS1_11target_archE1100ELNS1_3gpuE3ELNS1_3repE0EEENS1_30default_config_static_selectorELNS0_4arch9wavefront6targetE0EEEvT1_.uses_flat_scratch, 0
	.set _ZN7rocprim17ROCPRIM_400000_NS6detail17trampoline_kernelINS0_14default_configENS1_35adjacent_difference_config_selectorILb0ElEEZNS1_24adjacent_difference_implIS3_Lb0ELb0EPlS7_ZN2at6native12_GLOBAL__N_124unique_dim_cuda_templateIlEESt5tupleIJNS8_6TensorESD_SD_EERKSD_lbbbEUlllE1_EE10hipError_tPvRmT2_T3_mT4_P12ihipStream_tbEUlT_E_NS1_11comp_targetILNS1_3genE9ELNS1_11target_archE1100ELNS1_3gpuE3ELNS1_3repE0EEENS1_30default_config_static_selectorELNS0_4arch9wavefront6targetE0EEEvT1_.has_dyn_sized_stack, 0
	.set _ZN7rocprim17ROCPRIM_400000_NS6detail17trampoline_kernelINS0_14default_configENS1_35adjacent_difference_config_selectorILb0ElEEZNS1_24adjacent_difference_implIS3_Lb0ELb0EPlS7_ZN2at6native12_GLOBAL__N_124unique_dim_cuda_templateIlEESt5tupleIJNS8_6TensorESD_SD_EERKSD_lbbbEUlllE1_EE10hipError_tPvRmT2_T3_mT4_P12ihipStream_tbEUlT_E_NS1_11comp_targetILNS1_3genE9ELNS1_11target_archE1100ELNS1_3gpuE3ELNS1_3repE0EEENS1_30default_config_static_selectorELNS0_4arch9wavefront6targetE0EEEvT1_.has_recursion, 0
	.set _ZN7rocprim17ROCPRIM_400000_NS6detail17trampoline_kernelINS0_14default_configENS1_35adjacent_difference_config_selectorILb0ElEEZNS1_24adjacent_difference_implIS3_Lb0ELb0EPlS7_ZN2at6native12_GLOBAL__N_124unique_dim_cuda_templateIlEESt5tupleIJNS8_6TensorESD_SD_EERKSD_lbbbEUlllE1_EE10hipError_tPvRmT2_T3_mT4_P12ihipStream_tbEUlT_E_NS1_11comp_targetILNS1_3genE9ELNS1_11target_archE1100ELNS1_3gpuE3ELNS1_3repE0EEENS1_30default_config_static_selectorELNS0_4arch9wavefront6targetE0EEEvT1_.has_indirect_call, 0
	.section	.AMDGPU.csdata,"",@progbits
; Kernel info:
; codeLenInByte = 0
; TotalNumSgprs: 0
; NumVgprs: 0
; ScratchSize: 0
; MemoryBound: 0
; FloatMode: 240
; IeeeMode: 1
; LDSByteSize: 0 bytes/workgroup (compile time only)
; SGPRBlocks: 0
; VGPRBlocks: 0
; NumSGPRsForWavesPerEU: 1
; NumVGPRsForWavesPerEU: 1
; NamedBarCnt: 0
; Occupancy: 16
; WaveLimiterHint : 0
; COMPUTE_PGM_RSRC2:SCRATCH_EN: 0
; COMPUTE_PGM_RSRC2:USER_SGPR: 2
; COMPUTE_PGM_RSRC2:TRAP_HANDLER: 0
; COMPUTE_PGM_RSRC2:TGID_X_EN: 1
; COMPUTE_PGM_RSRC2:TGID_Y_EN: 0
; COMPUTE_PGM_RSRC2:TGID_Z_EN: 0
; COMPUTE_PGM_RSRC2:TIDIG_COMP_CNT: 0
	.section	.text._ZN7rocprim17ROCPRIM_400000_NS6detail17trampoline_kernelINS0_14default_configENS1_35adjacent_difference_config_selectorILb0ElEEZNS1_24adjacent_difference_implIS3_Lb0ELb0EPlS7_ZN2at6native12_GLOBAL__N_124unique_dim_cuda_templateIlEESt5tupleIJNS8_6TensorESD_SD_EERKSD_lbbbEUlllE1_EE10hipError_tPvRmT2_T3_mT4_P12ihipStream_tbEUlT_E_NS1_11comp_targetILNS1_3genE8ELNS1_11target_archE1030ELNS1_3gpuE2ELNS1_3repE0EEENS1_30default_config_static_selectorELNS0_4arch9wavefront6targetE0EEEvT1_,"axG",@progbits,_ZN7rocprim17ROCPRIM_400000_NS6detail17trampoline_kernelINS0_14default_configENS1_35adjacent_difference_config_selectorILb0ElEEZNS1_24adjacent_difference_implIS3_Lb0ELb0EPlS7_ZN2at6native12_GLOBAL__N_124unique_dim_cuda_templateIlEESt5tupleIJNS8_6TensorESD_SD_EERKSD_lbbbEUlllE1_EE10hipError_tPvRmT2_T3_mT4_P12ihipStream_tbEUlT_E_NS1_11comp_targetILNS1_3genE8ELNS1_11target_archE1030ELNS1_3gpuE2ELNS1_3repE0EEENS1_30default_config_static_selectorELNS0_4arch9wavefront6targetE0EEEvT1_,comdat
	.globl	_ZN7rocprim17ROCPRIM_400000_NS6detail17trampoline_kernelINS0_14default_configENS1_35adjacent_difference_config_selectorILb0ElEEZNS1_24adjacent_difference_implIS3_Lb0ELb0EPlS7_ZN2at6native12_GLOBAL__N_124unique_dim_cuda_templateIlEESt5tupleIJNS8_6TensorESD_SD_EERKSD_lbbbEUlllE1_EE10hipError_tPvRmT2_T3_mT4_P12ihipStream_tbEUlT_E_NS1_11comp_targetILNS1_3genE8ELNS1_11target_archE1030ELNS1_3gpuE2ELNS1_3repE0EEENS1_30default_config_static_selectorELNS0_4arch9wavefront6targetE0EEEvT1_ ; -- Begin function _ZN7rocprim17ROCPRIM_400000_NS6detail17trampoline_kernelINS0_14default_configENS1_35adjacent_difference_config_selectorILb0ElEEZNS1_24adjacent_difference_implIS3_Lb0ELb0EPlS7_ZN2at6native12_GLOBAL__N_124unique_dim_cuda_templateIlEESt5tupleIJNS8_6TensorESD_SD_EERKSD_lbbbEUlllE1_EE10hipError_tPvRmT2_T3_mT4_P12ihipStream_tbEUlT_E_NS1_11comp_targetILNS1_3genE8ELNS1_11target_archE1030ELNS1_3gpuE2ELNS1_3repE0EEENS1_30default_config_static_selectorELNS0_4arch9wavefront6targetE0EEEvT1_
	.p2align	8
	.type	_ZN7rocprim17ROCPRIM_400000_NS6detail17trampoline_kernelINS0_14default_configENS1_35adjacent_difference_config_selectorILb0ElEEZNS1_24adjacent_difference_implIS3_Lb0ELb0EPlS7_ZN2at6native12_GLOBAL__N_124unique_dim_cuda_templateIlEESt5tupleIJNS8_6TensorESD_SD_EERKSD_lbbbEUlllE1_EE10hipError_tPvRmT2_T3_mT4_P12ihipStream_tbEUlT_E_NS1_11comp_targetILNS1_3genE8ELNS1_11target_archE1030ELNS1_3gpuE2ELNS1_3repE0EEENS1_30default_config_static_selectorELNS0_4arch9wavefront6targetE0EEEvT1_,@function
_ZN7rocprim17ROCPRIM_400000_NS6detail17trampoline_kernelINS0_14default_configENS1_35adjacent_difference_config_selectorILb0ElEEZNS1_24adjacent_difference_implIS3_Lb0ELb0EPlS7_ZN2at6native12_GLOBAL__N_124unique_dim_cuda_templateIlEESt5tupleIJNS8_6TensorESD_SD_EERKSD_lbbbEUlllE1_EE10hipError_tPvRmT2_T3_mT4_P12ihipStream_tbEUlT_E_NS1_11comp_targetILNS1_3genE8ELNS1_11target_archE1030ELNS1_3gpuE2ELNS1_3repE0EEENS1_30default_config_static_selectorELNS0_4arch9wavefront6targetE0EEEvT1_: ; @_ZN7rocprim17ROCPRIM_400000_NS6detail17trampoline_kernelINS0_14default_configENS1_35adjacent_difference_config_selectorILb0ElEEZNS1_24adjacent_difference_implIS3_Lb0ELb0EPlS7_ZN2at6native12_GLOBAL__N_124unique_dim_cuda_templateIlEESt5tupleIJNS8_6TensorESD_SD_EERKSD_lbbbEUlllE1_EE10hipError_tPvRmT2_T3_mT4_P12ihipStream_tbEUlT_E_NS1_11comp_targetILNS1_3genE8ELNS1_11target_archE1030ELNS1_3gpuE2ELNS1_3repE0EEENS1_30default_config_static_selectorELNS0_4arch9wavefront6targetE0EEEvT1_
; %bb.0:
	.section	.rodata,"a",@progbits
	.p2align	6, 0x0
	.amdhsa_kernel _ZN7rocprim17ROCPRIM_400000_NS6detail17trampoline_kernelINS0_14default_configENS1_35adjacent_difference_config_selectorILb0ElEEZNS1_24adjacent_difference_implIS3_Lb0ELb0EPlS7_ZN2at6native12_GLOBAL__N_124unique_dim_cuda_templateIlEESt5tupleIJNS8_6TensorESD_SD_EERKSD_lbbbEUlllE1_EE10hipError_tPvRmT2_T3_mT4_P12ihipStream_tbEUlT_E_NS1_11comp_targetILNS1_3genE8ELNS1_11target_archE1030ELNS1_3gpuE2ELNS1_3repE0EEENS1_30default_config_static_selectorELNS0_4arch9wavefront6targetE0EEEvT1_
		.amdhsa_group_segment_fixed_size 0
		.amdhsa_private_segment_fixed_size 0
		.amdhsa_kernarg_size 64
		.amdhsa_user_sgpr_count 2
		.amdhsa_user_sgpr_dispatch_ptr 0
		.amdhsa_user_sgpr_queue_ptr 0
		.amdhsa_user_sgpr_kernarg_segment_ptr 1
		.amdhsa_user_sgpr_dispatch_id 0
		.amdhsa_user_sgpr_kernarg_preload_length 0
		.amdhsa_user_sgpr_kernarg_preload_offset 0
		.amdhsa_user_sgpr_private_segment_size 0
		.amdhsa_wavefront_size32 1
		.amdhsa_uses_dynamic_stack 0
		.amdhsa_enable_private_segment 0
		.amdhsa_system_sgpr_workgroup_id_x 1
		.amdhsa_system_sgpr_workgroup_id_y 0
		.amdhsa_system_sgpr_workgroup_id_z 0
		.amdhsa_system_sgpr_workgroup_info 0
		.amdhsa_system_vgpr_workitem_id 0
		.amdhsa_next_free_vgpr 1
		.amdhsa_next_free_sgpr 1
		.amdhsa_named_barrier_count 0
		.amdhsa_reserve_vcc 0
		.amdhsa_float_round_mode_32 0
		.amdhsa_float_round_mode_16_64 0
		.amdhsa_float_denorm_mode_32 3
		.amdhsa_float_denorm_mode_16_64 3
		.amdhsa_fp16_overflow 0
		.amdhsa_memory_ordered 1
		.amdhsa_forward_progress 1
		.amdhsa_inst_pref_size 0
		.amdhsa_round_robin_scheduling 0
		.amdhsa_exception_fp_ieee_invalid_op 0
		.amdhsa_exception_fp_denorm_src 0
		.amdhsa_exception_fp_ieee_div_zero 0
		.amdhsa_exception_fp_ieee_overflow 0
		.amdhsa_exception_fp_ieee_underflow 0
		.amdhsa_exception_fp_ieee_inexact 0
		.amdhsa_exception_int_div_zero 0
	.end_amdhsa_kernel
	.section	.text._ZN7rocprim17ROCPRIM_400000_NS6detail17trampoline_kernelINS0_14default_configENS1_35adjacent_difference_config_selectorILb0ElEEZNS1_24adjacent_difference_implIS3_Lb0ELb0EPlS7_ZN2at6native12_GLOBAL__N_124unique_dim_cuda_templateIlEESt5tupleIJNS8_6TensorESD_SD_EERKSD_lbbbEUlllE1_EE10hipError_tPvRmT2_T3_mT4_P12ihipStream_tbEUlT_E_NS1_11comp_targetILNS1_3genE8ELNS1_11target_archE1030ELNS1_3gpuE2ELNS1_3repE0EEENS1_30default_config_static_selectorELNS0_4arch9wavefront6targetE0EEEvT1_,"axG",@progbits,_ZN7rocprim17ROCPRIM_400000_NS6detail17trampoline_kernelINS0_14default_configENS1_35adjacent_difference_config_selectorILb0ElEEZNS1_24adjacent_difference_implIS3_Lb0ELb0EPlS7_ZN2at6native12_GLOBAL__N_124unique_dim_cuda_templateIlEESt5tupleIJNS8_6TensorESD_SD_EERKSD_lbbbEUlllE1_EE10hipError_tPvRmT2_T3_mT4_P12ihipStream_tbEUlT_E_NS1_11comp_targetILNS1_3genE8ELNS1_11target_archE1030ELNS1_3gpuE2ELNS1_3repE0EEENS1_30default_config_static_selectorELNS0_4arch9wavefront6targetE0EEEvT1_,comdat
.Lfunc_end545:
	.size	_ZN7rocprim17ROCPRIM_400000_NS6detail17trampoline_kernelINS0_14default_configENS1_35adjacent_difference_config_selectorILb0ElEEZNS1_24adjacent_difference_implIS3_Lb0ELb0EPlS7_ZN2at6native12_GLOBAL__N_124unique_dim_cuda_templateIlEESt5tupleIJNS8_6TensorESD_SD_EERKSD_lbbbEUlllE1_EE10hipError_tPvRmT2_T3_mT4_P12ihipStream_tbEUlT_E_NS1_11comp_targetILNS1_3genE8ELNS1_11target_archE1030ELNS1_3gpuE2ELNS1_3repE0EEENS1_30default_config_static_selectorELNS0_4arch9wavefront6targetE0EEEvT1_, .Lfunc_end545-_ZN7rocprim17ROCPRIM_400000_NS6detail17trampoline_kernelINS0_14default_configENS1_35adjacent_difference_config_selectorILb0ElEEZNS1_24adjacent_difference_implIS3_Lb0ELb0EPlS7_ZN2at6native12_GLOBAL__N_124unique_dim_cuda_templateIlEESt5tupleIJNS8_6TensorESD_SD_EERKSD_lbbbEUlllE1_EE10hipError_tPvRmT2_T3_mT4_P12ihipStream_tbEUlT_E_NS1_11comp_targetILNS1_3genE8ELNS1_11target_archE1030ELNS1_3gpuE2ELNS1_3repE0EEENS1_30default_config_static_selectorELNS0_4arch9wavefront6targetE0EEEvT1_
                                        ; -- End function
	.set _ZN7rocprim17ROCPRIM_400000_NS6detail17trampoline_kernelINS0_14default_configENS1_35adjacent_difference_config_selectorILb0ElEEZNS1_24adjacent_difference_implIS3_Lb0ELb0EPlS7_ZN2at6native12_GLOBAL__N_124unique_dim_cuda_templateIlEESt5tupleIJNS8_6TensorESD_SD_EERKSD_lbbbEUlllE1_EE10hipError_tPvRmT2_T3_mT4_P12ihipStream_tbEUlT_E_NS1_11comp_targetILNS1_3genE8ELNS1_11target_archE1030ELNS1_3gpuE2ELNS1_3repE0EEENS1_30default_config_static_selectorELNS0_4arch9wavefront6targetE0EEEvT1_.num_vgpr, 0
	.set _ZN7rocprim17ROCPRIM_400000_NS6detail17trampoline_kernelINS0_14default_configENS1_35adjacent_difference_config_selectorILb0ElEEZNS1_24adjacent_difference_implIS3_Lb0ELb0EPlS7_ZN2at6native12_GLOBAL__N_124unique_dim_cuda_templateIlEESt5tupleIJNS8_6TensorESD_SD_EERKSD_lbbbEUlllE1_EE10hipError_tPvRmT2_T3_mT4_P12ihipStream_tbEUlT_E_NS1_11comp_targetILNS1_3genE8ELNS1_11target_archE1030ELNS1_3gpuE2ELNS1_3repE0EEENS1_30default_config_static_selectorELNS0_4arch9wavefront6targetE0EEEvT1_.num_agpr, 0
	.set _ZN7rocprim17ROCPRIM_400000_NS6detail17trampoline_kernelINS0_14default_configENS1_35adjacent_difference_config_selectorILb0ElEEZNS1_24adjacent_difference_implIS3_Lb0ELb0EPlS7_ZN2at6native12_GLOBAL__N_124unique_dim_cuda_templateIlEESt5tupleIJNS8_6TensorESD_SD_EERKSD_lbbbEUlllE1_EE10hipError_tPvRmT2_T3_mT4_P12ihipStream_tbEUlT_E_NS1_11comp_targetILNS1_3genE8ELNS1_11target_archE1030ELNS1_3gpuE2ELNS1_3repE0EEENS1_30default_config_static_selectorELNS0_4arch9wavefront6targetE0EEEvT1_.numbered_sgpr, 0
	.set _ZN7rocprim17ROCPRIM_400000_NS6detail17trampoline_kernelINS0_14default_configENS1_35adjacent_difference_config_selectorILb0ElEEZNS1_24adjacent_difference_implIS3_Lb0ELb0EPlS7_ZN2at6native12_GLOBAL__N_124unique_dim_cuda_templateIlEESt5tupleIJNS8_6TensorESD_SD_EERKSD_lbbbEUlllE1_EE10hipError_tPvRmT2_T3_mT4_P12ihipStream_tbEUlT_E_NS1_11comp_targetILNS1_3genE8ELNS1_11target_archE1030ELNS1_3gpuE2ELNS1_3repE0EEENS1_30default_config_static_selectorELNS0_4arch9wavefront6targetE0EEEvT1_.num_named_barrier, 0
	.set _ZN7rocprim17ROCPRIM_400000_NS6detail17trampoline_kernelINS0_14default_configENS1_35adjacent_difference_config_selectorILb0ElEEZNS1_24adjacent_difference_implIS3_Lb0ELb0EPlS7_ZN2at6native12_GLOBAL__N_124unique_dim_cuda_templateIlEESt5tupleIJNS8_6TensorESD_SD_EERKSD_lbbbEUlllE1_EE10hipError_tPvRmT2_T3_mT4_P12ihipStream_tbEUlT_E_NS1_11comp_targetILNS1_3genE8ELNS1_11target_archE1030ELNS1_3gpuE2ELNS1_3repE0EEENS1_30default_config_static_selectorELNS0_4arch9wavefront6targetE0EEEvT1_.private_seg_size, 0
	.set _ZN7rocprim17ROCPRIM_400000_NS6detail17trampoline_kernelINS0_14default_configENS1_35adjacent_difference_config_selectorILb0ElEEZNS1_24adjacent_difference_implIS3_Lb0ELb0EPlS7_ZN2at6native12_GLOBAL__N_124unique_dim_cuda_templateIlEESt5tupleIJNS8_6TensorESD_SD_EERKSD_lbbbEUlllE1_EE10hipError_tPvRmT2_T3_mT4_P12ihipStream_tbEUlT_E_NS1_11comp_targetILNS1_3genE8ELNS1_11target_archE1030ELNS1_3gpuE2ELNS1_3repE0EEENS1_30default_config_static_selectorELNS0_4arch9wavefront6targetE0EEEvT1_.uses_vcc, 0
	.set _ZN7rocprim17ROCPRIM_400000_NS6detail17trampoline_kernelINS0_14default_configENS1_35adjacent_difference_config_selectorILb0ElEEZNS1_24adjacent_difference_implIS3_Lb0ELb0EPlS7_ZN2at6native12_GLOBAL__N_124unique_dim_cuda_templateIlEESt5tupleIJNS8_6TensorESD_SD_EERKSD_lbbbEUlllE1_EE10hipError_tPvRmT2_T3_mT4_P12ihipStream_tbEUlT_E_NS1_11comp_targetILNS1_3genE8ELNS1_11target_archE1030ELNS1_3gpuE2ELNS1_3repE0EEENS1_30default_config_static_selectorELNS0_4arch9wavefront6targetE0EEEvT1_.uses_flat_scratch, 0
	.set _ZN7rocprim17ROCPRIM_400000_NS6detail17trampoline_kernelINS0_14default_configENS1_35adjacent_difference_config_selectorILb0ElEEZNS1_24adjacent_difference_implIS3_Lb0ELb0EPlS7_ZN2at6native12_GLOBAL__N_124unique_dim_cuda_templateIlEESt5tupleIJNS8_6TensorESD_SD_EERKSD_lbbbEUlllE1_EE10hipError_tPvRmT2_T3_mT4_P12ihipStream_tbEUlT_E_NS1_11comp_targetILNS1_3genE8ELNS1_11target_archE1030ELNS1_3gpuE2ELNS1_3repE0EEENS1_30default_config_static_selectorELNS0_4arch9wavefront6targetE0EEEvT1_.has_dyn_sized_stack, 0
	.set _ZN7rocprim17ROCPRIM_400000_NS6detail17trampoline_kernelINS0_14default_configENS1_35adjacent_difference_config_selectorILb0ElEEZNS1_24adjacent_difference_implIS3_Lb0ELb0EPlS7_ZN2at6native12_GLOBAL__N_124unique_dim_cuda_templateIlEESt5tupleIJNS8_6TensorESD_SD_EERKSD_lbbbEUlllE1_EE10hipError_tPvRmT2_T3_mT4_P12ihipStream_tbEUlT_E_NS1_11comp_targetILNS1_3genE8ELNS1_11target_archE1030ELNS1_3gpuE2ELNS1_3repE0EEENS1_30default_config_static_selectorELNS0_4arch9wavefront6targetE0EEEvT1_.has_recursion, 0
	.set _ZN7rocprim17ROCPRIM_400000_NS6detail17trampoline_kernelINS0_14default_configENS1_35adjacent_difference_config_selectorILb0ElEEZNS1_24adjacent_difference_implIS3_Lb0ELb0EPlS7_ZN2at6native12_GLOBAL__N_124unique_dim_cuda_templateIlEESt5tupleIJNS8_6TensorESD_SD_EERKSD_lbbbEUlllE1_EE10hipError_tPvRmT2_T3_mT4_P12ihipStream_tbEUlT_E_NS1_11comp_targetILNS1_3genE8ELNS1_11target_archE1030ELNS1_3gpuE2ELNS1_3repE0EEENS1_30default_config_static_selectorELNS0_4arch9wavefront6targetE0EEEvT1_.has_indirect_call, 0
	.section	.AMDGPU.csdata,"",@progbits
; Kernel info:
; codeLenInByte = 0
; TotalNumSgprs: 0
; NumVgprs: 0
; ScratchSize: 0
; MemoryBound: 0
; FloatMode: 240
; IeeeMode: 1
; LDSByteSize: 0 bytes/workgroup (compile time only)
; SGPRBlocks: 0
; VGPRBlocks: 0
; NumSGPRsForWavesPerEU: 1
; NumVGPRsForWavesPerEU: 1
; NamedBarCnt: 0
; Occupancy: 16
; WaveLimiterHint : 0
; COMPUTE_PGM_RSRC2:SCRATCH_EN: 0
; COMPUTE_PGM_RSRC2:USER_SGPR: 2
; COMPUTE_PGM_RSRC2:TRAP_HANDLER: 0
; COMPUTE_PGM_RSRC2:TGID_X_EN: 1
; COMPUTE_PGM_RSRC2:TGID_Y_EN: 0
; COMPUTE_PGM_RSRC2:TGID_Z_EN: 0
; COMPUTE_PGM_RSRC2:TIDIG_COMP_CNT: 0
	.section	.text._ZN7rocprim17ROCPRIM_400000_NS6detail17trampoline_kernelINS0_14default_configENS1_25transform_config_selectorIlLb0EEEZNS1_14transform_implILb0ES3_S5_NS0_18transform_iteratorINS0_17counting_iteratorImlEEZNS1_24adjacent_difference_implIS3_Lb1ELb0EPlSB_ZN2at6native12_GLOBAL__N_124unique_dim_cuda_templateIlEESt5tupleIJNSC_6TensorESH_SH_EERKSH_lbbbEUlllE1_EE10hipError_tPvRmT2_T3_mT4_P12ihipStream_tbEUlmE_lEESB_NS0_8identityIvEEEESM_SP_SQ_mSR_ST_bEUlT_E_NS1_11comp_targetILNS1_3genE0ELNS1_11target_archE4294967295ELNS1_3gpuE0ELNS1_3repE0EEENS1_30default_config_static_selectorELNS0_4arch9wavefront6targetE0EEEvT1_,"axG",@progbits,_ZN7rocprim17ROCPRIM_400000_NS6detail17trampoline_kernelINS0_14default_configENS1_25transform_config_selectorIlLb0EEEZNS1_14transform_implILb0ES3_S5_NS0_18transform_iteratorINS0_17counting_iteratorImlEEZNS1_24adjacent_difference_implIS3_Lb1ELb0EPlSB_ZN2at6native12_GLOBAL__N_124unique_dim_cuda_templateIlEESt5tupleIJNSC_6TensorESH_SH_EERKSH_lbbbEUlllE1_EE10hipError_tPvRmT2_T3_mT4_P12ihipStream_tbEUlmE_lEESB_NS0_8identityIvEEEESM_SP_SQ_mSR_ST_bEUlT_E_NS1_11comp_targetILNS1_3genE0ELNS1_11target_archE4294967295ELNS1_3gpuE0ELNS1_3repE0EEENS1_30default_config_static_selectorELNS0_4arch9wavefront6targetE0EEEvT1_,comdat
	.globl	_ZN7rocprim17ROCPRIM_400000_NS6detail17trampoline_kernelINS0_14default_configENS1_25transform_config_selectorIlLb0EEEZNS1_14transform_implILb0ES3_S5_NS0_18transform_iteratorINS0_17counting_iteratorImlEEZNS1_24adjacent_difference_implIS3_Lb1ELb0EPlSB_ZN2at6native12_GLOBAL__N_124unique_dim_cuda_templateIlEESt5tupleIJNSC_6TensorESH_SH_EERKSH_lbbbEUlllE1_EE10hipError_tPvRmT2_T3_mT4_P12ihipStream_tbEUlmE_lEESB_NS0_8identityIvEEEESM_SP_SQ_mSR_ST_bEUlT_E_NS1_11comp_targetILNS1_3genE0ELNS1_11target_archE4294967295ELNS1_3gpuE0ELNS1_3repE0EEENS1_30default_config_static_selectorELNS0_4arch9wavefront6targetE0EEEvT1_ ; -- Begin function _ZN7rocprim17ROCPRIM_400000_NS6detail17trampoline_kernelINS0_14default_configENS1_25transform_config_selectorIlLb0EEEZNS1_14transform_implILb0ES3_S5_NS0_18transform_iteratorINS0_17counting_iteratorImlEEZNS1_24adjacent_difference_implIS3_Lb1ELb0EPlSB_ZN2at6native12_GLOBAL__N_124unique_dim_cuda_templateIlEESt5tupleIJNSC_6TensorESH_SH_EERKSH_lbbbEUlllE1_EE10hipError_tPvRmT2_T3_mT4_P12ihipStream_tbEUlmE_lEESB_NS0_8identityIvEEEESM_SP_SQ_mSR_ST_bEUlT_E_NS1_11comp_targetILNS1_3genE0ELNS1_11target_archE4294967295ELNS1_3gpuE0ELNS1_3repE0EEENS1_30default_config_static_selectorELNS0_4arch9wavefront6targetE0EEEvT1_
	.p2align	8
	.type	_ZN7rocprim17ROCPRIM_400000_NS6detail17trampoline_kernelINS0_14default_configENS1_25transform_config_selectorIlLb0EEEZNS1_14transform_implILb0ES3_S5_NS0_18transform_iteratorINS0_17counting_iteratorImlEEZNS1_24adjacent_difference_implIS3_Lb1ELb0EPlSB_ZN2at6native12_GLOBAL__N_124unique_dim_cuda_templateIlEESt5tupleIJNSC_6TensorESH_SH_EERKSH_lbbbEUlllE1_EE10hipError_tPvRmT2_T3_mT4_P12ihipStream_tbEUlmE_lEESB_NS0_8identityIvEEEESM_SP_SQ_mSR_ST_bEUlT_E_NS1_11comp_targetILNS1_3genE0ELNS1_11target_archE4294967295ELNS1_3gpuE0ELNS1_3repE0EEENS1_30default_config_static_selectorELNS0_4arch9wavefront6targetE0EEEvT1_,@function
_ZN7rocprim17ROCPRIM_400000_NS6detail17trampoline_kernelINS0_14default_configENS1_25transform_config_selectorIlLb0EEEZNS1_14transform_implILb0ES3_S5_NS0_18transform_iteratorINS0_17counting_iteratorImlEEZNS1_24adjacent_difference_implIS3_Lb1ELb0EPlSB_ZN2at6native12_GLOBAL__N_124unique_dim_cuda_templateIlEESt5tupleIJNSC_6TensorESH_SH_EERKSH_lbbbEUlllE1_EE10hipError_tPvRmT2_T3_mT4_P12ihipStream_tbEUlmE_lEESB_NS0_8identityIvEEEESM_SP_SQ_mSR_ST_bEUlT_E_NS1_11comp_targetILNS1_3genE0ELNS1_11target_archE4294967295ELNS1_3gpuE0ELNS1_3repE0EEENS1_30default_config_static_selectorELNS0_4arch9wavefront6targetE0EEEvT1_: ; @_ZN7rocprim17ROCPRIM_400000_NS6detail17trampoline_kernelINS0_14default_configENS1_25transform_config_selectorIlLb0EEEZNS1_14transform_implILb0ES3_S5_NS0_18transform_iteratorINS0_17counting_iteratorImlEEZNS1_24adjacent_difference_implIS3_Lb1ELb0EPlSB_ZN2at6native12_GLOBAL__N_124unique_dim_cuda_templateIlEESt5tupleIJNSC_6TensorESH_SH_EERKSH_lbbbEUlllE1_EE10hipError_tPvRmT2_T3_mT4_P12ihipStream_tbEUlmE_lEESB_NS0_8identityIvEEEESM_SP_SQ_mSR_ST_bEUlT_E_NS1_11comp_targetILNS1_3genE0ELNS1_11target_archE4294967295ELNS1_3gpuE0ELNS1_3repE0EEENS1_30default_config_static_selectorELNS0_4arch9wavefront6targetE0EEEvT1_
; %bb.0:
	s_clause 0x1
	s_load_b32 s2, s[0:1], 0x38
	s_load_b32 s3, s[0:1], 0x20
	s_bfe_u32 s4, ttmp6, 0x4000c
	s_and_b32 s5, ttmp6, 15
	s_add_co_i32 s4, s4, 1
	s_getreg_b32 s6, hwreg(HW_REG_IB_STS2, 6, 4)
	s_mul_i32 s4, ttmp9, s4
	s_delay_alu instid0(SALU_CYCLE_1)
	s_add_co_i32 s5, s5, s4
	s_cmp_eq_u32 s6, 0
	s_cselect_b32 s4, ttmp9, s5
	s_wait_kmcnt 0x0
	s_add_co_i32 s5, s2, -1
	s_lshl_b32 s2, s4, 7
	s_cmp_lg_u32 s4, s5
	s_cselect_b32 s4, -1, 0
	s_sub_co_i32 s3, s3, s2
	s_delay_alu instid0(SALU_CYCLE_1) | instskip(SKIP_2) | instid1(SALU_CYCLE_1)
	v_cmp_gt_u32_e32 vcc_lo, s3, v0
	s_mov_b32 s3, 0
	s_or_b32 s4, s4, vcc_lo
	s_and_saveexec_b32 s5, s4
	s_cbranch_execz .LBB546_2
; %bb.1:
	s_clause 0x3
	s_load_b64 s[8:9], s[0:1], 0x18
	s_load_b128 s[4:7], s[0:1], 0x0
	s_load_b32 s10, s[0:1], 0x10
	s_load_b64 s[12:13], s[0:1], 0x28
	v_mov_b32_e32 v1, 0
	s_mov_b32 s11, s3
	s_wait_kmcnt 0x0
	s_add_nc_u64 s[0:1], s[4:5], s[8:9]
	s_delay_alu instid0(SALU_CYCLE_1) | instskip(SKIP_3) | instid1(SALU_CYCLE_1)
	s_add_nc_u64 s[0:1], s[0:1], s[2:3]
	s_lshl_b64 s[2:3], s[2:3], 3
	v_add_nc_u64_e32 v[2:3], s[0:1], v[0:1]
	s_lshl_b64 s[0:1], s[8:9], 3
	s_add_nc_u64 s[0:1], s[12:13], s[0:1]
	s_delay_alu instid0(SALU_CYCLE_1) | instskip(NEXT) | instid1(VALU_DEP_1)
	s_add_nc_u64 s[0:1], s[0:1], s[2:3]
	v_mul_u64_e32 v[2:3], s[10:11], v[2:3]
	s_delay_alu instid0(VALU_DEP_1)
	v_lshl_add_u64 v[2:3], v[2:3], 3, s[6:7]
	global_load_b64 v[2:3], v[2:3], off
	s_wait_loadcnt 0x0
	global_store_b64 v0, v[2:3], s[0:1] scale_offset
.LBB546_2:
	s_endpgm
	.section	.rodata,"a",@progbits
	.p2align	6, 0x0
	.amdhsa_kernel _ZN7rocprim17ROCPRIM_400000_NS6detail17trampoline_kernelINS0_14default_configENS1_25transform_config_selectorIlLb0EEEZNS1_14transform_implILb0ES3_S5_NS0_18transform_iteratorINS0_17counting_iteratorImlEEZNS1_24adjacent_difference_implIS3_Lb1ELb0EPlSB_ZN2at6native12_GLOBAL__N_124unique_dim_cuda_templateIlEESt5tupleIJNSC_6TensorESH_SH_EERKSH_lbbbEUlllE1_EE10hipError_tPvRmT2_T3_mT4_P12ihipStream_tbEUlmE_lEESB_NS0_8identityIvEEEESM_SP_SQ_mSR_ST_bEUlT_E_NS1_11comp_targetILNS1_3genE0ELNS1_11target_archE4294967295ELNS1_3gpuE0ELNS1_3repE0EEENS1_30default_config_static_selectorELNS0_4arch9wavefront6targetE0EEEvT1_
		.amdhsa_group_segment_fixed_size 0
		.amdhsa_private_segment_fixed_size 0
		.amdhsa_kernarg_size 312
		.amdhsa_user_sgpr_count 2
		.amdhsa_user_sgpr_dispatch_ptr 0
		.amdhsa_user_sgpr_queue_ptr 0
		.amdhsa_user_sgpr_kernarg_segment_ptr 1
		.amdhsa_user_sgpr_dispatch_id 0
		.amdhsa_user_sgpr_kernarg_preload_length 0
		.amdhsa_user_sgpr_kernarg_preload_offset 0
		.amdhsa_user_sgpr_private_segment_size 0
		.amdhsa_wavefront_size32 1
		.amdhsa_uses_dynamic_stack 0
		.amdhsa_enable_private_segment 0
		.amdhsa_system_sgpr_workgroup_id_x 1
		.amdhsa_system_sgpr_workgroup_id_y 0
		.amdhsa_system_sgpr_workgroup_id_z 0
		.amdhsa_system_sgpr_workgroup_info 0
		.amdhsa_system_vgpr_workitem_id 0
		.amdhsa_next_free_vgpr 4
		.amdhsa_next_free_sgpr 14
		.amdhsa_named_barrier_count 0
		.amdhsa_reserve_vcc 1
		.amdhsa_float_round_mode_32 0
		.amdhsa_float_round_mode_16_64 0
		.amdhsa_float_denorm_mode_32 3
		.amdhsa_float_denorm_mode_16_64 3
		.amdhsa_fp16_overflow 0
		.amdhsa_memory_ordered 1
		.amdhsa_forward_progress 1
		.amdhsa_inst_pref_size 2
		.amdhsa_round_robin_scheduling 0
		.amdhsa_exception_fp_ieee_invalid_op 0
		.amdhsa_exception_fp_denorm_src 0
		.amdhsa_exception_fp_ieee_div_zero 0
		.amdhsa_exception_fp_ieee_overflow 0
		.amdhsa_exception_fp_ieee_underflow 0
		.amdhsa_exception_fp_ieee_inexact 0
		.amdhsa_exception_int_div_zero 0
	.end_amdhsa_kernel
	.section	.text._ZN7rocprim17ROCPRIM_400000_NS6detail17trampoline_kernelINS0_14default_configENS1_25transform_config_selectorIlLb0EEEZNS1_14transform_implILb0ES3_S5_NS0_18transform_iteratorINS0_17counting_iteratorImlEEZNS1_24adjacent_difference_implIS3_Lb1ELb0EPlSB_ZN2at6native12_GLOBAL__N_124unique_dim_cuda_templateIlEESt5tupleIJNSC_6TensorESH_SH_EERKSH_lbbbEUlllE1_EE10hipError_tPvRmT2_T3_mT4_P12ihipStream_tbEUlmE_lEESB_NS0_8identityIvEEEESM_SP_SQ_mSR_ST_bEUlT_E_NS1_11comp_targetILNS1_3genE0ELNS1_11target_archE4294967295ELNS1_3gpuE0ELNS1_3repE0EEENS1_30default_config_static_selectorELNS0_4arch9wavefront6targetE0EEEvT1_,"axG",@progbits,_ZN7rocprim17ROCPRIM_400000_NS6detail17trampoline_kernelINS0_14default_configENS1_25transform_config_selectorIlLb0EEEZNS1_14transform_implILb0ES3_S5_NS0_18transform_iteratorINS0_17counting_iteratorImlEEZNS1_24adjacent_difference_implIS3_Lb1ELb0EPlSB_ZN2at6native12_GLOBAL__N_124unique_dim_cuda_templateIlEESt5tupleIJNSC_6TensorESH_SH_EERKSH_lbbbEUlllE1_EE10hipError_tPvRmT2_T3_mT4_P12ihipStream_tbEUlmE_lEESB_NS0_8identityIvEEEESM_SP_SQ_mSR_ST_bEUlT_E_NS1_11comp_targetILNS1_3genE0ELNS1_11target_archE4294967295ELNS1_3gpuE0ELNS1_3repE0EEENS1_30default_config_static_selectorELNS0_4arch9wavefront6targetE0EEEvT1_,comdat
.Lfunc_end546:
	.size	_ZN7rocprim17ROCPRIM_400000_NS6detail17trampoline_kernelINS0_14default_configENS1_25transform_config_selectorIlLb0EEEZNS1_14transform_implILb0ES3_S5_NS0_18transform_iteratorINS0_17counting_iteratorImlEEZNS1_24adjacent_difference_implIS3_Lb1ELb0EPlSB_ZN2at6native12_GLOBAL__N_124unique_dim_cuda_templateIlEESt5tupleIJNSC_6TensorESH_SH_EERKSH_lbbbEUlllE1_EE10hipError_tPvRmT2_T3_mT4_P12ihipStream_tbEUlmE_lEESB_NS0_8identityIvEEEESM_SP_SQ_mSR_ST_bEUlT_E_NS1_11comp_targetILNS1_3genE0ELNS1_11target_archE4294967295ELNS1_3gpuE0ELNS1_3repE0EEENS1_30default_config_static_selectorELNS0_4arch9wavefront6targetE0EEEvT1_, .Lfunc_end546-_ZN7rocprim17ROCPRIM_400000_NS6detail17trampoline_kernelINS0_14default_configENS1_25transform_config_selectorIlLb0EEEZNS1_14transform_implILb0ES3_S5_NS0_18transform_iteratorINS0_17counting_iteratorImlEEZNS1_24adjacent_difference_implIS3_Lb1ELb0EPlSB_ZN2at6native12_GLOBAL__N_124unique_dim_cuda_templateIlEESt5tupleIJNSC_6TensorESH_SH_EERKSH_lbbbEUlllE1_EE10hipError_tPvRmT2_T3_mT4_P12ihipStream_tbEUlmE_lEESB_NS0_8identityIvEEEESM_SP_SQ_mSR_ST_bEUlT_E_NS1_11comp_targetILNS1_3genE0ELNS1_11target_archE4294967295ELNS1_3gpuE0ELNS1_3repE0EEENS1_30default_config_static_selectorELNS0_4arch9wavefront6targetE0EEEvT1_
                                        ; -- End function
	.set _ZN7rocprim17ROCPRIM_400000_NS6detail17trampoline_kernelINS0_14default_configENS1_25transform_config_selectorIlLb0EEEZNS1_14transform_implILb0ES3_S5_NS0_18transform_iteratorINS0_17counting_iteratorImlEEZNS1_24adjacent_difference_implIS3_Lb1ELb0EPlSB_ZN2at6native12_GLOBAL__N_124unique_dim_cuda_templateIlEESt5tupleIJNSC_6TensorESH_SH_EERKSH_lbbbEUlllE1_EE10hipError_tPvRmT2_T3_mT4_P12ihipStream_tbEUlmE_lEESB_NS0_8identityIvEEEESM_SP_SQ_mSR_ST_bEUlT_E_NS1_11comp_targetILNS1_3genE0ELNS1_11target_archE4294967295ELNS1_3gpuE0ELNS1_3repE0EEENS1_30default_config_static_selectorELNS0_4arch9wavefront6targetE0EEEvT1_.num_vgpr, 4
	.set _ZN7rocprim17ROCPRIM_400000_NS6detail17trampoline_kernelINS0_14default_configENS1_25transform_config_selectorIlLb0EEEZNS1_14transform_implILb0ES3_S5_NS0_18transform_iteratorINS0_17counting_iteratorImlEEZNS1_24adjacent_difference_implIS3_Lb1ELb0EPlSB_ZN2at6native12_GLOBAL__N_124unique_dim_cuda_templateIlEESt5tupleIJNSC_6TensorESH_SH_EERKSH_lbbbEUlllE1_EE10hipError_tPvRmT2_T3_mT4_P12ihipStream_tbEUlmE_lEESB_NS0_8identityIvEEEESM_SP_SQ_mSR_ST_bEUlT_E_NS1_11comp_targetILNS1_3genE0ELNS1_11target_archE4294967295ELNS1_3gpuE0ELNS1_3repE0EEENS1_30default_config_static_selectorELNS0_4arch9wavefront6targetE0EEEvT1_.num_agpr, 0
	.set _ZN7rocprim17ROCPRIM_400000_NS6detail17trampoline_kernelINS0_14default_configENS1_25transform_config_selectorIlLb0EEEZNS1_14transform_implILb0ES3_S5_NS0_18transform_iteratorINS0_17counting_iteratorImlEEZNS1_24adjacent_difference_implIS3_Lb1ELb0EPlSB_ZN2at6native12_GLOBAL__N_124unique_dim_cuda_templateIlEESt5tupleIJNSC_6TensorESH_SH_EERKSH_lbbbEUlllE1_EE10hipError_tPvRmT2_T3_mT4_P12ihipStream_tbEUlmE_lEESB_NS0_8identityIvEEEESM_SP_SQ_mSR_ST_bEUlT_E_NS1_11comp_targetILNS1_3genE0ELNS1_11target_archE4294967295ELNS1_3gpuE0ELNS1_3repE0EEENS1_30default_config_static_selectorELNS0_4arch9wavefront6targetE0EEEvT1_.numbered_sgpr, 14
	.set _ZN7rocprim17ROCPRIM_400000_NS6detail17trampoline_kernelINS0_14default_configENS1_25transform_config_selectorIlLb0EEEZNS1_14transform_implILb0ES3_S5_NS0_18transform_iteratorINS0_17counting_iteratorImlEEZNS1_24adjacent_difference_implIS3_Lb1ELb0EPlSB_ZN2at6native12_GLOBAL__N_124unique_dim_cuda_templateIlEESt5tupleIJNSC_6TensorESH_SH_EERKSH_lbbbEUlllE1_EE10hipError_tPvRmT2_T3_mT4_P12ihipStream_tbEUlmE_lEESB_NS0_8identityIvEEEESM_SP_SQ_mSR_ST_bEUlT_E_NS1_11comp_targetILNS1_3genE0ELNS1_11target_archE4294967295ELNS1_3gpuE0ELNS1_3repE0EEENS1_30default_config_static_selectorELNS0_4arch9wavefront6targetE0EEEvT1_.num_named_barrier, 0
	.set _ZN7rocprim17ROCPRIM_400000_NS6detail17trampoline_kernelINS0_14default_configENS1_25transform_config_selectorIlLb0EEEZNS1_14transform_implILb0ES3_S5_NS0_18transform_iteratorINS0_17counting_iteratorImlEEZNS1_24adjacent_difference_implIS3_Lb1ELb0EPlSB_ZN2at6native12_GLOBAL__N_124unique_dim_cuda_templateIlEESt5tupleIJNSC_6TensorESH_SH_EERKSH_lbbbEUlllE1_EE10hipError_tPvRmT2_T3_mT4_P12ihipStream_tbEUlmE_lEESB_NS0_8identityIvEEEESM_SP_SQ_mSR_ST_bEUlT_E_NS1_11comp_targetILNS1_3genE0ELNS1_11target_archE4294967295ELNS1_3gpuE0ELNS1_3repE0EEENS1_30default_config_static_selectorELNS0_4arch9wavefront6targetE0EEEvT1_.private_seg_size, 0
	.set _ZN7rocprim17ROCPRIM_400000_NS6detail17trampoline_kernelINS0_14default_configENS1_25transform_config_selectorIlLb0EEEZNS1_14transform_implILb0ES3_S5_NS0_18transform_iteratorINS0_17counting_iteratorImlEEZNS1_24adjacent_difference_implIS3_Lb1ELb0EPlSB_ZN2at6native12_GLOBAL__N_124unique_dim_cuda_templateIlEESt5tupleIJNSC_6TensorESH_SH_EERKSH_lbbbEUlllE1_EE10hipError_tPvRmT2_T3_mT4_P12ihipStream_tbEUlmE_lEESB_NS0_8identityIvEEEESM_SP_SQ_mSR_ST_bEUlT_E_NS1_11comp_targetILNS1_3genE0ELNS1_11target_archE4294967295ELNS1_3gpuE0ELNS1_3repE0EEENS1_30default_config_static_selectorELNS0_4arch9wavefront6targetE0EEEvT1_.uses_vcc, 1
	.set _ZN7rocprim17ROCPRIM_400000_NS6detail17trampoline_kernelINS0_14default_configENS1_25transform_config_selectorIlLb0EEEZNS1_14transform_implILb0ES3_S5_NS0_18transform_iteratorINS0_17counting_iteratorImlEEZNS1_24adjacent_difference_implIS3_Lb1ELb0EPlSB_ZN2at6native12_GLOBAL__N_124unique_dim_cuda_templateIlEESt5tupleIJNSC_6TensorESH_SH_EERKSH_lbbbEUlllE1_EE10hipError_tPvRmT2_T3_mT4_P12ihipStream_tbEUlmE_lEESB_NS0_8identityIvEEEESM_SP_SQ_mSR_ST_bEUlT_E_NS1_11comp_targetILNS1_3genE0ELNS1_11target_archE4294967295ELNS1_3gpuE0ELNS1_3repE0EEENS1_30default_config_static_selectorELNS0_4arch9wavefront6targetE0EEEvT1_.uses_flat_scratch, 0
	.set _ZN7rocprim17ROCPRIM_400000_NS6detail17trampoline_kernelINS0_14default_configENS1_25transform_config_selectorIlLb0EEEZNS1_14transform_implILb0ES3_S5_NS0_18transform_iteratorINS0_17counting_iteratorImlEEZNS1_24adjacent_difference_implIS3_Lb1ELb0EPlSB_ZN2at6native12_GLOBAL__N_124unique_dim_cuda_templateIlEESt5tupleIJNSC_6TensorESH_SH_EERKSH_lbbbEUlllE1_EE10hipError_tPvRmT2_T3_mT4_P12ihipStream_tbEUlmE_lEESB_NS0_8identityIvEEEESM_SP_SQ_mSR_ST_bEUlT_E_NS1_11comp_targetILNS1_3genE0ELNS1_11target_archE4294967295ELNS1_3gpuE0ELNS1_3repE0EEENS1_30default_config_static_selectorELNS0_4arch9wavefront6targetE0EEEvT1_.has_dyn_sized_stack, 0
	.set _ZN7rocprim17ROCPRIM_400000_NS6detail17trampoline_kernelINS0_14default_configENS1_25transform_config_selectorIlLb0EEEZNS1_14transform_implILb0ES3_S5_NS0_18transform_iteratorINS0_17counting_iteratorImlEEZNS1_24adjacent_difference_implIS3_Lb1ELb0EPlSB_ZN2at6native12_GLOBAL__N_124unique_dim_cuda_templateIlEESt5tupleIJNSC_6TensorESH_SH_EERKSH_lbbbEUlllE1_EE10hipError_tPvRmT2_T3_mT4_P12ihipStream_tbEUlmE_lEESB_NS0_8identityIvEEEESM_SP_SQ_mSR_ST_bEUlT_E_NS1_11comp_targetILNS1_3genE0ELNS1_11target_archE4294967295ELNS1_3gpuE0ELNS1_3repE0EEENS1_30default_config_static_selectorELNS0_4arch9wavefront6targetE0EEEvT1_.has_recursion, 0
	.set _ZN7rocprim17ROCPRIM_400000_NS6detail17trampoline_kernelINS0_14default_configENS1_25transform_config_selectorIlLb0EEEZNS1_14transform_implILb0ES3_S5_NS0_18transform_iteratorINS0_17counting_iteratorImlEEZNS1_24adjacent_difference_implIS3_Lb1ELb0EPlSB_ZN2at6native12_GLOBAL__N_124unique_dim_cuda_templateIlEESt5tupleIJNSC_6TensorESH_SH_EERKSH_lbbbEUlllE1_EE10hipError_tPvRmT2_T3_mT4_P12ihipStream_tbEUlmE_lEESB_NS0_8identityIvEEEESM_SP_SQ_mSR_ST_bEUlT_E_NS1_11comp_targetILNS1_3genE0ELNS1_11target_archE4294967295ELNS1_3gpuE0ELNS1_3repE0EEENS1_30default_config_static_selectorELNS0_4arch9wavefront6targetE0EEEvT1_.has_indirect_call, 0
	.section	.AMDGPU.csdata,"",@progbits
; Kernel info:
; codeLenInByte = 240
; TotalNumSgprs: 16
; NumVgprs: 4
; ScratchSize: 0
; MemoryBound: 0
; FloatMode: 240
; IeeeMode: 1
; LDSByteSize: 0 bytes/workgroup (compile time only)
; SGPRBlocks: 0
; VGPRBlocks: 0
; NumSGPRsForWavesPerEU: 16
; NumVGPRsForWavesPerEU: 4
; NamedBarCnt: 0
; Occupancy: 16
; WaveLimiterHint : 0
; COMPUTE_PGM_RSRC2:SCRATCH_EN: 0
; COMPUTE_PGM_RSRC2:USER_SGPR: 2
; COMPUTE_PGM_RSRC2:TRAP_HANDLER: 0
; COMPUTE_PGM_RSRC2:TGID_X_EN: 1
; COMPUTE_PGM_RSRC2:TGID_Y_EN: 0
; COMPUTE_PGM_RSRC2:TGID_Z_EN: 0
; COMPUTE_PGM_RSRC2:TIDIG_COMP_CNT: 0
	.section	.text._ZN7rocprim17ROCPRIM_400000_NS6detail17trampoline_kernelINS0_14default_configENS1_25transform_config_selectorIlLb0EEEZNS1_14transform_implILb0ES3_S5_NS0_18transform_iteratorINS0_17counting_iteratorImlEEZNS1_24adjacent_difference_implIS3_Lb1ELb0EPlSB_ZN2at6native12_GLOBAL__N_124unique_dim_cuda_templateIlEESt5tupleIJNSC_6TensorESH_SH_EERKSH_lbbbEUlllE1_EE10hipError_tPvRmT2_T3_mT4_P12ihipStream_tbEUlmE_lEESB_NS0_8identityIvEEEESM_SP_SQ_mSR_ST_bEUlT_E_NS1_11comp_targetILNS1_3genE5ELNS1_11target_archE942ELNS1_3gpuE9ELNS1_3repE0EEENS1_30default_config_static_selectorELNS0_4arch9wavefront6targetE0EEEvT1_,"axG",@progbits,_ZN7rocprim17ROCPRIM_400000_NS6detail17trampoline_kernelINS0_14default_configENS1_25transform_config_selectorIlLb0EEEZNS1_14transform_implILb0ES3_S5_NS0_18transform_iteratorINS0_17counting_iteratorImlEEZNS1_24adjacent_difference_implIS3_Lb1ELb0EPlSB_ZN2at6native12_GLOBAL__N_124unique_dim_cuda_templateIlEESt5tupleIJNSC_6TensorESH_SH_EERKSH_lbbbEUlllE1_EE10hipError_tPvRmT2_T3_mT4_P12ihipStream_tbEUlmE_lEESB_NS0_8identityIvEEEESM_SP_SQ_mSR_ST_bEUlT_E_NS1_11comp_targetILNS1_3genE5ELNS1_11target_archE942ELNS1_3gpuE9ELNS1_3repE0EEENS1_30default_config_static_selectorELNS0_4arch9wavefront6targetE0EEEvT1_,comdat
	.globl	_ZN7rocprim17ROCPRIM_400000_NS6detail17trampoline_kernelINS0_14default_configENS1_25transform_config_selectorIlLb0EEEZNS1_14transform_implILb0ES3_S5_NS0_18transform_iteratorINS0_17counting_iteratorImlEEZNS1_24adjacent_difference_implIS3_Lb1ELb0EPlSB_ZN2at6native12_GLOBAL__N_124unique_dim_cuda_templateIlEESt5tupleIJNSC_6TensorESH_SH_EERKSH_lbbbEUlllE1_EE10hipError_tPvRmT2_T3_mT4_P12ihipStream_tbEUlmE_lEESB_NS0_8identityIvEEEESM_SP_SQ_mSR_ST_bEUlT_E_NS1_11comp_targetILNS1_3genE5ELNS1_11target_archE942ELNS1_3gpuE9ELNS1_3repE0EEENS1_30default_config_static_selectorELNS0_4arch9wavefront6targetE0EEEvT1_ ; -- Begin function _ZN7rocprim17ROCPRIM_400000_NS6detail17trampoline_kernelINS0_14default_configENS1_25transform_config_selectorIlLb0EEEZNS1_14transform_implILb0ES3_S5_NS0_18transform_iteratorINS0_17counting_iteratorImlEEZNS1_24adjacent_difference_implIS3_Lb1ELb0EPlSB_ZN2at6native12_GLOBAL__N_124unique_dim_cuda_templateIlEESt5tupleIJNSC_6TensorESH_SH_EERKSH_lbbbEUlllE1_EE10hipError_tPvRmT2_T3_mT4_P12ihipStream_tbEUlmE_lEESB_NS0_8identityIvEEEESM_SP_SQ_mSR_ST_bEUlT_E_NS1_11comp_targetILNS1_3genE5ELNS1_11target_archE942ELNS1_3gpuE9ELNS1_3repE0EEENS1_30default_config_static_selectorELNS0_4arch9wavefront6targetE0EEEvT1_
	.p2align	8
	.type	_ZN7rocprim17ROCPRIM_400000_NS6detail17trampoline_kernelINS0_14default_configENS1_25transform_config_selectorIlLb0EEEZNS1_14transform_implILb0ES3_S5_NS0_18transform_iteratorINS0_17counting_iteratorImlEEZNS1_24adjacent_difference_implIS3_Lb1ELb0EPlSB_ZN2at6native12_GLOBAL__N_124unique_dim_cuda_templateIlEESt5tupleIJNSC_6TensorESH_SH_EERKSH_lbbbEUlllE1_EE10hipError_tPvRmT2_T3_mT4_P12ihipStream_tbEUlmE_lEESB_NS0_8identityIvEEEESM_SP_SQ_mSR_ST_bEUlT_E_NS1_11comp_targetILNS1_3genE5ELNS1_11target_archE942ELNS1_3gpuE9ELNS1_3repE0EEENS1_30default_config_static_selectorELNS0_4arch9wavefront6targetE0EEEvT1_,@function
_ZN7rocprim17ROCPRIM_400000_NS6detail17trampoline_kernelINS0_14default_configENS1_25transform_config_selectorIlLb0EEEZNS1_14transform_implILb0ES3_S5_NS0_18transform_iteratorINS0_17counting_iteratorImlEEZNS1_24adjacent_difference_implIS3_Lb1ELb0EPlSB_ZN2at6native12_GLOBAL__N_124unique_dim_cuda_templateIlEESt5tupleIJNSC_6TensorESH_SH_EERKSH_lbbbEUlllE1_EE10hipError_tPvRmT2_T3_mT4_P12ihipStream_tbEUlmE_lEESB_NS0_8identityIvEEEESM_SP_SQ_mSR_ST_bEUlT_E_NS1_11comp_targetILNS1_3genE5ELNS1_11target_archE942ELNS1_3gpuE9ELNS1_3repE0EEENS1_30default_config_static_selectorELNS0_4arch9wavefront6targetE0EEEvT1_: ; @_ZN7rocprim17ROCPRIM_400000_NS6detail17trampoline_kernelINS0_14default_configENS1_25transform_config_selectorIlLb0EEEZNS1_14transform_implILb0ES3_S5_NS0_18transform_iteratorINS0_17counting_iteratorImlEEZNS1_24adjacent_difference_implIS3_Lb1ELb0EPlSB_ZN2at6native12_GLOBAL__N_124unique_dim_cuda_templateIlEESt5tupleIJNSC_6TensorESH_SH_EERKSH_lbbbEUlllE1_EE10hipError_tPvRmT2_T3_mT4_P12ihipStream_tbEUlmE_lEESB_NS0_8identityIvEEEESM_SP_SQ_mSR_ST_bEUlT_E_NS1_11comp_targetILNS1_3genE5ELNS1_11target_archE942ELNS1_3gpuE9ELNS1_3repE0EEENS1_30default_config_static_selectorELNS0_4arch9wavefront6targetE0EEEvT1_
; %bb.0:
	.section	.rodata,"a",@progbits
	.p2align	6, 0x0
	.amdhsa_kernel _ZN7rocprim17ROCPRIM_400000_NS6detail17trampoline_kernelINS0_14default_configENS1_25transform_config_selectorIlLb0EEEZNS1_14transform_implILb0ES3_S5_NS0_18transform_iteratorINS0_17counting_iteratorImlEEZNS1_24adjacent_difference_implIS3_Lb1ELb0EPlSB_ZN2at6native12_GLOBAL__N_124unique_dim_cuda_templateIlEESt5tupleIJNSC_6TensorESH_SH_EERKSH_lbbbEUlllE1_EE10hipError_tPvRmT2_T3_mT4_P12ihipStream_tbEUlmE_lEESB_NS0_8identityIvEEEESM_SP_SQ_mSR_ST_bEUlT_E_NS1_11comp_targetILNS1_3genE5ELNS1_11target_archE942ELNS1_3gpuE9ELNS1_3repE0EEENS1_30default_config_static_selectorELNS0_4arch9wavefront6targetE0EEEvT1_
		.amdhsa_group_segment_fixed_size 0
		.amdhsa_private_segment_fixed_size 0
		.amdhsa_kernarg_size 56
		.amdhsa_user_sgpr_count 2
		.amdhsa_user_sgpr_dispatch_ptr 0
		.amdhsa_user_sgpr_queue_ptr 0
		.amdhsa_user_sgpr_kernarg_segment_ptr 1
		.amdhsa_user_sgpr_dispatch_id 0
		.amdhsa_user_sgpr_kernarg_preload_length 0
		.amdhsa_user_sgpr_kernarg_preload_offset 0
		.amdhsa_user_sgpr_private_segment_size 0
		.amdhsa_wavefront_size32 1
		.amdhsa_uses_dynamic_stack 0
		.amdhsa_enable_private_segment 0
		.amdhsa_system_sgpr_workgroup_id_x 1
		.amdhsa_system_sgpr_workgroup_id_y 0
		.amdhsa_system_sgpr_workgroup_id_z 0
		.amdhsa_system_sgpr_workgroup_info 0
		.amdhsa_system_vgpr_workitem_id 0
		.amdhsa_next_free_vgpr 1
		.amdhsa_next_free_sgpr 1
		.amdhsa_named_barrier_count 0
		.amdhsa_reserve_vcc 0
		.amdhsa_float_round_mode_32 0
		.amdhsa_float_round_mode_16_64 0
		.amdhsa_float_denorm_mode_32 3
		.amdhsa_float_denorm_mode_16_64 3
		.amdhsa_fp16_overflow 0
		.amdhsa_memory_ordered 1
		.amdhsa_forward_progress 1
		.amdhsa_inst_pref_size 0
		.amdhsa_round_robin_scheduling 0
		.amdhsa_exception_fp_ieee_invalid_op 0
		.amdhsa_exception_fp_denorm_src 0
		.amdhsa_exception_fp_ieee_div_zero 0
		.amdhsa_exception_fp_ieee_overflow 0
		.amdhsa_exception_fp_ieee_underflow 0
		.amdhsa_exception_fp_ieee_inexact 0
		.amdhsa_exception_int_div_zero 0
	.end_amdhsa_kernel
	.section	.text._ZN7rocprim17ROCPRIM_400000_NS6detail17trampoline_kernelINS0_14default_configENS1_25transform_config_selectorIlLb0EEEZNS1_14transform_implILb0ES3_S5_NS0_18transform_iteratorINS0_17counting_iteratorImlEEZNS1_24adjacent_difference_implIS3_Lb1ELb0EPlSB_ZN2at6native12_GLOBAL__N_124unique_dim_cuda_templateIlEESt5tupleIJNSC_6TensorESH_SH_EERKSH_lbbbEUlllE1_EE10hipError_tPvRmT2_T3_mT4_P12ihipStream_tbEUlmE_lEESB_NS0_8identityIvEEEESM_SP_SQ_mSR_ST_bEUlT_E_NS1_11comp_targetILNS1_3genE5ELNS1_11target_archE942ELNS1_3gpuE9ELNS1_3repE0EEENS1_30default_config_static_selectorELNS0_4arch9wavefront6targetE0EEEvT1_,"axG",@progbits,_ZN7rocprim17ROCPRIM_400000_NS6detail17trampoline_kernelINS0_14default_configENS1_25transform_config_selectorIlLb0EEEZNS1_14transform_implILb0ES3_S5_NS0_18transform_iteratorINS0_17counting_iteratorImlEEZNS1_24adjacent_difference_implIS3_Lb1ELb0EPlSB_ZN2at6native12_GLOBAL__N_124unique_dim_cuda_templateIlEESt5tupleIJNSC_6TensorESH_SH_EERKSH_lbbbEUlllE1_EE10hipError_tPvRmT2_T3_mT4_P12ihipStream_tbEUlmE_lEESB_NS0_8identityIvEEEESM_SP_SQ_mSR_ST_bEUlT_E_NS1_11comp_targetILNS1_3genE5ELNS1_11target_archE942ELNS1_3gpuE9ELNS1_3repE0EEENS1_30default_config_static_selectorELNS0_4arch9wavefront6targetE0EEEvT1_,comdat
.Lfunc_end547:
	.size	_ZN7rocprim17ROCPRIM_400000_NS6detail17trampoline_kernelINS0_14default_configENS1_25transform_config_selectorIlLb0EEEZNS1_14transform_implILb0ES3_S5_NS0_18transform_iteratorINS0_17counting_iteratorImlEEZNS1_24adjacent_difference_implIS3_Lb1ELb0EPlSB_ZN2at6native12_GLOBAL__N_124unique_dim_cuda_templateIlEESt5tupleIJNSC_6TensorESH_SH_EERKSH_lbbbEUlllE1_EE10hipError_tPvRmT2_T3_mT4_P12ihipStream_tbEUlmE_lEESB_NS0_8identityIvEEEESM_SP_SQ_mSR_ST_bEUlT_E_NS1_11comp_targetILNS1_3genE5ELNS1_11target_archE942ELNS1_3gpuE9ELNS1_3repE0EEENS1_30default_config_static_selectorELNS0_4arch9wavefront6targetE0EEEvT1_, .Lfunc_end547-_ZN7rocprim17ROCPRIM_400000_NS6detail17trampoline_kernelINS0_14default_configENS1_25transform_config_selectorIlLb0EEEZNS1_14transform_implILb0ES3_S5_NS0_18transform_iteratorINS0_17counting_iteratorImlEEZNS1_24adjacent_difference_implIS3_Lb1ELb0EPlSB_ZN2at6native12_GLOBAL__N_124unique_dim_cuda_templateIlEESt5tupleIJNSC_6TensorESH_SH_EERKSH_lbbbEUlllE1_EE10hipError_tPvRmT2_T3_mT4_P12ihipStream_tbEUlmE_lEESB_NS0_8identityIvEEEESM_SP_SQ_mSR_ST_bEUlT_E_NS1_11comp_targetILNS1_3genE5ELNS1_11target_archE942ELNS1_3gpuE9ELNS1_3repE0EEENS1_30default_config_static_selectorELNS0_4arch9wavefront6targetE0EEEvT1_
                                        ; -- End function
	.set _ZN7rocprim17ROCPRIM_400000_NS6detail17trampoline_kernelINS0_14default_configENS1_25transform_config_selectorIlLb0EEEZNS1_14transform_implILb0ES3_S5_NS0_18transform_iteratorINS0_17counting_iteratorImlEEZNS1_24adjacent_difference_implIS3_Lb1ELb0EPlSB_ZN2at6native12_GLOBAL__N_124unique_dim_cuda_templateIlEESt5tupleIJNSC_6TensorESH_SH_EERKSH_lbbbEUlllE1_EE10hipError_tPvRmT2_T3_mT4_P12ihipStream_tbEUlmE_lEESB_NS0_8identityIvEEEESM_SP_SQ_mSR_ST_bEUlT_E_NS1_11comp_targetILNS1_3genE5ELNS1_11target_archE942ELNS1_3gpuE9ELNS1_3repE0EEENS1_30default_config_static_selectorELNS0_4arch9wavefront6targetE0EEEvT1_.num_vgpr, 0
	.set _ZN7rocprim17ROCPRIM_400000_NS6detail17trampoline_kernelINS0_14default_configENS1_25transform_config_selectorIlLb0EEEZNS1_14transform_implILb0ES3_S5_NS0_18transform_iteratorINS0_17counting_iteratorImlEEZNS1_24adjacent_difference_implIS3_Lb1ELb0EPlSB_ZN2at6native12_GLOBAL__N_124unique_dim_cuda_templateIlEESt5tupleIJNSC_6TensorESH_SH_EERKSH_lbbbEUlllE1_EE10hipError_tPvRmT2_T3_mT4_P12ihipStream_tbEUlmE_lEESB_NS0_8identityIvEEEESM_SP_SQ_mSR_ST_bEUlT_E_NS1_11comp_targetILNS1_3genE5ELNS1_11target_archE942ELNS1_3gpuE9ELNS1_3repE0EEENS1_30default_config_static_selectorELNS0_4arch9wavefront6targetE0EEEvT1_.num_agpr, 0
	.set _ZN7rocprim17ROCPRIM_400000_NS6detail17trampoline_kernelINS0_14default_configENS1_25transform_config_selectorIlLb0EEEZNS1_14transform_implILb0ES3_S5_NS0_18transform_iteratorINS0_17counting_iteratorImlEEZNS1_24adjacent_difference_implIS3_Lb1ELb0EPlSB_ZN2at6native12_GLOBAL__N_124unique_dim_cuda_templateIlEESt5tupleIJNSC_6TensorESH_SH_EERKSH_lbbbEUlllE1_EE10hipError_tPvRmT2_T3_mT4_P12ihipStream_tbEUlmE_lEESB_NS0_8identityIvEEEESM_SP_SQ_mSR_ST_bEUlT_E_NS1_11comp_targetILNS1_3genE5ELNS1_11target_archE942ELNS1_3gpuE9ELNS1_3repE0EEENS1_30default_config_static_selectorELNS0_4arch9wavefront6targetE0EEEvT1_.numbered_sgpr, 0
	.set _ZN7rocprim17ROCPRIM_400000_NS6detail17trampoline_kernelINS0_14default_configENS1_25transform_config_selectorIlLb0EEEZNS1_14transform_implILb0ES3_S5_NS0_18transform_iteratorINS0_17counting_iteratorImlEEZNS1_24adjacent_difference_implIS3_Lb1ELb0EPlSB_ZN2at6native12_GLOBAL__N_124unique_dim_cuda_templateIlEESt5tupleIJNSC_6TensorESH_SH_EERKSH_lbbbEUlllE1_EE10hipError_tPvRmT2_T3_mT4_P12ihipStream_tbEUlmE_lEESB_NS0_8identityIvEEEESM_SP_SQ_mSR_ST_bEUlT_E_NS1_11comp_targetILNS1_3genE5ELNS1_11target_archE942ELNS1_3gpuE9ELNS1_3repE0EEENS1_30default_config_static_selectorELNS0_4arch9wavefront6targetE0EEEvT1_.num_named_barrier, 0
	.set _ZN7rocprim17ROCPRIM_400000_NS6detail17trampoline_kernelINS0_14default_configENS1_25transform_config_selectorIlLb0EEEZNS1_14transform_implILb0ES3_S5_NS0_18transform_iteratorINS0_17counting_iteratorImlEEZNS1_24adjacent_difference_implIS3_Lb1ELb0EPlSB_ZN2at6native12_GLOBAL__N_124unique_dim_cuda_templateIlEESt5tupleIJNSC_6TensorESH_SH_EERKSH_lbbbEUlllE1_EE10hipError_tPvRmT2_T3_mT4_P12ihipStream_tbEUlmE_lEESB_NS0_8identityIvEEEESM_SP_SQ_mSR_ST_bEUlT_E_NS1_11comp_targetILNS1_3genE5ELNS1_11target_archE942ELNS1_3gpuE9ELNS1_3repE0EEENS1_30default_config_static_selectorELNS0_4arch9wavefront6targetE0EEEvT1_.private_seg_size, 0
	.set _ZN7rocprim17ROCPRIM_400000_NS6detail17trampoline_kernelINS0_14default_configENS1_25transform_config_selectorIlLb0EEEZNS1_14transform_implILb0ES3_S5_NS0_18transform_iteratorINS0_17counting_iteratorImlEEZNS1_24adjacent_difference_implIS3_Lb1ELb0EPlSB_ZN2at6native12_GLOBAL__N_124unique_dim_cuda_templateIlEESt5tupleIJNSC_6TensorESH_SH_EERKSH_lbbbEUlllE1_EE10hipError_tPvRmT2_T3_mT4_P12ihipStream_tbEUlmE_lEESB_NS0_8identityIvEEEESM_SP_SQ_mSR_ST_bEUlT_E_NS1_11comp_targetILNS1_3genE5ELNS1_11target_archE942ELNS1_3gpuE9ELNS1_3repE0EEENS1_30default_config_static_selectorELNS0_4arch9wavefront6targetE0EEEvT1_.uses_vcc, 0
	.set _ZN7rocprim17ROCPRIM_400000_NS6detail17trampoline_kernelINS0_14default_configENS1_25transform_config_selectorIlLb0EEEZNS1_14transform_implILb0ES3_S5_NS0_18transform_iteratorINS0_17counting_iteratorImlEEZNS1_24adjacent_difference_implIS3_Lb1ELb0EPlSB_ZN2at6native12_GLOBAL__N_124unique_dim_cuda_templateIlEESt5tupleIJNSC_6TensorESH_SH_EERKSH_lbbbEUlllE1_EE10hipError_tPvRmT2_T3_mT4_P12ihipStream_tbEUlmE_lEESB_NS0_8identityIvEEEESM_SP_SQ_mSR_ST_bEUlT_E_NS1_11comp_targetILNS1_3genE5ELNS1_11target_archE942ELNS1_3gpuE9ELNS1_3repE0EEENS1_30default_config_static_selectorELNS0_4arch9wavefront6targetE0EEEvT1_.uses_flat_scratch, 0
	.set _ZN7rocprim17ROCPRIM_400000_NS6detail17trampoline_kernelINS0_14default_configENS1_25transform_config_selectorIlLb0EEEZNS1_14transform_implILb0ES3_S5_NS0_18transform_iteratorINS0_17counting_iteratorImlEEZNS1_24adjacent_difference_implIS3_Lb1ELb0EPlSB_ZN2at6native12_GLOBAL__N_124unique_dim_cuda_templateIlEESt5tupleIJNSC_6TensorESH_SH_EERKSH_lbbbEUlllE1_EE10hipError_tPvRmT2_T3_mT4_P12ihipStream_tbEUlmE_lEESB_NS0_8identityIvEEEESM_SP_SQ_mSR_ST_bEUlT_E_NS1_11comp_targetILNS1_3genE5ELNS1_11target_archE942ELNS1_3gpuE9ELNS1_3repE0EEENS1_30default_config_static_selectorELNS0_4arch9wavefront6targetE0EEEvT1_.has_dyn_sized_stack, 0
	.set _ZN7rocprim17ROCPRIM_400000_NS6detail17trampoline_kernelINS0_14default_configENS1_25transform_config_selectorIlLb0EEEZNS1_14transform_implILb0ES3_S5_NS0_18transform_iteratorINS0_17counting_iteratorImlEEZNS1_24adjacent_difference_implIS3_Lb1ELb0EPlSB_ZN2at6native12_GLOBAL__N_124unique_dim_cuda_templateIlEESt5tupleIJNSC_6TensorESH_SH_EERKSH_lbbbEUlllE1_EE10hipError_tPvRmT2_T3_mT4_P12ihipStream_tbEUlmE_lEESB_NS0_8identityIvEEEESM_SP_SQ_mSR_ST_bEUlT_E_NS1_11comp_targetILNS1_3genE5ELNS1_11target_archE942ELNS1_3gpuE9ELNS1_3repE0EEENS1_30default_config_static_selectorELNS0_4arch9wavefront6targetE0EEEvT1_.has_recursion, 0
	.set _ZN7rocprim17ROCPRIM_400000_NS6detail17trampoline_kernelINS0_14default_configENS1_25transform_config_selectorIlLb0EEEZNS1_14transform_implILb0ES3_S5_NS0_18transform_iteratorINS0_17counting_iteratorImlEEZNS1_24adjacent_difference_implIS3_Lb1ELb0EPlSB_ZN2at6native12_GLOBAL__N_124unique_dim_cuda_templateIlEESt5tupleIJNSC_6TensorESH_SH_EERKSH_lbbbEUlllE1_EE10hipError_tPvRmT2_T3_mT4_P12ihipStream_tbEUlmE_lEESB_NS0_8identityIvEEEESM_SP_SQ_mSR_ST_bEUlT_E_NS1_11comp_targetILNS1_3genE5ELNS1_11target_archE942ELNS1_3gpuE9ELNS1_3repE0EEENS1_30default_config_static_selectorELNS0_4arch9wavefront6targetE0EEEvT1_.has_indirect_call, 0
	.section	.AMDGPU.csdata,"",@progbits
; Kernel info:
; codeLenInByte = 0
; TotalNumSgprs: 0
; NumVgprs: 0
; ScratchSize: 0
; MemoryBound: 0
; FloatMode: 240
; IeeeMode: 1
; LDSByteSize: 0 bytes/workgroup (compile time only)
; SGPRBlocks: 0
; VGPRBlocks: 0
; NumSGPRsForWavesPerEU: 1
; NumVGPRsForWavesPerEU: 1
; NamedBarCnt: 0
; Occupancy: 16
; WaveLimiterHint : 0
; COMPUTE_PGM_RSRC2:SCRATCH_EN: 0
; COMPUTE_PGM_RSRC2:USER_SGPR: 2
; COMPUTE_PGM_RSRC2:TRAP_HANDLER: 0
; COMPUTE_PGM_RSRC2:TGID_X_EN: 1
; COMPUTE_PGM_RSRC2:TGID_Y_EN: 0
; COMPUTE_PGM_RSRC2:TGID_Z_EN: 0
; COMPUTE_PGM_RSRC2:TIDIG_COMP_CNT: 0
	.section	.text._ZN7rocprim17ROCPRIM_400000_NS6detail17trampoline_kernelINS0_14default_configENS1_25transform_config_selectorIlLb0EEEZNS1_14transform_implILb0ES3_S5_NS0_18transform_iteratorINS0_17counting_iteratorImlEEZNS1_24adjacent_difference_implIS3_Lb1ELb0EPlSB_ZN2at6native12_GLOBAL__N_124unique_dim_cuda_templateIlEESt5tupleIJNSC_6TensorESH_SH_EERKSH_lbbbEUlllE1_EE10hipError_tPvRmT2_T3_mT4_P12ihipStream_tbEUlmE_lEESB_NS0_8identityIvEEEESM_SP_SQ_mSR_ST_bEUlT_E_NS1_11comp_targetILNS1_3genE4ELNS1_11target_archE910ELNS1_3gpuE8ELNS1_3repE0EEENS1_30default_config_static_selectorELNS0_4arch9wavefront6targetE0EEEvT1_,"axG",@progbits,_ZN7rocprim17ROCPRIM_400000_NS6detail17trampoline_kernelINS0_14default_configENS1_25transform_config_selectorIlLb0EEEZNS1_14transform_implILb0ES3_S5_NS0_18transform_iteratorINS0_17counting_iteratorImlEEZNS1_24adjacent_difference_implIS3_Lb1ELb0EPlSB_ZN2at6native12_GLOBAL__N_124unique_dim_cuda_templateIlEESt5tupleIJNSC_6TensorESH_SH_EERKSH_lbbbEUlllE1_EE10hipError_tPvRmT2_T3_mT4_P12ihipStream_tbEUlmE_lEESB_NS0_8identityIvEEEESM_SP_SQ_mSR_ST_bEUlT_E_NS1_11comp_targetILNS1_3genE4ELNS1_11target_archE910ELNS1_3gpuE8ELNS1_3repE0EEENS1_30default_config_static_selectorELNS0_4arch9wavefront6targetE0EEEvT1_,comdat
	.globl	_ZN7rocprim17ROCPRIM_400000_NS6detail17trampoline_kernelINS0_14default_configENS1_25transform_config_selectorIlLb0EEEZNS1_14transform_implILb0ES3_S5_NS0_18transform_iteratorINS0_17counting_iteratorImlEEZNS1_24adjacent_difference_implIS3_Lb1ELb0EPlSB_ZN2at6native12_GLOBAL__N_124unique_dim_cuda_templateIlEESt5tupleIJNSC_6TensorESH_SH_EERKSH_lbbbEUlllE1_EE10hipError_tPvRmT2_T3_mT4_P12ihipStream_tbEUlmE_lEESB_NS0_8identityIvEEEESM_SP_SQ_mSR_ST_bEUlT_E_NS1_11comp_targetILNS1_3genE4ELNS1_11target_archE910ELNS1_3gpuE8ELNS1_3repE0EEENS1_30default_config_static_selectorELNS0_4arch9wavefront6targetE0EEEvT1_ ; -- Begin function _ZN7rocprim17ROCPRIM_400000_NS6detail17trampoline_kernelINS0_14default_configENS1_25transform_config_selectorIlLb0EEEZNS1_14transform_implILb0ES3_S5_NS0_18transform_iteratorINS0_17counting_iteratorImlEEZNS1_24adjacent_difference_implIS3_Lb1ELb0EPlSB_ZN2at6native12_GLOBAL__N_124unique_dim_cuda_templateIlEESt5tupleIJNSC_6TensorESH_SH_EERKSH_lbbbEUlllE1_EE10hipError_tPvRmT2_T3_mT4_P12ihipStream_tbEUlmE_lEESB_NS0_8identityIvEEEESM_SP_SQ_mSR_ST_bEUlT_E_NS1_11comp_targetILNS1_3genE4ELNS1_11target_archE910ELNS1_3gpuE8ELNS1_3repE0EEENS1_30default_config_static_selectorELNS0_4arch9wavefront6targetE0EEEvT1_
	.p2align	8
	.type	_ZN7rocprim17ROCPRIM_400000_NS6detail17trampoline_kernelINS0_14default_configENS1_25transform_config_selectorIlLb0EEEZNS1_14transform_implILb0ES3_S5_NS0_18transform_iteratorINS0_17counting_iteratorImlEEZNS1_24adjacent_difference_implIS3_Lb1ELb0EPlSB_ZN2at6native12_GLOBAL__N_124unique_dim_cuda_templateIlEESt5tupleIJNSC_6TensorESH_SH_EERKSH_lbbbEUlllE1_EE10hipError_tPvRmT2_T3_mT4_P12ihipStream_tbEUlmE_lEESB_NS0_8identityIvEEEESM_SP_SQ_mSR_ST_bEUlT_E_NS1_11comp_targetILNS1_3genE4ELNS1_11target_archE910ELNS1_3gpuE8ELNS1_3repE0EEENS1_30default_config_static_selectorELNS0_4arch9wavefront6targetE0EEEvT1_,@function
_ZN7rocprim17ROCPRIM_400000_NS6detail17trampoline_kernelINS0_14default_configENS1_25transform_config_selectorIlLb0EEEZNS1_14transform_implILb0ES3_S5_NS0_18transform_iteratorINS0_17counting_iteratorImlEEZNS1_24adjacent_difference_implIS3_Lb1ELb0EPlSB_ZN2at6native12_GLOBAL__N_124unique_dim_cuda_templateIlEESt5tupleIJNSC_6TensorESH_SH_EERKSH_lbbbEUlllE1_EE10hipError_tPvRmT2_T3_mT4_P12ihipStream_tbEUlmE_lEESB_NS0_8identityIvEEEESM_SP_SQ_mSR_ST_bEUlT_E_NS1_11comp_targetILNS1_3genE4ELNS1_11target_archE910ELNS1_3gpuE8ELNS1_3repE0EEENS1_30default_config_static_selectorELNS0_4arch9wavefront6targetE0EEEvT1_: ; @_ZN7rocprim17ROCPRIM_400000_NS6detail17trampoline_kernelINS0_14default_configENS1_25transform_config_selectorIlLb0EEEZNS1_14transform_implILb0ES3_S5_NS0_18transform_iteratorINS0_17counting_iteratorImlEEZNS1_24adjacent_difference_implIS3_Lb1ELb0EPlSB_ZN2at6native12_GLOBAL__N_124unique_dim_cuda_templateIlEESt5tupleIJNSC_6TensorESH_SH_EERKSH_lbbbEUlllE1_EE10hipError_tPvRmT2_T3_mT4_P12ihipStream_tbEUlmE_lEESB_NS0_8identityIvEEEESM_SP_SQ_mSR_ST_bEUlT_E_NS1_11comp_targetILNS1_3genE4ELNS1_11target_archE910ELNS1_3gpuE8ELNS1_3repE0EEENS1_30default_config_static_selectorELNS0_4arch9wavefront6targetE0EEEvT1_
; %bb.0:
	.section	.rodata,"a",@progbits
	.p2align	6, 0x0
	.amdhsa_kernel _ZN7rocprim17ROCPRIM_400000_NS6detail17trampoline_kernelINS0_14default_configENS1_25transform_config_selectorIlLb0EEEZNS1_14transform_implILb0ES3_S5_NS0_18transform_iteratorINS0_17counting_iteratorImlEEZNS1_24adjacent_difference_implIS3_Lb1ELb0EPlSB_ZN2at6native12_GLOBAL__N_124unique_dim_cuda_templateIlEESt5tupleIJNSC_6TensorESH_SH_EERKSH_lbbbEUlllE1_EE10hipError_tPvRmT2_T3_mT4_P12ihipStream_tbEUlmE_lEESB_NS0_8identityIvEEEESM_SP_SQ_mSR_ST_bEUlT_E_NS1_11comp_targetILNS1_3genE4ELNS1_11target_archE910ELNS1_3gpuE8ELNS1_3repE0EEENS1_30default_config_static_selectorELNS0_4arch9wavefront6targetE0EEEvT1_
		.amdhsa_group_segment_fixed_size 0
		.amdhsa_private_segment_fixed_size 0
		.amdhsa_kernarg_size 56
		.amdhsa_user_sgpr_count 2
		.amdhsa_user_sgpr_dispatch_ptr 0
		.amdhsa_user_sgpr_queue_ptr 0
		.amdhsa_user_sgpr_kernarg_segment_ptr 1
		.amdhsa_user_sgpr_dispatch_id 0
		.amdhsa_user_sgpr_kernarg_preload_length 0
		.amdhsa_user_sgpr_kernarg_preload_offset 0
		.amdhsa_user_sgpr_private_segment_size 0
		.amdhsa_wavefront_size32 1
		.amdhsa_uses_dynamic_stack 0
		.amdhsa_enable_private_segment 0
		.amdhsa_system_sgpr_workgroup_id_x 1
		.amdhsa_system_sgpr_workgroup_id_y 0
		.amdhsa_system_sgpr_workgroup_id_z 0
		.amdhsa_system_sgpr_workgroup_info 0
		.amdhsa_system_vgpr_workitem_id 0
		.amdhsa_next_free_vgpr 1
		.amdhsa_next_free_sgpr 1
		.amdhsa_named_barrier_count 0
		.amdhsa_reserve_vcc 0
		.amdhsa_float_round_mode_32 0
		.amdhsa_float_round_mode_16_64 0
		.amdhsa_float_denorm_mode_32 3
		.amdhsa_float_denorm_mode_16_64 3
		.amdhsa_fp16_overflow 0
		.amdhsa_memory_ordered 1
		.amdhsa_forward_progress 1
		.amdhsa_inst_pref_size 0
		.amdhsa_round_robin_scheduling 0
		.amdhsa_exception_fp_ieee_invalid_op 0
		.amdhsa_exception_fp_denorm_src 0
		.amdhsa_exception_fp_ieee_div_zero 0
		.amdhsa_exception_fp_ieee_overflow 0
		.amdhsa_exception_fp_ieee_underflow 0
		.amdhsa_exception_fp_ieee_inexact 0
		.amdhsa_exception_int_div_zero 0
	.end_amdhsa_kernel
	.section	.text._ZN7rocprim17ROCPRIM_400000_NS6detail17trampoline_kernelINS0_14default_configENS1_25transform_config_selectorIlLb0EEEZNS1_14transform_implILb0ES3_S5_NS0_18transform_iteratorINS0_17counting_iteratorImlEEZNS1_24adjacent_difference_implIS3_Lb1ELb0EPlSB_ZN2at6native12_GLOBAL__N_124unique_dim_cuda_templateIlEESt5tupleIJNSC_6TensorESH_SH_EERKSH_lbbbEUlllE1_EE10hipError_tPvRmT2_T3_mT4_P12ihipStream_tbEUlmE_lEESB_NS0_8identityIvEEEESM_SP_SQ_mSR_ST_bEUlT_E_NS1_11comp_targetILNS1_3genE4ELNS1_11target_archE910ELNS1_3gpuE8ELNS1_3repE0EEENS1_30default_config_static_selectorELNS0_4arch9wavefront6targetE0EEEvT1_,"axG",@progbits,_ZN7rocprim17ROCPRIM_400000_NS6detail17trampoline_kernelINS0_14default_configENS1_25transform_config_selectorIlLb0EEEZNS1_14transform_implILb0ES3_S5_NS0_18transform_iteratorINS0_17counting_iteratorImlEEZNS1_24adjacent_difference_implIS3_Lb1ELb0EPlSB_ZN2at6native12_GLOBAL__N_124unique_dim_cuda_templateIlEESt5tupleIJNSC_6TensorESH_SH_EERKSH_lbbbEUlllE1_EE10hipError_tPvRmT2_T3_mT4_P12ihipStream_tbEUlmE_lEESB_NS0_8identityIvEEEESM_SP_SQ_mSR_ST_bEUlT_E_NS1_11comp_targetILNS1_3genE4ELNS1_11target_archE910ELNS1_3gpuE8ELNS1_3repE0EEENS1_30default_config_static_selectorELNS0_4arch9wavefront6targetE0EEEvT1_,comdat
.Lfunc_end548:
	.size	_ZN7rocprim17ROCPRIM_400000_NS6detail17trampoline_kernelINS0_14default_configENS1_25transform_config_selectorIlLb0EEEZNS1_14transform_implILb0ES3_S5_NS0_18transform_iteratorINS0_17counting_iteratorImlEEZNS1_24adjacent_difference_implIS3_Lb1ELb0EPlSB_ZN2at6native12_GLOBAL__N_124unique_dim_cuda_templateIlEESt5tupleIJNSC_6TensorESH_SH_EERKSH_lbbbEUlllE1_EE10hipError_tPvRmT2_T3_mT4_P12ihipStream_tbEUlmE_lEESB_NS0_8identityIvEEEESM_SP_SQ_mSR_ST_bEUlT_E_NS1_11comp_targetILNS1_3genE4ELNS1_11target_archE910ELNS1_3gpuE8ELNS1_3repE0EEENS1_30default_config_static_selectorELNS0_4arch9wavefront6targetE0EEEvT1_, .Lfunc_end548-_ZN7rocprim17ROCPRIM_400000_NS6detail17trampoline_kernelINS0_14default_configENS1_25transform_config_selectorIlLb0EEEZNS1_14transform_implILb0ES3_S5_NS0_18transform_iteratorINS0_17counting_iteratorImlEEZNS1_24adjacent_difference_implIS3_Lb1ELb0EPlSB_ZN2at6native12_GLOBAL__N_124unique_dim_cuda_templateIlEESt5tupleIJNSC_6TensorESH_SH_EERKSH_lbbbEUlllE1_EE10hipError_tPvRmT2_T3_mT4_P12ihipStream_tbEUlmE_lEESB_NS0_8identityIvEEEESM_SP_SQ_mSR_ST_bEUlT_E_NS1_11comp_targetILNS1_3genE4ELNS1_11target_archE910ELNS1_3gpuE8ELNS1_3repE0EEENS1_30default_config_static_selectorELNS0_4arch9wavefront6targetE0EEEvT1_
                                        ; -- End function
	.set _ZN7rocprim17ROCPRIM_400000_NS6detail17trampoline_kernelINS0_14default_configENS1_25transform_config_selectorIlLb0EEEZNS1_14transform_implILb0ES3_S5_NS0_18transform_iteratorINS0_17counting_iteratorImlEEZNS1_24adjacent_difference_implIS3_Lb1ELb0EPlSB_ZN2at6native12_GLOBAL__N_124unique_dim_cuda_templateIlEESt5tupleIJNSC_6TensorESH_SH_EERKSH_lbbbEUlllE1_EE10hipError_tPvRmT2_T3_mT4_P12ihipStream_tbEUlmE_lEESB_NS0_8identityIvEEEESM_SP_SQ_mSR_ST_bEUlT_E_NS1_11comp_targetILNS1_3genE4ELNS1_11target_archE910ELNS1_3gpuE8ELNS1_3repE0EEENS1_30default_config_static_selectorELNS0_4arch9wavefront6targetE0EEEvT1_.num_vgpr, 0
	.set _ZN7rocprim17ROCPRIM_400000_NS6detail17trampoline_kernelINS0_14default_configENS1_25transform_config_selectorIlLb0EEEZNS1_14transform_implILb0ES3_S5_NS0_18transform_iteratorINS0_17counting_iteratorImlEEZNS1_24adjacent_difference_implIS3_Lb1ELb0EPlSB_ZN2at6native12_GLOBAL__N_124unique_dim_cuda_templateIlEESt5tupleIJNSC_6TensorESH_SH_EERKSH_lbbbEUlllE1_EE10hipError_tPvRmT2_T3_mT4_P12ihipStream_tbEUlmE_lEESB_NS0_8identityIvEEEESM_SP_SQ_mSR_ST_bEUlT_E_NS1_11comp_targetILNS1_3genE4ELNS1_11target_archE910ELNS1_3gpuE8ELNS1_3repE0EEENS1_30default_config_static_selectorELNS0_4arch9wavefront6targetE0EEEvT1_.num_agpr, 0
	.set _ZN7rocprim17ROCPRIM_400000_NS6detail17trampoline_kernelINS0_14default_configENS1_25transform_config_selectorIlLb0EEEZNS1_14transform_implILb0ES3_S5_NS0_18transform_iteratorINS0_17counting_iteratorImlEEZNS1_24adjacent_difference_implIS3_Lb1ELb0EPlSB_ZN2at6native12_GLOBAL__N_124unique_dim_cuda_templateIlEESt5tupleIJNSC_6TensorESH_SH_EERKSH_lbbbEUlllE1_EE10hipError_tPvRmT2_T3_mT4_P12ihipStream_tbEUlmE_lEESB_NS0_8identityIvEEEESM_SP_SQ_mSR_ST_bEUlT_E_NS1_11comp_targetILNS1_3genE4ELNS1_11target_archE910ELNS1_3gpuE8ELNS1_3repE0EEENS1_30default_config_static_selectorELNS0_4arch9wavefront6targetE0EEEvT1_.numbered_sgpr, 0
	.set _ZN7rocprim17ROCPRIM_400000_NS6detail17trampoline_kernelINS0_14default_configENS1_25transform_config_selectorIlLb0EEEZNS1_14transform_implILb0ES3_S5_NS0_18transform_iteratorINS0_17counting_iteratorImlEEZNS1_24adjacent_difference_implIS3_Lb1ELb0EPlSB_ZN2at6native12_GLOBAL__N_124unique_dim_cuda_templateIlEESt5tupleIJNSC_6TensorESH_SH_EERKSH_lbbbEUlllE1_EE10hipError_tPvRmT2_T3_mT4_P12ihipStream_tbEUlmE_lEESB_NS0_8identityIvEEEESM_SP_SQ_mSR_ST_bEUlT_E_NS1_11comp_targetILNS1_3genE4ELNS1_11target_archE910ELNS1_3gpuE8ELNS1_3repE0EEENS1_30default_config_static_selectorELNS0_4arch9wavefront6targetE0EEEvT1_.num_named_barrier, 0
	.set _ZN7rocprim17ROCPRIM_400000_NS6detail17trampoline_kernelINS0_14default_configENS1_25transform_config_selectorIlLb0EEEZNS1_14transform_implILb0ES3_S5_NS0_18transform_iteratorINS0_17counting_iteratorImlEEZNS1_24adjacent_difference_implIS3_Lb1ELb0EPlSB_ZN2at6native12_GLOBAL__N_124unique_dim_cuda_templateIlEESt5tupleIJNSC_6TensorESH_SH_EERKSH_lbbbEUlllE1_EE10hipError_tPvRmT2_T3_mT4_P12ihipStream_tbEUlmE_lEESB_NS0_8identityIvEEEESM_SP_SQ_mSR_ST_bEUlT_E_NS1_11comp_targetILNS1_3genE4ELNS1_11target_archE910ELNS1_3gpuE8ELNS1_3repE0EEENS1_30default_config_static_selectorELNS0_4arch9wavefront6targetE0EEEvT1_.private_seg_size, 0
	.set _ZN7rocprim17ROCPRIM_400000_NS6detail17trampoline_kernelINS0_14default_configENS1_25transform_config_selectorIlLb0EEEZNS1_14transform_implILb0ES3_S5_NS0_18transform_iteratorINS0_17counting_iteratorImlEEZNS1_24adjacent_difference_implIS3_Lb1ELb0EPlSB_ZN2at6native12_GLOBAL__N_124unique_dim_cuda_templateIlEESt5tupleIJNSC_6TensorESH_SH_EERKSH_lbbbEUlllE1_EE10hipError_tPvRmT2_T3_mT4_P12ihipStream_tbEUlmE_lEESB_NS0_8identityIvEEEESM_SP_SQ_mSR_ST_bEUlT_E_NS1_11comp_targetILNS1_3genE4ELNS1_11target_archE910ELNS1_3gpuE8ELNS1_3repE0EEENS1_30default_config_static_selectorELNS0_4arch9wavefront6targetE0EEEvT1_.uses_vcc, 0
	.set _ZN7rocprim17ROCPRIM_400000_NS6detail17trampoline_kernelINS0_14default_configENS1_25transform_config_selectorIlLb0EEEZNS1_14transform_implILb0ES3_S5_NS0_18transform_iteratorINS0_17counting_iteratorImlEEZNS1_24adjacent_difference_implIS3_Lb1ELb0EPlSB_ZN2at6native12_GLOBAL__N_124unique_dim_cuda_templateIlEESt5tupleIJNSC_6TensorESH_SH_EERKSH_lbbbEUlllE1_EE10hipError_tPvRmT2_T3_mT4_P12ihipStream_tbEUlmE_lEESB_NS0_8identityIvEEEESM_SP_SQ_mSR_ST_bEUlT_E_NS1_11comp_targetILNS1_3genE4ELNS1_11target_archE910ELNS1_3gpuE8ELNS1_3repE0EEENS1_30default_config_static_selectorELNS0_4arch9wavefront6targetE0EEEvT1_.uses_flat_scratch, 0
	.set _ZN7rocprim17ROCPRIM_400000_NS6detail17trampoline_kernelINS0_14default_configENS1_25transform_config_selectorIlLb0EEEZNS1_14transform_implILb0ES3_S5_NS0_18transform_iteratorINS0_17counting_iteratorImlEEZNS1_24adjacent_difference_implIS3_Lb1ELb0EPlSB_ZN2at6native12_GLOBAL__N_124unique_dim_cuda_templateIlEESt5tupleIJNSC_6TensorESH_SH_EERKSH_lbbbEUlllE1_EE10hipError_tPvRmT2_T3_mT4_P12ihipStream_tbEUlmE_lEESB_NS0_8identityIvEEEESM_SP_SQ_mSR_ST_bEUlT_E_NS1_11comp_targetILNS1_3genE4ELNS1_11target_archE910ELNS1_3gpuE8ELNS1_3repE0EEENS1_30default_config_static_selectorELNS0_4arch9wavefront6targetE0EEEvT1_.has_dyn_sized_stack, 0
	.set _ZN7rocprim17ROCPRIM_400000_NS6detail17trampoline_kernelINS0_14default_configENS1_25transform_config_selectorIlLb0EEEZNS1_14transform_implILb0ES3_S5_NS0_18transform_iteratorINS0_17counting_iteratorImlEEZNS1_24adjacent_difference_implIS3_Lb1ELb0EPlSB_ZN2at6native12_GLOBAL__N_124unique_dim_cuda_templateIlEESt5tupleIJNSC_6TensorESH_SH_EERKSH_lbbbEUlllE1_EE10hipError_tPvRmT2_T3_mT4_P12ihipStream_tbEUlmE_lEESB_NS0_8identityIvEEEESM_SP_SQ_mSR_ST_bEUlT_E_NS1_11comp_targetILNS1_3genE4ELNS1_11target_archE910ELNS1_3gpuE8ELNS1_3repE0EEENS1_30default_config_static_selectorELNS0_4arch9wavefront6targetE0EEEvT1_.has_recursion, 0
	.set _ZN7rocprim17ROCPRIM_400000_NS6detail17trampoline_kernelINS0_14default_configENS1_25transform_config_selectorIlLb0EEEZNS1_14transform_implILb0ES3_S5_NS0_18transform_iteratorINS0_17counting_iteratorImlEEZNS1_24adjacent_difference_implIS3_Lb1ELb0EPlSB_ZN2at6native12_GLOBAL__N_124unique_dim_cuda_templateIlEESt5tupleIJNSC_6TensorESH_SH_EERKSH_lbbbEUlllE1_EE10hipError_tPvRmT2_T3_mT4_P12ihipStream_tbEUlmE_lEESB_NS0_8identityIvEEEESM_SP_SQ_mSR_ST_bEUlT_E_NS1_11comp_targetILNS1_3genE4ELNS1_11target_archE910ELNS1_3gpuE8ELNS1_3repE0EEENS1_30default_config_static_selectorELNS0_4arch9wavefront6targetE0EEEvT1_.has_indirect_call, 0
	.section	.AMDGPU.csdata,"",@progbits
; Kernel info:
; codeLenInByte = 0
; TotalNumSgprs: 0
; NumVgprs: 0
; ScratchSize: 0
; MemoryBound: 0
; FloatMode: 240
; IeeeMode: 1
; LDSByteSize: 0 bytes/workgroup (compile time only)
; SGPRBlocks: 0
; VGPRBlocks: 0
; NumSGPRsForWavesPerEU: 1
; NumVGPRsForWavesPerEU: 1
; NamedBarCnt: 0
; Occupancy: 16
; WaveLimiterHint : 0
; COMPUTE_PGM_RSRC2:SCRATCH_EN: 0
; COMPUTE_PGM_RSRC2:USER_SGPR: 2
; COMPUTE_PGM_RSRC2:TRAP_HANDLER: 0
; COMPUTE_PGM_RSRC2:TGID_X_EN: 1
; COMPUTE_PGM_RSRC2:TGID_Y_EN: 0
; COMPUTE_PGM_RSRC2:TGID_Z_EN: 0
; COMPUTE_PGM_RSRC2:TIDIG_COMP_CNT: 0
	.section	.text._ZN7rocprim17ROCPRIM_400000_NS6detail17trampoline_kernelINS0_14default_configENS1_25transform_config_selectorIlLb0EEEZNS1_14transform_implILb0ES3_S5_NS0_18transform_iteratorINS0_17counting_iteratorImlEEZNS1_24adjacent_difference_implIS3_Lb1ELb0EPlSB_ZN2at6native12_GLOBAL__N_124unique_dim_cuda_templateIlEESt5tupleIJNSC_6TensorESH_SH_EERKSH_lbbbEUlllE1_EE10hipError_tPvRmT2_T3_mT4_P12ihipStream_tbEUlmE_lEESB_NS0_8identityIvEEEESM_SP_SQ_mSR_ST_bEUlT_E_NS1_11comp_targetILNS1_3genE3ELNS1_11target_archE908ELNS1_3gpuE7ELNS1_3repE0EEENS1_30default_config_static_selectorELNS0_4arch9wavefront6targetE0EEEvT1_,"axG",@progbits,_ZN7rocprim17ROCPRIM_400000_NS6detail17trampoline_kernelINS0_14default_configENS1_25transform_config_selectorIlLb0EEEZNS1_14transform_implILb0ES3_S5_NS0_18transform_iteratorINS0_17counting_iteratorImlEEZNS1_24adjacent_difference_implIS3_Lb1ELb0EPlSB_ZN2at6native12_GLOBAL__N_124unique_dim_cuda_templateIlEESt5tupleIJNSC_6TensorESH_SH_EERKSH_lbbbEUlllE1_EE10hipError_tPvRmT2_T3_mT4_P12ihipStream_tbEUlmE_lEESB_NS0_8identityIvEEEESM_SP_SQ_mSR_ST_bEUlT_E_NS1_11comp_targetILNS1_3genE3ELNS1_11target_archE908ELNS1_3gpuE7ELNS1_3repE0EEENS1_30default_config_static_selectorELNS0_4arch9wavefront6targetE0EEEvT1_,comdat
	.globl	_ZN7rocprim17ROCPRIM_400000_NS6detail17trampoline_kernelINS0_14default_configENS1_25transform_config_selectorIlLb0EEEZNS1_14transform_implILb0ES3_S5_NS0_18transform_iteratorINS0_17counting_iteratorImlEEZNS1_24adjacent_difference_implIS3_Lb1ELb0EPlSB_ZN2at6native12_GLOBAL__N_124unique_dim_cuda_templateIlEESt5tupleIJNSC_6TensorESH_SH_EERKSH_lbbbEUlllE1_EE10hipError_tPvRmT2_T3_mT4_P12ihipStream_tbEUlmE_lEESB_NS0_8identityIvEEEESM_SP_SQ_mSR_ST_bEUlT_E_NS1_11comp_targetILNS1_3genE3ELNS1_11target_archE908ELNS1_3gpuE7ELNS1_3repE0EEENS1_30default_config_static_selectorELNS0_4arch9wavefront6targetE0EEEvT1_ ; -- Begin function _ZN7rocprim17ROCPRIM_400000_NS6detail17trampoline_kernelINS0_14default_configENS1_25transform_config_selectorIlLb0EEEZNS1_14transform_implILb0ES3_S5_NS0_18transform_iteratorINS0_17counting_iteratorImlEEZNS1_24adjacent_difference_implIS3_Lb1ELb0EPlSB_ZN2at6native12_GLOBAL__N_124unique_dim_cuda_templateIlEESt5tupleIJNSC_6TensorESH_SH_EERKSH_lbbbEUlllE1_EE10hipError_tPvRmT2_T3_mT4_P12ihipStream_tbEUlmE_lEESB_NS0_8identityIvEEEESM_SP_SQ_mSR_ST_bEUlT_E_NS1_11comp_targetILNS1_3genE3ELNS1_11target_archE908ELNS1_3gpuE7ELNS1_3repE0EEENS1_30default_config_static_selectorELNS0_4arch9wavefront6targetE0EEEvT1_
	.p2align	8
	.type	_ZN7rocprim17ROCPRIM_400000_NS6detail17trampoline_kernelINS0_14default_configENS1_25transform_config_selectorIlLb0EEEZNS1_14transform_implILb0ES3_S5_NS0_18transform_iteratorINS0_17counting_iteratorImlEEZNS1_24adjacent_difference_implIS3_Lb1ELb0EPlSB_ZN2at6native12_GLOBAL__N_124unique_dim_cuda_templateIlEESt5tupleIJNSC_6TensorESH_SH_EERKSH_lbbbEUlllE1_EE10hipError_tPvRmT2_T3_mT4_P12ihipStream_tbEUlmE_lEESB_NS0_8identityIvEEEESM_SP_SQ_mSR_ST_bEUlT_E_NS1_11comp_targetILNS1_3genE3ELNS1_11target_archE908ELNS1_3gpuE7ELNS1_3repE0EEENS1_30default_config_static_selectorELNS0_4arch9wavefront6targetE0EEEvT1_,@function
_ZN7rocprim17ROCPRIM_400000_NS6detail17trampoline_kernelINS0_14default_configENS1_25transform_config_selectorIlLb0EEEZNS1_14transform_implILb0ES3_S5_NS0_18transform_iteratorINS0_17counting_iteratorImlEEZNS1_24adjacent_difference_implIS3_Lb1ELb0EPlSB_ZN2at6native12_GLOBAL__N_124unique_dim_cuda_templateIlEESt5tupleIJNSC_6TensorESH_SH_EERKSH_lbbbEUlllE1_EE10hipError_tPvRmT2_T3_mT4_P12ihipStream_tbEUlmE_lEESB_NS0_8identityIvEEEESM_SP_SQ_mSR_ST_bEUlT_E_NS1_11comp_targetILNS1_3genE3ELNS1_11target_archE908ELNS1_3gpuE7ELNS1_3repE0EEENS1_30default_config_static_selectorELNS0_4arch9wavefront6targetE0EEEvT1_: ; @_ZN7rocprim17ROCPRIM_400000_NS6detail17trampoline_kernelINS0_14default_configENS1_25transform_config_selectorIlLb0EEEZNS1_14transform_implILb0ES3_S5_NS0_18transform_iteratorINS0_17counting_iteratorImlEEZNS1_24adjacent_difference_implIS3_Lb1ELb0EPlSB_ZN2at6native12_GLOBAL__N_124unique_dim_cuda_templateIlEESt5tupleIJNSC_6TensorESH_SH_EERKSH_lbbbEUlllE1_EE10hipError_tPvRmT2_T3_mT4_P12ihipStream_tbEUlmE_lEESB_NS0_8identityIvEEEESM_SP_SQ_mSR_ST_bEUlT_E_NS1_11comp_targetILNS1_3genE3ELNS1_11target_archE908ELNS1_3gpuE7ELNS1_3repE0EEENS1_30default_config_static_selectorELNS0_4arch9wavefront6targetE0EEEvT1_
; %bb.0:
	.section	.rodata,"a",@progbits
	.p2align	6, 0x0
	.amdhsa_kernel _ZN7rocprim17ROCPRIM_400000_NS6detail17trampoline_kernelINS0_14default_configENS1_25transform_config_selectorIlLb0EEEZNS1_14transform_implILb0ES3_S5_NS0_18transform_iteratorINS0_17counting_iteratorImlEEZNS1_24adjacent_difference_implIS3_Lb1ELb0EPlSB_ZN2at6native12_GLOBAL__N_124unique_dim_cuda_templateIlEESt5tupleIJNSC_6TensorESH_SH_EERKSH_lbbbEUlllE1_EE10hipError_tPvRmT2_T3_mT4_P12ihipStream_tbEUlmE_lEESB_NS0_8identityIvEEEESM_SP_SQ_mSR_ST_bEUlT_E_NS1_11comp_targetILNS1_3genE3ELNS1_11target_archE908ELNS1_3gpuE7ELNS1_3repE0EEENS1_30default_config_static_selectorELNS0_4arch9wavefront6targetE0EEEvT1_
		.amdhsa_group_segment_fixed_size 0
		.amdhsa_private_segment_fixed_size 0
		.amdhsa_kernarg_size 56
		.amdhsa_user_sgpr_count 2
		.amdhsa_user_sgpr_dispatch_ptr 0
		.amdhsa_user_sgpr_queue_ptr 0
		.amdhsa_user_sgpr_kernarg_segment_ptr 1
		.amdhsa_user_sgpr_dispatch_id 0
		.amdhsa_user_sgpr_kernarg_preload_length 0
		.amdhsa_user_sgpr_kernarg_preload_offset 0
		.amdhsa_user_sgpr_private_segment_size 0
		.amdhsa_wavefront_size32 1
		.amdhsa_uses_dynamic_stack 0
		.amdhsa_enable_private_segment 0
		.amdhsa_system_sgpr_workgroup_id_x 1
		.amdhsa_system_sgpr_workgroup_id_y 0
		.amdhsa_system_sgpr_workgroup_id_z 0
		.amdhsa_system_sgpr_workgroup_info 0
		.amdhsa_system_vgpr_workitem_id 0
		.amdhsa_next_free_vgpr 1
		.amdhsa_next_free_sgpr 1
		.amdhsa_named_barrier_count 0
		.amdhsa_reserve_vcc 0
		.amdhsa_float_round_mode_32 0
		.amdhsa_float_round_mode_16_64 0
		.amdhsa_float_denorm_mode_32 3
		.amdhsa_float_denorm_mode_16_64 3
		.amdhsa_fp16_overflow 0
		.amdhsa_memory_ordered 1
		.amdhsa_forward_progress 1
		.amdhsa_inst_pref_size 0
		.amdhsa_round_robin_scheduling 0
		.amdhsa_exception_fp_ieee_invalid_op 0
		.amdhsa_exception_fp_denorm_src 0
		.amdhsa_exception_fp_ieee_div_zero 0
		.amdhsa_exception_fp_ieee_overflow 0
		.amdhsa_exception_fp_ieee_underflow 0
		.amdhsa_exception_fp_ieee_inexact 0
		.amdhsa_exception_int_div_zero 0
	.end_amdhsa_kernel
	.section	.text._ZN7rocprim17ROCPRIM_400000_NS6detail17trampoline_kernelINS0_14default_configENS1_25transform_config_selectorIlLb0EEEZNS1_14transform_implILb0ES3_S5_NS0_18transform_iteratorINS0_17counting_iteratorImlEEZNS1_24adjacent_difference_implIS3_Lb1ELb0EPlSB_ZN2at6native12_GLOBAL__N_124unique_dim_cuda_templateIlEESt5tupleIJNSC_6TensorESH_SH_EERKSH_lbbbEUlllE1_EE10hipError_tPvRmT2_T3_mT4_P12ihipStream_tbEUlmE_lEESB_NS0_8identityIvEEEESM_SP_SQ_mSR_ST_bEUlT_E_NS1_11comp_targetILNS1_3genE3ELNS1_11target_archE908ELNS1_3gpuE7ELNS1_3repE0EEENS1_30default_config_static_selectorELNS0_4arch9wavefront6targetE0EEEvT1_,"axG",@progbits,_ZN7rocprim17ROCPRIM_400000_NS6detail17trampoline_kernelINS0_14default_configENS1_25transform_config_selectorIlLb0EEEZNS1_14transform_implILb0ES3_S5_NS0_18transform_iteratorINS0_17counting_iteratorImlEEZNS1_24adjacent_difference_implIS3_Lb1ELb0EPlSB_ZN2at6native12_GLOBAL__N_124unique_dim_cuda_templateIlEESt5tupleIJNSC_6TensorESH_SH_EERKSH_lbbbEUlllE1_EE10hipError_tPvRmT2_T3_mT4_P12ihipStream_tbEUlmE_lEESB_NS0_8identityIvEEEESM_SP_SQ_mSR_ST_bEUlT_E_NS1_11comp_targetILNS1_3genE3ELNS1_11target_archE908ELNS1_3gpuE7ELNS1_3repE0EEENS1_30default_config_static_selectorELNS0_4arch9wavefront6targetE0EEEvT1_,comdat
.Lfunc_end549:
	.size	_ZN7rocprim17ROCPRIM_400000_NS6detail17trampoline_kernelINS0_14default_configENS1_25transform_config_selectorIlLb0EEEZNS1_14transform_implILb0ES3_S5_NS0_18transform_iteratorINS0_17counting_iteratorImlEEZNS1_24adjacent_difference_implIS3_Lb1ELb0EPlSB_ZN2at6native12_GLOBAL__N_124unique_dim_cuda_templateIlEESt5tupleIJNSC_6TensorESH_SH_EERKSH_lbbbEUlllE1_EE10hipError_tPvRmT2_T3_mT4_P12ihipStream_tbEUlmE_lEESB_NS0_8identityIvEEEESM_SP_SQ_mSR_ST_bEUlT_E_NS1_11comp_targetILNS1_3genE3ELNS1_11target_archE908ELNS1_3gpuE7ELNS1_3repE0EEENS1_30default_config_static_selectorELNS0_4arch9wavefront6targetE0EEEvT1_, .Lfunc_end549-_ZN7rocprim17ROCPRIM_400000_NS6detail17trampoline_kernelINS0_14default_configENS1_25transform_config_selectorIlLb0EEEZNS1_14transform_implILb0ES3_S5_NS0_18transform_iteratorINS0_17counting_iteratorImlEEZNS1_24adjacent_difference_implIS3_Lb1ELb0EPlSB_ZN2at6native12_GLOBAL__N_124unique_dim_cuda_templateIlEESt5tupleIJNSC_6TensorESH_SH_EERKSH_lbbbEUlllE1_EE10hipError_tPvRmT2_T3_mT4_P12ihipStream_tbEUlmE_lEESB_NS0_8identityIvEEEESM_SP_SQ_mSR_ST_bEUlT_E_NS1_11comp_targetILNS1_3genE3ELNS1_11target_archE908ELNS1_3gpuE7ELNS1_3repE0EEENS1_30default_config_static_selectorELNS0_4arch9wavefront6targetE0EEEvT1_
                                        ; -- End function
	.set _ZN7rocprim17ROCPRIM_400000_NS6detail17trampoline_kernelINS0_14default_configENS1_25transform_config_selectorIlLb0EEEZNS1_14transform_implILb0ES3_S5_NS0_18transform_iteratorINS0_17counting_iteratorImlEEZNS1_24adjacent_difference_implIS3_Lb1ELb0EPlSB_ZN2at6native12_GLOBAL__N_124unique_dim_cuda_templateIlEESt5tupleIJNSC_6TensorESH_SH_EERKSH_lbbbEUlllE1_EE10hipError_tPvRmT2_T3_mT4_P12ihipStream_tbEUlmE_lEESB_NS0_8identityIvEEEESM_SP_SQ_mSR_ST_bEUlT_E_NS1_11comp_targetILNS1_3genE3ELNS1_11target_archE908ELNS1_3gpuE7ELNS1_3repE0EEENS1_30default_config_static_selectorELNS0_4arch9wavefront6targetE0EEEvT1_.num_vgpr, 0
	.set _ZN7rocprim17ROCPRIM_400000_NS6detail17trampoline_kernelINS0_14default_configENS1_25transform_config_selectorIlLb0EEEZNS1_14transform_implILb0ES3_S5_NS0_18transform_iteratorINS0_17counting_iteratorImlEEZNS1_24adjacent_difference_implIS3_Lb1ELb0EPlSB_ZN2at6native12_GLOBAL__N_124unique_dim_cuda_templateIlEESt5tupleIJNSC_6TensorESH_SH_EERKSH_lbbbEUlllE1_EE10hipError_tPvRmT2_T3_mT4_P12ihipStream_tbEUlmE_lEESB_NS0_8identityIvEEEESM_SP_SQ_mSR_ST_bEUlT_E_NS1_11comp_targetILNS1_3genE3ELNS1_11target_archE908ELNS1_3gpuE7ELNS1_3repE0EEENS1_30default_config_static_selectorELNS0_4arch9wavefront6targetE0EEEvT1_.num_agpr, 0
	.set _ZN7rocprim17ROCPRIM_400000_NS6detail17trampoline_kernelINS0_14default_configENS1_25transform_config_selectorIlLb0EEEZNS1_14transform_implILb0ES3_S5_NS0_18transform_iteratorINS0_17counting_iteratorImlEEZNS1_24adjacent_difference_implIS3_Lb1ELb0EPlSB_ZN2at6native12_GLOBAL__N_124unique_dim_cuda_templateIlEESt5tupleIJNSC_6TensorESH_SH_EERKSH_lbbbEUlllE1_EE10hipError_tPvRmT2_T3_mT4_P12ihipStream_tbEUlmE_lEESB_NS0_8identityIvEEEESM_SP_SQ_mSR_ST_bEUlT_E_NS1_11comp_targetILNS1_3genE3ELNS1_11target_archE908ELNS1_3gpuE7ELNS1_3repE0EEENS1_30default_config_static_selectorELNS0_4arch9wavefront6targetE0EEEvT1_.numbered_sgpr, 0
	.set _ZN7rocprim17ROCPRIM_400000_NS6detail17trampoline_kernelINS0_14default_configENS1_25transform_config_selectorIlLb0EEEZNS1_14transform_implILb0ES3_S5_NS0_18transform_iteratorINS0_17counting_iteratorImlEEZNS1_24adjacent_difference_implIS3_Lb1ELb0EPlSB_ZN2at6native12_GLOBAL__N_124unique_dim_cuda_templateIlEESt5tupleIJNSC_6TensorESH_SH_EERKSH_lbbbEUlllE1_EE10hipError_tPvRmT2_T3_mT4_P12ihipStream_tbEUlmE_lEESB_NS0_8identityIvEEEESM_SP_SQ_mSR_ST_bEUlT_E_NS1_11comp_targetILNS1_3genE3ELNS1_11target_archE908ELNS1_3gpuE7ELNS1_3repE0EEENS1_30default_config_static_selectorELNS0_4arch9wavefront6targetE0EEEvT1_.num_named_barrier, 0
	.set _ZN7rocprim17ROCPRIM_400000_NS6detail17trampoline_kernelINS0_14default_configENS1_25transform_config_selectorIlLb0EEEZNS1_14transform_implILb0ES3_S5_NS0_18transform_iteratorINS0_17counting_iteratorImlEEZNS1_24adjacent_difference_implIS3_Lb1ELb0EPlSB_ZN2at6native12_GLOBAL__N_124unique_dim_cuda_templateIlEESt5tupleIJNSC_6TensorESH_SH_EERKSH_lbbbEUlllE1_EE10hipError_tPvRmT2_T3_mT4_P12ihipStream_tbEUlmE_lEESB_NS0_8identityIvEEEESM_SP_SQ_mSR_ST_bEUlT_E_NS1_11comp_targetILNS1_3genE3ELNS1_11target_archE908ELNS1_3gpuE7ELNS1_3repE0EEENS1_30default_config_static_selectorELNS0_4arch9wavefront6targetE0EEEvT1_.private_seg_size, 0
	.set _ZN7rocprim17ROCPRIM_400000_NS6detail17trampoline_kernelINS0_14default_configENS1_25transform_config_selectorIlLb0EEEZNS1_14transform_implILb0ES3_S5_NS0_18transform_iteratorINS0_17counting_iteratorImlEEZNS1_24adjacent_difference_implIS3_Lb1ELb0EPlSB_ZN2at6native12_GLOBAL__N_124unique_dim_cuda_templateIlEESt5tupleIJNSC_6TensorESH_SH_EERKSH_lbbbEUlllE1_EE10hipError_tPvRmT2_T3_mT4_P12ihipStream_tbEUlmE_lEESB_NS0_8identityIvEEEESM_SP_SQ_mSR_ST_bEUlT_E_NS1_11comp_targetILNS1_3genE3ELNS1_11target_archE908ELNS1_3gpuE7ELNS1_3repE0EEENS1_30default_config_static_selectorELNS0_4arch9wavefront6targetE0EEEvT1_.uses_vcc, 0
	.set _ZN7rocprim17ROCPRIM_400000_NS6detail17trampoline_kernelINS0_14default_configENS1_25transform_config_selectorIlLb0EEEZNS1_14transform_implILb0ES3_S5_NS0_18transform_iteratorINS0_17counting_iteratorImlEEZNS1_24adjacent_difference_implIS3_Lb1ELb0EPlSB_ZN2at6native12_GLOBAL__N_124unique_dim_cuda_templateIlEESt5tupleIJNSC_6TensorESH_SH_EERKSH_lbbbEUlllE1_EE10hipError_tPvRmT2_T3_mT4_P12ihipStream_tbEUlmE_lEESB_NS0_8identityIvEEEESM_SP_SQ_mSR_ST_bEUlT_E_NS1_11comp_targetILNS1_3genE3ELNS1_11target_archE908ELNS1_3gpuE7ELNS1_3repE0EEENS1_30default_config_static_selectorELNS0_4arch9wavefront6targetE0EEEvT1_.uses_flat_scratch, 0
	.set _ZN7rocprim17ROCPRIM_400000_NS6detail17trampoline_kernelINS0_14default_configENS1_25transform_config_selectorIlLb0EEEZNS1_14transform_implILb0ES3_S5_NS0_18transform_iteratorINS0_17counting_iteratorImlEEZNS1_24adjacent_difference_implIS3_Lb1ELb0EPlSB_ZN2at6native12_GLOBAL__N_124unique_dim_cuda_templateIlEESt5tupleIJNSC_6TensorESH_SH_EERKSH_lbbbEUlllE1_EE10hipError_tPvRmT2_T3_mT4_P12ihipStream_tbEUlmE_lEESB_NS0_8identityIvEEEESM_SP_SQ_mSR_ST_bEUlT_E_NS1_11comp_targetILNS1_3genE3ELNS1_11target_archE908ELNS1_3gpuE7ELNS1_3repE0EEENS1_30default_config_static_selectorELNS0_4arch9wavefront6targetE0EEEvT1_.has_dyn_sized_stack, 0
	.set _ZN7rocprim17ROCPRIM_400000_NS6detail17trampoline_kernelINS0_14default_configENS1_25transform_config_selectorIlLb0EEEZNS1_14transform_implILb0ES3_S5_NS0_18transform_iteratorINS0_17counting_iteratorImlEEZNS1_24adjacent_difference_implIS3_Lb1ELb0EPlSB_ZN2at6native12_GLOBAL__N_124unique_dim_cuda_templateIlEESt5tupleIJNSC_6TensorESH_SH_EERKSH_lbbbEUlllE1_EE10hipError_tPvRmT2_T3_mT4_P12ihipStream_tbEUlmE_lEESB_NS0_8identityIvEEEESM_SP_SQ_mSR_ST_bEUlT_E_NS1_11comp_targetILNS1_3genE3ELNS1_11target_archE908ELNS1_3gpuE7ELNS1_3repE0EEENS1_30default_config_static_selectorELNS0_4arch9wavefront6targetE0EEEvT1_.has_recursion, 0
	.set _ZN7rocprim17ROCPRIM_400000_NS6detail17trampoline_kernelINS0_14default_configENS1_25transform_config_selectorIlLb0EEEZNS1_14transform_implILb0ES3_S5_NS0_18transform_iteratorINS0_17counting_iteratorImlEEZNS1_24adjacent_difference_implIS3_Lb1ELb0EPlSB_ZN2at6native12_GLOBAL__N_124unique_dim_cuda_templateIlEESt5tupleIJNSC_6TensorESH_SH_EERKSH_lbbbEUlllE1_EE10hipError_tPvRmT2_T3_mT4_P12ihipStream_tbEUlmE_lEESB_NS0_8identityIvEEEESM_SP_SQ_mSR_ST_bEUlT_E_NS1_11comp_targetILNS1_3genE3ELNS1_11target_archE908ELNS1_3gpuE7ELNS1_3repE0EEENS1_30default_config_static_selectorELNS0_4arch9wavefront6targetE0EEEvT1_.has_indirect_call, 0
	.section	.AMDGPU.csdata,"",@progbits
; Kernel info:
; codeLenInByte = 0
; TotalNumSgprs: 0
; NumVgprs: 0
; ScratchSize: 0
; MemoryBound: 0
; FloatMode: 240
; IeeeMode: 1
; LDSByteSize: 0 bytes/workgroup (compile time only)
; SGPRBlocks: 0
; VGPRBlocks: 0
; NumSGPRsForWavesPerEU: 1
; NumVGPRsForWavesPerEU: 1
; NamedBarCnt: 0
; Occupancy: 16
; WaveLimiterHint : 0
; COMPUTE_PGM_RSRC2:SCRATCH_EN: 0
; COMPUTE_PGM_RSRC2:USER_SGPR: 2
; COMPUTE_PGM_RSRC2:TRAP_HANDLER: 0
; COMPUTE_PGM_RSRC2:TGID_X_EN: 1
; COMPUTE_PGM_RSRC2:TGID_Y_EN: 0
; COMPUTE_PGM_RSRC2:TGID_Z_EN: 0
; COMPUTE_PGM_RSRC2:TIDIG_COMP_CNT: 0
	.section	.text._ZN7rocprim17ROCPRIM_400000_NS6detail17trampoline_kernelINS0_14default_configENS1_25transform_config_selectorIlLb0EEEZNS1_14transform_implILb0ES3_S5_NS0_18transform_iteratorINS0_17counting_iteratorImlEEZNS1_24adjacent_difference_implIS3_Lb1ELb0EPlSB_ZN2at6native12_GLOBAL__N_124unique_dim_cuda_templateIlEESt5tupleIJNSC_6TensorESH_SH_EERKSH_lbbbEUlllE1_EE10hipError_tPvRmT2_T3_mT4_P12ihipStream_tbEUlmE_lEESB_NS0_8identityIvEEEESM_SP_SQ_mSR_ST_bEUlT_E_NS1_11comp_targetILNS1_3genE2ELNS1_11target_archE906ELNS1_3gpuE6ELNS1_3repE0EEENS1_30default_config_static_selectorELNS0_4arch9wavefront6targetE0EEEvT1_,"axG",@progbits,_ZN7rocprim17ROCPRIM_400000_NS6detail17trampoline_kernelINS0_14default_configENS1_25transform_config_selectorIlLb0EEEZNS1_14transform_implILb0ES3_S5_NS0_18transform_iteratorINS0_17counting_iteratorImlEEZNS1_24adjacent_difference_implIS3_Lb1ELb0EPlSB_ZN2at6native12_GLOBAL__N_124unique_dim_cuda_templateIlEESt5tupleIJNSC_6TensorESH_SH_EERKSH_lbbbEUlllE1_EE10hipError_tPvRmT2_T3_mT4_P12ihipStream_tbEUlmE_lEESB_NS0_8identityIvEEEESM_SP_SQ_mSR_ST_bEUlT_E_NS1_11comp_targetILNS1_3genE2ELNS1_11target_archE906ELNS1_3gpuE6ELNS1_3repE0EEENS1_30default_config_static_selectorELNS0_4arch9wavefront6targetE0EEEvT1_,comdat
	.globl	_ZN7rocprim17ROCPRIM_400000_NS6detail17trampoline_kernelINS0_14default_configENS1_25transform_config_selectorIlLb0EEEZNS1_14transform_implILb0ES3_S5_NS0_18transform_iteratorINS0_17counting_iteratorImlEEZNS1_24adjacent_difference_implIS3_Lb1ELb0EPlSB_ZN2at6native12_GLOBAL__N_124unique_dim_cuda_templateIlEESt5tupleIJNSC_6TensorESH_SH_EERKSH_lbbbEUlllE1_EE10hipError_tPvRmT2_T3_mT4_P12ihipStream_tbEUlmE_lEESB_NS0_8identityIvEEEESM_SP_SQ_mSR_ST_bEUlT_E_NS1_11comp_targetILNS1_3genE2ELNS1_11target_archE906ELNS1_3gpuE6ELNS1_3repE0EEENS1_30default_config_static_selectorELNS0_4arch9wavefront6targetE0EEEvT1_ ; -- Begin function _ZN7rocprim17ROCPRIM_400000_NS6detail17trampoline_kernelINS0_14default_configENS1_25transform_config_selectorIlLb0EEEZNS1_14transform_implILb0ES3_S5_NS0_18transform_iteratorINS0_17counting_iteratorImlEEZNS1_24adjacent_difference_implIS3_Lb1ELb0EPlSB_ZN2at6native12_GLOBAL__N_124unique_dim_cuda_templateIlEESt5tupleIJNSC_6TensorESH_SH_EERKSH_lbbbEUlllE1_EE10hipError_tPvRmT2_T3_mT4_P12ihipStream_tbEUlmE_lEESB_NS0_8identityIvEEEESM_SP_SQ_mSR_ST_bEUlT_E_NS1_11comp_targetILNS1_3genE2ELNS1_11target_archE906ELNS1_3gpuE6ELNS1_3repE0EEENS1_30default_config_static_selectorELNS0_4arch9wavefront6targetE0EEEvT1_
	.p2align	8
	.type	_ZN7rocprim17ROCPRIM_400000_NS6detail17trampoline_kernelINS0_14default_configENS1_25transform_config_selectorIlLb0EEEZNS1_14transform_implILb0ES3_S5_NS0_18transform_iteratorINS0_17counting_iteratorImlEEZNS1_24adjacent_difference_implIS3_Lb1ELb0EPlSB_ZN2at6native12_GLOBAL__N_124unique_dim_cuda_templateIlEESt5tupleIJNSC_6TensorESH_SH_EERKSH_lbbbEUlllE1_EE10hipError_tPvRmT2_T3_mT4_P12ihipStream_tbEUlmE_lEESB_NS0_8identityIvEEEESM_SP_SQ_mSR_ST_bEUlT_E_NS1_11comp_targetILNS1_3genE2ELNS1_11target_archE906ELNS1_3gpuE6ELNS1_3repE0EEENS1_30default_config_static_selectorELNS0_4arch9wavefront6targetE0EEEvT1_,@function
_ZN7rocprim17ROCPRIM_400000_NS6detail17trampoline_kernelINS0_14default_configENS1_25transform_config_selectorIlLb0EEEZNS1_14transform_implILb0ES3_S5_NS0_18transform_iteratorINS0_17counting_iteratorImlEEZNS1_24adjacent_difference_implIS3_Lb1ELb0EPlSB_ZN2at6native12_GLOBAL__N_124unique_dim_cuda_templateIlEESt5tupleIJNSC_6TensorESH_SH_EERKSH_lbbbEUlllE1_EE10hipError_tPvRmT2_T3_mT4_P12ihipStream_tbEUlmE_lEESB_NS0_8identityIvEEEESM_SP_SQ_mSR_ST_bEUlT_E_NS1_11comp_targetILNS1_3genE2ELNS1_11target_archE906ELNS1_3gpuE6ELNS1_3repE0EEENS1_30default_config_static_selectorELNS0_4arch9wavefront6targetE0EEEvT1_: ; @_ZN7rocprim17ROCPRIM_400000_NS6detail17trampoline_kernelINS0_14default_configENS1_25transform_config_selectorIlLb0EEEZNS1_14transform_implILb0ES3_S5_NS0_18transform_iteratorINS0_17counting_iteratorImlEEZNS1_24adjacent_difference_implIS3_Lb1ELb0EPlSB_ZN2at6native12_GLOBAL__N_124unique_dim_cuda_templateIlEESt5tupleIJNSC_6TensorESH_SH_EERKSH_lbbbEUlllE1_EE10hipError_tPvRmT2_T3_mT4_P12ihipStream_tbEUlmE_lEESB_NS0_8identityIvEEEESM_SP_SQ_mSR_ST_bEUlT_E_NS1_11comp_targetILNS1_3genE2ELNS1_11target_archE906ELNS1_3gpuE6ELNS1_3repE0EEENS1_30default_config_static_selectorELNS0_4arch9wavefront6targetE0EEEvT1_
; %bb.0:
	.section	.rodata,"a",@progbits
	.p2align	6, 0x0
	.amdhsa_kernel _ZN7rocprim17ROCPRIM_400000_NS6detail17trampoline_kernelINS0_14default_configENS1_25transform_config_selectorIlLb0EEEZNS1_14transform_implILb0ES3_S5_NS0_18transform_iteratorINS0_17counting_iteratorImlEEZNS1_24adjacent_difference_implIS3_Lb1ELb0EPlSB_ZN2at6native12_GLOBAL__N_124unique_dim_cuda_templateIlEESt5tupleIJNSC_6TensorESH_SH_EERKSH_lbbbEUlllE1_EE10hipError_tPvRmT2_T3_mT4_P12ihipStream_tbEUlmE_lEESB_NS0_8identityIvEEEESM_SP_SQ_mSR_ST_bEUlT_E_NS1_11comp_targetILNS1_3genE2ELNS1_11target_archE906ELNS1_3gpuE6ELNS1_3repE0EEENS1_30default_config_static_selectorELNS0_4arch9wavefront6targetE0EEEvT1_
		.amdhsa_group_segment_fixed_size 0
		.amdhsa_private_segment_fixed_size 0
		.amdhsa_kernarg_size 56
		.amdhsa_user_sgpr_count 2
		.amdhsa_user_sgpr_dispatch_ptr 0
		.amdhsa_user_sgpr_queue_ptr 0
		.amdhsa_user_sgpr_kernarg_segment_ptr 1
		.amdhsa_user_sgpr_dispatch_id 0
		.amdhsa_user_sgpr_kernarg_preload_length 0
		.amdhsa_user_sgpr_kernarg_preload_offset 0
		.amdhsa_user_sgpr_private_segment_size 0
		.amdhsa_wavefront_size32 1
		.amdhsa_uses_dynamic_stack 0
		.amdhsa_enable_private_segment 0
		.amdhsa_system_sgpr_workgroup_id_x 1
		.amdhsa_system_sgpr_workgroup_id_y 0
		.amdhsa_system_sgpr_workgroup_id_z 0
		.amdhsa_system_sgpr_workgroup_info 0
		.amdhsa_system_vgpr_workitem_id 0
		.amdhsa_next_free_vgpr 1
		.amdhsa_next_free_sgpr 1
		.amdhsa_named_barrier_count 0
		.amdhsa_reserve_vcc 0
		.amdhsa_float_round_mode_32 0
		.amdhsa_float_round_mode_16_64 0
		.amdhsa_float_denorm_mode_32 3
		.amdhsa_float_denorm_mode_16_64 3
		.amdhsa_fp16_overflow 0
		.amdhsa_memory_ordered 1
		.amdhsa_forward_progress 1
		.amdhsa_inst_pref_size 0
		.amdhsa_round_robin_scheduling 0
		.amdhsa_exception_fp_ieee_invalid_op 0
		.amdhsa_exception_fp_denorm_src 0
		.amdhsa_exception_fp_ieee_div_zero 0
		.amdhsa_exception_fp_ieee_overflow 0
		.amdhsa_exception_fp_ieee_underflow 0
		.amdhsa_exception_fp_ieee_inexact 0
		.amdhsa_exception_int_div_zero 0
	.end_amdhsa_kernel
	.section	.text._ZN7rocprim17ROCPRIM_400000_NS6detail17trampoline_kernelINS0_14default_configENS1_25transform_config_selectorIlLb0EEEZNS1_14transform_implILb0ES3_S5_NS0_18transform_iteratorINS0_17counting_iteratorImlEEZNS1_24adjacent_difference_implIS3_Lb1ELb0EPlSB_ZN2at6native12_GLOBAL__N_124unique_dim_cuda_templateIlEESt5tupleIJNSC_6TensorESH_SH_EERKSH_lbbbEUlllE1_EE10hipError_tPvRmT2_T3_mT4_P12ihipStream_tbEUlmE_lEESB_NS0_8identityIvEEEESM_SP_SQ_mSR_ST_bEUlT_E_NS1_11comp_targetILNS1_3genE2ELNS1_11target_archE906ELNS1_3gpuE6ELNS1_3repE0EEENS1_30default_config_static_selectorELNS0_4arch9wavefront6targetE0EEEvT1_,"axG",@progbits,_ZN7rocprim17ROCPRIM_400000_NS6detail17trampoline_kernelINS0_14default_configENS1_25transform_config_selectorIlLb0EEEZNS1_14transform_implILb0ES3_S5_NS0_18transform_iteratorINS0_17counting_iteratorImlEEZNS1_24adjacent_difference_implIS3_Lb1ELb0EPlSB_ZN2at6native12_GLOBAL__N_124unique_dim_cuda_templateIlEESt5tupleIJNSC_6TensorESH_SH_EERKSH_lbbbEUlllE1_EE10hipError_tPvRmT2_T3_mT4_P12ihipStream_tbEUlmE_lEESB_NS0_8identityIvEEEESM_SP_SQ_mSR_ST_bEUlT_E_NS1_11comp_targetILNS1_3genE2ELNS1_11target_archE906ELNS1_3gpuE6ELNS1_3repE0EEENS1_30default_config_static_selectorELNS0_4arch9wavefront6targetE0EEEvT1_,comdat
.Lfunc_end550:
	.size	_ZN7rocprim17ROCPRIM_400000_NS6detail17trampoline_kernelINS0_14default_configENS1_25transform_config_selectorIlLb0EEEZNS1_14transform_implILb0ES3_S5_NS0_18transform_iteratorINS0_17counting_iteratorImlEEZNS1_24adjacent_difference_implIS3_Lb1ELb0EPlSB_ZN2at6native12_GLOBAL__N_124unique_dim_cuda_templateIlEESt5tupleIJNSC_6TensorESH_SH_EERKSH_lbbbEUlllE1_EE10hipError_tPvRmT2_T3_mT4_P12ihipStream_tbEUlmE_lEESB_NS0_8identityIvEEEESM_SP_SQ_mSR_ST_bEUlT_E_NS1_11comp_targetILNS1_3genE2ELNS1_11target_archE906ELNS1_3gpuE6ELNS1_3repE0EEENS1_30default_config_static_selectorELNS0_4arch9wavefront6targetE0EEEvT1_, .Lfunc_end550-_ZN7rocprim17ROCPRIM_400000_NS6detail17trampoline_kernelINS0_14default_configENS1_25transform_config_selectorIlLb0EEEZNS1_14transform_implILb0ES3_S5_NS0_18transform_iteratorINS0_17counting_iteratorImlEEZNS1_24adjacent_difference_implIS3_Lb1ELb0EPlSB_ZN2at6native12_GLOBAL__N_124unique_dim_cuda_templateIlEESt5tupleIJNSC_6TensorESH_SH_EERKSH_lbbbEUlllE1_EE10hipError_tPvRmT2_T3_mT4_P12ihipStream_tbEUlmE_lEESB_NS0_8identityIvEEEESM_SP_SQ_mSR_ST_bEUlT_E_NS1_11comp_targetILNS1_3genE2ELNS1_11target_archE906ELNS1_3gpuE6ELNS1_3repE0EEENS1_30default_config_static_selectorELNS0_4arch9wavefront6targetE0EEEvT1_
                                        ; -- End function
	.set _ZN7rocprim17ROCPRIM_400000_NS6detail17trampoline_kernelINS0_14default_configENS1_25transform_config_selectorIlLb0EEEZNS1_14transform_implILb0ES3_S5_NS0_18transform_iteratorINS0_17counting_iteratorImlEEZNS1_24adjacent_difference_implIS3_Lb1ELb0EPlSB_ZN2at6native12_GLOBAL__N_124unique_dim_cuda_templateIlEESt5tupleIJNSC_6TensorESH_SH_EERKSH_lbbbEUlllE1_EE10hipError_tPvRmT2_T3_mT4_P12ihipStream_tbEUlmE_lEESB_NS0_8identityIvEEEESM_SP_SQ_mSR_ST_bEUlT_E_NS1_11comp_targetILNS1_3genE2ELNS1_11target_archE906ELNS1_3gpuE6ELNS1_3repE0EEENS1_30default_config_static_selectorELNS0_4arch9wavefront6targetE0EEEvT1_.num_vgpr, 0
	.set _ZN7rocprim17ROCPRIM_400000_NS6detail17trampoline_kernelINS0_14default_configENS1_25transform_config_selectorIlLb0EEEZNS1_14transform_implILb0ES3_S5_NS0_18transform_iteratorINS0_17counting_iteratorImlEEZNS1_24adjacent_difference_implIS3_Lb1ELb0EPlSB_ZN2at6native12_GLOBAL__N_124unique_dim_cuda_templateIlEESt5tupleIJNSC_6TensorESH_SH_EERKSH_lbbbEUlllE1_EE10hipError_tPvRmT2_T3_mT4_P12ihipStream_tbEUlmE_lEESB_NS0_8identityIvEEEESM_SP_SQ_mSR_ST_bEUlT_E_NS1_11comp_targetILNS1_3genE2ELNS1_11target_archE906ELNS1_3gpuE6ELNS1_3repE0EEENS1_30default_config_static_selectorELNS0_4arch9wavefront6targetE0EEEvT1_.num_agpr, 0
	.set _ZN7rocprim17ROCPRIM_400000_NS6detail17trampoline_kernelINS0_14default_configENS1_25transform_config_selectorIlLb0EEEZNS1_14transform_implILb0ES3_S5_NS0_18transform_iteratorINS0_17counting_iteratorImlEEZNS1_24adjacent_difference_implIS3_Lb1ELb0EPlSB_ZN2at6native12_GLOBAL__N_124unique_dim_cuda_templateIlEESt5tupleIJNSC_6TensorESH_SH_EERKSH_lbbbEUlllE1_EE10hipError_tPvRmT2_T3_mT4_P12ihipStream_tbEUlmE_lEESB_NS0_8identityIvEEEESM_SP_SQ_mSR_ST_bEUlT_E_NS1_11comp_targetILNS1_3genE2ELNS1_11target_archE906ELNS1_3gpuE6ELNS1_3repE0EEENS1_30default_config_static_selectorELNS0_4arch9wavefront6targetE0EEEvT1_.numbered_sgpr, 0
	.set _ZN7rocprim17ROCPRIM_400000_NS6detail17trampoline_kernelINS0_14default_configENS1_25transform_config_selectorIlLb0EEEZNS1_14transform_implILb0ES3_S5_NS0_18transform_iteratorINS0_17counting_iteratorImlEEZNS1_24adjacent_difference_implIS3_Lb1ELb0EPlSB_ZN2at6native12_GLOBAL__N_124unique_dim_cuda_templateIlEESt5tupleIJNSC_6TensorESH_SH_EERKSH_lbbbEUlllE1_EE10hipError_tPvRmT2_T3_mT4_P12ihipStream_tbEUlmE_lEESB_NS0_8identityIvEEEESM_SP_SQ_mSR_ST_bEUlT_E_NS1_11comp_targetILNS1_3genE2ELNS1_11target_archE906ELNS1_3gpuE6ELNS1_3repE0EEENS1_30default_config_static_selectorELNS0_4arch9wavefront6targetE0EEEvT1_.num_named_barrier, 0
	.set _ZN7rocprim17ROCPRIM_400000_NS6detail17trampoline_kernelINS0_14default_configENS1_25transform_config_selectorIlLb0EEEZNS1_14transform_implILb0ES3_S5_NS0_18transform_iteratorINS0_17counting_iteratorImlEEZNS1_24adjacent_difference_implIS3_Lb1ELb0EPlSB_ZN2at6native12_GLOBAL__N_124unique_dim_cuda_templateIlEESt5tupleIJNSC_6TensorESH_SH_EERKSH_lbbbEUlllE1_EE10hipError_tPvRmT2_T3_mT4_P12ihipStream_tbEUlmE_lEESB_NS0_8identityIvEEEESM_SP_SQ_mSR_ST_bEUlT_E_NS1_11comp_targetILNS1_3genE2ELNS1_11target_archE906ELNS1_3gpuE6ELNS1_3repE0EEENS1_30default_config_static_selectorELNS0_4arch9wavefront6targetE0EEEvT1_.private_seg_size, 0
	.set _ZN7rocprim17ROCPRIM_400000_NS6detail17trampoline_kernelINS0_14default_configENS1_25transform_config_selectorIlLb0EEEZNS1_14transform_implILb0ES3_S5_NS0_18transform_iteratorINS0_17counting_iteratorImlEEZNS1_24adjacent_difference_implIS3_Lb1ELb0EPlSB_ZN2at6native12_GLOBAL__N_124unique_dim_cuda_templateIlEESt5tupleIJNSC_6TensorESH_SH_EERKSH_lbbbEUlllE1_EE10hipError_tPvRmT2_T3_mT4_P12ihipStream_tbEUlmE_lEESB_NS0_8identityIvEEEESM_SP_SQ_mSR_ST_bEUlT_E_NS1_11comp_targetILNS1_3genE2ELNS1_11target_archE906ELNS1_3gpuE6ELNS1_3repE0EEENS1_30default_config_static_selectorELNS0_4arch9wavefront6targetE0EEEvT1_.uses_vcc, 0
	.set _ZN7rocprim17ROCPRIM_400000_NS6detail17trampoline_kernelINS0_14default_configENS1_25transform_config_selectorIlLb0EEEZNS1_14transform_implILb0ES3_S5_NS0_18transform_iteratorINS0_17counting_iteratorImlEEZNS1_24adjacent_difference_implIS3_Lb1ELb0EPlSB_ZN2at6native12_GLOBAL__N_124unique_dim_cuda_templateIlEESt5tupleIJNSC_6TensorESH_SH_EERKSH_lbbbEUlllE1_EE10hipError_tPvRmT2_T3_mT4_P12ihipStream_tbEUlmE_lEESB_NS0_8identityIvEEEESM_SP_SQ_mSR_ST_bEUlT_E_NS1_11comp_targetILNS1_3genE2ELNS1_11target_archE906ELNS1_3gpuE6ELNS1_3repE0EEENS1_30default_config_static_selectorELNS0_4arch9wavefront6targetE0EEEvT1_.uses_flat_scratch, 0
	.set _ZN7rocprim17ROCPRIM_400000_NS6detail17trampoline_kernelINS0_14default_configENS1_25transform_config_selectorIlLb0EEEZNS1_14transform_implILb0ES3_S5_NS0_18transform_iteratorINS0_17counting_iteratorImlEEZNS1_24adjacent_difference_implIS3_Lb1ELb0EPlSB_ZN2at6native12_GLOBAL__N_124unique_dim_cuda_templateIlEESt5tupleIJNSC_6TensorESH_SH_EERKSH_lbbbEUlllE1_EE10hipError_tPvRmT2_T3_mT4_P12ihipStream_tbEUlmE_lEESB_NS0_8identityIvEEEESM_SP_SQ_mSR_ST_bEUlT_E_NS1_11comp_targetILNS1_3genE2ELNS1_11target_archE906ELNS1_3gpuE6ELNS1_3repE0EEENS1_30default_config_static_selectorELNS0_4arch9wavefront6targetE0EEEvT1_.has_dyn_sized_stack, 0
	.set _ZN7rocprim17ROCPRIM_400000_NS6detail17trampoline_kernelINS0_14default_configENS1_25transform_config_selectorIlLb0EEEZNS1_14transform_implILb0ES3_S5_NS0_18transform_iteratorINS0_17counting_iteratorImlEEZNS1_24adjacent_difference_implIS3_Lb1ELb0EPlSB_ZN2at6native12_GLOBAL__N_124unique_dim_cuda_templateIlEESt5tupleIJNSC_6TensorESH_SH_EERKSH_lbbbEUlllE1_EE10hipError_tPvRmT2_T3_mT4_P12ihipStream_tbEUlmE_lEESB_NS0_8identityIvEEEESM_SP_SQ_mSR_ST_bEUlT_E_NS1_11comp_targetILNS1_3genE2ELNS1_11target_archE906ELNS1_3gpuE6ELNS1_3repE0EEENS1_30default_config_static_selectorELNS0_4arch9wavefront6targetE0EEEvT1_.has_recursion, 0
	.set _ZN7rocprim17ROCPRIM_400000_NS6detail17trampoline_kernelINS0_14default_configENS1_25transform_config_selectorIlLb0EEEZNS1_14transform_implILb0ES3_S5_NS0_18transform_iteratorINS0_17counting_iteratorImlEEZNS1_24adjacent_difference_implIS3_Lb1ELb0EPlSB_ZN2at6native12_GLOBAL__N_124unique_dim_cuda_templateIlEESt5tupleIJNSC_6TensorESH_SH_EERKSH_lbbbEUlllE1_EE10hipError_tPvRmT2_T3_mT4_P12ihipStream_tbEUlmE_lEESB_NS0_8identityIvEEEESM_SP_SQ_mSR_ST_bEUlT_E_NS1_11comp_targetILNS1_3genE2ELNS1_11target_archE906ELNS1_3gpuE6ELNS1_3repE0EEENS1_30default_config_static_selectorELNS0_4arch9wavefront6targetE0EEEvT1_.has_indirect_call, 0
	.section	.AMDGPU.csdata,"",@progbits
; Kernel info:
; codeLenInByte = 0
; TotalNumSgprs: 0
; NumVgprs: 0
; ScratchSize: 0
; MemoryBound: 0
; FloatMode: 240
; IeeeMode: 1
; LDSByteSize: 0 bytes/workgroup (compile time only)
; SGPRBlocks: 0
; VGPRBlocks: 0
; NumSGPRsForWavesPerEU: 1
; NumVGPRsForWavesPerEU: 1
; NamedBarCnt: 0
; Occupancy: 16
; WaveLimiterHint : 0
; COMPUTE_PGM_RSRC2:SCRATCH_EN: 0
; COMPUTE_PGM_RSRC2:USER_SGPR: 2
; COMPUTE_PGM_RSRC2:TRAP_HANDLER: 0
; COMPUTE_PGM_RSRC2:TGID_X_EN: 1
; COMPUTE_PGM_RSRC2:TGID_Y_EN: 0
; COMPUTE_PGM_RSRC2:TGID_Z_EN: 0
; COMPUTE_PGM_RSRC2:TIDIG_COMP_CNT: 0
	.section	.text._ZN7rocprim17ROCPRIM_400000_NS6detail17trampoline_kernelINS0_14default_configENS1_25transform_config_selectorIlLb0EEEZNS1_14transform_implILb0ES3_S5_NS0_18transform_iteratorINS0_17counting_iteratorImlEEZNS1_24adjacent_difference_implIS3_Lb1ELb0EPlSB_ZN2at6native12_GLOBAL__N_124unique_dim_cuda_templateIlEESt5tupleIJNSC_6TensorESH_SH_EERKSH_lbbbEUlllE1_EE10hipError_tPvRmT2_T3_mT4_P12ihipStream_tbEUlmE_lEESB_NS0_8identityIvEEEESM_SP_SQ_mSR_ST_bEUlT_E_NS1_11comp_targetILNS1_3genE10ELNS1_11target_archE1201ELNS1_3gpuE5ELNS1_3repE0EEENS1_30default_config_static_selectorELNS0_4arch9wavefront6targetE0EEEvT1_,"axG",@progbits,_ZN7rocprim17ROCPRIM_400000_NS6detail17trampoline_kernelINS0_14default_configENS1_25transform_config_selectorIlLb0EEEZNS1_14transform_implILb0ES3_S5_NS0_18transform_iteratorINS0_17counting_iteratorImlEEZNS1_24adjacent_difference_implIS3_Lb1ELb0EPlSB_ZN2at6native12_GLOBAL__N_124unique_dim_cuda_templateIlEESt5tupleIJNSC_6TensorESH_SH_EERKSH_lbbbEUlllE1_EE10hipError_tPvRmT2_T3_mT4_P12ihipStream_tbEUlmE_lEESB_NS0_8identityIvEEEESM_SP_SQ_mSR_ST_bEUlT_E_NS1_11comp_targetILNS1_3genE10ELNS1_11target_archE1201ELNS1_3gpuE5ELNS1_3repE0EEENS1_30default_config_static_selectorELNS0_4arch9wavefront6targetE0EEEvT1_,comdat
	.globl	_ZN7rocprim17ROCPRIM_400000_NS6detail17trampoline_kernelINS0_14default_configENS1_25transform_config_selectorIlLb0EEEZNS1_14transform_implILb0ES3_S5_NS0_18transform_iteratorINS0_17counting_iteratorImlEEZNS1_24adjacent_difference_implIS3_Lb1ELb0EPlSB_ZN2at6native12_GLOBAL__N_124unique_dim_cuda_templateIlEESt5tupleIJNSC_6TensorESH_SH_EERKSH_lbbbEUlllE1_EE10hipError_tPvRmT2_T3_mT4_P12ihipStream_tbEUlmE_lEESB_NS0_8identityIvEEEESM_SP_SQ_mSR_ST_bEUlT_E_NS1_11comp_targetILNS1_3genE10ELNS1_11target_archE1201ELNS1_3gpuE5ELNS1_3repE0EEENS1_30default_config_static_selectorELNS0_4arch9wavefront6targetE0EEEvT1_ ; -- Begin function _ZN7rocprim17ROCPRIM_400000_NS6detail17trampoline_kernelINS0_14default_configENS1_25transform_config_selectorIlLb0EEEZNS1_14transform_implILb0ES3_S5_NS0_18transform_iteratorINS0_17counting_iteratorImlEEZNS1_24adjacent_difference_implIS3_Lb1ELb0EPlSB_ZN2at6native12_GLOBAL__N_124unique_dim_cuda_templateIlEESt5tupleIJNSC_6TensorESH_SH_EERKSH_lbbbEUlllE1_EE10hipError_tPvRmT2_T3_mT4_P12ihipStream_tbEUlmE_lEESB_NS0_8identityIvEEEESM_SP_SQ_mSR_ST_bEUlT_E_NS1_11comp_targetILNS1_3genE10ELNS1_11target_archE1201ELNS1_3gpuE5ELNS1_3repE0EEENS1_30default_config_static_selectorELNS0_4arch9wavefront6targetE0EEEvT1_
	.p2align	8
	.type	_ZN7rocprim17ROCPRIM_400000_NS6detail17trampoline_kernelINS0_14default_configENS1_25transform_config_selectorIlLb0EEEZNS1_14transform_implILb0ES3_S5_NS0_18transform_iteratorINS0_17counting_iteratorImlEEZNS1_24adjacent_difference_implIS3_Lb1ELb0EPlSB_ZN2at6native12_GLOBAL__N_124unique_dim_cuda_templateIlEESt5tupleIJNSC_6TensorESH_SH_EERKSH_lbbbEUlllE1_EE10hipError_tPvRmT2_T3_mT4_P12ihipStream_tbEUlmE_lEESB_NS0_8identityIvEEEESM_SP_SQ_mSR_ST_bEUlT_E_NS1_11comp_targetILNS1_3genE10ELNS1_11target_archE1201ELNS1_3gpuE5ELNS1_3repE0EEENS1_30default_config_static_selectorELNS0_4arch9wavefront6targetE0EEEvT1_,@function
_ZN7rocprim17ROCPRIM_400000_NS6detail17trampoline_kernelINS0_14default_configENS1_25transform_config_selectorIlLb0EEEZNS1_14transform_implILb0ES3_S5_NS0_18transform_iteratorINS0_17counting_iteratorImlEEZNS1_24adjacent_difference_implIS3_Lb1ELb0EPlSB_ZN2at6native12_GLOBAL__N_124unique_dim_cuda_templateIlEESt5tupleIJNSC_6TensorESH_SH_EERKSH_lbbbEUlllE1_EE10hipError_tPvRmT2_T3_mT4_P12ihipStream_tbEUlmE_lEESB_NS0_8identityIvEEEESM_SP_SQ_mSR_ST_bEUlT_E_NS1_11comp_targetILNS1_3genE10ELNS1_11target_archE1201ELNS1_3gpuE5ELNS1_3repE0EEENS1_30default_config_static_selectorELNS0_4arch9wavefront6targetE0EEEvT1_: ; @_ZN7rocprim17ROCPRIM_400000_NS6detail17trampoline_kernelINS0_14default_configENS1_25transform_config_selectorIlLb0EEEZNS1_14transform_implILb0ES3_S5_NS0_18transform_iteratorINS0_17counting_iteratorImlEEZNS1_24adjacent_difference_implIS3_Lb1ELb0EPlSB_ZN2at6native12_GLOBAL__N_124unique_dim_cuda_templateIlEESt5tupleIJNSC_6TensorESH_SH_EERKSH_lbbbEUlllE1_EE10hipError_tPvRmT2_T3_mT4_P12ihipStream_tbEUlmE_lEESB_NS0_8identityIvEEEESM_SP_SQ_mSR_ST_bEUlT_E_NS1_11comp_targetILNS1_3genE10ELNS1_11target_archE1201ELNS1_3gpuE5ELNS1_3repE0EEENS1_30default_config_static_selectorELNS0_4arch9wavefront6targetE0EEEvT1_
; %bb.0:
	.section	.rodata,"a",@progbits
	.p2align	6, 0x0
	.amdhsa_kernel _ZN7rocprim17ROCPRIM_400000_NS6detail17trampoline_kernelINS0_14default_configENS1_25transform_config_selectorIlLb0EEEZNS1_14transform_implILb0ES3_S5_NS0_18transform_iteratorINS0_17counting_iteratorImlEEZNS1_24adjacent_difference_implIS3_Lb1ELb0EPlSB_ZN2at6native12_GLOBAL__N_124unique_dim_cuda_templateIlEESt5tupleIJNSC_6TensorESH_SH_EERKSH_lbbbEUlllE1_EE10hipError_tPvRmT2_T3_mT4_P12ihipStream_tbEUlmE_lEESB_NS0_8identityIvEEEESM_SP_SQ_mSR_ST_bEUlT_E_NS1_11comp_targetILNS1_3genE10ELNS1_11target_archE1201ELNS1_3gpuE5ELNS1_3repE0EEENS1_30default_config_static_selectorELNS0_4arch9wavefront6targetE0EEEvT1_
		.amdhsa_group_segment_fixed_size 0
		.amdhsa_private_segment_fixed_size 0
		.amdhsa_kernarg_size 56
		.amdhsa_user_sgpr_count 2
		.amdhsa_user_sgpr_dispatch_ptr 0
		.amdhsa_user_sgpr_queue_ptr 0
		.amdhsa_user_sgpr_kernarg_segment_ptr 1
		.amdhsa_user_sgpr_dispatch_id 0
		.amdhsa_user_sgpr_kernarg_preload_length 0
		.amdhsa_user_sgpr_kernarg_preload_offset 0
		.amdhsa_user_sgpr_private_segment_size 0
		.amdhsa_wavefront_size32 1
		.amdhsa_uses_dynamic_stack 0
		.amdhsa_enable_private_segment 0
		.amdhsa_system_sgpr_workgroup_id_x 1
		.amdhsa_system_sgpr_workgroup_id_y 0
		.amdhsa_system_sgpr_workgroup_id_z 0
		.amdhsa_system_sgpr_workgroup_info 0
		.amdhsa_system_vgpr_workitem_id 0
		.amdhsa_next_free_vgpr 1
		.amdhsa_next_free_sgpr 1
		.amdhsa_named_barrier_count 0
		.amdhsa_reserve_vcc 0
		.amdhsa_float_round_mode_32 0
		.amdhsa_float_round_mode_16_64 0
		.amdhsa_float_denorm_mode_32 3
		.amdhsa_float_denorm_mode_16_64 3
		.amdhsa_fp16_overflow 0
		.amdhsa_memory_ordered 1
		.amdhsa_forward_progress 1
		.amdhsa_inst_pref_size 0
		.amdhsa_round_robin_scheduling 0
		.amdhsa_exception_fp_ieee_invalid_op 0
		.amdhsa_exception_fp_denorm_src 0
		.amdhsa_exception_fp_ieee_div_zero 0
		.amdhsa_exception_fp_ieee_overflow 0
		.amdhsa_exception_fp_ieee_underflow 0
		.amdhsa_exception_fp_ieee_inexact 0
		.amdhsa_exception_int_div_zero 0
	.end_amdhsa_kernel
	.section	.text._ZN7rocprim17ROCPRIM_400000_NS6detail17trampoline_kernelINS0_14default_configENS1_25transform_config_selectorIlLb0EEEZNS1_14transform_implILb0ES3_S5_NS0_18transform_iteratorINS0_17counting_iteratorImlEEZNS1_24adjacent_difference_implIS3_Lb1ELb0EPlSB_ZN2at6native12_GLOBAL__N_124unique_dim_cuda_templateIlEESt5tupleIJNSC_6TensorESH_SH_EERKSH_lbbbEUlllE1_EE10hipError_tPvRmT2_T3_mT4_P12ihipStream_tbEUlmE_lEESB_NS0_8identityIvEEEESM_SP_SQ_mSR_ST_bEUlT_E_NS1_11comp_targetILNS1_3genE10ELNS1_11target_archE1201ELNS1_3gpuE5ELNS1_3repE0EEENS1_30default_config_static_selectorELNS0_4arch9wavefront6targetE0EEEvT1_,"axG",@progbits,_ZN7rocprim17ROCPRIM_400000_NS6detail17trampoline_kernelINS0_14default_configENS1_25transform_config_selectorIlLb0EEEZNS1_14transform_implILb0ES3_S5_NS0_18transform_iteratorINS0_17counting_iteratorImlEEZNS1_24adjacent_difference_implIS3_Lb1ELb0EPlSB_ZN2at6native12_GLOBAL__N_124unique_dim_cuda_templateIlEESt5tupleIJNSC_6TensorESH_SH_EERKSH_lbbbEUlllE1_EE10hipError_tPvRmT2_T3_mT4_P12ihipStream_tbEUlmE_lEESB_NS0_8identityIvEEEESM_SP_SQ_mSR_ST_bEUlT_E_NS1_11comp_targetILNS1_3genE10ELNS1_11target_archE1201ELNS1_3gpuE5ELNS1_3repE0EEENS1_30default_config_static_selectorELNS0_4arch9wavefront6targetE0EEEvT1_,comdat
.Lfunc_end551:
	.size	_ZN7rocprim17ROCPRIM_400000_NS6detail17trampoline_kernelINS0_14default_configENS1_25transform_config_selectorIlLb0EEEZNS1_14transform_implILb0ES3_S5_NS0_18transform_iteratorINS0_17counting_iteratorImlEEZNS1_24adjacent_difference_implIS3_Lb1ELb0EPlSB_ZN2at6native12_GLOBAL__N_124unique_dim_cuda_templateIlEESt5tupleIJNSC_6TensorESH_SH_EERKSH_lbbbEUlllE1_EE10hipError_tPvRmT2_T3_mT4_P12ihipStream_tbEUlmE_lEESB_NS0_8identityIvEEEESM_SP_SQ_mSR_ST_bEUlT_E_NS1_11comp_targetILNS1_3genE10ELNS1_11target_archE1201ELNS1_3gpuE5ELNS1_3repE0EEENS1_30default_config_static_selectorELNS0_4arch9wavefront6targetE0EEEvT1_, .Lfunc_end551-_ZN7rocprim17ROCPRIM_400000_NS6detail17trampoline_kernelINS0_14default_configENS1_25transform_config_selectorIlLb0EEEZNS1_14transform_implILb0ES3_S5_NS0_18transform_iteratorINS0_17counting_iteratorImlEEZNS1_24adjacent_difference_implIS3_Lb1ELb0EPlSB_ZN2at6native12_GLOBAL__N_124unique_dim_cuda_templateIlEESt5tupleIJNSC_6TensorESH_SH_EERKSH_lbbbEUlllE1_EE10hipError_tPvRmT2_T3_mT4_P12ihipStream_tbEUlmE_lEESB_NS0_8identityIvEEEESM_SP_SQ_mSR_ST_bEUlT_E_NS1_11comp_targetILNS1_3genE10ELNS1_11target_archE1201ELNS1_3gpuE5ELNS1_3repE0EEENS1_30default_config_static_selectorELNS0_4arch9wavefront6targetE0EEEvT1_
                                        ; -- End function
	.set _ZN7rocprim17ROCPRIM_400000_NS6detail17trampoline_kernelINS0_14default_configENS1_25transform_config_selectorIlLb0EEEZNS1_14transform_implILb0ES3_S5_NS0_18transform_iteratorINS0_17counting_iteratorImlEEZNS1_24adjacent_difference_implIS3_Lb1ELb0EPlSB_ZN2at6native12_GLOBAL__N_124unique_dim_cuda_templateIlEESt5tupleIJNSC_6TensorESH_SH_EERKSH_lbbbEUlllE1_EE10hipError_tPvRmT2_T3_mT4_P12ihipStream_tbEUlmE_lEESB_NS0_8identityIvEEEESM_SP_SQ_mSR_ST_bEUlT_E_NS1_11comp_targetILNS1_3genE10ELNS1_11target_archE1201ELNS1_3gpuE5ELNS1_3repE0EEENS1_30default_config_static_selectorELNS0_4arch9wavefront6targetE0EEEvT1_.num_vgpr, 0
	.set _ZN7rocprim17ROCPRIM_400000_NS6detail17trampoline_kernelINS0_14default_configENS1_25transform_config_selectorIlLb0EEEZNS1_14transform_implILb0ES3_S5_NS0_18transform_iteratorINS0_17counting_iteratorImlEEZNS1_24adjacent_difference_implIS3_Lb1ELb0EPlSB_ZN2at6native12_GLOBAL__N_124unique_dim_cuda_templateIlEESt5tupleIJNSC_6TensorESH_SH_EERKSH_lbbbEUlllE1_EE10hipError_tPvRmT2_T3_mT4_P12ihipStream_tbEUlmE_lEESB_NS0_8identityIvEEEESM_SP_SQ_mSR_ST_bEUlT_E_NS1_11comp_targetILNS1_3genE10ELNS1_11target_archE1201ELNS1_3gpuE5ELNS1_3repE0EEENS1_30default_config_static_selectorELNS0_4arch9wavefront6targetE0EEEvT1_.num_agpr, 0
	.set _ZN7rocprim17ROCPRIM_400000_NS6detail17trampoline_kernelINS0_14default_configENS1_25transform_config_selectorIlLb0EEEZNS1_14transform_implILb0ES3_S5_NS0_18transform_iteratorINS0_17counting_iteratorImlEEZNS1_24adjacent_difference_implIS3_Lb1ELb0EPlSB_ZN2at6native12_GLOBAL__N_124unique_dim_cuda_templateIlEESt5tupleIJNSC_6TensorESH_SH_EERKSH_lbbbEUlllE1_EE10hipError_tPvRmT2_T3_mT4_P12ihipStream_tbEUlmE_lEESB_NS0_8identityIvEEEESM_SP_SQ_mSR_ST_bEUlT_E_NS1_11comp_targetILNS1_3genE10ELNS1_11target_archE1201ELNS1_3gpuE5ELNS1_3repE0EEENS1_30default_config_static_selectorELNS0_4arch9wavefront6targetE0EEEvT1_.numbered_sgpr, 0
	.set _ZN7rocprim17ROCPRIM_400000_NS6detail17trampoline_kernelINS0_14default_configENS1_25transform_config_selectorIlLb0EEEZNS1_14transform_implILb0ES3_S5_NS0_18transform_iteratorINS0_17counting_iteratorImlEEZNS1_24adjacent_difference_implIS3_Lb1ELb0EPlSB_ZN2at6native12_GLOBAL__N_124unique_dim_cuda_templateIlEESt5tupleIJNSC_6TensorESH_SH_EERKSH_lbbbEUlllE1_EE10hipError_tPvRmT2_T3_mT4_P12ihipStream_tbEUlmE_lEESB_NS0_8identityIvEEEESM_SP_SQ_mSR_ST_bEUlT_E_NS1_11comp_targetILNS1_3genE10ELNS1_11target_archE1201ELNS1_3gpuE5ELNS1_3repE0EEENS1_30default_config_static_selectorELNS0_4arch9wavefront6targetE0EEEvT1_.num_named_barrier, 0
	.set _ZN7rocprim17ROCPRIM_400000_NS6detail17trampoline_kernelINS0_14default_configENS1_25transform_config_selectorIlLb0EEEZNS1_14transform_implILb0ES3_S5_NS0_18transform_iteratorINS0_17counting_iteratorImlEEZNS1_24adjacent_difference_implIS3_Lb1ELb0EPlSB_ZN2at6native12_GLOBAL__N_124unique_dim_cuda_templateIlEESt5tupleIJNSC_6TensorESH_SH_EERKSH_lbbbEUlllE1_EE10hipError_tPvRmT2_T3_mT4_P12ihipStream_tbEUlmE_lEESB_NS0_8identityIvEEEESM_SP_SQ_mSR_ST_bEUlT_E_NS1_11comp_targetILNS1_3genE10ELNS1_11target_archE1201ELNS1_3gpuE5ELNS1_3repE0EEENS1_30default_config_static_selectorELNS0_4arch9wavefront6targetE0EEEvT1_.private_seg_size, 0
	.set _ZN7rocprim17ROCPRIM_400000_NS6detail17trampoline_kernelINS0_14default_configENS1_25transform_config_selectorIlLb0EEEZNS1_14transform_implILb0ES3_S5_NS0_18transform_iteratorINS0_17counting_iteratorImlEEZNS1_24adjacent_difference_implIS3_Lb1ELb0EPlSB_ZN2at6native12_GLOBAL__N_124unique_dim_cuda_templateIlEESt5tupleIJNSC_6TensorESH_SH_EERKSH_lbbbEUlllE1_EE10hipError_tPvRmT2_T3_mT4_P12ihipStream_tbEUlmE_lEESB_NS0_8identityIvEEEESM_SP_SQ_mSR_ST_bEUlT_E_NS1_11comp_targetILNS1_3genE10ELNS1_11target_archE1201ELNS1_3gpuE5ELNS1_3repE0EEENS1_30default_config_static_selectorELNS0_4arch9wavefront6targetE0EEEvT1_.uses_vcc, 0
	.set _ZN7rocprim17ROCPRIM_400000_NS6detail17trampoline_kernelINS0_14default_configENS1_25transform_config_selectorIlLb0EEEZNS1_14transform_implILb0ES3_S5_NS0_18transform_iteratorINS0_17counting_iteratorImlEEZNS1_24adjacent_difference_implIS3_Lb1ELb0EPlSB_ZN2at6native12_GLOBAL__N_124unique_dim_cuda_templateIlEESt5tupleIJNSC_6TensorESH_SH_EERKSH_lbbbEUlllE1_EE10hipError_tPvRmT2_T3_mT4_P12ihipStream_tbEUlmE_lEESB_NS0_8identityIvEEEESM_SP_SQ_mSR_ST_bEUlT_E_NS1_11comp_targetILNS1_3genE10ELNS1_11target_archE1201ELNS1_3gpuE5ELNS1_3repE0EEENS1_30default_config_static_selectorELNS0_4arch9wavefront6targetE0EEEvT1_.uses_flat_scratch, 0
	.set _ZN7rocprim17ROCPRIM_400000_NS6detail17trampoline_kernelINS0_14default_configENS1_25transform_config_selectorIlLb0EEEZNS1_14transform_implILb0ES3_S5_NS0_18transform_iteratorINS0_17counting_iteratorImlEEZNS1_24adjacent_difference_implIS3_Lb1ELb0EPlSB_ZN2at6native12_GLOBAL__N_124unique_dim_cuda_templateIlEESt5tupleIJNSC_6TensorESH_SH_EERKSH_lbbbEUlllE1_EE10hipError_tPvRmT2_T3_mT4_P12ihipStream_tbEUlmE_lEESB_NS0_8identityIvEEEESM_SP_SQ_mSR_ST_bEUlT_E_NS1_11comp_targetILNS1_3genE10ELNS1_11target_archE1201ELNS1_3gpuE5ELNS1_3repE0EEENS1_30default_config_static_selectorELNS0_4arch9wavefront6targetE0EEEvT1_.has_dyn_sized_stack, 0
	.set _ZN7rocprim17ROCPRIM_400000_NS6detail17trampoline_kernelINS0_14default_configENS1_25transform_config_selectorIlLb0EEEZNS1_14transform_implILb0ES3_S5_NS0_18transform_iteratorINS0_17counting_iteratorImlEEZNS1_24adjacent_difference_implIS3_Lb1ELb0EPlSB_ZN2at6native12_GLOBAL__N_124unique_dim_cuda_templateIlEESt5tupleIJNSC_6TensorESH_SH_EERKSH_lbbbEUlllE1_EE10hipError_tPvRmT2_T3_mT4_P12ihipStream_tbEUlmE_lEESB_NS0_8identityIvEEEESM_SP_SQ_mSR_ST_bEUlT_E_NS1_11comp_targetILNS1_3genE10ELNS1_11target_archE1201ELNS1_3gpuE5ELNS1_3repE0EEENS1_30default_config_static_selectorELNS0_4arch9wavefront6targetE0EEEvT1_.has_recursion, 0
	.set _ZN7rocprim17ROCPRIM_400000_NS6detail17trampoline_kernelINS0_14default_configENS1_25transform_config_selectorIlLb0EEEZNS1_14transform_implILb0ES3_S5_NS0_18transform_iteratorINS0_17counting_iteratorImlEEZNS1_24adjacent_difference_implIS3_Lb1ELb0EPlSB_ZN2at6native12_GLOBAL__N_124unique_dim_cuda_templateIlEESt5tupleIJNSC_6TensorESH_SH_EERKSH_lbbbEUlllE1_EE10hipError_tPvRmT2_T3_mT4_P12ihipStream_tbEUlmE_lEESB_NS0_8identityIvEEEESM_SP_SQ_mSR_ST_bEUlT_E_NS1_11comp_targetILNS1_3genE10ELNS1_11target_archE1201ELNS1_3gpuE5ELNS1_3repE0EEENS1_30default_config_static_selectorELNS0_4arch9wavefront6targetE0EEEvT1_.has_indirect_call, 0
	.section	.AMDGPU.csdata,"",@progbits
; Kernel info:
; codeLenInByte = 0
; TotalNumSgprs: 0
; NumVgprs: 0
; ScratchSize: 0
; MemoryBound: 0
; FloatMode: 240
; IeeeMode: 1
; LDSByteSize: 0 bytes/workgroup (compile time only)
; SGPRBlocks: 0
; VGPRBlocks: 0
; NumSGPRsForWavesPerEU: 1
; NumVGPRsForWavesPerEU: 1
; NamedBarCnt: 0
; Occupancy: 16
; WaveLimiterHint : 0
; COMPUTE_PGM_RSRC2:SCRATCH_EN: 0
; COMPUTE_PGM_RSRC2:USER_SGPR: 2
; COMPUTE_PGM_RSRC2:TRAP_HANDLER: 0
; COMPUTE_PGM_RSRC2:TGID_X_EN: 1
; COMPUTE_PGM_RSRC2:TGID_Y_EN: 0
; COMPUTE_PGM_RSRC2:TGID_Z_EN: 0
; COMPUTE_PGM_RSRC2:TIDIG_COMP_CNT: 0
	.section	.text._ZN7rocprim17ROCPRIM_400000_NS6detail17trampoline_kernelINS0_14default_configENS1_25transform_config_selectorIlLb0EEEZNS1_14transform_implILb0ES3_S5_NS0_18transform_iteratorINS0_17counting_iteratorImlEEZNS1_24adjacent_difference_implIS3_Lb1ELb0EPlSB_ZN2at6native12_GLOBAL__N_124unique_dim_cuda_templateIlEESt5tupleIJNSC_6TensorESH_SH_EERKSH_lbbbEUlllE1_EE10hipError_tPvRmT2_T3_mT4_P12ihipStream_tbEUlmE_lEESB_NS0_8identityIvEEEESM_SP_SQ_mSR_ST_bEUlT_E_NS1_11comp_targetILNS1_3genE10ELNS1_11target_archE1200ELNS1_3gpuE4ELNS1_3repE0EEENS1_30default_config_static_selectorELNS0_4arch9wavefront6targetE0EEEvT1_,"axG",@progbits,_ZN7rocprim17ROCPRIM_400000_NS6detail17trampoline_kernelINS0_14default_configENS1_25transform_config_selectorIlLb0EEEZNS1_14transform_implILb0ES3_S5_NS0_18transform_iteratorINS0_17counting_iteratorImlEEZNS1_24adjacent_difference_implIS3_Lb1ELb0EPlSB_ZN2at6native12_GLOBAL__N_124unique_dim_cuda_templateIlEESt5tupleIJNSC_6TensorESH_SH_EERKSH_lbbbEUlllE1_EE10hipError_tPvRmT2_T3_mT4_P12ihipStream_tbEUlmE_lEESB_NS0_8identityIvEEEESM_SP_SQ_mSR_ST_bEUlT_E_NS1_11comp_targetILNS1_3genE10ELNS1_11target_archE1200ELNS1_3gpuE4ELNS1_3repE0EEENS1_30default_config_static_selectorELNS0_4arch9wavefront6targetE0EEEvT1_,comdat
	.globl	_ZN7rocprim17ROCPRIM_400000_NS6detail17trampoline_kernelINS0_14default_configENS1_25transform_config_selectorIlLb0EEEZNS1_14transform_implILb0ES3_S5_NS0_18transform_iteratorINS0_17counting_iteratorImlEEZNS1_24adjacent_difference_implIS3_Lb1ELb0EPlSB_ZN2at6native12_GLOBAL__N_124unique_dim_cuda_templateIlEESt5tupleIJNSC_6TensorESH_SH_EERKSH_lbbbEUlllE1_EE10hipError_tPvRmT2_T3_mT4_P12ihipStream_tbEUlmE_lEESB_NS0_8identityIvEEEESM_SP_SQ_mSR_ST_bEUlT_E_NS1_11comp_targetILNS1_3genE10ELNS1_11target_archE1200ELNS1_3gpuE4ELNS1_3repE0EEENS1_30default_config_static_selectorELNS0_4arch9wavefront6targetE0EEEvT1_ ; -- Begin function _ZN7rocprim17ROCPRIM_400000_NS6detail17trampoline_kernelINS0_14default_configENS1_25transform_config_selectorIlLb0EEEZNS1_14transform_implILb0ES3_S5_NS0_18transform_iteratorINS0_17counting_iteratorImlEEZNS1_24adjacent_difference_implIS3_Lb1ELb0EPlSB_ZN2at6native12_GLOBAL__N_124unique_dim_cuda_templateIlEESt5tupleIJNSC_6TensorESH_SH_EERKSH_lbbbEUlllE1_EE10hipError_tPvRmT2_T3_mT4_P12ihipStream_tbEUlmE_lEESB_NS0_8identityIvEEEESM_SP_SQ_mSR_ST_bEUlT_E_NS1_11comp_targetILNS1_3genE10ELNS1_11target_archE1200ELNS1_3gpuE4ELNS1_3repE0EEENS1_30default_config_static_selectorELNS0_4arch9wavefront6targetE0EEEvT1_
	.p2align	8
	.type	_ZN7rocprim17ROCPRIM_400000_NS6detail17trampoline_kernelINS0_14default_configENS1_25transform_config_selectorIlLb0EEEZNS1_14transform_implILb0ES3_S5_NS0_18transform_iteratorINS0_17counting_iteratorImlEEZNS1_24adjacent_difference_implIS3_Lb1ELb0EPlSB_ZN2at6native12_GLOBAL__N_124unique_dim_cuda_templateIlEESt5tupleIJNSC_6TensorESH_SH_EERKSH_lbbbEUlllE1_EE10hipError_tPvRmT2_T3_mT4_P12ihipStream_tbEUlmE_lEESB_NS0_8identityIvEEEESM_SP_SQ_mSR_ST_bEUlT_E_NS1_11comp_targetILNS1_3genE10ELNS1_11target_archE1200ELNS1_3gpuE4ELNS1_3repE0EEENS1_30default_config_static_selectorELNS0_4arch9wavefront6targetE0EEEvT1_,@function
_ZN7rocprim17ROCPRIM_400000_NS6detail17trampoline_kernelINS0_14default_configENS1_25transform_config_selectorIlLb0EEEZNS1_14transform_implILb0ES3_S5_NS0_18transform_iteratorINS0_17counting_iteratorImlEEZNS1_24adjacent_difference_implIS3_Lb1ELb0EPlSB_ZN2at6native12_GLOBAL__N_124unique_dim_cuda_templateIlEESt5tupleIJNSC_6TensorESH_SH_EERKSH_lbbbEUlllE1_EE10hipError_tPvRmT2_T3_mT4_P12ihipStream_tbEUlmE_lEESB_NS0_8identityIvEEEESM_SP_SQ_mSR_ST_bEUlT_E_NS1_11comp_targetILNS1_3genE10ELNS1_11target_archE1200ELNS1_3gpuE4ELNS1_3repE0EEENS1_30default_config_static_selectorELNS0_4arch9wavefront6targetE0EEEvT1_: ; @_ZN7rocprim17ROCPRIM_400000_NS6detail17trampoline_kernelINS0_14default_configENS1_25transform_config_selectorIlLb0EEEZNS1_14transform_implILb0ES3_S5_NS0_18transform_iteratorINS0_17counting_iteratorImlEEZNS1_24adjacent_difference_implIS3_Lb1ELb0EPlSB_ZN2at6native12_GLOBAL__N_124unique_dim_cuda_templateIlEESt5tupleIJNSC_6TensorESH_SH_EERKSH_lbbbEUlllE1_EE10hipError_tPvRmT2_T3_mT4_P12ihipStream_tbEUlmE_lEESB_NS0_8identityIvEEEESM_SP_SQ_mSR_ST_bEUlT_E_NS1_11comp_targetILNS1_3genE10ELNS1_11target_archE1200ELNS1_3gpuE4ELNS1_3repE0EEENS1_30default_config_static_selectorELNS0_4arch9wavefront6targetE0EEEvT1_
; %bb.0:
	.section	.rodata,"a",@progbits
	.p2align	6, 0x0
	.amdhsa_kernel _ZN7rocprim17ROCPRIM_400000_NS6detail17trampoline_kernelINS0_14default_configENS1_25transform_config_selectorIlLb0EEEZNS1_14transform_implILb0ES3_S5_NS0_18transform_iteratorINS0_17counting_iteratorImlEEZNS1_24adjacent_difference_implIS3_Lb1ELb0EPlSB_ZN2at6native12_GLOBAL__N_124unique_dim_cuda_templateIlEESt5tupleIJNSC_6TensorESH_SH_EERKSH_lbbbEUlllE1_EE10hipError_tPvRmT2_T3_mT4_P12ihipStream_tbEUlmE_lEESB_NS0_8identityIvEEEESM_SP_SQ_mSR_ST_bEUlT_E_NS1_11comp_targetILNS1_3genE10ELNS1_11target_archE1200ELNS1_3gpuE4ELNS1_3repE0EEENS1_30default_config_static_selectorELNS0_4arch9wavefront6targetE0EEEvT1_
		.amdhsa_group_segment_fixed_size 0
		.amdhsa_private_segment_fixed_size 0
		.amdhsa_kernarg_size 56
		.amdhsa_user_sgpr_count 2
		.amdhsa_user_sgpr_dispatch_ptr 0
		.amdhsa_user_sgpr_queue_ptr 0
		.amdhsa_user_sgpr_kernarg_segment_ptr 1
		.amdhsa_user_sgpr_dispatch_id 0
		.amdhsa_user_sgpr_kernarg_preload_length 0
		.amdhsa_user_sgpr_kernarg_preload_offset 0
		.amdhsa_user_sgpr_private_segment_size 0
		.amdhsa_wavefront_size32 1
		.amdhsa_uses_dynamic_stack 0
		.amdhsa_enable_private_segment 0
		.amdhsa_system_sgpr_workgroup_id_x 1
		.amdhsa_system_sgpr_workgroup_id_y 0
		.amdhsa_system_sgpr_workgroup_id_z 0
		.amdhsa_system_sgpr_workgroup_info 0
		.amdhsa_system_vgpr_workitem_id 0
		.amdhsa_next_free_vgpr 1
		.amdhsa_next_free_sgpr 1
		.amdhsa_named_barrier_count 0
		.amdhsa_reserve_vcc 0
		.amdhsa_float_round_mode_32 0
		.amdhsa_float_round_mode_16_64 0
		.amdhsa_float_denorm_mode_32 3
		.amdhsa_float_denorm_mode_16_64 3
		.amdhsa_fp16_overflow 0
		.amdhsa_memory_ordered 1
		.amdhsa_forward_progress 1
		.amdhsa_inst_pref_size 0
		.amdhsa_round_robin_scheduling 0
		.amdhsa_exception_fp_ieee_invalid_op 0
		.amdhsa_exception_fp_denorm_src 0
		.amdhsa_exception_fp_ieee_div_zero 0
		.amdhsa_exception_fp_ieee_overflow 0
		.amdhsa_exception_fp_ieee_underflow 0
		.amdhsa_exception_fp_ieee_inexact 0
		.amdhsa_exception_int_div_zero 0
	.end_amdhsa_kernel
	.section	.text._ZN7rocprim17ROCPRIM_400000_NS6detail17trampoline_kernelINS0_14default_configENS1_25transform_config_selectorIlLb0EEEZNS1_14transform_implILb0ES3_S5_NS0_18transform_iteratorINS0_17counting_iteratorImlEEZNS1_24adjacent_difference_implIS3_Lb1ELb0EPlSB_ZN2at6native12_GLOBAL__N_124unique_dim_cuda_templateIlEESt5tupleIJNSC_6TensorESH_SH_EERKSH_lbbbEUlllE1_EE10hipError_tPvRmT2_T3_mT4_P12ihipStream_tbEUlmE_lEESB_NS0_8identityIvEEEESM_SP_SQ_mSR_ST_bEUlT_E_NS1_11comp_targetILNS1_3genE10ELNS1_11target_archE1200ELNS1_3gpuE4ELNS1_3repE0EEENS1_30default_config_static_selectorELNS0_4arch9wavefront6targetE0EEEvT1_,"axG",@progbits,_ZN7rocprim17ROCPRIM_400000_NS6detail17trampoline_kernelINS0_14default_configENS1_25transform_config_selectorIlLb0EEEZNS1_14transform_implILb0ES3_S5_NS0_18transform_iteratorINS0_17counting_iteratorImlEEZNS1_24adjacent_difference_implIS3_Lb1ELb0EPlSB_ZN2at6native12_GLOBAL__N_124unique_dim_cuda_templateIlEESt5tupleIJNSC_6TensorESH_SH_EERKSH_lbbbEUlllE1_EE10hipError_tPvRmT2_T3_mT4_P12ihipStream_tbEUlmE_lEESB_NS0_8identityIvEEEESM_SP_SQ_mSR_ST_bEUlT_E_NS1_11comp_targetILNS1_3genE10ELNS1_11target_archE1200ELNS1_3gpuE4ELNS1_3repE0EEENS1_30default_config_static_selectorELNS0_4arch9wavefront6targetE0EEEvT1_,comdat
.Lfunc_end552:
	.size	_ZN7rocprim17ROCPRIM_400000_NS6detail17trampoline_kernelINS0_14default_configENS1_25transform_config_selectorIlLb0EEEZNS1_14transform_implILb0ES3_S5_NS0_18transform_iteratorINS0_17counting_iteratorImlEEZNS1_24adjacent_difference_implIS3_Lb1ELb0EPlSB_ZN2at6native12_GLOBAL__N_124unique_dim_cuda_templateIlEESt5tupleIJNSC_6TensorESH_SH_EERKSH_lbbbEUlllE1_EE10hipError_tPvRmT2_T3_mT4_P12ihipStream_tbEUlmE_lEESB_NS0_8identityIvEEEESM_SP_SQ_mSR_ST_bEUlT_E_NS1_11comp_targetILNS1_3genE10ELNS1_11target_archE1200ELNS1_3gpuE4ELNS1_3repE0EEENS1_30default_config_static_selectorELNS0_4arch9wavefront6targetE0EEEvT1_, .Lfunc_end552-_ZN7rocprim17ROCPRIM_400000_NS6detail17trampoline_kernelINS0_14default_configENS1_25transform_config_selectorIlLb0EEEZNS1_14transform_implILb0ES3_S5_NS0_18transform_iteratorINS0_17counting_iteratorImlEEZNS1_24adjacent_difference_implIS3_Lb1ELb0EPlSB_ZN2at6native12_GLOBAL__N_124unique_dim_cuda_templateIlEESt5tupleIJNSC_6TensorESH_SH_EERKSH_lbbbEUlllE1_EE10hipError_tPvRmT2_T3_mT4_P12ihipStream_tbEUlmE_lEESB_NS0_8identityIvEEEESM_SP_SQ_mSR_ST_bEUlT_E_NS1_11comp_targetILNS1_3genE10ELNS1_11target_archE1200ELNS1_3gpuE4ELNS1_3repE0EEENS1_30default_config_static_selectorELNS0_4arch9wavefront6targetE0EEEvT1_
                                        ; -- End function
	.set _ZN7rocprim17ROCPRIM_400000_NS6detail17trampoline_kernelINS0_14default_configENS1_25transform_config_selectorIlLb0EEEZNS1_14transform_implILb0ES3_S5_NS0_18transform_iteratorINS0_17counting_iteratorImlEEZNS1_24adjacent_difference_implIS3_Lb1ELb0EPlSB_ZN2at6native12_GLOBAL__N_124unique_dim_cuda_templateIlEESt5tupleIJNSC_6TensorESH_SH_EERKSH_lbbbEUlllE1_EE10hipError_tPvRmT2_T3_mT4_P12ihipStream_tbEUlmE_lEESB_NS0_8identityIvEEEESM_SP_SQ_mSR_ST_bEUlT_E_NS1_11comp_targetILNS1_3genE10ELNS1_11target_archE1200ELNS1_3gpuE4ELNS1_3repE0EEENS1_30default_config_static_selectorELNS0_4arch9wavefront6targetE0EEEvT1_.num_vgpr, 0
	.set _ZN7rocprim17ROCPRIM_400000_NS6detail17trampoline_kernelINS0_14default_configENS1_25transform_config_selectorIlLb0EEEZNS1_14transform_implILb0ES3_S5_NS0_18transform_iteratorINS0_17counting_iteratorImlEEZNS1_24adjacent_difference_implIS3_Lb1ELb0EPlSB_ZN2at6native12_GLOBAL__N_124unique_dim_cuda_templateIlEESt5tupleIJNSC_6TensorESH_SH_EERKSH_lbbbEUlllE1_EE10hipError_tPvRmT2_T3_mT4_P12ihipStream_tbEUlmE_lEESB_NS0_8identityIvEEEESM_SP_SQ_mSR_ST_bEUlT_E_NS1_11comp_targetILNS1_3genE10ELNS1_11target_archE1200ELNS1_3gpuE4ELNS1_3repE0EEENS1_30default_config_static_selectorELNS0_4arch9wavefront6targetE0EEEvT1_.num_agpr, 0
	.set _ZN7rocprim17ROCPRIM_400000_NS6detail17trampoline_kernelINS0_14default_configENS1_25transform_config_selectorIlLb0EEEZNS1_14transform_implILb0ES3_S5_NS0_18transform_iteratorINS0_17counting_iteratorImlEEZNS1_24adjacent_difference_implIS3_Lb1ELb0EPlSB_ZN2at6native12_GLOBAL__N_124unique_dim_cuda_templateIlEESt5tupleIJNSC_6TensorESH_SH_EERKSH_lbbbEUlllE1_EE10hipError_tPvRmT2_T3_mT4_P12ihipStream_tbEUlmE_lEESB_NS0_8identityIvEEEESM_SP_SQ_mSR_ST_bEUlT_E_NS1_11comp_targetILNS1_3genE10ELNS1_11target_archE1200ELNS1_3gpuE4ELNS1_3repE0EEENS1_30default_config_static_selectorELNS0_4arch9wavefront6targetE0EEEvT1_.numbered_sgpr, 0
	.set _ZN7rocprim17ROCPRIM_400000_NS6detail17trampoline_kernelINS0_14default_configENS1_25transform_config_selectorIlLb0EEEZNS1_14transform_implILb0ES3_S5_NS0_18transform_iteratorINS0_17counting_iteratorImlEEZNS1_24adjacent_difference_implIS3_Lb1ELb0EPlSB_ZN2at6native12_GLOBAL__N_124unique_dim_cuda_templateIlEESt5tupleIJNSC_6TensorESH_SH_EERKSH_lbbbEUlllE1_EE10hipError_tPvRmT2_T3_mT4_P12ihipStream_tbEUlmE_lEESB_NS0_8identityIvEEEESM_SP_SQ_mSR_ST_bEUlT_E_NS1_11comp_targetILNS1_3genE10ELNS1_11target_archE1200ELNS1_3gpuE4ELNS1_3repE0EEENS1_30default_config_static_selectorELNS0_4arch9wavefront6targetE0EEEvT1_.num_named_barrier, 0
	.set _ZN7rocprim17ROCPRIM_400000_NS6detail17trampoline_kernelINS0_14default_configENS1_25transform_config_selectorIlLb0EEEZNS1_14transform_implILb0ES3_S5_NS0_18transform_iteratorINS0_17counting_iteratorImlEEZNS1_24adjacent_difference_implIS3_Lb1ELb0EPlSB_ZN2at6native12_GLOBAL__N_124unique_dim_cuda_templateIlEESt5tupleIJNSC_6TensorESH_SH_EERKSH_lbbbEUlllE1_EE10hipError_tPvRmT2_T3_mT4_P12ihipStream_tbEUlmE_lEESB_NS0_8identityIvEEEESM_SP_SQ_mSR_ST_bEUlT_E_NS1_11comp_targetILNS1_3genE10ELNS1_11target_archE1200ELNS1_3gpuE4ELNS1_3repE0EEENS1_30default_config_static_selectorELNS0_4arch9wavefront6targetE0EEEvT1_.private_seg_size, 0
	.set _ZN7rocprim17ROCPRIM_400000_NS6detail17trampoline_kernelINS0_14default_configENS1_25transform_config_selectorIlLb0EEEZNS1_14transform_implILb0ES3_S5_NS0_18transform_iteratorINS0_17counting_iteratorImlEEZNS1_24adjacent_difference_implIS3_Lb1ELb0EPlSB_ZN2at6native12_GLOBAL__N_124unique_dim_cuda_templateIlEESt5tupleIJNSC_6TensorESH_SH_EERKSH_lbbbEUlllE1_EE10hipError_tPvRmT2_T3_mT4_P12ihipStream_tbEUlmE_lEESB_NS0_8identityIvEEEESM_SP_SQ_mSR_ST_bEUlT_E_NS1_11comp_targetILNS1_3genE10ELNS1_11target_archE1200ELNS1_3gpuE4ELNS1_3repE0EEENS1_30default_config_static_selectorELNS0_4arch9wavefront6targetE0EEEvT1_.uses_vcc, 0
	.set _ZN7rocprim17ROCPRIM_400000_NS6detail17trampoline_kernelINS0_14default_configENS1_25transform_config_selectorIlLb0EEEZNS1_14transform_implILb0ES3_S5_NS0_18transform_iteratorINS0_17counting_iteratorImlEEZNS1_24adjacent_difference_implIS3_Lb1ELb0EPlSB_ZN2at6native12_GLOBAL__N_124unique_dim_cuda_templateIlEESt5tupleIJNSC_6TensorESH_SH_EERKSH_lbbbEUlllE1_EE10hipError_tPvRmT2_T3_mT4_P12ihipStream_tbEUlmE_lEESB_NS0_8identityIvEEEESM_SP_SQ_mSR_ST_bEUlT_E_NS1_11comp_targetILNS1_3genE10ELNS1_11target_archE1200ELNS1_3gpuE4ELNS1_3repE0EEENS1_30default_config_static_selectorELNS0_4arch9wavefront6targetE0EEEvT1_.uses_flat_scratch, 0
	.set _ZN7rocprim17ROCPRIM_400000_NS6detail17trampoline_kernelINS0_14default_configENS1_25transform_config_selectorIlLb0EEEZNS1_14transform_implILb0ES3_S5_NS0_18transform_iteratorINS0_17counting_iteratorImlEEZNS1_24adjacent_difference_implIS3_Lb1ELb0EPlSB_ZN2at6native12_GLOBAL__N_124unique_dim_cuda_templateIlEESt5tupleIJNSC_6TensorESH_SH_EERKSH_lbbbEUlllE1_EE10hipError_tPvRmT2_T3_mT4_P12ihipStream_tbEUlmE_lEESB_NS0_8identityIvEEEESM_SP_SQ_mSR_ST_bEUlT_E_NS1_11comp_targetILNS1_3genE10ELNS1_11target_archE1200ELNS1_3gpuE4ELNS1_3repE0EEENS1_30default_config_static_selectorELNS0_4arch9wavefront6targetE0EEEvT1_.has_dyn_sized_stack, 0
	.set _ZN7rocprim17ROCPRIM_400000_NS6detail17trampoline_kernelINS0_14default_configENS1_25transform_config_selectorIlLb0EEEZNS1_14transform_implILb0ES3_S5_NS0_18transform_iteratorINS0_17counting_iteratorImlEEZNS1_24adjacent_difference_implIS3_Lb1ELb0EPlSB_ZN2at6native12_GLOBAL__N_124unique_dim_cuda_templateIlEESt5tupleIJNSC_6TensorESH_SH_EERKSH_lbbbEUlllE1_EE10hipError_tPvRmT2_T3_mT4_P12ihipStream_tbEUlmE_lEESB_NS0_8identityIvEEEESM_SP_SQ_mSR_ST_bEUlT_E_NS1_11comp_targetILNS1_3genE10ELNS1_11target_archE1200ELNS1_3gpuE4ELNS1_3repE0EEENS1_30default_config_static_selectorELNS0_4arch9wavefront6targetE0EEEvT1_.has_recursion, 0
	.set _ZN7rocprim17ROCPRIM_400000_NS6detail17trampoline_kernelINS0_14default_configENS1_25transform_config_selectorIlLb0EEEZNS1_14transform_implILb0ES3_S5_NS0_18transform_iteratorINS0_17counting_iteratorImlEEZNS1_24adjacent_difference_implIS3_Lb1ELb0EPlSB_ZN2at6native12_GLOBAL__N_124unique_dim_cuda_templateIlEESt5tupleIJNSC_6TensorESH_SH_EERKSH_lbbbEUlllE1_EE10hipError_tPvRmT2_T3_mT4_P12ihipStream_tbEUlmE_lEESB_NS0_8identityIvEEEESM_SP_SQ_mSR_ST_bEUlT_E_NS1_11comp_targetILNS1_3genE10ELNS1_11target_archE1200ELNS1_3gpuE4ELNS1_3repE0EEENS1_30default_config_static_selectorELNS0_4arch9wavefront6targetE0EEEvT1_.has_indirect_call, 0
	.section	.AMDGPU.csdata,"",@progbits
; Kernel info:
; codeLenInByte = 0
; TotalNumSgprs: 0
; NumVgprs: 0
; ScratchSize: 0
; MemoryBound: 0
; FloatMode: 240
; IeeeMode: 1
; LDSByteSize: 0 bytes/workgroup (compile time only)
; SGPRBlocks: 0
; VGPRBlocks: 0
; NumSGPRsForWavesPerEU: 1
; NumVGPRsForWavesPerEU: 1
; NamedBarCnt: 0
; Occupancy: 16
; WaveLimiterHint : 0
; COMPUTE_PGM_RSRC2:SCRATCH_EN: 0
; COMPUTE_PGM_RSRC2:USER_SGPR: 2
; COMPUTE_PGM_RSRC2:TRAP_HANDLER: 0
; COMPUTE_PGM_RSRC2:TGID_X_EN: 1
; COMPUTE_PGM_RSRC2:TGID_Y_EN: 0
; COMPUTE_PGM_RSRC2:TGID_Z_EN: 0
; COMPUTE_PGM_RSRC2:TIDIG_COMP_CNT: 0
	.section	.text._ZN7rocprim17ROCPRIM_400000_NS6detail17trampoline_kernelINS0_14default_configENS1_25transform_config_selectorIlLb0EEEZNS1_14transform_implILb0ES3_S5_NS0_18transform_iteratorINS0_17counting_iteratorImlEEZNS1_24adjacent_difference_implIS3_Lb1ELb0EPlSB_ZN2at6native12_GLOBAL__N_124unique_dim_cuda_templateIlEESt5tupleIJNSC_6TensorESH_SH_EERKSH_lbbbEUlllE1_EE10hipError_tPvRmT2_T3_mT4_P12ihipStream_tbEUlmE_lEESB_NS0_8identityIvEEEESM_SP_SQ_mSR_ST_bEUlT_E_NS1_11comp_targetILNS1_3genE9ELNS1_11target_archE1100ELNS1_3gpuE3ELNS1_3repE0EEENS1_30default_config_static_selectorELNS0_4arch9wavefront6targetE0EEEvT1_,"axG",@progbits,_ZN7rocprim17ROCPRIM_400000_NS6detail17trampoline_kernelINS0_14default_configENS1_25transform_config_selectorIlLb0EEEZNS1_14transform_implILb0ES3_S5_NS0_18transform_iteratorINS0_17counting_iteratorImlEEZNS1_24adjacent_difference_implIS3_Lb1ELb0EPlSB_ZN2at6native12_GLOBAL__N_124unique_dim_cuda_templateIlEESt5tupleIJNSC_6TensorESH_SH_EERKSH_lbbbEUlllE1_EE10hipError_tPvRmT2_T3_mT4_P12ihipStream_tbEUlmE_lEESB_NS0_8identityIvEEEESM_SP_SQ_mSR_ST_bEUlT_E_NS1_11comp_targetILNS1_3genE9ELNS1_11target_archE1100ELNS1_3gpuE3ELNS1_3repE0EEENS1_30default_config_static_selectorELNS0_4arch9wavefront6targetE0EEEvT1_,comdat
	.globl	_ZN7rocprim17ROCPRIM_400000_NS6detail17trampoline_kernelINS0_14default_configENS1_25transform_config_selectorIlLb0EEEZNS1_14transform_implILb0ES3_S5_NS0_18transform_iteratorINS0_17counting_iteratorImlEEZNS1_24adjacent_difference_implIS3_Lb1ELb0EPlSB_ZN2at6native12_GLOBAL__N_124unique_dim_cuda_templateIlEESt5tupleIJNSC_6TensorESH_SH_EERKSH_lbbbEUlllE1_EE10hipError_tPvRmT2_T3_mT4_P12ihipStream_tbEUlmE_lEESB_NS0_8identityIvEEEESM_SP_SQ_mSR_ST_bEUlT_E_NS1_11comp_targetILNS1_3genE9ELNS1_11target_archE1100ELNS1_3gpuE3ELNS1_3repE0EEENS1_30default_config_static_selectorELNS0_4arch9wavefront6targetE0EEEvT1_ ; -- Begin function _ZN7rocprim17ROCPRIM_400000_NS6detail17trampoline_kernelINS0_14default_configENS1_25transform_config_selectorIlLb0EEEZNS1_14transform_implILb0ES3_S5_NS0_18transform_iteratorINS0_17counting_iteratorImlEEZNS1_24adjacent_difference_implIS3_Lb1ELb0EPlSB_ZN2at6native12_GLOBAL__N_124unique_dim_cuda_templateIlEESt5tupleIJNSC_6TensorESH_SH_EERKSH_lbbbEUlllE1_EE10hipError_tPvRmT2_T3_mT4_P12ihipStream_tbEUlmE_lEESB_NS0_8identityIvEEEESM_SP_SQ_mSR_ST_bEUlT_E_NS1_11comp_targetILNS1_3genE9ELNS1_11target_archE1100ELNS1_3gpuE3ELNS1_3repE0EEENS1_30default_config_static_selectorELNS0_4arch9wavefront6targetE0EEEvT1_
	.p2align	8
	.type	_ZN7rocprim17ROCPRIM_400000_NS6detail17trampoline_kernelINS0_14default_configENS1_25transform_config_selectorIlLb0EEEZNS1_14transform_implILb0ES3_S5_NS0_18transform_iteratorINS0_17counting_iteratorImlEEZNS1_24adjacent_difference_implIS3_Lb1ELb0EPlSB_ZN2at6native12_GLOBAL__N_124unique_dim_cuda_templateIlEESt5tupleIJNSC_6TensorESH_SH_EERKSH_lbbbEUlllE1_EE10hipError_tPvRmT2_T3_mT4_P12ihipStream_tbEUlmE_lEESB_NS0_8identityIvEEEESM_SP_SQ_mSR_ST_bEUlT_E_NS1_11comp_targetILNS1_3genE9ELNS1_11target_archE1100ELNS1_3gpuE3ELNS1_3repE0EEENS1_30default_config_static_selectorELNS0_4arch9wavefront6targetE0EEEvT1_,@function
_ZN7rocprim17ROCPRIM_400000_NS6detail17trampoline_kernelINS0_14default_configENS1_25transform_config_selectorIlLb0EEEZNS1_14transform_implILb0ES3_S5_NS0_18transform_iteratorINS0_17counting_iteratorImlEEZNS1_24adjacent_difference_implIS3_Lb1ELb0EPlSB_ZN2at6native12_GLOBAL__N_124unique_dim_cuda_templateIlEESt5tupleIJNSC_6TensorESH_SH_EERKSH_lbbbEUlllE1_EE10hipError_tPvRmT2_T3_mT4_P12ihipStream_tbEUlmE_lEESB_NS0_8identityIvEEEESM_SP_SQ_mSR_ST_bEUlT_E_NS1_11comp_targetILNS1_3genE9ELNS1_11target_archE1100ELNS1_3gpuE3ELNS1_3repE0EEENS1_30default_config_static_selectorELNS0_4arch9wavefront6targetE0EEEvT1_: ; @_ZN7rocprim17ROCPRIM_400000_NS6detail17trampoline_kernelINS0_14default_configENS1_25transform_config_selectorIlLb0EEEZNS1_14transform_implILb0ES3_S5_NS0_18transform_iteratorINS0_17counting_iteratorImlEEZNS1_24adjacent_difference_implIS3_Lb1ELb0EPlSB_ZN2at6native12_GLOBAL__N_124unique_dim_cuda_templateIlEESt5tupleIJNSC_6TensorESH_SH_EERKSH_lbbbEUlllE1_EE10hipError_tPvRmT2_T3_mT4_P12ihipStream_tbEUlmE_lEESB_NS0_8identityIvEEEESM_SP_SQ_mSR_ST_bEUlT_E_NS1_11comp_targetILNS1_3genE9ELNS1_11target_archE1100ELNS1_3gpuE3ELNS1_3repE0EEENS1_30default_config_static_selectorELNS0_4arch9wavefront6targetE0EEEvT1_
; %bb.0:
	.section	.rodata,"a",@progbits
	.p2align	6, 0x0
	.amdhsa_kernel _ZN7rocprim17ROCPRIM_400000_NS6detail17trampoline_kernelINS0_14default_configENS1_25transform_config_selectorIlLb0EEEZNS1_14transform_implILb0ES3_S5_NS0_18transform_iteratorINS0_17counting_iteratorImlEEZNS1_24adjacent_difference_implIS3_Lb1ELb0EPlSB_ZN2at6native12_GLOBAL__N_124unique_dim_cuda_templateIlEESt5tupleIJNSC_6TensorESH_SH_EERKSH_lbbbEUlllE1_EE10hipError_tPvRmT2_T3_mT4_P12ihipStream_tbEUlmE_lEESB_NS0_8identityIvEEEESM_SP_SQ_mSR_ST_bEUlT_E_NS1_11comp_targetILNS1_3genE9ELNS1_11target_archE1100ELNS1_3gpuE3ELNS1_3repE0EEENS1_30default_config_static_selectorELNS0_4arch9wavefront6targetE0EEEvT1_
		.amdhsa_group_segment_fixed_size 0
		.amdhsa_private_segment_fixed_size 0
		.amdhsa_kernarg_size 56
		.amdhsa_user_sgpr_count 2
		.amdhsa_user_sgpr_dispatch_ptr 0
		.amdhsa_user_sgpr_queue_ptr 0
		.amdhsa_user_sgpr_kernarg_segment_ptr 1
		.amdhsa_user_sgpr_dispatch_id 0
		.amdhsa_user_sgpr_kernarg_preload_length 0
		.amdhsa_user_sgpr_kernarg_preload_offset 0
		.amdhsa_user_sgpr_private_segment_size 0
		.amdhsa_wavefront_size32 1
		.amdhsa_uses_dynamic_stack 0
		.amdhsa_enable_private_segment 0
		.amdhsa_system_sgpr_workgroup_id_x 1
		.amdhsa_system_sgpr_workgroup_id_y 0
		.amdhsa_system_sgpr_workgroup_id_z 0
		.amdhsa_system_sgpr_workgroup_info 0
		.amdhsa_system_vgpr_workitem_id 0
		.amdhsa_next_free_vgpr 1
		.amdhsa_next_free_sgpr 1
		.amdhsa_named_barrier_count 0
		.amdhsa_reserve_vcc 0
		.amdhsa_float_round_mode_32 0
		.amdhsa_float_round_mode_16_64 0
		.amdhsa_float_denorm_mode_32 3
		.amdhsa_float_denorm_mode_16_64 3
		.amdhsa_fp16_overflow 0
		.amdhsa_memory_ordered 1
		.amdhsa_forward_progress 1
		.amdhsa_inst_pref_size 0
		.amdhsa_round_robin_scheduling 0
		.amdhsa_exception_fp_ieee_invalid_op 0
		.amdhsa_exception_fp_denorm_src 0
		.amdhsa_exception_fp_ieee_div_zero 0
		.amdhsa_exception_fp_ieee_overflow 0
		.amdhsa_exception_fp_ieee_underflow 0
		.amdhsa_exception_fp_ieee_inexact 0
		.amdhsa_exception_int_div_zero 0
	.end_amdhsa_kernel
	.section	.text._ZN7rocprim17ROCPRIM_400000_NS6detail17trampoline_kernelINS0_14default_configENS1_25transform_config_selectorIlLb0EEEZNS1_14transform_implILb0ES3_S5_NS0_18transform_iteratorINS0_17counting_iteratorImlEEZNS1_24adjacent_difference_implIS3_Lb1ELb0EPlSB_ZN2at6native12_GLOBAL__N_124unique_dim_cuda_templateIlEESt5tupleIJNSC_6TensorESH_SH_EERKSH_lbbbEUlllE1_EE10hipError_tPvRmT2_T3_mT4_P12ihipStream_tbEUlmE_lEESB_NS0_8identityIvEEEESM_SP_SQ_mSR_ST_bEUlT_E_NS1_11comp_targetILNS1_3genE9ELNS1_11target_archE1100ELNS1_3gpuE3ELNS1_3repE0EEENS1_30default_config_static_selectorELNS0_4arch9wavefront6targetE0EEEvT1_,"axG",@progbits,_ZN7rocprim17ROCPRIM_400000_NS6detail17trampoline_kernelINS0_14default_configENS1_25transform_config_selectorIlLb0EEEZNS1_14transform_implILb0ES3_S5_NS0_18transform_iteratorINS0_17counting_iteratorImlEEZNS1_24adjacent_difference_implIS3_Lb1ELb0EPlSB_ZN2at6native12_GLOBAL__N_124unique_dim_cuda_templateIlEESt5tupleIJNSC_6TensorESH_SH_EERKSH_lbbbEUlllE1_EE10hipError_tPvRmT2_T3_mT4_P12ihipStream_tbEUlmE_lEESB_NS0_8identityIvEEEESM_SP_SQ_mSR_ST_bEUlT_E_NS1_11comp_targetILNS1_3genE9ELNS1_11target_archE1100ELNS1_3gpuE3ELNS1_3repE0EEENS1_30default_config_static_selectorELNS0_4arch9wavefront6targetE0EEEvT1_,comdat
.Lfunc_end553:
	.size	_ZN7rocprim17ROCPRIM_400000_NS6detail17trampoline_kernelINS0_14default_configENS1_25transform_config_selectorIlLb0EEEZNS1_14transform_implILb0ES3_S5_NS0_18transform_iteratorINS0_17counting_iteratorImlEEZNS1_24adjacent_difference_implIS3_Lb1ELb0EPlSB_ZN2at6native12_GLOBAL__N_124unique_dim_cuda_templateIlEESt5tupleIJNSC_6TensorESH_SH_EERKSH_lbbbEUlllE1_EE10hipError_tPvRmT2_T3_mT4_P12ihipStream_tbEUlmE_lEESB_NS0_8identityIvEEEESM_SP_SQ_mSR_ST_bEUlT_E_NS1_11comp_targetILNS1_3genE9ELNS1_11target_archE1100ELNS1_3gpuE3ELNS1_3repE0EEENS1_30default_config_static_selectorELNS0_4arch9wavefront6targetE0EEEvT1_, .Lfunc_end553-_ZN7rocprim17ROCPRIM_400000_NS6detail17trampoline_kernelINS0_14default_configENS1_25transform_config_selectorIlLb0EEEZNS1_14transform_implILb0ES3_S5_NS0_18transform_iteratorINS0_17counting_iteratorImlEEZNS1_24adjacent_difference_implIS3_Lb1ELb0EPlSB_ZN2at6native12_GLOBAL__N_124unique_dim_cuda_templateIlEESt5tupleIJNSC_6TensorESH_SH_EERKSH_lbbbEUlllE1_EE10hipError_tPvRmT2_T3_mT4_P12ihipStream_tbEUlmE_lEESB_NS0_8identityIvEEEESM_SP_SQ_mSR_ST_bEUlT_E_NS1_11comp_targetILNS1_3genE9ELNS1_11target_archE1100ELNS1_3gpuE3ELNS1_3repE0EEENS1_30default_config_static_selectorELNS0_4arch9wavefront6targetE0EEEvT1_
                                        ; -- End function
	.set _ZN7rocprim17ROCPRIM_400000_NS6detail17trampoline_kernelINS0_14default_configENS1_25transform_config_selectorIlLb0EEEZNS1_14transform_implILb0ES3_S5_NS0_18transform_iteratorINS0_17counting_iteratorImlEEZNS1_24adjacent_difference_implIS3_Lb1ELb0EPlSB_ZN2at6native12_GLOBAL__N_124unique_dim_cuda_templateIlEESt5tupleIJNSC_6TensorESH_SH_EERKSH_lbbbEUlllE1_EE10hipError_tPvRmT2_T3_mT4_P12ihipStream_tbEUlmE_lEESB_NS0_8identityIvEEEESM_SP_SQ_mSR_ST_bEUlT_E_NS1_11comp_targetILNS1_3genE9ELNS1_11target_archE1100ELNS1_3gpuE3ELNS1_3repE0EEENS1_30default_config_static_selectorELNS0_4arch9wavefront6targetE0EEEvT1_.num_vgpr, 0
	.set _ZN7rocprim17ROCPRIM_400000_NS6detail17trampoline_kernelINS0_14default_configENS1_25transform_config_selectorIlLb0EEEZNS1_14transform_implILb0ES3_S5_NS0_18transform_iteratorINS0_17counting_iteratorImlEEZNS1_24adjacent_difference_implIS3_Lb1ELb0EPlSB_ZN2at6native12_GLOBAL__N_124unique_dim_cuda_templateIlEESt5tupleIJNSC_6TensorESH_SH_EERKSH_lbbbEUlllE1_EE10hipError_tPvRmT2_T3_mT4_P12ihipStream_tbEUlmE_lEESB_NS0_8identityIvEEEESM_SP_SQ_mSR_ST_bEUlT_E_NS1_11comp_targetILNS1_3genE9ELNS1_11target_archE1100ELNS1_3gpuE3ELNS1_3repE0EEENS1_30default_config_static_selectorELNS0_4arch9wavefront6targetE0EEEvT1_.num_agpr, 0
	.set _ZN7rocprim17ROCPRIM_400000_NS6detail17trampoline_kernelINS0_14default_configENS1_25transform_config_selectorIlLb0EEEZNS1_14transform_implILb0ES3_S5_NS0_18transform_iteratorINS0_17counting_iteratorImlEEZNS1_24adjacent_difference_implIS3_Lb1ELb0EPlSB_ZN2at6native12_GLOBAL__N_124unique_dim_cuda_templateIlEESt5tupleIJNSC_6TensorESH_SH_EERKSH_lbbbEUlllE1_EE10hipError_tPvRmT2_T3_mT4_P12ihipStream_tbEUlmE_lEESB_NS0_8identityIvEEEESM_SP_SQ_mSR_ST_bEUlT_E_NS1_11comp_targetILNS1_3genE9ELNS1_11target_archE1100ELNS1_3gpuE3ELNS1_3repE0EEENS1_30default_config_static_selectorELNS0_4arch9wavefront6targetE0EEEvT1_.numbered_sgpr, 0
	.set _ZN7rocprim17ROCPRIM_400000_NS6detail17trampoline_kernelINS0_14default_configENS1_25transform_config_selectorIlLb0EEEZNS1_14transform_implILb0ES3_S5_NS0_18transform_iteratorINS0_17counting_iteratorImlEEZNS1_24adjacent_difference_implIS3_Lb1ELb0EPlSB_ZN2at6native12_GLOBAL__N_124unique_dim_cuda_templateIlEESt5tupleIJNSC_6TensorESH_SH_EERKSH_lbbbEUlllE1_EE10hipError_tPvRmT2_T3_mT4_P12ihipStream_tbEUlmE_lEESB_NS0_8identityIvEEEESM_SP_SQ_mSR_ST_bEUlT_E_NS1_11comp_targetILNS1_3genE9ELNS1_11target_archE1100ELNS1_3gpuE3ELNS1_3repE0EEENS1_30default_config_static_selectorELNS0_4arch9wavefront6targetE0EEEvT1_.num_named_barrier, 0
	.set _ZN7rocprim17ROCPRIM_400000_NS6detail17trampoline_kernelINS0_14default_configENS1_25transform_config_selectorIlLb0EEEZNS1_14transform_implILb0ES3_S5_NS0_18transform_iteratorINS0_17counting_iteratorImlEEZNS1_24adjacent_difference_implIS3_Lb1ELb0EPlSB_ZN2at6native12_GLOBAL__N_124unique_dim_cuda_templateIlEESt5tupleIJNSC_6TensorESH_SH_EERKSH_lbbbEUlllE1_EE10hipError_tPvRmT2_T3_mT4_P12ihipStream_tbEUlmE_lEESB_NS0_8identityIvEEEESM_SP_SQ_mSR_ST_bEUlT_E_NS1_11comp_targetILNS1_3genE9ELNS1_11target_archE1100ELNS1_3gpuE3ELNS1_3repE0EEENS1_30default_config_static_selectorELNS0_4arch9wavefront6targetE0EEEvT1_.private_seg_size, 0
	.set _ZN7rocprim17ROCPRIM_400000_NS6detail17trampoline_kernelINS0_14default_configENS1_25transform_config_selectorIlLb0EEEZNS1_14transform_implILb0ES3_S5_NS0_18transform_iteratorINS0_17counting_iteratorImlEEZNS1_24adjacent_difference_implIS3_Lb1ELb0EPlSB_ZN2at6native12_GLOBAL__N_124unique_dim_cuda_templateIlEESt5tupleIJNSC_6TensorESH_SH_EERKSH_lbbbEUlllE1_EE10hipError_tPvRmT2_T3_mT4_P12ihipStream_tbEUlmE_lEESB_NS0_8identityIvEEEESM_SP_SQ_mSR_ST_bEUlT_E_NS1_11comp_targetILNS1_3genE9ELNS1_11target_archE1100ELNS1_3gpuE3ELNS1_3repE0EEENS1_30default_config_static_selectorELNS0_4arch9wavefront6targetE0EEEvT1_.uses_vcc, 0
	.set _ZN7rocprim17ROCPRIM_400000_NS6detail17trampoline_kernelINS0_14default_configENS1_25transform_config_selectorIlLb0EEEZNS1_14transform_implILb0ES3_S5_NS0_18transform_iteratorINS0_17counting_iteratorImlEEZNS1_24adjacent_difference_implIS3_Lb1ELb0EPlSB_ZN2at6native12_GLOBAL__N_124unique_dim_cuda_templateIlEESt5tupleIJNSC_6TensorESH_SH_EERKSH_lbbbEUlllE1_EE10hipError_tPvRmT2_T3_mT4_P12ihipStream_tbEUlmE_lEESB_NS0_8identityIvEEEESM_SP_SQ_mSR_ST_bEUlT_E_NS1_11comp_targetILNS1_3genE9ELNS1_11target_archE1100ELNS1_3gpuE3ELNS1_3repE0EEENS1_30default_config_static_selectorELNS0_4arch9wavefront6targetE0EEEvT1_.uses_flat_scratch, 0
	.set _ZN7rocprim17ROCPRIM_400000_NS6detail17trampoline_kernelINS0_14default_configENS1_25transform_config_selectorIlLb0EEEZNS1_14transform_implILb0ES3_S5_NS0_18transform_iteratorINS0_17counting_iteratorImlEEZNS1_24adjacent_difference_implIS3_Lb1ELb0EPlSB_ZN2at6native12_GLOBAL__N_124unique_dim_cuda_templateIlEESt5tupleIJNSC_6TensorESH_SH_EERKSH_lbbbEUlllE1_EE10hipError_tPvRmT2_T3_mT4_P12ihipStream_tbEUlmE_lEESB_NS0_8identityIvEEEESM_SP_SQ_mSR_ST_bEUlT_E_NS1_11comp_targetILNS1_3genE9ELNS1_11target_archE1100ELNS1_3gpuE3ELNS1_3repE0EEENS1_30default_config_static_selectorELNS0_4arch9wavefront6targetE0EEEvT1_.has_dyn_sized_stack, 0
	.set _ZN7rocprim17ROCPRIM_400000_NS6detail17trampoline_kernelINS0_14default_configENS1_25transform_config_selectorIlLb0EEEZNS1_14transform_implILb0ES3_S5_NS0_18transform_iteratorINS0_17counting_iteratorImlEEZNS1_24adjacent_difference_implIS3_Lb1ELb0EPlSB_ZN2at6native12_GLOBAL__N_124unique_dim_cuda_templateIlEESt5tupleIJNSC_6TensorESH_SH_EERKSH_lbbbEUlllE1_EE10hipError_tPvRmT2_T3_mT4_P12ihipStream_tbEUlmE_lEESB_NS0_8identityIvEEEESM_SP_SQ_mSR_ST_bEUlT_E_NS1_11comp_targetILNS1_3genE9ELNS1_11target_archE1100ELNS1_3gpuE3ELNS1_3repE0EEENS1_30default_config_static_selectorELNS0_4arch9wavefront6targetE0EEEvT1_.has_recursion, 0
	.set _ZN7rocprim17ROCPRIM_400000_NS6detail17trampoline_kernelINS0_14default_configENS1_25transform_config_selectorIlLb0EEEZNS1_14transform_implILb0ES3_S5_NS0_18transform_iteratorINS0_17counting_iteratorImlEEZNS1_24adjacent_difference_implIS3_Lb1ELb0EPlSB_ZN2at6native12_GLOBAL__N_124unique_dim_cuda_templateIlEESt5tupleIJNSC_6TensorESH_SH_EERKSH_lbbbEUlllE1_EE10hipError_tPvRmT2_T3_mT4_P12ihipStream_tbEUlmE_lEESB_NS0_8identityIvEEEESM_SP_SQ_mSR_ST_bEUlT_E_NS1_11comp_targetILNS1_3genE9ELNS1_11target_archE1100ELNS1_3gpuE3ELNS1_3repE0EEENS1_30default_config_static_selectorELNS0_4arch9wavefront6targetE0EEEvT1_.has_indirect_call, 0
	.section	.AMDGPU.csdata,"",@progbits
; Kernel info:
; codeLenInByte = 0
; TotalNumSgprs: 0
; NumVgprs: 0
; ScratchSize: 0
; MemoryBound: 0
; FloatMode: 240
; IeeeMode: 1
; LDSByteSize: 0 bytes/workgroup (compile time only)
; SGPRBlocks: 0
; VGPRBlocks: 0
; NumSGPRsForWavesPerEU: 1
; NumVGPRsForWavesPerEU: 1
; NamedBarCnt: 0
; Occupancy: 16
; WaveLimiterHint : 0
; COMPUTE_PGM_RSRC2:SCRATCH_EN: 0
; COMPUTE_PGM_RSRC2:USER_SGPR: 2
; COMPUTE_PGM_RSRC2:TRAP_HANDLER: 0
; COMPUTE_PGM_RSRC2:TGID_X_EN: 1
; COMPUTE_PGM_RSRC2:TGID_Y_EN: 0
; COMPUTE_PGM_RSRC2:TGID_Z_EN: 0
; COMPUTE_PGM_RSRC2:TIDIG_COMP_CNT: 0
	.section	.text._ZN7rocprim17ROCPRIM_400000_NS6detail17trampoline_kernelINS0_14default_configENS1_25transform_config_selectorIlLb0EEEZNS1_14transform_implILb0ES3_S5_NS0_18transform_iteratorINS0_17counting_iteratorImlEEZNS1_24adjacent_difference_implIS3_Lb1ELb0EPlSB_ZN2at6native12_GLOBAL__N_124unique_dim_cuda_templateIlEESt5tupleIJNSC_6TensorESH_SH_EERKSH_lbbbEUlllE1_EE10hipError_tPvRmT2_T3_mT4_P12ihipStream_tbEUlmE_lEESB_NS0_8identityIvEEEESM_SP_SQ_mSR_ST_bEUlT_E_NS1_11comp_targetILNS1_3genE8ELNS1_11target_archE1030ELNS1_3gpuE2ELNS1_3repE0EEENS1_30default_config_static_selectorELNS0_4arch9wavefront6targetE0EEEvT1_,"axG",@progbits,_ZN7rocprim17ROCPRIM_400000_NS6detail17trampoline_kernelINS0_14default_configENS1_25transform_config_selectorIlLb0EEEZNS1_14transform_implILb0ES3_S5_NS0_18transform_iteratorINS0_17counting_iteratorImlEEZNS1_24adjacent_difference_implIS3_Lb1ELb0EPlSB_ZN2at6native12_GLOBAL__N_124unique_dim_cuda_templateIlEESt5tupleIJNSC_6TensorESH_SH_EERKSH_lbbbEUlllE1_EE10hipError_tPvRmT2_T3_mT4_P12ihipStream_tbEUlmE_lEESB_NS0_8identityIvEEEESM_SP_SQ_mSR_ST_bEUlT_E_NS1_11comp_targetILNS1_3genE8ELNS1_11target_archE1030ELNS1_3gpuE2ELNS1_3repE0EEENS1_30default_config_static_selectorELNS0_4arch9wavefront6targetE0EEEvT1_,comdat
	.globl	_ZN7rocprim17ROCPRIM_400000_NS6detail17trampoline_kernelINS0_14default_configENS1_25transform_config_selectorIlLb0EEEZNS1_14transform_implILb0ES3_S5_NS0_18transform_iteratorINS0_17counting_iteratorImlEEZNS1_24adjacent_difference_implIS3_Lb1ELb0EPlSB_ZN2at6native12_GLOBAL__N_124unique_dim_cuda_templateIlEESt5tupleIJNSC_6TensorESH_SH_EERKSH_lbbbEUlllE1_EE10hipError_tPvRmT2_T3_mT4_P12ihipStream_tbEUlmE_lEESB_NS0_8identityIvEEEESM_SP_SQ_mSR_ST_bEUlT_E_NS1_11comp_targetILNS1_3genE8ELNS1_11target_archE1030ELNS1_3gpuE2ELNS1_3repE0EEENS1_30default_config_static_selectorELNS0_4arch9wavefront6targetE0EEEvT1_ ; -- Begin function _ZN7rocprim17ROCPRIM_400000_NS6detail17trampoline_kernelINS0_14default_configENS1_25transform_config_selectorIlLb0EEEZNS1_14transform_implILb0ES3_S5_NS0_18transform_iteratorINS0_17counting_iteratorImlEEZNS1_24adjacent_difference_implIS3_Lb1ELb0EPlSB_ZN2at6native12_GLOBAL__N_124unique_dim_cuda_templateIlEESt5tupleIJNSC_6TensorESH_SH_EERKSH_lbbbEUlllE1_EE10hipError_tPvRmT2_T3_mT4_P12ihipStream_tbEUlmE_lEESB_NS0_8identityIvEEEESM_SP_SQ_mSR_ST_bEUlT_E_NS1_11comp_targetILNS1_3genE8ELNS1_11target_archE1030ELNS1_3gpuE2ELNS1_3repE0EEENS1_30default_config_static_selectorELNS0_4arch9wavefront6targetE0EEEvT1_
	.p2align	8
	.type	_ZN7rocprim17ROCPRIM_400000_NS6detail17trampoline_kernelINS0_14default_configENS1_25transform_config_selectorIlLb0EEEZNS1_14transform_implILb0ES3_S5_NS0_18transform_iteratorINS0_17counting_iteratorImlEEZNS1_24adjacent_difference_implIS3_Lb1ELb0EPlSB_ZN2at6native12_GLOBAL__N_124unique_dim_cuda_templateIlEESt5tupleIJNSC_6TensorESH_SH_EERKSH_lbbbEUlllE1_EE10hipError_tPvRmT2_T3_mT4_P12ihipStream_tbEUlmE_lEESB_NS0_8identityIvEEEESM_SP_SQ_mSR_ST_bEUlT_E_NS1_11comp_targetILNS1_3genE8ELNS1_11target_archE1030ELNS1_3gpuE2ELNS1_3repE0EEENS1_30default_config_static_selectorELNS0_4arch9wavefront6targetE0EEEvT1_,@function
_ZN7rocprim17ROCPRIM_400000_NS6detail17trampoline_kernelINS0_14default_configENS1_25transform_config_selectorIlLb0EEEZNS1_14transform_implILb0ES3_S5_NS0_18transform_iteratorINS0_17counting_iteratorImlEEZNS1_24adjacent_difference_implIS3_Lb1ELb0EPlSB_ZN2at6native12_GLOBAL__N_124unique_dim_cuda_templateIlEESt5tupleIJNSC_6TensorESH_SH_EERKSH_lbbbEUlllE1_EE10hipError_tPvRmT2_T3_mT4_P12ihipStream_tbEUlmE_lEESB_NS0_8identityIvEEEESM_SP_SQ_mSR_ST_bEUlT_E_NS1_11comp_targetILNS1_3genE8ELNS1_11target_archE1030ELNS1_3gpuE2ELNS1_3repE0EEENS1_30default_config_static_selectorELNS0_4arch9wavefront6targetE0EEEvT1_: ; @_ZN7rocprim17ROCPRIM_400000_NS6detail17trampoline_kernelINS0_14default_configENS1_25transform_config_selectorIlLb0EEEZNS1_14transform_implILb0ES3_S5_NS0_18transform_iteratorINS0_17counting_iteratorImlEEZNS1_24adjacent_difference_implIS3_Lb1ELb0EPlSB_ZN2at6native12_GLOBAL__N_124unique_dim_cuda_templateIlEESt5tupleIJNSC_6TensorESH_SH_EERKSH_lbbbEUlllE1_EE10hipError_tPvRmT2_T3_mT4_P12ihipStream_tbEUlmE_lEESB_NS0_8identityIvEEEESM_SP_SQ_mSR_ST_bEUlT_E_NS1_11comp_targetILNS1_3genE8ELNS1_11target_archE1030ELNS1_3gpuE2ELNS1_3repE0EEENS1_30default_config_static_selectorELNS0_4arch9wavefront6targetE0EEEvT1_
; %bb.0:
	.section	.rodata,"a",@progbits
	.p2align	6, 0x0
	.amdhsa_kernel _ZN7rocprim17ROCPRIM_400000_NS6detail17trampoline_kernelINS0_14default_configENS1_25transform_config_selectorIlLb0EEEZNS1_14transform_implILb0ES3_S5_NS0_18transform_iteratorINS0_17counting_iteratorImlEEZNS1_24adjacent_difference_implIS3_Lb1ELb0EPlSB_ZN2at6native12_GLOBAL__N_124unique_dim_cuda_templateIlEESt5tupleIJNSC_6TensorESH_SH_EERKSH_lbbbEUlllE1_EE10hipError_tPvRmT2_T3_mT4_P12ihipStream_tbEUlmE_lEESB_NS0_8identityIvEEEESM_SP_SQ_mSR_ST_bEUlT_E_NS1_11comp_targetILNS1_3genE8ELNS1_11target_archE1030ELNS1_3gpuE2ELNS1_3repE0EEENS1_30default_config_static_selectorELNS0_4arch9wavefront6targetE0EEEvT1_
		.amdhsa_group_segment_fixed_size 0
		.amdhsa_private_segment_fixed_size 0
		.amdhsa_kernarg_size 56
		.amdhsa_user_sgpr_count 2
		.amdhsa_user_sgpr_dispatch_ptr 0
		.amdhsa_user_sgpr_queue_ptr 0
		.amdhsa_user_sgpr_kernarg_segment_ptr 1
		.amdhsa_user_sgpr_dispatch_id 0
		.amdhsa_user_sgpr_kernarg_preload_length 0
		.amdhsa_user_sgpr_kernarg_preload_offset 0
		.amdhsa_user_sgpr_private_segment_size 0
		.amdhsa_wavefront_size32 1
		.amdhsa_uses_dynamic_stack 0
		.amdhsa_enable_private_segment 0
		.amdhsa_system_sgpr_workgroup_id_x 1
		.amdhsa_system_sgpr_workgroup_id_y 0
		.amdhsa_system_sgpr_workgroup_id_z 0
		.amdhsa_system_sgpr_workgroup_info 0
		.amdhsa_system_vgpr_workitem_id 0
		.amdhsa_next_free_vgpr 1
		.amdhsa_next_free_sgpr 1
		.amdhsa_named_barrier_count 0
		.amdhsa_reserve_vcc 0
		.amdhsa_float_round_mode_32 0
		.amdhsa_float_round_mode_16_64 0
		.amdhsa_float_denorm_mode_32 3
		.amdhsa_float_denorm_mode_16_64 3
		.amdhsa_fp16_overflow 0
		.amdhsa_memory_ordered 1
		.amdhsa_forward_progress 1
		.amdhsa_inst_pref_size 0
		.amdhsa_round_robin_scheduling 0
		.amdhsa_exception_fp_ieee_invalid_op 0
		.amdhsa_exception_fp_denorm_src 0
		.amdhsa_exception_fp_ieee_div_zero 0
		.amdhsa_exception_fp_ieee_overflow 0
		.amdhsa_exception_fp_ieee_underflow 0
		.amdhsa_exception_fp_ieee_inexact 0
		.amdhsa_exception_int_div_zero 0
	.end_amdhsa_kernel
	.section	.text._ZN7rocprim17ROCPRIM_400000_NS6detail17trampoline_kernelINS0_14default_configENS1_25transform_config_selectorIlLb0EEEZNS1_14transform_implILb0ES3_S5_NS0_18transform_iteratorINS0_17counting_iteratorImlEEZNS1_24adjacent_difference_implIS3_Lb1ELb0EPlSB_ZN2at6native12_GLOBAL__N_124unique_dim_cuda_templateIlEESt5tupleIJNSC_6TensorESH_SH_EERKSH_lbbbEUlllE1_EE10hipError_tPvRmT2_T3_mT4_P12ihipStream_tbEUlmE_lEESB_NS0_8identityIvEEEESM_SP_SQ_mSR_ST_bEUlT_E_NS1_11comp_targetILNS1_3genE8ELNS1_11target_archE1030ELNS1_3gpuE2ELNS1_3repE0EEENS1_30default_config_static_selectorELNS0_4arch9wavefront6targetE0EEEvT1_,"axG",@progbits,_ZN7rocprim17ROCPRIM_400000_NS6detail17trampoline_kernelINS0_14default_configENS1_25transform_config_selectorIlLb0EEEZNS1_14transform_implILb0ES3_S5_NS0_18transform_iteratorINS0_17counting_iteratorImlEEZNS1_24adjacent_difference_implIS3_Lb1ELb0EPlSB_ZN2at6native12_GLOBAL__N_124unique_dim_cuda_templateIlEESt5tupleIJNSC_6TensorESH_SH_EERKSH_lbbbEUlllE1_EE10hipError_tPvRmT2_T3_mT4_P12ihipStream_tbEUlmE_lEESB_NS0_8identityIvEEEESM_SP_SQ_mSR_ST_bEUlT_E_NS1_11comp_targetILNS1_3genE8ELNS1_11target_archE1030ELNS1_3gpuE2ELNS1_3repE0EEENS1_30default_config_static_selectorELNS0_4arch9wavefront6targetE0EEEvT1_,comdat
.Lfunc_end554:
	.size	_ZN7rocprim17ROCPRIM_400000_NS6detail17trampoline_kernelINS0_14default_configENS1_25transform_config_selectorIlLb0EEEZNS1_14transform_implILb0ES3_S5_NS0_18transform_iteratorINS0_17counting_iteratorImlEEZNS1_24adjacent_difference_implIS3_Lb1ELb0EPlSB_ZN2at6native12_GLOBAL__N_124unique_dim_cuda_templateIlEESt5tupleIJNSC_6TensorESH_SH_EERKSH_lbbbEUlllE1_EE10hipError_tPvRmT2_T3_mT4_P12ihipStream_tbEUlmE_lEESB_NS0_8identityIvEEEESM_SP_SQ_mSR_ST_bEUlT_E_NS1_11comp_targetILNS1_3genE8ELNS1_11target_archE1030ELNS1_3gpuE2ELNS1_3repE0EEENS1_30default_config_static_selectorELNS0_4arch9wavefront6targetE0EEEvT1_, .Lfunc_end554-_ZN7rocprim17ROCPRIM_400000_NS6detail17trampoline_kernelINS0_14default_configENS1_25transform_config_selectorIlLb0EEEZNS1_14transform_implILb0ES3_S5_NS0_18transform_iteratorINS0_17counting_iteratorImlEEZNS1_24adjacent_difference_implIS3_Lb1ELb0EPlSB_ZN2at6native12_GLOBAL__N_124unique_dim_cuda_templateIlEESt5tupleIJNSC_6TensorESH_SH_EERKSH_lbbbEUlllE1_EE10hipError_tPvRmT2_T3_mT4_P12ihipStream_tbEUlmE_lEESB_NS0_8identityIvEEEESM_SP_SQ_mSR_ST_bEUlT_E_NS1_11comp_targetILNS1_3genE8ELNS1_11target_archE1030ELNS1_3gpuE2ELNS1_3repE0EEENS1_30default_config_static_selectorELNS0_4arch9wavefront6targetE0EEEvT1_
                                        ; -- End function
	.set _ZN7rocprim17ROCPRIM_400000_NS6detail17trampoline_kernelINS0_14default_configENS1_25transform_config_selectorIlLb0EEEZNS1_14transform_implILb0ES3_S5_NS0_18transform_iteratorINS0_17counting_iteratorImlEEZNS1_24adjacent_difference_implIS3_Lb1ELb0EPlSB_ZN2at6native12_GLOBAL__N_124unique_dim_cuda_templateIlEESt5tupleIJNSC_6TensorESH_SH_EERKSH_lbbbEUlllE1_EE10hipError_tPvRmT2_T3_mT4_P12ihipStream_tbEUlmE_lEESB_NS0_8identityIvEEEESM_SP_SQ_mSR_ST_bEUlT_E_NS1_11comp_targetILNS1_3genE8ELNS1_11target_archE1030ELNS1_3gpuE2ELNS1_3repE0EEENS1_30default_config_static_selectorELNS0_4arch9wavefront6targetE0EEEvT1_.num_vgpr, 0
	.set _ZN7rocprim17ROCPRIM_400000_NS6detail17trampoline_kernelINS0_14default_configENS1_25transform_config_selectorIlLb0EEEZNS1_14transform_implILb0ES3_S5_NS0_18transform_iteratorINS0_17counting_iteratorImlEEZNS1_24adjacent_difference_implIS3_Lb1ELb0EPlSB_ZN2at6native12_GLOBAL__N_124unique_dim_cuda_templateIlEESt5tupleIJNSC_6TensorESH_SH_EERKSH_lbbbEUlllE1_EE10hipError_tPvRmT2_T3_mT4_P12ihipStream_tbEUlmE_lEESB_NS0_8identityIvEEEESM_SP_SQ_mSR_ST_bEUlT_E_NS1_11comp_targetILNS1_3genE8ELNS1_11target_archE1030ELNS1_3gpuE2ELNS1_3repE0EEENS1_30default_config_static_selectorELNS0_4arch9wavefront6targetE0EEEvT1_.num_agpr, 0
	.set _ZN7rocprim17ROCPRIM_400000_NS6detail17trampoline_kernelINS0_14default_configENS1_25transform_config_selectorIlLb0EEEZNS1_14transform_implILb0ES3_S5_NS0_18transform_iteratorINS0_17counting_iteratorImlEEZNS1_24adjacent_difference_implIS3_Lb1ELb0EPlSB_ZN2at6native12_GLOBAL__N_124unique_dim_cuda_templateIlEESt5tupleIJNSC_6TensorESH_SH_EERKSH_lbbbEUlllE1_EE10hipError_tPvRmT2_T3_mT4_P12ihipStream_tbEUlmE_lEESB_NS0_8identityIvEEEESM_SP_SQ_mSR_ST_bEUlT_E_NS1_11comp_targetILNS1_3genE8ELNS1_11target_archE1030ELNS1_3gpuE2ELNS1_3repE0EEENS1_30default_config_static_selectorELNS0_4arch9wavefront6targetE0EEEvT1_.numbered_sgpr, 0
	.set _ZN7rocprim17ROCPRIM_400000_NS6detail17trampoline_kernelINS0_14default_configENS1_25transform_config_selectorIlLb0EEEZNS1_14transform_implILb0ES3_S5_NS0_18transform_iteratorINS0_17counting_iteratorImlEEZNS1_24adjacent_difference_implIS3_Lb1ELb0EPlSB_ZN2at6native12_GLOBAL__N_124unique_dim_cuda_templateIlEESt5tupleIJNSC_6TensorESH_SH_EERKSH_lbbbEUlllE1_EE10hipError_tPvRmT2_T3_mT4_P12ihipStream_tbEUlmE_lEESB_NS0_8identityIvEEEESM_SP_SQ_mSR_ST_bEUlT_E_NS1_11comp_targetILNS1_3genE8ELNS1_11target_archE1030ELNS1_3gpuE2ELNS1_3repE0EEENS1_30default_config_static_selectorELNS0_4arch9wavefront6targetE0EEEvT1_.num_named_barrier, 0
	.set _ZN7rocprim17ROCPRIM_400000_NS6detail17trampoline_kernelINS0_14default_configENS1_25transform_config_selectorIlLb0EEEZNS1_14transform_implILb0ES3_S5_NS0_18transform_iteratorINS0_17counting_iteratorImlEEZNS1_24adjacent_difference_implIS3_Lb1ELb0EPlSB_ZN2at6native12_GLOBAL__N_124unique_dim_cuda_templateIlEESt5tupleIJNSC_6TensorESH_SH_EERKSH_lbbbEUlllE1_EE10hipError_tPvRmT2_T3_mT4_P12ihipStream_tbEUlmE_lEESB_NS0_8identityIvEEEESM_SP_SQ_mSR_ST_bEUlT_E_NS1_11comp_targetILNS1_3genE8ELNS1_11target_archE1030ELNS1_3gpuE2ELNS1_3repE0EEENS1_30default_config_static_selectorELNS0_4arch9wavefront6targetE0EEEvT1_.private_seg_size, 0
	.set _ZN7rocprim17ROCPRIM_400000_NS6detail17trampoline_kernelINS0_14default_configENS1_25transform_config_selectorIlLb0EEEZNS1_14transform_implILb0ES3_S5_NS0_18transform_iteratorINS0_17counting_iteratorImlEEZNS1_24adjacent_difference_implIS3_Lb1ELb0EPlSB_ZN2at6native12_GLOBAL__N_124unique_dim_cuda_templateIlEESt5tupleIJNSC_6TensorESH_SH_EERKSH_lbbbEUlllE1_EE10hipError_tPvRmT2_T3_mT4_P12ihipStream_tbEUlmE_lEESB_NS0_8identityIvEEEESM_SP_SQ_mSR_ST_bEUlT_E_NS1_11comp_targetILNS1_3genE8ELNS1_11target_archE1030ELNS1_3gpuE2ELNS1_3repE0EEENS1_30default_config_static_selectorELNS0_4arch9wavefront6targetE0EEEvT1_.uses_vcc, 0
	.set _ZN7rocprim17ROCPRIM_400000_NS6detail17trampoline_kernelINS0_14default_configENS1_25transform_config_selectorIlLb0EEEZNS1_14transform_implILb0ES3_S5_NS0_18transform_iteratorINS0_17counting_iteratorImlEEZNS1_24adjacent_difference_implIS3_Lb1ELb0EPlSB_ZN2at6native12_GLOBAL__N_124unique_dim_cuda_templateIlEESt5tupleIJNSC_6TensorESH_SH_EERKSH_lbbbEUlllE1_EE10hipError_tPvRmT2_T3_mT4_P12ihipStream_tbEUlmE_lEESB_NS0_8identityIvEEEESM_SP_SQ_mSR_ST_bEUlT_E_NS1_11comp_targetILNS1_3genE8ELNS1_11target_archE1030ELNS1_3gpuE2ELNS1_3repE0EEENS1_30default_config_static_selectorELNS0_4arch9wavefront6targetE0EEEvT1_.uses_flat_scratch, 0
	.set _ZN7rocprim17ROCPRIM_400000_NS6detail17trampoline_kernelINS0_14default_configENS1_25transform_config_selectorIlLb0EEEZNS1_14transform_implILb0ES3_S5_NS0_18transform_iteratorINS0_17counting_iteratorImlEEZNS1_24adjacent_difference_implIS3_Lb1ELb0EPlSB_ZN2at6native12_GLOBAL__N_124unique_dim_cuda_templateIlEESt5tupleIJNSC_6TensorESH_SH_EERKSH_lbbbEUlllE1_EE10hipError_tPvRmT2_T3_mT4_P12ihipStream_tbEUlmE_lEESB_NS0_8identityIvEEEESM_SP_SQ_mSR_ST_bEUlT_E_NS1_11comp_targetILNS1_3genE8ELNS1_11target_archE1030ELNS1_3gpuE2ELNS1_3repE0EEENS1_30default_config_static_selectorELNS0_4arch9wavefront6targetE0EEEvT1_.has_dyn_sized_stack, 0
	.set _ZN7rocprim17ROCPRIM_400000_NS6detail17trampoline_kernelINS0_14default_configENS1_25transform_config_selectorIlLb0EEEZNS1_14transform_implILb0ES3_S5_NS0_18transform_iteratorINS0_17counting_iteratorImlEEZNS1_24adjacent_difference_implIS3_Lb1ELb0EPlSB_ZN2at6native12_GLOBAL__N_124unique_dim_cuda_templateIlEESt5tupleIJNSC_6TensorESH_SH_EERKSH_lbbbEUlllE1_EE10hipError_tPvRmT2_T3_mT4_P12ihipStream_tbEUlmE_lEESB_NS0_8identityIvEEEESM_SP_SQ_mSR_ST_bEUlT_E_NS1_11comp_targetILNS1_3genE8ELNS1_11target_archE1030ELNS1_3gpuE2ELNS1_3repE0EEENS1_30default_config_static_selectorELNS0_4arch9wavefront6targetE0EEEvT1_.has_recursion, 0
	.set _ZN7rocprim17ROCPRIM_400000_NS6detail17trampoline_kernelINS0_14default_configENS1_25transform_config_selectorIlLb0EEEZNS1_14transform_implILb0ES3_S5_NS0_18transform_iteratorINS0_17counting_iteratorImlEEZNS1_24adjacent_difference_implIS3_Lb1ELb0EPlSB_ZN2at6native12_GLOBAL__N_124unique_dim_cuda_templateIlEESt5tupleIJNSC_6TensorESH_SH_EERKSH_lbbbEUlllE1_EE10hipError_tPvRmT2_T3_mT4_P12ihipStream_tbEUlmE_lEESB_NS0_8identityIvEEEESM_SP_SQ_mSR_ST_bEUlT_E_NS1_11comp_targetILNS1_3genE8ELNS1_11target_archE1030ELNS1_3gpuE2ELNS1_3repE0EEENS1_30default_config_static_selectorELNS0_4arch9wavefront6targetE0EEEvT1_.has_indirect_call, 0
	.section	.AMDGPU.csdata,"",@progbits
; Kernel info:
; codeLenInByte = 0
; TotalNumSgprs: 0
; NumVgprs: 0
; ScratchSize: 0
; MemoryBound: 0
; FloatMode: 240
; IeeeMode: 1
; LDSByteSize: 0 bytes/workgroup (compile time only)
; SGPRBlocks: 0
; VGPRBlocks: 0
; NumSGPRsForWavesPerEU: 1
; NumVGPRsForWavesPerEU: 1
; NamedBarCnt: 0
; Occupancy: 16
; WaveLimiterHint : 0
; COMPUTE_PGM_RSRC2:SCRATCH_EN: 0
; COMPUTE_PGM_RSRC2:USER_SGPR: 2
; COMPUTE_PGM_RSRC2:TRAP_HANDLER: 0
; COMPUTE_PGM_RSRC2:TGID_X_EN: 1
; COMPUTE_PGM_RSRC2:TGID_Y_EN: 0
; COMPUTE_PGM_RSRC2:TGID_Z_EN: 0
; COMPUTE_PGM_RSRC2:TIDIG_COMP_CNT: 0
	.section	.text._ZN7rocprim17ROCPRIM_400000_NS6detail17trampoline_kernelINS0_14default_configENS1_35adjacent_difference_config_selectorILb1ElEEZNS1_24adjacent_difference_implIS3_Lb1ELb0EPlS7_ZN2at6native12_GLOBAL__N_124unique_dim_cuda_templateIlEESt5tupleIJNS8_6TensorESD_SD_EERKSD_lbbbEUlllE1_EE10hipError_tPvRmT2_T3_mT4_P12ihipStream_tbEUlT_E_NS1_11comp_targetILNS1_3genE0ELNS1_11target_archE4294967295ELNS1_3gpuE0ELNS1_3repE0EEENS1_30default_config_static_selectorELNS0_4arch9wavefront6targetE0EEEvT1_,"axG",@progbits,_ZN7rocprim17ROCPRIM_400000_NS6detail17trampoline_kernelINS0_14default_configENS1_35adjacent_difference_config_selectorILb1ElEEZNS1_24adjacent_difference_implIS3_Lb1ELb0EPlS7_ZN2at6native12_GLOBAL__N_124unique_dim_cuda_templateIlEESt5tupleIJNS8_6TensorESD_SD_EERKSD_lbbbEUlllE1_EE10hipError_tPvRmT2_T3_mT4_P12ihipStream_tbEUlT_E_NS1_11comp_targetILNS1_3genE0ELNS1_11target_archE4294967295ELNS1_3gpuE0ELNS1_3repE0EEENS1_30default_config_static_selectorELNS0_4arch9wavefront6targetE0EEEvT1_,comdat
	.globl	_ZN7rocprim17ROCPRIM_400000_NS6detail17trampoline_kernelINS0_14default_configENS1_35adjacent_difference_config_selectorILb1ElEEZNS1_24adjacent_difference_implIS3_Lb1ELb0EPlS7_ZN2at6native12_GLOBAL__N_124unique_dim_cuda_templateIlEESt5tupleIJNS8_6TensorESD_SD_EERKSD_lbbbEUlllE1_EE10hipError_tPvRmT2_T3_mT4_P12ihipStream_tbEUlT_E_NS1_11comp_targetILNS1_3genE0ELNS1_11target_archE4294967295ELNS1_3gpuE0ELNS1_3repE0EEENS1_30default_config_static_selectorELNS0_4arch9wavefront6targetE0EEEvT1_ ; -- Begin function _ZN7rocprim17ROCPRIM_400000_NS6detail17trampoline_kernelINS0_14default_configENS1_35adjacent_difference_config_selectorILb1ElEEZNS1_24adjacent_difference_implIS3_Lb1ELb0EPlS7_ZN2at6native12_GLOBAL__N_124unique_dim_cuda_templateIlEESt5tupleIJNS8_6TensorESD_SD_EERKSD_lbbbEUlllE1_EE10hipError_tPvRmT2_T3_mT4_P12ihipStream_tbEUlT_E_NS1_11comp_targetILNS1_3genE0ELNS1_11target_archE4294967295ELNS1_3gpuE0ELNS1_3repE0EEENS1_30default_config_static_selectorELNS0_4arch9wavefront6targetE0EEEvT1_
	.p2align	8
	.type	_ZN7rocprim17ROCPRIM_400000_NS6detail17trampoline_kernelINS0_14default_configENS1_35adjacent_difference_config_selectorILb1ElEEZNS1_24adjacent_difference_implIS3_Lb1ELb0EPlS7_ZN2at6native12_GLOBAL__N_124unique_dim_cuda_templateIlEESt5tupleIJNS8_6TensorESD_SD_EERKSD_lbbbEUlllE1_EE10hipError_tPvRmT2_T3_mT4_P12ihipStream_tbEUlT_E_NS1_11comp_targetILNS1_3genE0ELNS1_11target_archE4294967295ELNS1_3gpuE0ELNS1_3repE0EEENS1_30default_config_static_selectorELNS0_4arch9wavefront6targetE0EEEvT1_,@function
_ZN7rocprim17ROCPRIM_400000_NS6detail17trampoline_kernelINS0_14default_configENS1_35adjacent_difference_config_selectorILb1ElEEZNS1_24adjacent_difference_implIS3_Lb1ELb0EPlS7_ZN2at6native12_GLOBAL__N_124unique_dim_cuda_templateIlEESt5tupleIJNS8_6TensorESD_SD_EERKSD_lbbbEUlllE1_EE10hipError_tPvRmT2_T3_mT4_P12ihipStream_tbEUlT_E_NS1_11comp_targetILNS1_3genE0ELNS1_11target_archE4294967295ELNS1_3gpuE0ELNS1_3repE0EEENS1_30default_config_static_selectorELNS0_4arch9wavefront6targetE0EEEvT1_: ; @_ZN7rocprim17ROCPRIM_400000_NS6detail17trampoline_kernelINS0_14default_configENS1_35adjacent_difference_config_selectorILb1ElEEZNS1_24adjacent_difference_implIS3_Lb1ELb0EPlS7_ZN2at6native12_GLOBAL__N_124unique_dim_cuda_templateIlEESt5tupleIJNS8_6TensorESD_SD_EERKSD_lbbbEUlllE1_EE10hipError_tPvRmT2_T3_mT4_P12ihipStream_tbEUlT_E_NS1_11comp_targetILNS1_3genE0ELNS1_11target_archE4294967295ELNS1_3gpuE0ELNS1_3repE0EEENS1_30default_config_static_selectorELNS0_4arch9wavefront6targetE0EEEvT1_
; %bb.0:
	s_load_b512 s[4:19], s[0:1], 0x0
	s_wait_xcnt 0x0
	s_bfe_u32 s0, ttmp6, 0x4000c
	s_and_b32 s1, ttmp6, 15
	s_add_co_i32 s0, s0, 1
	s_getreg_b32 s2, hwreg(HW_REG_IB_STS2, 6, 4)
	s_mul_i32 s0, ttmp9, s0
	s_mov_b32 s25, 0
	s_add_co_i32 s1, s1, s0
	s_wait_kmcnt 0x0
	s_lshl_b64 s[20:21], s[6:7], 3
	s_cmp_eq_u32 s2, 0
	s_add_nc_u64 s[4:5], s[4:5], s[20:21]
	s_cselect_b32 s3, ttmp9, s1
	s_and_b64 s[6:7], s[10:11], 0x3ff
	s_lshr_b64 s[0:1], s[10:11], 10
	s_lshl_b32 s2, s3, 10
	s_cmp_lg_u64 s[6:7], 0
	s_cselect_b32 s6, -1, 0
	s_delay_alu instid0(SALU_CYCLE_1) | instskip(NEXT) | instid1(VALU_DEP_1)
	v_cndmask_b32_e64 v1, 0, 1, s6
	v_readfirstlane_b32 s24, v1
	s_add_nc_u64 s[0:1], s[0:1], s[24:25]
	s_mov_b32 s24, s3
	s_add_nc_u64 s[6:7], s[0:1], -1
	s_add_nc_u64 s[22:23], s[18:19], s[24:25]
	s_mov_b32 s3, -1
	v_cmp_ge_u64_e64 s11, s[22:23], s[6:7]
	s_and_b32 vcc_lo, exec_lo, s11
	s_cbranch_vccz .LBB555_6
; %bb.1:
	v_mov_b32_e32 v2, 0
	s_lshl_b32 s3, s6, 10
	s_delay_alu instid0(SALU_CYCLE_1) | instskip(SKIP_1) | instid1(VALU_DEP_1)
	s_sub_co_i32 s28, s10, s3
	s_mov_b32 s3, s25
	v_dual_mov_b32 v3, v2 :: v_dual_mov_b32 v4, v2
	v_mov_b32_e32 v5, v2
	s_lshl_b64 s[26:27], s[2:3], 3
	s_mov_b32 s3, exec_lo
	s_add_nc_u64 s[26:27], s[4:5], s[26:27]
	v_cmpx_gt_u32_e64 s28, v0
	s_cbranch_execz .LBB555_3
; %bb.2:
	global_load_b64 v[4:5], v0, s[26:27] scale_offset
	v_dual_mov_b32 v6, v2 :: v_dual_mov_b32 v7, v2
	s_wait_loadcnt 0x0
	v_mov_b64_e32 v[2:3], v[4:5]
	s_delay_alu instid0(VALU_DEP_2)
	v_mov_b64_e32 v[4:5], v[6:7]
.LBB555_3:
	s_or_b32 exec_lo, exec_lo, s3
	v_or_b32_e32 v1, 0x200, v0
	s_mov_b32 s3, exec_lo
	s_delay_alu instid0(VALU_DEP_1)
	v_cmpx_gt_u32_e64 s28, v1
	s_cbranch_execz .LBB555_5
; %bb.4:
	global_load_b64 v[4:5], v0, s[26:27] offset:4096 scale_offset
.LBB555_5:
	s_wait_xcnt 0x0
	s_or_b32 exec_lo, exec_lo, s3
	v_dual_lshrrev_b32 v6, 2, v0 :: v_dual_lshrrev_b32 v1, 2, v1
	v_lshlrev_b32_e32 v7, 3, v0
	s_mov_b32 s3, 0
	s_delay_alu instid0(VALU_DEP_2) | instskip(NEXT) | instid1(VALU_DEP_3)
	v_and_b32_e32 v6, 0x78, v6
	v_and_b32_e32 v1, 0xf8, v1
	s_delay_alu instid0(VALU_DEP_1)
	v_dual_add_nc_u32 v6, v6, v7 :: v_dual_add_nc_u32 v1, v1, v7
	ds_store_b64 v6, v[2:3]
	s_wait_loadcnt 0x0
	ds_store_b64 v1, v[4:5] offset:4096
	s_wait_dscnt 0x0
	s_barrier_signal -1
	s_barrier_wait -1
.LBB555_6:
	s_and_b32 vcc_lo, exec_lo, s3
	s_cbranch_vccz .LBB555_8
; %bb.7:
	s_mov_b32 s3, 0
	v_or_b32_e32 v1, 0x200, v0
	s_lshl_b64 s[26:27], s[2:3], 3
	v_lshrrev_b32_e32 v6, 2, v0
	s_add_nc_u64 s[4:5], s[4:5], s[26:27]
	v_lshlrev_b32_e32 v7, 3, v0
	s_clause 0x1
	global_load_b64 v[2:3], v0, s[4:5] scale_offset
	global_load_b64 v[4:5], v0, s[4:5] offset:4096 scale_offset
	v_lshrrev_b32_e32 v1, 2, v1
	v_and_b32_e32 v6, 0x78, v6
	s_delay_alu instid0(VALU_DEP_2) | instskip(NEXT) | instid1(VALU_DEP_1)
	v_and_b32_e32 v1, 0xf8, v1
	v_dual_add_nc_u32 v6, v6, v7 :: v_dual_add_nc_u32 v1, v1, v7
	s_wait_loadcnt 0x1
	ds_store_b64 v6, v[2:3]
	s_wait_loadcnt 0x0
	ds_store_b64 v1, v[4:5] offset:4096
	s_wait_dscnt 0x0
	s_barrier_signal -1
	s_barrier_wait -1
.LBB555_8:
	v_lshrrev_b32_e32 v1, 1, v0
	s_cmp_eq_u64 s[22:23], 0
	s_delay_alu instid0(VALU_DEP_1) | instskip(NEXT) | instid1(VALU_DEP_1)
	v_and_b32_e32 v1, 0xf8, v1
	v_lshl_add_u32 v1, v0, 4, v1
	ds_load_2addr_b64 v[2:5], v1 offset1:1
	s_wait_dscnt 0x0
	s_barrier_signal -1
	s_barrier_wait -1
	s_cbranch_scc1 .LBB555_15
; %bb.9:
	s_lshl_b64 s[4:5], s[18:19], 3
	s_delay_alu instid0(SALU_CYCLE_1) | instskip(SKIP_3) | instid1(SALU_CYCLE_1)
	s_add_nc_u64 s[4:5], s[16:17], s[4:5]
	s_lshl_b64 s[16:17], s[24:25], 3
	s_cmp_eq_u64 s[22:23], s[6:7]
	s_add_nc_u64 s[4:5], s[4:5], s[16:17]
	s_add_nc_u64 s[4:5], s[4:5], -8
	s_load_b64 s[4:5], s[4:5], 0x0
	s_cbranch_scc1 .LBB555_16
; %bb.10:
	v_cmp_lt_i64_e64 s7, s[12:13], 1
	v_mov_b64_e32 v[8:9], 0
	v_cmp_gt_i64_e64 s3, s[12:13], 0
	v_lshlrev_b32_e32 v12, 3, v0
	s_and_b32 vcc_lo, exec_lo, s7
	ds_store_b64 v12, v[4:5]
	s_cbranch_vccnz .LBB555_18
; %bb.11:
	v_mul_u64_e32 v[6:7], s[12:13], v[4:5]
	v_mul_u64_e32 v[8:9], s[12:13], v[2:3]
	s_mov_b32 s7, 0
	s_mov_b64 s[16:17], s[12:13]
                                        ; implicit-def: $sgpr18
	s_delay_alu instid0(VALU_DEP_2) | instskip(NEXT) | instid1(VALU_DEP_2)
	v_lshl_add_u64 v[6:7], v[6:7], 3, s[14:15]
	v_lshl_add_u64 v[10:11], v[8:9], 3, s[14:15]
	s_branch .LBB555_13
.LBB555_12:                             ;   in Loop: Header=BB555_13 Depth=1
	s_or_b32 exec_lo, exec_lo, s19
	s_delay_alu instid0(SALU_CYCLE_1) | instskip(NEXT) | instid1(SALU_CYCLE_1)
	s_and_b32 s19, exec_lo, s18
	s_or_b32 s7, s19, s7
	s_delay_alu instid0(SALU_CYCLE_1)
	s_and_not1_b32 exec_lo, exec_lo, s7
	s_cbranch_execz .LBB555_17
.LBB555_13:                             ; =>This Inner Loop Header: Depth=1
	global_load_b64 v[8:9], v[6:7], off
	global_load_b64 v[14:15], v[10:11], off
	s_or_b32 s18, s18, exec_lo
	s_wait_loadcnt 0x0
	v_cmp_eq_u64_e32 vcc_lo, v[8:9], v[14:15]
	v_mov_b64_e32 v[8:9], 1
	s_and_saveexec_b32 s19, vcc_lo
	s_cbranch_execz .LBB555_12
; %bb.14:                               ;   in Loop: Header=BB555_13 Depth=1
	s_add_nc_u64 s[16:17], s[16:17], -1
	v_add_nc_u64_e32 v[6:7], 8, v[6:7]
	s_cmp_eq_u64 s[16:17], 0
	v_add_nc_u64_e32 v[10:11], 8, v[10:11]
	v_mov_b64_e32 v[8:9], 0
	s_cselect_b32 s23, -1, 0
	s_and_not1_b32 s18, s18, exec_lo
	s_and_b32 s23, s23, exec_lo
	s_delay_alu instid0(SALU_CYCLE_1)
	s_or_b32 s18, s18, s23
	s_branch .LBB555_12
.LBB555_15:
                                        ; implicit-def: $vgpr8_vgpr9
                                        ; implicit-def: $vgpr6_vgpr7
	s_branch .LBB555_47
.LBB555_16:
                                        ; implicit-def: $vgpr8_vgpr9
                                        ; implicit-def: $vgpr6_vgpr7
	s_cbranch_execnz .LBB555_27
	s_branch .LBB555_46
.LBB555_17:
	s_or_b32 exec_lo, exec_lo, s7
.LBB555_18:
	s_wait_kmcnt 0x0
	v_mov_b64_e32 v[6:7], s[4:5]
	s_mov_b32 s7, exec_lo
	s_wait_dscnt 0x0
	s_barrier_signal -1
	s_barrier_wait -1
	v_cmpx_ne_u32_e32 0, v0
; %bb.19:
	v_add_nc_u32_e32 v6, -8, v12
	ds_load_b64 v[6:7], v6
; %bb.20:
	s_or_b32 exec_lo, exec_lo, s7
	s_delay_alu instid0(SALU_CYCLE_1)
	s_and_not1_b32 vcc_lo, exec_lo, s3
	s_cbranch_vccnz .LBB555_26
; %bb.21:
	v_mul_u64_e32 v[10:11], s[12:13], v[2:3]
	s_wait_dscnt 0x0
	v_mul_u64_e32 v[6:7], s[12:13], v[6:7]
	s_mov_b32 s3, 0
	s_mov_b64 s[16:17], s[12:13]
                                        ; implicit-def: $sgpr7
	s_delay_alu instid0(VALU_DEP_2) | instskip(NEXT) | instid1(VALU_DEP_2)
	v_lshl_add_u64 v[10:11], v[10:11], 3, s[14:15]
	v_lshl_add_u64 v[12:13], v[6:7], 3, s[14:15]
	s_branch .LBB555_23
.LBB555_22:                             ;   in Loop: Header=BB555_23 Depth=1
	s_or_b32 exec_lo, exec_lo, s18
	s_delay_alu instid0(SALU_CYCLE_1) | instskip(NEXT) | instid1(SALU_CYCLE_1)
	s_and_b32 s18, exec_lo, s7
	s_or_b32 s3, s18, s3
	s_delay_alu instid0(SALU_CYCLE_1)
	s_and_not1_b32 exec_lo, exec_lo, s3
	s_cbranch_execz .LBB555_25
.LBB555_23:                             ; =>This Inner Loop Header: Depth=1
	global_load_b64 v[6:7], v[10:11], off
	global_load_b64 v[14:15], v[12:13], off
	s_or_b32 s7, s7, exec_lo
	s_wait_loadcnt 0x0
	v_cmp_eq_u64_e32 vcc_lo, v[6:7], v[14:15]
	v_mov_b64_e32 v[6:7], 1
	s_and_saveexec_b32 s18, vcc_lo
	s_cbranch_execz .LBB555_22
; %bb.24:                               ;   in Loop: Header=BB555_23 Depth=1
	s_add_nc_u64 s[16:17], s[16:17], -1
	v_add_nc_u64_e32 v[10:11], 8, v[10:11]
	s_cmp_eq_u64 s[16:17], 0
	v_add_nc_u64_e32 v[12:13], 8, v[12:13]
	v_mov_b64_e32 v[6:7], 0
	s_cselect_b32 s19, -1, 0
	s_and_not1_b32 s7, s7, exec_lo
	s_and_b32 s19, s19, exec_lo
	s_delay_alu instid0(SALU_CYCLE_1)
	s_or_b32 s7, s7, s19
	s_branch .LBB555_22
.LBB555_25:
	s_or_b32 exec_lo, exec_lo, s3
	s_branch .LBB555_46
.LBB555_26:
	s_wait_dscnt 0x0
	v_mov_b64_e32 v[6:7], 0
	s_branch .LBB555_46
.LBB555_27:
	v_dual_lshlrev_b32 v12, 1, v0 :: v_dual_lshlrev_b32 v13, 3, v0
	v_mov_b64_e32 v[8:9], v[4:5]
	s_lshl_b32 s3, s22, 10
	s_mov_b32 s7, exec_lo
	s_delay_alu instid0(VALU_DEP_2)
	v_or_b32_e32 v10, 1, v12
	s_sub_co_i32 s3, s10, s3
	v_mov_b64_e32 v[6:7], v[2:3]
	ds_store_b64 v13, v[4:5]
	v_cmpx_gt_u32_e64 s3, v10
	s_cbranch_execz .LBB555_35
; %bb.28:
	v_cmp_lt_i64_e64 s16, s[12:13], 1
	s_and_b32 vcc_lo, exec_lo, s16
	s_cbranch_vccnz .LBB555_34
; %bb.29:
	v_mul_u64_e32 v[6:7], s[12:13], v[4:5]
	v_mul_u64_e32 v[8:9], s[12:13], v[2:3]
	s_mov_b32 s18, 0
	s_mov_b64 s[16:17], s[12:13]
                                        ; implicit-def: $sgpr19
	s_delay_alu instid0(VALU_DEP_2) | instskip(NEXT) | instid1(VALU_DEP_2)
	v_lshl_add_u64 v[6:7], v[6:7], 3, s[14:15]
	v_lshl_add_u64 v[10:11], v[8:9], 3, s[14:15]
	s_branch .LBB555_31
.LBB555_30:                             ;   in Loop: Header=BB555_31 Depth=1
	s_or_b32 exec_lo, exec_lo, s22
	s_delay_alu instid0(SALU_CYCLE_1) | instskip(NEXT) | instid1(SALU_CYCLE_1)
	s_and_b32 s22, exec_lo, s19
	s_or_b32 s18, s22, s18
	s_delay_alu instid0(SALU_CYCLE_1)
	s_and_not1_b32 exec_lo, exec_lo, s18
	s_cbranch_execz .LBB555_33
.LBB555_31:                             ; =>This Inner Loop Header: Depth=1
	global_load_b64 v[8:9], v[6:7], off
	global_load_b64 v[14:15], v[10:11], off
	s_or_b32 s19, s19, exec_lo
	s_wait_loadcnt 0x0
	v_cmp_eq_u64_e32 vcc_lo, v[8:9], v[14:15]
	v_mov_b64_e32 v[8:9], 1
	s_and_saveexec_b32 s22, vcc_lo
	s_cbranch_execz .LBB555_30
; %bb.32:                               ;   in Loop: Header=BB555_31 Depth=1
	s_add_nc_u64 s[16:17], s[16:17], -1
	v_add_nc_u64_e32 v[6:7], 8, v[6:7]
	s_cmp_eq_u64 s[16:17], 0
	v_add_nc_u64_e32 v[10:11], 8, v[10:11]
	s_cselect_b32 s23, -1, 0
	s_and_not1_b32 s19, s19, exec_lo
	s_and_b32 s23, s23, exec_lo
	v_mov_b64_e32 v[8:9], 0
	s_or_b32 s19, s19, s23
	s_branch .LBB555_30
.LBB555_33:
	s_or_b32 exec_lo, exec_lo, s18
	s_branch .LBB555_35
.LBB555_34:
	v_mov_b64_e32 v[8:9], 0
.LBB555_35:
	s_or_b32 exec_lo, exec_lo, s7
	s_wait_kmcnt 0x0
	v_mov_b64_e32 v[10:11], s[4:5]
	s_mov_b32 s4, exec_lo
	s_wait_dscnt 0x0
	s_barrier_signal -1
	s_barrier_wait -1
	v_cmpx_ne_u32_e32 0, v0
; %bb.36:
	v_add_nc_u32_e32 v6, -8, v13
	ds_load_b64 v[10:11], v6
; %bb.37:
	s_or_b32 exec_lo, exec_lo, s4
	v_mov_b64_e32 v[6:7], v[2:3]
	v_cmp_gt_u32_e32 vcc_lo, s3, v12
	s_and_saveexec_b32 s3, vcc_lo
	s_cbranch_execz .LBB555_45
; %bb.38:
	v_cmp_lt_i64_e64 s4, s[12:13], 1
	s_and_b32 vcc_lo, exec_lo, s4
	s_cbranch_vccnz .LBB555_44
; %bb.39:
	v_mul_u64_e32 v[6:7], s[12:13], v[2:3]
	s_wait_dscnt 0x0
	v_mul_u64_e32 v[12:13], s[12:13], v[10:11]
	s_mov_b32 s7, 0
	s_mov_b64 s[4:5], s[12:13]
                                        ; implicit-def: $sgpr16
	s_delay_alu instid0(VALU_DEP_2) | instskip(NEXT) | instid1(VALU_DEP_2)
	v_lshl_add_u64 v[10:11], v[6:7], 3, s[14:15]
	v_lshl_add_u64 v[12:13], v[12:13], 3, s[14:15]
	s_branch .LBB555_41
.LBB555_40:                             ;   in Loop: Header=BB555_41 Depth=1
	s_or_b32 exec_lo, exec_lo, s17
	s_delay_alu instid0(SALU_CYCLE_1) | instskip(NEXT) | instid1(SALU_CYCLE_1)
	s_and_b32 s17, exec_lo, s16
	s_or_b32 s7, s17, s7
	s_delay_alu instid0(SALU_CYCLE_1)
	s_and_not1_b32 exec_lo, exec_lo, s7
	s_cbranch_execz .LBB555_43
.LBB555_41:                             ; =>This Inner Loop Header: Depth=1
	global_load_b64 v[6:7], v[10:11], off
	global_load_b64 v[14:15], v[12:13], off
	s_or_b32 s16, s16, exec_lo
	s_wait_loadcnt 0x0
	v_cmp_eq_u64_e32 vcc_lo, v[6:7], v[14:15]
	v_mov_b64_e32 v[6:7], 1
	s_and_saveexec_b32 s17, vcc_lo
	s_cbranch_execz .LBB555_40
; %bb.42:                               ;   in Loop: Header=BB555_41 Depth=1
	s_add_nc_u64 s[4:5], s[4:5], -1
	v_add_nc_u64_e32 v[10:11], 8, v[10:11]
	s_cmp_eq_u64 s[4:5], 0
	v_add_nc_u64_e32 v[12:13], 8, v[12:13]
	v_mov_b64_e32 v[6:7], 0
	s_cselect_b32 s18, -1, 0
	s_and_not1_b32 s16, s16, exec_lo
	s_and_b32 s18, s18, exec_lo
	s_delay_alu instid0(SALU_CYCLE_1)
	s_or_b32 s16, s16, s18
	s_branch .LBB555_40
.LBB555_43:
	s_or_b32 exec_lo, exec_lo, s7
	s_branch .LBB555_45
.LBB555_44:
	v_mov_b64_e32 v[6:7], 0
.LBB555_45:
	s_or_b32 exec_lo, exec_lo, s3
.LBB555_46:
	s_cbranch_execnz .LBB555_81
.LBB555_47:
	s_cmp_eq_u64 s[0:1], 1
	s_cbranch_scc1 .LBB555_53
; %bb.48:
	v_cmp_lt_i64_e64 s0, s[12:13], 1
	v_mov_b64_e32 v[8:9], 0
	s_wait_kmcnt 0x0
	v_cmp_gt_i64_e64 s4, s[12:13], 0
	v_lshlrev_b32_e32 v12, 3, v0
	s_and_b32 vcc_lo, exec_lo, s0
	ds_store_b64 v12, v[4:5]
	s_cbranch_vccnz .LBB555_55
; %bb.49:
	v_mul_u64_e32 v[6:7], s[12:13], v[4:5]
	v_mul_u64_e32 v[8:9], s[12:13], v[2:3]
	s_mov_b32 s3, 0
	s_mov_b64 s[0:1], s[12:13]
                                        ; implicit-def: $sgpr5
	s_delay_alu instid0(VALU_DEP_2) | instskip(SKIP_1) | instid1(VALU_DEP_2)
	v_lshl_add_u64 v[6:7], v[6:7], 3, s[14:15]
	s_wait_dscnt 0x1
	v_lshl_add_u64 v[10:11], v[8:9], 3, s[14:15]
	s_branch .LBB555_51
.LBB555_50:                             ;   in Loop: Header=BB555_51 Depth=1
	s_or_b32 exec_lo, exec_lo, s7
	s_delay_alu instid0(SALU_CYCLE_1) | instskip(NEXT) | instid1(SALU_CYCLE_1)
	s_and_b32 s7, exec_lo, s5
	s_or_b32 s3, s7, s3
	s_delay_alu instid0(SALU_CYCLE_1)
	s_and_not1_b32 exec_lo, exec_lo, s3
	s_cbranch_execz .LBB555_54
.LBB555_51:                             ; =>This Inner Loop Header: Depth=1
	global_load_b64 v[8:9], v[6:7], off
	global_load_b64 v[14:15], v[10:11], off
	s_or_b32 s5, s5, exec_lo
	s_wait_loadcnt 0x0
	v_cmp_eq_u64_e32 vcc_lo, v[8:9], v[14:15]
	v_mov_b64_e32 v[8:9], 1
	s_and_saveexec_b32 s7, vcc_lo
	s_cbranch_execz .LBB555_50
; %bb.52:                               ;   in Loop: Header=BB555_51 Depth=1
	s_add_nc_u64 s[0:1], s[0:1], -1
	v_add_nc_u64_e32 v[6:7], 8, v[6:7]
	s_cmp_eq_u64 s[0:1], 0
	v_add_nc_u64_e32 v[10:11], 8, v[10:11]
	v_mov_b64_e32 v[8:9], 0
	s_cselect_b32 s16, -1, 0
	s_and_not1_b32 s5, s5, exec_lo
	s_and_b32 s16, s16, exec_lo
	s_delay_alu instid0(SALU_CYCLE_1)
	s_or_b32 s5, s5, s16
	s_branch .LBB555_50
.LBB555_53:
                                        ; implicit-def: $vgpr8_vgpr9
                                        ; implicit-def: $vgpr6_vgpr7
	s_cbranch_execnz .LBB555_63
	s_branch .LBB555_81
.LBB555_54:
	s_or_b32 exec_lo, exec_lo, s3
.LBB555_55:
	v_mov_b64_e32 v[6:7], v[2:3]
	s_mov_b32 s3, 0
	s_mov_b32 s5, exec_lo
	s_wait_dscnt 0x0
	s_barrier_signal -1
	s_barrier_wait -1
	v_cmpx_ne_u32_e32 0, v0
	s_cbranch_execz .LBB555_62
; %bb.56:
	s_and_not1_b32 vcc_lo, exec_lo, s4
	s_cbranch_vccnz .LBB555_70
; %bb.57:
	v_add_nc_u32_e32 v6, -8, v12
	v_mul_u64_e32 v[10:11], s[12:13], v[2:3]
	s_mov_b32 s4, 0
	s_mov_b64 s[0:1], s[12:13]
                                        ; implicit-def: $sgpr7
	ds_load_b64 v[6:7], v6
	s_wait_dscnt 0x0
	v_mul_u64_e32 v[6:7], s[12:13], v[6:7]
	v_lshl_add_u64 v[10:11], v[10:11], 3, s[14:15]
	s_delay_alu instid0(VALU_DEP_2)
	v_lshl_add_u64 v[12:13], v[6:7], 3, s[14:15]
	s_branch .LBB555_59
.LBB555_58:                             ;   in Loop: Header=BB555_59 Depth=1
	s_or_b32 exec_lo, exec_lo, s16
	s_delay_alu instid0(SALU_CYCLE_1) | instskip(NEXT) | instid1(SALU_CYCLE_1)
	s_and_b32 s16, exec_lo, s7
	s_or_b32 s4, s16, s4
	s_delay_alu instid0(SALU_CYCLE_1)
	s_and_not1_b32 exec_lo, exec_lo, s4
	s_cbranch_execz .LBB555_61
.LBB555_59:                             ; =>This Inner Loop Header: Depth=1
	global_load_b64 v[6:7], v[10:11], off
	global_load_b64 v[14:15], v[12:13], off
	s_or_b32 s7, s7, exec_lo
	s_wait_loadcnt 0x0
	v_cmp_eq_u64_e32 vcc_lo, v[6:7], v[14:15]
	v_mov_b64_e32 v[6:7], 1
	s_and_saveexec_b32 s16, vcc_lo
	s_cbranch_execz .LBB555_58
; %bb.60:                               ;   in Loop: Header=BB555_59 Depth=1
	s_add_nc_u64 s[0:1], s[0:1], -1
	v_add_nc_u64_e32 v[10:11], 8, v[10:11]
	s_cmp_eq_u64 s[0:1], 0
	v_add_nc_u64_e32 v[12:13], 8, v[12:13]
	v_mov_b64_e32 v[6:7], 0
	s_cselect_b32 s17, -1, 0
	s_and_not1_b32 s7, s7, exec_lo
	s_and_b32 s17, s17, exec_lo
	s_delay_alu instid0(SALU_CYCLE_1)
	s_or_b32 s7, s7, s17
	s_branch .LBB555_58
.LBB555_61:
	s_or_b32 exec_lo, exec_lo, s4
.LBB555_62:
	s_delay_alu instid0(SALU_CYCLE_1) | instskip(NEXT) | instid1(SALU_CYCLE_1)
	s_or_b32 exec_lo, exec_lo, s5
	s_and_b32 vcc_lo, exec_lo, s3
	s_cbranch_vccz .LBB555_81
.LBB555_63:
	s_wait_dscnt 0x0
	v_dual_lshlrev_b32 v11, 1, v0 :: v_dual_lshlrev_b32 v10, 3, v0
	v_mov_b64_e32 v[8:9], v[4:5]
	s_mov_b32 s3, exec_lo
	v_mov_b64_e32 v[6:7], v[2:3]
	s_delay_alu instid0(VALU_DEP_3)
	v_or_b32_e32 v12, 1, v11
	ds_store_b64 v10, v[4:5]
	v_cmpx_gt_u32_e64 s10, v12
	s_cbranch_execz .LBB555_72
; %bb.64:
	v_cmp_lt_i64_e64 s0, s[12:13], 1
	s_and_b32 vcc_lo, exec_lo, s0
	s_cbranch_vccnz .LBB555_71
; %bb.65:
	v_mul_u64_e32 v[4:5], s[12:13], v[4:5]
	v_mul_u64_e32 v[6:7], s[12:13], v[2:3]
	s_wait_kmcnt 0x0
	s_mov_b32 s4, 0
	s_mov_b64 s[0:1], s[12:13]
                                        ; implicit-def: $sgpr5
	s_delay_alu instid0(VALU_DEP_2) | instskip(NEXT) | instid1(VALU_DEP_2)
	v_lshl_add_u64 v[4:5], v[4:5], 3, s[14:15]
	v_lshl_add_u64 v[6:7], v[6:7], 3, s[14:15]
	s_branch .LBB555_67
.LBB555_66:                             ;   in Loop: Header=BB555_67 Depth=1
	s_or_b32 exec_lo, exec_lo, s7
	s_delay_alu instid0(SALU_CYCLE_1) | instskip(NEXT) | instid1(SALU_CYCLE_1)
	s_and_b32 s7, exec_lo, s5
	s_or_b32 s4, s7, s4
	s_delay_alu instid0(SALU_CYCLE_1)
	s_and_not1_b32 exec_lo, exec_lo, s4
	s_cbranch_execz .LBB555_69
.LBB555_67:                             ; =>This Inner Loop Header: Depth=1
	global_load_b64 v[8:9], v[4:5], off
	global_load_b64 v[12:13], v[6:7], off
	s_or_b32 s5, s5, exec_lo
	s_wait_loadcnt 0x0
	v_cmp_eq_u64_e32 vcc_lo, v[8:9], v[12:13]
	v_mov_b64_e32 v[8:9], 1
	s_and_saveexec_b32 s7, vcc_lo
	s_cbranch_execz .LBB555_66
; %bb.68:                               ;   in Loop: Header=BB555_67 Depth=1
	s_add_nc_u64 s[0:1], s[0:1], -1
	v_add_nc_u64_e32 v[4:5], 8, v[4:5]
	s_cmp_eq_u64 s[0:1], 0
	v_add_nc_u64_e32 v[6:7], 8, v[6:7]
	s_cselect_b32 s16, -1, 0
	s_and_not1_b32 s5, s5, exec_lo
	s_and_b32 s16, s16, exec_lo
	v_mov_b64_e32 v[8:9], 0
	s_or_b32 s5, s5, s16
	s_branch .LBB555_66
.LBB555_69:
	s_or_b32 exec_lo, exec_lo, s4
	s_branch .LBB555_72
.LBB555_70:
	v_mov_b64_e32 v[6:7], 0
	s_or_b32 exec_lo, exec_lo, s5
	s_delay_alu instid0(SALU_CYCLE_1)
	s_and_b32 vcc_lo, exec_lo, s3
	s_cbranch_vccnz .LBB555_63
	s_branch .LBB555_81
.LBB555_71:
	v_mov_b64_e32 v[8:9], 0
.LBB555_72:
	s_or_b32 exec_lo, exec_lo, s3
	v_cmp_ne_u32_e32 vcc_lo, 0, v0
	v_cmp_gt_u32_e64 s0, s10, v11
	s_wait_dscnt 0x0
	s_barrier_signal -1
	s_barrier_wait -1
	s_and_b32 s1, vcc_lo, s0
	s_delay_alu instid0(SALU_CYCLE_1)
	s_and_saveexec_b32 s0, s1
	s_cbranch_execz .LBB555_80
; %bb.73:
	v_cmp_lt_i64_e64 s1, s[12:13], 1
	s_and_b32 vcc_lo, exec_lo, s1
	s_cbranch_vccnz .LBB555_79
; %bb.74:
	v_add_nc_u32_e32 v4, -8, v10
	v_mul_u64_e32 v[2:3], s[12:13], v[2:3]
	s_mov_b32 s1, 0
                                        ; implicit-def: $sgpr3
	ds_load_b64 v[4:5], v4
	s_wait_dscnt 0x0
	v_mul_u64_e32 v[6:7], s[12:13], v[4:5]
	v_lshl_add_u64 v[4:5], v[2:3], 3, s[14:15]
	s_delay_alu instid0(VALU_DEP_2)
	v_lshl_add_u64 v[6:7], v[6:7], 3, s[14:15]
	s_branch .LBB555_76
.LBB555_75:                             ;   in Loop: Header=BB555_76 Depth=1
	s_or_b32 exec_lo, exec_lo, s4
	s_delay_alu instid0(SALU_CYCLE_1) | instskip(NEXT) | instid1(SALU_CYCLE_1)
	s_and_b32 s4, exec_lo, s3
	s_or_b32 s1, s4, s1
	s_delay_alu instid0(SALU_CYCLE_1)
	s_and_not1_b32 exec_lo, exec_lo, s1
	s_cbranch_execz .LBB555_78
.LBB555_76:                             ; =>This Inner Loop Header: Depth=1
	global_load_b64 v[2:3], v[4:5], off
	global_load_b64 v[10:11], v[6:7], off
	s_or_b32 s3, s3, exec_lo
	s_wait_loadcnt 0x0
	v_cmp_eq_u64_e32 vcc_lo, v[2:3], v[10:11]
	v_mov_b64_e32 v[2:3], 1
	s_wait_kmcnt 0x0
	s_and_saveexec_b32 s4, vcc_lo
	s_cbranch_execz .LBB555_75
; %bb.77:                               ;   in Loop: Header=BB555_76 Depth=1
	s_add_nc_u64 s[12:13], s[12:13], -1
	v_add_nc_u64_e32 v[4:5], 8, v[4:5]
	s_cmp_eq_u64 s[12:13], 0
	v_add_nc_u64_e32 v[6:7], 8, v[6:7]
	v_mov_b64_e32 v[2:3], 0
	s_cselect_b32 s5, -1, 0
	s_and_not1_b32 s3, s3, exec_lo
	s_and_b32 s5, s5, exec_lo
	s_delay_alu instid0(SALU_CYCLE_1)
	s_or_b32 s3, s3, s5
	s_branch .LBB555_75
.LBB555_78:
	s_or_b32 exec_lo, exec_lo, s1
	s_branch .LBB555_80
.LBB555_79:
	v_mov_b64_e32 v[2:3], 0
.LBB555_80:
	s_or_b32 exec_lo, exec_lo, s0
	s_delay_alu instid0(VALU_DEP_1)
	v_mov_b64_e32 v[6:7], v[2:3]
.LBB555_81:
	s_add_nc_u64 s[0:1], s[8:9], s[20:21]
	s_and_b32 vcc_lo, exec_lo, s11
	s_wait_dscnt 0x0
	s_barrier_signal -1
	s_barrier_wait -1
	s_cbranch_vccz .LBB555_85
; %bb.82:
	v_or_b32_e32 v10, 0x200, v0
	ds_store_2addr_b64 v1, v[6:7], v[8:9] offset1:1
	s_wait_dscnt 0x0
	s_barrier_signal -1
	s_barrier_wait -1
	v_dual_lshrrev_b32 v2, 2, v10 :: v_dual_lshlrev_b32 v4, 3, v0
	s_mov_b32 s3, 0
	s_lshl_b32 s8, s6, 10
	s_delay_alu instid0(VALU_DEP_1)
	v_and_b32_e32 v2, 0xf8, v2
	s_wait_kmcnt 0x0
	s_lshl_b64 s[4:5], s[2:3], 3
	v_mov_b32_e32 v5, 0
	s_add_nc_u64 s[6:7], s[0:1], s[4:5]
	s_sub_co_i32 s4, s10, s8
	v_add_nc_u32_e32 v2, v2, v4
	s_mov_b32 s5, exec_lo
	v_add_nc_u64_e32 v[4:5], s[6:7], v[4:5]
	ds_load_b64 v[2:3], v2 offset:4096
	v_cmpx_gt_u32_e64 s4, v0
	s_cbranch_execz .LBB555_84
; %bb.83:
	v_lshrrev_b32_e32 v11, 2, v0
	s_delay_alu instid0(VALU_DEP_1) | instskip(NEXT) | instid1(VALU_DEP_1)
	v_and_b32_e32 v11, 0x78, v11
	v_lshl_add_u32 v11, v0, 3, v11
	ds_load_b64 v[12:13], v11
	s_wait_dscnt 0x0
	global_store_b64 v[4:5], v[12:13], off
.LBB555_84:
	s_wait_xcnt 0x0
	s_or_b32 exec_lo, exec_lo, s5
	v_cmp_gt_u32_e64 s4, s4, v10
	s_and_b32 vcc_lo, exec_lo, s3
	s_cbranch_vccnz .LBB555_86
	s_branch .LBB555_87
.LBB555_85:
	s_wait_kmcnt 0x0
	s_mov_b32 s4, 0
                                        ; implicit-def: $vgpr2_vgpr3
                                        ; implicit-def: $vgpr4_vgpr5
	s_cbranch_execz .LBB555_87
.LBB555_86:
	s_wait_dscnt 0x0
	v_or_b32_e32 v2, 0x200, v0
	v_dual_lshrrev_b32 v3, 2, v0 :: v_dual_lshlrev_b32 v4, 3, v0
	v_mov_b32_e32 v5, 0
	ds_store_2addr_b64 v1, v[6:7], v[8:9] offset1:1
	v_lshrrev_b32_e32 v2, 2, v2
	v_and_b32_e32 v3, 0x78, v3
	s_wait_storecnt_dscnt 0x0
	s_barrier_signal -1
	s_barrier_wait -1
	v_and_b32_e32 v2, 0xf8, v2
	v_add_nc_u32_e32 v1, v3, v4
	s_mov_b32 s3, 0
	s_or_b32 s4, s4, exec_lo
	s_delay_alu instid0(VALU_DEP_2) | instskip(SKIP_4) | instid1(SALU_CYCLE_1)
	v_add_nc_u32_e32 v2, v2, v4
	s_lshl_b64 s[2:3], s[2:3], 3
	ds_load_b64 v[6:7], v1
	ds_load_b64 v[2:3], v2 offset:4096
	s_add_nc_u64 s[0:1], s[0:1], s[2:3]
	v_add_nc_u64_e32 v[4:5], s[0:1], v[4:5]
	s_wait_dscnt 0x1
	global_store_b64 v0, v[6:7], s[0:1] scale_offset
.LBB555_87:
	s_wait_xcnt 0x0
	s_and_saveexec_b32 s0, s4
	s_cbranch_execnz .LBB555_89
; %bb.88:
	s_endpgm
.LBB555_89:
	s_wait_dscnt 0x0
	global_store_b64 v[4:5], v[2:3], off offset:4096
	s_endpgm
	.section	.rodata,"a",@progbits
	.p2align	6, 0x0
	.amdhsa_kernel _ZN7rocprim17ROCPRIM_400000_NS6detail17trampoline_kernelINS0_14default_configENS1_35adjacent_difference_config_selectorILb1ElEEZNS1_24adjacent_difference_implIS3_Lb1ELb0EPlS7_ZN2at6native12_GLOBAL__N_124unique_dim_cuda_templateIlEESt5tupleIJNS8_6TensorESD_SD_EERKSD_lbbbEUlllE1_EE10hipError_tPvRmT2_T3_mT4_P12ihipStream_tbEUlT_E_NS1_11comp_targetILNS1_3genE0ELNS1_11target_archE4294967295ELNS1_3gpuE0ELNS1_3repE0EEENS1_30default_config_static_selectorELNS0_4arch9wavefront6targetE0EEEvT1_
		.amdhsa_group_segment_fixed_size 8448
		.amdhsa_private_segment_fixed_size 0
		.amdhsa_kernarg_size 64
		.amdhsa_user_sgpr_count 2
		.amdhsa_user_sgpr_dispatch_ptr 0
		.amdhsa_user_sgpr_queue_ptr 0
		.amdhsa_user_sgpr_kernarg_segment_ptr 1
		.amdhsa_user_sgpr_dispatch_id 0
		.amdhsa_user_sgpr_kernarg_preload_length 0
		.amdhsa_user_sgpr_kernarg_preload_offset 0
		.amdhsa_user_sgpr_private_segment_size 0
		.amdhsa_wavefront_size32 1
		.amdhsa_uses_dynamic_stack 0
		.amdhsa_enable_private_segment 0
		.amdhsa_system_sgpr_workgroup_id_x 1
		.amdhsa_system_sgpr_workgroup_id_y 0
		.amdhsa_system_sgpr_workgroup_id_z 0
		.amdhsa_system_sgpr_workgroup_info 0
		.amdhsa_system_vgpr_workitem_id 0
		.amdhsa_next_free_vgpr 16
		.amdhsa_next_free_sgpr 29
		.amdhsa_named_barrier_count 0
		.amdhsa_reserve_vcc 1
		.amdhsa_float_round_mode_32 0
		.amdhsa_float_round_mode_16_64 0
		.amdhsa_float_denorm_mode_32 3
		.amdhsa_float_denorm_mode_16_64 3
		.amdhsa_fp16_overflow 0
		.amdhsa_memory_ordered 1
		.amdhsa_forward_progress 1
		.amdhsa_inst_pref_size 24
		.amdhsa_round_robin_scheduling 0
		.amdhsa_exception_fp_ieee_invalid_op 0
		.amdhsa_exception_fp_denorm_src 0
		.amdhsa_exception_fp_ieee_div_zero 0
		.amdhsa_exception_fp_ieee_overflow 0
		.amdhsa_exception_fp_ieee_underflow 0
		.amdhsa_exception_fp_ieee_inexact 0
		.amdhsa_exception_int_div_zero 0
	.end_amdhsa_kernel
	.section	.text._ZN7rocprim17ROCPRIM_400000_NS6detail17trampoline_kernelINS0_14default_configENS1_35adjacent_difference_config_selectorILb1ElEEZNS1_24adjacent_difference_implIS3_Lb1ELb0EPlS7_ZN2at6native12_GLOBAL__N_124unique_dim_cuda_templateIlEESt5tupleIJNS8_6TensorESD_SD_EERKSD_lbbbEUlllE1_EE10hipError_tPvRmT2_T3_mT4_P12ihipStream_tbEUlT_E_NS1_11comp_targetILNS1_3genE0ELNS1_11target_archE4294967295ELNS1_3gpuE0ELNS1_3repE0EEENS1_30default_config_static_selectorELNS0_4arch9wavefront6targetE0EEEvT1_,"axG",@progbits,_ZN7rocprim17ROCPRIM_400000_NS6detail17trampoline_kernelINS0_14default_configENS1_35adjacent_difference_config_selectorILb1ElEEZNS1_24adjacent_difference_implIS3_Lb1ELb0EPlS7_ZN2at6native12_GLOBAL__N_124unique_dim_cuda_templateIlEESt5tupleIJNS8_6TensorESD_SD_EERKSD_lbbbEUlllE1_EE10hipError_tPvRmT2_T3_mT4_P12ihipStream_tbEUlT_E_NS1_11comp_targetILNS1_3genE0ELNS1_11target_archE4294967295ELNS1_3gpuE0ELNS1_3repE0EEENS1_30default_config_static_selectorELNS0_4arch9wavefront6targetE0EEEvT1_,comdat
.Lfunc_end555:
	.size	_ZN7rocprim17ROCPRIM_400000_NS6detail17trampoline_kernelINS0_14default_configENS1_35adjacent_difference_config_selectorILb1ElEEZNS1_24adjacent_difference_implIS3_Lb1ELb0EPlS7_ZN2at6native12_GLOBAL__N_124unique_dim_cuda_templateIlEESt5tupleIJNS8_6TensorESD_SD_EERKSD_lbbbEUlllE1_EE10hipError_tPvRmT2_T3_mT4_P12ihipStream_tbEUlT_E_NS1_11comp_targetILNS1_3genE0ELNS1_11target_archE4294967295ELNS1_3gpuE0ELNS1_3repE0EEENS1_30default_config_static_selectorELNS0_4arch9wavefront6targetE0EEEvT1_, .Lfunc_end555-_ZN7rocprim17ROCPRIM_400000_NS6detail17trampoline_kernelINS0_14default_configENS1_35adjacent_difference_config_selectorILb1ElEEZNS1_24adjacent_difference_implIS3_Lb1ELb0EPlS7_ZN2at6native12_GLOBAL__N_124unique_dim_cuda_templateIlEESt5tupleIJNS8_6TensorESD_SD_EERKSD_lbbbEUlllE1_EE10hipError_tPvRmT2_T3_mT4_P12ihipStream_tbEUlT_E_NS1_11comp_targetILNS1_3genE0ELNS1_11target_archE4294967295ELNS1_3gpuE0ELNS1_3repE0EEENS1_30default_config_static_selectorELNS0_4arch9wavefront6targetE0EEEvT1_
                                        ; -- End function
	.set _ZN7rocprim17ROCPRIM_400000_NS6detail17trampoline_kernelINS0_14default_configENS1_35adjacent_difference_config_selectorILb1ElEEZNS1_24adjacent_difference_implIS3_Lb1ELb0EPlS7_ZN2at6native12_GLOBAL__N_124unique_dim_cuda_templateIlEESt5tupleIJNS8_6TensorESD_SD_EERKSD_lbbbEUlllE1_EE10hipError_tPvRmT2_T3_mT4_P12ihipStream_tbEUlT_E_NS1_11comp_targetILNS1_3genE0ELNS1_11target_archE4294967295ELNS1_3gpuE0ELNS1_3repE0EEENS1_30default_config_static_selectorELNS0_4arch9wavefront6targetE0EEEvT1_.num_vgpr, 16
	.set _ZN7rocprim17ROCPRIM_400000_NS6detail17trampoline_kernelINS0_14default_configENS1_35adjacent_difference_config_selectorILb1ElEEZNS1_24adjacent_difference_implIS3_Lb1ELb0EPlS7_ZN2at6native12_GLOBAL__N_124unique_dim_cuda_templateIlEESt5tupleIJNS8_6TensorESD_SD_EERKSD_lbbbEUlllE1_EE10hipError_tPvRmT2_T3_mT4_P12ihipStream_tbEUlT_E_NS1_11comp_targetILNS1_3genE0ELNS1_11target_archE4294967295ELNS1_3gpuE0ELNS1_3repE0EEENS1_30default_config_static_selectorELNS0_4arch9wavefront6targetE0EEEvT1_.num_agpr, 0
	.set _ZN7rocprim17ROCPRIM_400000_NS6detail17trampoline_kernelINS0_14default_configENS1_35adjacent_difference_config_selectorILb1ElEEZNS1_24adjacent_difference_implIS3_Lb1ELb0EPlS7_ZN2at6native12_GLOBAL__N_124unique_dim_cuda_templateIlEESt5tupleIJNS8_6TensorESD_SD_EERKSD_lbbbEUlllE1_EE10hipError_tPvRmT2_T3_mT4_P12ihipStream_tbEUlT_E_NS1_11comp_targetILNS1_3genE0ELNS1_11target_archE4294967295ELNS1_3gpuE0ELNS1_3repE0EEENS1_30default_config_static_selectorELNS0_4arch9wavefront6targetE0EEEvT1_.numbered_sgpr, 29
	.set _ZN7rocprim17ROCPRIM_400000_NS6detail17trampoline_kernelINS0_14default_configENS1_35adjacent_difference_config_selectorILb1ElEEZNS1_24adjacent_difference_implIS3_Lb1ELb0EPlS7_ZN2at6native12_GLOBAL__N_124unique_dim_cuda_templateIlEESt5tupleIJNS8_6TensorESD_SD_EERKSD_lbbbEUlllE1_EE10hipError_tPvRmT2_T3_mT4_P12ihipStream_tbEUlT_E_NS1_11comp_targetILNS1_3genE0ELNS1_11target_archE4294967295ELNS1_3gpuE0ELNS1_3repE0EEENS1_30default_config_static_selectorELNS0_4arch9wavefront6targetE0EEEvT1_.num_named_barrier, 0
	.set _ZN7rocprim17ROCPRIM_400000_NS6detail17trampoline_kernelINS0_14default_configENS1_35adjacent_difference_config_selectorILb1ElEEZNS1_24adjacent_difference_implIS3_Lb1ELb0EPlS7_ZN2at6native12_GLOBAL__N_124unique_dim_cuda_templateIlEESt5tupleIJNS8_6TensorESD_SD_EERKSD_lbbbEUlllE1_EE10hipError_tPvRmT2_T3_mT4_P12ihipStream_tbEUlT_E_NS1_11comp_targetILNS1_3genE0ELNS1_11target_archE4294967295ELNS1_3gpuE0ELNS1_3repE0EEENS1_30default_config_static_selectorELNS0_4arch9wavefront6targetE0EEEvT1_.private_seg_size, 0
	.set _ZN7rocprim17ROCPRIM_400000_NS6detail17trampoline_kernelINS0_14default_configENS1_35adjacent_difference_config_selectorILb1ElEEZNS1_24adjacent_difference_implIS3_Lb1ELb0EPlS7_ZN2at6native12_GLOBAL__N_124unique_dim_cuda_templateIlEESt5tupleIJNS8_6TensorESD_SD_EERKSD_lbbbEUlllE1_EE10hipError_tPvRmT2_T3_mT4_P12ihipStream_tbEUlT_E_NS1_11comp_targetILNS1_3genE0ELNS1_11target_archE4294967295ELNS1_3gpuE0ELNS1_3repE0EEENS1_30default_config_static_selectorELNS0_4arch9wavefront6targetE0EEEvT1_.uses_vcc, 1
	.set _ZN7rocprim17ROCPRIM_400000_NS6detail17trampoline_kernelINS0_14default_configENS1_35adjacent_difference_config_selectorILb1ElEEZNS1_24adjacent_difference_implIS3_Lb1ELb0EPlS7_ZN2at6native12_GLOBAL__N_124unique_dim_cuda_templateIlEESt5tupleIJNS8_6TensorESD_SD_EERKSD_lbbbEUlllE1_EE10hipError_tPvRmT2_T3_mT4_P12ihipStream_tbEUlT_E_NS1_11comp_targetILNS1_3genE0ELNS1_11target_archE4294967295ELNS1_3gpuE0ELNS1_3repE0EEENS1_30default_config_static_selectorELNS0_4arch9wavefront6targetE0EEEvT1_.uses_flat_scratch, 0
	.set _ZN7rocprim17ROCPRIM_400000_NS6detail17trampoline_kernelINS0_14default_configENS1_35adjacent_difference_config_selectorILb1ElEEZNS1_24adjacent_difference_implIS3_Lb1ELb0EPlS7_ZN2at6native12_GLOBAL__N_124unique_dim_cuda_templateIlEESt5tupleIJNS8_6TensorESD_SD_EERKSD_lbbbEUlllE1_EE10hipError_tPvRmT2_T3_mT4_P12ihipStream_tbEUlT_E_NS1_11comp_targetILNS1_3genE0ELNS1_11target_archE4294967295ELNS1_3gpuE0ELNS1_3repE0EEENS1_30default_config_static_selectorELNS0_4arch9wavefront6targetE0EEEvT1_.has_dyn_sized_stack, 0
	.set _ZN7rocprim17ROCPRIM_400000_NS6detail17trampoline_kernelINS0_14default_configENS1_35adjacent_difference_config_selectorILb1ElEEZNS1_24adjacent_difference_implIS3_Lb1ELb0EPlS7_ZN2at6native12_GLOBAL__N_124unique_dim_cuda_templateIlEESt5tupleIJNS8_6TensorESD_SD_EERKSD_lbbbEUlllE1_EE10hipError_tPvRmT2_T3_mT4_P12ihipStream_tbEUlT_E_NS1_11comp_targetILNS1_3genE0ELNS1_11target_archE4294967295ELNS1_3gpuE0ELNS1_3repE0EEENS1_30default_config_static_selectorELNS0_4arch9wavefront6targetE0EEEvT1_.has_recursion, 0
	.set _ZN7rocprim17ROCPRIM_400000_NS6detail17trampoline_kernelINS0_14default_configENS1_35adjacent_difference_config_selectorILb1ElEEZNS1_24adjacent_difference_implIS3_Lb1ELb0EPlS7_ZN2at6native12_GLOBAL__N_124unique_dim_cuda_templateIlEESt5tupleIJNS8_6TensorESD_SD_EERKSD_lbbbEUlllE1_EE10hipError_tPvRmT2_T3_mT4_P12ihipStream_tbEUlT_E_NS1_11comp_targetILNS1_3genE0ELNS1_11target_archE4294967295ELNS1_3gpuE0ELNS1_3repE0EEENS1_30default_config_static_selectorELNS0_4arch9wavefront6targetE0EEEvT1_.has_indirect_call, 0
	.section	.AMDGPU.csdata,"",@progbits
; Kernel info:
; codeLenInByte = 2948
; TotalNumSgprs: 31
; NumVgprs: 16
; ScratchSize: 0
; MemoryBound: 0
; FloatMode: 240
; IeeeMode: 1
; LDSByteSize: 8448 bytes/workgroup (compile time only)
; SGPRBlocks: 0
; VGPRBlocks: 0
; NumSGPRsForWavesPerEU: 31
; NumVGPRsForWavesPerEU: 16
; NamedBarCnt: 0
; Occupancy: 16
; WaveLimiterHint : 1
; COMPUTE_PGM_RSRC2:SCRATCH_EN: 0
; COMPUTE_PGM_RSRC2:USER_SGPR: 2
; COMPUTE_PGM_RSRC2:TRAP_HANDLER: 0
; COMPUTE_PGM_RSRC2:TGID_X_EN: 1
; COMPUTE_PGM_RSRC2:TGID_Y_EN: 0
; COMPUTE_PGM_RSRC2:TGID_Z_EN: 0
; COMPUTE_PGM_RSRC2:TIDIG_COMP_CNT: 0
	.section	.text._ZN7rocprim17ROCPRIM_400000_NS6detail17trampoline_kernelINS0_14default_configENS1_35adjacent_difference_config_selectorILb1ElEEZNS1_24adjacent_difference_implIS3_Lb1ELb0EPlS7_ZN2at6native12_GLOBAL__N_124unique_dim_cuda_templateIlEESt5tupleIJNS8_6TensorESD_SD_EERKSD_lbbbEUlllE1_EE10hipError_tPvRmT2_T3_mT4_P12ihipStream_tbEUlT_E_NS1_11comp_targetILNS1_3genE10ELNS1_11target_archE1201ELNS1_3gpuE5ELNS1_3repE0EEENS1_30default_config_static_selectorELNS0_4arch9wavefront6targetE0EEEvT1_,"axG",@progbits,_ZN7rocprim17ROCPRIM_400000_NS6detail17trampoline_kernelINS0_14default_configENS1_35adjacent_difference_config_selectorILb1ElEEZNS1_24adjacent_difference_implIS3_Lb1ELb0EPlS7_ZN2at6native12_GLOBAL__N_124unique_dim_cuda_templateIlEESt5tupleIJNS8_6TensorESD_SD_EERKSD_lbbbEUlllE1_EE10hipError_tPvRmT2_T3_mT4_P12ihipStream_tbEUlT_E_NS1_11comp_targetILNS1_3genE10ELNS1_11target_archE1201ELNS1_3gpuE5ELNS1_3repE0EEENS1_30default_config_static_selectorELNS0_4arch9wavefront6targetE0EEEvT1_,comdat
	.globl	_ZN7rocprim17ROCPRIM_400000_NS6detail17trampoline_kernelINS0_14default_configENS1_35adjacent_difference_config_selectorILb1ElEEZNS1_24adjacent_difference_implIS3_Lb1ELb0EPlS7_ZN2at6native12_GLOBAL__N_124unique_dim_cuda_templateIlEESt5tupleIJNS8_6TensorESD_SD_EERKSD_lbbbEUlllE1_EE10hipError_tPvRmT2_T3_mT4_P12ihipStream_tbEUlT_E_NS1_11comp_targetILNS1_3genE10ELNS1_11target_archE1201ELNS1_3gpuE5ELNS1_3repE0EEENS1_30default_config_static_selectorELNS0_4arch9wavefront6targetE0EEEvT1_ ; -- Begin function _ZN7rocprim17ROCPRIM_400000_NS6detail17trampoline_kernelINS0_14default_configENS1_35adjacent_difference_config_selectorILb1ElEEZNS1_24adjacent_difference_implIS3_Lb1ELb0EPlS7_ZN2at6native12_GLOBAL__N_124unique_dim_cuda_templateIlEESt5tupleIJNS8_6TensorESD_SD_EERKSD_lbbbEUlllE1_EE10hipError_tPvRmT2_T3_mT4_P12ihipStream_tbEUlT_E_NS1_11comp_targetILNS1_3genE10ELNS1_11target_archE1201ELNS1_3gpuE5ELNS1_3repE0EEENS1_30default_config_static_selectorELNS0_4arch9wavefront6targetE0EEEvT1_
	.p2align	8
	.type	_ZN7rocprim17ROCPRIM_400000_NS6detail17trampoline_kernelINS0_14default_configENS1_35adjacent_difference_config_selectorILb1ElEEZNS1_24adjacent_difference_implIS3_Lb1ELb0EPlS7_ZN2at6native12_GLOBAL__N_124unique_dim_cuda_templateIlEESt5tupleIJNS8_6TensorESD_SD_EERKSD_lbbbEUlllE1_EE10hipError_tPvRmT2_T3_mT4_P12ihipStream_tbEUlT_E_NS1_11comp_targetILNS1_3genE10ELNS1_11target_archE1201ELNS1_3gpuE5ELNS1_3repE0EEENS1_30default_config_static_selectorELNS0_4arch9wavefront6targetE0EEEvT1_,@function
_ZN7rocprim17ROCPRIM_400000_NS6detail17trampoline_kernelINS0_14default_configENS1_35adjacent_difference_config_selectorILb1ElEEZNS1_24adjacent_difference_implIS3_Lb1ELb0EPlS7_ZN2at6native12_GLOBAL__N_124unique_dim_cuda_templateIlEESt5tupleIJNS8_6TensorESD_SD_EERKSD_lbbbEUlllE1_EE10hipError_tPvRmT2_T3_mT4_P12ihipStream_tbEUlT_E_NS1_11comp_targetILNS1_3genE10ELNS1_11target_archE1201ELNS1_3gpuE5ELNS1_3repE0EEENS1_30default_config_static_selectorELNS0_4arch9wavefront6targetE0EEEvT1_: ; @_ZN7rocprim17ROCPRIM_400000_NS6detail17trampoline_kernelINS0_14default_configENS1_35adjacent_difference_config_selectorILb1ElEEZNS1_24adjacent_difference_implIS3_Lb1ELb0EPlS7_ZN2at6native12_GLOBAL__N_124unique_dim_cuda_templateIlEESt5tupleIJNS8_6TensorESD_SD_EERKSD_lbbbEUlllE1_EE10hipError_tPvRmT2_T3_mT4_P12ihipStream_tbEUlT_E_NS1_11comp_targetILNS1_3genE10ELNS1_11target_archE1201ELNS1_3gpuE5ELNS1_3repE0EEENS1_30default_config_static_selectorELNS0_4arch9wavefront6targetE0EEEvT1_
; %bb.0:
	.section	.rodata,"a",@progbits
	.p2align	6, 0x0
	.amdhsa_kernel _ZN7rocprim17ROCPRIM_400000_NS6detail17trampoline_kernelINS0_14default_configENS1_35adjacent_difference_config_selectorILb1ElEEZNS1_24adjacent_difference_implIS3_Lb1ELb0EPlS7_ZN2at6native12_GLOBAL__N_124unique_dim_cuda_templateIlEESt5tupleIJNS8_6TensorESD_SD_EERKSD_lbbbEUlllE1_EE10hipError_tPvRmT2_T3_mT4_P12ihipStream_tbEUlT_E_NS1_11comp_targetILNS1_3genE10ELNS1_11target_archE1201ELNS1_3gpuE5ELNS1_3repE0EEENS1_30default_config_static_selectorELNS0_4arch9wavefront6targetE0EEEvT1_
		.amdhsa_group_segment_fixed_size 0
		.amdhsa_private_segment_fixed_size 0
		.amdhsa_kernarg_size 64
		.amdhsa_user_sgpr_count 2
		.amdhsa_user_sgpr_dispatch_ptr 0
		.amdhsa_user_sgpr_queue_ptr 0
		.amdhsa_user_sgpr_kernarg_segment_ptr 1
		.amdhsa_user_sgpr_dispatch_id 0
		.amdhsa_user_sgpr_kernarg_preload_length 0
		.amdhsa_user_sgpr_kernarg_preload_offset 0
		.amdhsa_user_sgpr_private_segment_size 0
		.amdhsa_wavefront_size32 1
		.amdhsa_uses_dynamic_stack 0
		.amdhsa_enable_private_segment 0
		.amdhsa_system_sgpr_workgroup_id_x 1
		.amdhsa_system_sgpr_workgroup_id_y 0
		.amdhsa_system_sgpr_workgroup_id_z 0
		.amdhsa_system_sgpr_workgroup_info 0
		.amdhsa_system_vgpr_workitem_id 0
		.amdhsa_next_free_vgpr 1
		.amdhsa_next_free_sgpr 1
		.amdhsa_named_barrier_count 0
		.amdhsa_reserve_vcc 0
		.amdhsa_float_round_mode_32 0
		.amdhsa_float_round_mode_16_64 0
		.amdhsa_float_denorm_mode_32 3
		.amdhsa_float_denorm_mode_16_64 3
		.amdhsa_fp16_overflow 0
		.amdhsa_memory_ordered 1
		.amdhsa_forward_progress 1
		.amdhsa_inst_pref_size 0
		.amdhsa_round_robin_scheduling 0
		.amdhsa_exception_fp_ieee_invalid_op 0
		.amdhsa_exception_fp_denorm_src 0
		.amdhsa_exception_fp_ieee_div_zero 0
		.amdhsa_exception_fp_ieee_overflow 0
		.amdhsa_exception_fp_ieee_underflow 0
		.amdhsa_exception_fp_ieee_inexact 0
		.amdhsa_exception_int_div_zero 0
	.end_amdhsa_kernel
	.section	.text._ZN7rocprim17ROCPRIM_400000_NS6detail17trampoline_kernelINS0_14default_configENS1_35adjacent_difference_config_selectorILb1ElEEZNS1_24adjacent_difference_implIS3_Lb1ELb0EPlS7_ZN2at6native12_GLOBAL__N_124unique_dim_cuda_templateIlEESt5tupleIJNS8_6TensorESD_SD_EERKSD_lbbbEUlllE1_EE10hipError_tPvRmT2_T3_mT4_P12ihipStream_tbEUlT_E_NS1_11comp_targetILNS1_3genE10ELNS1_11target_archE1201ELNS1_3gpuE5ELNS1_3repE0EEENS1_30default_config_static_selectorELNS0_4arch9wavefront6targetE0EEEvT1_,"axG",@progbits,_ZN7rocprim17ROCPRIM_400000_NS6detail17trampoline_kernelINS0_14default_configENS1_35adjacent_difference_config_selectorILb1ElEEZNS1_24adjacent_difference_implIS3_Lb1ELb0EPlS7_ZN2at6native12_GLOBAL__N_124unique_dim_cuda_templateIlEESt5tupleIJNS8_6TensorESD_SD_EERKSD_lbbbEUlllE1_EE10hipError_tPvRmT2_T3_mT4_P12ihipStream_tbEUlT_E_NS1_11comp_targetILNS1_3genE10ELNS1_11target_archE1201ELNS1_3gpuE5ELNS1_3repE0EEENS1_30default_config_static_selectorELNS0_4arch9wavefront6targetE0EEEvT1_,comdat
.Lfunc_end556:
	.size	_ZN7rocprim17ROCPRIM_400000_NS6detail17trampoline_kernelINS0_14default_configENS1_35adjacent_difference_config_selectorILb1ElEEZNS1_24adjacent_difference_implIS3_Lb1ELb0EPlS7_ZN2at6native12_GLOBAL__N_124unique_dim_cuda_templateIlEESt5tupleIJNS8_6TensorESD_SD_EERKSD_lbbbEUlllE1_EE10hipError_tPvRmT2_T3_mT4_P12ihipStream_tbEUlT_E_NS1_11comp_targetILNS1_3genE10ELNS1_11target_archE1201ELNS1_3gpuE5ELNS1_3repE0EEENS1_30default_config_static_selectorELNS0_4arch9wavefront6targetE0EEEvT1_, .Lfunc_end556-_ZN7rocprim17ROCPRIM_400000_NS6detail17trampoline_kernelINS0_14default_configENS1_35adjacent_difference_config_selectorILb1ElEEZNS1_24adjacent_difference_implIS3_Lb1ELb0EPlS7_ZN2at6native12_GLOBAL__N_124unique_dim_cuda_templateIlEESt5tupleIJNS8_6TensorESD_SD_EERKSD_lbbbEUlllE1_EE10hipError_tPvRmT2_T3_mT4_P12ihipStream_tbEUlT_E_NS1_11comp_targetILNS1_3genE10ELNS1_11target_archE1201ELNS1_3gpuE5ELNS1_3repE0EEENS1_30default_config_static_selectorELNS0_4arch9wavefront6targetE0EEEvT1_
                                        ; -- End function
	.set _ZN7rocprim17ROCPRIM_400000_NS6detail17trampoline_kernelINS0_14default_configENS1_35adjacent_difference_config_selectorILb1ElEEZNS1_24adjacent_difference_implIS3_Lb1ELb0EPlS7_ZN2at6native12_GLOBAL__N_124unique_dim_cuda_templateIlEESt5tupleIJNS8_6TensorESD_SD_EERKSD_lbbbEUlllE1_EE10hipError_tPvRmT2_T3_mT4_P12ihipStream_tbEUlT_E_NS1_11comp_targetILNS1_3genE10ELNS1_11target_archE1201ELNS1_3gpuE5ELNS1_3repE0EEENS1_30default_config_static_selectorELNS0_4arch9wavefront6targetE0EEEvT1_.num_vgpr, 0
	.set _ZN7rocprim17ROCPRIM_400000_NS6detail17trampoline_kernelINS0_14default_configENS1_35adjacent_difference_config_selectorILb1ElEEZNS1_24adjacent_difference_implIS3_Lb1ELb0EPlS7_ZN2at6native12_GLOBAL__N_124unique_dim_cuda_templateIlEESt5tupleIJNS8_6TensorESD_SD_EERKSD_lbbbEUlllE1_EE10hipError_tPvRmT2_T3_mT4_P12ihipStream_tbEUlT_E_NS1_11comp_targetILNS1_3genE10ELNS1_11target_archE1201ELNS1_3gpuE5ELNS1_3repE0EEENS1_30default_config_static_selectorELNS0_4arch9wavefront6targetE0EEEvT1_.num_agpr, 0
	.set _ZN7rocprim17ROCPRIM_400000_NS6detail17trampoline_kernelINS0_14default_configENS1_35adjacent_difference_config_selectorILb1ElEEZNS1_24adjacent_difference_implIS3_Lb1ELb0EPlS7_ZN2at6native12_GLOBAL__N_124unique_dim_cuda_templateIlEESt5tupleIJNS8_6TensorESD_SD_EERKSD_lbbbEUlllE1_EE10hipError_tPvRmT2_T3_mT4_P12ihipStream_tbEUlT_E_NS1_11comp_targetILNS1_3genE10ELNS1_11target_archE1201ELNS1_3gpuE5ELNS1_3repE0EEENS1_30default_config_static_selectorELNS0_4arch9wavefront6targetE0EEEvT1_.numbered_sgpr, 0
	.set _ZN7rocprim17ROCPRIM_400000_NS6detail17trampoline_kernelINS0_14default_configENS1_35adjacent_difference_config_selectorILb1ElEEZNS1_24adjacent_difference_implIS3_Lb1ELb0EPlS7_ZN2at6native12_GLOBAL__N_124unique_dim_cuda_templateIlEESt5tupleIJNS8_6TensorESD_SD_EERKSD_lbbbEUlllE1_EE10hipError_tPvRmT2_T3_mT4_P12ihipStream_tbEUlT_E_NS1_11comp_targetILNS1_3genE10ELNS1_11target_archE1201ELNS1_3gpuE5ELNS1_3repE0EEENS1_30default_config_static_selectorELNS0_4arch9wavefront6targetE0EEEvT1_.num_named_barrier, 0
	.set _ZN7rocprim17ROCPRIM_400000_NS6detail17trampoline_kernelINS0_14default_configENS1_35adjacent_difference_config_selectorILb1ElEEZNS1_24adjacent_difference_implIS3_Lb1ELb0EPlS7_ZN2at6native12_GLOBAL__N_124unique_dim_cuda_templateIlEESt5tupleIJNS8_6TensorESD_SD_EERKSD_lbbbEUlllE1_EE10hipError_tPvRmT2_T3_mT4_P12ihipStream_tbEUlT_E_NS1_11comp_targetILNS1_3genE10ELNS1_11target_archE1201ELNS1_3gpuE5ELNS1_3repE0EEENS1_30default_config_static_selectorELNS0_4arch9wavefront6targetE0EEEvT1_.private_seg_size, 0
	.set _ZN7rocprim17ROCPRIM_400000_NS6detail17trampoline_kernelINS0_14default_configENS1_35adjacent_difference_config_selectorILb1ElEEZNS1_24adjacent_difference_implIS3_Lb1ELb0EPlS7_ZN2at6native12_GLOBAL__N_124unique_dim_cuda_templateIlEESt5tupleIJNS8_6TensorESD_SD_EERKSD_lbbbEUlllE1_EE10hipError_tPvRmT2_T3_mT4_P12ihipStream_tbEUlT_E_NS1_11comp_targetILNS1_3genE10ELNS1_11target_archE1201ELNS1_3gpuE5ELNS1_3repE0EEENS1_30default_config_static_selectorELNS0_4arch9wavefront6targetE0EEEvT1_.uses_vcc, 0
	.set _ZN7rocprim17ROCPRIM_400000_NS6detail17trampoline_kernelINS0_14default_configENS1_35adjacent_difference_config_selectorILb1ElEEZNS1_24adjacent_difference_implIS3_Lb1ELb0EPlS7_ZN2at6native12_GLOBAL__N_124unique_dim_cuda_templateIlEESt5tupleIJNS8_6TensorESD_SD_EERKSD_lbbbEUlllE1_EE10hipError_tPvRmT2_T3_mT4_P12ihipStream_tbEUlT_E_NS1_11comp_targetILNS1_3genE10ELNS1_11target_archE1201ELNS1_3gpuE5ELNS1_3repE0EEENS1_30default_config_static_selectorELNS0_4arch9wavefront6targetE0EEEvT1_.uses_flat_scratch, 0
	.set _ZN7rocprim17ROCPRIM_400000_NS6detail17trampoline_kernelINS0_14default_configENS1_35adjacent_difference_config_selectorILb1ElEEZNS1_24adjacent_difference_implIS3_Lb1ELb0EPlS7_ZN2at6native12_GLOBAL__N_124unique_dim_cuda_templateIlEESt5tupleIJNS8_6TensorESD_SD_EERKSD_lbbbEUlllE1_EE10hipError_tPvRmT2_T3_mT4_P12ihipStream_tbEUlT_E_NS1_11comp_targetILNS1_3genE10ELNS1_11target_archE1201ELNS1_3gpuE5ELNS1_3repE0EEENS1_30default_config_static_selectorELNS0_4arch9wavefront6targetE0EEEvT1_.has_dyn_sized_stack, 0
	.set _ZN7rocprim17ROCPRIM_400000_NS6detail17trampoline_kernelINS0_14default_configENS1_35adjacent_difference_config_selectorILb1ElEEZNS1_24adjacent_difference_implIS3_Lb1ELb0EPlS7_ZN2at6native12_GLOBAL__N_124unique_dim_cuda_templateIlEESt5tupleIJNS8_6TensorESD_SD_EERKSD_lbbbEUlllE1_EE10hipError_tPvRmT2_T3_mT4_P12ihipStream_tbEUlT_E_NS1_11comp_targetILNS1_3genE10ELNS1_11target_archE1201ELNS1_3gpuE5ELNS1_3repE0EEENS1_30default_config_static_selectorELNS0_4arch9wavefront6targetE0EEEvT1_.has_recursion, 0
	.set _ZN7rocprim17ROCPRIM_400000_NS6detail17trampoline_kernelINS0_14default_configENS1_35adjacent_difference_config_selectorILb1ElEEZNS1_24adjacent_difference_implIS3_Lb1ELb0EPlS7_ZN2at6native12_GLOBAL__N_124unique_dim_cuda_templateIlEESt5tupleIJNS8_6TensorESD_SD_EERKSD_lbbbEUlllE1_EE10hipError_tPvRmT2_T3_mT4_P12ihipStream_tbEUlT_E_NS1_11comp_targetILNS1_3genE10ELNS1_11target_archE1201ELNS1_3gpuE5ELNS1_3repE0EEENS1_30default_config_static_selectorELNS0_4arch9wavefront6targetE0EEEvT1_.has_indirect_call, 0
	.section	.AMDGPU.csdata,"",@progbits
; Kernel info:
; codeLenInByte = 0
; TotalNumSgprs: 0
; NumVgprs: 0
; ScratchSize: 0
; MemoryBound: 0
; FloatMode: 240
; IeeeMode: 1
; LDSByteSize: 0 bytes/workgroup (compile time only)
; SGPRBlocks: 0
; VGPRBlocks: 0
; NumSGPRsForWavesPerEU: 1
; NumVGPRsForWavesPerEU: 1
; NamedBarCnt: 0
; Occupancy: 16
; WaveLimiterHint : 0
; COMPUTE_PGM_RSRC2:SCRATCH_EN: 0
; COMPUTE_PGM_RSRC2:USER_SGPR: 2
; COMPUTE_PGM_RSRC2:TRAP_HANDLER: 0
; COMPUTE_PGM_RSRC2:TGID_X_EN: 1
; COMPUTE_PGM_RSRC2:TGID_Y_EN: 0
; COMPUTE_PGM_RSRC2:TGID_Z_EN: 0
; COMPUTE_PGM_RSRC2:TIDIG_COMP_CNT: 0
	.section	.text._ZN7rocprim17ROCPRIM_400000_NS6detail17trampoline_kernelINS0_14default_configENS1_35adjacent_difference_config_selectorILb1ElEEZNS1_24adjacent_difference_implIS3_Lb1ELb0EPlS7_ZN2at6native12_GLOBAL__N_124unique_dim_cuda_templateIlEESt5tupleIJNS8_6TensorESD_SD_EERKSD_lbbbEUlllE1_EE10hipError_tPvRmT2_T3_mT4_P12ihipStream_tbEUlT_E_NS1_11comp_targetILNS1_3genE5ELNS1_11target_archE942ELNS1_3gpuE9ELNS1_3repE0EEENS1_30default_config_static_selectorELNS0_4arch9wavefront6targetE0EEEvT1_,"axG",@progbits,_ZN7rocprim17ROCPRIM_400000_NS6detail17trampoline_kernelINS0_14default_configENS1_35adjacent_difference_config_selectorILb1ElEEZNS1_24adjacent_difference_implIS3_Lb1ELb0EPlS7_ZN2at6native12_GLOBAL__N_124unique_dim_cuda_templateIlEESt5tupleIJNS8_6TensorESD_SD_EERKSD_lbbbEUlllE1_EE10hipError_tPvRmT2_T3_mT4_P12ihipStream_tbEUlT_E_NS1_11comp_targetILNS1_3genE5ELNS1_11target_archE942ELNS1_3gpuE9ELNS1_3repE0EEENS1_30default_config_static_selectorELNS0_4arch9wavefront6targetE0EEEvT1_,comdat
	.globl	_ZN7rocprim17ROCPRIM_400000_NS6detail17trampoline_kernelINS0_14default_configENS1_35adjacent_difference_config_selectorILb1ElEEZNS1_24adjacent_difference_implIS3_Lb1ELb0EPlS7_ZN2at6native12_GLOBAL__N_124unique_dim_cuda_templateIlEESt5tupleIJNS8_6TensorESD_SD_EERKSD_lbbbEUlllE1_EE10hipError_tPvRmT2_T3_mT4_P12ihipStream_tbEUlT_E_NS1_11comp_targetILNS1_3genE5ELNS1_11target_archE942ELNS1_3gpuE9ELNS1_3repE0EEENS1_30default_config_static_selectorELNS0_4arch9wavefront6targetE0EEEvT1_ ; -- Begin function _ZN7rocprim17ROCPRIM_400000_NS6detail17trampoline_kernelINS0_14default_configENS1_35adjacent_difference_config_selectorILb1ElEEZNS1_24adjacent_difference_implIS3_Lb1ELb0EPlS7_ZN2at6native12_GLOBAL__N_124unique_dim_cuda_templateIlEESt5tupleIJNS8_6TensorESD_SD_EERKSD_lbbbEUlllE1_EE10hipError_tPvRmT2_T3_mT4_P12ihipStream_tbEUlT_E_NS1_11comp_targetILNS1_3genE5ELNS1_11target_archE942ELNS1_3gpuE9ELNS1_3repE0EEENS1_30default_config_static_selectorELNS0_4arch9wavefront6targetE0EEEvT1_
	.p2align	8
	.type	_ZN7rocprim17ROCPRIM_400000_NS6detail17trampoline_kernelINS0_14default_configENS1_35adjacent_difference_config_selectorILb1ElEEZNS1_24adjacent_difference_implIS3_Lb1ELb0EPlS7_ZN2at6native12_GLOBAL__N_124unique_dim_cuda_templateIlEESt5tupleIJNS8_6TensorESD_SD_EERKSD_lbbbEUlllE1_EE10hipError_tPvRmT2_T3_mT4_P12ihipStream_tbEUlT_E_NS1_11comp_targetILNS1_3genE5ELNS1_11target_archE942ELNS1_3gpuE9ELNS1_3repE0EEENS1_30default_config_static_selectorELNS0_4arch9wavefront6targetE0EEEvT1_,@function
_ZN7rocprim17ROCPRIM_400000_NS6detail17trampoline_kernelINS0_14default_configENS1_35adjacent_difference_config_selectorILb1ElEEZNS1_24adjacent_difference_implIS3_Lb1ELb0EPlS7_ZN2at6native12_GLOBAL__N_124unique_dim_cuda_templateIlEESt5tupleIJNS8_6TensorESD_SD_EERKSD_lbbbEUlllE1_EE10hipError_tPvRmT2_T3_mT4_P12ihipStream_tbEUlT_E_NS1_11comp_targetILNS1_3genE5ELNS1_11target_archE942ELNS1_3gpuE9ELNS1_3repE0EEENS1_30default_config_static_selectorELNS0_4arch9wavefront6targetE0EEEvT1_: ; @_ZN7rocprim17ROCPRIM_400000_NS6detail17trampoline_kernelINS0_14default_configENS1_35adjacent_difference_config_selectorILb1ElEEZNS1_24adjacent_difference_implIS3_Lb1ELb0EPlS7_ZN2at6native12_GLOBAL__N_124unique_dim_cuda_templateIlEESt5tupleIJNS8_6TensorESD_SD_EERKSD_lbbbEUlllE1_EE10hipError_tPvRmT2_T3_mT4_P12ihipStream_tbEUlT_E_NS1_11comp_targetILNS1_3genE5ELNS1_11target_archE942ELNS1_3gpuE9ELNS1_3repE0EEENS1_30default_config_static_selectorELNS0_4arch9wavefront6targetE0EEEvT1_
; %bb.0:
	.section	.rodata,"a",@progbits
	.p2align	6, 0x0
	.amdhsa_kernel _ZN7rocprim17ROCPRIM_400000_NS6detail17trampoline_kernelINS0_14default_configENS1_35adjacent_difference_config_selectorILb1ElEEZNS1_24adjacent_difference_implIS3_Lb1ELb0EPlS7_ZN2at6native12_GLOBAL__N_124unique_dim_cuda_templateIlEESt5tupleIJNS8_6TensorESD_SD_EERKSD_lbbbEUlllE1_EE10hipError_tPvRmT2_T3_mT4_P12ihipStream_tbEUlT_E_NS1_11comp_targetILNS1_3genE5ELNS1_11target_archE942ELNS1_3gpuE9ELNS1_3repE0EEENS1_30default_config_static_selectorELNS0_4arch9wavefront6targetE0EEEvT1_
		.amdhsa_group_segment_fixed_size 0
		.amdhsa_private_segment_fixed_size 0
		.amdhsa_kernarg_size 64
		.amdhsa_user_sgpr_count 2
		.amdhsa_user_sgpr_dispatch_ptr 0
		.amdhsa_user_sgpr_queue_ptr 0
		.amdhsa_user_sgpr_kernarg_segment_ptr 1
		.amdhsa_user_sgpr_dispatch_id 0
		.amdhsa_user_sgpr_kernarg_preload_length 0
		.amdhsa_user_sgpr_kernarg_preload_offset 0
		.amdhsa_user_sgpr_private_segment_size 0
		.amdhsa_wavefront_size32 1
		.amdhsa_uses_dynamic_stack 0
		.amdhsa_enable_private_segment 0
		.amdhsa_system_sgpr_workgroup_id_x 1
		.amdhsa_system_sgpr_workgroup_id_y 0
		.amdhsa_system_sgpr_workgroup_id_z 0
		.amdhsa_system_sgpr_workgroup_info 0
		.amdhsa_system_vgpr_workitem_id 0
		.amdhsa_next_free_vgpr 1
		.amdhsa_next_free_sgpr 1
		.amdhsa_named_barrier_count 0
		.amdhsa_reserve_vcc 0
		.amdhsa_float_round_mode_32 0
		.amdhsa_float_round_mode_16_64 0
		.amdhsa_float_denorm_mode_32 3
		.amdhsa_float_denorm_mode_16_64 3
		.amdhsa_fp16_overflow 0
		.amdhsa_memory_ordered 1
		.amdhsa_forward_progress 1
		.amdhsa_inst_pref_size 0
		.amdhsa_round_robin_scheduling 0
		.amdhsa_exception_fp_ieee_invalid_op 0
		.amdhsa_exception_fp_denorm_src 0
		.amdhsa_exception_fp_ieee_div_zero 0
		.amdhsa_exception_fp_ieee_overflow 0
		.amdhsa_exception_fp_ieee_underflow 0
		.amdhsa_exception_fp_ieee_inexact 0
		.amdhsa_exception_int_div_zero 0
	.end_amdhsa_kernel
	.section	.text._ZN7rocprim17ROCPRIM_400000_NS6detail17trampoline_kernelINS0_14default_configENS1_35adjacent_difference_config_selectorILb1ElEEZNS1_24adjacent_difference_implIS3_Lb1ELb0EPlS7_ZN2at6native12_GLOBAL__N_124unique_dim_cuda_templateIlEESt5tupleIJNS8_6TensorESD_SD_EERKSD_lbbbEUlllE1_EE10hipError_tPvRmT2_T3_mT4_P12ihipStream_tbEUlT_E_NS1_11comp_targetILNS1_3genE5ELNS1_11target_archE942ELNS1_3gpuE9ELNS1_3repE0EEENS1_30default_config_static_selectorELNS0_4arch9wavefront6targetE0EEEvT1_,"axG",@progbits,_ZN7rocprim17ROCPRIM_400000_NS6detail17trampoline_kernelINS0_14default_configENS1_35adjacent_difference_config_selectorILb1ElEEZNS1_24adjacent_difference_implIS3_Lb1ELb0EPlS7_ZN2at6native12_GLOBAL__N_124unique_dim_cuda_templateIlEESt5tupleIJNS8_6TensorESD_SD_EERKSD_lbbbEUlllE1_EE10hipError_tPvRmT2_T3_mT4_P12ihipStream_tbEUlT_E_NS1_11comp_targetILNS1_3genE5ELNS1_11target_archE942ELNS1_3gpuE9ELNS1_3repE0EEENS1_30default_config_static_selectorELNS0_4arch9wavefront6targetE0EEEvT1_,comdat
.Lfunc_end557:
	.size	_ZN7rocprim17ROCPRIM_400000_NS6detail17trampoline_kernelINS0_14default_configENS1_35adjacent_difference_config_selectorILb1ElEEZNS1_24adjacent_difference_implIS3_Lb1ELb0EPlS7_ZN2at6native12_GLOBAL__N_124unique_dim_cuda_templateIlEESt5tupleIJNS8_6TensorESD_SD_EERKSD_lbbbEUlllE1_EE10hipError_tPvRmT2_T3_mT4_P12ihipStream_tbEUlT_E_NS1_11comp_targetILNS1_3genE5ELNS1_11target_archE942ELNS1_3gpuE9ELNS1_3repE0EEENS1_30default_config_static_selectorELNS0_4arch9wavefront6targetE0EEEvT1_, .Lfunc_end557-_ZN7rocprim17ROCPRIM_400000_NS6detail17trampoline_kernelINS0_14default_configENS1_35adjacent_difference_config_selectorILb1ElEEZNS1_24adjacent_difference_implIS3_Lb1ELb0EPlS7_ZN2at6native12_GLOBAL__N_124unique_dim_cuda_templateIlEESt5tupleIJNS8_6TensorESD_SD_EERKSD_lbbbEUlllE1_EE10hipError_tPvRmT2_T3_mT4_P12ihipStream_tbEUlT_E_NS1_11comp_targetILNS1_3genE5ELNS1_11target_archE942ELNS1_3gpuE9ELNS1_3repE0EEENS1_30default_config_static_selectorELNS0_4arch9wavefront6targetE0EEEvT1_
                                        ; -- End function
	.set _ZN7rocprim17ROCPRIM_400000_NS6detail17trampoline_kernelINS0_14default_configENS1_35adjacent_difference_config_selectorILb1ElEEZNS1_24adjacent_difference_implIS3_Lb1ELb0EPlS7_ZN2at6native12_GLOBAL__N_124unique_dim_cuda_templateIlEESt5tupleIJNS8_6TensorESD_SD_EERKSD_lbbbEUlllE1_EE10hipError_tPvRmT2_T3_mT4_P12ihipStream_tbEUlT_E_NS1_11comp_targetILNS1_3genE5ELNS1_11target_archE942ELNS1_3gpuE9ELNS1_3repE0EEENS1_30default_config_static_selectorELNS0_4arch9wavefront6targetE0EEEvT1_.num_vgpr, 0
	.set _ZN7rocprim17ROCPRIM_400000_NS6detail17trampoline_kernelINS0_14default_configENS1_35adjacent_difference_config_selectorILb1ElEEZNS1_24adjacent_difference_implIS3_Lb1ELb0EPlS7_ZN2at6native12_GLOBAL__N_124unique_dim_cuda_templateIlEESt5tupleIJNS8_6TensorESD_SD_EERKSD_lbbbEUlllE1_EE10hipError_tPvRmT2_T3_mT4_P12ihipStream_tbEUlT_E_NS1_11comp_targetILNS1_3genE5ELNS1_11target_archE942ELNS1_3gpuE9ELNS1_3repE0EEENS1_30default_config_static_selectorELNS0_4arch9wavefront6targetE0EEEvT1_.num_agpr, 0
	.set _ZN7rocprim17ROCPRIM_400000_NS6detail17trampoline_kernelINS0_14default_configENS1_35adjacent_difference_config_selectorILb1ElEEZNS1_24adjacent_difference_implIS3_Lb1ELb0EPlS7_ZN2at6native12_GLOBAL__N_124unique_dim_cuda_templateIlEESt5tupleIJNS8_6TensorESD_SD_EERKSD_lbbbEUlllE1_EE10hipError_tPvRmT2_T3_mT4_P12ihipStream_tbEUlT_E_NS1_11comp_targetILNS1_3genE5ELNS1_11target_archE942ELNS1_3gpuE9ELNS1_3repE0EEENS1_30default_config_static_selectorELNS0_4arch9wavefront6targetE0EEEvT1_.numbered_sgpr, 0
	.set _ZN7rocprim17ROCPRIM_400000_NS6detail17trampoline_kernelINS0_14default_configENS1_35adjacent_difference_config_selectorILb1ElEEZNS1_24adjacent_difference_implIS3_Lb1ELb0EPlS7_ZN2at6native12_GLOBAL__N_124unique_dim_cuda_templateIlEESt5tupleIJNS8_6TensorESD_SD_EERKSD_lbbbEUlllE1_EE10hipError_tPvRmT2_T3_mT4_P12ihipStream_tbEUlT_E_NS1_11comp_targetILNS1_3genE5ELNS1_11target_archE942ELNS1_3gpuE9ELNS1_3repE0EEENS1_30default_config_static_selectorELNS0_4arch9wavefront6targetE0EEEvT1_.num_named_barrier, 0
	.set _ZN7rocprim17ROCPRIM_400000_NS6detail17trampoline_kernelINS0_14default_configENS1_35adjacent_difference_config_selectorILb1ElEEZNS1_24adjacent_difference_implIS3_Lb1ELb0EPlS7_ZN2at6native12_GLOBAL__N_124unique_dim_cuda_templateIlEESt5tupleIJNS8_6TensorESD_SD_EERKSD_lbbbEUlllE1_EE10hipError_tPvRmT2_T3_mT4_P12ihipStream_tbEUlT_E_NS1_11comp_targetILNS1_3genE5ELNS1_11target_archE942ELNS1_3gpuE9ELNS1_3repE0EEENS1_30default_config_static_selectorELNS0_4arch9wavefront6targetE0EEEvT1_.private_seg_size, 0
	.set _ZN7rocprim17ROCPRIM_400000_NS6detail17trampoline_kernelINS0_14default_configENS1_35adjacent_difference_config_selectorILb1ElEEZNS1_24adjacent_difference_implIS3_Lb1ELb0EPlS7_ZN2at6native12_GLOBAL__N_124unique_dim_cuda_templateIlEESt5tupleIJNS8_6TensorESD_SD_EERKSD_lbbbEUlllE1_EE10hipError_tPvRmT2_T3_mT4_P12ihipStream_tbEUlT_E_NS1_11comp_targetILNS1_3genE5ELNS1_11target_archE942ELNS1_3gpuE9ELNS1_3repE0EEENS1_30default_config_static_selectorELNS0_4arch9wavefront6targetE0EEEvT1_.uses_vcc, 0
	.set _ZN7rocprim17ROCPRIM_400000_NS6detail17trampoline_kernelINS0_14default_configENS1_35adjacent_difference_config_selectorILb1ElEEZNS1_24adjacent_difference_implIS3_Lb1ELb0EPlS7_ZN2at6native12_GLOBAL__N_124unique_dim_cuda_templateIlEESt5tupleIJNS8_6TensorESD_SD_EERKSD_lbbbEUlllE1_EE10hipError_tPvRmT2_T3_mT4_P12ihipStream_tbEUlT_E_NS1_11comp_targetILNS1_3genE5ELNS1_11target_archE942ELNS1_3gpuE9ELNS1_3repE0EEENS1_30default_config_static_selectorELNS0_4arch9wavefront6targetE0EEEvT1_.uses_flat_scratch, 0
	.set _ZN7rocprim17ROCPRIM_400000_NS6detail17trampoline_kernelINS0_14default_configENS1_35adjacent_difference_config_selectorILb1ElEEZNS1_24adjacent_difference_implIS3_Lb1ELb0EPlS7_ZN2at6native12_GLOBAL__N_124unique_dim_cuda_templateIlEESt5tupleIJNS8_6TensorESD_SD_EERKSD_lbbbEUlllE1_EE10hipError_tPvRmT2_T3_mT4_P12ihipStream_tbEUlT_E_NS1_11comp_targetILNS1_3genE5ELNS1_11target_archE942ELNS1_3gpuE9ELNS1_3repE0EEENS1_30default_config_static_selectorELNS0_4arch9wavefront6targetE0EEEvT1_.has_dyn_sized_stack, 0
	.set _ZN7rocprim17ROCPRIM_400000_NS6detail17trampoline_kernelINS0_14default_configENS1_35adjacent_difference_config_selectorILb1ElEEZNS1_24adjacent_difference_implIS3_Lb1ELb0EPlS7_ZN2at6native12_GLOBAL__N_124unique_dim_cuda_templateIlEESt5tupleIJNS8_6TensorESD_SD_EERKSD_lbbbEUlllE1_EE10hipError_tPvRmT2_T3_mT4_P12ihipStream_tbEUlT_E_NS1_11comp_targetILNS1_3genE5ELNS1_11target_archE942ELNS1_3gpuE9ELNS1_3repE0EEENS1_30default_config_static_selectorELNS0_4arch9wavefront6targetE0EEEvT1_.has_recursion, 0
	.set _ZN7rocprim17ROCPRIM_400000_NS6detail17trampoline_kernelINS0_14default_configENS1_35adjacent_difference_config_selectorILb1ElEEZNS1_24adjacent_difference_implIS3_Lb1ELb0EPlS7_ZN2at6native12_GLOBAL__N_124unique_dim_cuda_templateIlEESt5tupleIJNS8_6TensorESD_SD_EERKSD_lbbbEUlllE1_EE10hipError_tPvRmT2_T3_mT4_P12ihipStream_tbEUlT_E_NS1_11comp_targetILNS1_3genE5ELNS1_11target_archE942ELNS1_3gpuE9ELNS1_3repE0EEENS1_30default_config_static_selectorELNS0_4arch9wavefront6targetE0EEEvT1_.has_indirect_call, 0
	.section	.AMDGPU.csdata,"",@progbits
; Kernel info:
; codeLenInByte = 0
; TotalNumSgprs: 0
; NumVgprs: 0
; ScratchSize: 0
; MemoryBound: 0
; FloatMode: 240
; IeeeMode: 1
; LDSByteSize: 0 bytes/workgroup (compile time only)
; SGPRBlocks: 0
; VGPRBlocks: 0
; NumSGPRsForWavesPerEU: 1
; NumVGPRsForWavesPerEU: 1
; NamedBarCnt: 0
; Occupancy: 16
; WaveLimiterHint : 0
; COMPUTE_PGM_RSRC2:SCRATCH_EN: 0
; COMPUTE_PGM_RSRC2:USER_SGPR: 2
; COMPUTE_PGM_RSRC2:TRAP_HANDLER: 0
; COMPUTE_PGM_RSRC2:TGID_X_EN: 1
; COMPUTE_PGM_RSRC2:TGID_Y_EN: 0
; COMPUTE_PGM_RSRC2:TGID_Z_EN: 0
; COMPUTE_PGM_RSRC2:TIDIG_COMP_CNT: 0
	.section	.text._ZN7rocprim17ROCPRIM_400000_NS6detail17trampoline_kernelINS0_14default_configENS1_35adjacent_difference_config_selectorILb1ElEEZNS1_24adjacent_difference_implIS3_Lb1ELb0EPlS7_ZN2at6native12_GLOBAL__N_124unique_dim_cuda_templateIlEESt5tupleIJNS8_6TensorESD_SD_EERKSD_lbbbEUlllE1_EE10hipError_tPvRmT2_T3_mT4_P12ihipStream_tbEUlT_E_NS1_11comp_targetILNS1_3genE4ELNS1_11target_archE910ELNS1_3gpuE8ELNS1_3repE0EEENS1_30default_config_static_selectorELNS0_4arch9wavefront6targetE0EEEvT1_,"axG",@progbits,_ZN7rocprim17ROCPRIM_400000_NS6detail17trampoline_kernelINS0_14default_configENS1_35adjacent_difference_config_selectorILb1ElEEZNS1_24adjacent_difference_implIS3_Lb1ELb0EPlS7_ZN2at6native12_GLOBAL__N_124unique_dim_cuda_templateIlEESt5tupleIJNS8_6TensorESD_SD_EERKSD_lbbbEUlllE1_EE10hipError_tPvRmT2_T3_mT4_P12ihipStream_tbEUlT_E_NS1_11comp_targetILNS1_3genE4ELNS1_11target_archE910ELNS1_3gpuE8ELNS1_3repE0EEENS1_30default_config_static_selectorELNS0_4arch9wavefront6targetE0EEEvT1_,comdat
	.globl	_ZN7rocprim17ROCPRIM_400000_NS6detail17trampoline_kernelINS0_14default_configENS1_35adjacent_difference_config_selectorILb1ElEEZNS1_24adjacent_difference_implIS3_Lb1ELb0EPlS7_ZN2at6native12_GLOBAL__N_124unique_dim_cuda_templateIlEESt5tupleIJNS8_6TensorESD_SD_EERKSD_lbbbEUlllE1_EE10hipError_tPvRmT2_T3_mT4_P12ihipStream_tbEUlT_E_NS1_11comp_targetILNS1_3genE4ELNS1_11target_archE910ELNS1_3gpuE8ELNS1_3repE0EEENS1_30default_config_static_selectorELNS0_4arch9wavefront6targetE0EEEvT1_ ; -- Begin function _ZN7rocprim17ROCPRIM_400000_NS6detail17trampoline_kernelINS0_14default_configENS1_35adjacent_difference_config_selectorILb1ElEEZNS1_24adjacent_difference_implIS3_Lb1ELb0EPlS7_ZN2at6native12_GLOBAL__N_124unique_dim_cuda_templateIlEESt5tupleIJNS8_6TensorESD_SD_EERKSD_lbbbEUlllE1_EE10hipError_tPvRmT2_T3_mT4_P12ihipStream_tbEUlT_E_NS1_11comp_targetILNS1_3genE4ELNS1_11target_archE910ELNS1_3gpuE8ELNS1_3repE0EEENS1_30default_config_static_selectorELNS0_4arch9wavefront6targetE0EEEvT1_
	.p2align	8
	.type	_ZN7rocprim17ROCPRIM_400000_NS6detail17trampoline_kernelINS0_14default_configENS1_35adjacent_difference_config_selectorILb1ElEEZNS1_24adjacent_difference_implIS3_Lb1ELb0EPlS7_ZN2at6native12_GLOBAL__N_124unique_dim_cuda_templateIlEESt5tupleIJNS8_6TensorESD_SD_EERKSD_lbbbEUlllE1_EE10hipError_tPvRmT2_T3_mT4_P12ihipStream_tbEUlT_E_NS1_11comp_targetILNS1_3genE4ELNS1_11target_archE910ELNS1_3gpuE8ELNS1_3repE0EEENS1_30default_config_static_selectorELNS0_4arch9wavefront6targetE0EEEvT1_,@function
_ZN7rocprim17ROCPRIM_400000_NS6detail17trampoline_kernelINS0_14default_configENS1_35adjacent_difference_config_selectorILb1ElEEZNS1_24adjacent_difference_implIS3_Lb1ELb0EPlS7_ZN2at6native12_GLOBAL__N_124unique_dim_cuda_templateIlEESt5tupleIJNS8_6TensorESD_SD_EERKSD_lbbbEUlllE1_EE10hipError_tPvRmT2_T3_mT4_P12ihipStream_tbEUlT_E_NS1_11comp_targetILNS1_3genE4ELNS1_11target_archE910ELNS1_3gpuE8ELNS1_3repE0EEENS1_30default_config_static_selectorELNS0_4arch9wavefront6targetE0EEEvT1_: ; @_ZN7rocprim17ROCPRIM_400000_NS6detail17trampoline_kernelINS0_14default_configENS1_35adjacent_difference_config_selectorILb1ElEEZNS1_24adjacent_difference_implIS3_Lb1ELb0EPlS7_ZN2at6native12_GLOBAL__N_124unique_dim_cuda_templateIlEESt5tupleIJNS8_6TensorESD_SD_EERKSD_lbbbEUlllE1_EE10hipError_tPvRmT2_T3_mT4_P12ihipStream_tbEUlT_E_NS1_11comp_targetILNS1_3genE4ELNS1_11target_archE910ELNS1_3gpuE8ELNS1_3repE0EEENS1_30default_config_static_selectorELNS0_4arch9wavefront6targetE0EEEvT1_
; %bb.0:
	.section	.rodata,"a",@progbits
	.p2align	6, 0x0
	.amdhsa_kernel _ZN7rocprim17ROCPRIM_400000_NS6detail17trampoline_kernelINS0_14default_configENS1_35adjacent_difference_config_selectorILb1ElEEZNS1_24adjacent_difference_implIS3_Lb1ELb0EPlS7_ZN2at6native12_GLOBAL__N_124unique_dim_cuda_templateIlEESt5tupleIJNS8_6TensorESD_SD_EERKSD_lbbbEUlllE1_EE10hipError_tPvRmT2_T3_mT4_P12ihipStream_tbEUlT_E_NS1_11comp_targetILNS1_3genE4ELNS1_11target_archE910ELNS1_3gpuE8ELNS1_3repE0EEENS1_30default_config_static_selectorELNS0_4arch9wavefront6targetE0EEEvT1_
		.amdhsa_group_segment_fixed_size 0
		.amdhsa_private_segment_fixed_size 0
		.amdhsa_kernarg_size 64
		.amdhsa_user_sgpr_count 2
		.amdhsa_user_sgpr_dispatch_ptr 0
		.amdhsa_user_sgpr_queue_ptr 0
		.amdhsa_user_sgpr_kernarg_segment_ptr 1
		.amdhsa_user_sgpr_dispatch_id 0
		.amdhsa_user_sgpr_kernarg_preload_length 0
		.amdhsa_user_sgpr_kernarg_preload_offset 0
		.amdhsa_user_sgpr_private_segment_size 0
		.amdhsa_wavefront_size32 1
		.amdhsa_uses_dynamic_stack 0
		.amdhsa_enable_private_segment 0
		.amdhsa_system_sgpr_workgroup_id_x 1
		.amdhsa_system_sgpr_workgroup_id_y 0
		.amdhsa_system_sgpr_workgroup_id_z 0
		.amdhsa_system_sgpr_workgroup_info 0
		.amdhsa_system_vgpr_workitem_id 0
		.amdhsa_next_free_vgpr 1
		.amdhsa_next_free_sgpr 1
		.amdhsa_named_barrier_count 0
		.amdhsa_reserve_vcc 0
		.amdhsa_float_round_mode_32 0
		.amdhsa_float_round_mode_16_64 0
		.amdhsa_float_denorm_mode_32 3
		.amdhsa_float_denorm_mode_16_64 3
		.amdhsa_fp16_overflow 0
		.amdhsa_memory_ordered 1
		.amdhsa_forward_progress 1
		.amdhsa_inst_pref_size 0
		.amdhsa_round_robin_scheduling 0
		.amdhsa_exception_fp_ieee_invalid_op 0
		.amdhsa_exception_fp_denorm_src 0
		.amdhsa_exception_fp_ieee_div_zero 0
		.amdhsa_exception_fp_ieee_overflow 0
		.amdhsa_exception_fp_ieee_underflow 0
		.amdhsa_exception_fp_ieee_inexact 0
		.amdhsa_exception_int_div_zero 0
	.end_amdhsa_kernel
	.section	.text._ZN7rocprim17ROCPRIM_400000_NS6detail17trampoline_kernelINS0_14default_configENS1_35adjacent_difference_config_selectorILb1ElEEZNS1_24adjacent_difference_implIS3_Lb1ELb0EPlS7_ZN2at6native12_GLOBAL__N_124unique_dim_cuda_templateIlEESt5tupleIJNS8_6TensorESD_SD_EERKSD_lbbbEUlllE1_EE10hipError_tPvRmT2_T3_mT4_P12ihipStream_tbEUlT_E_NS1_11comp_targetILNS1_3genE4ELNS1_11target_archE910ELNS1_3gpuE8ELNS1_3repE0EEENS1_30default_config_static_selectorELNS0_4arch9wavefront6targetE0EEEvT1_,"axG",@progbits,_ZN7rocprim17ROCPRIM_400000_NS6detail17trampoline_kernelINS0_14default_configENS1_35adjacent_difference_config_selectorILb1ElEEZNS1_24adjacent_difference_implIS3_Lb1ELb0EPlS7_ZN2at6native12_GLOBAL__N_124unique_dim_cuda_templateIlEESt5tupleIJNS8_6TensorESD_SD_EERKSD_lbbbEUlllE1_EE10hipError_tPvRmT2_T3_mT4_P12ihipStream_tbEUlT_E_NS1_11comp_targetILNS1_3genE4ELNS1_11target_archE910ELNS1_3gpuE8ELNS1_3repE0EEENS1_30default_config_static_selectorELNS0_4arch9wavefront6targetE0EEEvT1_,comdat
.Lfunc_end558:
	.size	_ZN7rocprim17ROCPRIM_400000_NS6detail17trampoline_kernelINS0_14default_configENS1_35adjacent_difference_config_selectorILb1ElEEZNS1_24adjacent_difference_implIS3_Lb1ELb0EPlS7_ZN2at6native12_GLOBAL__N_124unique_dim_cuda_templateIlEESt5tupleIJNS8_6TensorESD_SD_EERKSD_lbbbEUlllE1_EE10hipError_tPvRmT2_T3_mT4_P12ihipStream_tbEUlT_E_NS1_11comp_targetILNS1_3genE4ELNS1_11target_archE910ELNS1_3gpuE8ELNS1_3repE0EEENS1_30default_config_static_selectorELNS0_4arch9wavefront6targetE0EEEvT1_, .Lfunc_end558-_ZN7rocprim17ROCPRIM_400000_NS6detail17trampoline_kernelINS0_14default_configENS1_35adjacent_difference_config_selectorILb1ElEEZNS1_24adjacent_difference_implIS3_Lb1ELb0EPlS7_ZN2at6native12_GLOBAL__N_124unique_dim_cuda_templateIlEESt5tupleIJNS8_6TensorESD_SD_EERKSD_lbbbEUlllE1_EE10hipError_tPvRmT2_T3_mT4_P12ihipStream_tbEUlT_E_NS1_11comp_targetILNS1_3genE4ELNS1_11target_archE910ELNS1_3gpuE8ELNS1_3repE0EEENS1_30default_config_static_selectorELNS0_4arch9wavefront6targetE0EEEvT1_
                                        ; -- End function
	.set _ZN7rocprim17ROCPRIM_400000_NS6detail17trampoline_kernelINS0_14default_configENS1_35adjacent_difference_config_selectorILb1ElEEZNS1_24adjacent_difference_implIS3_Lb1ELb0EPlS7_ZN2at6native12_GLOBAL__N_124unique_dim_cuda_templateIlEESt5tupleIJNS8_6TensorESD_SD_EERKSD_lbbbEUlllE1_EE10hipError_tPvRmT2_T3_mT4_P12ihipStream_tbEUlT_E_NS1_11comp_targetILNS1_3genE4ELNS1_11target_archE910ELNS1_3gpuE8ELNS1_3repE0EEENS1_30default_config_static_selectorELNS0_4arch9wavefront6targetE0EEEvT1_.num_vgpr, 0
	.set _ZN7rocprim17ROCPRIM_400000_NS6detail17trampoline_kernelINS0_14default_configENS1_35adjacent_difference_config_selectorILb1ElEEZNS1_24adjacent_difference_implIS3_Lb1ELb0EPlS7_ZN2at6native12_GLOBAL__N_124unique_dim_cuda_templateIlEESt5tupleIJNS8_6TensorESD_SD_EERKSD_lbbbEUlllE1_EE10hipError_tPvRmT2_T3_mT4_P12ihipStream_tbEUlT_E_NS1_11comp_targetILNS1_3genE4ELNS1_11target_archE910ELNS1_3gpuE8ELNS1_3repE0EEENS1_30default_config_static_selectorELNS0_4arch9wavefront6targetE0EEEvT1_.num_agpr, 0
	.set _ZN7rocprim17ROCPRIM_400000_NS6detail17trampoline_kernelINS0_14default_configENS1_35adjacent_difference_config_selectorILb1ElEEZNS1_24adjacent_difference_implIS3_Lb1ELb0EPlS7_ZN2at6native12_GLOBAL__N_124unique_dim_cuda_templateIlEESt5tupleIJNS8_6TensorESD_SD_EERKSD_lbbbEUlllE1_EE10hipError_tPvRmT2_T3_mT4_P12ihipStream_tbEUlT_E_NS1_11comp_targetILNS1_3genE4ELNS1_11target_archE910ELNS1_3gpuE8ELNS1_3repE0EEENS1_30default_config_static_selectorELNS0_4arch9wavefront6targetE0EEEvT1_.numbered_sgpr, 0
	.set _ZN7rocprim17ROCPRIM_400000_NS6detail17trampoline_kernelINS0_14default_configENS1_35adjacent_difference_config_selectorILb1ElEEZNS1_24adjacent_difference_implIS3_Lb1ELb0EPlS7_ZN2at6native12_GLOBAL__N_124unique_dim_cuda_templateIlEESt5tupleIJNS8_6TensorESD_SD_EERKSD_lbbbEUlllE1_EE10hipError_tPvRmT2_T3_mT4_P12ihipStream_tbEUlT_E_NS1_11comp_targetILNS1_3genE4ELNS1_11target_archE910ELNS1_3gpuE8ELNS1_3repE0EEENS1_30default_config_static_selectorELNS0_4arch9wavefront6targetE0EEEvT1_.num_named_barrier, 0
	.set _ZN7rocprim17ROCPRIM_400000_NS6detail17trampoline_kernelINS0_14default_configENS1_35adjacent_difference_config_selectorILb1ElEEZNS1_24adjacent_difference_implIS3_Lb1ELb0EPlS7_ZN2at6native12_GLOBAL__N_124unique_dim_cuda_templateIlEESt5tupleIJNS8_6TensorESD_SD_EERKSD_lbbbEUlllE1_EE10hipError_tPvRmT2_T3_mT4_P12ihipStream_tbEUlT_E_NS1_11comp_targetILNS1_3genE4ELNS1_11target_archE910ELNS1_3gpuE8ELNS1_3repE0EEENS1_30default_config_static_selectorELNS0_4arch9wavefront6targetE0EEEvT1_.private_seg_size, 0
	.set _ZN7rocprim17ROCPRIM_400000_NS6detail17trampoline_kernelINS0_14default_configENS1_35adjacent_difference_config_selectorILb1ElEEZNS1_24adjacent_difference_implIS3_Lb1ELb0EPlS7_ZN2at6native12_GLOBAL__N_124unique_dim_cuda_templateIlEESt5tupleIJNS8_6TensorESD_SD_EERKSD_lbbbEUlllE1_EE10hipError_tPvRmT2_T3_mT4_P12ihipStream_tbEUlT_E_NS1_11comp_targetILNS1_3genE4ELNS1_11target_archE910ELNS1_3gpuE8ELNS1_3repE0EEENS1_30default_config_static_selectorELNS0_4arch9wavefront6targetE0EEEvT1_.uses_vcc, 0
	.set _ZN7rocprim17ROCPRIM_400000_NS6detail17trampoline_kernelINS0_14default_configENS1_35adjacent_difference_config_selectorILb1ElEEZNS1_24adjacent_difference_implIS3_Lb1ELb0EPlS7_ZN2at6native12_GLOBAL__N_124unique_dim_cuda_templateIlEESt5tupleIJNS8_6TensorESD_SD_EERKSD_lbbbEUlllE1_EE10hipError_tPvRmT2_T3_mT4_P12ihipStream_tbEUlT_E_NS1_11comp_targetILNS1_3genE4ELNS1_11target_archE910ELNS1_3gpuE8ELNS1_3repE0EEENS1_30default_config_static_selectorELNS0_4arch9wavefront6targetE0EEEvT1_.uses_flat_scratch, 0
	.set _ZN7rocprim17ROCPRIM_400000_NS6detail17trampoline_kernelINS0_14default_configENS1_35adjacent_difference_config_selectorILb1ElEEZNS1_24adjacent_difference_implIS3_Lb1ELb0EPlS7_ZN2at6native12_GLOBAL__N_124unique_dim_cuda_templateIlEESt5tupleIJNS8_6TensorESD_SD_EERKSD_lbbbEUlllE1_EE10hipError_tPvRmT2_T3_mT4_P12ihipStream_tbEUlT_E_NS1_11comp_targetILNS1_3genE4ELNS1_11target_archE910ELNS1_3gpuE8ELNS1_3repE0EEENS1_30default_config_static_selectorELNS0_4arch9wavefront6targetE0EEEvT1_.has_dyn_sized_stack, 0
	.set _ZN7rocprim17ROCPRIM_400000_NS6detail17trampoline_kernelINS0_14default_configENS1_35adjacent_difference_config_selectorILb1ElEEZNS1_24adjacent_difference_implIS3_Lb1ELb0EPlS7_ZN2at6native12_GLOBAL__N_124unique_dim_cuda_templateIlEESt5tupleIJNS8_6TensorESD_SD_EERKSD_lbbbEUlllE1_EE10hipError_tPvRmT2_T3_mT4_P12ihipStream_tbEUlT_E_NS1_11comp_targetILNS1_3genE4ELNS1_11target_archE910ELNS1_3gpuE8ELNS1_3repE0EEENS1_30default_config_static_selectorELNS0_4arch9wavefront6targetE0EEEvT1_.has_recursion, 0
	.set _ZN7rocprim17ROCPRIM_400000_NS6detail17trampoline_kernelINS0_14default_configENS1_35adjacent_difference_config_selectorILb1ElEEZNS1_24adjacent_difference_implIS3_Lb1ELb0EPlS7_ZN2at6native12_GLOBAL__N_124unique_dim_cuda_templateIlEESt5tupleIJNS8_6TensorESD_SD_EERKSD_lbbbEUlllE1_EE10hipError_tPvRmT2_T3_mT4_P12ihipStream_tbEUlT_E_NS1_11comp_targetILNS1_3genE4ELNS1_11target_archE910ELNS1_3gpuE8ELNS1_3repE0EEENS1_30default_config_static_selectorELNS0_4arch9wavefront6targetE0EEEvT1_.has_indirect_call, 0
	.section	.AMDGPU.csdata,"",@progbits
; Kernel info:
; codeLenInByte = 0
; TotalNumSgprs: 0
; NumVgprs: 0
; ScratchSize: 0
; MemoryBound: 0
; FloatMode: 240
; IeeeMode: 1
; LDSByteSize: 0 bytes/workgroup (compile time only)
; SGPRBlocks: 0
; VGPRBlocks: 0
; NumSGPRsForWavesPerEU: 1
; NumVGPRsForWavesPerEU: 1
; NamedBarCnt: 0
; Occupancy: 16
; WaveLimiterHint : 0
; COMPUTE_PGM_RSRC2:SCRATCH_EN: 0
; COMPUTE_PGM_RSRC2:USER_SGPR: 2
; COMPUTE_PGM_RSRC2:TRAP_HANDLER: 0
; COMPUTE_PGM_RSRC2:TGID_X_EN: 1
; COMPUTE_PGM_RSRC2:TGID_Y_EN: 0
; COMPUTE_PGM_RSRC2:TGID_Z_EN: 0
; COMPUTE_PGM_RSRC2:TIDIG_COMP_CNT: 0
	.section	.text._ZN7rocprim17ROCPRIM_400000_NS6detail17trampoline_kernelINS0_14default_configENS1_35adjacent_difference_config_selectorILb1ElEEZNS1_24adjacent_difference_implIS3_Lb1ELb0EPlS7_ZN2at6native12_GLOBAL__N_124unique_dim_cuda_templateIlEESt5tupleIJNS8_6TensorESD_SD_EERKSD_lbbbEUlllE1_EE10hipError_tPvRmT2_T3_mT4_P12ihipStream_tbEUlT_E_NS1_11comp_targetILNS1_3genE3ELNS1_11target_archE908ELNS1_3gpuE7ELNS1_3repE0EEENS1_30default_config_static_selectorELNS0_4arch9wavefront6targetE0EEEvT1_,"axG",@progbits,_ZN7rocprim17ROCPRIM_400000_NS6detail17trampoline_kernelINS0_14default_configENS1_35adjacent_difference_config_selectorILb1ElEEZNS1_24adjacent_difference_implIS3_Lb1ELb0EPlS7_ZN2at6native12_GLOBAL__N_124unique_dim_cuda_templateIlEESt5tupleIJNS8_6TensorESD_SD_EERKSD_lbbbEUlllE1_EE10hipError_tPvRmT2_T3_mT4_P12ihipStream_tbEUlT_E_NS1_11comp_targetILNS1_3genE3ELNS1_11target_archE908ELNS1_3gpuE7ELNS1_3repE0EEENS1_30default_config_static_selectorELNS0_4arch9wavefront6targetE0EEEvT1_,comdat
	.globl	_ZN7rocprim17ROCPRIM_400000_NS6detail17trampoline_kernelINS0_14default_configENS1_35adjacent_difference_config_selectorILb1ElEEZNS1_24adjacent_difference_implIS3_Lb1ELb0EPlS7_ZN2at6native12_GLOBAL__N_124unique_dim_cuda_templateIlEESt5tupleIJNS8_6TensorESD_SD_EERKSD_lbbbEUlllE1_EE10hipError_tPvRmT2_T3_mT4_P12ihipStream_tbEUlT_E_NS1_11comp_targetILNS1_3genE3ELNS1_11target_archE908ELNS1_3gpuE7ELNS1_3repE0EEENS1_30default_config_static_selectorELNS0_4arch9wavefront6targetE0EEEvT1_ ; -- Begin function _ZN7rocprim17ROCPRIM_400000_NS6detail17trampoline_kernelINS0_14default_configENS1_35adjacent_difference_config_selectorILb1ElEEZNS1_24adjacent_difference_implIS3_Lb1ELb0EPlS7_ZN2at6native12_GLOBAL__N_124unique_dim_cuda_templateIlEESt5tupleIJNS8_6TensorESD_SD_EERKSD_lbbbEUlllE1_EE10hipError_tPvRmT2_T3_mT4_P12ihipStream_tbEUlT_E_NS1_11comp_targetILNS1_3genE3ELNS1_11target_archE908ELNS1_3gpuE7ELNS1_3repE0EEENS1_30default_config_static_selectorELNS0_4arch9wavefront6targetE0EEEvT1_
	.p2align	8
	.type	_ZN7rocprim17ROCPRIM_400000_NS6detail17trampoline_kernelINS0_14default_configENS1_35adjacent_difference_config_selectorILb1ElEEZNS1_24adjacent_difference_implIS3_Lb1ELb0EPlS7_ZN2at6native12_GLOBAL__N_124unique_dim_cuda_templateIlEESt5tupleIJNS8_6TensorESD_SD_EERKSD_lbbbEUlllE1_EE10hipError_tPvRmT2_T3_mT4_P12ihipStream_tbEUlT_E_NS1_11comp_targetILNS1_3genE3ELNS1_11target_archE908ELNS1_3gpuE7ELNS1_3repE0EEENS1_30default_config_static_selectorELNS0_4arch9wavefront6targetE0EEEvT1_,@function
_ZN7rocprim17ROCPRIM_400000_NS6detail17trampoline_kernelINS0_14default_configENS1_35adjacent_difference_config_selectorILb1ElEEZNS1_24adjacent_difference_implIS3_Lb1ELb0EPlS7_ZN2at6native12_GLOBAL__N_124unique_dim_cuda_templateIlEESt5tupleIJNS8_6TensorESD_SD_EERKSD_lbbbEUlllE1_EE10hipError_tPvRmT2_T3_mT4_P12ihipStream_tbEUlT_E_NS1_11comp_targetILNS1_3genE3ELNS1_11target_archE908ELNS1_3gpuE7ELNS1_3repE0EEENS1_30default_config_static_selectorELNS0_4arch9wavefront6targetE0EEEvT1_: ; @_ZN7rocprim17ROCPRIM_400000_NS6detail17trampoline_kernelINS0_14default_configENS1_35adjacent_difference_config_selectorILb1ElEEZNS1_24adjacent_difference_implIS3_Lb1ELb0EPlS7_ZN2at6native12_GLOBAL__N_124unique_dim_cuda_templateIlEESt5tupleIJNS8_6TensorESD_SD_EERKSD_lbbbEUlllE1_EE10hipError_tPvRmT2_T3_mT4_P12ihipStream_tbEUlT_E_NS1_11comp_targetILNS1_3genE3ELNS1_11target_archE908ELNS1_3gpuE7ELNS1_3repE0EEENS1_30default_config_static_selectorELNS0_4arch9wavefront6targetE0EEEvT1_
; %bb.0:
	.section	.rodata,"a",@progbits
	.p2align	6, 0x0
	.amdhsa_kernel _ZN7rocprim17ROCPRIM_400000_NS6detail17trampoline_kernelINS0_14default_configENS1_35adjacent_difference_config_selectorILb1ElEEZNS1_24adjacent_difference_implIS3_Lb1ELb0EPlS7_ZN2at6native12_GLOBAL__N_124unique_dim_cuda_templateIlEESt5tupleIJNS8_6TensorESD_SD_EERKSD_lbbbEUlllE1_EE10hipError_tPvRmT2_T3_mT4_P12ihipStream_tbEUlT_E_NS1_11comp_targetILNS1_3genE3ELNS1_11target_archE908ELNS1_3gpuE7ELNS1_3repE0EEENS1_30default_config_static_selectorELNS0_4arch9wavefront6targetE0EEEvT1_
		.amdhsa_group_segment_fixed_size 0
		.amdhsa_private_segment_fixed_size 0
		.amdhsa_kernarg_size 64
		.amdhsa_user_sgpr_count 2
		.amdhsa_user_sgpr_dispatch_ptr 0
		.amdhsa_user_sgpr_queue_ptr 0
		.amdhsa_user_sgpr_kernarg_segment_ptr 1
		.amdhsa_user_sgpr_dispatch_id 0
		.amdhsa_user_sgpr_kernarg_preload_length 0
		.amdhsa_user_sgpr_kernarg_preload_offset 0
		.amdhsa_user_sgpr_private_segment_size 0
		.amdhsa_wavefront_size32 1
		.amdhsa_uses_dynamic_stack 0
		.amdhsa_enable_private_segment 0
		.amdhsa_system_sgpr_workgroup_id_x 1
		.amdhsa_system_sgpr_workgroup_id_y 0
		.amdhsa_system_sgpr_workgroup_id_z 0
		.amdhsa_system_sgpr_workgroup_info 0
		.amdhsa_system_vgpr_workitem_id 0
		.amdhsa_next_free_vgpr 1
		.amdhsa_next_free_sgpr 1
		.amdhsa_named_barrier_count 0
		.amdhsa_reserve_vcc 0
		.amdhsa_float_round_mode_32 0
		.amdhsa_float_round_mode_16_64 0
		.amdhsa_float_denorm_mode_32 3
		.amdhsa_float_denorm_mode_16_64 3
		.amdhsa_fp16_overflow 0
		.amdhsa_memory_ordered 1
		.amdhsa_forward_progress 1
		.amdhsa_inst_pref_size 0
		.amdhsa_round_robin_scheduling 0
		.amdhsa_exception_fp_ieee_invalid_op 0
		.amdhsa_exception_fp_denorm_src 0
		.amdhsa_exception_fp_ieee_div_zero 0
		.amdhsa_exception_fp_ieee_overflow 0
		.amdhsa_exception_fp_ieee_underflow 0
		.amdhsa_exception_fp_ieee_inexact 0
		.amdhsa_exception_int_div_zero 0
	.end_amdhsa_kernel
	.section	.text._ZN7rocprim17ROCPRIM_400000_NS6detail17trampoline_kernelINS0_14default_configENS1_35adjacent_difference_config_selectorILb1ElEEZNS1_24adjacent_difference_implIS3_Lb1ELb0EPlS7_ZN2at6native12_GLOBAL__N_124unique_dim_cuda_templateIlEESt5tupleIJNS8_6TensorESD_SD_EERKSD_lbbbEUlllE1_EE10hipError_tPvRmT2_T3_mT4_P12ihipStream_tbEUlT_E_NS1_11comp_targetILNS1_3genE3ELNS1_11target_archE908ELNS1_3gpuE7ELNS1_3repE0EEENS1_30default_config_static_selectorELNS0_4arch9wavefront6targetE0EEEvT1_,"axG",@progbits,_ZN7rocprim17ROCPRIM_400000_NS6detail17trampoline_kernelINS0_14default_configENS1_35adjacent_difference_config_selectorILb1ElEEZNS1_24adjacent_difference_implIS3_Lb1ELb0EPlS7_ZN2at6native12_GLOBAL__N_124unique_dim_cuda_templateIlEESt5tupleIJNS8_6TensorESD_SD_EERKSD_lbbbEUlllE1_EE10hipError_tPvRmT2_T3_mT4_P12ihipStream_tbEUlT_E_NS1_11comp_targetILNS1_3genE3ELNS1_11target_archE908ELNS1_3gpuE7ELNS1_3repE0EEENS1_30default_config_static_selectorELNS0_4arch9wavefront6targetE0EEEvT1_,comdat
.Lfunc_end559:
	.size	_ZN7rocprim17ROCPRIM_400000_NS6detail17trampoline_kernelINS0_14default_configENS1_35adjacent_difference_config_selectorILb1ElEEZNS1_24adjacent_difference_implIS3_Lb1ELb0EPlS7_ZN2at6native12_GLOBAL__N_124unique_dim_cuda_templateIlEESt5tupleIJNS8_6TensorESD_SD_EERKSD_lbbbEUlllE1_EE10hipError_tPvRmT2_T3_mT4_P12ihipStream_tbEUlT_E_NS1_11comp_targetILNS1_3genE3ELNS1_11target_archE908ELNS1_3gpuE7ELNS1_3repE0EEENS1_30default_config_static_selectorELNS0_4arch9wavefront6targetE0EEEvT1_, .Lfunc_end559-_ZN7rocprim17ROCPRIM_400000_NS6detail17trampoline_kernelINS0_14default_configENS1_35adjacent_difference_config_selectorILb1ElEEZNS1_24adjacent_difference_implIS3_Lb1ELb0EPlS7_ZN2at6native12_GLOBAL__N_124unique_dim_cuda_templateIlEESt5tupleIJNS8_6TensorESD_SD_EERKSD_lbbbEUlllE1_EE10hipError_tPvRmT2_T3_mT4_P12ihipStream_tbEUlT_E_NS1_11comp_targetILNS1_3genE3ELNS1_11target_archE908ELNS1_3gpuE7ELNS1_3repE0EEENS1_30default_config_static_selectorELNS0_4arch9wavefront6targetE0EEEvT1_
                                        ; -- End function
	.set _ZN7rocprim17ROCPRIM_400000_NS6detail17trampoline_kernelINS0_14default_configENS1_35adjacent_difference_config_selectorILb1ElEEZNS1_24adjacent_difference_implIS3_Lb1ELb0EPlS7_ZN2at6native12_GLOBAL__N_124unique_dim_cuda_templateIlEESt5tupleIJNS8_6TensorESD_SD_EERKSD_lbbbEUlllE1_EE10hipError_tPvRmT2_T3_mT4_P12ihipStream_tbEUlT_E_NS1_11comp_targetILNS1_3genE3ELNS1_11target_archE908ELNS1_3gpuE7ELNS1_3repE0EEENS1_30default_config_static_selectorELNS0_4arch9wavefront6targetE0EEEvT1_.num_vgpr, 0
	.set _ZN7rocprim17ROCPRIM_400000_NS6detail17trampoline_kernelINS0_14default_configENS1_35adjacent_difference_config_selectorILb1ElEEZNS1_24adjacent_difference_implIS3_Lb1ELb0EPlS7_ZN2at6native12_GLOBAL__N_124unique_dim_cuda_templateIlEESt5tupleIJNS8_6TensorESD_SD_EERKSD_lbbbEUlllE1_EE10hipError_tPvRmT2_T3_mT4_P12ihipStream_tbEUlT_E_NS1_11comp_targetILNS1_3genE3ELNS1_11target_archE908ELNS1_3gpuE7ELNS1_3repE0EEENS1_30default_config_static_selectorELNS0_4arch9wavefront6targetE0EEEvT1_.num_agpr, 0
	.set _ZN7rocprim17ROCPRIM_400000_NS6detail17trampoline_kernelINS0_14default_configENS1_35adjacent_difference_config_selectorILb1ElEEZNS1_24adjacent_difference_implIS3_Lb1ELb0EPlS7_ZN2at6native12_GLOBAL__N_124unique_dim_cuda_templateIlEESt5tupleIJNS8_6TensorESD_SD_EERKSD_lbbbEUlllE1_EE10hipError_tPvRmT2_T3_mT4_P12ihipStream_tbEUlT_E_NS1_11comp_targetILNS1_3genE3ELNS1_11target_archE908ELNS1_3gpuE7ELNS1_3repE0EEENS1_30default_config_static_selectorELNS0_4arch9wavefront6targetE0EEEvT1_.numbered_sgpr, 0
	.set _ZN7rocprim17ROCPRIM_400000_NS6detail17trampoline_kernelINS0_14default_configENS1_35adjacent_difference_config_selectorILb1ElEEZNS1_24adjacent_difference_implIS3_Lb1ELb0EPlS7_ZN2at6native12_GLOBAL__N_124unique_dim_cuda_templateIlEESt5tupleIJNS8_6TensorESD_SD_EERKSD_lbbbEUlllE1_EE10hipError_tPvRmT2_T3_mT4_P12ihipStream_tbEUlT_E_NS1_11comp_targetILNS1_3genE3ELNS1_11target_archE908ELNS1_3gpuE7ELNS1_3repE0EEENS1_30default_config_static_selectorELNS0_4arch9wavefront6targetE0EEEvT1_.num_named_barrier, 0
	.set _ZN7rocprim17ROCPRIM_400000_NS6detail17trampoline_kernelINS0_14default_configENS1_35adjacent_difference_config_selectorILb1ElEEZNS1_24adjacent_difference_implIS3_Lb1ELb0EPlS7_ZN2at6native12_GLOBAL__N_124unique_dim_cuda_templateIlEESt5tupleIJNS8_6TensorESD_SD_EERKSD_lbbbEUlllE1_EE10hipError_tPvRmT2_T3_mT4_P12ihipStream_tbEUlT_E_NS1_11comp_targetILNS1_3genE3ELNS1_11target_archE908ELNS1_3gpuE7ELNS1_3repE0EEENS1_30default_config_static_selectorELNS0_4arch9wavefront6targetE0EEEvT1_.private_seg_size, 0
	.set _ZN7rocprim17ROCPRIM_400000_NS6detail17trampoline_kernelINS0_14default_configENS1_35adjacent_difference_config_selectorILb1ElEEZNS1_24adjacent_difference_implIS3_Lb1ELb0EPlS7_ZN2at6native12_GLOBAL__N_124unique_dim_cuda_templateIlEESt5tupleIJNS8_6TensorESD_SD_EERKSD_lbbbEUlllE1_EE10hipError_tPvRmT2_T3_mT4_P12ihipStream_tbEUlT_E_NS1_11comp_targetILNS1_3genE3ELNS1_11target_archE908ELNS1_3gpuE7ELNS1_3repE0EEENS1_30default_config_static_selectorELNS0_4arch9wavefront6targetE0EEEvT1_.uses_vcc, 0
	.set _ZN7rocprim17ROCPRIM_400000_NS6detail17trampoline_kernelINS0_14default_configENS1_35adjacent_difference_config_selectorILb1ElEEZNS1_24adjacent_difference_implIS3_Lb1ELb0EPlS7_ZN2at6native12_GLOBAL__N_124unique_dim_cuda_templateIlEESt5tupleIJNS8_6TensorESD_SD_EERKSD_lbbbEUlllE1_EE10hipError_tPvRmT2_T3_mT4_P12ihipStream_tbEUlT_E_NS1_11comp_targetILNS1_3genE3ELNS1_11target_archE908ELNS1_3gpuE7ELNS1_3repE0EEENS1_30default_config_static_selectorELNS0_4arch9wavefront6targetE0EEEvT1_.uses_flat_scratch, 0
	.set _ZN7rocprim17ROCPRIM_400000_NS6detail17trampoline_kernelINS0_14default_configENS1_35adjacent_difference_config_selectorILb1ElEEZNS1_24adjacent_difference_implIS3_Lb1ELb0EPlS7_ZN2at6native12_GLOBAL__N_124unique_dim_cuda_templateIlEESt5tupleIJNS8_6TensorESD_SD_EERKSD_lbbbEUlllE1_EE10hipError_tPvRmT2_T3_mT4_P12ihipStream_tbEUlT_E_NS1_11comp_targetILNS1_3genE3ELNS1_11target_archE908ELNS1_3gpuE7ELNS1_3repE0EEENS1_30default_config_static_selectorELNS0_4arch9wavefront6targetE0EEEvT1_.has_dyn_sized_stack, 0
	.set _ZN7rocprim17ROCPRIM_400000_NS6detail17trampoline_kernelINS0_14default_configENS1_35adjacent_difference_config_selectorILb1ElEEZNS1_24adjacent_difference_implIS3_Lb1ELb0EPlS7_ZN2at6native12_GLOBAL__N_124unique_dim_cuda_templateIlEESt5tupleIJNS8_6TensorESD_SD_EERKSD_lbbbEUlllE1_EE10hipError_tPvRmT2_T3_mT4_P12ihipStream_tbEUlT_E_NS1_11comp_targetILNS1_3genE3ELNS1_11target_archE908ELNS1_3gpuE7ELNS1_3repE0EEENS1_30default_config_static_selectorELNS0_4arch9wavefront6targetE0EEEvT1_.has_recursion, 0
	.set _ZN7rocprim17ROCPRIM_400000_NS6detail17trampoline_kernelINS0_14default_configENS1_35adjacent_difference_config_selectorILb1ElEEZNS1_24adjacent_difference_implIS3_Lb1ELb0EPlS7_ZN2at6native12_GLOBAL__N_124unique_dim_cuda_templateIlEESt5tupleIJNS8_6TensorESD_SD_EERKSD_lbbbEUlllE1_EE10hipError_tPvRmT2_T3_mT4_P12ihipStream_tbEUlT_E_NS1_11comp_targetILNS1_3genE3ELNS1_11target_archE908ELNS1_3gpuE7ELNS1_3repE0EEENS1_30default_config_static_selectorELNS0_4arch9wavefront6targetE0EEEvT1_.has_indirect_call, 0
	.section	.AMDGPU.csdata,"",@progbits
; Kernel info:
; codeLenInByte = 0
; TotalNumSgprs: 0
; NumVgprs: 0
; ScratchSize: 0
; MemoryBound: 0
; FloatMode: 240
; IeeeMode: 1
; LDSByteSize: 0 bytes/workgroup (compile time only)
; SGPRBlocks: 0
; VGPRBlocks: 0
; NumSGPRsForWavesPerEU: 1
; NumVGPRsForWavesPerEU: 1
; NamedBarCnt: 0
; Occupancy: 16
; WaveLimiterHint : 0
; COMPUTE_PGM_RSRC2:SCRATCH_EN: 0
; COMPUTE_PGM_RSRC2:USER_SGPR: 2
; COMPUTE_PGM_RSRC2:TRAP_HANDLER: 0
; COMPUTE_PGM_RSRC2:TGID_X_EN: 1
; COMPUTE_PGM_RSRC2:TGID_Y_EN: 0
; COMPUTE_PGM_RSRC2:TGID_Z_EN: 0
; COMPUTE_PGM_RSRC2:TIDIG_COMP_CNT: 0
	.section	.text._ZN7rocprim17ROCPRIM_400000_NS6detail17trampoline_kernelINS0_14default_configENS1_35adjacent_difference_config_selectorILb1ElEEZNS1_24adjacent_difference_implIS3_Lb1ELb0EPlS7_ZN2at6native12_GLOBAL__N_124unique_dim_cuda_templateIlEESt5tupleIJNS8_6TensorESD_SD_EERKSD_lbbbEUlllE1_EE10hipError_tPvRmT2_T3_mT4_P12ihipStream_tbEUlT_E_NS1_11comp_targetILNS1_3genE2ELNS1_11target_archE906ELNS1_3gpuE6ELNS1_3repE0EEENS1_30default_config_static_selectorELNS0_4arch9wavefront6targetE0EEEvT1_,"axG",@progbits,_ZN7rocprim17ROCPRIM_400000_NS6detail17trampoline_kernelINS0_14default_configENS1_35adjacent_difference_config_selectorILb1ElEEZNS1_24adjacent_difference_implIS3_Lb1ELb0EPlS7_ZN2at6native12_GLOBAL__N_124unique_dim_cuda_templateIlEESt5tupleIJNS8_6TensorESD_SD_EERKSD_lbbbEUlllE1_EE10hipError_tPvRmT2_T3_mT4_P12ihipStream_tbEUlT_E_NS1_11comp_targetILNS1_3genE2ELNS1_11target_archE906ELNS1_3gpuE6ELNS1_3repE0EEENS1_30default_config_static_selectorELNS0_4arch9wavefront6targetE0EEEvT1_,comdat
	.globl	_ZN7rocprim17ROCPRIM_400000_NS6detail17trampoline_kernelINS0_14default_configENS1_35adjacent_difference_config_selectorILb1ElEEZNS1_24adjacent_difference_implIS3_Lb1ELb0EPlS7_ZN2at6native12_GLOBAL__N_124unique_dim_cuda_templateIlEESt5tupleIJNS8_6TensorESD_SD_EERKSD_lbbbEUlllE1_EE10hipError_tPvRmT2_T3_mT4_P12ihipStream_tbEUlT_E_NS1_11comp_targetILNS1_3genE2ELNS1_11target_archE906ELNS1_3gpuE6ELNS1_3repE0EEENS1_30default_config_static_selectorELNS0_4arch9wavefront6targetE0EEEvT1_ ; -- Begin function _ZN7rocprim17ROCPRIM_400000_NS6detail17trampoline_kernelINS0_14default_configENS1_35adjacent_difference_config_selectorILb1ElEEZNS1_24adjacent_difference_implIS3_Lb1ELb0EPlS7_ZN2at6native12_GLOBAL__N_124unique_dim_cuda_templateIlEESt5tupleIJNS8_6TensorESD_SD_EERKSD_lbbbEUlllE1_EE10hipError_tPvRmT2_T3_mT4_P12ihipStream_tbEUlT_E_NS1_11comp_targetILNS1_3genE2ELNS1_11target_archE906ELNS1_3gpuE6ELNS1_3repE0EEENS1_30default_config_static_selectorELNS0_4arch9wavefront6targetE0EEEvT1_
	.p2align	8
	.type	_ZN7rocprim17ROCPRIM_400000_NS6detail17trampoline_kernelINS0_14default_configENS1_35adjacent_difference_config_selectorILb1ElEEZNS1_24adjacent_difference_implIS3_Lb1ELb0EPlS7_ZN2at6native12_GLOBAL__N_124unique_dim_cuda_templateIlEESt5tupleIJNS8_6TensorESD_SD_EERKSD_lbbbEUlllE1_EE10hipError_tPvRmT2_T3_mT4_P12ihipStream_tbEUlT_E_NS1_11comp_targetILNS1_3genE2ELNS1_11target_archE906ELNS1_3gpuE6ELNS1_3repE0EEENS1_30default_config_static_selectorELNS0_4arch9wavefront6targetE0EEEvT1_,@function
_ZN7rocprim17ROCPRIM_400000_NS6detail17trampoline_kernelINS0_14default_configENS1_35adjacent_difference_config_selectorILb1ElEEZNS1_24adjacent_difference_implIS3_Lb1ELb0EPlS7_ZN2at6native12_GLOBAL__N_124unique_dim_cuda_templateIlEESt5tupleIJNS8_6TensorESD_SD_EERKSD_lbbbEUlllE1_EE10hipError_tPvRmT2_T3_mT4_P12ihipStream_tbEUlT_E_NS1_11comp_targetILNS1_3genE2ELNS1_11target_archE906ELNS1_3gpuE6ELNS1_3repE0EEENS1_30default_config_static_selectorELNS0_4arch9wavefront6targetE0EEEvT1_: ; @_ZN7rocprim17ROCPRIM_400000_NS6detail17trampoline_kernelINS0_14default_configENS1_35adjacent_difference_config_selectorILb1ElEEZNS1_24adjacent_difference_implIS3_Lb1ELb0EPlS7_ZN2at6native12_GLOBAL__N_124unique_dim_cuda_templateIlEESt5tupleIJNS8_6TensorESD_SD_EERKSD_lbbbEUlllE1_EE10hipError_tPvRmT2_T3_mT4_P12ihipStream_tbEUlT_E_NS1_11comp_targetILNS1_3genE2ELNS1_11target_archE906ELNS1_3gpuE6ELNS1_3repE0EEENS1_30default_config_static_selectorELNS0_4arch9wavefront6targetE0EEEvT1_
; %bb.0:
	.section	.rodata,"a",@progbits
	.p2align	6, 0x0
	.amdhsa_kernel _ZN7rocprim17ROCPRIM_400000_NS6detail17trampoline_kernelINS0_14default_configENS1_35adjacent_difference_config_selectorILb1ElEEZNS1_24adjacent_difference_implIS3_Lb1ELb0EPlS7_ZN2at6native12_GLOBAL__N_124unique_dim_cuda_templateIlEESt5tupleIJNS8_6TensorESD_SD_EERKSD_lbbbEUlllE1_EE10hipError_tPvRmT2_T3_mT4_P12ihipStream_tbEUlT_E_NS1_11comp_targetILNS1_3genE2ELNS1_11target_archE906ELNS1_3gpuE6ELNS1_3repE0EEENS1_30default_config_static_selectorELNS0_4arch9wavefront6targetE0EEEvT1_
		.amdhsa_group_segment_fixed_size 0
		.amdhsa_private_segment_fixed_size 0
		.amdhsa_kernarg_size 64
		.amdhsa_user_sgpr_count 2
		.amdhsa_user_sgpr_dispatch_ptr 0
		.amdhsa_user_sgpr_queue_ptr 0
		.amdhsa_user_sgpr_kernarg_segment_ptr 1
		.amdhsa_user_sgpr_dispatch_id 0
		.amdhsa_user_sgpr_kernarg_preload_length 0
		.amdhsa_user_sgpr_kernarg_preload_offset 0
		.amdhsa_user_sgpr_private_segment_size 0
		.amdhsa_wavefront_size32 1
		.amdhsa_uses_dynamic_stack 0
		.amdhsa_enable_private_segment 0
		.amdhsa_system_sgpr_workgroup_id_x 1
		.amdhsa_system_sgpr_workgroup_id_y 0
		.amdhsa_system_sgpr_workgroup_id_z 0
		.amdhsa_system_sgpr_workgroup_info 0
		.amdhsa_system_vgpr_workitem_id 0
		.amdhsa_next_free_vgpr 1
		.amdhsa_next_free_sgpr 1
		.amdhsa_named_barrier_count 0
		.amdhsa_reserve_vcc 0
		.amdhsa_float_round_mode_32 0
		.amdhsa_float_round_mode_16_64 0
		.amdhsa_float_denorm_mode_32 3
		.amdhsa_float_denorm_mode_16_64 3
		.amdhsa_fp16_overflow 0
		.amdhsa_memory_ordered 1
		.amdhsa_forward_progress 1
		.amdhsa_inst_pref_size 0
		.amdhsa_round_robin_scheduling 0
		.amdhsa_exception_fp_ieee_invalid_op 0
		.amdhsa_exception_fp_denorm_src 0
		.amdhsa_exception_fp_ieee_div_zero 0
		.amdhsa_exception_fp_ieee_overflow 0
		.amdhsa_exception_fp_ieee_underflow 0
		.amdhsa_exception_fp_ieee_inexact 0
		.amdhsa_exception_int_div_zero 0
	.end_amdhsa_kernel
	.section	.text._ZN7rocprim17ROCPRIM_400000_NS6detail17trampoline_kernelINS0_14default_configENS1_35adjacent_difference_config_selectorILb1ElEEZNS1_24adjacent_difference_implIS3_Lb1ELb0EPlS7_ZN2at6native12_GLOBAL__N_124unique_dim_cuda_templateIlEESt5tupleIJNS8_6TensorESD_SD_EERKSD_lbbbEUlllE1_EE10hipError_tPvRmT2_T3_mT4_P12ihipStream_tbEUlT_E_NS1_11comp_targetILNS1_3genE2ELNS1_11target_archE906ELNS1_3gpuE6ELNS1_3repE0EEENS1_30default_config_static_selectorELNS0_4arch9wavefront6targetE0EEEvT1_,"axG",@progbits,_ZN7rocprim17ROCPRIM_400000_NS6detail17trampoline_kernelINS0_14default_configENS1_35adjacent_difference_config_selectorILb1ElEEZNS1_24adjacent_difference_implIS3_Lb1ELb0EPlS7_ZN2at6native12_GLOBAL__N_124unique_dim_cuda_templateIlEESt5tupleIJNS8_6TensorESD_SD_EERKSD_lbbbEUlllE1_EE10hipError_tPvRmT2_T3_mT4_P12ihipStream_tbEUlT_E_NS1_11comp_targetILNS1_3genE2ELNS1_11target_archE906ELNS1_3gpuE6ELNS1_3repE0EEENS1_30default_config_static_selectorELNS0_4arch9wavefront6targetE0EEEvT1_,comdat
.Lfunc_end560:
	.size	_ZN7rocprim17ROCPRIM_400000_NS6detail17trampoline_kernelINS0_14default_configENS1_35adjacent_difference_config_selectorILb1ElEEZNS1_24adjacent_difference_implIS3_Lb1ELb0EPlS7_ZN2at6native12_GLOBAL__N_124unique_dim_cuda_templateIlEESt5tupleIJNS8_6TensorESD_SD_EERKSD_lbbbEUlllE1_EE10hipError_tPvRmT2_T3_mT4_P12ihipStream_tbEUlT_E_NS1_11comp_targetILNS1_3genE2ELNS1_11target_archE906ELNS1_3gpuE6ELNS1_3repE0EEENS1_30default_config_static_selectorELNS0_4arch9wavefront6targetE0EEEvT1_, .Lfunc_end560-_ZN7rocprim17ROCPRIM_400000_NS6detail17trampoline_kernelINS0_14default_configENS1_35adjacent_difference_config_selectorILb1ElEEZNS1_24adjacent_difference_implIS3_Lb1ELb0EPlS7_ZN2at6native12_GLOBAL__N_124unique_dim_cuda_templateIlEESt5tupleIJNS8_6TensorESD_SD_EERKSD_lbbbEUlllE1_EE10hipError_tPvRmT2_T3_mT4_P12ihipStream_tbEUlT_E_NS1_11comp_targetILNS1_3genE2ELNS1_11target_archE906ELNS1_3gpuE6ELNS1_3repE0EEENS1_30default_config_static_selectorELNS0_4arch9wavefront6targetE0EEEvT1_
                                        ; -- End function
	.set _ZN7rocprim17ROCPRIM_400000_NS6detail17trampoline_kernelINS0_14default_configENS1_35adjacent_difference_config_selectorILb1ElEEZNS1_24adjacent_difference_implIS3_Lb1ELb0EPlS7_ZN2at6native12_GLOBAL__N_124unique_dim_cuda_templateIlEESt5tupleIJNS8_6TensorESD_SD_EERKSD_lbbbEUlllE1_EE10hipError_tPvRmT2_T3_mT4_P12ihipStream_tbEUlT_E_NS1_11comp_targetILNS1_3genE2ELNS1_11target_archE906ELNS1_3gpuE6ELNS1_3repE0EEENS1_30default_config_static_selectorELNS0_4arch9wavefront6targetE0EEEvT1_.num_vgpr, 0
	.set _ZN7rocprim17ROCPRIM_400000_NS6detail17trampoline_kernelINS0_14default_configENS1_35adjacent_difference_config_selectorILb1ElEEZNS1_24adjacent_difference_implIS3_Lb1ELb0EPlS7_ZN2at6native12_GLOBAL__N_124unique_dim_cuda_templateIlEESt5tupleIJNS8_6TensorESD_SD_EERKSD_lbbbEUlllE1_EE10hipError_tPvRmT2_T3_mT4_P12ihipStream_tbEUlT_E_NS1_11comp_targetILNS1_3genE2ELNS1_11target_archE906ELNS1_3gpuE6ELNS1_3repE0EEENS1_30default_config_static_selectorELNS0_4arch9wavefront6targetE0EEEvT1_.num_agpr, 0
	.set _ZN7rocprim17ROCPRIM_400000_NS6detail17trampoline_kernelINS0_14default_configENS1_35adjacent_difference_config_selectorILb1ElEEZNS1_24adjacent_difference_implIS3_Lb1ELb0EPlS7_ZN2at6native12_GLOBAL__N_124unique_dim_cuda_templateIlEESt5tupleIJNS8_6TensorESD_SD_EERKSD_lbbbEUlllE1_EE10hipError_tPvRmT2_T3_mT4_P12ihipStream_tbEUlT_E_NS1_11comp_targetILNS1_3genE2ELNS1_11target_archE906ELNS1_3gpuE6ELNS1_3repE0EEENS1_30default_config_static_selectorELNS0_4arch9wavefront6targetE0EEEvT1_.numbered_sgpr, 0
	.set _ZN7rocprim17ROCPRIM_400000_NS6detail17trampoline_kernelINS0_14default_configENS1_35adjacent_difference_config_selectorILb1ElEEZNS1_24adjacent_difference_implIS3_Lb1ELb0EPlS7_ZN2at6native12_GLOBAL__N_124unique_dim_cuda_templateIlEESt5tupleIJNS8_6TensorESD_SD_EERKSD_lbbbEUlllE1_EE10hipError_tPvRmT2_T3_mT4_P12ihipStream_tbEUlT_E_NS1_11comp_targetILNS1_3genE2ELNS1_11target_archE906ELNS1_3gpuE6ELNS1_3repE0EEENS1_30default_config_static_selectorELNS0_4arch9wavefront6targetE0EEEvT1_.num_named_barrier, 0
	.set _ZN7rocprim17ROCPRIM_400000_NS6detail17trampoline_kernelINS0_14default_configENS1_35adjacent_difference_config_selectorILb1ElEEZNS1_24adjacent_difference_implIS3_Lb1ELb0EPlS7_ZN2at6native12_GLOBAL__N_124unique_dim_cuda_templateIlEESt5tupleIJNS8_6TensorESD_SD_EERKSD_lbbbEUlllE1_EE10hipError_tPvRmT2_T3_mT4_P12ihipStream_tbEUlT_E_NS1_11comp_targetILNS1_3genE2ELNS1_11target_archE906ELNS1_3gpuE6ELNS1_3repE0EEENS1_30default_config_static_selectorELNS0_4arch9wavefront6targetE0EEEvT1_.private_seg_size, 0
	.set _ZN7rocprim17ROCPRIM_400000_NS6detail17trampoline_kernelINS0_14default_configENS1_35adjacent_difference_config_selectorILb1ElEEZNS1_24adjacent_difference_implIS3_Lb1ELb0EPlS7_ZN2at6native12_GLOBAL__N_124unique_dim_cuda_templateIlEESt5tupleIJNS8_6TensorESD_SD_EERKSD_lbbbEUlllE1_EE10hipError_tPvRmT2_T3_mT4_P12ihipStream_tbEUlT_E_NS1_11comp_targetILNS1_3genE2ELNS1_11target_archE906ELNS1_3gpuE6ELNS1_3repE0EEENS1_30default_config_static_selectorELNS0_4arch9wavefront6targetE0EEEvT1_.uses_vcc, 0
	.set _ZN7rocprim17ROCPRIM_400000_NS6detail17trampoline_kernelINS0_14default_configENS1_35adjacent_difference_config_selectorILb1ElEEZNS1_24adjacent_difference_implIS3_Lb1ELb0EPlS7_ZN2at6native12_GLOBAL__N_124unique_dim_cuda_templateIlEESt5tupleIJNS8_6TensorESD_SD_EERKSD_lbbbEUlllE1_EE10hipError_tPvRmT2_T3_mT4_P12ihipStream_tbEUlT_E_NS1_11comp_targetILNS1_3genE2ELNS1_11target_archE906ELNS1_3gpuE6ELNS1_3repE0EEENS1_30default_config_static_selectorELNS0_4arch9wavefront6targetE0EEEvT1_.uses_flat_scratch, 0
	.set _ZN7rocprim17ROCPRIM_400000_NS6detail17trampoline_kernelINS0_14default_configENS1_35adjacent_difference_config_selectorILb1ElEEZNS1_24adjacent_difference_implIS3_Lb1ELb0EPlS7_ZN2at6native12_GLOBAL__N_124unique_dim_cuda_templateIlEESt5tupleIJNS8_6TensorESD_SD_EERKSD_lbbbEUlllE1_EE10hipError_tPvRmT2_T3_mT4_P12ihipStream_tbEUlT_E_NS1_11comp_targetILNS1_3genE2ELNS1_11target_archE906ELNS1_3gpuE6ELNS1_3repE0EEENS1_30default_config_static_selectorELNS0_4arch9wavefront6targetE0EEEvT1_.has_dyn_sized_stack, 0
	.set _ZN7rocprim17ROCPRIM_400000_NS6detail17trampoline_kernelINS0_14default_configENS1_35adjacent_difference_config_selectorILb1ElEEZNS1_24adjacent_difference_implIS3_Lb1ELb0EPlS7_ZN2at6native12_GLOBAL__N_124unique_dim_cuda_templateIlEESt5tupleIJNS8_6TensorESD_SD_EERKSD_lbbbEUlllE1_EE10hipError_tPvRmT2_T3_mT4_P12ihipStream_tbEUlT_E_NS1_11comp_targetILNS1_3genE2ELNS1_11target_archE906ELNS1_3gpuE6ELNS1_3repE0EEENS1_30default_config_static_selectorELNS0_4arch9wavefront6targetE0EEEvT1_.has_recursion, 0
	.set _ZN7rocprim17ROCPRIM_400000_NS6detail17trampoline_kernelINS0_14default_configENS1_35adjacent_difference_config_selectorILb1ElEEZNS1_24adjacent_difference_implIS3_Lb1ELb0EPlS7_ZN2at6native12_GLOBAL__N_124unique_dim_cuda_templateIlEESt5tupleIJNS8_6TensorESD_SD_EERKSD_lbbbEUlllE1_EE10hipError_tPvRmT2_T3_mT4_P12ihipStream_tbEUlT_E_NS1_11comp_targetILNS1_3genE2ELNS1_11target_archE906ELNS1_3gpuE6ELNS1_3repE0EEENS1_30default_config_static_selectorELNS0_4arch9wavefront6targetE0EEEvT1_.has_indirect_call, 0
	.section	.AMDGPU.csdata,"",@progbits
; Kernel info:
; codeLenInByte = 0
; TotalNumSgprs: 0
; NumVgprs: 0
; ScratchSize: 0
; MemoryBound: 0
; FloatMode: 240
; IeeeMode: 1
; LDSByteSize: 0 bytes/workgroup (compile time only)
; SGPRBlocks: 0
; VGPRBlocks: 0
; NumSGPRsForWavesPerEU: 1
; NumVGPRsForWavesPerEU: 1
; NamedBarCnt: 0
; Occupancy: 16
; WaveLimiterHint : 0
; COMPUTE_PGM_RSRC2:SCRATCH_EN: 0
; COMPUTE_PGM_RSRC2:USER_SGPR: 2
; COMPUTE_PGM_RSRC2:TRAP_HANDLER: 0
; COMPUTE_PGM_RSRC2:TGID_X_EN: 1
; COMPUTE_PGM_RSRC2:TGID_Y_EN: 0
; COMPUTE_PGM_RSRC2:TGID_Z_EN: 0
; COMPUTE_PGM_RSRC2:TIDIG_COMP_CNT: 0
	.section	.text._ZN7rocprim17ROCPRIM_400000_NS6detail17trampoline_kernelINS0_14default_configENS1_35adjacent_difference_config_selectorILb1ElEEZNS1_24adjacent_difference_implIS3_Lb1ELb0EPlS7_ZN2at6native12_GLOBAL__N_124unique_dim_cuda_templateIlEESt5tupleIJNS8_6TensorESD_SD_EERKSD_lbbbEUlllE1_EE10hipError_tPvRmT2_T3_mT4_P12ihipStream_tbEUlT_E_NS1_11comp_targetILNS1_3genE9ELNS1_11target_archE1100ELNS1_3gpuE3ELNS1_3repE0EEENS1_30default_config_static_selectorELNS0_4arch9wavefront6targetE0EEEvT1_,"axG",@progbits,_ZN7rocprim17ROCPRIM_400000_NS6detail17trampoline_kernelINS0_14default_configENS1_35adjacent_difference_config_selectorILb1ElEEZNS1_24adjacent_difference_implIS3_Lb1ELb0EPlS7_ZN2at6native12_GLOBAL__N_124unique_dim_cuda_templateIlEESt5tupleIJNS8_6TensorESD_SD_EERKSD_lbbbEUlllE1_EE10hipError_tPvRmT2_T3_mT4_P12ihipStream_tbEUlT_E_NS1_11comp_targetILNS1_3genE9ELNS1_11target_archE1100ELNS1_3gpuE3ELNS1_3repE0EEENS1_30default_config_static_selectorELNS0_4arch9wavefront6targetE0EEEvT1_,comdat
	.globl	_ZN7rocprim17ROCPRIM_400000_NS6detail17trampoline_kernelINS0_14default_configENS1_35adjacent_difference_config_selectorILb1ElEEZNS1_24adjacent_difference_implIS3_Lb1ELb0EPlS7_ZN2at6native12_GLOBAL__N_124unique_dim_cuda_templateIlEESt5tupleIJNS8_6TensorESD_SD_EERKSD_lbbbEUlllE1_EE10hipError_tPvRmT2_T3_mT4_P12ihipStream_tbEUlT_E_NS1_11comp_targetILNS1_3genE9ELNS1_11target_archE1100ELNS1_3gpuE3ELNS1_3repE0EEENS1_30default_config_static_selectorELNS0_4arch9wavefront6targetE0EEEvT1_ ; -- Begin function _ZN7rocprim17ROCPRIM_400000_NS6detail17trampoline_kernelINS0_14default_configENS1_35adjacent_difference_config_selectorILb1ElEEZNS1_24adjacent_difference_implIS3_Lb1ELb0EPlS7_ZN2at6native12_GLOBAL__N_124unique_dim_cuda_templateIlEESt5tupleIJNS8_6TensorESD_SD_EERKSD_lbbbEUlllE1_EE10hipError_tPvRmT2_T3_mT4_P12ihipStream_tbEUlT_E_NS1_11comp_targetILNS1_3genE9ELNS1_11target_archE1100ELNS1_3gpuE3ELNS1_3repE0EEENS1_30default_config_static_selectorELNS0_4arch9wavefront6targetE0EEEvT1_
	.p2align	8
	.type	_ZN7rocprim17ROCPRIM_400000_NS6detail17trampoline_kernelINS0_14default_configENS1_35adjacent_difference_config_selectorILb1ElEEZNS1_24adjacent_difference_implIS3_Lb1ELb0EPlS7_ZN2at6native12_GLOBAL__N_124unique_dim_cuda_templateIlEESt5tupleIJNS8_6TensorESD_SD_EERKSD_lbbbEUlllE1_EE10hipError_tPvRmT2_T3_mT4_P12ihipStream_tbEUlT_E_NS1_11comp_targetILNS1_3genE9ELNS1_11target_archE1100ELNS1_3gpuE3ELNS1_3repE0EEENS1_30default_config_static_selectorELNS0_4arch9wavefront6targetE0EEEvT1_,@function
_ZN7rocprim17ROCPRIM_400000_NS6detail17trampoline_kernelINS0_14default_configENS1_35adjacent_difference_config_selectorILb1ElEEZNS1_24adjacent_difference_implIS3_Lb1ELb0EPlS7_ZN2at6native12_GLOBAL__N_124unique_dim_cuda_templateIlEESt5tupleIJNS8_6TensorESD_SD_EERKSD_lbbbEUlllE1_EE10hipError_tPvRmT2_T3_mT4_P12ihipStream_tbEUlT_E_NS1_11comp_targetILNS1_3genE9ELNS1_11target_archE1100ELNS1_3gpuE3ELNS1_3repE0EEENS1_30default_config_static_selectorELNS0_4arch9wavefront6targetE0EEEvT1_: ; @_ZN7rocprim17ROCPRIM_400000_NS6detail17trampoline_kernelINS0_14default_configENS1_35adjacent_difference_config_selectorILb1ElEEZNS1_24adjacent_difference_implIS3_Lb1ELb0EPlS7_ZN2at6native12_GLOBAL__N_124unique_dim_cuda_templateIlEESt5tupleIJNS8_6TensorESD_SD_EERKSD_lbbbEUlllE1_EE10hipError_tPvRmT2_T3_mT4_P12ihipStream_tbEUlT_E_NS1_11comp_targetILNS1_3genE9ELNS1_11target_archE1100ELNS1_3gpuE3ELNS1_3repE0EEENS1_30default_config_static_selectorELNS0_4arch9wavefront6targetE0EEEvT1_
; %bb.0:
	.section	.rodata,"a",@progbits
	.p2align	6, 0x0
	.amdhsa_kernel _ZN7rocprim17ROCPRIM_400000_NS6detail17trampoline_kernelINS0_14default_configENS1_35adjacent_difference_config_selectorILb1ElEEZNS1_24adjacent_difference_implIS3_Lb1ELb0EPlS7_ZN2at6native12_GLOBAL__N_124unique_dim_cuda_templateIlEESt5tupleIJNS8_6TensorESD_SD_EERKSD_lbbbEUlllE1_EE10hipError_tPvRmT2_T3_mT4_P12ihipStream_tbEUlT_E_NS1_11comp_targetILNS1_3genE9ELNS1_11target_archE1100ELNS1_3gpuE3ELNS1_3repE0EEENS1_30default_config_static_selectorELNS0_4arch9wavefront6targetE0EEEvT1_
		.amdhsa_group_segment_fixed_size 0
		.amdhsa_private_segment_fixed_size 0
		.amdhsa_kernarg_size 64
		.amdhsa_user_sgpr_count 2
		.amdhsa_user_sgpr_dispatch_ptr 0
		.amdhsa_user_sgpr_queue_ptr 0
		.amdhsa_user_sgpr_kernarg_segment_ptr 1
		.amdhsa_user_sgpr_dispatch_id 0
		.amdhsa_user_sgpr_kernarg_preload_length 0
		.amdhsa_user_sgpr_kernarg_preload_offset 0
		.amdhsa_user_sgpr_private_segment_size 0
		.amdhsa_wavefront_size32 1
		.amdhsa_uses_dynamic_stack 0
		.amdhsa_enable_private_segment 0
		.amdhsa_system_sgpr_workgroup_id_x 1
		.amdhsa_system_sgpr_workgroup_id_y 0
		.amdhsa_system_sgpr_workgroup_id_z 0
		.amdhsa_system_sgpr_workgroup_info 0
		.amdhsa_system_vgpr_workitem_id 0
		.amdhsa_next_free_vgpr 1
		.amdhsa_next_free_sgpr 1
		.amdhsa_named_barrier_count 0
		.amdhsa_reserve_vcc 0
		.amdhsa_float_round_mode_32 0
		.amdhsa_float_round_mode_16_64 0
		.amdhsa_float_denorm_mode_32 3
		.amdhsa_float_denorm_mode_16_64 3
		.amdhsa_fp16_overflow 0
		.amdhsa_memory_ordered 1
		.amdhsa_forward_progress 1
		.amdhsa_inst_pref_size 0
		.amdhsa_round_robin_scheduling 0
		.amdhsa_exception_fp_ieee_invalid_op 0
		.amdhsa_exception_fp_denorm_src 0
		.amdhsa_exception_fp_ieee_div_zero 0
		.amdhsa_exception_fp_ieee_overflow 0
		.amdhsa_exception_fp_ieee_underflow 0
		.amdhsa_exception_fp_ieee_inexact 0
		.amdhsa_exception_int_div_zero 0
	.end_amdhsa_kernel
	.section	.text._ZN7rocprim17ROCPRIM_400000_NS6detail17trampoline_kernelINS0_14default_configENS1_35adjacent_difference_config_selectorILb1ElEEZNS1_24adjacent_difference_implIS3_Lb1ELb0EPlS7_ZN2at6native12_GLOBAL__N_124unique_dim_cuda_templateIlEESt5tupleIJNS8_6TensorESD_SD_EERKSD_lbbbEUlllE1_EE10hipError_tPvRmT2_T3_mT4_P12ihipStream_tbEUlT_E_NS1_11comp_targetILNS1_3genE9ELNS1_11target_archE1100ELNS1_3gpuE3ELNS1_3repE0EEENS1_30default_config_static_selectorELNS0_4arch9wavefront6targetE0EEEvT1_,"axG",@progbits,_ZN7rocprim17ROCPRIM_400000_NS6detail17trampoline_kernelINS0_14default_configENS1_35adjacent_difference_config_selectorILb1ElEEZNS1_24adjacent_difference_implIS3_Lb1ELb0EPlS7_ZN2at6native12_GLOBAL__N_124unique_dim_cuda_templateIlEESt5tupleIJNS8_6TensorESD_SD_EERKSD_lbbbEUlllE1_EE10hipError_tPvRmT2_T3_mT4_P12ihipStream_tbEUlT_E_NS1_11comp_targetILNS1_3genE9ELNS1_11target_archE1100ELNS1_3gpuE3ELNS1_3repE0EEENS1_30default_config_static_selectorELNS0_4arch9wavefront6targetE0EEEvT1_,comdat
.Lfunc_end561:
	.size	_ZN7rocprim17ROCPRIM_400000_NS6detail17trampoline_kernelINS0_14default_configENS1_35adjacent_difference_config_selectorILb1ElEEZNS1_24adjacent_difference_implIS3_Lb1ELb0EPlS7_ZN2at6native12_GLOBAL__N_124unique_dim_cuda_templateIlEESt5tupleIJNS8_6TensorESD_SD_EERKSD_lbbbEUlllE1_EE10hipError_tPvRmT2_T3_mT4_P12ihipStream_tbEUlT_E_NS1_11comp_targetILNS1_3genE9ELNS1_11target_archE1100ELNS1_3gpuE3ELNS1_3repE0EEENS1_30default_config_static_selectorELNS0_4arch9wavefront6targetE0EEEvT1_, .Lfunc_end561-_ZN7rocprim17ROCPRIM_400000_NS6detail17trampoline_kernelINS0_14default_configENS1_35adjacent_difference_config_selectorILb1ElEEZNS1_24adjacent_difference_implIS3_Lb1ELb0EPlS7_ZN2at6native12_GLOBAL__N_124unique_dim_cuda_templateIlEESt5tupleIJNS8_6TensorESD_SD_EERKSD_lbbbEUlllE1_EE10hipError_tPvRmT2_T3_mT4_P12ihipStream_tbEUlT_E_NS1_11comp_targetILNS1_3genE9ELNS1_11target_archE1100ELNS1_3gpuE3ELNS1_3repE0EEENS1_30default_config_static_selectorELNS0_4arch9wavefront6targetE0EEEvT1_
                                        ; -- End function
	.set _ZN7rocprim17ROCPRIM_400000_NS6detail17trampoline_kernelINS0_14default_configENS1_35adjacent_difference_config_selectorILb1ElEEZNS1_24adjacent_difference_implIS3_Lb1ELb0EPlS7_ZN2at6native12_GLOBAL__N_124unique_dim_cuda_templateIlEESt5tupleIJNS8_6TensorESD_SD_EERKSD_lbbbEUlllE1_EE10hipError_tPvRmT2_T3_mT4_P12ihipStream_tbEUlT_E_NS1_11comp_targetILNS1_3genE9ELNS1_11target_archE1100ELNS1_3gpuE3ELNS1_3repE0EEENS1_30default_config_static_selectorELNS0_4arch9wavefront6targetE0EEEvT1_.num_vgpr, 0
	.set _ZN7rocprim17ROCPRIM_400000_NS6detail17trampoline_kernelINS0_14default_configENS1_35adjacent_difference_config_selectorILb1ElEEZNS1_24adjacent_difference_implIS3_Lb1ELb0EPlS7_ZN2at6native12_GLOBAL__N_124unique_dim_cuda_templateIlEESt5tupleIJNS8_6TensorESD_SD_EERKSD_lbbbEUlllE1_EE10hipError_tPvRmT2_T3_mT4_P12ihipStream_tbEUlT_E_NS1_11comp_targetILNS1_3genE9ELNS1_11target_archE1100ELNS1_3gpuE3ELNS1_3repE0EEENS1_30default_config_static_selectorELNS0_4arch9wavefront6targetE0EEEvT1_.num_agpr, 0
	.set _ZN7rocprim17ROCPRIM_400000_NS6detail17trampoline_kernelINS0_14default_configENS1_35adjacent_difference_config_selectorILb1ElEEZNS1_24adjacent_difference_implIS3_Lb1ELb0EPlS7_ZN2at6native12_GLOBAL__N_124unique_dim_cuda_templateIlEESt5tupleIJNS8_6TensorESD_SD_EERKSD_lbbbEUlllE1_EE10hipError_tPvRmT2_T3_mT4_P12ihipStream_tbEUlT_E_NS1_11comp_targetILNS1_3genE9ELNS1_11target_archE1100ELNS1_3gpuE3ELNS1_3repE0EEENS1_30default_config_static_selectorELNS0_4arch9wavefront6targetE0EEEvT1_.numbered_sgpr, 0
	.set _ZN7rocprim17ROCPRIM_400000_NS6detail17trampoline_kernelINS0_14default_configENS1_35adjacent_difference_config_selectorILb1ElEEZNS1_24adjacent_difference_implIS3_Lb1ELb0EPlS7_ZN2at6native12_GLOBAL__N_124unique_dim_cuda_templateIlEESt5tupleIJNS8_6TensorESD_SD_EERKSD_lbbbEUlllE1_EE10hipError_tPvRmT2_T3_mT4_P12ihipStream_tbEUlT_E_NS1_11comp_targetILNS1_3genE9ELNS1_11target_archE1100ELNS1_3gpuE3ELNS1_3repE0EEENS1_30default_config_static_selectorELNS0_4arch9wavefront6targetE0EEEvT1_.num_named_barrier, 0
	.set _ZN7rocprim17ROCPRIM_400000_NS6detail17trampoline_kernelINS0_14default_configENS1_35adjacent_difference_config_selectorILb1ElEEZNS1_24adjacent_difference_implIS3_Lb1ELb0EPlS7_ZN2at6native12_GLOBAL__N_124unique_dim_cuda_templateIlEESt5tupleIJNS8_6TensorESD_SD_EERKSD_lbbbEUlllE1_EE10hipError_tPvRmT2_T3_mT4_P12ihipStream_tbEUlT_E_NS1_11comp_targetILNS1_3genE9ELNS1_11target_archE1100ELNS1_3gpuE3ELNS1_3repE0EEENS1_30default_config_static_selectorELNS0_4arch9wavefront6targetE0EEEvT1_.private_seg_size, 0
	.set _ZN7rocprim17ROCPRIM_400000_NS6detail17trampoline_kernelINS0_14default_configENS1_35adjacent_difference_config_selectorILb1ElEEZNS1_24adjacent_difference_implIS3_Lb1ELb0EPlS7_ZN2at6native12_GLOBAL__N_124unique_dim_cuda_templateIlEESt5tupleIJNS8_6TensorESD_SD_EERKSD_lbbbEUlllE1_EE10hipError_tPvRmT2_T3_mT4_P12ihipStream_tbEUlT_E_NS1_11comp_targetILNS1_3genE9ELNS1_11target_archE1100ELNS1_3gpuE3ELNS1_3repE0EEENS1_30default_config_static_selectorELNS0_4arch9wavefront6targetE0EEEvT1_.uses_vcc, 0
	.set _ZN7rocprim17ROCPRIM_400000_NS6detail17trampoline_kernelINS0_14default_configENS1_35adjacent_difference_config_selectorILb1ElEEZNS1_24adjacent_difference_implIS3_Lb1ELb0EPlS7_ZN2at6native12_GLOBAL__N_124unique_dim_cuda_templateIlEESt5tupleIJNS8_6TensorESD_SD_EERKSD_lbbbEUlllE1_EE10hipError_tPvRmT2_T3_mT4_P12ihipStream_tbEUlT_E_NS1_11comp_targetILNS1_3genE9ELNS1_11target_archE1100ELNS1_3gpuE3ELNS1_3repE0EEENS1_30default_config_static_selectorELNS0_4arch9wavefront6targetE0EEEvT1_.uses_flat_scratch, 0
	.set _ZN7rocprim17ROCPRIM_400000_NS6detail17trampoline_kernelINS0_14default_configENS1_35adjacent_difference_config_selectorILb1ElEEZNS1_24adjacent_difference_implIS3_Lb1ELb0EPlS7_ZN2at6native12_GLOBAL__N_124unique_dim_cuda_templateIlEESt5tupleIJNS8_6TensorESD_SD_EERKSD_lbbbEUlllE1_EE10hipError_tPvRmT2_T3_mT4_P12ihipStream_tbEUlT_E_NS1_11comp_targetILNS1_3genE9ELNS1_11target_archE1100ELNS1_3gpuE3ELNS1_3repE0EEENS1_30default_config_static_selectorELNS0_4arch9wavefront6targetE0EEEvT1_.has_dyn_sized_stack, 0
	.set _ZN7rocprim17ROCPRIM_400000_NS6detail17trampoline_kernelINS0_14default_configENS1_35adjacent_difference_config_selectorILb1ElEEZNS1_24adjacent_difference_implIS3_Lb1ELb0EPlS7_ZN2at6native12_GLOBAL__N_124unique_dim_cuda_templateIlEESt5tupleIJNS8_6TensorESD_SD_EERKSD_lbbbEUlllE1_EE10hipError_tPvRmT2_T3_mT4_P12ihipStream_tbEUlT_E_NS1_11comp_targetILNS1_3genE9ELNS1_11target_archE1100ELNS1_3gpuE3ELNS1_3repE0EEENS1_30default_config_static_selectorELNS0_4arch9wavefront6targetE0EEEvT1_.has_recursion, 0
	.set _ZN7rocprim17ROCPRIM_400000_NS6detail17trampoline_kernelINS0_14default_configENS1_35adjacent_difference_config_selectorILb1ElEEZNS1_24adjacent_difference_implIS3_Lb1ELb0EPlS7_ZN2at6native12_GLOBAL__N_124unique_dim_cuda_templateIlEESt5tupleIJNS8_6TensorESD_SD_EERKSD_lbbbEUlllE1_EE10hipError_tPvRmT2_T3_mT4_P12ihipStream_tbEUlT_E_NS1_11comp_targetILNS1_3genE9ELNS1_11target_archE1100ELNS1_3gpuE3ELNS1_3repE0EEENS1_30default_config_static_selectorELNS0_4arch9wavefront6targetE0EEEvT1_.has_indirect_call, 0
	.section	.AMDGPU.csdata,"",@progbits
; Kernel info:
; codeLenInByte = 0
; TotalNumSgprs: 0
; NumVgprs: 0
; ScratchSize: 0
; MemoryBound: 0
; FloatMode: 240
; IeeeMode: 1
; LDSByteSize: 0 bytes/workgroup (compile time only)
; SGPRBlocks: 0
; VGPRBlocks: 0
; NumSGPRsForWavesPerEU: 1
; NumVGPRsForWavesPerEU: 1
; NamedBarCnt: 0
; Occupancy: 16
; WaveLimiterHint : 0
; COMPUTE_PGM_RSRC2:SCRATCH_EN: 0
; COMPUTE_PGM_RSRC2:USER_SGPR: 2
; COMPUTE_PGM_RSRC2:TRAP_HANDLER: 0
; COMPUTE_PGM_RSRC2:TGID_X_EN: 1
; COMPUTE_PGM_RSRC2:TGID_Y_EN: 0
; COMPUTE_PGM_RSRC2:TGID_Z_EN: 0
; COMPUTE_PGM_RSRC2:TIDIG_COMP_CNT: 0
	.section	.text._ZN7rocprim17ROCPRIM_400000_NS6detail17trampoline_kernelINS0_14default_configENS1_35adjacent_difference_config_selectorILb1ElEEZNS1_24adjacent_difference_implIS3_Lb1ELb0EPlS7_ZN2at6native12_GLOBAL__N_124unique_dim_cuda_templateIlEESt5tupleIJNS8_6TensorESD_SD_EERKSD_lbbbEUlllE1_EE10hipError_tPvRmT2_T3_mT4_P12ihipStream_tbEUlT_E_NS1_11comp_targetILNS1_3genE8ELNS1_11target_archE1030ELNS1_3gpuE2ELNS1_3repE0EEENS1_30default_config_static_selectorELNS0_4arch9wavefront6targetE0EEEvT1_,"axG",@progbits,_ZN7rocprim17ROCPRIM_400000_NS6detail17trampoline_kernelINS0_14default_configENS1_35adjacent_difference_config_selectorILb1ElEEZNS1_24adjacent_difference_implIS3_Lb1ELb0EPlS7_ZN2at6native12_GLOBAL__N_124unique_dim_cuda_templateIlEESt5tupleIJNS8_6TensorESD_SD_EERKSD_lbbbEUlllE1_EE10hipError_tPvRmT2_T3_mT4_P12ihipStream_tbEUlT_E_NS1_11comp_targetILNS1_3genE8ELNS1_11target_archE1030ELNS1_3gpuE2ELNS1_3repE0EEENS1_30default_config_static_selectorELNS0_4arch9wavefront6targetE0EEEvT1_,comdat
	.globl	_ZN7rocprim17ROCPRIM_400000_NS6detail17trampoline_kernelINS0_14default_configENS1_35adjacent_difference_config_selectorILb1ElEEZNS1_24adjacent_difference_implIS3_Lb1ELb0EPlS7_ZN2at6native12_GLOBAL__N_124unique_dim_cuda_templateIlEESt5tupleIJNS8_6TensorESD_SD_EERKSD_lbbbEUlllE1_EE10hipError_tPvRmT2_T3_mT4_P12ihipStream_tbEUlT_E_NS1_11comp_targetILNS1_3genE8ELNS1_11target_archE1030ELNS1_3gpuE2ELNS1_3repE0EEENS1_30default_config_static_selectorELNS0_4arch9wavefront6targetE0EEEvT1_ ; -- Begin function _ZN7rocprim17ROCPRIM_400000_NS6detail17trampoline_kernelINS0_14default_configENS1_35adjacent_difference_config_selectorILb1ElEEZNS1_24adjacent_difference_implIS3_Lb1ELb0EPlS7_ZN2at6native12_GLOBAL__N_124unique_dim_cuda_templateIlEESt5tupleIJNS8_6TensorESD_SD_EERKSD_lbbbEUlllE1_EE10hipError_tPvRmT2_T3_mT4_P12ihipStream_tbEUlT_E_NS1_11comp_targetILNS1_3genE8ELNS1_11target_archE1030ELNS1_3gpuE2ELNS1_3repE0EEENS1_30default_config_static_selectorELNS0_4arch9wavefront6targetE0EEEvT1_
	.p2align	8
	.type	_ZN7rocprim17ROCPRIM_400000_NS6detail17trampoline_kernelINS0_14default_configENS1_35adjacent_difference_config_selectorILb1ElEEZNS1_24adjacent_difference_implIS3_Lb1ELb0EPlS7_ZN2at6native12_GLOBAL__N_124unique_dim_cuda_templateIlEESt5tupleIJNS8_6TensorESD_SD_EERKSD_lbbbEUlllE1_EE10hipError_tPvRmT2_T3_mT4_P12ihipStream_tbEUlT_E_NS1_11comp_targetILNS1_3genE8ELNS1_11target_archE1030ELNS1_3gpuE2ELNS1_3repE0EEENS1_30default_config_static_selectorELNS0_4arch9wavefront6targetE0EEEvT1_,@function
_ZN7rocprim17ROCPRIM_400000_NS6detail17trampoline_kernelINS0_14default_configENS1_35adjacent_difference_config_selectorILb1ElEEZNS1_24adjacent_difference_implIS3_Lb1ELb0EPlS7_ZN2at6native12_GLOBAL__N_124unique_dim_cuda_templateIlEESt5tupleIJNS8_6TensorESD_SD_EERKSD_lbbbEUlllE1_EE10hipError_tPvRmT2_T3_mT4_P12ihipStream_tbEUlT_E_NS1_11comp_targetILNS1_3genE8ELNS1_11target_archE1030ELNS1_3gpuE2ELNS1_3repE0EEENS1_30default_config_static_selectorELNS0_4arch9wavefront6targetE0EEEvT1_: ; @_ZN7rocprim17ROCPRIM_400000_NS6detail17trampoline_kernelINS0_14default_configENS1_35adjacent_difference_config_selectorILb1ElEEZNS1_24adjacent_difference_implIS3_Lb1ELb0EPlS7_ZN2at6native12_GLOBAL__N_124unique_dim_cuda_templateIlEESt5tupleIJNS8_6TensorESD_SD_EERKSD_lbbbEUlllE1_EE10hipError_tPvRmT2_T3_mT4_P12ihipStream_tbEUlT_E_NS1_11comp_targetILNS1_3genE8ELNS1_11target_archE1030ELNS1_3gpuE2ELNS1_3repE0EEENS1_30default_config_static_selectorELNS0_4arch9wavefront6targetE0EEEvT1_
; %bb.0:
	.section	.rodata,"a",@progbits
	.p2align	6, 0x0
	.amdhsa_kernel _ZN7rocprim17ROCPRIM_400000_NS6detail17trampoline_kernelINS0_14default_configENS1_35adjacent_difference_config_selectorILb1ElEEZNS1_24adjacent_difference_implIS3_Lb1ELb0EPlS7_ZN2at6native12_GLOBAL__N_124unique_dim_cuda_templateIlEESt5tupleIJNS8_6TensorESD_SD_EERKSD_lbbbEUlllE1_EE10hipError_tPvRmT2_T3_mT4_P12ihipStream_tbEUlT_E_NS1_11comp_targetILNS1_3genE8ELNS1_11target_archE1030ELNS1_3gpuE2ELNS1_3repE0EEENS1_30default_config_static_selectorELNS0_4arch9wavefront6targetE0EEEvT1_
		.amdhsa_group_segment_fixed_size 0
		.amdhsa_private_segment_fixed_size 0
		.amdhsa_kernarg_size 64
		.amdhsa_user_sgpr_count 2
		.amdhsa_user_sgpr_dispatch_ptr 0
		.amdhsa_user_sgpr_queue_ptr 0
		.amdhsa_user_sgpr_kernarg_segment_ptr 1
		.amdhsa_user_sgpr_dispatch_id 0
		.amdhsa_user_sgpr_kernarg_preload_length 0
		.amdhsa_user_sgpr_kernarg_preload_offset 0
		.amdhsa_user_sgpr_private_segment_size 0
		.amdhsa_wavefront_size32 1
		.amdhsa_uses_dynamic_stack 0
		.amdhsa_enable_private_segment 0
		.amdhsa_system_sgpr_workgroup_id_x 1
		.amdhsa_system_sgpr_workgroup_id_y 0
		.amdhsa_system_sgpr_workgroup_id_z 0
		.amdhsa_system_sgpr_workgroup_info 0
		.amdhsa_system_vgpr_workitem_id 0
		.amdhsa_next_free_vgpr 1
		.amdhsa_next_free_sgpr 1
		.amdhsa_named_barrier_count 0
		.amdhsa_reserve_vcc 0
		.amdhsa_float_round_mode_32 0
		.amdhsa_float_round_mode_16_64 0
		.amdhsa_float_denorm_mode_32 3
		.amdhsa_float_denorm_mode_16_64 3
		.amdhsa_fp16_overflow 0
		.amdhsa_memory_ordered 1
		.amdhsa_forward_progress 1
		.amdhsa_inst_pref_size 0
		.amdhsa_round_robin_scheduling 0
		.amdhsa_exception_fp_ieee_invalid_op 0
		.amdhsa_exception_fp_denorm_src 0
		.amdhsa_exception_fp_ieee_div_zero 0
		.amdhsa_exception_fp_ieee_overflow 0
		.amdhsa_exception_fp_ieee_underflow 0
		.amdhsa_exception_fp_ieee_inexact 0
		.amdhsa_exception_int_div_zero 0
	.end_amdhsa_kernel
	.section	.text._ZN7rocprim17ROCPRIM_400000_NS6detail17trampoline_kernelINS0_14default_configENS1_35adjacent_difference_config_selectorILb1ElEEZNS1_24adjacent_difference_implIS3_Lb1ELb0EPlS7_ZN2at6native12_GLOBAL__N_124unique_dim_cuda_templateIlEESt5tupleIJNS8_6TensorESD_SD_EERKSD_lbbbEUlllE1_EE10hipError_tPvRmT2_T3_mT4_P12ihipStream_tbEUlT_E_NS1_11comp_targetILNS1_3genE8ELNS1_11target_archE1030ELNS1_3gpuE2ELNS1_3repE0EEENS1_30default_config_static_selectorELNS0_4arch9wavefront6targetE0EEEvT1_,"axG",@progbits,_ZN7rocprim17ROCPRIM_400000_NS6detail17trampoline_kernelINS0_14default_configENS1_35adjacent_difference_config_selectorILb1ElEEZNS1_24adjacent_difference_implIS3_Lb1ELb0EPlS7_ZN2at6native12_GLOBAL__N_124unique_dim_cuda_templateIlEESt5tupleIJNS8_6TensorESD_SD_EERKSD_lbbbEUlllE1_EE10hipError_tPvRmT2_T3_mT4_P12ihipStream_tbEUlT_E_NS1_11comp_targetILNS1_3genE8ELNS1_11target_archE1030ELNS1_3gpuE2ELNS1_3repE0EEENS1_30default_config_static_selectorELNS0_4arch9wavefront6targetE0EEEvT1_,comdat
.Lfunc_end562:
	.size	_ZN7rocprim17ROCPRIM_400000_NS6detail17trampoline_kernelINS0_14default_configENS1_35adjacent_difference_config_selectorILb1ElEEZNS1_24adjacent_difference_implIS3_Lb1ELb0EPlS7_ZN2at6native12_GLOBAL__N_124unique_dim_cuda_templateIlEESt5tupleIJNS8_6TensorESD_SD_EERKSD_lbbbEUlllE1_EE10hipError_tPvRmT2_T3_mT4_P12ihipStream_tbEUlT_E_NS1_11comp_targetILNS1_3genE8ELNS1_11target_archE1030ELNS1_3gpuE2ELNS1_3repE0EEENS1_30default_config_static_selectorELNS0_4arch9wavefront6targetE0EEEvT1_, .Lfunc_end562-_ZN7rocprim17ROCPRIM_400000_NS6detail17trampoline_kernelINS0_14default_configENS1_35adjacent_difference_config_selectorILb1ElEEZNS1_24adjacent_difference_implIS3_Lb1ELb0EPlS7_ZN2at6native12_GLOBAL__N_124unique_dim_cuda_templateIlEESt5tupleIJNS8_6TensorESD_SD_EERKSD_lbbbEUlllE1_EE10hipError_tPvRmT2_T3_mT4_P12ihipStream_tbEUlT_E_NS1_11comp_targetILNS1_3genE8ELNS1_11target_archE1030ELNS1_3gpuE2ELNS1_3repE0EEENS1_30default_config_static_selectorELNS0_4arch9wavefront6targetE0EEEvT1_
                                        ; -- End function
	.set _ZN7rocprim17ROCPRIM_400000_NS6detail17trampoline_kernelINS0_14default_configENS1_35adjacent_difference_config_selectorILb1ElEEZNS1_24adjacent_difference_implIS3_Lb1ELb0EPlS7_ZN2at6native12_GLOBAL__N_124unique_dim_cuda_templateIlEESt5tupleIJNS8_6TensorESD_SD_EERKSD_lbbbEUlllE1_EE10hipError_tPvRmT2_T3_mT4_P12ihipStream_tbEUlT_E_NS1_11comp_targetILNS1_3genE8ELNS1_11target_archE1030ELNS1_3gpuE2ELNS1_3repE0EEENS1_30default_config_static_selectorELNS0_4arch9wavefront6targetE0EEEvT1_.num_vgpr, 0
	.set _ZN7rocprim17ROCPRIM_400000_NS6detail17trampoline_kernelINS0_14default_configENS1_35adjacent_difference_config_selectorILb1ElEEZNS1_24adjacent_difference_implIS3_Lb1ELb0EPlS7_ZN2at6native12_GLOBAL__N_124unique_dim_cuda_templateIlEESt5tupleIJNS8_6TensorESD_SD_EERKSD_lbbbEUlllE1_EE10hipError_tPvRmT2_T3_mT4_P12ihipStream_tbEUlT_E_NS1_11comp_targetILNS1_3genE8ELNS1_11target_archE1030ELNS1_3gpuE2ELNS1_3repE0EEENS1_30default_config_static_selectorELNS0_4arch9wavefront6targetE0EEEvT1_.num_agpr, 0
	.set _ZN7rocprim17ROCPRIM_400000_NS6detail17trampoline_kernelINS0_14default_configENS1_35adjacent_difference_config_selectorILb1ElEEZNS1_24adjacent_difference_implIS3_Lb1ELb0EPlS7_ZN2at6native12_GLOBAL__N_124unique_dim_cuda_templateIlEESt5tupleIJNS8_6TensorESD_SD_EERKSD_lbbbEUlllE1_EE10hipError_tPvRmT2_T3_mT4_P12ihipStream_tbEUlT_E_NS1_11comp_targetILNS1_3genE8ELNS1_11target_archE1030ELNS1_3gpuE2ELNS1_3repE0EEENS1_30default_config_static_selectorELNS0_4arch9wavefront6targetE0EEEvT1_.numbered_sgpr, 0
	.set _ZN7rocprim17ROCPRIM_400000_NS6detail17trampoline_kernelINS0_14default_configENS1_35adjacent_difference_config_selectorILb1ElEEZNS1_24adjacent_difference_implIS3_Lb1ELb0EPlS7_ZN2at6native12_GLOBAL__N_124unique_dim_cuda_templateIlEESt5tupleIJNS8_6TensorESD_SD_EERKSD_lbbbEUlllE1_EE10hipError_tPvRmT2_T3_mT4_P12ihipStream_tbEUlT_E_NS1_11comp_targetILNS1_3genE8ELNS1_11target_archE1030ELNS1_3gpuE2ELNS1_3repE0EEENS1_30default_config_static_selectorELNS0_4arch9wavefront6targetE0EEEvT1_.num_named_barrier, 0
	.set _ZN7rocprim17ROCPRIM_400000_NS6detail17trampoline_kernelINS0_14default_configENS1_35adjacent_difference_config_selectorILb1ElEEZNS1_24adjacent_difference_implIS3_Lb1ELb0EPlS7_ZN2at6native12_GLOBAL__N_124unique_dim_cuda_templateIlEESt5tupleIJNS8_6TensorESD_SD_EERKSD_lbbbEUlllE1_EE10hipError_tPvRmT2_T3_mT4_P12ihipStream_tbEUlT_E_NS1_11comp_targetILNS1_3genE8ELNS1_11target_archE1030ELNS1_3gpuE2ELNS1_3repE0EEENS1_30default_config_static_selectorELNS0_4arch9wavefront6targetE0EEEvT1_.private_seg_size, 0
	.set _ZN7rocprim17ROCPRIM_400000_NS6detail17trampoline_kernelINS0_14default_configENS1_35adjacent_difference_config_selectorILb1ElEEZNS1_24adjacent_difference_implIS3_Lb1ELb0EPlS7_ZN2at6native12_GLOBAL__N_124unique_dim_cuda_templateIlEESt5tupleIJNS8_6TensorESD_SD_EERKSD_lbbbEUlllE1_EE10hipError_tPvRmT2_T3_mT4_P12ihipStream_tbEUlT_E_NS1_11comp_targetILNS1_3genE8ELNS1_11target_archE1030ELNS1_3gpuE2ELNS1_3repE0EEENS1_30default_config_static_selectorELNS0_4arch9wavefront6targetE0EEEvT1_.uses_vcc, 0
	.set _ZN7rocprim17ROCPRIM_400000_NS6detail17trampoline_kernelINS0_14default_configENS1_35adjacent_difference_config_selectorILb1ElEEZNS1_24adjacent_difference_implIS3_Lb1ELb0EPlS7_ZN2at6native12_GLOBAL__N_124unique_dim_cuda_templateIlEESt5tupleIJNS8_6TensorESD_SD_EERKSD_lbbbEUlllE1_EE10hipError_tPvRmT2_T3_mT4_P12ihipStream_tbEUlT_E_NS1_11comp_targetILNS1_3genE8ELNS1_11target_archE1030ELNS1_3gpuE2ELNS1_3repE0EEENS1_30default_config_static_selectorELNS0_4arch9wavefront6targetE0EEEvT1_.uses_flat_scratch, 0
	.set _ZN7rocprim17ROCPRIM_400000_NS6detail17trampoline_kernelINS0_14default_configENS1_35adjacent_difference_config_selectorILb1ElEEZNS1_24adjacent_difference_implIS3_Lb1ELb0EPlS7_ZN2at6native12_GLOBAL__N_124unique_dim_cuda_templateIlEESt5tupleIJNS8_6TensorESD_SD_EERKSD_lbbbEUlllE1_EE10hipError_tPvRmT2_T3_mT4_P12ihipStream_tbEUlT_E_NS1_11comp_targetILNS1_3genE8ELNS1_11target_archE1030ELNS1_3gpuE2ELNS1_3repE0EEENS1_30default_config_static_selectorELNS0_4arch9wavefront6targetE0EEEvT1_.has_dyn_sized_stack, 0
	.set _ZN7rocprim17ROCPRIM_400000_NS6detail17trampoline_kernelINS0_14default_configENS1_35adjacent_difference_config_selectorILb1ElEEZNS1_24adjacent_difference_implIS3_Lb1ELb0EPlS7_ZN2at6native12_GLOBAL__N_124unique_dim_cuda_templateIlEESt5tupleIJNS8_6TensorESD_SD_EERKSD_lbbbEUlllE1_EE10hipError_tPvRmT2_T3_mT4_P12ihipStream_tbEUlT_E_NS1_11comp_targetILNS1_3genE8ELNS1_11target_archE1030ELNS1_3gpuE2ELNS1_3repE0EEENS1_30default_config_static_selectorELNS0_4arch9wavefront6targetE0EEEvT1_.has_recursion, 0
	.set _ZN7rocprim17ROCPRIM_400000_NS6detail17trampoline_kernelINS0_14default_configENS1_35adjacent_difference_config_selectorILb1ElEEZNS1_24adjacent_difference_implIS3_Lb1ELb0EPlS7_ZN2at6native12_GLOBAL__N_124unique_dim_cuda_templateIlEESt5tupleIJNS8_6TensorESD_SD_EERKSD_lbbbEUlllE1_EE10hipError_tPvRmT2_T3_mT4_P12ihipStream_tbEUlT_E_NS1_11comp_targetILNS1_3genE8ELNS1_11target_archE1030ELNS1_3gpuE2ELNS1_3repE0EEENS1_30default_config_static_selectorELNS0_4arch9wavefront6targetE0EEEvT1_.has_indirect_call, 0
	.section	.AMDGPU.csdata,"",@progbits
; Kernel info:
; codeLenInByte = 0
; TotalNumSgprs: 0
; NumVgprs: 0
; ScratchSize: 0
; MemoryBound: 0
; FloatMode: 240
; IeeeMode: 1
; LDSByteSize: 0 bytes/workgroup (compile time only)
; SGPRBlocks: 0
; VGPRBlocks: 0
; NumSGPRsForWavesPerEU: 1
; NumVGPRsForWavesPerEU: 1
; NamedBarCnt: 0
; Occupancy: 16
; WaveLimiterHint : 0
; COMPUTE_PGM_RSRC2:SCRATCH_EN: 0
; COMPUTE_PGM_RSRC2:USER_SGPR: 2
; COMPUTE_PGM_RSRC2:TRAP_HANDLER: 0
; COMPUTE_PGM_RSRC2:TGID_X_EN: 1
; COMPUTE_PGM_RSRC2:TGID_Y_EN: 0
; COMPUTE_PGM_RSRC2:TGID_Z_EN: 0
; COMPUTE_PGM_RSRC2:TIDIG_COMP_CNT: 0
	.section	.text._ZN7rocprim17ROCPRIM_400000_NS6detail17trampoline_kernelINS0_14default_configENS1_25partition_config_selectorILNS1_17partition_subalgoE8ElNS0_10empty_typeEbEEZZNS1_14partition_implILS5_8ELb0ES3_jPlPS6_PKS6_NS0_5tupleIJS9_S6_EEENSD_IJSA_SA_EEENS0_18inequality_wrapperIZN2at6native12_GLOBAL__N_124unique_dim_cuda_templateIlEESt5tupleIJNSH_6TensorESM_SM_EERKSM_lbbbEUlllE0_EEPmJS6_EEE10hipError_tPvRmT3_T4_T5_T6_T7_T9_mT8_P12ihipStream_tbDpT10_ENKUlT_T0_E_clISt17integral_constantIbLb0EES1C_EEDaS17_S18_EUlS17_E_NS1_11comp_targetILNS1_3genE0ELNS1_11target_archE4294967295ELNS1_3gpuE0ELNS1_3repE0EEENS1_30default_config_static_selectorELNS0_4arch9wavefront6targetE0EEEvT1_,"axG",@progbits,_ZN7rocprim17ROCPRIM_400000_NS6detail17trampoline_kernelINS0_14default_configENS1_25partition_config_selectorILNS1_17partition_subalgoE8ElNS0_10empty_typeEbEEZZNS1_14partition_implILS5_8ELb0ES3_jPlPS6_PKS6_NS0_5tupleIJS9_S6_EEENSD_IJSA_SA_EEENS0_18inequality_wrapperIZN2at6native12_GLOBAL__N_124unique_dim_cuda_templateIlEESt5tupleIJNSH_6TensorESM_SM_EERKSM_lbbbEUlllE0_EEPmJS6_EEE10hipError_tPvRmT3_T4_T5_T6_T7_T9_mT8_P12ihipStream_tbDpT10_ENKUlT_T0_E_clISt17integral_constantIbLb0EES1C_EEDaS17_S18_EUlS17_E_NS1_11comp_targetILNS1_3genE0ELNS1_11target_archE4294967295ELNS1_3gpuE0ELNS1_3repE0EEENS1_30default_config_static_selectorELNS0_4arch9wavefront6targetE0EEEvT1_,comdat
	.globl	_ZN7rocprim17ROCPRIM_400000_NS6detail17trampoline_kernelINS0_14default_configENS1_25partition_config_selectorILNS1_17partition_subalgoE8ElNS0_10empty_typeEbEEZZNS1_14partition_implILS5_8ELb0ES3_jPlPS6_PKS6_NS0_5tupleIJS9_S6_EEENSD_IJSA_SA_EEENS0_18inequality_wrapperIZN2at6native12_GLOBAL__N_124unique_dim_cuda_templateIlEESt5tupleIJNSH_6TensorESM_SM_EERKSM_lbbbEUlllE0_EEPmJS6_EEE10hipError_tPvRmT3_T4_T5_T6_T7_T9_mT8_P12ihipStream_tbDpT10_ENKUlT_T0_E_clISt17integral_constantIbLb0EES1C_EEDaS17_S18_EUlS17_E_NS1_11comp_targetILNS1_3genE0ELNS1_11target_archE4294967295ELNS1_3gpuE0ELNS1_3repE0EEENS1_30default_config_static_selectorELNS0_4arch9wavefront6targetE0EEEvT1_ ; -- Begin function _ZN7rocprim17ROCPRIM_400000_NS6detail17trampoline_kernelINS0_14default_configENS1_25partition_config_selectorILNS1_17partition_subalgoE8ElNS0_10empty_typeEbEEZZNS1_14partition_implILS5_8ELb0ES3_jPlPS6_PKS6_NS0_5tupleIJS9_S6_EEENSD_IJSA_SA_EEENS0_18inequality_wrapperIZN2at6native12_GLOBAL__N_124unique_dim_cuda_templateIlEESt5tupleIJNSH_6TensorESM_SM_EERKSM_lbbbEUlllE0_EEPmJS6_EEE10hipError_tPvRmT3_T4_T5_T6_T7_T9_mT8_P12ihipStream_tbDpT10_ENKUlT_T0_E_clISt17integral_constantIbLb0EES1C_EEDaS17_S18_EUlS17_E_NS1_11comp_targetILNS1_3genE0ELNS1_11target_archE4294967295ELNS1_3gpuE0ELNS1_3repE0EEENS1_30default_config_static_selectorELNS0_4arch9wavefront6targetE0EEEvT1_
	.p2align	8
	.type	_ZN7rocprim17ROCPRIM_400000_NS6detail17trampoline_kernelINS0_14default_configENS1_25partition_config_selectorILNS1_17partition_subalgoE8ElNS0_10empty_typeEbEEZZNS1_14partition_implILS5_8ELb0ES3_jPlPS6_PKS6_NS0_5tupleIJS9_S6_EEENSD_IJSA_SA_EEENS0_18inequality_wrapperIZN2at6native12_GLOBAL__N_124unique_dim_cuda_templateIlEESt5tupleIJNSH_6TensorESM_SM_EERKSM_lbbbEUlllE0_EEPmJS6_EEE10hipError_tPvRmT3_T4_T5_T6_T7_T9_mT8_P12ihipStream_tbDpT10_ENKUlT_T0_E_clISt17integral_constantIbLb0EES1C_EEDaS17_S18_EUlS17_E_NS1_11comp_targetILNS1_3genE0ELNS1_11target_archE4294967295ELNS1_3gpuE0ELNS1_3repE0EEENS1_30default_config_static_selectorELNS0_4arch9wavefront6targetE0EEEvT1_,@function
_ZN7rocprim17ROCPRIM_400000_NS6detail17trampoline_kernelINS0_14default_configENS1_25partition_config_selectorILNS1_17partition_subalgoE8ElNS0_10empty_typeEbEEZZNS1_14partition_implILS5_8ELb0ES3_jPlPS6_PKS6_NS0_5tupleIJS9_S6_EEENSD_IJSA_SA_EEENS0_18inequality_wrapperIZN2at6native12_GLOBAL__N_124unique_dim_cuda_templateIlEESt5tupleIJNSH_6TensorESM_SM_EERKSM_lbbbEUlllE0_EEPmJS6_EEE10hipError_tPvRmT3_T4_T5_T6_T7_T9_mT8_P12ihipStream_tbDpT10_ENKUlT_T0_E_clISt17integral_constantIbLb0EES1C_EEDaS17_S18_EUlS17_E_NS1_11comp_targetILNS1_3genE0ELNS1_11target_archE4294967295ELNS1_3gpuE0ELNS1_3repE0EEENS1_30default_config_static_selectorELNS0_4arch9wavefront6targetE0EEEvT1_: ; @_ZN7rocprim17ROCPRIM_400000_NS6detail17trampoline_kernelINS0_14default_configENS1_25partition_config_selectorILNS1_17partition_subalgoE8ElNS0_10empty_typeEbEEZZNS1_14partition_implILS5_8ELb0ES3_jPlPS6_PKS6_NS0_5tupleIJS9_S6_EEENSD_IJSA_SA_EEENS0_18inequality_wrapperIZN2at6native12_GLOBAL__N_124unique_dim_cuda_templateIlEESt5tupleIJNSH_6TensorESM_SM_EERKSM_lbbbEUlllE0_EEPmJS6_EEE10hipError_tPvRmT3_T4_T5_T6_T7_T9_mT8_P12ihipStream_tbDpT10_ENKUlT_T0_E_clISt17integral_constantIbLb0EES1C_EEDaS17_S18_EUlS17_E_NS1_11comp_targetILNS1_3genE0ELNS1_11target_archE4294967295ELNS1_3gpuE0ELNS1_3repE0EEENS1_30default_config_static_selectorELNS0_4arch9wavefront6targetE0EEEvT1_
; %bb.0:
	s_clause 0x3
	s_load_b128 s[4:7], s[0:1], 0x8
	s_load_b256 s[12:19], s[0:1], 0x40
	s_load_b32 s24, s[0:1], 0x70
	s_load_b128 s[8:11], s[0:1], 0x60
	s_bfe_u32 s20, ttmp6, 0x4000c
	s_and_b32 s2, ttmp6, 15
	s_add_co_i32 s20, s20, 1
	s_mov_b32 s3, 0
	s_mul_i32 s20, ttmp9, s20
	s_getreg_b32 s22, hwreg(HW_REG_IB_STS2, 6, 4)
	s_add_co_i32 s20, s2, s20
	s_mov_b32 s25, s3
	v_dual_mov_b32 v1, v0 :: v_dual_lshlrev_b32 v18, 3, v0
	s_mov_b32 s21, -1
	s_wait_kmcnt 0x0
	s_lshl_b64 s[26:27], s[6:7], 3
	s_load_b64 s[14:15], s[14:15], 0x0
	s_mul_i32 s2, s24, 0xe00
	s_cmp_eq_u32 s22, 0
	s_add_nc_u64 s[22:23], s[6:7], s[2:3]
	s_cselect_b32 s20, ttmp9, s20
	s_add_co_i32 s2, s2, s6
	v_cmp_le_u64_e64 s17, s[16:17], s[22:23]
	s_add_co_i32 s24, s24, -1
	s_sub_co_i32 s23, s16, s2
	s_cmp_eq_u32 s20, s24
	s_mul_i32 s24, s20, 0xe00
	s_cselect_b32 s16, -1, 0
	s_add_nc_u64 s[2:3], s[4:5], s[26:27]
	s_and_b32 s22, s16, s17
	s_lshl_b64 s[4:5], s[24:25], 3
	s_xor_b32 s17, s22, -1
	s_add_nc_u64 s[2:3], s[2:3], s[4:5]
	s_and_b32 vcc_lo, exec_lo, s17
	s_cbranch_vccz .LBB563_2
; %bb.1:
	s_clause 0x6
	global_load_b64 v[2:3], v0, s[2:3] scale_offset
	global_load_b64 v[4:5], v0, s[2:3] offset:4096 scale_offset
	global_load_b64 v[6:7], v0, s[2:3] offset:8192 scale_offset
	;; [unrolled: 1-line block ×6, first 2 shown]
	v_lshlrev_b32_e32 v16, 3, v0
	s_mov_b32 s21, 0
	s_wait_loadcnt 0x5
	ds_store_2addr_stride64_b64 v16, v[2:3], v[4:5] offset1:8
	s_wait_loadcnt 0x3
	ds_store_2addr_stride64_b64 v16, v[6:7], v[8:9] offset0:16 offset1:24
	s_wait_loadcnt 0x1
	ds_store_2addr_stride64_b64 v16, v[10:11], v[12:13] offset0:32 offset1:40
	s_wait_loadcnt 0x0
	ds_store_b64 v16, v[14:15] offset:24576
	s_wait_dscnt 0x0
	s_barrier_signal -1
	s_barrier_wait -1
.LBB563_2:
	s_and_not1_b32 vcc_lo, exec_lo, s21
	s_add_co_i32 s21, s23, 0xe00
	s_cbranch_vccnz .LBB563_18
; %bb.3:
	v_mov_b32_e32 v2, 0
	s_mov_b32 s4, exec_lo
	s_delay_alu instid0(VALU_DEP_1)
	v_dual_mov_b32 v3, v2 :: v_dual_mov_b32 v4, v2
	v_dual_mov_b32 v5, v2 :: v_dual_mov_b32 v6, v2
	;; [unrolled: 1-line block ×6, first 2 shown]
	v_mov_b32_e32 v15, v2
	v_cmpx_gt_u32_e64 s21, v0
	s_cbranch_execz .LBB563_5
; %bb.4:
	global_load_b64 v[4:5], v0, s[2:3] scale_offset
	v_dual_mov_b32 v6, v2 :: v_dual_mov_b32 v7, v2
	v_dual_mov_b32 v8, v2 :: v_dual_mov_b32 v9, v2
	;; [unrolled: 1-line block ×6, first 2 shown]
	s_wait_loadcnt 0x0
	v_mov_b64_e32 v[2:3], v[4:5]
	v_mov_b64_e32 v[4:5], v[6:7]
	;; [unrolled: 1-line block ×8, first 2 shown]
.LBB563_5:
	s_or_b32 exec_lo, exec_lo, s4
	v_or_b32_e32 v16, 0x200, v0
	s_mov_b32 s4, exec_lo
	s_delay_alu instid0(VALU_DEP_1)
	v_cmpx_gt_u32_e64 s21, v16
	s_cbranch_execz .LBB563_7
; %bb.6:
	global_load_b64 v[4:5], v0, s[2:3] offset:4096 scale_offset
.LBB563_7:
	s_wait_xcnt 0x0
	s_or_b32 exec_lo, exec_lo, s4
	v_or_b32_e32 v16, 0x400, v0
	s_mov_b32 s4, exec_lo
	s_delay_alu instid0(VALU_DEP_1)
	v_cmpx_gt_u32_e64 s21, v16
	s_cbranch_execz .LBB563_9
; %bb.8:
	global_load_b64 v[6:7], v0, s[2:3] offset:8192 scale_offset
.LBB563_9:
	s_wait_xcnt 0x0
	;; [unrolled: 10-line block ×6, first 2 shown]
	s_or_b32 exec_lo, exec_lo, s4
	v_lshlrev_b32_e32 v16, 3, v0
	s_wait_loadcnt 0x0
	ds_store_2addr_stride64_b64 v16, v[2:3], v[4:5] offset1:8
	ds_store_2addr_stride64_b64 v16, v[6:7], v[8:9] offset0:16 offset1:24
	ds_store_2addr_stride64_b64 v16, v[10:11], v[12:13] offset0:32 offset1:40
	ds_store_b64 v16, v[14:15] offset:24576
	s_wait_dscnt 0x0
	s_barrier_signal -1
	s_barrier_wait -1
.LBB563_18:
	v_mul_u32_u24_e32 v19, 7, v0
	s_cmp_lg_u32 s20, 0
	v_cmp_gt_i64_e64 s24, s[18:19], 0
	s_cselect_b32 s23, -1, 0
	v_lshlrev_b32_e32 v24, 3, v19
	s_cmp_lg_u64 s[6:7], 0
	s_mov_b32 s6, 0
	s_cselect_b32 s4, -1, 0
	ds_load_2addr_b64 v[10:13], v24 offset1:1
	ds_load_2addr_b64 v[6:9], v24 offset0:2 offset1:3
	ds_load_2addr_b64 v[2:5], v24 offset0:4 offset1:5
	ds_load_b64 v[14:15], v24 offset:48
	s_or_b32 s4, s23, s4
	s_wait_dscnt 0x0
	s_and_b32 vcc_lo, exec_lo, s4
	s_barrier_signal -1
	s_barrier_wait -1
	s_cbranch_vccz .LBB563_34
; %bb.19:
	s_add_nc_u64 s[2:3], s[2:3], -8
	v_cndmask_b32_e64 v25, 0, 1, s24
	s_load_b64 s[4:5], s[2:3], 0x0
	v_lshlrev_b32_e32 v26, 3, v0
	s_and_b32 vcc_lo, exec_lo, s17
	s_wait_xcnt 0x0
	v_cmp_ne_u32_e64 s2, 1, v25
	ds_store_b64 v26, v[14:15]
	s_cbranch_vccz .LBB563_36
; %bb.20:
	s_and_b32 vcc_lo, exec_lo, s2
	s_cbranch_vccnz .LBB563_37
; %bb.21:
	v_mul_u64_e32 v[16:17], s[18:19], v[4:5]
	v_mul_u64_e32 v[20:21], s[18:19], v[14:15]
	s_add_nc_u64 s[6:7], s[18:19], -1
	s_mov_b32 s26, 0
	s_mov_b64 s[2:3], s[6:7]
                                        ; implicit-def: $sgpr25
	s_delay_alu instid0(VALU_DEP_2) | instskip(NEXT) | instid1(VALU_DEP_2)
	v_lshl_add_u64 v[16:17], v[16:17], 3, s[8:9]
	v_lshl_add_u64 v[20:21], v[20:21], 3, s[8:9]
	s_delay_alu instid0(VALU_DEP_2)
	v_mov_b64_e32 v[22:23], v[16:17]
.LBB563_22:                             ; =>This Inner Loop Header: Depth=1
	global_load_b64 v[28:29], v[22:23], off
	global_load_b64 v[30:31], v[20:21], off
	s_cmp_eq_u64 s[2:3], 0
	s_add_nc_u64 s[28:29], s[2:3], -1
	s_cselect_b32 s3, -1, 0
	s_wait_xcnt 0x1
	v_add_nc_u64_e32 v[22:23], 8, v[22:23]
	s_wait_xcnt 0x0
	v_add_nc_u64_e32 v[20:21], 8, v[20:21]
	s_wait_loadcnt 0x0
	v_cmp_ne_u64_e32 vcc_lo, v[28:29], v[30:31]
	v_cmp_eq_u64_e64 s2, v[28:29], v[30:31]
	s_or_b32 s3, vcc_lo, s3
	s_delay_alu instid0(SALU_CYCLE_1) | instskip(NEXT) | instid1(SALU_CYCLE_1)
	s_and_b32 s3, exec_lo, s3
	s_or_b32 s26, s3, s26
	s_and_not1_b32 s25, s25, exec_lo
	s_and_b32 s27, s2, exec_lo
	s_mov_b64 s[2:3], s[28:29]
	s_or_b32 s25, s25, s27
	s_and_not1_b32 exec_lo, exec_lo, s26
	s_cbranch_execnz .LBB563_22
; %bb.23:
	s_or_b32 exec_lo, exec_lo, s26
	v_mul_u64_e32 v[20:21], s[18:19], v[2:3]
	s_mov_b32 s27, 0
	s_mov_b64 s[2:3], s[6:7]
                                        ; implicit-def: $sgpr26
	s_delay_alu instid0(VALU_DEP_1) | instskip(NEXT) | instid1(VALU_DEP_1)
	v_lshl_add_u64 v[20:21], v[20:21], 3, s[8:9]
	v_mov_b64_e32 v[22:23], v[20:21]
.LBB563_24:                             ; =>This Inner Loop Header: Depth=1
	global_load_b64 v[28:29], v[22:23], off
	global_load_b64 v[30:31], v[16:17], off
	s_cmp_eq_u64 s[2:3], 0
	s_add_nc_u64 s[28:29], s[2:3], -1
	s_cselect_b32 s3, -1, 0
	s_wait_xcnt 0x1
	v_add_nc_u64_e32 v[22:23], 8, v[22:23]
	s_wait_xcnt 0x0
	v_add_nc_u64_e32 v[16:17], 8, v[16:17]
	s_wait_loadcnt 0x0
	v_cmp_ne_u64_e32 vcc_lo, v[28:29], v[30:31]
	v_cmp_eq_u64_e64 s2, v[28:29], v[30:31]
	s_or_b32 s3, vcc_lo, s3
	s_delay_alu instid0(SALU_CYCLE_1) | instskip(NEXT) | instid1(SALU_CYCLE_1)
	s_and_b32 s3, exec_lo, s3
	s_or_b32 s27, s3, s27
	s_and_not1_b32 s26, s26, exec_lo
	s_and_b32 s30, s2, exec_lo
	s_mov_b64 s[2:3], s[28:29]
	s_or_b32 s26, s26, s30
	s_and_not1_b32 exec_lo, exec_lo, s27
	s_cbranch_execnz .LBB563_24
; %bb.25:
	s_or_b32 exec_lo, exec_lo, s27
	v_mul_u64_e32 v[16:17], s[18:19], v[8:9]
	s_mov_b32 s28, 0
	s_mov_b64 s[2:3], s[6:7]
                                        ; implicit-def: $sgpr27
	s_delay_alu instid0(VALU_DEP_1) | instskip(NEXT) | instid1(VALU_DEP_1)
	v_lshl_add_u64 v[16:17], v[16:17], 3, s[8:9]
	v_mov_b64_e32 v[22:23], v[16:17]
.LBB563_26:                             ; =>This Inner Loop Header: Depth=1
	global_load_b64 v[28:29], v[22:23], off
	global_load_b64 v[30:31], v[20:21], off
	s_cmp_eq_u64 s[2:3], 0
	s_add_nc_u64 s[30:31], s[2:3], -1
	s_cselect_b32 s3, -1, 0
	s_wait_xcnt 0x1
	v_add_nc_u64_e32 v[22:23], 8, v[22:23]
	s_wait_xcnt 0x0
	v_add_nc_u64_e32 v[20:21], 8, v[20:21]
	s_wait_loadcnt 0x0
	v_cmp_ne_u64_e32 vcc_lo, v[28:29], v[30:31]
	v_cmp_eq_u64_e64 s2, v[28:29], v[30:31]
	s_or_b32 s3, vcc_lo, s3
	s_delay_alu instid0(SALU_CYCLE_1) | instskip(NEXT) | instid1(SALU_CYCLE_1)
	s_and_b32 s3, exec_lo, s3
	s_or_b32 s28, s3, s28
	s_and_not1_b32 s27, s27, exec_lo
	s_and_b32 s29, s2, exec_lo
	s_mov_b64 s[2:3], s[30:31]
	s_or_b32 s27, s27, s29
	s_and_not1_b32 exec_lo, exec_lo, s28
	s_cbranch_execnz .LBB563_26
; %bb.27:
	s_or_b32 exec_lo, exec_lo, s28
	v_mul_u64_e32 v[20:21], s[18:19], v[6:7]
	s_mov_b32 s29, 0
	s_mov_b64 s[2:3], s[6:7]
                                        ; implicit-def: $sgpr28
	s_delay_alu instid0(VALU_DEP_1) | instskip(NEXT) | instid1(VALU_DEP_1)
	v_lshl_add_u64 v[20:21], v[20:21], 3, s[8:9]
	v_mov_b64_e32 v[22:23], v[20:21]
.LBB563_28:                             ; =>This Inner Loop Header: Depth=1
	global_load_b64 v[28:29], v[22:23], off
	global_load_b64 v[30:31], v[16:17], off
	s_cmp_eq_u64 s[2:3], 0
	s_add_nc_u64 s[30:31], s[2:3], -1
	s_cselect_b32 s3, -1, 0
	s_wait_xcnt 0x1
	v_add_nc_u64_e32 v[22:23], 8, v[22:23]
	s_wait_xcnt 0x0
	v_add_nc_u64_e32 v[16:17], 8, v[16:17]
	s_wait_loadcnt 0x0
	v_cmp_ne_u64_e32 vcc_lo, v[28:29], v[30:31]
	v_cmp_eq_u64_e64 s2, v[28:29], v[30:31]
	s_or_b32 s3, vcc_lo, s3
	s_delay_alu instid0(SALU_CYCLE_1) | instskip(NEXT) | instid1(SALU_CYCLE_1)
	s_and_b32 s3, exec_lo, s3
	s_or_b32 s29, s3, s29
	s_and_not1_b32 s28, s28, exec_lo
	s_and_b32 s33, s2, exec_lo
	s_mov_b64 s[2:3], s[30:31]
	s_or_b32 s28, s28, s33
	s_and_not1_b32 exec_lo, exec_lo, s29
	s_cbranch_execnz .LBB563_28
; %bb.29:
	s_or_b32 exec_lo, exec_lo, s29
	v_mul_u64_e32 v[16:17], s[18:19], v[12:13]
	s_mov_b32 s30, 0
	s_mov_b64 s[2:3], s[6:7]
                                        ; implicit-def: $sgpr29
	s_delay_alu instid0(VALU_DEP_1) | instskip(NEXT) | instid1(VALU_DEP_1)
	v_lshl_add_u64 v[16:17], v[16:17], 3, s[8:9]
	v_mov_b64_e32 v[22:23], v[16:17]
.LBB563_30:                             ; =>This Inner Loop Header: Depth=1
	global_load_b64 v[28:29], v[22:23], off
	global_load_b64 v[30:31], v[20:21], off
	s_cmp_eq_u64 s[2:3], 0
	s_add_nc_u64 s[34:35], s[2:3], -1
	s_cselect_b32 s3, -1, 0
	s_wait_xcnt 0x1
	v_add_nc_u64_e32 v[22:23], 8, v[22:23]
	s_wait_xcnt 0x0
	v_add_nc_u64_e32 v[20:21], 8, v[20:21]
	s_wait_loadcnt 0x0
	v_cmp_ne_u64_e32 vcc_lo, v[28:29], v[30:31]
	v_cmp_eq_u64_e64 s2, v[28:29], v[30:31]
	s_or_b32 s3, vcc_lo, s3
	s_delay_alu instid0(SALU_CYCLE_1) | instskip(NEXT) | instid1(SALU_CYCLE_1)
	s_and_b32 s3, exec_lo, s3
	s_or_b32 s30, s3, s30
	s_and_not1_b32 s29, s29, exec_lo
	s_and_b32 s31, s2, exec_lo
	s_mov_b64 s[2:3], s[34:35]
	s_or_b32 s29, s29, s31
	s_and_not1_b32 exec_lo, exec_lo, s30
	s_cbranch_execnz .LBB563_30
; %bb.31:
	s_or_b32 exec_lo, exec_lo, s30
	v_mul_u64_e32 v[20:21], s[18:19], v[10:11]
	s_mov_b32 s30, 0
                                        ; implicit-def: $sgpr3
	s_delay_alu instid0(VALU_DEP_1)
	v_lshl_add_u64 v[20:21], v[20:21], 3, s[8:9]
.LBB563_32:                             ; =>This Inner Loop Header: Depth=1
	global_load_b64 v[22:23], v[20:21], off
	global_load_b64 v[28:29], v[16:17], off
	s_cmp_eq_u64 s[6:7], 0
	s_add_nc_u64 s[34:35], s[6:7], -1
	s_cselect_b32 s6, -1, 0
	s_wait_xcnt 0x1
	v_add_nc_u64_e32 v[20:21], 8, v[20:21]
	s_wait_xcnt 0x0
	v_add_nc_u64_e32 v[16:17], 8, v[16:17]
	s_wait_loadcnt 0x0
	v_cmp_ne_u64_e32 vcc_lo, v[22:23], v[28:29]
	v_cmp_eq_u64_e64 s2, v[22:23], v[28:29]
	s_or_b32 s6, vcc_lo, s6
	s_delay_alu instid0(SALU_CYCLE_1) | instskip(NEXT) | instid1(SALU_CYCLE_1)
	s_and_b32 s6, exec_lo, s6
	s_or_b32 s30, s6, s30
	s_and_not1_b32 s3, s3, exec_lo
	s_and_b32 s2, s2, exec_lo
	s_mov_b64 s[6:7], s[34:35]
	s_or_b32 s3, s3, s2
	s_and_not1_b32 exec_lo, exec_lo, s30
	s_cbranch_execnz .LBB563_32
; %bb.33:
	s_or_b32 exec_lo, exec_lo, s30
	s_xor_b32 s2, s28, -1
	s_xor_b32 s3, s3, -1
	v_cndmask_b32_e64 v16, 0, 1, s2
	s_xor_b32 s2, s29, -1
	s_delay_alu instid0(SALU_CYCLE_1) | instskip(SKIP_1) | instid1(VALU_DEP_2)
	v_cndmask_b32_e64 v17, 0, 1, s2
	s_xor_b32 s2, s26, -1
	v_lshlrev_b16 v16, 8, v16
	v_cndmask_b32_e64 v31, 0, 1, s2
	s_xor_b32 s2, s25, -1
	s_delay_alu instid0(SALU_CYCLE_1) | instskip(NEXT) | instid1(VALU_DEP_3)
	v_cndmask_b32_e64 v30, 0, 1, s2
	v_lshrrev_b32_e32 v16, 8, v16
	s_xor_b32 s2, s27, -1
	s_delay_alu instid0(VALU_DEP_1) | instskip(NEXT) | instid1(VALU_DEP_1)
	v_and_b32_e32 v16, 1, v16
	v_lshlrev_b16 v16, 8, v16
	s_delay_alu instid0(VALU_DEP_1) | instskip(SKIP_1) | instid1(VALU_DEP_2)
	v_or_b32_e32 v16, v17, v16
	v_cndmask_b32_e64 v17, 0, 1, s2
	v_lshlrev_b32_e32 v16, 16, v16
	s_branch .LBB563_38
.LBB563_34:
                                        ; implicit-def: $sgpr2
                                        ; implicit-def: $vgpr30
                                        ; implicit-def: $vgpr31
                                        ; implicit-def: $vgpr17
                                        ; implicit-def: $vgpr21
	s_branch .LBB563_91
.LBB563_35:
                                        ; implicit-def: $vgpr33
                                        ; implicit-def: $vgpr32
                                        ; implicit-def: $vgpr20
	s_branch .LBB563_160
.LBB563_36:
                                        ; implicit-def: $sgpr2
                                        ; implicit-def: $vgpr30
                                        ; implicit-def: $vgpr31
                                        ; implicit-def: $vgpr17
                                        ; implicit-def: $vgpr21
	s_cbranch_execnz .LBB563_45
	s_branch .LBB563_90
.LBB563_37:
	v_dual_mov_b32 v16, 0 :: v_dual_mov_b32 v30, 0
	v_dual_mov_b32 v31, 0 :: v_dual_mov_b32 v17, 0
	s_mov_b32 s3, 0
.LBB563_38:
	s_wait_kmcnt 0x0
	v_mov_b64_e32 v[20:21], s[4:5]
	s_mov_b32 s2, 0
	s_mov_b32 s6, exec_lo
	s_wait_dscnt 0x0
	s_barrier_signal -1
	s_barrier_wait -1
	v_cmpx_ne_u32_e32 0, v0
; %bb.39:
	v_add_nc_u32_e32 v20, -8, v26
	ds_load_b64 v[20:21], v20
; %bb.40:
	s_or_b32 exec_lo, exec_lo, s6
	v_cndmask_b32_e64 v22, 0, 1, s3
	v_lshrrev_b32_e32 v23, 16, v16
	s_and_not1_b32 vcc_lo, exec_lo, s24
	s_delay_alu instid0(VALU_DEP_2) | instskip(NEXT) | instid1(VALU_DEP_1)
	v_lshlrev_b16 v22, 8, v22
	v_bitop3_b16 v22, v16, v22, 0xff bitop3:0xec
	s_delay_alu instid0(VALU_DEP_3) | instskip(NEXT) | instid1(VALU_DEP_2)
	v_perm_b32 v16, v23, v16, 0xc0c0304
	v_and_b32_e32 v27, 0xffff, v22
	s_cbranch_vccnz .LBB563_44
; %bb.41:
	s_wait_dscnt 0x0
	v_mul_u64_e32 v[20:21], s[18:19], v[20:21]
	v_mul_u64_e32 v[22:23], s[18:19], v[10:11]
	s_add_nc_u64 s[2:3], s[18:19], -1
	s_mov_b32 s6, 0
                                        ; implicit-def: $sgpr7
	s_delay_alu instid0(VALU_DEP_2) | instskip(NEXT) | instid1(VALU_DEP_2)
	v_lshl_add_u64 v[20:21], v[20:21], 3, s[8:9]
	v_lshl_add_u64 v[22:23], v[22:23], 3, s[8:9]
.LBB563_42:                             ; =>This Inner Loop Header: Depth=1
	global_load_b64 v[28:29], v[20:21], off
	global_load_b64 v[32:33], v[22:23], off
	s_cmp_eq_u64 s[2:3], 0
	s_add_nc_u64 s[26:27], s[2:3], -1
	s_cselect_b32 s3, -1, 0
	s_wait_xcnt 0x1
	v_add_nc_u64_e32 v[20:21], 8, v[20:21]
	s_wait_xcnt 0x0
	v_add_nc_u64_e32 v[22:23], 8, v[22:23]
	s_wait_loadcnt 0x0
	v_cmp_ne_u64_e32 vcc_lo, v[28:29], v[32:33]
	v_cmp_eq_u64_e64 s2, v[28:29], v[32:33]
	s_or_b32 s3, vcc_lo, s3
	s_delay_alu instid0(SALU_CYCLE_1) | instskip(NEXT) | instid1(SALU_CYCLE_1)
	s_and_b32 s3, exec_lo, s3
	s_or_b32 s6, s3, s6
	s_and_not1_b32 s7, s7, exec_lo
	s_and_b32 s25, s2, exec_lo
	s_mov_b64 s[2:3], s[26:27]
	s_or_b32 s7, s7, s25
	s_and_not1_b32 exec_lo, exec_lo, s6
	s_cbranch_execnz .LBB563_42
; %bb.43:
	s_or_b32 exec_lo, exec_lo, s6
	s_xor_b32 s2, s7, -1
.LBB563_44:
	s_wait_dscnt 0x0
	s_delay_alu instid0(VALU_DEP_1)
	v_lshl_or_b32 v21, v16, 16, v27
	s_branch .LBB563_90
.LBB563_45:
	v_add_nc_u32_e32 v16, 6, v19
	s_mov_b32 s7, 0
	s_mov_b32 s6, 0
	s_mov_b32 s25, exec_lo
	s_delay_alu instid0(VALU_DEP_1)
	v_cmpx_gt_u32_e64 s21, v16
	s_cbranch_execz .LBB563_51
; %bb.46:
	s_and_not1_b32 vcc_lo, exec_lo, s24
	s_mov_b32 s2, 0
	s_cbranch_vccnz .LBB563_50
; %bb.47:
	v_mul_u64_e32 v[16:17], s[18:19], v[4:5]
	v_mul_u64_e32 v[20:21], s[18:19], v[14:15]
	s_add_nc_u64 s[2:3], s[18:19], -1
                                        ; implicit-def: $sgpr24
	s_delay_alu instid0(VALU_DEP_2) | instskip(NEXT) | instid1(VALU_DEP_2)
	v_lshl_add_u64 v[16:17], v[16:17], 3, s[8:9]
	v_lshl_add_u64 v[20:21], v[20:21], 3, s[8:9]
.LBB563_48:                             ; =>This Inner Loop Header: Depth=1
	global_load_b64 v[22:23], v[16:17], off
	global_load_b64 v[28:29], v[20:21], off
	s_cmp_eq_u64 s[2:3], 0
	s_add_nc_u64 s[26:27], s[2:3], -1
	s_cselect_b32 s3, -1, 0
	s_wait_xcnt 0x1
	v_add_nc_u64_e32 v[16:17], 8, v[16:17]
	s_wait_xcnt 0x0
	v_add_nc_u64_e32 v[20:21], 8, v[20:21]
	s_wait_loadcnt 0x0
	v_cmp_ne_u64_e32 vcc_lo, v[22:23], v[28:29]
	v_cmp_eq_u64_e64 s2, v[22:23], v[28:29]
	s_or_b32 s3, vcc_lo, s3
	s_delay_alu instid0(SALU_CYCLE_1) | instskip(NEXT) | instid1(SALU_CYCLE_1)
	s_and_b32 s3, exec_lo, s3
	s_or_b32 s6, s3, s6
	s_and_not1_b32 s24, s24, exec_lo
	s_and_b32 s28, s2, exec_lo
	s_mov_b64 s[2:3], s[26:27]
	s_or_b32 s24, s24, s28
	s_and_not1_b32 exec_lo, exec_lo, s6
	s_cbranch_execnz .LBB563_48
; %bb.49:
	s_or_b32 exec_lo, exec_lo, s6
	s_xor_b32 s2, s24, -1
.LBB563_50:
	s_delay_alu instid0(SALU_CYCLE_1)
	s_and_b32 s6, s2, exec_lo
.LBB563_51:
	s_or_b32 exec_lo, exec_lo, s25
	v_add_nc_u32_e32 v16, 5, v19
	s_mov_b32 s24, exec_lo
	s_delay_alu instid0(VALU_DEP_1)
	v_cmpx_gt_u32_e64 s21, v16
	s_cbranch_execz .LBB563_57
; %bb.52:
	v_cmp_ne_u32_e32 vcc_lo, 1, v25
	s_mov_b32 s2, 0
	s_cbranch_vccnz .LBB563_56
; %bb.53:
	v_mul_u64_e32 v[16:17], s[18:19], v[2:3]
	v_mul_u64_e32 v[20:21], s[18:19], v[4:5]
	s_add_nc_u64 s[2:3], s[18:19], -1
	s_mov_b32 s7, 0
                                        ; implicit-def: $sgpr25
	s_delay_alu instid0(VALU_DEP_2) | instskip(NEXT) | instid1(VALU_DEP_2)
	v_lshl_add_u64 v[16:17], v[16:17], 3, s[8:9]
	v_lshl_add_u64 v[20:21], v[20:21], 3, s[8:9]
.LBB563_54:                             ; =>This Inner Loop Header: Depth=1
	global_load_b64 v[22:23], v[16:17], off
	global_load_b64 v[28:29], v[20:21], off
	s_cmp_eq_u64 s[2:3], 0
	s_add_nc_u64 s[26:27], s[2:3], -1
	s_cselect_b32 s3, -1, 0
	s_wait_xcnt 0x1
	v_add_nc_u64_e32 v[16:17], 8, v[16:17]
	s_wait_xcnt 0x0
	v_add_nc_u64_e32 v[20:21], 8, v[20:21]
	s_wait_loadcnt 0x0
	v_cmp_ne_u64_e32 vcc_lo, v[22:23], v[28:29]
	v_cmp_eq_u64_e64 s2, v[22:23], v[28:29]
	s_or_b32 s3, vcc_lo, s3
	s_delay_alu instid0(SALU_CYCLE_1) | instskip(NEXT) | instid1(SALU_CYCLE_1)
	s_and_b32 s3, exec_lo, s3
	s_or_b32 s7, s3, s7
	s_and_not1_b32 s25, s25, exec_lo
	s_and_b32 s28, s2, exec_lo
	s_mov_b64 s[2:3], s[26:27]
	s_or_b32 s25, s25, s28
	s_and_not1_b32 exec_lo, exec_lo, s7
	s_cbranch_execnz .LBB563_54
; %bb.55:
	s_or_b32 exec_lo, exec_lo, s7
	s_xor_b32 s2, s25, -1
.LBB563_56:
	s_delay_alu instid0(SALU_CYCLE_1)
	s_and_b32 s7, s2, exec_lo
.LBB563_57:
	s_or_b32 exec_lo, exec_lo, s24
	v_add_nc_u32_e32 v16, 4, v19
	s_mov_b32 s25, 0
	s_mov_b32 s24, 0
	s_mov_b32 s26, exec_lo
	s_delay_alu instid0(VALU_DEP_1)
	v_cmpx_gt_u32_e64 s21, v16
	s_cbranch_execz .LBB563_63
; %bb.58:
	v_cmp_ne_u32_e32 vcc_lo, 1, v25
	s_mov_b32 s2, 0
	s_cbranch_vccnz .LBB563_62
; %bb.59:
	v_mul_u64_e32 v[16:17], s[18:19], v[8:9]
	v_mul_u64_e32 v[20:21], s[18:19], v[2:3]
	s_add_nc_u64 s[2:3], s[18:19], -1
                                        ; implicit-def: $sgpr27
	s_delay_alu instid0(VALU_DEP_2) | instskip(NEXT) | instid1(VALU_DEP_2)
	v_lshl_add_u64 v[16:17], v[16:17], 3, s[8:9]
	v_lshl_add_u64 v[20:21], v[20:21], 3, s[8:9]
.LBB563_60:                             ; =>This Inner Loop Header: Depth=1
	global_load_b64 v[22:23], v[16:17], off
	global_load_b64 v[28:29], v[20:21], off
	s_cmp_eq_u64 s[2:3], 0
	s_add_nc_u64 s[28:29], s[2:3], -1
	s_cselect_b32 s3, -1, 0
	s_wait_xcnt 0x1
	v_add_nc_u64_e32 v[16:17], 8, v[16:17]
	s_wait_xcnt 0x0
	v_add_nc_u64_e32 v[20:21], 8, v[20:21]
	s_wait_loadcnt 0x0
	v_cmp_ne_u64_e32 vcc_lo, v[22:23], v[28:29]
	v_cmp_eq_u64_e64 s2, v[22:23], v[28:29]
	s_or_b32 s3, vcc_lo, s3
	s_delay_alu instid0(SALU_CYCLE_1) | instskip(NEXT) | instid1(SALU_CYCLE_1)
	s_and_b32 s3, exec_lo, s3
	s_or_b32 s24, s3, s24
	s_and_not1_b32 s27, s27, exec_lo
	s_and_b32 s30, s2, exec_lo
	s_mov_b64 s[2:3], s[28:29]
	s_or_b32 s27, s27, s30
	s_and_not1_b32 exec_lo, exec_lo, s24
	s_cbranch_execnz .LBB563_60
; %bb.61:
	s_or_b32 exec_lo, exec_lo, s24
	s_xor_b32 s2, s27, -1
.LBB563_62:
	s_delay_alu instid0(SALU_CYCLE_1)
	s_and_b32 s24, s2, exec_lo
.LBB563_63:
	s_or_b32 exec_lo, exec_lo, s26
	v_add_nc_u32_e32 v16, 3, v19
	s_mov_b32 s26, exec_lo
	s_delay_alu instid0(VALU_DEP_1)
	v_cmpx_gt_u32_e64 s21, v16
	s_cbranch_execz .LBB563_69
; %bb.64:
	v_cmp_ne_u32_e32 vcc_lo, 1, v25
	s_mov_b32 s2, 0
	s_cbranch_vccnz .LBB563_68
; %bb.65:
	v_mul_u64_e32 v[16:17], s[18:19], v[6:7]
	v_mul_u64_e32 v[20:21], s[18:19], v[8:9]
	s_add_nc_u64 s[2:3], s[18:19], -1
	s_mov_b32 s25, 0
                                        ; implicit-def: $sgpr27
	s_delay_alu instid0(VALU_DEP_2) | instskip(NEXT) | instid1(VALU_DEP_2)
	v_lshl_add_u64 v[16:17], v[16:17], 3, s[8:9]
	v_lshl_add_u64 v[20:21], v[20:21], 3, s[8:9]
.LBB563_66:                             ; =>This Inner Loop Header: Depth=1
	global_load_b64 v[22:23], v[16:17], off
	global_load_b64 v[28:29], v[20:21], off
	s_cmp_eq_u64 s[2:3], 0
	s_add_nc_u64 s[28:29], s[2:3], -1
	s_cselect_b32 s3, -1, 0
	s_wait_xcnt 0x1
	v_add_nc_u64_e32 v[16:17], 8, v[16:17]
	s_wait_xcnt 0x0
	v_add_nc_u64_e32 v[20:21], 8, v[20:21]
	s_wait_loadcnt 0x0
	v_cmp_ne_u64_e32 vcc_lo, v[22:23], v[28:29]
	v_cmp_eq_u64_e64 s2, v[22:23], v[28:29]
	s_or_b32 s3, vcc_lo, s3
	s_delay_alu instid0(SALU_CYCLE_1) | instskip(NEXT) | instid1(SALU_CYCLE_1)
	s_and_b32 s3, exec_lo, s3
	s_or_b32 s25, s3, s25
	s_and_not1_b32 s27, s27, exec_lo
	s_and_b32 s30, s2, exec_lo
	s_mov_b64 s[2:3], s[28:29]
	s_or_b32 s27, s27, s30
	s_and_not1_b32 exec_lo, exec_lo, s25
	s_cbranch_execnz .LBB563_66
; %bb.67:
	s_or_b32 exec_lo, exec_lo, s25
	s_xor_b32 s2, s27, -1
.LBB563_68:
	s_delay_alu instid0(SALU_CYCLE_1)
	s_and_b32 s25, s2, exec_lo
.LBB563_69:
	s_or_b32 exec_lo, exec_lo, s26
	v_add_nc_u32_e32 v16, 2, v19
	s_mov_b32 s26, 0
	s_mov_b32 s27, 0
	s_mov_b32 s28, exec_lo
	s_delay_alu instid0(VALU_DEP_1)
	v_cmpx_gt_u32_e64 s21, v16
	s_cbranch_execz .LBB563_75
; %bb.70:
	v_cmp_ne_u32_e32 vcc_lo, 1, v25
	s_mov_b32 s2, 0
	s_cbranch_vccnz .LBB563_74
; %bb.71:
	v_mul_u64_e32 v[16:17], s[18:19], v[12:13]
	v_mul_u64_e32 v[20:21], s[18:19], v[6:7]
	s_add_nc_u64 s[2:3], s[18:19], -1
                                        ; implicit-def: $sgpr29
	s_delay_alu instid0(VALU_DEP_2) | instskip(NEXT) | instid1(VALU_DEP_2)
	v_lshl_add_u64 v[16:17], v[16:17], 3, s[8:9]
	v_lshl_add_u64 v[20:21], v[20:21], 3, s[8:9]
.LBB563_72:                             ; =>This Inner Loop Header: Depth=1
	global_load_b64 v[22:23], v[16:17], off
	global_load_b64 v[28:29], v[20:21], off
	s_cmp_eq_u64 s[2:3], 0
	s_add_nc_u64 s[30:31], s[2:3], -1
	s_cselect_b32 s3, -1, 0
	s_wait_xcnt 0x1
	v_add_nc_u64_e32 v[16:17], 8, v[16:17]
	s_wait_xcnt 0x0
	v_add_nc_u64_e32 v[20:21], 8, v[20:21]
	s_wait_loadcnt 0x0
	v_cmp_ne_u64_e32 vcc_lo, v[22:23], v[28:29]
	v_cmp_eq_u64_e64 s2, v[22:23], v[28:29]
	s_or_b32 s3, vcc_lo, s3
	s_delay_alu instid0(SALU_CYCLE_1) | instskip(NEXT) | instid1(SALU_CYCLE_1)
	s_and_b32 s3, exec_lo, s3
	s_or_b32 s27, s3, s27
	s_and_not1_b32 s29, s29, exec_lo
	s_and_b32 s33, s2, exec_lo
	s_mov_b64 s[2:3], s[30:31]
	s_or_b32 s29, s29, s33
	s_and_not1_b32 exec_lo, exec_lo, s27
	s_cbranch_execnz .LBB563_72
; %bb.73:
	s_or_b32 exec_lo, exec_lo, s27
	s_xor_b32 s2, s29, -1
.LBB563_74:
	s_delay_alu instid0(SALU_CYCLE_1)
	s_and_b32 s27, s2, exec_lo
.LBB563_75:
	s_or_b32 exec_lo, exec_lo, s28
	v_add_nc_u32_e32 v16, 1, v19
	s_mov_b32 s28, exec_lo
	s_delay_alu instid0(VALU_DEP_1)
	v_cmpx_gt_u32_e64 s21, v16
	s_cbranch_execz .LBB563_81
; %bb.76:
	v_cmp_ne_u32_e32 vcc_lo, 1, v25
	s_mov_b32 s2, 0
	s_cbranch_vccnz .LBB563_80
; %bb.77:
	v_mul_u64_e32 v[16:17], s[18:19], v[10:11]
	v_mul_u64_e32 v[20:21], s[18:19], v[12:13]
	s_add_nc_u64 s[2:3], s[18:19], -1
	s_mov_b32 s26, 0
                                        ; implicit-def: $sgpr29
	s_delay_alu instid0(VALU_DEP_2) | instskip(NEXT) | instid1(VALU_DEP_2)
	v_lshl_add_u64 v[16:17], v[16:17], 3, s[8:9]
	v_lshl_add_u64 v[20:21], v[20:21], 3, s[8:9]
.LBB563_78:                             ; =>This Inner Loop Header: Depth=1
	global_load_b64 v[22:23], v[16:17], off
	global_load_b64 v[28:29], v[20:21], off
	s_cmp_eq_u64 s[2:3], 0
	s_add_nc_u64 s[30:31], s[2:3], -1
	s_cselect_b32 s3, -1, 0
	s_wait_xcnt 0x1
	v_add_nc_u64_e32 v[16:17], 8, v[16:17]
	s_wait_xcnt 0x0
	v_add_nc_u64_e32 v[20:21], 8, v[20:21]
	s_wait_loadcnt 0x0
	v_cmp_ne_u64_e32 vcc_lo, v[22:23], v[28:29]
	v_cmp_eq_u64_e64 s2, v[22:23], v[28:29]
	s_or_b32 s3, vcc_lo, s3
	s_delay_alu instid0(SALU_CYCLE_1) | instskip(NEXT) | instid1(SALU_CYCLE_1)
	s_and_b32 s3, exec_lo, s3
	s_or_b32 s26, s3, s26
	s_and_not1_b32 s29, s29, exec_lo
	s_and_b32 s33, s2, exec_lo
	s_mov_b64 s[2:3], s[30:31]
	s_or_b32 s29, s29, s33
	s_and_not1_b32 exec_lo, exec_lo, s26
	s_cbranch_execnz .LBB563_78
; %bb.79:
	s_or_b32 exec_lo, exec_lo, s26
	s_xor_b32 s2, s29, -1
.LBB563_80:
	s_delay_alu instid0(SALU_CYCLE_1)
	s_and_b32 s26, s2, exec_lo
.LBB563_81:
	s_or_b32 exec_lo, exec_lo, s28
	s_wait_kmcnt 0x0
	v_mov_b64_e32 v[16:17], s[4:5]
	s_mov_b32 s2, 0
	s_mov_b32 s3, exec_lo
	s_wait_dscnt 0x0
	s_barrier_signal -1
	s_barrier_wait -1
	v_cmpx_ne_u32_e32 0, v0
; %bb.82:
	v_add_nc_u32_e32 v16, -8, v26
	ds_load_b64 v[16:17], v16
; %bb.83:
	s_or_b32 exec_lo, exec_lo, s3
	v_cndmask_b32_e64 v20, 0, 1, s25
	v_cndmask_b32_e64 v21, 0, 1, s27
	;; [unrolled: 1-line block ×3, first 2 shown]
	s_mov_b32 s4, exec_lo
	s_delay_alu instid0(VALU_DEP_3) | instskip(NEXT) | instid1(VALU_DEP_2)
	v_lshlrev_b16 v20, 8, v20
	v_lshlrev_b16 v22, 8, v22
	s_delay_alu instid0(VALU_DEP_2) | instskip(NEXT) | instid1(VALU_DEP_2)
	v_or_b32_e32 v20, v21, v20
	v_and_b32_e32 v22, 0xffff, v22
	s_delay_alu instid0(VALU_DEP_2)
	v_lshlrev_b32_e32 v23, 16, v20
	v_cmpx_gt_u32_e64 s21, v19
	s_cbranch_execz .LBB563_89
; %bb.84:
	v_cmp_ne_u32_e32 vcc_lo, 1, v25
	s_cbranch_vccnz .LBB563_88
; %bb.85:
	s_wait_dscnt 0x0
	v_mul_u64_e32 v[16:17], s[18:19], v[16:17]
	v_mul_u64_e32 v[20:21], s[18:19], v[10:11]
	s_add_nc_u64 s[2:3], s[18:19], -1
	s_mov_b32 s5, 0
                                        ; implicit-def: $sgpr25
	s_delay_alu instid0(VALU_DEP_2) | instskip(NEXT) | instid1(VALU_DEP_2)
	v_lshl_add_u64 v[16:17], v[16:17], 3, s[8:9]
	v_lshl_add_u64 v[20:21], v[20:21], 3, s[8:9]
.LBB563_86:                             ; =>This Inner Loop Header: Depth=1
	global_load_b64 v[26:27], v[16:17], off
	global_load_b64 v[28:29], v[20:21], off
	s_cmp_eq_u64 s[2:3], 0
	s_add_nc_u64 s[26:27], s[2:3], -1
	s_cselect_b32 s3, -1, 0
	s_wait_xcnt 0x1
	v_add_nc_u64_e32 v[16:17], 8, v[16:17]
	s_wait_xcnt 0x0
	v_add_nc_u64_e32 v[20:21], 8, v[20:21]
	s_wait_loadcnt 0x0
	v_cmp_ne_u64_e32 vcc_lo, v[26:27], v[28:29]
	v_cmp_eq_u64_e64 s2, v[26:27], v[28:29]
	s_or_b32 s3, vcc_lo, s3
	s_delay_alu instid0(SALU_CYCLE_1) | instskip(NEXT) | instid1(SALU_CYCLE_1)
	s_and_b32 s3, exec_lo, s3
	s_or_b32 s5, s3, s5
	s_and_not1_b32 s25, s25, exec_lo
	s_and_b32 s28, s2, exec_lo
	s_mov_b64 s[2:3], s[26:27]
	s_or_b32 s25, s25, s28
	s_and_not1_b32 exec_lo, exec_lo, s5
	s_cbranch_execnz .LBB563_86
; %bb.87:
	s_or_b32 exec_lo, exec_lo, s5
	s_xor_b32 s2, s25, -1
.LBB563_88:
	s_delay_alu instid0(SALU_CYCLE_1)
	s_and_b32 s2, s2, exec_lo
.LBB563_89:
	s_or_b32 exec_lo, exec_lo, s4
	s_wait_dscnt 0x0
	v_cndmask_b32_e64 v17, 0, 1, s24
	v_cndmask_b32_e64 v31, 0, 1, s7
	;; [unrolled: 1-line block ×3, first 2 shown]
	v_or_b32_e32 v21, v22, v23
.LBB563_90:
	s_mov_b32 s6, -1
	s_cbranch_execnz .LBB563_35
.LBB563_91:
	v_cmp_gt_i64_e64 s7, s[18:19], 0
	v_mad_i32_i24 v26, 0xffffffd0, v0, v24
	s_and_b32 vcc_lo, exec_lo, s17
	ds_store_b64 v26, v[14:15]
	s_cbranch_vccz .LBB563_106
; %bb.92:
	s_and_not1_b32 vcc_lo, exec_lo, s7
	s_cbranch_vccnz .LBB563_107
; %bb.93:
	v_mul_u64_e32 v[16:17], s[18:19], v[4:5]
	v_mul_u64_e32 v[20:21], s[18:19], v[14:15]
	s_wait_kmcnt 0x0
	s_add_nc_u64 s[4:5], s[18:19], -1
	s_mov_b32 s25, 0
	s_mov_b64 s[2:3], s[4:5]
                                        ; implicit-def: $sgpr24
	s_delay_alu instid0(VALU_DEP_2) | instskip(NEXT) | instid1(VALU_DEP_2)
	v_lshl_add_u64 v[16:17], v[16:17], 3, s[8:9]
	v_lshl_add_u64 v[20:21], v[20:21], 3, s[8:9]
	s_delay_alu instid0(VALU_DEP_2)
	v_mov_b64_e32 v[22:23], v[16:17]
.LBB563_94:                             ; =>This Inner Loop Header: Depth=1
	global_load_b64 v[24:25], v[22:23], off
	global_load_b64 v[28:29], v[20:21], off
	s_cmp_eq_u64 s[2:3], 0
	s_add_nc_u64 s[26:27], s[2:3], -1
	s_cselect_b32 s3, -1, 0
	s_wait_xcnt 0x1
	v_add_nc_u64_e32 v[22:23], 8, v[22:23]
	s_wait_xcnt 0x0
	v_add_nc_u64_e32 v[20:21], 8, v[20:21]
	s_wait_loadcnt 0x0
	v_cmp_ne_u64_e32 vcc_lo, v[24:25], v[28:29]
	v_cmp_eq_u64_e64 s2, v[24:25], v[28:29]
	s_or_b32 s3, vcc_lo, s3
	s_delay_alu instid0(SALU_CYCLE_1) | instskip(NEXT) | instid1(SALU_CYCLE_1)
	s_and_b32 s3, exec_lo, s3
	s_or_b32 s25, s3, s25
	s_and_not1_b32 s24, s24, exec_lo
	s_and_b32 s28, s2, exec_lo
	s_mov_b64 s[2:3], s[26:27]
	s_or_b32 s24, s24, s28
	s_and_not1_b32 exec_lo, exec_lo, s25
	s_cbranch_execnz .LBB563_94
; %bb.95:
	s_or_b32 exec_lo, exec_lo, s25
	v_mul_u64_e32 v[20:21], s[18:19], v[2:3]
	s_mov_b32 s26, 0
	s_mov_b64 s[2:3], s[4:5]
                                        ; implicit-def: $sgpr25
	s_delay_alu instid0(VALU_DEP_1) | instskip(NEXT) | instid1(VALU_DEP_1)
	v_lshl_add_u64 v[20:21], v[20:21], 3, s[8:9]
	v_mov_b64_e32 v[22:23], v[20:21]
.LBB563_96:                             ; =>This Inner Loop Header: Depth=1
	global_load_b64 v[24:25], v[22:23], off
	global_load_b64 v[28:29], v[16:17], off
	s_cmp_eq_u64 s[2:3], 0
	s_add_nc_u64 s[28:29], s[2:3], -1
	s_cselect_b32 s3, -1, 0
	s_wait_xcnt 0x1
	v_add_nc_u64_e32 v[22:23], 8, v[22:23]
	s_wait_xcnt 0x0
	v_add_nc_u64_e32 v[16:17], 8, v[16:17]
	s_wait_loadcnt 0x0
	v_cmp_ne_u64_e32 vcc_lo, v[24:25], v[28:29]
	v_cmp_eq_u64_e64 s2, v[24:25], v[28:29]
	s_or_b32 s3, vcc_lo, s3
	s_delay_alu instid0(SALU_CYCLE_1) | instskip(NEXT) | instid1(SALU_CYCLE_1)
	s_and_b32 s3, exec_lo, s3
	s_or_b32 s26, s3, s26
	s_and_not1_b32 s25, s25, exec_lo
	s_and_b32 s27, s2, exec_lo
	s_mov_b64 s[2:3], s[28:29]
	s_or_b32 s25, s25, s27
	s_and_not1_b32 exec_lo, exec_lo, s26
	s_cbranch_execnz .LBB563_96
; %bb.97:
	s_or_b32 exec_lo, exec_lo, s26
	v_mul_u64_e32 v[16:17], s[18:19], v[8:9]
	s_mov_b32 s27, 0
	s_mov_b64 s[2:3], s[4:5]
                                        ; implicit-def: $sgpr26
	s_delay_alu instid0(VALU_DEP_1) | instskip(NEXT) | instid1(VALU_DEP_1)
	v_lshl_add_u64 v[16:17], v[16:17], 3, s[8:9]
	v_mov_b64_e32 v[22:23], v[16:17]
.LBB563_98:                             ; =>This Inner Loop Header: Depth=1
	global_load_b64 v[24:25], v[22:23], off
	global_load_b64 v[28:29], v[20:21], off
	s_cmp_eq_u64 s[2:3], 0
	s_add_nc_u64 s[28:29], s[2:3], -1
	s_cselect_b32 s3, -1, 0
	s_wait_xcnt 0x1
	v_add_nc_u64_e32 v[22:23], 8, v[22:23]
	s_wait_xcnt 0x0
	v_add_nc_u64_e32 v[20:21], 8, v[20:21]
	s_wait_loadcnt 0x0
	v_cmp_ne_u64_e32 vcc_lo, v[24:25], v[28:29]
	v_cmp_eq_u64_e64 s2, v[24:25], v[28:29]
	s_or_b32 s3, vcc_lo, s3
	s_delay_alu instid0(SALU_CYCLE_1) | instskip(NEXT) | instid1(SALU_CYCLE_1)
	s_and_b32 s3, exec_lo, s3
	s_or_b32 s27, s3, s27
	s_and_not1_b32 s26, s26, exec_lo
	s_and_b32 s30, s2, exec_lo
	s_mov_b64 s[2:3], s[28:29]
	s_or_b32 s26, s26, s30
	s_and_not1_b32 exec_lo, exec_lo, s27
	s_cbranch_execnz .LBB563_98
; %bb.99:
	s_or_b32 exec_lo, exec_lo, s27
	v_mul_u64_e32 v[20:21], s[18:19], v[6:7]
	s_mov_b32 s28, 0
	s_mov_b64 s[2:3], s[4:5]
                                        ; implicit-def: $sgpr27
	s_delay_alu instid0(VALU_DEP_1) | instskip(NEXT) | instid1(VALU_DEP_1)
	v_lshl_add_u64 v[20:21], v[20:21], 3, s[8:9]
	v_mov_b64_e32 v[22:23], v[20:21]
.LBB563_100:                            ; =>This Inner Loop Header: Depth=1
	global_load_b64 v[24:25], v[22:23], off
	global_load_b64 v[28:29], v[16:17], off
	s_cmp_eq_u64 s[2:3], 0
	s_add_nc_u64 s[30:31], s[2:3], -1
	s_cselect_b32 s3, -1, 0
	s_wait_xcnt 0x1
	v_add_nc_u64_e32 v[22:23], 8, v[22:23]
	s_wait_xcnt 0x0
	v_add_nc_u64_e32 v[16:17], 8, v[16:17]
	s_wait_loadcnt 0x0
	v_cmp_ne_u64_e32 vcc_lo, v[24:25], v[28:29]
	v_cmp_eq_u64_e64 s2, v[24:25], v[28:29]
	s_or_b32 s3, vcc_lo, s3
	s_delay_alu instid0(SALU_CYCLE_1) | instskip(NEXT) | instid1(SALU_CYCLE_1)
	s_and_b32 s3, exec_lo, s3
	s_or_b32 s28, s3, s28
	s_and_not1_b32 s27, s27, exec_lo
	s_and_b32 s29, s2, exec_lo
	s_mov_b64 s[2:3], s[30:31]
	s_or_b32 s27, s27, s29
	s_and_not1_b32 exec_lo, exec_lo, s28
	s_cbranch_execnz .LBB563_100
; %bb.101:
	s_or_b32 exec_lo, exec_lo, s28
	v_mul_u64_e32 v[16:17], s[18:19], v[12:13]
	s_mov_b32 s29, 0
	s_mov_b64 s[2:3], s[4:5]
                                        ; implicit-def: $sgpr28
	s_delay_alu instid0(VALU_DEP_1) | instskip(NEXT) | instid1(VALU_DEP_1)
	v_lshl_add_u64 v[16:17], v[16:17], 3, s[8:9]
	v_mov_b64_e32 v[22:23], v[16:17]
.LBB563_102:                            ; =>This Inner Loop Header: Depth=1
	global_load_b64 v[24:25], v[22:23], off
	global_load_b64 v[28:29], v[20:21], off
	s_cmp_eq_u64 s[2:3], 0
	s_add_nc_u64 s[30:31], s[2:3], -1
	s_cselect_b32 s3, -1, 0
	s_wait_xcnt 0x1
	v_add_nc_u64_e32 v[22:23], 8, v[22:23]
	s_wait_xcnt 0x0
	v_add_nc_u64_e32 v[20:21], 8, v[20:21]
	s_wait_loadcnt 0x0
	v_cmp_ne_u64_e32 vcc_lo, v[24:25], v[28:29]
	v_cmp_eq_u64_e64 s2, v[24:25], v[28:29]
	s_or_b32 s3, vcc_lo, s3
	s_delay_alu instid0(SALU_CYCLE_1) | instskip(NEXT) | instid1(SALU_CYCLE_1)
	s_and_b32 s3, exec_lo, s3
	s_or_b32 s29, s3, s29
	s_and_not1_b32 s28, s28, exec_lo
	s_and_b32 s33, s2, exec_lo
	s_mov_b64 s[2:3], s[30:31]
	s_or_b32 s28, s28, s33
	s_and_not1_b32 exec_lo, exec_lo, s29
	s_cbranch_execnz .LBB563_102
; %bb.103:
	s_or_b32 exec_lo, exec_lo, s29
	v_mul_u64_e32 v[20:21], s[18:19], v[10:11]
	s_mov_b32 s29, 0
                                        ; implicit-def: $sgpr3
	s_delay_alu instid0(VALU_DEP_1)
	v_lshl_add_u64 v[20:21], v[20:21], 3, s[8:9]
.LBB563_104:                            ; =>This Inner Loop Header: Depth=1
	global_load_b64 v[22:23], v[20:21], off
	global_load_b64 v[24:25], v[16:17], off
	s_cmp_eq_u64 s[4:5], 0
	s_add_nc_u64 s[30:31], s[4:5], -1
	s_cselect_b32 s4, -1, 0
	s_wait_xcnt 0x1
	v_add_nc_u64_e32 v[20:21], 8, v[20:21]
	s_wait_xcnt 0x0
	v_add_nc_u64_e32 v[16:17], 8, v[16:17]
	s_wait_loadcnt 0x0
	v_cmp_ne_u64_e32 vcc_lo, v[22:23], v[24:25]
	v_cmp_eq_u64_e64 s2, v[22:23], v[24:25]
	s_or_b32 s4, vcc_lo, s4
	s_delay_alu instid0(SALU_CYCLE_1) | instskip(NEXT) | instid1(SALU_CYCLE_1)
	s_and_b32 s4, exec_lo, s4
	s_or_b32 s29, s4, s29
	s_and_not1_b32 s3, s3, exec_lo
	s_and_b32 s2, s2, exec_lo
	s_mov_b64 s[4:5], s[30:31]
	s_or_b32 s3, s3, s2
	s_and_not1_b32 exec_lo, exec_lo, s29
	s_cbranch_execnz .LBB563_104
; %bb.105:
	s_or_b32 exec_lo, exec_lo, s29
	s_xor_b32 s2, s27, -1
	s_delay_alu instid0(SALU_CYCLE_1) | instskip(SKIP_1) | instid1(SALU_CYCLE_1)
	v_cndmask_b32_e64 v16, 0, 1, s2
	s_xor_b32 s2, s28, -1
	v_cndmask_b32_e64 v17, 0, 1, s2
	s_xor_b32 s2, s25, -1
	s_delay_alu instid0(VALU_DEP_2) | instskip(SKIP_2) | instid1(SALU_CYCLE_1)
	v_lshlrev_b16 v16, 8, v16
	v_cndmask_b32_e64 v31, 0, 1, s2
	s_xor_b32 s2, s24, -1
	v_cndmask_b32_e64 v30, 0, 1, s2
	s_delay_alu instid0(VALU_DEP_3) | instskip(SKIP_1) | instid1(VALU_DEP_1)
	v_lshrrev_b32_e32 v16, 8, v16
	s_xor_b32 s2, s26, -1
	v_and_b32_e32 v16, 1, v16
	s_delay_alu instid0(VALU_DEP_1) | instskip(NEXT) | instid1(VALU_DEP_1)
	v_lshlrev_b16 v16, 8, v16
	v_or_b32_e32 v16, v17, v16
	v_cndmask_b32_e64 v17, 0, 1, s2
	s_xor_b32 s2, s3, -1
	s_delay_alu instid0(VALU_DEP_2)
	v_lshlrev_b32_e32 v16, 16, v16
	s_branch .LBB563_108
.LBB563_106:
	s_wait_kmcnt 0x0
                                        ; implicit-def: $sgpr2
                                        ; implicit-def: $vgpr30
                                        ; implicit-def: $vgpr31
                                        ; implicit-def: $vgpr17
                                        ; implicit-def: $vgpr21
                                        ; implicit-def: $vgpr33
                                        ; implicit-def: $vgpr32
                                        ; implicit-def: $vgpr20
	s_cbranch_execnz .LBB563_115
	s_branch .LBB563_160
.LBB563_107:
	v_dual_mov_b32 v16, 0 :: v_dual_mov_b32 v30, 0
	v_dual_mov_b32 v31, 0 :: v_dual_mov_b32 v17, 0
	s_mov_b32 s2, 0
.LBB563_108:
	s_delay_alu instid0(VALU_DEP_1)
	v_dual_lshrrev_b32 v32, 16, v16 :: v_dual_lshrrev_b32 v20, 24, v16
	v_cndmask_b32_e64 v33, 0, 1, s2
	v_mov_b32_e32 v16, 1
	s_wait_kmcnt 0x0
	s_mov_b32 s4, 0
	s_wait_dscnt 0x0
	s_barrier_signal -1
	s_barrier_wait -1
                                        ; implicit-def: $sgpr2
                                        ; implicit-def: $vgpr21
	s_mov_b32 s3, exec_lo
	v_cmpx_ne_u32_e32 0, v0
	s_xor_b32 s5, exec_lo, s3
	s_cbranch_execz .LBB563_114
; %bb.109:
	v_lshlrev_b16 v21, 8, v20
	v_lshlrev_b16 v22, 8, v33
	s_and_not1_b32 vcc_lo, exec_lo, s7
	s_mov_b32 s2, 0
	s_delay_alu instid0(VALU_DEP_2) | instskip(NEXT) | instid1(VALU_DEP_1)
	v_bitop3_b16 v21, v32, v21, 0xff bitop3:0xec
	v_dual_lshlrev_b32 v21, 16, v21 :: v_dual_bitop2_b32 v22, 1, v22 bitop3:0x54
	s_delay_alu instid0(VALU_DEP_1) | instskip(NEXT) | instid1(VALU_DEP_1)
	v_and_b32_e32 v22, 0xffff, v22
	v_or_b32_e32 v21, v22, v21
	s_cbranch_vccnz .LBB563_113
; %bb.110:
	v_add_nc_u32_e32 v22, -8, v26
	v_mul_u64_e32 v[24:25], s[18:19], v[10:11]
	s_add_nc_u64 s[2:3], s[18:19], -1
	s_mov_b32 s24, 0
                                        ; implicit-def: $sgpr25
	ds_load_b64 v[22:23], v22
	s_wait_dscnt 0x0
	v_mul_u64_e32 v[22:23], s[18:19], v[22:23]
	v_lshl_add_u64 v[24:25], v[24:25], 3, s[8:9]
	s_delay_alu instid0(VALU_DEP_2)
	v_lshl_add_u64 v[22:23], v[22:23], 3, s[8:9]
.LBB563_111:                            ; =>This Inner Loop Header: Depth=1
	global_load_b64 v[28:29], v[22:23], off
	global_load_b64 v[34:35], v[24:25], off
	s_cmp_eq_u64 s[2:3], 0
	s_add_nc_u64 s[26:27], s[2:3], -1
	s_cselect_b32 s3, -1, 0
	s_wait_xcnt 0x1
	v_add_nc_u64_e32 v[22:23], 8, v[22:23]
	s_wait_xcnt 0x0
	v_add_nc_u64_e32 v[24:25], 8, v[24:25]
	s_wait_loadcnt 0x0
	v_cmp_ne_u64_e32 vcc_lo, v[28:29], v[34:35]
	v_cmp_eq_u64_e64 s2, v[28:29], v[34:35]
	s_or_b32 s3, vcc_lo, s3
	s_delay_alu instid0(SALU_CYCLE_1) | instskip(NEXT) | instid1(SALU_CYCLE_1)
	s_and_b32 s3, exec_lo, s3
	s_or_b32 s24, s3, s24
	s_and_not1_b32 s25, s25, exec_lo
	s_and_b32 s28, s2, exec_lo
	s_mov_b64 s[2:3], s[26:27]
	s_or_b32 s25, s25, s28
	s_and_not1_b32 exec_lo, exec_lo, s24
	s_cbranch_execnz .LBB563_111
; %bb.112:
	s_or_b32 exec_lo, exec_lo, s24
	s_xor_b32 s2, s25, -1
.LBB563_113:
	s_delay_alu instid0(VALU_DEP_1)
	v_perm_b32 v21, v21, v21, 0x3020104
	s_or_b32 s6, s6, exec_lo
.LBB563_114:
	s_or_b32 exec_lo, exec_lo, s5
	s_delay_alu instid0(SALU_CYCLE_1)
	s_and_b32 vcc_lo, exec_lo, s4
	s_cbranch_vccz .LBB563_160
.LBB563_115:
	v_add_nc_u32_e32 v16, 6, v19
	s_mov_b32 s5, 0
	s_mov_b32 s4, 0
	s_mov_b32 s24, exec_lo
	s_delay_alu instid0(VALU_DEP_1)
	v_cmpx_gt_u32_e64 s21, v16
	s_cbranch_execz .LBB563_121
; %bb.116:
	s_and_not1_b32 vcc_lo, exec_lo, s7
	s_mov_b32 s2, 0
	s_cbranch_vccnz .LBB563_120
; %bb.117:
	v_mul_u64_e32 v[16:17], s[18:19], v[4:5]
	v_mul_u64_e32 v[20:21], s[18:19], v[14:15]
	s_add_nc_u64 s[2:3], s[18:19], -1
                                        ; implicit-def: $sgpr25
	s_delay_alu instid0(VALU_DEP_2) | instskip(NEXT) | instid1(VALU_DEP_2)
	v_lshl_add_u64 v[16:17], v[16:17], 3, s[8:9]
	v_lshl_add_u64 v[20:21], v[20:21], 3, s[8:9]
.LBB563_118:                            ; =>This Inner Loop Header: Depth=1
	global_load_b64 v[22:23], v[16:17], off
	global_load_b64 v[24:25], v[20:21], off
	s_cmp_eq_u64 s[2:3], 0
	s_add_nc_u64 s[26:27], s[2:3], -1
	s_cselect_b32 s3, -1, 0
	s_wait_xcnt 0x1
	v_add_nc_u64_e32 v[16:17], 8, v[16:17]
	s_wait_xcnt 0x0
	v_add_nc_u64_e32 v[20:21], 8, v[20:21]
	s_wait_loadcnt 0x0
	v_cmp_ne_u64_e32 vcc_lo, v[22:23], v[24:25]
	v_cmp_eq_u64_e64 s2, v[22:23], v[24:25]
	s_or_b32 s3, vcc_lo, s3
	s_delay_alu instid0(SALU_CYCLE_1) | instskip(NEXT) | instid1(SALU_CYCLE_1)
	s_and_b32 s3, exec_lo, s3
	s_or_b32 s4, s3, s4
	s_and_not1_b32 s25, s25, exec_lo
	s_and_b32 s28, s2, exec_lo
	s_mov_b64 s[2:3], s[26:27]
	s_or_b32 s25, s25, s28
	s_and_not1_b32 exec_lo, exec_lo, s4
	s_cbranch_execnz .LBB563_118
; %bb.119:
	s_or_b32 exec_lo, exec_lo, s4
	s_xor_b32 s2, s25, -1
.LBB563_120:
	s_delay_alu instid0(SALU_CYCLE_1)
	s_and_b32 s4, s2, exec_lo
.LBB563_121:
	s_or_b32 exec_lo, exec_lo, s24
	v_add_nc_u32_e32 v16, 5, v19
	s_mov_b32 s24, exec_lo
	s_delay_alu instid0(VALU_DEP_1)
	v_cmpx_gt_u32_e64 s21, v16
	s_cbranch_execz .LBB563_127
; %bb.122:
	s_and_not1_b32 vcc_lo, exec_lo, s7
	s_mov_b32 s2, 0
	s_cbranch_vccnz .LBB563_126
; %bb.123:
	v_mul_u64_e32 v[16:17], s[18:19], v[2:3]
	v_mul_u64_e32 v[20:21], s[18:19], v[4:5]
	s_add_nc_u64 s[2:3], s[18:19], -1
	s_mov_b32 s5, 0
                                        ; implicit-def: $sgpr25
	s_delay_alu instid0(VALU_DEP_2) | instskip(NEXT) | instid1(VALU_DEP_2)
	v_lshl_add_u64 v[16:17], v[16:17], 3, s[8:9]
	v_lshl_add_u64 v[20:21], v[20:21], 3, s[8:9]
.LBB563_124:                            ; =>This Inner Loop Header: Depth=1
	global_load_b64 v[22:23], v[16:17], off
	global_load_b64 v[24:25], v[20:21], off
	s_cmp_eq_u64 s[2:3], 0
	s_add_nc_u64 s[26:27], s[2:3], -1
	s_cselect_b32 s3, -1, 0
	s_wait_xcnt 0x1
	v_add_nc_u64_e32 v[16:17], 8, v[16:17]
	s_wait_xcnt 0x0
	v_add_nc_u64_e32 v[20:21], 8, v[20:21]
	s_wait_loadcnt 0x0
	v_cmp_ne_u64_e32 vcc_lo, v[22:23], v[24:25]
	v_cmp_eq_u64_e64 s2, v[22:23], v[24:25]
	s_or_b32 s3, vcc_lo, s3
	s_delay_alu instid0(SALU_CYCLE_1) | instskip(NEXT) | instid1(SALU_CYCLE_1)
	s_and_b32 s3, exec_lo, s3
	s_or_b32 s5, s3, s5
	s_and_not1_b32 s25, s25, exec_lo
	s_and_b32 s28, s2, exec_lo
	s_mov_b64 s[2:3], s[26:27]
	s_or_b32 s25, s25, s28
	s_and_not1_b32 exec_lo, exec_lo, s5
	s_cbranch_execnz .LBB563_124
; %bb.125:
	s_or_b32 exec_lo, exec_lo, s5
	s_xor_b32 s2, s25, -1
.LBB563_126:
	s_delay_alu instid0(SALU_CYCLE_1)
	s_and_b32 s5, s2, exec_lo
.LBB563_127:
	s_or_b32 exec_lo, exec_lo, s24
	v_add_nc_u32_e32 v16, 4, v19
	s_mov_b32 s24, 0
	s_mov_b32 s25, 0
	s_mov_b32 s26, exec_lo
	s_delay_alu instid0(VALU_DEP_1)
	v_cmpx_gt_u32_e64 s21, v16
	s_cbranch_execz .LBB563_133
; %bb.128:
	s_and_not1_b32 vcc_lo, exec_lo, s7
	s_mov_b32 s2, 0
	s_cbranch_vccnz .LBB563_132
; %bb.129:
	v_mul_u64_e32 v[16:17], s[18:19], v[8:9]
	v_mul_u64_e32 v[20:21], s[18:19], v[2:3]
	s_add_nc_u64 s[2:3], s[18:19], -1
                                        ; implicit-def: $sgpr27
	s_delay_alu instid0(VALU_DEP_2) | instskip(NEXT) | instid1(VALU_DEP_2)
	v_lshl_add_u64 v[16:17], v[16:17], 3, s[8:9]
	v_lshl_add_u64 v[20:21], v[20:21], 3, s[8:9]
.LBB563_130:                            ; =>This Inner Loop Header: Depth=1
	global_load_b64 v[22:23], v[16:17], off
	global_load_b64 v[24:25], v[20:21], off
	s_cmp_eq_u64 s[2:3], 0
	s_add_nc_u64 s[28:29], s[2:3], -1
	s_cselect_b32 s3, -1, 0
	s_wait_xcnt 0x1
	v_add_nc_u64_e32 v[16:17], 8, v[16:17]
	s_wait_xcnt 0x0
	v_add_nc_u64_e32 v[20:21], 8, v[20:21]
	s_wait_loadcnt 0x0
	v_cmp_ne_u64_e32 vcc_lo, v[22:23], v[24:25]
	v_cmp_eq_u64_e64 s2, v[22:23], v[24:25]
	s_or_b32 s3, vcc_lo, s3
	s_delay_alu instid0(SALU_CYCLE_1) | instskip(NEXT) | instid1(SALU_CYCLE_1)
	s_and_b32 s3, exec_lo, s3
	s_or_b32 s25, s3, s25
	s_and_not1_b32 s27, s27, exec_lo
	s_and_b32 s30, s2, exec_lo
	s_mov_b64 s[2:3], s[28:29]
	s_or_b32 s27, s27, s30
	s_and_not1_b32 exec_lo, exec_lo, s25
	s_cbranch_execnz .LBB563_130
; %bb.131:
	s_or_b32 exec_lo, exec_lo, s25
	s_xor_b32 s2, s27, -1
.LBB563_132:
	s_delay_alu instid0(SALU_CYCLE_1)
	s_and_b32 s25, s2, exec_lo
.LBB563_133:
	s_or_b32 exec_lo, exec_lo, s26
	v_add_nc_u32_e32 v16, 3, v19
	s_mov_b32 s26, exec_lo
	s_delay_alu instid0(VALU_DEP_1)
	v_cmpx_gt_u32_e64 s21, v16
	s_cbranch_execz .LBB563_139
; %bb.134:
	s_and_not1_b32 vcc_lo, exec_lo, s7
	s_mov_b32 s2, 0
	s_cbranch_vccnz .LBB563_138
; %bb.135:
	v_mul_u64_e32 v[16:17], s[18:19], v[6:7]
	v_mul_u64_e32 v[20:21], s[18:19], v[8:9]
	s_add_nc_u64 s[2:3], s[18:19], -1
	s_mov_b32 s24, 0
                                        ; implicit-def: $sgpr27
	s_delay_alu instid0(VALU_DEP_2) | instskip(NEXT) | instid1(VALU_DEP_2)
	v_lshl_add_u64 v[16:17], v[16:17], 3, s[8:9]
	v_lshl_add_u64 v[20:21], v[20:21], 3, s[8:9]
.LBB563_136:                            ; =>This Inner Loop Header: Depth=1
	global_load_b64 v[22:23], v[16:17], off
	global_load_b64 v[24:25], v[20:21], off
	s_cmp_eq_u64 s[2:3], 0
	s_add_nc_u64 s[28:29], s[2:3], -1
	s_cselect_b32 s3, -1, 0
	s_wait_xcnt 0x1
	v_add_nc_u64_e32 v[16:17], 8, v[16:17]
	s_wait_xcnt 0x0
	v_add_nc_u64_e32 v[20:21], 8, v[20:21]
	s_wait_loadcnt 0x0
	v_cmp_ne_u64_e32 vcc_lo, v[22:23], v[24:25]
	v_cmp_eq_u64_e64 s2, v[22:23], v[24:25]
	s_or_b32 s3, vcc_lo, s3
	s_delay_alu instid0(SALU_CYCLE_1) | instskip(NEXT) | instid1(SALU_CYCLE_1)
	s_and_b32 s3, exec_lo, s3
	s_or_b32 s24, s3, s24
	s_and_not1_b32 s27, s27, exec_lo
	s_and_b32 s30, s2, exec_lo
	s_mov_b64 s[2:3], s[28:29]
	s_or_b32 s27, s27, s30
	s_and_not1_b32 exec_lo, exec_lo, s24
	s_cbranch_execnz .LBB563_136
; %bb.137:
	s_or_b32 exec_lo, exec_lo, s24
	s_xor_b32 s2, s27, -1
.LBB563_138:
	s_delay_alu instid0(SALU_CYCLE_1)
	s_and_b32 s24, s2, exec_lo
.LBB563_139:
	s_or_b32 exec_lo, exec_lo, s26
	v_add_nc_u32_e32 v16, 2, v19
	s_mov_b32 s26, 0
	s_mov_b32 s27, 0
	s_mov_b32 s28, exec_lo
	s_delay_alu instid0(VALU_DEP_1)
	v_cmpx_gt_u32_e64 s21, v16
	s_cbranch_execz .LBB563_145
; %bb.140:
	s_and_not1_b32 vcc_lo, exec_lo, s7
	s_mov_b32 s2, 0
	s_cbranch_vccnz .LBB563_144
; %bb.141:
	v_mul_u64_e32 v[16:17], s[18:19], v[12:13]
	v_mul_u64_e32 v[20:21], s[18:19], v[6:7]
	s_add_nc_u64 s[2:3], s[18:19], -1
                                        ; implicit-def: $sgpr29
	s_delay_alu instid0(VALU_DEP_2) | instskip(NEXT) | instid1(VALU_DEP_2)
	v_lshl_add_u64 v[16:17], v[16:17], 3, s[8:9]
	v_lshl_add_u64 v[20:21], v[20:21], 3, s[8:9]
.LBB563_142:                            ; =>This Inner Loop Header: Depth=1
	global_load_b64 v[22:23], v[16:17], off
	global_load_b64 v[24:25], v[20:21], off
	s_cmp_eq_u64 s[2:3], 0
	s_add_nc_u64 s[30:31], s[2:3], -1
	s_cselect_b32 s3, -1, 0
	s_wait_xcnt 0x1
	v_add_nc_u64_e32 v[16:17], 8, v[16:17]
	s_wait_xcnt 0x0
	v_add_nc_u64_e32 v[20:21], 8, v[20:21]
	s_wait_loadcnt 0x0
	v_cmp_ne_u64_e32 vcc_lo, v[22:23], v[24:25]
	v_cmp_eq_u64_e64 s2, v[22:23], v[24:25]
	s_or_b32 s3, vcc_lo, s3
	s_delay_alu instid0(SALU_CYCLE_1) | instskip(NEXT) | instid1(SALU_CYCLE_1)
	s_and_b32 s3, exec_lo, s3
	s_or_b32 s27, s3, s27
	s_and_not1_b32 s29, s29, exec_lo
	s_and_b32 s33, s2, exec_lo
	s_mov_b64 s[2:3], s[30:31]
	s_or_b32 s29, s29, s33
	s_and_not1_b32 exec_lo, exec_lo, s27
	s_cbranch_execnz .LBB563_142
; %bb.143:
	s_or_b32 exec_lo, exec_lo, s27
	s_xor_b32 s2, s29, -1
.LBB563_144:
	s_delay_alu instid0(SALU_CYCLE_1)
	s_and_b32 s27, s2, exec_lo
.LBB563_145:
	s_or_b32 exec_lo, exec_lo, s28
	v_add_nc_u32_e32 v16, 1, v19
	s_mov_b32 s28, exec_lo
	s_delay_alu instid0(VALU_DEP_1)
	v_cmpx_gt_u32_e64 s21, v16
	s_cbranch_execz .LBB563_151
; %bb.146:
	s_and_not1_b32 vcc_lo, exec_lo, s7
	s_mov_b32 s2, 0
	s_cbranch_vccnz .LBB563_150
; %bb.147:
	v_mul_u64_e32 v[16:17], s[18:19], v[10:11]
	v_mul_u64_e32 v[20:21], s[18:19], v[12:13]
	s_add_nc_u64 s[2:3], s[18:19], -1
	s_mov_b32 s26, 0
                                        ; implicit-def: $sgpr29
	s_delay_alu instid0(VALU_DEP_2) | instskip(NEXT) | instid1(VALU_DEP_2)
	v_lshl_add_u64 v[16:17], v[16:17], 3, s[8:9]
	v_lshl_add_u64 v[20:21], v[20:21], 3, s[8:9]
.LBB563_148:                            ; =>This Inner Loop Header: Depth=1
	global_load_b64 v[22:23], v[16:17], off
	global_load_b64 v[24:25], v[20:21], off
	s_cmp_eq_u64 s[2:3], 0
	s_add_nc_u64 s[30:31], s[2:3], -1
	s_cselect_b32 s3, -1, 0
	s_wait_xcnt 0x1
	v_add_nc_u64_e32 v[16:17], 8, v[16:17]
	s_wait_xcnt 0x0
	v_add_nc_u64_e32 v[20:21], 8, v[20:21]
	s_wait_loadcnt 0x0
	v_cmp_ne_u64_e32 vcc_lo, v[22:23], v[24:25]
	v_cmp_eq_u64_e64 s2, v[22:23], v[24:25]
	s_or_b32 s3, vcc_lo, s3
	s_delay_alu instid0(SALU_CYCLE_1) | instskip(NEXT) | instid1(SALU_CYCLE_1)
	s_and_b32 s3, exec_lo, s3
	s_or_b32 s26, s3, s26
	s_and_not1_b32 s29, s29, exec_lo
	s_and_b32 s33, s2, exec_lo
	s_mov_b64 s[2:3], s[30:31]
	s_or_b32 s29, s29, s33
	s_and_not1_b32 exec_lo, exec_lo, s26
	s_cbranch_execnz .LBB563_148
; %bb.149:
	s_or_b32 exec_lo, exec_lo, s26
	s_xor_b32 s2, s29, -1
.LBB563_150:
	s_delay_alu instid0(SALU_CYCLE_1)
	s_and_b32 s26, s2, exec_lo
.LBB563_151:
	s_or_b32 exec_lo, exec_lo, s28
	v_cndmask_b32_e64 v17, 0, 1, s25
	v_cndmask_b32_e64 v31, 0, 1, s5
	;; [unrolled: 1-line block ×6, first 2 shown]
	v_mov_b32_e32 v16, 1
	s_mov_b32 s2, 0
	s_mov_b32 s4, exec_lo
	s_wait_dscnt 0x0
	s_barrier_signal -1
	s_barrier_wait -1
                                        ; implicit-def: $vgpr21
	v_cmpx_ne_u32_e32 0, v0
	s_cbranch_execz .LBB563_159
; %bb.152:
	v_lshlrev_b16 v21, 8, v33
	v_lshlrev_b16 v22, 8, v20
	s_mov_b32 s5, exec_lo
	s_delay_alu instid0(VALU_DEP_1) | instskip(NEXT) | instid1(VALU_DEP_1)
	v_or_b32_e32 v22, v32, v22
	v_dual_lshlrev_b32 v22, 16, v22 :: v_dual_bitop2_b32 v21, 1, v21 bitop3:0x54
	s_delay_alu instid0(VALU_DEP_1) | instskip(NEXT) | instid1(VALU_DEP_1)
	v_and_b32_e32 v21, 0xffff, v21
	v_or_b32_e32 v21, v21, v22
	v_cmpx_gt_u32_e64 s21, v19
	s_cbranch_execz .LBB563_158
; %bb.153:
	s_and_not1_b32 vcc_lo, exec_lo, s7
	s_cbranch_vccnz .LBB563_157
; %bb.154:
	v_add_nc_u32_e32 v22, -8, v26
	v_mul_u64_e32 v[24:25], s[18:19], v[10:11]
	s_add_nc_u64 s[2:3], s[18:19], -1
	s_mov_b32 s7, 0
	ds_load_b64 v[22:23], v22
	s_wait_dscnt 0x0
	v_mul_u64_e32 v[22:23], s[18:19], v[22:23]
	v_lshl_add_u64 v[24:25], v[24:25], 3, s[8:9]
	s_delay_alu instid0(VALU_DEP_2)
	v_lshl_add_u64 v[22:23], v[22:23], 3, s[8:9]
                                        ; implicit-def: $sgpr8
.LBB563_155:                            ; =>This Inner Loop Header: Depth=1
	global_load_b64 v[26:27], v[22:23], off
	global_load_b64 v[28:29], v[24:25], off
	s_cmp_eq_u64 s[2:3], 0
	s_add_nc_u64 s[18:19], s[2:3], -1
	s_cselect_b32 s3, -1, 0
	s_wait_xcnt 0x1
	v_add_nc_u64_e32 v[22:23], 8, v[22:23]
	s_wait_xcnt 0x0
	v_add_nc_u64_e32 v[24:25], 8, v[24:25]
	s_wait_loadcnt 0x0
	v_cmp_ne_u64_e32 vcc_lo, v[26:27], v[28:29]
	v_cmp_eq_u64_e64 s2, v[26:27], v[28:29]
	s_or_b32 s3, vcc_lo, s3
	s_delay_alu instid0(SALU_CYCLE_1) | instskip(NEXT) | instid1(SALU_CYCLE_1)
	s_and_b32 s3, exec_lo, s3
	s_or_b32 s7, s3, s7
	s_and_not1_b32 s8, s8, exec_lo
	s_and_b32 s9, s2, exec_lo
	s_mov_b64 s[2:3], s[18:19]
	s_or_b32 s8, s8, s9
	s_and_not1_b32 exec_lo, exec_lo, s7
	s_cbranch_execnz .LBB563_155
; %bb.156:
	s_or_b32 exec_lo, exec_lo, s7
	s_xor_b32 s2, s8, -1
.LBB563_157:
	s_delay_alu instid0(SALU_CYCLE_1)
	s_and_b32 s2, s2, exec_lo
.LBB563_158:
	s_or_b32 exec_lo, exec_lo, s5
	s_delay_alu instid0(VALU_DEP_2)
	v_perm_b32 v21, v21, v21, 0x3020104
	s_or_b32 s6, s6, exec_lo
.LBB563_159:
	s_or_b32 exec_lo, exec_lo, s4
.LBB563_160:
	s_and_saveexec_b32 s3, s6
; %bb.161:
	s_delay_alu instid0(VALU_DEP_1)
	v_dual_lshrrev_b32 v20, 24, v21 :: v_dual_lshrrev_b32 v32, 16, v21
	v_lshrrev_b32_e32 v33, 8, v21
	v_cndmask_b32_e64 v16, 0, 1, s2
; %bb.162:
	s_or_b32 exec_lo, exec_lo, s3
	s_delay_alu instid0(SALU_CYCLE_1)
	s_and_not1_b32 vcc_lo, exec_lo, s22
	s_cbranch_vccnz .LBB563_166
; %bb.163:
	s_delay_alu instid0(VALU_DEP_1)
	v_perm_b32 v16, v16, v33, 0xc0c0004
	v_perm_b32 v20, v32, v20, 0xc0c0004
	v_cmp_gt_u32_e32 vcc_lo, s21, v19
	v_and_b32_e32 v22, 0xff, v30
	v_perm_b32 v17, v17, v31, 0xc0c0004
	v_add_nc_u32_e32 v21, 1, v19
	v_lshl_or_b32 v16, v20, 16, v16
	s_delay_alu instid0(VALU_DEP_1) | instskip(NEXT) | instid1(VALU_DEP_3)
	v_dual_cndmask_b32 v20, 0, v16 :: v_dual_add_nc_u32 v23, 4, v19
	v_cmp_gt_u32_e32 vcc_lo, s21, v21
	v_dual_lshlrev_b32 v21, 16, v22 :: v_dual_add_nc_u32 v22, 2, v19
	s_delay_alu instid0(VALU_DEP_3) | instskip(NEXT) | instid1(VALU_DEP_1)
	v_and_b32_e32 v20, 0xff, v20
	v_cndmask_b32_e32 v20, v20, v16, vcc_lo
	s_delay_alu instid0(VALU_DEP_3) | instskip(NEXT) | instid1(VALU_DEP_2)
	v_cmp_gt_u32_e32 vcc_lo, s21, v22
	v_and_b32_e32 v20, 0xffff, v20
	v_or_b32_e32 v24, v17, v21
	v_bitop3_b32 v17, v17, 0xffff00, v21 bitop3:0xc8
	s_delay_alu instid0(VALU_DEP_3) | instskip(SKIP_1) | instid1(VALU_DEP_2)
	v_dual_cndmask_b32 v20, v20, v16 :: v_dual_add_nc_u32 v21, 5, v19
	v_cmp_gt_u32_e32 vcc_lo, s21, v23
	v_cmp_gt_u32_e64 s2, s21, v21
	s_delay_alu instid0(VALU_DEP_3) | instskip(SKIP_3) | instid1(VALU_DEP_2)
	v_and_b32_e32 v20, 0xffffff, v20
	v_dual_cndmask_b32 v17, v17, v24 :: v_dual_add_nc_u32 v22, 3, v19
	s_or_b32 vcc_lo, s2, vcc_lo
	v_add_nc_u32_e32 v19, 6, v19
	v_cmp_gt_u32_e64 s3, s21, v22
	s_delay_alu instid0(VALU_DEP_3) | instskip(NEXT) | instid1(VALU_DEP_2)
	v_and_b32_e32 v17, 0xffff00ff, v17
	v_cndmask_b32_e64 v20, v20, v16, s3
	s_delay_alu instid0(VALU_DEP_2) | instskip(SKIP_1) | instid1(VALU_DEP_1)
	v_cndmask_b32_e64 v17, v17, v24, s2
	s_mov_b32 s2, exec_lo
	v_dual_cndmask_b32 v16, v20, v16, vcc_lo :: v_dual_lshrrev_b32 v30, 16, v17
	v_lshrrev_b32_e32 v31, 8, v17
	s_delay_alu instid0(VALU_DEP_2)
	v_lshrrev_b64 v[20:21], 24, v[16:17]
	v_dual_lshrrev_b32 v32, 16, v16 :: v_dual_lshrrev_b32 v33, 8, v16
	v_cmpx_le_u32_e64 s21, v19
; %bb.164:
	v_mov_b32_e32 v30, 0
; %bb.165:
	s_or_b32 exec_lo, exec_lo, s2
.LBB563_166:
	s_delay_alu instid0(VALU_DEP_1)
	v_and_b32_e32 v19, 0xff, v16
	v_and_b32_e32 v21, 0xff, v33
	;; [unrolled: 1-line block ×5, first 2 shown]
	v_mbcnt_lo_u32_b32 v38, -1, 0
	v_and_b32_e32 v37, 0xff, v31
	v_add3_u32 v22, v21, v19, v34
	v_and_b32_e32 v23, 0xff, v30
	s_delay_alu instid0(VALU_DEP_4) | instskip(SKIP_1) | instid1(VALU_DEP_3)
	v_dual_lshrrev_b32 v39, 5, v0 :: v_dual_bitop2_b32 v24, 15, v38 bitop3:0x40
	s_and_b32 vcc_lo, exec_lo, s23
	v_add3_u32 v22, v22, v35, v36
	s_mov_b32 s8, -1
	s_wait_dscnt 0x0
	v_cmp_eq_u32_e64 s2, 0, v24
	s_wait_kmcnt 0x0
	v_cmp_lt_u32_e64 s4, 1, v24
	v_add3_u32 v40, v22, v37, v23
	v_and_b32_e32 v22, 16, v38
	v_or_b32_e32 v23, 31, v0
	v_cmp_lt_u32_e64 s5, 3, v24
	v_cmp_lt_u32_e64 s3, 7, v24
	s_barrier_signal -1
	v_cmp_eq_u32_e64 s7, 0, v22
	v_cmp_eq_u32_e64 s6, v0, v23
	s_barrier_wait -1
                                        ; implicit-def: $vgpr25
                                        ; implicit-def: $vgpr26
                                        ; implicit-def: $vgpr27
                                        ; implicit-def: $vgpr28
                                        ; implicit-def: $vgpr29
                                        ; implicit-def: $vgpr41
                                        ; implicit-def: $vgpr42
                                        ; implicit-def: $vgpr24
                                        ; implicit-def: $vgpr22
	s_cbranch_vccz .LBB563_193
; %bb.167:
	v_mov_b32_dpp v22, v40 row_shr:1 row_mask:0xf bank_mask:0xf
	s_delay_alu instid0(VALU_DEP_1) | instskip(NEXT) | instid1(VALU_DEP_1)
	v_cndmask_b32_e64 v22, v22, 0, s2
	v_add_nc_u32_e32 v22, v22, v40
	s_delay_alu instid0(VALU_DEP_1) | instskip(NEXT) | instid1(VALU_DEP_1)
	v_mov_b32_dpp v23, v22 row_shr:2 row_mask:0xf bank_mask:0xf
	v_cndmask_b32_e64 v23, 0, v23, s4
	s_delay_alu instid0(VALU_DEP_1) | instskip(NEXT) | instid1(VALU_DEP_1)
	v_add_nc_u32_e32 v22, v22, v23
	v_mov_b32_dpp v23, v22 row_shr:4 row_mask:0xf bank_mask:0xf
	s_delay_alu instid0(VALU_DEP_1) | instskip(NEXT) | instid1(VALU_DEP_1)
	v_cndmask_b32_e64 v23, 0, v23, s5
	v_add_nc_u32_e32 v22, v22, v23
	s_delay_alu instid0(VALU_DEP_1) | instskip(NEXT) | instid1(VALU_DEP_1)
	v_mov_b32_dpp v23, v22 row_shr:8 row_mask:0xf bank_mask:0xf
	v_cndmask_b32_e64 v23, 0, v23, s3
	s_delay_alu instid0(VALU_DEP_1) | instskip(SKIP_3) | instid1(VALU_DEP_1)
	v_add_nc_u32_e32 v22, v22, v23
	ds_swizzle_b32 v23, v22 offset:swizzle(BROADCAST,32,15)
	s_wait_dscnt 0x0
	v_cndmask_b32_e64 v23, v23, 0, s7
	v_add_nc_u32_e32 v22, v22, v23
	s_and_saveexec_b32 s8, s6
; %bb.168:
	v_lshlrev_b32_e32 v23, 2, v39
	ds_store_b32 v23, v22
; %bb.169:
	s_or_b32 exec_lo, exec_lo, s8
	s_delay_alu instid0(SALU_CYCLE_1)
	s_mov_b32 s8, exec_lo
	s_wait_dscnt 0x0
	s_barrier_signal -1
	s_barrier_wait -1
	v_cmpx_gt_u32_e32 16, v0
	s_cbranch_execz .LBB563_171
; %bb.170:
	v_lshlrev_b32_e32 v23, 2, v0
	ds_load_b32 v24, v23
	s_wait_dscnt 0x0
	v_mov_b32_dpp v25, v24 row_shr:1 row_mask:0xf bank_mask:0xf
	s_delay_alu instid0(VALU_DEP_1) | instskip(NEXT) | instid1(VALU_DEP_1)
	v_cndmask_b32_e64 v25, v25, 0, s2
	v_add_nc_u32_e32 v24, v25, v24
	s_delay_alu instid0(VALU_DEP_1) | instskip(NEXT) | instid1(VALU_DEP_1)
	v_mov_b32_dpp v25, v24 row_shr:2 row_mask:0xf bank_mask:0xf
	v_cndmask_b32_e64 v25, 0, v25, s4
	s_delay_alu instid0(VALU_DEP_1) | instskip(NEXT) | instid1(VALU_DEP_1)
	v_add_nc_u32_e32 v24, v24, v25
	v_mov_b32_dpp v25, v24 row_shr:4 row_mask:0xf bank_mask:0xf
	s_delay_alu instid0(VALU_DEP_1) | instskip(NEXT) | instid1(VALU_DEP_1)
	v_cndmask_b32_e64 v25, 0, v25, s5
	v_add_nc_u32_e32 v24, v24, v25
	s_delay_alu instid0(VALU_DEP_1) | instskip(NEXT) | instid1(VALU_DEP_1)
	v_mov_b32_dpp v25, v24 row_shr:8 row_mask:0xf bank_mask:0xf
	v_cndmask_b32_e64 v25, 0, v25, s3
	s_delay_alu instid0(VALU_DEP_1)
	v_add_nc_u32_e32 v24, v24, v25
	ds_store_b32 v23, v24
.LBB563_171:
	s_or_b32 exec_lo, exec_lo, s8
	s_delay_alu instid0(SALU_CYCLE_1)
	s_mov_b32 s9, exec_lo
	v_cmp_gt_u32_e32 vcc_lo, 32, v0
	s_wait_dscnt 0x0
	s_barrier_signal -1
	s_barrier_wait -1
                                        ; implicit-def: $vgpr41
	v_cmpx_lt_u32_e32 31, v0
	s_cbranch_execz .LBB563_173
; %bb.172:
	v_lshl_add_u32 v23, v39, 2, -4
	ds_load_b32 v41, v23
	s_wait_dscnt 0x0
	v_add_nc_u32_e32 v22, v41, v22
.LBB563_173:
	s_or_b32 exec_lo, exec_lo, s9
	v_sub_co_u32 v23, s8, v38, 1
	s_delay_alu instid0(VALU_DEP_1) | instskip(NEXT) | instid1(VALU_DEP_1)
	v_cmp_gt_i32_e64 s9, 0, v23
	v_cndmask_b32_e64 v23, v23, v38, s9
	s_delay_alu instid0(VALU_DEP_1)
	v_lshlrev_b32_e32 v23, 2, v23
	ds_bpermute_b32 v42, v23, v22
	s_and_saveexec_b32 s9, vcc_lo
	s_cbranch_execz .LBB563_192
; %bb.174:
	v_mov_b32_e32 v29, 0
	ds_load_b32 v22, v29 offset:60
	s_and_saveexec_b32 s18, s8
	s_cbranch_execz .LBB563_176
; %bb.175:
	s_add_co_i32 s19, s20, 32
	s_delay_alu instid0(SALU_CYCLE_1)
	v_dual_mov_b32 v23, 1 :: v_dual_mov_b32 v24, s19
	s_wait_dscnt 0x0
	global_store_b64 v24, v[22:23], s[10:11] scale_offset scope:SCOPE_DEV
.LBB563_176:
	s_wait_xcnt 0x0
	s_or_b32 exec_lo, exec_lo, s18
	v_xad_u32 v24, v38, -1, s20
	s_mov_b32 s19, 0
	s_mov_b32 s18, exec_lo
	s_delay_alu instid0(VALU_DEP_1) | instskip(SKIP_4) | instid1(VALU_DEP_1)
	v_add_nc_u32_e32 v28, 32, v24
	global_load_b64 v[26:27], v28, s[10:11] scale_offset scope:SCOPE_DEV
	s_wait_loadcnt 0x0
	v_and_b32_e32 v23, 0xff, v27
	s_wait_xcnt 0x0
	v_cmpx_eq_u16_e32 0, v23
	s_cbranch_execz .LBB563_180
; %bb.177:
	v_lshl_add_u64 v[28:29], v[28:29], 3, s[10:11]
.LBB563_178:                            ; =>This Inner Loop Header: Depth=1
	global_load_b64 v[26:27], v[28:29], off scope:SCOPE_DEV
	s_wait_loadcnt 0x0
	v_and_b32_e32 v23, 0xff, v27
	s_delay_alu instid0(VALU_DEP_1)
	v_cmp_ne_u16_e32 vcc_lo, 0, v23
	s_or_b32 s19, vcc_lo, s19
	s_wait_xcnt 0x0
	s_and_not1_b32 exec_lo, exec_lo, s19
	s_cbranch_execnz .LBB563_178
; %bb.179:
	s_or_b32 exec_lo, exec_lo, s19
.LBB563_180:
	s_delay_alu instid0(SALU_CYCLE_1)
	s_or_b32 exec_lo, exec_lo, s18
	v_cmp_ne_u32_e32 vcc_lo, 31, v38
	v_lshlrev_b32_e64 v44, v38, -1
	v_dual_add_nc_u32 v46, 2, v38 :: v_dual_add_nc_u32 v48, 4, v38
	v_dual_add_nc_u32 v50, 8, v38 :: v_dual_add_nc_u32 v52, 16, v38
	v_add_co_ci_u32_e64 v23, null, 0, v38, vcc_lo
	v_lshl_or_b32 v51, v38, 2, 64
	s_delay_alu instid0(VALU_DEP_2)
	v_lshlrev_b32_e32 v43, 2, v23
	v_and_b32_e32 v23, 0xff, v27
	ds_bpermute_b32 v25, v43, v26
	v_cmp_eq_u16_e32 vcc_lo, 2, v23
	v_and_or_b32 v23, vcc_lo, v44, 0x80000000
	v_cmp_gt_u32_e32 vcc_lo, 30, v38
	s_delay_alu instid0(VALU_DEP_2) | instskip(SKIP_1) | instid1(VALU_DEP_2)
	v_ctz_i32_b32_e32 v23, v23
	v_cndmask_b32_e64 v28, 0, 2, vcc_lo
	v_cmp_lt_u32_e32 vcc_lo, v38, v23
	s_delay_alu instid0(VALU_DEP_2)
	v_add_lshl_u32 v45, v28, v38, 2
	s_wait_dscnt 0x0
	v_cndmask_b32_e32 v25, 0, v25, vcc_lo
	v_cmp_gt_u32_e32 vcc_lo, 28, v38
	v_cndmask_b32_e64 v28, 0, 4, vcc_lo
	v_cmp_le_u32_e32 vcc_lo, v46, v23
	s_delay_alu instid0(VALU_DEP_4) | instskip(NEXT) | instid1(VALU_DEP_3)
	v_add_nc_u32_e32 v25, v25, v26
	v_add_lshl_u32 v47, v28, v38, 2
	ds_bpermute_b32 v26, v45, v25
	s_wait_dscnt 0x0
	v_cndmask_b32_e32 v26, 0, v26, vcc_lo
	v_cmp_gt_u32_e32 vcc_lo, 24, v38
	v_cndmask_b32_e64 v28, 0, 8, vcc_lo
	v_cmp_le_u32_e32 vcc_lo, v48, v23
	s_delay_alu instid0(VALU_DEP_4) | instskip(NEXT) | instid1(VALU_DEP_3)
	v_add_nc_u32_e32 v25, v25, v26
	v_add_lshl_u32 v49, v28, v38, 2
	ds_bpermute_b32 v26, v47, v25
	s_wait_dscnt 0x0
	v_cndmask_b32_e32 v26, 0, v26, vcc_lo
	v_cmp_le_u32_e32 vcc_lo, v50, v23
	s_delay_alu instid0(VALU_DEP_2) | instskip(SKIP_4) | instid1(VALU_DEP_2)
	v_add_nc_u32_e32 v25, v25, v26
	ds_bpermute_b32 v26, v49, v25
	s_wait_dscnt 0x0
	v_cndmask_b32_e32 v26, 0, v26, vcc_lo
	v_cmp_le_u32_e32 vcc_lo, v52, v23
	v_add_nc_u32_e32 v25, v25, v26
	ds_bpermute_b32 v26, v51, v25
	s_wait_dscnt 0x0
	v_cndmask_b32_e32 v23, 0, v26, vcc_lo
	s_delay_alu instid0(VALU_DEP_1)
	v_dual_mov_b32 v25, 0 :: v_dual_add_nc_u32 v26, v25, v23
	s_branch .LBB563_183
.LBB563_181:                            ;   in Loop: Header=BB563_183 Depth=1
	s_or_b32 exec_lo, exec_lo, s18
	v_and_b32_e32 v28, 0xff, v27
	ds_bpermute_b32 v29, v43, v26
	v_subrev_nc_u32_e32 v24, 32, v24
	s_mov_b32 s18, 0
	v_cmp_eq_u16_e32 vcc_lo, 2, v28
	v_and_or_b32 v28, vcc_lo, v44, 0x80000000
	s_delay_alu instid0(VALU_DEP_1) | instskip(NEXT) | instid1(VALU_DEP_1)
	v_ctz_i32_b32_e32 v28, v28
	v_cmp_lt_u32_e32 vcc_lo, v38, v28
	s_wait_dscnt 0x0
	v_cndmask_b32_e32 v29, 0, v29, vcc_lo
	v_cmp_le_u32_e32 vcc_lo, v46, v28
	s_delay_alu instid0(VALU_DEP_2) | instskip(SKIP_4) | instid1(VALU_DEP_2)
	v_add_nc_u32_e32 v26, v29, v26
	ds_bpermute_b32 v29, v45, v26
	s_wait_dscnt 0x0
	v_cndmask_b32_e32 v29, 0, v29, vcc_lo
	v_cmp_le_u32_e32 vcc_lo, v48, v28
	v_add_nc_u32_e32 v26, v26, v29
	ds_bpermute_b32 v29, v47, v26
	s_wait_dscnt 0x0
	v_cndmask_b32_e32 v29, 0, v29, vcc_lo
	v_cmp_le_u32_e32 vcc_lo, v50, v28
	s_delay_alu instid0(VALU_DEP_2) | instskip(SKIP_4) | instid1(VALU_DEP_2)
	v_add_nc_u32_e32 v26, v26, v29
	ds_bpermute_b32 v29, v49, v26
	s_wait_dscnt 0x0
	v_cndmask_b32_e32 v29, 0, v29, vcc_lo
	v_cmp_le_u32_e32 vcc_lo, v52, v28
	v_add_nc_u32_e32 v26, v26, v29
	ds_bpermute_b32 v29, v51, v26
	s_wait_dscnt 0x0
	v_cndmask_b32_e32 v28, 0, v29, vcc_lo
	s_delay_alu instid0(VALU_DEP_1)
	v_add3_u32 v26, v28, v23, v26
.LBB563_182:                            ;   in Loop: Header=BB563_183 Depth=1
	s_and_b32 vcc_lo, exec_lo, s18
	s_cbranch_vccnz .LBB563_188
.LBB563_183:                            ; =>This Loop Header: Depth=1
                                        ;     Child Loop BB563_186 Depth 2
	v_and_b32_e32 v23, 0xff, v27
	s_mov_b32 s18, -1
                                        ; implicit-def: $vgpr27
	s_delay_alu instid0(VALU_DEP_1)
	v_cmp_ne_u16_e32 vcc_lo, 2, v23
	v_mov_b32_e32 v23, v26
                                        ; implicit-def: $vgpr26
	s_cmp_lg_u32 vcc_lo, exec_lo
	s_cbranch_scc1 .LBB563_182
; %bb.184:                              ;   in Loop: Header=BB563_183 Depth=1
	global_load_b64 v[26:27], v24, s[10:11] scale_offset scope:SCOPE_DEV
	s_mov_b32 s18, exec_lo
	s_wait_loadcnt 0x0
	v_and_b32_e32 v28, 0xff, v27
	s_wait_xcnt 0x0
	s_delay_alu instid0(VALU_DEP_1)
	v_cmpx_eq_u16_e32 0, v28
	s_cbranch_execz .LBB563_181
; %bb.185:                              ;   in Loop: Header=BB563_183 Depth=1
	v_lshl_add_u64 v[28:29], v[24:25], 3, s[10:11]
	s_mov_b32 s19, 0
.LBB563_186:                            ;   Parent Loop BB563_183 Depth=1
                                        ; =>  This Inner Loop Header: Depth=2
	global_load_b64 v[26:27], v[28:29], off scope:SCOPE_DEV
	s_wait_loadcnt 0x0
	v_and_b32_e32 v53, 0xff, v27
	s_delay_alu instid0(VALU_DEP_1)
	v_cmp_ne_u16_e32 vcc_lo, 0, v53
	s_or_b32 s19, vcc_lo, s19
	s_wait_xcnt 0x0
	s_and_not1_b32 exec_lo, exec_lo, s19
	s_cbranch_execnz .LBB563_186
; %bb.187:                              ;   in Loop: Header=BB563_183 Depth=1
	s_or_b32 exec_lo, exec_lo, s19
	s_branch .LBB563_181
.LBB563_188:
	s_and_saveexec_b32 s18, s8
	s_cbranch_execz .LBB563_190
; %bb.189:
	s_add_co_i32 s19, s20, 32
	v_dual_mov_b32 v25, 2 :: v_dual_add_nc_u32 v24, v23, v22
	v_dual_mov_b32 v26, s19 :: v_dual_mov_b32 v27, 0
	global_store_b64 v26, v[24:25], s[10:11] scale_offset scope:SCOPE_DEV
	ds_store_b64 v27, v[22:23] offset:28672
.LBB563_190:
	s_wait_xcnt 0x0
	s_or_b32 exec_lo, exec_lo, s18
	v_cmp_eq_u32_e32 vcc_lo, 0, v0
	s_and_b32 exec_lo, exec_lo, vcc_lo
; %bb.191:
	v_mov_b32_e32 v22, 0
	ds_store_b32 v22, v23 offset:60
.LBB563_192:
	s_or_b32 exec_lo, exec_lo, s9
	s_wait_dscnt 0x0
	v_dual_mov_b32 v22, 0 :: v_dual_cndmask_b32 v24, v42, v41, s8
	s_wait_storecnt 0x0
	s_barrier_signal -1
	s_barrier_wait -1
	ds_load_b32 v23, v22 offset:60
	v_cmp_ne_u32_e32 vcc_lo, 0, v0
	s_wait_dscnt 0x0
	s_barrier_signal -1
	s_barrier_wait -1
	v_cndmask_b32_e32 v24, 0, v24, vcc_lo
	s_mov_b32 s8, 0
	s_delay_alu instid0(VALU_DEP_1) | instskip(SKIP_2) | instid1(VALU_DEP_1)
	v_add_nc_u32_e32 v42, v23, v24
	ds_load_b64 v[22:23], v22 offset:28672
	v_add_nc_u32_e32 v41, v42, v19
	v_add_nc_u32_e32 v29, v41, v21
	s_delay_alu instid0(VALU_DEP_1) | instskip(SKIP_1) | instid1(VALU_DEP_1)
	v_add_nc_u32_e32 v28, v29, v34
	s_wait_dscnt 0x0
	v_dual_mov_b32 v24, v23 :: v_dual_add_nc_u32 v27, v28, v35
	s_delay_alu instid0(VALU_DEP_1) | instskip(NEXT) | instid1(VALU_DEP_1)
	v_add_nc_u32_e32 v26, v27, v36
	v_add_nc_u32_e32 v25, v26, v37
.LBB563_193:
	s_and_b32 vcc_lo, exec_lo, s8
	s_cbranch_vccz .LBB563_203
; %bb.194:
	v_mov_b32_dpp v22, v40 row_shr:1 row_mask:0xf bank_mask:0xf
	s_delay_alu instid0(VALU_DEP_1) | instskip(NEXT) | instid1(VALU_DEP_1)
	v_cndmask_b32_e64 v22, v22, 0, s2
	v_add_nc_u32_e32 v22, v22, v40
	s_delay_alu instid0(VALU_DEP_1) | instskip(NEXT) | instid1(VALU_DEP_1)
	v_mov_b32_dpp v23, v22 row_shr:2 row_mask:0xf bank_mask:0xf
	v_cndmask_b32_e64 v23, 0, v23, s4
	s_delay_alu instid0(VALU_DEP_1) | instskip(NEXT) | instid1(VALU_DEP_1)
	v_add_nc_u32_e32 v22, v22, v23
	v_mov_b32_dpp v23, v22 row_shr:4 row_mask:0xf bank_mask:0xf
	s_delay_alu instid0(VALU_DEP_1) | instskip(NEXT) | instid1(VALU_DEP_1)
	v_cndmask_b32_e64 v23, 0, v23, s5
	v_add_nc_u32_e32 v22, v22, v23
	s_delay_alu instid0(VALU_DEP_1) | instskip(NEXT) | instid1(VALU_DEP_1)
	v_mov_b32_dpp v23, v22 row_shr:8 row_mask:0xf bank_mask:0xf
	v_cndmask_b32_e64 v23, 0, v23, s3
	s_delay_alu instid0(VALU_DEP_1) | instskip(SKIP_3) | instid1(VALU_DEP_1)
	v_add_nc_u32_e32 v22, v22, v23
	ds_swizzle_b32 v23, v22 offset:swizzle(BROADCAST,32,15)
	s_wait_dscnt 0x0
	v_cndmask_b32_e64 v23, v23, 0, s7
	v_add_nc_u32_e32 v22, v22, v23
	s_and_saveexec_b32 s7, s6
; %bb.195:
	v_lshlrev_b32_e32 v23, 2, v39
	ds_store_b32 v23, v22
; %bb.196:
	s_or_b32 exec_lo, exec_lo, s7
	s_delay_alu instid0(SALU_CYCLE_1)
	s_mov_b32 s6, exec_lo
	s_wait_dscnt 0x0
	s_barrier_signal -1
	s_barrier_wait -1
	v_cmpx_gt_u32_e32 16, v0
	s_cbranch_execz .LBB563_198
; %bb.197:
	v_lshlrev_b32_e32 v23, 2, v0
	ds_load_b32 v24, v23
	s_wait_dscnt 0x0
	v_mov_b32_dpp v25, v24 row_shr:1 row_mask:0xf bank_mask:0xf
	s_delay_alu instid0(VALU_DEP_1) | instskip(NEXT) | instid1(VALU_DEP_1)
	v_cndmask_b32_e64 v25, v25, 0, s2
	v_add_nc_u32_e32 v24, v25, v24
	s_delay_alu instid0(VALU_DEP_1) | instskip(NEXT) | instid1(VALU_DEP_1)
	v_mov_b32_dpp v25, v24 row_shr:2 row_mask:0xf bank_mask:0xf
	v_cndmask_b32_e64 v25, 0, v25, s4
	s_delay_alu instid0(VALU_DEP_1) | instskip(NEXT) | instid1(VALU_DEP_1)
	v_add_nc_u32_e32 v24, v24, v25
	v_mov_b32_dpp v25, v24 row_shr:4 row_mask:0xf bank_mask:0xf
	s_delay_alu instid0(VALU_DEP_1) | instskip(NEXT) | instid1(VALU_DEP_1)
	v_cndmask_b32_e64 v25, 0, v25, s5
	v_add_nc_u32_e32 v24, v24, v25
	s_delay_alu instid0(VALU_DEP_1) | instskip(NEXT) | instid1(VALU_DEP_1)
	v_mov_b32_dpp v25, v24 row_shr:8 row_mask:0xf bank_mask:0xf
	v_cndmask_b32_e64 v25, 0, v25, s3
	s_delay_alu instid0(VALU_DEP_1)
	v_add_nc_u32_e32 v24, v24, v25
	ds_store_b32 v23, v24
.LBB563_198:
	s_or_b32 exec_lo, exec_lo, s6
	v_dual_mov_b32 v23, 0 :: v_dual_mov_b32 v24, 0
	s_mov_b32 s2, exec_lo
	s_wait_dscnt 0x0
	s_barrier_signal -1
	s_barrier_wait -1
	v_cmpx_lt_u32_e32 31, v0
; %bb.199:
	v_lshl_add_u32 v24, v39, 2, -4
	ds_load_b32 v24, v24
; %bb.200:
	s_or_b32 exec_lo, exec_lo, s2
	v_sub_co_u32 v25, vcc_lo, v38, 1
	s_delay_alu instid0(VALU_DEP_1) | instskip(NEXT) | instid1(VALU_DEP_1)
	v_cmp_gt_i32_e64 s2, 0, v25
	v_cndmask_b32_e64 v25, v25, v38, s2
	s_wait_dscnt 0x0
	v_add_nc_u32_e32 v22, v24, v22
	v_cmp_eq_u32_e64 s2, 0, v0
	s_delay_alu instid0(VALU_DEP_3)
	v_lshlrev_b32_e32 v25, 2, v25
	ds_bpermute_b32 v25, v25, v22
	ds_load_b32 v22, v23 offset:60
	s_and_saveexec_b32 s3, s2
	s_cbranch_execz .LBB563_202
; %bb.201:
	v_dual_mov_b32 v26, 0 :: v_dual_mov_b32 v23, 2
	s_wait_dscnt 0x0
	global_store_b64 v26, v[22:23], s[10:11] offset:256 scope:SCOPE_DEV
.LBB563_202:
	s_wait_xcnt 0x0
	s_or_b32 exec_lo, exec_lo, s3
	s_wait_dscnt 0x1
	v_cndmask_b32_e32 v23, v25, v24, vcc_lo
	s_wait_storecnt_dscnt 0x0
	s_barrier_signal -1
	s_barrier_wait -1
	s_delay_alu instid0(VALU_DEP_1) | instskip(NEXT) | instid1(VALU_DEP_1)
	v_cndmask_b32_e64 v42, v23, 0, s2
	v_dual_mov_b32 v24, 0 :: v_dual_add_nc_u32 v41, v42, v19
	s_delay_alu instid0(VALU_DEP_1) | instskip(NEXT) | instid1(VALU_DEP_1)
	v_add_nc_u32_e32 v29, v41, v21
	v_add_nc_u32_e32 v28, v29, v34
	s_delay_alu instid0(VALU_DEP_1) | instskip(NEXT) | instid1(VALU_DEP_1)
	v_add_nc_u32_e32 v27, v28, v35
	v_add_nc_u32_e32 v26, v27, v36
	s_delay_alu instid0(VALU_DEP_1)
	v_add_nc_u32_e32 v25, v26, v37
.LBB563_203:
	s_load_b64 s[2:3], s[0:1], 0x28
	v_and_b32_e32 v16, 1, v16
	v_cmp_gt_u32_e32 vcc_lo, 0x201, v22
	s_wait_xcnt 0x0
	s_mov_b32 s1, -1
	s_delay_alu instid0(VALU_DEP_2)
	v_cmp_eq_u32_e64 s0, 1, v16
	s_cbranch_vccnz .LBB563_207
; %bb.204:
	s_and_b32 vcc_lo, exec_lo, s1
	s_cbranch_vccnz .LBB563_222
.LBB563_205:
	v_cmp_eq_u32_e32 vcc_lo, 0, v0
	s_and_b32 s0, vcc_lo, s16
	s_delay_alu instid0(SALU_CYCLE_1)
	s_and_saveexec_b32 s1, s0
	s_cbranch_execnz .LBB563_239
.LBB563_206:
	s_endpgm
.LBB563_207:
	v_add_nc_u32_e32 v19, v24, v22
	s_delay_alu instid0(VALU_DEP_1) | instskip(SKIP_1) | instid1(SALU_CYCLE_1)
	v_cmp_lt_u32_e32 vcc_lo, v42, v19
	s_or_b32 s1, s17, vcc_lo
	s_and_b32 s1, s1, s0
	s_delay_alu instid0(SALU_CYCLE_1)
	s_and_saveexec_b32 s0, s1
	s_cbranch_execz .LBB563_209
; %bb.208:
	s_lshl_b64 s[4:5], s[14:15], 3
	s_wait_kmcnt 0x0
	s_add_nc_u64 s[4:5], s[2:3], s[4:5]
	global_store_b64 v42, v[10:11], s[4:5] scale_offset
.LBB563_209:
	s_wait_xcnt 0x0
	s_or_b32 exec_lo, exec_lo, s0
	v_and_b32_e32 v21, 1, v33
	v_cmp_lt_u32_e32 vcc_lo, v41, v19
	s_delay_alu instid0(VALU_DEP_2) | instskip(SKIP_1) | instid1(SALU_CYCLE_1)
	v_cmp_eq_u32_e64 s0, 1, v21
	s_or_b32 s1, s17, vcc_lo
	s_and_b32 s1, s1, s0
	s_delay_alu instid0(SALU_CYCLE_1)
	s_and_saveexec_b32 s0, s1
	s_cbranch_execz .LBB563_211
; %bb.210:
	s_lshl_b64 s[4:5], s[14:15], 3
	s_wait_kmcnt 0x0
	s_add_nc_u64 s[4:5], s[2:3], s[4:5]
	global_store_b64 v41, v[12:13], s[4:5] scale_offset
.LBB563_211:
	s_wait_xcnt 0x0
	s_or_b32 exec_lo, exec_lo, s0
	v_and_b32_e32 v21, 1, v32
	v_cmp_lt_u32_e32 vcc_lo, v29, v19
	s_delay_alu instid0(VALU_DEP_2) | instskip(SKIP_1) | instid1(SALU_CYCLE_1)
	v_cmp_eq_u32_e64 s0, 1, v21
	;; [unrolled: 17-line block ×6, first 2 shown]
	s_or_b32 s1, s17, vcc_lo
	s_and_b32 s1, s1, s0
	s_delay_alu instid0(SALU_CYCLE_1)
	s_and_saveexec_b32 s0, s1
	s_cbranch_execz .LBB563_221
; %bb.220:
	s_lshl_b64 s[4:5], s[14:15], 3
	s_wait_kmcnt 0x0
	s_add_nc_u64 s[4:5], s[2:3], s[4:5]
	global_store_b64 v25, v[14:15], s[4:5] scale_offset
.LBB563_221:
	s_wait_xcnt 0x0
	s_or_b32 exec_lo, exec_lo, s0
	s_branch .LBB563_205
.LBB563_222:
	s_mov_b32 s0, exec_lo
	v_cmpx_eq_u32_e32 1, v16
; %bb.223:
	v_sub_nc_u32_e32 v16, v42, v24
	s_delay_alu instid0(VALU_DEP_1)
	v_lshlrev_b32_e32 v16, 3, v16
	ds_store_b64 v16, v[10:11]
; %bb.224:
	s_or_b32 exec_lo, exec_lo, s0
	v_and_b32_e32 v10, 1, v33
	s_mov_b32 s0, exec_lo
	s_delay_alu instid0(VALU_DEP_1)
	v_cmpx_eq_u32_e32 1, v10
; %bb.225:
	v_sub_nc_u32_e32 v10, v41, v24
	s_delay_alu instid0(VALU_DEP_1)
	v_lshlrev_b32_e32 v10, 3, v10
	ds_store_b64 v10, v[12:13]
; %bb.226:
	s_or_b32 exec_lo, exec_lo, s0
	v_and_b32_e32 v10, 1, v32
	s_mov_b32 s0, exec_lo
	s_delay_alu instid0(VALU_DEP_1)
	;; [unrolled: 11-line block ×6, first 2 shown]
	v_cmpx_eq_u32_e32 1, v2
; %bb.235:
	v_sub_nc_u32_e32 v2, v25, v24
	s_delay_alu instid0(VALU_DEP_1)
	v_lshlrev_b32_e32 v2, 3, v2
	ds_store_b64 v2, v[14:15]
; %bb.236:
	s_or_b32 exec_lo, exec_lo, s0
	v_mov_b32_e32 v25, 0
	s_lshl_b64 s[0:1], s[14:15], 3
	s_wait_storecnt_dscnt 0x0
	s_barrier_signal -1
	s_barrier_wait -1
	v_lshlrev_b64_e32 v[2:3], 3, v[24:25]
	v_mov_b32_e32 v19, v25
	s_delay_alu instid0(VALU_DEP_2) | instskip(SKIP_2) | instid1(VALU_DEP_1)
	v_add_nc_u64_e32 v[2:3], s[0:1], v[2:3]
	s_mov_b32 s0, 0
	s_wait_kmcnt 0x0
	v_add_nc_u64_e32 v[2:3], s[2:3], v[2:3]
	s_delay_alu instid0(VALU_DEP_1)
	v_add_nc_u64_e32 v[2:3], v[2:3], v[18:19]
.LBB563_237:                            ; =>This Inner Loop Header: Depth=1
	ds_load_b64 v[4:5], v18
	v_add_nc_u32_e32 v1, 0x200, v1
	v_add_nc_u32_e32 v18, 0x1000, v18
	s_delay_alu instid0(VALU_DEP_2)
	v_cmp_ge_u32_e32 vcc_lo, v1, v22
	s_or_b32 s0, vcc_lo, s0
	s_wait_dscnt 0x0
	global_store_b64 v[2:3], v[4:5], off
	s_wait_xcnt 0x0
	v_add_nc_u64_e32 v[2:3], 0x1000, v[2:3]
	s_and_not1_b32 exec_lo, exec_lo, s0
	s_cbranch_execnz .LBB563_237
; %bb.238:
	s_or_b32 exec_lo, exec_lo, s0
	v_cmp_eq_u32_e32 vcc_lo, 0, v0
	s_and_b32 s0, vcc_lo, s16
	s_delay_alu instid0(SALU_CYCLE_1)
	s_and_saveexec_b32 s1, s0
	s_cbranch_execz .LBB563_206
.LBB563_239:
	v_mov_b32_e32 v23, 0
	s_delay_alu instid0(VALU_DEP_1) | instskip(SKIP_1) | instid1(VALU_DEP_1)
	v_add_nc_u64_e32 v[0:1], s[14:15], v[22:23]
	v_mov_b32_e32 v25, v23
	v_add_nc_u64_e32 v[0:1], v[0:1], v[24:25]
	global_store_b64 v23, v[0:1], s[12:13]
	s_endpgm
	.section	.rodata,"a",@progbits
	.p2align	6, 0x0
	.amdhsa_kernel _ZN7rocprim17ROCPRIM_400000_NS6detail17trampoline_kernelINS0_14default_configENS1_25partition_config_selectorILNS1_17partition_subalgoE8ElNS0_10empty_typeEbEEZZNS1_14partition_implILS5_8ELb0ES3_jPlPS6_PKS6_NS0_5tupleIJS9_S6_EEENSD_IJSA_SA_EEENS0_18inequality_wrapperIZN2at6native12_GLOBAL__N_124unique_dim_cuda_templateIlEESt5tupleIJNSH_6TensorESM_SM_EERKSM_lbbbEUlllE0_EEPmJS6_EEE10hipError_tPvRmT3_T4_T5_T6_T7_T9_mT8_P12ihipStream_tbDpT10_ENKUlT_T0_E_clISt17integral_constantIbLb0EES1C_EEDaS17_S18_EUlS17_E_NS1_11comp_targetILNS1_3genE0ELNS1_11target_archE4294967295ELNS1_3gpuE0ELNS1_3repE0EEENS1_30default_config_static_selectorELNS0_4arch9wavefront6targetE0EEEvT1_
		.amdhsa_group_segment_fixed_size 28680
		.amdhsa_private_segment_fixed_size 0
		.amdhsa_kernarg_size 120
		.amdhsa_user_sgpr_count 2
		.amdhsa_user_sgpr_dispatch_ptr 0
		.amdhsa_user_sgpr_queue_ptr 0
		.amdhsa_user_sgpr_kernarg_segment_ptr 1
		.amdhsa_user_sgpr_dispatch_id 0
		.amdhsa_user_sgpr_kernarg_preload_length 0
		.amdhsa_user_sgpr_kernarg_preload_offset 0
		.amdhsa_user_sgpr_private_segment_size 0
		.amdhsa_wavefront_size32 1
		.amdhsa_uses_dynamic_stack 0
		.amdhsa_enable_private_segment 0
		.amdhsa_system_sgpr_workgroup_id_x 1
		.amdhsa_system_sgpr_workgroup_id_y 0
		.amdhsa_system_sgpr_workgroup_id_z 0
		.amdhsa_system_sgpr_workgroup_info 0
		.amdhsa_system_vgpr_workitem_id 0
		.amdhsa_next_free_vgpr 54
		.amdhsa_next_free_sgpr 36
		.amdhsa_named_barrier_count 0
		.amdhsa_reserve_vcc 1
		.amdhsa_float_round_mode_32 0
		.amdhsa_float_round_mode_16_64 0
		.amdhsa_float_denorm_mode_32 3
		.amdhsa_float_denorm_mode_16_64 3
		.amdhsa_fp16_overflow 0
		.amdhsa_memory_ordered 1
		.amdhsa_forward_progress 1
		.amdhsa_inst_pref_size 82
		.amdhsa_round_robin_scheduling 0
		.amdhsa_exception_fp_ieee_invalid_op 0
		.amdhsa_exception_fp_denorm_src 0
		.amdhsa_exception_fp_ieee_div_zero 0
		.amdhsa_exception_fp_ieee_overflow 0
		.amdhsa_exception_fp_ieee_underflow 0
		.amdhsa_exception_fp_ieee_inexact 0
		.amdhsa_exception_int_div_zero 0
	.end_amdhsa_kernel
	.section	.text._ZN7rocprim17ROCPRIM_400000_NS6detail17trampoline_kernelINS0_14default_configENS1_25partition_config_selectorILNS1_17partition_subalgoE8ElNS0_10empty_typeEbEEZZNS1_14partition_implILS5_8ELb0ES3_jPlPS6_PKS6_NS0_5tupleIJS9_S6_EEENSD_IJSA_SA_EEENS0_18inequality_wrapperIZN2at6native12_GLOBAL__N_124unique_dim_cuda_templateIlEESt5tupleIJNSH_6TensorESM_SM_EERKSM_lbbbEUlllE0_EEPmJS6_EEE10hipError_tPvRmT3_T4_T5_T6_T7_T9_mT8_P12ihipStream_tbDpT10_ENKUlT_T0_E_clISt17integral_constantIbLb0EES1C_EEDaS17_S18_EUlS17_E_NS1_11comp_targetILNS1_3genE0ELNS1_11target_archE4294967295ELNS1_3gpuE0ELNS1_3repE0EEENS1_30default_config_static_selectorELNS0_4arch9wavefront6targetE0EEEvT1_,"axG",@progbits,_ZN7rocprim17ROCPRIM_400000_NS6detail17trampoline_kernelINS0_14default_configENS1_25partition_config_selectorILNS1_17partition_subalgoE8ElNS0_10empty_typeEbEEZZNS1_14partition_implILS5_8ELb0ES3_jPlPS6_PKS6_NS0_5tupleIJS9_S6_EEENSD_IJSA_SA_EEENS0_18inequality_wrapperIZN2at6native12_GLOBAL__N_124unique_dim_cuda_templateIlEESt5tupleIJNSH_6TensorESM_SM_EERKSM_lbbbEUlllE0_EEPmJS6_EEE10hipError_tPvRmT3_T4_T5_T6_T7_T9_mT8_P12ihipStream_tbDpT10_ENKUlT_T0_E_clISt17integral_constantIbLb0EES1C_EEDaS17_S18_EUlS17_E_NS1_11comp_targetILNS1_3genE0ELNS1_11target_archE4294967295ELNS1_3gpuE0ELNS1_3repE0EEENS1_30default_config_static_selectorELNS0_4arch9wavefront6targetE0EEEvT1_,comdat
.Lfunc_end563:
	.size	_ZN7rocprim17ROCPRIM_400000_NS6detail17trampoline_kernelINS0_14default_configENS1_25partition_config_selectorILNS1_17partition_subalgoE8ElNS0_10empty_typeEbEEZZNS1_14partition_implILS5_8ELb0ES3_jPlPS6_PKS6_NS0_5tupleIJS9_S6_EEENSD_IJSA_SA_EEENS0_18inequality_wrapperIZN2at6native12_GLOBAL__N_124unique_dim_cuda_templateIlEESt5tupleIJNSH_6TensorESM_SM_EERKSM_lbbbEUlllE0_EEPmJS6_EEE10hipError_tPvRmT3_T4_T5_T6_T7_T9_mT8_P12ihipStream_tbDpT10_ENKUlT_T0_E_clISt17integral_constantIbLb0EES1C_EEDaS17_S18_EUlS17_E_NS1_11comp_targetILNS1_3genE0ELNS1_11target_archE4294967295ELNS1_3gpuE0ELNS1_3repE0EEENS1_30default_config_static_selectorELNS0_4arch9wavefront6targetE0EEEvT1_, .Lfunc_end563-_ZN7rocprim17ROCPRIM_400000_NS6detail17trampoline_kernelINS0_14default_configENS1_25partition_config_selectorILNS1_17partition_subalgoE8ElNS0_10empty_typeEbEEZZNS1_14partition_implILS5_8ELb0ES3_jPlPS6_PKS6_NS0_5tupleIJS9_S6_EEENSD_IJSA_SA_EEENS0_18inequality_wrapperIZN2at6native12_GLOBAL__N_124unique_dim_cuda_templateIlEESt5tupleIJNSH_6TensorESM_SM_EERKSM_lbbbEUlllE0_EEPmJS6_EEE10hipError_tPvRmT3_T4_T5_T6_T7_T9_mT8_P12ihipStream_tbDpT10_ENKUlT_T0_E_clISt17integral_constantIbLb0EES1C_EEDaS17_S18_EUlS17_E_NS1_11comp_targetILNS1_3genE0ELNS1_11target_archE4294967295ELNS1_3gpuE0ELNS1_3repE0EEENS1_30default_config_static_selectorELNS0_4arch9wavefront6targetE0EEEvT1_
                                        ; -- End function
	.set _ZN7rocprim17ROCPRIM_400000_NS6detail17trampoline_kernelINS0_14default_configENS1_25partition_config_selectorILNS1_17partition_subalgoE8ElNS0_10empty_typeEbEEZZNS1_14partition_implILS5_8ELb0ES3_jPlPS6_PKS6_NS0_5tupleIJS9_S6_EEENSD_IJSA_SA_EEENS0_18inequality_wrapperIZN2at6native12_GLOBAL__N_124unique_dim_cuda_templateIlEESt5tupleIJNSH_6TensorESM_SM_EERKSM_lbbbEUlllE0_EEPmJS6_EEE10hipError_tPvRmT3_T4_T5_T6_T7_T9_mT8_P12ihipStream_tbDpT10_ENKUlT_T0_E_clISt17integral_constantIbLb0EES1C_EEDaS17_S18_EUlS17_E_NS1_11comp_targetILNS1_3genE0ELNS1_11target_archE4294967295ELNS1_3gpuE0ELNS1_3repE0EEENS1_30default_config_static_selectorELNS0_4arch9wavefront6targetE0EEEvT1_.num_vgpr, 54
	.set _ZN7rocprim17ROCPRIM_400000_NS6detail17trampoline_kernelINS0_14default_configENS1_25partition_config_selectorILNS1_17partition_subalgoE8ElNS0_10empty_typeEbEEZZNS1_14partition_implILS5_8ELb0ES3_jPlPS6_PKS6_NS0_5tupleIJS9_S6_EEENSD_IJSA_SA_EEENS0_18inequality_wrapperIZN2at6native12_GLOBAL__N_124unique_dim_cuda_templateIlEESt5tupleIJNSH_6TensorESM_SM_EERKSM_lbbbEUlllE0_EEPmJS6_EEE10hipError_tPvRmT3_T4_T5_T6_T7_T9_mT8_P12ihipStream_tbDpT10_ENKUlT_T0_E_clISt17integral_constantIbLb0EES1C_EEDaS17_S18_EUlS17_E_NS1_11comp_targetILNS1_3genE0ELNS1_11target_archE4294967295ELNS1_3gpuE0ELNS1_3repE0EEENS1_30default_config_static_selectorELNS0_4arch9wavefront6targetE0EEEvT1_.num_agpr, 0
	.set _ZN7rocprim17ROCPRIM_400000_NS6detail17trampoline_kernelINS0_14default_configENS1_25partition_config_selectorILNS1_17partition_subalgoE8ElNS0_10empty_typeEbEEZZNS1_14partition_implILS5_8ELb0ES3_jPlPS6_PKS6_NS0_5tupleIJS9_S6_EEENSD_IJSA_SA_EEENS0_18inequality_wrapperIZN2at6native12_GLOBAL__N_124unique_dim_cuda_templateIlEESt5tupleIJNSH_6TensorESM_SM_EERKSM_lbbbEUlllE0_EEPmJS6_EEE10hipError_tPvRmT3_T4_T5_T6_T7_T9_mT8_P12ihipStream_tbDpT10_ENKUlT_T0_E_clISt17integral_constantIbLb0EES1C_EEDaS17_S18_EUlS17_E_NS1_11comp_targetILNS1_3genE0ELNS1_11target_archE4294967295ELNS1_3gpuE0ELNS1_3repE0EEENS1_30default_config_static_selectorELNS0_4arch9wavefront6targetE0EEEvT1_.numbered_sgpr, 36
	.set _ZN7rocprim17ROCPRIM_400000_NS6detail17trampoline_kernelINS0_14default_configENS1_25partition_config_selectorILNS1_17partition_subalgoE8ElNS0_10empty_typeEbEEZZNS1_14partition_implILS5_8ELb0ES3_jPlPS6_PKS6_NS0_5tupleIJS9_S6_EEENSD_IJSA_SA_EEENS0_18inequality_wrapperIZN2at6native12_GLOBAL__N_124unique_dim_cuda_templateIlEESt5tupleIJNSH_6TensorESM_SM_EERKSM_lbbbEUlllE0_EEPmJS6_EEE10hipError_tPvRmT3_T4_T5_T6_T7_T9_mT8_P12ihipStream_tbDpT10_ENKUlT_T0_E_clISt17integral_constantIbLb0EES1C_EEDaS17_S18_EUlS17_E_NS1_11comp_targetILNS1_3genE0ELNS1_11target_archE4294967295ELNS1_3gpuE0ELNS1_3repE0EEENS1_30default_config_static_selectorELNS0_4arch9wavefront6targetE0EEEvT1_.num_named_barrier, 0
	.set _ZN7rocprim17ROCPRIM_400000_NS6detail17trampoline_kernelINS0_14default_configENS1_25partition_config_selectorILNS1_17partition_subalgoE8ElNS0_10empty_typeEbEEZZNS1_14partition_implILS5_8ELb0ES3_jPlPS6_PKS6_NS0_5tupleIJS9_S6_EEENSD_IJSA_SA_EEENS0_18inequality_wrapperIZN2at6native12_GLOBAL__N_124unique_dim_cuda_templateIlEESt5tupleIJNSH_6TensorESM_SM_EERKSM_lbbbEUlllE0_EEPmJS6_EEE10hipError_tPvRmT3_T4_T5_T6_T7_T9_mT8_P12ihipStream_tbDpT10_ENKUlT_T0_E_clISt17integral_constantIbLb0EES1C_EEDaS17_S18_EUlS17_E_NS1_11comp_targetILNS1_3genE0ELNS1_11target_archE4294967295ELNS1_3gpuE0ELNS1_3repE0EEENS1_30default_config_static_selectorELNS0_4arch9wavefront6targetE0EEEvT1_.private_seg_size, 0
	.set _ZN7rocprim17ROCPRIM_400000_NS6detail17trampoline_kernelINS0_14default_configENS1_25partition_config_selectorILNS1_17partition_subalgoE8ElNS0_10empty_typeEbEEZZNS1_14partition_implILS5_8ELb0ES3_jPlPS6_PKS6_NS0_5tupleIJS9_S6_EEENSD_IJSA_SA_EEENS0_18inequality_wrapperIZN2at6native12_GLOBAL__N_124unique_dim_cuda_templateIlEESt5tupleIJNSH_6TensorESM_SM_EERKSM_lbbbEUlllE0_EEPmJS6_EEE10hipError_tPvRmT3_T4_T5_T6_T7_T9_mT8_P12ihipStream_tbDpT10_ENKUlT_T0_E_clISt17integral_constantIbLb0EES1C_EEDaS17_S18_EUlS17_E_NS1_11comp_targetILNS1_3genE0ELNS1_11target_archE4294967295ELNS1_3gpuE0ELNS1_3repE0EEENS1_30default_config_static_selectorELNS0_4arch9wavefront6targetE0EEEvT1_.uses_vcc, 1
	.set _ZN7rocprim17ROCPRIM_400000_NS6detail17trampoline_kernelINS0_14default_configENS1_25partition_config_selectorILNS1_17partition_subalgoE8ElNS0_10empty_typeEbEEZZNS1_14partition_implILS5_8ELb0ES3_jPlPS6_PKS6_NS0_5tupleIJS9_S6_EEENSD_IJSA_SA_EEENS0_18inequality_wrapperIZN2at6native12_GLOBAL__N_124unique_dim_cuda_templateIlEESt5tupleIJNSH_6TensorESM_SM_EERKSM_lbbbEUlllE0_EEPmJS6_EEE10hipError_tPvRmT3_T4_T5_T6_T7_T9_mT8_P12ihipStream_tbDpT10_ENKUlT_T0_E_clISt17integral_constantIbLb0EES1C_EEDaS17_S18_EUlS17_E_NS1_11comp_targetILNS1_3genE0ELNS1_11target_archE4294967295ELNS1_3gpuE0ELNS1_3repE0EEENS1_30default_config_static_selectorELNS0_4arch9wavefront6targetE0EEEvT1_.uses_flat_scratch, 0
	.set _ZN7rocprim17ROCPRIM_400000_NS6detail17trampoline_kernelINS0_14default_configENS1_25partition_config_selectorILNS1_17partition_subalgoE8ElNS0_10empty_typeEbEEZZNS1_14partition_implILS5_8ELb0ES3_jPlPS6_PKS6_NS0_5tupleIJS9_S6_EEENSD_IJSA_SA_EEENS0_18inequality_wrapperIZN2at6native12_GLOBAL__N_124unique_dim_cuda_templateIlEESt5tupleIJNSH_6TensorESM_SM_EERKSM_lbbbEUlllE0_EEPmJS6_EEE10hipError_tPvRmT3_T4_T5_T6_T7_T9_mT8_P12ihipStream_tbDpT10_ENKUlT_T0_E_clISt17integral_constantIbLb0EES1C_EEDaS17_S18_EUlS17_E_NS1_11comp_targetILNS1_3genE0ELNS1_11target_archE4294967295ELNS1_3gpuE0ELNS1_3repE0EEENS1_30default_config_static_selectorELNS0_4arch9wavefront6targetE0EEEvT1_.has_dyn_sized_stack, 0
	.set _ZN7rocprim17ROCPRIM_400000_NS6detail17trampoline_kernelINS0_14default_configENS1_25partition_config_selectorILNS1_17partition_subalgoE8ElNS0_10empty_typeEbEEZZNS1_14partition_implILS5_8ELb0ES3_jPlPS6_PKS6_NS0_5tupleIJS9_S6_EEENSD_IJSA_SA_EEENS0_18inequality_wrapperIZN2at6native12_GLOBAL__N_124unique_dim_cuda_templateIlEESt5tupleIJNSH_6TensorESM_SM_EERKSM_lbbbEUlllE0_EEPmJS6_EEE10hipError_tPvRmT3_T4_T5_T6_T7_T9_mT8_P12ihipStream_tbDpT10_ENKUlT_T0_E_clISt17integral_constantIbLb0EES1C_EEDaS17_S18_EUlS17_E_NS1_11comp_targetILNS1_3genE0ELNS1_11target_archE4294967295ELNS1_3gpuE0ELNS1_3repE0EEENS1_30default_config_static_selectorELNS0_4arch9wavefront6targetE0EEEvT1_.has_recursion, 0
	.set _ZN7rocprim17ROCPRIM_400000_NS6detail17trampoline_kernelINS0_14default_configENS1_25partition_config_selectorILNS1_17partition_subalgoE8ElNS0_10empty_typeEbEEZZNS1_14partition_implILS5_8ELb0ES3_jPlPS6_PKS6_NS0_5tupleIJS9_S6_EEENSD_IJSA_SA_EEENS0_18inequality_wrapperIZN2at6native12_GLOBAL__N_124unique_dim_cuda_templateIlEESt5tupleIJNSH_6TensorESM_SM_EERKSM_lbbbEUlllE0_EEPmJS6_EEE10hipError_tPvRmT3_T4_T5_T6_T7_T9_mT8_P12ihipStream_tbDpT10_ENKUlT_T0_E_clISt17integral_constantIbLb0EES1C_EEDaS17_S18_EUlS17_E_NS1_11comp_targetILNS1_3genE0ELNS1_11target_archE4294967295ELNS1_3gpuE0ELNS1_3repE0EEENS1_30default_config_static_selectorELNS0_4arch9wavefront6targetE0EEEvT1_.has_indirect_call, 0
	.section	.AMDGPU.csdata,"",@progbits
; Kernel info:
; codeLenInByte = 10408
; TotalNumSgprs: 38
; NumVgprs: 54
; ScratchSize: 0
; MemoryBound: 0
; FloatMode: 240
; IeeeMode: 1
; LDSByteSize: 28680 bytes/workgroup (compile time only)
; SGPRBlocks: 0
; VGPRBlocks: 3
; NumSGPRsForWavesPerEU: 38
; NumVGPRsForWavesPerEU: 54
; NamedBarCnt: 0
; Occupancy: 16
; WaveLimiterHint : 1
; COMPUTE_PGM_RSRC2:SCRATCH_EN: 0
; COMPUTE_PGM_RSRC2:USER_SGPR: 2
; COMPUTE_PGM_RSRC2:TRAP_HANDLER: 0
; COMPUTE_PGM_RSRC2:TGID_X_EN: 1
; COMPUTE_PGM_RSRC2:TGID_Y_EN: 0
; COMPUTE_PGM_RSRC2:TGID_Z_EN: 0
; COMPUTE_PGM_RSRC2:TIDIG_COMP_CNT: 0
	.section	.text._ZN7rocprim17ROCPRIM_400000_NS6detail17trampoline_kernelINS0_14default_configENS1_25partition_config_selectorILNS1_17partition_subalgoE8ElNS0_10empty_typeEbEEZZNS1_14partition_implILS5_8ELb0ES3_jPlPS6_PKS6_NS0_5tupleIJS9_S6_EEENSD_IJSA_SA_EEENS0_18inequality_wrapperIZN2at6native12_GLOBAL__N_124unique_dim_cuda_templateIlEESt5tupleIJNSH_6TensorESM_SM_EERKSM_lbbbEUlllE0_EEPmJS6_EEE10hipError_tPvRmT3_T4_T5_T6_T7_T9_mT8_P12ihipStream_tbDpT10_ENKUlT_T0_E_clISt17integral_constantIbLb0EES1C_EEDaS17_S18_EUlS17_E_NS1_11comp_targetILNS1_3genE5ELNS1_11target_archE942ELNS1_3gpuE9ELNS1_3repE0EEENS1_30default_config_static_selectorELNS0_4arch9wavefront6targetE0EEEvT1_,"axG",@progbits,_ZN7rocprim17ROCPRIM_400000_NS6detail17trampoline_kernelINS0_14default_configENS1_25partition_config_selectorILNS1_17partition_subalgoE8ElNS0_10empty_typeEbEEZZNS1_14partition_implILS5_8ELb0ES3_jPlPS6_PKS6_NS0_5tupleIJS9_S6_EEENSD_IJSA_SA_EEENS0_18inequality_wrapperIZN2at6native12_GLOBAL__N_124unique_dim_cuda_templateIlEESt5tupleIJNSH_6TensorESM_SM_EERKSM_lbbbEUlllE0_EEPmJS6_EEE10hipError_tPvRmT3_T4_T5_T6_T7_T9_mT8_P12ihipStream_tbDpT10_ENKUlT_T0_E_clISt17integral_constantIbLb0EES1C_EEDaS17_S18_EUlS17_E_NS1_11comp_targetILNS1_3genE5ELNS1_11target_archE942ELNS1_3gpuE9ELNS1_3repE0EEENS1_30default_config_static_selectorELNS0_4arch9wavefront6targetE0EEEvT1_,comdat
	.globl	_ZN7rocprim17ROCPRIM_400000_NS6detail17trampoline_kernelINS0_14default_configENS1_25partition_config_selectorILNS1_17partition_subalgoE8ElNS0_10empty_typeEbEEZZNS1_14partition_implILS5_8ELb0ES3_jPlPS6_PKS6_NS0_5tupleIJS9_S6_EEENSD_IJSA_SA_EEENS0_18inequality_wrapperIZN2at6native12_GLOBAL__N_124unique_dim_cuda_templateIlEESt5tupleIJNSH_6TensorESM_SM_EERKSM_lbbbEUlllE0_EEPmJS6_EEE10hipError_tPvRmT3_T4_T5_T6_T7_T9_mT8_P12ihipStream_tbDpT10_ENKUlT_T0_E_clISt17integral_constantIbLb0EES1C_EEDaS17_S18_EUlS17_E_NS1_11comp_targetILNS1_3genE5ELNS1_11target_archE942ELNS1_3gpuE9ELNS1_3repE0EEENS1_30default_config_static_selectorELNS0_4arch9wavefront6targetE0EEEvT1_ ; -- Begin function _ZN7rocprim17ROCPRIM_400000_NS6detail17trampoline_kernelINS0_14default_configENS1_25partition_config_selectorILNS1_17partition_subalgoE8ElNS0_10empty_typeEbEEZZNS1_14partition_implILS5_8ELb0ES3_jPlPS6_PKS6_NS0_5tupleIJS9_S6_EEENSD_IJSA_SA_EEENS0_18inequality_wrapperIZN2at6native12_GLOBAL__N_124unique_dim_cuda_templateIlEESt5tupleIJNSH_6TensorESM_SM_EERKSM_lbbbEUlllE0_EEPmJS6_EEE10hipError_tPvRmT3_T4_T5_T6_T7_T9_mT8_P12ihipStream_tbDpT10_ENKUlT_T0_E_clISt17integral_constantIbLb0EES1C_EEDaS17_S18_EUlS17_E_NS1_11comp_targetILNS1_3genE5ELNS1_11target_archE942ELNS1_3gpuE9ELNS1_3repE0EEENS1_30default_config_static_selectorELNS0_4arch9wavefront6targetE0EEEvT1_
	.p2align	8
	.type	_ZN7rocprim17ROCPRIM_400000_NS6detail17trampoline_kernelINS0_14default_configENS1_25partition_config_selectorILNS1_17partition_subalgoE8ElNS0_10empty_typeEbEEZZNS1_14partition_implILS5_8ELb0ES3_jPlPS6_PKS6_NS0_5tupleIJS9_S6_EEENSD_IJSA_SA_EEENS0_18inequality_wrapperIZN2at6native12_GLOBAL__N_124unique_dim_cuda_templateIlEESt5tupleIJNSH_6TensorESM_SM_EERKSM_lbbbEUlllE0_EEPmJS6_EEE10hipError_tPvRmT3_T4_T5_T6_T7_T9_mT8_P12ihipStream_tbDpT10_ENKUlT_T0_E_clISt17integral_constantIbLb0EES1C_EEDaS17_S18_EUlS17_E_NS1_11comp_targetILNS1_3genE5ELNS1_11target_archE942ELNS1_3gpuE9ELNS1_3repE0EEENS1_30default_config_static_selectorELNS0_4arch9wavefront6targetE0EEEvT1_,@function
_ZN7rocprim17ROCPRIM_400000_NS6detail17trampoline_kernelINS0_14default_configENS1_25partition_config_selectorILNS1_17partition_subalgoE8ElNS0_10empty_typeEbEEZZNS1_14partition_implILS5_8ELb0ES3_jPlPS6_PKS6_NS0_5tupleIJS9_S6_EEENSD_IJSA_SA_EEENS0_18inequality_wrapperIZN2at6native12_GLOBAL__N_124unique_dim_cuda_templateIlEESt5tupleIJNSH_6TensorESM_SM_EERKSM_lbbbEUlllE0_EEPmJS6_EEE10hipError_tPvRmT3_T4_T5_T6_T7_T9_mT8_P12ihipStream_tbDpT10_ENKUlT_T0_E_clISt17integral_constantIbLb0EES1C_EEDaS17_S18_EUlS17_E_NS1_11comp_targetILNS1_3genE5ELNS1_11target_archE942ELNS1_3gpuE9ELNS1_3repE0EEENS1_30default_config_static_selectorELNS0_4arch9wavefront6targetE0EEEvT1_: ; @_ZN7rocprim17ROCPRIM_400000_NS6detail17trampoline_kernelINS0_14default_configENS1_25partition_config_selectorILNS1_17partition_subalgoE8ElNS0_10empty_typeEbEEZZNS1_14partition_implILS5_8ELb0ES3_jPlPS6_PKS6_NS0_5tupleIJS9_S6_EEENSD_IJSA_SA_EEENS0_18inequality_wrapperIZN2at6native12_GLOBAL__N_124unique_dim_cuda_templateIlEESt5tupleIJNSH_6TensorESM_SM_EERKSM_lbbbEUlllE0_EEPmJS6_EEE10hipError_tPvRmT3_T4_T5_T6_T7_T9_mT8_P12ihipStream_tbDpT10_ENKUlT_T0_E_clISt17integral_constantIbLb0EES1C_EEDaS17_S18_EUlS17_E_NS1_11comp_targetILNS1_3genE5ELNS1_11target_archE942ELNS1_3gpuE9ELNS1_3repE0EEENS1_30default_config_static_selectorELNS0_4arch9wavefront6targetE0EEEvT1_
; %bb.0:
	.section	.rodata,"a",@progbits
	.p2align	6, 0x0
	.amdhsa_kernel _ZN7rocprim17ROCPRIM_400000_NS6detail17trampoline_kernelINS0_14default_configENS1_25partition_config_selectorILNS1_17partition_subalgoE8ElNS0_10empty_typeEbEEZZNS1_14partition_implILS5_8ELb0ES3_jPlPS6_PKS6_NS0_5tupleIJS9_S6_EEENSD_IJSA_SA_EEENS0_18inequality_wrapperIZN2at6native12_GLOBAL__N_124unique_dim_cuda_templateIlEESt5tupleIJNSH_6TensorESM_SM_EERKSM_lbbbEUlllE0_EEPmJS6_EEE10hipError_tPvRmT3_T4_T5_T6_T7_T9_mT8_P12ihipStream_tbDpT10_ENKUlT_T0_E_clISt17integral_constantIbLb0EES1C_EEDaS17_S18_EUlS17_E_NS1_11comp_targetILNS1_3genE5ELNS1_11target_archE942ELNS1_3gpuE9ELNS1_3repE0EEENS1_30default_config_static_selectorELNS0_4arch9wavefront6targetE0EEEvT1_
		.amdhsa_group_segment_fixed_size 0
		.amdhsa_private_segment_fixed_size 0
		.amdhsa_kernarg_size 120
		.amdhsa_user_sgpr_count 2
		.amdhsa_user_sgpr_dispatch_ptr 0
		.amdhsa_user_sgpr_queue_ptr 0
		.amdhsa_user_sgpr_kernarg_segment_ptr 1
		.amdhsa_user_sgpr_dispatch_id 0
		.amdhsa_user_sgpr_kernarg_preload_length 0
		.amdhsa_user_sgpr_kernarg_preload_offset 0
		.amdhsa_user_sgpr_private_segment_size 0
		.amdhsa_wavefront_size32 1
		.amdhsa_uses_dynamic_stack 0
		.amdhsa_enable_private_segment 0
		.amdhsa_system_sgpr_workgroup_id_x 1
		.amdhsa_system_sgpr_workgroup_id_y 0
		.amdhsa_system_sgpr_workgroup_id_z 0
		.amdhsa_system_sgpr_workgroup_info 0
		.amdhsa_system_vgpr_workitem_id 0
		.amdhsa_next_free_vgpr 1
		.amdhsa_next_free_sgpr 1
		.amdhsa_named_barrier_count 0
		.amdhsa_reserve_vcc 0
		.amdhsa_float_round_mode_32 0
		.amdhsa_float_round_mode_16_64 0
		.amdhsa_float_denorm_mode_32 3
		.amdhsa_float_denorm_mode_16_64 3
		.amdhsa_fp16_overflow 0
		.amdhsa_memory_ordered 1
		.amdhsa_forward_progress 1
		.amdhsa_inst_pref_size 0
		.amdhsa_round_robin_scheduling 0
		.amdhsa_exception_fp_ieee_invalid_op 0
		.amdhsa_exception_fp_denorm_src 0
		.amdhsa_exception_fp_ieee_div_zero 0
		.amdhsa_exception_fp_ieee_overflow 0
		.amdhsa_exception_fp_ieee_underflow 0
		.amdhsa_exception_fp_ieee_inexact 0
		.amdhsa_exception_int_div_zero 0
	.end_amdhsa_kernel
	.section	.text._ZN7rocprim17ROCPRIM_400000_NS6detail17trampoline_kernelINS0_14default_configENS1_25partition_config_selectorILNS1_17partition_subalgoE8ElNS0_10empty_typeEbEEZZNS1_14partition_implILS5_8ELb0ES3_jPlPS6_PKS6_NS0_5tupleIJS9_S6_EEENSD_IJSA_SA_EEENS0_18inequality_wrapperIZN2at6native12_GLOBAL__N_124unique_dim_cuda_templateIlEESt5tupleIJNSH_6TensorESM_SM_EERKSM_lbbbEUlllE0_EEPmJS6_EEE10hipError_tPvRmT3_T4_T5_T6_T7_T9_mT8_P12ihipStream_tbDpT10_ENKUlT_T0_E_clISt17integral_constantIbLb0EES1C_EEDaS17_S18_EUlS17_E_NS1_11comp_targetILNS1_3genE5ELNS1_11target_archE942ELNS1_3gpuE9ELNS1_3repE0EEENS1_30default_config_static_selectorELNS0_4arch9wavefront6targetE0EEEvT1_,"axG",@progbits,_ZN7rocprim17ROCPRIM_400000_NS6detail17trampoline_kernelINS0_14default_configENS1_25partition_config_selectorILNS1_17partition_subalgoE8ElNS0_10empty_typeEbEEZZNS1_14partition_implILS5_8ELb0ES3_jPlPS6_PKS6_NS0_5tupleIJS9_S6_EEENSD_IJSA_SA_EEENS0_18inequality_wrapperIZN2at6native12_GLOBAL__N_124unique_dim_cuda_templateIlEESt5tupleIJNSH_6TensorESM_SM_EERKSM_lbbbEUlllE0_EEPmJS6_EEE10hipError_tPvRmT3_T4_T5_T6_T7_T9_mT8_P12ihipStream_tbDpT10_ENKUlT_T0_E_clISt17integral_constantIbLb0EES1C_EEDaS17_S18_EUlS17_E_NS1_11comp_targetILNS1_3genE5ELNS1_11target_archE942ELNS1_3gpuE9ELNS1_3repE0EEENS1_30default_config_static_selectorELNS0_4arch9wavefront6targetE0EEEvT1_,comdat
.Lfunc_end564:
	.size	_ZN7rocprim17ROCPRIM_400000_NS6detail17trampoline_kernelINS0_14default_configENS1_25partition_config_selectorILNS1_17partition_subalgoE8ElNS0_10empty_typeEbEEZZNS1_14partition_implILS5_8ELb0ES3_jPlPS6_PKS6_NS0_5tupleIJS9_S6_EEENSD_IJSA_SA_EEENS0_18inequality_wrapperIZN2at6native12_GLOBAL__N_124unique_dim_cuda_templateIlEESt5tupleIJNSH_6TensorESM_SM_EERKSM_lbbbEUlllE0_EEPmJS6_EEE10hipError_tPvRmT3_T4_T5_T6_T7_T9_mT8_P12ihipStream_tbDpT10_ENKUlT_T0_E_clISt17integral_constantIbLb0EES1C_EEDaS17_S18_EUlS17_E_NS1_11comp_targetILNS1_3genE5ELNS1_11target_archE942ELNS1_3gpuE9ELNS1_3repE0EEENS1_30default_config_static_selectorELNS0_4arch9wavefront6targetE0EEEvT1_, .Lfunc_end564-_ZN7rocprim17ROCPRIM_400000_NS6detail17trampoline_kernelINS0_14default_configENS1_25partition_config_selectorILNS1_17partition_subalgoE8ElNS0_10empty_typeEbEEZZNS1_14partition_implILS5_8ELb0ES3_jPlPS6_PKS6_NS0_5tupleIJS9_S6_EEENSD_IJSA_SA_EEENS0_18inequality_wrapperIZN2at6native12_GLOBAL__N_124unique_dim_cuda_templateIlEESt5tupleIJNSH_6TensorESM_SM_EERKSM_lbbbEUlllE0_EEPmJS6_EEE10hipError_tPvRmT3_T4_T5_T6_T7_T9_mT8_P12ihipStream_tbDpT10_ENKUlT_T0_E_clISt17integral_constantIbLb0EES1C_EEDaS17_S18_EUlS17_E_NS1_11comp_targetILNS1_3genE5ELNS1_11target_archE942ELNS1_3gpuE9ELNS1_3repE0EEENS1_30default_config_static_selectorELNS0_4arch9wavefront6targetE0EEEvT1_
                                        ; -- End function
	.set _ZN7rocprim17ROCPRIM_400000_NS6detail17trampoline_kernelINS0_14default_configENS1_25partition_config_selectorILNS1_17partition_subalgoE8ElNS0_10empty_typeEbEEZZNS1_14partition_implILS5_8ELb0ES3_jPlPS6_PKS6_NS0_5tupleIJS9_S6_EEENSD_IJSA_SA_EEENS0_18inequality_wrapperIZN2at6native12_GLOBAL__N_124unique_dim_cuda_templateIlEESt5tupleIJNSH_6TensorESM_SM_EERKSM_lbbbEUlllE0_EEPmJS6_EEE10hipError_tPvRmT3_T4_T5_T6_T7_T9_mT8_P12ihipStream_tbDpT10_ENKUlT_T0_E_clISt17integral_constantIbLb0EES1C_EEDaS17_S18_EUlS17_E_NS1_11comp_targetILNS1_3genE5ELNS1_11target_archE942ELNS1_3gpuE9ELNS1_3repE0EEENS1_30default_config_static_selectorELNS0_4arch9wavefront6targetE0EEEvT1_.num_vgpr, 0
	.set _ZN7rocprim17ROCPRIM_400000_NS6detail17trampoline_kernelINS0_14default_configENS1_25partition_config_selectorILNS1_17partition_subalgoE8ElNS0_10empty_typeEbEEZZNS1_14partition_implILS5_8ELb0ES3_jPlPS6_PKS6_NS0_5tupleIJS9_S6_EEENSD_IJSA_SA_EEENS0_18inequality_wrapperIZN2at6native12_GLOBAL__N_124unique_dim_cuda_templateIlEESt5tupleIJNSH_6TensorESM_SM_EERKSM_lbbbEUlllE0_EEPmJS6_EEE10hipError_tPvRmT3_T4_T5_T6_T7_T9_mT8_P12ihipStream_tbDpT10_ENKUlT_T0_E_clISt17integral_constantIbLb0EES1C_EEDaS17_S18_EUlS17_E_NS1_11comp_targetILNS1_3genE5ELNS1_11target_archE942ELNS1_3gpuE9ELNS1_3repE0EEENS1_30default_config_static_selectorELNS0_4arch9wavefront6targetE0EEEvT1_.num_agpr, 0
	.set _ZN7rocprim17ROCPRIM_400000_NS6detail17trampoline_kernelINS0_14default_configENS1_25partition_config_selectorILNS1_17partition_subalgoE8ElNS0_10empty_typeEbEEZZNS1_14partition_implILS5_8ELb0ES3_jPlPS6_PKS6_NS0_5tupleIJS9_S6_EEENSD_IJSA_SA_EEENS0_18inequality_wrapperIZN2at6native12_GLOBAL__N_124unique_dim_cuda_templateIlEESt5tupleIJNSH_6TensorESM_SM_EERKSM_lbbbEUlllE0_EEPmJS6_EEE10hipError_tPvRmT3_T4_T5_T6_T7_T9_mT8_P12ihipStream_tbDpT10_ENKUlT_T0_E_clISt17integral_constantIbLb0EES1C_EEDaS17_S18_EUlS17_E_NS1_11comp_targetILNS1_3genE5ELNS1_11target_archE942ELNS1_3gpuE9ELNS1_3repE0EEENS1_30default_config_static_selectorELNS0_4arch9wavefront6targetE0EEEvT1_.numbered_sgpr, 0
	.set _ZN7rocprim17ROCPRIM_400000_NS6detail17trampoline_kernelINS0_14default_configENS1_25partition_config_selectorILNS1_17partition_subalgoE8ElNS0_10empty_typeEbEEZZNS1_14partition_implILS5_8ELb0ES3_jPlPS6_PKS6_NS0_5tupleIJS9_S6_EEENSD_IJSA_SA_EEENS0_18inequality_wrapperIZN2at6native12_GLOBAL__N_124unique_dim_cuda_templateIlEESt5tupleIJNSH_6TensorESM_SM_EERKSM_lbbbEUlllE0_EEPmJS6_EEE10hipError_tPvRmT3_T4_T5_T6_T7_T9_mT8_P12ihipStream_tbDpT10_ENKUlT_T0_E_clISt17integral_constantIbLb0EES1C_EEDaS17_S18_EUlS17_E_NS1_11comp_targetILNS1_3genE5ELNS1_11target_archE942ELNS1_3gpuE9ELNS1_3repE0EEENS1_30default_config_static_selectorELNS0_4arch9wavefront6targetE0EEEvT1_.num_named_barrier, 0
	.set _ZN7rocprim17ROCPRIM_400000_NS6detail17trampoline_kernelINS0_14default_configENS1_25partition_config_selectorILNS1_17partition_subalgoE8ElNS0_10empty_typeEbEEZZNS1_14partition_implILS5_8ELb0ES3_jPlPS6_PKS6_NS0_5tupleIJS9_S6_EEENSD_IJSA_SA_EEENS0_18inequality_wrapperIZN2at6native12_GLOBAL__N_124unique_dim_cuda_templateIlEESt5tupleIJNSH_6TensorESM_SM_EERKSM_lbbbEUlllE0_EEPmJS6_EEE10hipError_tPvRmT3_T4_T5_T6_T7_T9_mT8_P12ihipStream_tbDpT10_ENKUlT_T0_E_clISt17integral_constantIbLb0EES1C_EEDaS17_S18_EUlS17_E_NS1_11comp_targetILNS1_3genE5ELNS1_11target_archE942ELNS1_3gpuE9ELNS1_3repE0EEENS1_30default_config_static_selectorELNS0_4arch9wavefront6targetE0EEEvT1_.private_seg_size, 0
	.set _ZN7rocprim17ROCPRIM_400000_NS6detail17trampoline_kernelINS0_14default_configENS1_25partition_config_selectorILNS1_17partition_subalgoE8ElNS0_10empty_typeEbEEZZNS1_14partition_implILS5_8ELb0ES3_jPlPS6_PKS6_NS0_5tupleIJS9_S6_EEENSD_IJSA_SA_EEENS0_18inequality_wrapperIZN2at6native12_GLOBAL__N_124unique_dim_cuda_templateIlEESt5tupleIJNSH_6TensorESM_SM_EERKSM_lbbbEUlllE0_EEPmJS6_EEE10hipError_tPvRmT3_T4_T5_T6_T7_T9_mT8_P12ihipStream_tbDpT10_ENKUlT_T0_E_clISt17integral_constantIbLb0EES1C_EEDaS17_S18_EUlS17_E_NS1_11comp_targetILNS1_3genE5ELNS1_11target_archE942ELNS1_3gpuE9ELNS1_3repE0EEENS1_30default_config_static_selectorELNS0_4arch9wavefront6targetE0EEEvT1_.uses_vcc, 0
	.set _ZN7rocprim17ROCPRIM_400000_NS6detail17trampoline_kernelINS0_14default_configENS1_25partition_config_selectorILNS1_17partition_subalgoE8ElNS0_10empty_typeEbEEZZNS1_14partition_implILS5_8ELb0ES3_jPlPS6_PKS6_NS0_5tupleIJS9_S6_EEENSD_IJSA_SA_EEENS0_18inequality_wrapperIZN2at6native12_GLOBAL__N_124unique_dim_cuda_templateIlEESt5tupleIJNSH_6TensorESM_SM_EERKSM_lbbbEUlllE0_EEPmJS6_EEE10hipError_tPvRmT3_T4_T5_T6_T7_T9_mT8_P12ihipStream_tbDpT10_ENKUlT_T0_E_clISt17integral_constantIbLb0EES1C_EEDaS17_S18_EUlS17_E_NS1_11comp_targetILNS1_3genE5ELNS1_11target_archE942ELNS1_3gpuE9ELNS1_3repE0EEENS1_30default_config_static_selectorELNS0_4arch9wavefront6targetE0EEEvT1_.uses_flat_scratch, 0
	.set _ZN7rocprim17ROCPRIM_400000_NS6detail17trampoline_kernelINS0_14default_configENS1_25partition_config_selectorILNS1_17partition_subalgoE8ElNS0_10empty_typeEbEEZZNS1_14partition_implILS5_8ELb0ES3_jPlPS6_PKS6_NS0_5tupleIJS9_S6_EEENSD_IJSA_SA_EEENS0_18inequality_wrapperIZN2at6native12_GLOBAL__N_124unique_dim_cuda_templateIlEESt5tupleIJNSH_6TensorESM_SM_EERKSM_lbbbEUlllE0_EEPmJS6_EEE10hipError_tPvRmT3_T4_T5_T6_T7_T9_mT8_P12ihipStream_tbDpT10_ENKUlT_T0_E_clISt17integral_constantIbLb0EES1C_EEDaS17_S18_EUlS17_E_NS1_11comp_targetILNS1_3genE5ELNS1_11target_archE942ELNS1_3gpuE9ELNS1_3repE0EEENS1_30default_config_static_selectorELNS0_4arch9wavefront6targetE0EEEvT1_.has_dyn_sized_stack, 0
	.set _ZN7rocprim17ROCPRIM_400000_NS6detail17trampoline_kernelINS0_14default_configENS1_25partition_config_selectorILNS1_17partition_subalgoE8ElNS0_10empty_typeEbEEZZNS1_14partition_implILS5_8ELb0ES3_jPlPS6_PKS6_NS0_5tupleIJS9_S6_EEENSD_IJSA_SA_EEENS0_18inequality_wrapperIZN2at6native12_GLOBAL__N_124unique_dim_cuda_templateIlEESt5tupleIJNSH_6TensorESM_SM_EERKSM_lbbbEUlllE0_EEPmJS6_EEE10hipError_tPvRmT3_T4_T5_T6_T7_T9_mT8_P12ihipStream_tbDpT10_ENKUlT_T0_E_clISt17integral_constantIbLb0EES1C_EEDaS17_S18_EUlS17_E_NS1_11comp_targetILNS1_3genE5ELNS1_11target_archE942ELNS1_3gpuE9ELNS1_3repE0EEENS1_30default_config_static_selectorELNS0_4arch9wavefront6targetE0EEEvT1_.has_recursion, 0
	.set _ZN7rocprim17ROCPRIM_400000_NS6detail17trampoline_kernelINS0_14default_configENS1_25partition_config_selectorILNS1_17partition_subalgoE8ElNS0_10empty_typeEbEEZZNS1_14partition_implILS5_8ELb0ES3_jPlPS6_PKS6_NS0_5tupleIJS9_S6_EEENSD_IJSA_SA_EEENS0_18inequality_wrapperIZN2at6native12_GLOBAL__N_124unique_dim_cuda_templateIlEESt5tupleIJNSH_6TensorESM_SM_EERKSM_lbbbEUlllE0_EEPmJS6_EEE10hipError_tPvRmT3_T4_T5_T6_T7_T9_mT8_P12ihipStream_tbDpT10_ENKUlT_T0_E_clISt17integral_constantIbLb0EES1C_EEDaS17_S18_EUlS17_E_NS1_11comp_targetILNS1_3genE5ELNS1_11target_archE942ELNS1_3gpuE9ELNS1_3repE0EEENS1_30default_config_static_selectorELNS0_4arch9wavefront6targetE0EEEvT1_.has_indirect_call, 0
	.section	.AMDGPU.csdata,"",@progbits
; Kernel info:
; codeLenInByte = 0
; TotalNumSgprs: 0
; NumVgprs: 0
; ScratchSize: 0
; MemoryBound: 0
; FloatMode: 240
; IeeeMode: 1
; LDSByteSize: 0 bytes/workgroup (compile time only)
; SGPRBlocks: 0
; VGPRBlocks: 0
; NumSGPRsForWavesPerEU: 1
; NumVGPRsForWavesPerEU: 1
; NamedBarCnt: 0
; Occupancy: 16
; WaveLimiterHint : 0
; COMPUTE_PGM_RSRC2:SCRATCH_EN: 0
; COMPUTE_PGM_RSRC2:USER_SGPR: 2
; COMPUTE_PGM_RSRC2:TRAP_HANDLER: 0
; COMPUTE_PGM_RSRC2:TGID_X_EN: 1
; COMPUTE_PGM_RSRC2:TGID_Y_EN: 0
; COMPUTE_PGM_RSRC2:TGID_Z_EN: 0
; COMPUTE_PGM_RSRC2:TIDIG_COMP_CNT: 0
	.section	.text._ZN7rocprim17ROCPRIM_400000_NS6detail17trampoline_kernelINS0_14default_configENS1_25partition_config_selectorILNS1_17partition_subalgoE8ElNS0_10empty_typeEbEEZZNS1_14partition_implILS5_8ELb0ES3_jPlPS6_PKS6_NS0_5tupleIJS9_S6_EEENSD_IJSA_SA_EEENS0_18inequality_wrapperIZN2at6native12_GLOBAL__N_124unique_dim_cuda_templateIlEESt5tupleIJNSH_6TensorESM_SM_EERKSM_lbbbEUlllE0_EEPmJS6_EEE10hipError_tPvRmT3_T4_T5_T6_T7_T9_mT8_P12ihipStream_tbDpT10_ENKUlT_T0_E_clISt17integral_constantIbLb0EES1C_EEDaS17_S18_EUlS17_E_NS1_11comp_targetILNS1_3genE4ELNS1_11target_archE910ELNS1_3gpuE8ELNS1_3repE0EEENS1_30default_config_static_selectorELNS0_4arch9wavefront6targetE0EEEvT1_,"axG",@progbits,_ZN7rocprim17ROCPRIM_400000_NS6detail17trampoline_kernelINS0_14default_configENS1_25partition_config_selectorILNS1_17partition_subalgoE8ElNS0_10empty_typeEbEEZZNS1_14partition_implILS5_8ELb0ES3_jPlPS6_PKS6_NS0_5tupleIJS9_S6_EEENSD_IJSA_SA_EEENS0_18inequality_wrapperIZN2at6native12_GLOBAL__N_124unique_dim_cuda_templateIlEESt5tupleIJNSH_6TensorESM_SM_EERKSM_lbbbEUlllE0_EEPmJS6_EEE10hipError_tPvRmT3_T4_T5_T6_T7_T9_mT8_P12ihipStream_tbDpT10_ENKUlT_T0_E_clISt17integral_constantIbLb0EES1C_EEDaS17_S18_EUlS17_E_NS1_11comp_targetILNS1_3genE4ELNS1_11target_archE910ELNS1_3gpuE8ELNS1_3repE0EEENS1_30default_config_static_selectorELNS0_4arch9wavefront6targetE0EEEvT1_,comdat
	.globl	_ZN7rocprim17ROCPRIM_400000_NS6detail17trampoline_kernelINS0_14default_configENS1_25partition_config_selectorILNS1_17partition_subalgoE8ElNS0_10empty_typeEbEEZZNS1_14partition_implILS5_8ELb0ES3_jPlPS6_PKS6_NS0_5tupleIJS9_S6_EEENSD_IJSA_SA_EEENS0_18inequality_wrapperIZN2at6native12_GLOBAL__N_124unique_dim_cuda_templateIlEESt5tupleIJNSH_6TensorESM_SM_EERKSM_lbbbEUlllE0_EEPmJS6_EEE10hipError_tPvRmT3_T4_T5_T6_T7_T9_mT8_P12ihipStream_tbDpT10_ENKUlT_T0_E_clISt17integral_constantIbLb0EES1C_EEDaS17_S18_EUlS17_E_NS1_11comp_targetILNS1_3genE4ELNS1_11target_archE910ELNS1_3gpuE8ELNS1_3repE0EEENS1_30default_config_static_selectorELNS0_4arch9wavefront6targetE0EEEvT1_ ; -- Begin function _ZN7rocprim17ROCPRIM_400000_NS6detail17trampoline_kernelINS0_14default_configENS1_25partition_config_selectorILNS1_17partition_subalgoE8ElNS0_10empty_typeEbEEZZNS1_14partition_implILS5_8ELb0ES3_jPlPS6_PKS6_NS0_5tupleIJS9_S6_EEENSD_IJSA_SA_EEENS0_18inequality_wrapperIZN2at6native12_GLOBAL__N_124unique_dim_cuda_templateIlEESt5tupleIJNSH_6TensorESM_SM_EERKSM_lbbbEUlllE0_EEPmJS6_EEE10hipError_tPvRmT3_T4_T5_T6_T7_T9_mT8_P12ihipStream_tbDpT10_ENKUlT_T0_E_clISt17integral_constantIbLb0EES1C_EEDaS17_S18_EUlS17_E_NS1_11comp_targetILNS1_3genE4ELNS1_11target_archE910ELNS1_3gpuE8ELNS1_3repE0EEENS1_30default_config_static_selectorELNS0_4arch9wavefront6targetE0EEEvT1_
	.p2align	8
	.type	_ZN7rocprim17ROCPRIM_400000_NS6detail17trampoline_kernelINS0_14default_configENS1_25partition_config_selectorILNS1_17partition_subalgoE8ElNS0_10empty_typeEbEEZZNS1_14partition_implILS5_8ELb0ES3_jPlPS6_PKS6_NS0_5tupleIJS9_S6_EEENSD_IJSA_SA_EEENS0_18inequality_wrapperIZN2at6native12_GLOBAL__N_124unique_dim_cuda_templateIlEESt5tupleIJNSH_6TensorESM_SM_EERKSM_lbbbEUlllE0_EEPmJS6_EEE10hipError_tPvRmT3_T4_T5_T6_T7_T9_mT8_P12ihipStream_tbDpT10_ENKUlT_T0_E_clISt17integral_constantIbLb0EES1C_EEDaS17_S18_EUlS17_E_NS1_11comp_targetILNS1_3genE4ELNS1_11target_archE910ELNS1_3gpuE8ELNS1_3repE0EEENS1_30default_config_static_selectorELNS0_4arch9wavefront6targetE0EEEvT1_,@function
_ZN7rocprim17ROCPRIM_400000_NS6detail17trampoline_kernelINS0_14default_configENS1_25partition_config_selectorILNS1_17partition_subalgoE8ElNS0_10empty_typeEbEEZZNS1_14partition_implILS5_8ELb0ES3_jPlPS6_PKS6_NS0_5tupleIJS9_S6_EEENSD_IJSA_SA_EEENS0_18inequality_wrapperIZN2at6native12_GLOBAL__N_124unique_dim_cuda_templateIlEESt5tupleIJNSH_6TensorESM_SM_EERKSM_lbbbEUlllE0_EEPmJS6_EEE10hipError_tPvRmT3_T4_T5_T6_T7_T9_mT8_P12ihipStream_tbDpT10_ENKUlT_T0_E_clISt17integral_constantIbLb0EES1C_EEDaS17_S18_EUlS17_E_NS1_11comp_targetILNS1_3genE4ELNS1_11target_archE910ELNS1_3gpuE8ELNS1_3repE0EEENS1_30default_config_static_selectorELNS0_4arch9wavefront6targetE0EEEvT1_: ; @_ZN7rocprim17ROCPRIM_400000_NS6detail17trampoline_kernelINS0_14default_configENS1_25partition_config_selectorILNS1_17partition_subalgoE8ElNS0_10empty_typeEbEEZZNS1_14partition_implILS5_8ELb0ES3_jPlPS6_PKS6_NS0_5tupleIJS9_S6_EEENSD_IJSA_SA_EEENS0_18inequality_wrapperIZN2at6native12_GLOBAL__N_124unique_dim_cuda_templateIlEESt5tupleIJNSH_6TensorESM_SM_EERKSM_lbbbEUlllE0_EEPmJS6_EEE10hipError_tPvRmT3_T4_T5_T6_T7_T9_mT8_P12ihipStream_tbDpT10_ENKUlT_T0_E_clISt17integral_constantIbLb0EES1C_EEDaS17_S18_EUlS17_E_NS1_11comp_targetILNS1_3genE4ELNS1_11target_archE910ELNS1_3gpuE8ELNS1_3repE0EEENS1_30default_config_static_selectorELNS0_4arch9wavefront6targetE0EEEvT1_
; %bb.0:
	.section	.rodata,"a",@progbits
	.p2align	6, 0x0
	.amdhsa_kernel _ZN7rocprim17ROCPRIM_400000_NS6detail17trampoline_kernelINS0_14default_configENS1_25partition_config_selectorILNS1_17partition_subalgoE8ElNS0_10empty_typeEbEEZZNS1_14partition_implILS5_8ELb0ES3_jPlPS6_PKS6_NS0_5tupleIJS9_S6_EEENSD_IJSA_SA_EEENS0_18inequality_wrapperIZN2at6native12_GLOBAL__N_124unique_dim_cuda_templateIlEESt5tupleIJNSH_6TensorESM_SM_EERKSM_lbbbEUlllE0_EEPmJS6_EEE10hipError_tPvRmT3_T4_T5_T6_T7_T9_mT8_P12ihipStream_tbDpT10_ENKUlT_T0_E_clISt17integral_constantIbLb0EES1C_EEDaS17_S18_EUlS17_E_NS1_11comp_targetILNS1_3genE4ELNS1_11target_archE910ELNS1_3gpuE8ELNS1_3repE0EEENS1_30default_config_static_selectorELNS0_4arch9wavefront6targetE0EEEvT1_
		.amdhsa_group_segment_fixed_size 0
		.amdhsa_private_segment_fixed_size 0
		.amdhsa_kernarg_size 120
		.amdhsa_user_sgpr_count 2
		.amdhsa_user_sgpr_dispatch_ptr 0
		.amdhsa_user_sgpr_queue_ptr 0
		.amdhsa_user_sgpr_kernarg_segment_ptr 1
		.amdhsa_user_sgpr_dispatch_id 0
		.amdhsa_user_sgpr_kernarg_preload_length 0
		.amdhsa_user_sgpr_kernarg_preload_offset 0
		.amdhsa_user_sgpr_private_segment_size 0
		.amdhsa_wavefront_size32 1
		.amdhsa_uses_dynamic_stack 0
		.amdhsa_enable_private_segment 0
		.amdhsa_system_sgpr_workgroup_id_x 1
		.amdhsa_system_sgpr_workgroup_id_y 0
		.amdhsa_system_sgpr_workgroup_id_z 0
		.amdhsa_system_sgpr_workgroup_info 0
		.amdhsa_system_vgpr_workitem_id 0
		.amdhsa_next_free_vgpr 1
		.amdhsa_next_free_sgpr 1
		.amdhsa_named_barrier_count 0
		.amdhsa_reserve_vcc 0
		.amdhsa_float_round_mode_32 0
		.amdhsa_float_round_mode_16_64 0
		.amdhsa_float_denorm_mode_32 3
		.amdhsa_float_denorm_mode_16_64 3
		.amdhsa_fp16_overflow 0
		.amdhsa_memory_ordered 1
		.amdhsa_forward_progress 1
		.amdhsa_inst_pref_size 0
		.amdhsa_round_robin_scheduling 0
		.amdhsa_exception_fp_ieee_invalid_op 0
		.amdhsa_exception_fp_denorm_src 0
		.amdhsa_exception_fp_ieee_div_zero 0
		.amdhsa_exception_fp_ieee_overflow 0
		.amdhsa_exception_fp_ieee_underflow 0
		.amdhsa_exception_fp_ieee_inexact 0
		.amdhsa_exception_int_div_zero 0
	.end_amdhsa_kernel
	.section	.text._ZN7rocprim17ROCPRIM_400000_NS6detail17trampoline_kernelINS0_14default_configENS1_25partition_config_selectorILNS1_17partition_subalgoE8ElNS0_10empty_typeEbEEZZNS1_14partition_implILS5_8ELb0ES3_jPlPS6_PKS6_NS0_5tupleIJS9_S6_EEENSD_IJSA_SA_EEENS0_18inequality_wrapperIZN2at6native12_GLOBAL__N_124unique_dim_cuda_templateIlEESt5tupleIJNSH_6TensorESM_SM_EERKSM_lbbbEUlllE0_EEPmJS6_EEE10hipError_tPvRmT3_T4_T5_T6_T7_T9_mT8_P12ihipStream_tbDpT10_ENKUlT_T0_E_clISt17integral_constantIbLb0EES1C_EEDaS17_S18_EUlS17_E_NS1_11comp_targetILNS1_3genE4ELNS1_11target_archE910ELNS1_3gpuE8ELNS1_3repE0EEENS1_30default_config_static_selectorELNS0_4arch9wavefront6targetE0EEEvT1_,"axG",@progbits,_ZN7rocprim17ROCPRIM_400000_NS6detail17trampoline_kernelINS0_14default_configENS1_25partition_config_selectorILNS1_17partition_subalgoE8ElNS0_10empty_typeEbEEZZNS1_14partition_implILS5_8ELb0ES3_jPlPS6_PKS6_NS0_5tupleIJS9_S6_EEENSD_IJSA_SA_EEENS0_18inequality_wrapperIZN2at6native12_GLOBAL__N_124unique_dim_cuda_templateIlEESt5tupleIJNSH_6TensorESM_SM_EERKSM_lbbbEUlllE0_EEPmJS6_EEE10hipError_tPvRmT3_T4_T5_T6_T7_T9_mT8_P12ihipStream_tbDpT10_ENKUlT_T0_E_clISt17integral_constantIbLb0EES1C_EEDaS17_S18_EUlS17_E_NS1_11comp_targetILNS1_3genE4ELNS1_11target_archE910ELNS1_3gpuE8ELNS1_3repE0EEENS1_30default_config_static_selectorELNS0_4arch9wavefront6targetE0EEEvT1_,comdat
.Lfunc_end565:
	.size	_ZN7rocprim17ROCPRIM_400000_NS6detail17trampoline_kernelINS0_14default_configENS1_25partition_config_selectorILNS1_17partition_subalgoE8ElNS0_10empty_typeEbEEZZNS1_14partition_implILS5_8ELb0ES3_jPlPS6_PKS6_NS0_5tupleIJS9_S6_EEENSD_IJSA_SA_EEENS0_18inequality_wrapperIZN2at6native12_GLOBAL__N_124unique_dim_cuda_templateIlEESt5tupleIJNSH_6TensorESM_SM_EERKSM_lbbbEUlllE0_EEPmJS6_EEE10hipError_tPvRmT3_T4_T5_T6_T7_T9_mT8_P12ihipStream_tbDpT10_ENKUlT_T0_E_clISt17integral_constantIbLb0EES1C_EEDaS17_S18_EUlS17_E_NS1_11comp_targetILNS1_3genE4ELNS1_11target_archE910ELNS1_3gpuE8ELNS1_3repE0EEENS1_30default_config_static_selectorELNS0_4arch9wavefront6targetE0EEEvT1_, .Lfunc_end565-_ZN7rocprim17ROCPRIM_400000_NS6detail17trampoline_kernelINS0_14default_configENS1_25partition_config_selectorILNS1_17partition_subalgoE8ElNS0_10empty_typeEbEEZZNS1_14partition_implILS5_8ELb0ES3_jPlPS6_PKS6_NS0_5tupleIJS9_S6_EEENSD_IJSA_SA_EEENS0_18inequality_wrapperIZN2at6native12_GLOBAL__N_124unique_dim_cuda_templateIlEESt5tupleIJNSH_6TensorESM_SM_EERKSM_lbbbEUlllE0_EEPmJS6_EEE10hipError_tPvRmT3_T4_T5_T6_T7_T9_mT8_P12ihipStream_tbDpT10_ENKUlT_T0_E_clISt17integral_constantIbLb0EES1C_EEDaS17_S18_EUlS17_E_NS1_11comp_targetILNS1_3genE4ELNS1_11target_archE910ELNS1_3gpuE8ELNS1_3repE0EEENS1_30default_config_static_selectorELNS0_4arch9wavefront6targetE0EEEvT1_
                                        ; -- End function
	.set _ZN7rocprim17ROCPRIM_400000_NS6detail17trampoline_kernelINS0_14default_configENS1_25partition_config_selectorILNS1_17partition_subalgoE8ElNS0_10empty_typeEbEEZZNS1_14partition_implILS5_8ELb0ES3_jPlPS6_PKS6_NS0_5tupleIJS9_S6_EEENSD_IJSA_SA_EEENS0_18inequality_wrapperIZN2at6native12_GLOBAL__N_124unique_dim_cuda_templateIlEESt5tupleIJNSH_6TensorESM_SM_EERKSM_lbbbEUlllE0_EEPmJS6_EEE10hipError_tPvRmT3_T4_T5_T6_T7_T9_mT8_P12ihipStream_tbDpT10_ENKUlT_T0_E_clISt17integral_constantIbLb0EES1C_EEDaS17_S18_EUlS17_E_NS1_11comp_targetILNS1_3genE4ELNS1_11target_archE910ELNS1_3gpuE8ELNS1_3repE0EEENS1_30default_config_static_selectorELNS0_4arch9wavefront6targetE0EEEvT1_.num_vgpr, 0
	.set _ZN7rocprim17ROCPRIM_400000_NS6detail17trampoline_kernelINS0_14default_configENS1_25partition_config_selectorILNS1_17partition_subalgoE8ElNS0_10empty_typeEbEEZZNS1_14partition_implILS5_8ELb0ES3_jPlPS6_PKS6_NS0_5tupleIJS9_S6_EEENSD_IJSA_SA_EEENS0_18inequality_wrapperIZN2at6native12_GLOBAL__N_124unique_dim_cuda_templateIlEESt5tupleIJNSH_6TensorESM_SM_EERKSM_lbbbEUlllE0_EEPmJS6_EEE10hipError_tPvRmT3_T4_T5_T6_T7_T9_mT8_P12ihipStream_tbDpT10_ENKUlT_T0_E_clISt17integral_constantIbLb0EES1C_EEDaS17_S18_EUlS17_E_NS1_11comp_targetILNS1_3genE4ELNS1_11target_archE910ELNS1_3gpuE8ELNS1_3repE0EEENS1_30default_config_static_selectorELNS0_4arch9wavefront6targetE0EEEvT1_.num_agpr, 0
	.set _ZN7rocprim17ROCPRIM_400000_NS6detail17trampoline_kernelINS0_14default_configENS1_25partition_config_selectorILNS1_17partition_subalgoE8ElNS0_10empty_typeEbEEZZNS1_14partition_implILS5_8ELb0ES3_jPlPS6_PKS6_NS0_5tupleIJS9_S6_EEENSD_IJSA_SA_EEENS0_18inequality_wrapperIZN2at6native12_GLOBAL__N_124unique_dim_cuda_templateIlEESt5tupleIJNSH_6TensorESM_SM_EERKSM_lbbbEUlllE0_EEPmJS6_EEE10hipError_tPvRmT3_T4_T5_T6_T7_T9_mT8_P12ihipStream_tbDpT10_ENKUlT_T0_E_clISt17integral_constantIbLb0EES1C_EEDaS17_S18_EUlS17_E_NS1_11comp_targetILNS1_3genE4ELNS1_11target_archE910ELNS1_3gpuE8ELNS1_3repE0EEENS1_30default_config_static_selectorELNS0_4arch9wavefront6targetE0EEEvT1_.numbered_sgpr, 0
	.set _ZN7rocprim17ROCPRIM_400000_NS6detail17trampoline_kernelINS0_14default_configENS1_25partition_config_selectorILNS1_17partition_subalgoE8ElNS0_10empty_typeEbEEZZNS1_14partition_implILS5_8ELb0ES3_jPlPS6_PKS6_NS0_5tupleIJS9_S6_EEENSD_IJSA_SA_EEENS0_18inequality_wrapperIZN2at6native12_GLOBAL__N_124unique_dim_cuda_templateIlEESt5tupleIJNSH_6TensorESM_SM_EERKSM_lbbbEUlllE0_EEPmJS6_EEE10hipError_tPvRmT3_T4_T5_T6_T7_T9_mT8_P12ihipStream_tbDpT10_ENKUlT_T0_E_clISt17integral_constantIbLb0EES1C_EEDaS17_S18_EUlS17_E_NS1_11comp_targetILNS1_3genE4ELNS1_11target_archE910ELNS1_3gpuE8ELNS1_3repE0EEENS1_30default_config_static_selectorELNS0_4arch9wavefront6targetE0EEEvT1_.num_named_barrier, 0
	.set _ZN7rocprim17ROCPRIM_400000_NS6detail17trampoline_kernelINS0_14default_configENS1_25partition_config_selectorILNS1_17partition_subalgoE8ElNS0_10empty_typeEbEEZZNS1_14partition_implILS5_8ELb0ES3_jPlPS6_PKS6_NS0_5tupleIJS9_S6_EEENSD_IJSA_SA_EEENS0_18inequality_wrapperIZN2at6native12_GLOBAL__N_124unique_dim_cuda_templateIlEESt5tupleIJNSH_6TensorESM_SM_EERKSM_lbbbEUlllE0_EEPmJS6_EEE10hipError_tPvRmT3_T4_T5_T6_T7_T9_mT8_P12ihipStream_tbDpT10_ENKUlT_T0_E_clISt17integral_constantIbLb0EES1C_EEDaS17_S18_EUlS17_E_NS1_11comp_targetILNS1_3genE4ELNS1_11target_archE910ELNS1_3gpuE8ELNS1_3repE0EEENS1_30default_config_static_selectorELNS0_4arch9wavefront6targetE0EEEvT1_.private_seg_size, 0
	.set _ZN7rocprim17ROCPRIM_400000_NS6detail17trampoline_kernelINS0_14default_configENS1_25partition_config_selectorILNS1_17partition_subalgoE8ElNS0_10empty_typeEbEEZZNS1_14partition_implILS5_8ELb0ES3_jPlPS6_PKS6_NS0_5tupleIJS9_S6_EEENSD_IJSA_SA_EEENS0_18inequality_wrapperIZN2at6native12_GLOBAL__N_124unique_dim_cuda_templateIlEESt5tupleIJNSH_6TensorESM_SM_EERKSM_lbbbEUlllE0_EEPmJS6_EEE10hipError_tPvRmT3_T4_T5_T6_T7_T9_mT8_P12ihipStream_tbDpT10_ENKUlT_T0_E_clISt17integral_constantIbLb0EES1C_EEDaS17_S18_EUlS17_E_NS1_11comp_targetILNS1_3genE4ELNS1_11target_archE910ELNS1_3gpuE8ELNS1_3repE0EEENS1_30default_config_static_selectorELNS0_4arch9wavefront6targetE0EEEvT1_.uses_vcc, 0
	.set _ZN7rocprim17ROCPRIM_400000_NS6detail17trampoline_kernelINS0_14default_configENS1_25partition_config_selectorILNS1_17partition_subalgoE8ElNS0_10empty_typeEbEEZZNS1_14partition_implILS5_8ELb0ES3_jPlPS6_PKS6_NS0_5tupleIJS9_S6_EEENSD_IJSA_SA_EEENS0_18inequality_wrapperIZN2at6native12_GLOBAL__N_124unique_dim_cuda_templateIlEESt5tupleIJNSH_6TensorESM_SM_EERKSM_lbbbEUlllE0_EEPmJS6_EEE10hipError_tPvRmT3_T4_T5_T6_T7_T9_mT8_P12ihipStream_tbDpT10_ENKUlT_T0_E_clISt17integral_constantIbLb0EES1C_EEDaS17_S18_EUlS17_E_NS1_11comp_targetILNS1_3genE4ELNS1_11target_archE910ELNS1_3gpuE8ELNS1_3repE0EEENS1_30default_config_static_selectorELNS0_4arch9wavefront6targetE0EEEvT1_.uses_flat_scratch, 0
	.set _ZN7rocprim17ROCPRIM_400000_NS6detail17trampoline_kernelINS0_14default_configENS1_25partition_config_selectorILNS1_17partition_subalgoE8ElNS0_10empty_typeEbEEZZNS1_14partition_implILS5_8ELb0ES3_jPlPS6_PKS6_NS0_5tupleIJS9_S6_EEENSD_IJSA_SA_EEENS0_18inequality_wrapperIZN2at6native12_GLOBAL__N_124unique_dim_cuda_templateIlEESt5tupleIJNSH_6TensorESM_SM_EERKSM_lbbbEUlllE0_EEPmJS6_EEE10hipError_tPvRmT3_T4_T5_T6_T7_T9_mT8_P12ihipStream_tbDpT10_ENKUlT_T0_E_clISt17integral_constantIbLb0EES1C_EEDaS17_S18_EUlS17_E_NS1_11comp_targetILNS1_3genE4ELNS1_11target_archE910ELNS1_3gpuE8ELNS1_3repE0EEENS1_30default_config_static_selectorELNS0_4arch9wavefront6targetE0EEEvT1_.has_dyn_sized_stack, 0
	.set _ZN7rocprim17ROCPRIM_400000_NS6detail17trampoline_kernelINS0_14default_configENS1_25partition_config_selectorILNS1_17partition_subalgoE8ElNS0_10empty_typeEbEEZZNS1_14partition_implILS5_8ELb0ES3_jPlPS6_PKS6_NS0_5tupleIJS9_S6_EEENSD_IJSA_SA_EEENS0_18inequality_wrapperIZN2at6native12_GLOBAL__N_124unique_dim_cuda_templateIlEESt5tupleIJNSH_6TensorESM_SM_EERKSM_lbbbEUlllE0_EEPmJS6_EEE10hipError_tPvRmT3_T4_T5_T6_T7_T9_mT8_P12ihipStream_tbDpT10_ENKUlT_T0_E_clISt17integral_constantIbLb0EES1C_EEDaS17_S18_EUlS17_E_NS1_11comp_targetILNS1_3genE4ELNS1_11target_archE910ELNS1_3gpuE8ELNS1_3repE0EEENS1_30default_config_static_selectorELNS0_4arch9wavefront6targetE0EEEvT1_.has_recursion, 0
	.set _ZN7rocprim17ROCPRIM_400000_NS6detail17trampoline_kernelINS0_14default_configENS1_25partition_config_selectorILNS1_17partition_subalgoE8ElNS0_10empty_typeEbEEZZNS1_14partition_implILS5_8ELb0ES3_jPlPS6_PKS6_NS0_5tupleIJS9_S6_EEENSD_IJSA_SA_EEENS0_18inequality_wrapperIZN2at6native12_GLOBAL__N_124unique_dim_cuda_templateIlEESt5tupleIJNSH_6TensorESM_SM_EERKSM_lbbbEUlllE0_EEPmJS6_EEE10hipError_tPvRmT3_T4_T5_T6_T7_T9_mT8_P12ihipStream_tbDpT10_ENKUlT_T0_E_clISt17integral_constantIbLb0EES1C_EEDaS17_S18_EUlS17_E_NS1_11comp_targetILNS1_3genE4ELNS1_11target_archE910ELNS1_3gpuE8ELNS1_3repE0EEENS1_30default_config_static_selectorELNS0_4arch9wavefront6targetE0EEEvT1_.has_indirect_call, 0
	.section	.AMDGPU.csdata,"",@progbits
; Kernel info:
; codeLenInByte = 0
; TotalNumSgprs: 0
; NumVgprs: 0
; ScratchSize: 0
; MemoryBound: 0
; FloatMode: 240
; IeeeMode: 1
; LDSByteSize: 0 bytes/workgroup (compile time only)
; SGPRBlocks: 0
; VGPRBlocks: 0
; NumSGPRsForWavesPerEU: 1
; NumVGPRsForWavesPerEU: 1
; NamedBarCnt: 0
; Occupancy: 16
; WaveLimiterHint : 0
; COMPUTE_PGM_RSRC2:SCRATCH_EN: 0
; COMPUTE_PGM_RSRC2:USER_SGPR: 2
; COMPUTE_PGM_RSRC2:TRAP_HANDLER: 0
; COMPUTE_PGM_RSRC2:TGID_X_EN: 1
; COMPUTE_PGM_RSRC2:TGID_Y_EN: 0
; COMPUTE_PGM_RSRC2:TGID_Z_EN: 0
; COMPUTE_PGM_RSRC2:TIDIG_COMP_CNT: 0
	.section	.text._ZN7rocprim17ROCPRIM_400000_NS6detail17trampoline_kernelINS0_14default_configENS1_25partition_config_selectorILNS1_17partition_subalgoE8ElNS0_10empty_typeEbEEZZNS1_14partition_implILS5_8ELb0ES3_jPlPS6_PKS6_NS0_5tupleIJS9_S6_EEENSD_IJSA_SA_EEENS0_18inequality_wrapperIZN2at6native12_GLOBAL__N_124unique_dim_cuda_templateIlEESt5tupleIJNSH_6TensorESM_SM_EERKSM_lbbbEUlllE0_EEPmJS6_EEE10hipError_tPvRmT3_T4_T5_T6_T7_T9_mT8_P12ihipStream_tbDpT10_ENKUlT_T0_E_clISt17integral_constantIbLb0EES1C_EEDaS17_S18_EUlS17_E_NS1_11comp_targetILNS1_3genE3ELNS1_11target_archE908ELNS1_3gpuE7ELNS1_3repE0EEENS1_30default_config_static_selectorELNS0_4arch9wavefront6targetE0EEEvT1_,"axG",@progbits,_ZN7rocprim17ROCPRIM_400000_NS6detail17trampoline_kernelINS0_14default_configENS1_25partition_config_selectorILNS1_17partition_subalgoE8ElNS0_10empty_typeEbEEZZNS1_14partition_implILS5_8ELb0ES3_jPlPS6_PKS6_NS0_5tupleIJS9_S6_EEENSD_IJSA_SA_EEENS0_18inequality_wrapperIZN2at6native12_GLOBAL__N_124unique_dim_cuda_templateIlEESt5tupleIJNSH_6TensorESM_SM_EERKSM_lbbbEUlllE0_EEPmJS6_EEE10hipError_tPvRmT3_T4_T5_T6_T7_T9_mT8_P12ihipStream_tbDpT10_ENKUlT_T0_E_clISt17integral_constantIbLb0EES1C_EEDaS17_S18_EUlS17_E_NS1_11comp_targetILNS1_3genE3ELNS1_11target_archE908ELNS1_3gpuE7ELNS1_3repE0EEENS1_30default_config_static_selectorELNS0_4arch9wavefront6targetE0EEEvT1_,comdat
	.globl	_ZN7rocprim17ROCPRIM_400000_NS6detail17trampoline_kernelINS0_14default_configENS1_25partition_config_selectorILNS1_17partition_subalgoE8ElNS0_10empty_typeEbEEZZNS1_14partition_implILS5_8ELb0ES3_jPlPS6_PKS6_NS0_5tupleIJS9_S6_EEENSD_IJSA_SA_EEENS0_18inequality_wrapperIZN2at6native12_GLOBAL__N_124unique_dim_cuda_templateIlEESt5tupleIJNSH_6TensorESM_SM_EERKSM_lbbbEUlllE0_EEPmJS6_EEE10hipError_tPvRmT3_T4_T5_T6_T7_T9_mT8_P12ihipStream_tbDpT10_ENKUlT_T0_E_clISt17integral_constantIbLb0EES1C_EEDaS17_S18_EUlS17_E_NS1_11comp_targetILNS1_3genE3ELNS1_11target_archE908ELNS1_3gpuE7ELNS1_3repE0EEENS1_30default_config_static_selectorELNS0_4arch9wavefront6targetE0EEEvT1_ ; -- Begin function _ZN7rocprim17ROCPRIM_400000_NS6detail17trampoline_kernelINS0_14default_configENS1_25partition_config_selectorILNS1_17partition_subalgoE8ElNS0_10empty_typeEbEEZZNS1_14partition_implILS5_8ELb0ES3_jPlPS6_PKS6_NS0_5tupleIJS9_S6_EEENSD_IJSA_SA_EEENS0_18inequality_wrapperIZN2at6native12_GLOBAL__N_124unique_dim_cuda_templateIlEESt5tupleIJNSH_6TensorESM_SM_EERKSM_lbbbEUlllE0_EEPmJS6_EEE10hipError_tPvRmT3_T4_T5_T6_T7_T9_mT8_P12ihipStream_tbDpT10_ENKUlT_T0_E_clISt17integral_constantIbLb0EES1C_EEDaS17_S18_EUlS17_E_NS1_11comp_targetILNS1_3genE3ELNS1_11target_archE908ELNS1_3gpuE7ELNS1_3repE0EEENS1_30default_config_static_selectorELNS0_4arch9wavefront6targetE0EEEvT1_
	.p2align	8
	.type	_ZN7rocprim17ROCPRIM_400000_NS6detail17trampoline_kernelINS0_14default_configENS1_25partition_config_selectorILNS1_17partition_subalgoE8ElNS0_10empty_typeEbEEZZNS1_14partition_implILS5_8ELb0ES3_jPlPS6_PKS6_NS0_5tupleIJS9_S6_EEENSD_IJSA_SA_EEENS0_18inequality_wrapperIZN2at6native12_GLOBAL__N_124unique_dim_cuda_templateIlEESt5tupleIJNSH_6TensorESM_SM_EERKSM_lbbbEUlllE0_EEPmJS6_EEE10hipError_tPvRmT3_T4_T5_T6_T7_T9_mT8_P12ihipStream_tbDpT10_ENKUlT_T0_E_clISt17integral_constantIbLb0EES1C_EEDaS17_S18_EUlS17_E_NS1_11comp_targetILNS1_3genE3ELNS1_11target_archE908ELNS1_3gpuE7ELNS1_3repE0EEENS1_30default_config_static_selectorELNS0_4arch9wavefront6targetE0EEEvT1_,@function
_ZN7rocprim17ROCPRIM_400000_NS6detail17trampoline_kernelINS0_14default_configENS1_25partition_config_selectorILNS1_17partition_subalgoE8ElNS0_10empty_typeEbEEZZNS1_14partition_implILS5_8ELb0ES3_jPlPS6_PKS6_NS0_5tupleIJS9_S6_EEENSD_IJSA_SA_EEENS0_18inequality_wrapperIZN2at6native12_GLOBAL__N_124unique_dim_cuda_templateIlEESt5tupleIJNSH_6TensorESM_SM_EERKSM_lbbbEUlllE0_EEPmJS6_EEE10hipError_tPvRmT3_T4_T5_T6_T7_T9_mT8_P12ihipStream_tbDpT10_ENKUlT_T0_E_clISt17integral_constantIbLb0EES1C_EEDaS17_S18_EUlS17_E_NS1_11comp_targetILNS1_3genE3ELNS1_11target_archE908ELNS1_3gpuE7ELNS1_3repE0EEENS1_30default_config_static_selectorELNS0_4arch9wavefront6targetE0EEEvT1_: ; @_ZN7rocprim17ROCPRIM_400000_NS6detail17trampoline_kernelINS0_14default_configENS1_25partition_config_selectorILNS1_17partition_subalgoE8ElNS0_10empty_typeEbEEZZNS1_14partition_implILS5_8ELb0ES3_jPlPS6_PKS6_NS0_5tupleIJS9_S6_EEENSD_IJSA_SA_EEENS0_18inequality_wrapperIZN2at6native12_GLOBAL__N_124unique_dim_cuda_templateIlEESt5tupleIJNSH_6TensorESM_SM_EERKSM_lbbbEUlllE0_EEPmJS6_EEE10hipError_tPvRmT3_T4_T5_T6_T7_T9_mT8_P12ihipStream_tbDpT10_ENKUlT_T0_E_clISt17integral_constantIbLb0EES1C_EEDaS17_S18_EUlS17_E_NS1_11comp_targetILNS1_3genE3ELNS1_11target_archE908ELNS1_3gpuE7ELNS1_3repE0EEENS1_30default_config_static_selectorELNS0_4arch9wavefront6targetE0EEEvT1_
; %bb.0:
	.section	.rodata,"a",@progbits
	.p2align	6, 0x0
	.amdhsa_kernel _ZN7rocprim17ROCPRIM_400000_NS6detail17trampoline_kernelINS0_14default_configENS1_25partition_config_selectorILNS1_17partition_subalgoE8ElNS0_10empty_typeEbEEZZNS1_14partition_implILS5_8ELb0ES3_jPlPS6_PKS6_NS0_5tupleIJS9_S6_EEENSD_IJSA_SA_EEENS0_18inequality_wrapperIZN2at6native12_GLOBAL__N_124unique_dim_cuda_templateIlEESt5tupleIJNSH_6TensorESM_SM_EERKSM_lbbbEUlllE0_EEPmJS6_EEE10hipError_tPvRmT3_T4_T5_T6_T7_T9_mT8_P12ihipStream_tbDpT10_ENKUlT_T0_E_clISt17integral_constantIbLb0EES1C_EEDaS17_S18_EUlS17_E_NS1_11comp_targetILNS1_3genE3ELNS1_11target_archE908ELNS1_3gpuE7ELNS1_3repE0EEENS1_30default_config_static_selectorELNS0_4arch9wavefront6targetE0EEEvT1_
		.amdhsa_group_segment_fixed_size 0
		.amdhsa_private_segment_fixed_size 0
		.amdhsa_kernarg_size 120
		.amdhsa_user_sgpr_count 2
		.amdhsa_user_sgpr_dispatch_ptr 0
		.amdhsa_user_sgpr_queue_ptr 0
		.amdhsa_user_sgpr_kernarg_segment_ptr 1
		.amdhsa_user_sgpr_dispatch_id 0
		.amdhsa_user_sgpr_kernarg_preload_length 0
		.amdhsa_user_sgpr_kernarg_preload_offset 0
		.amdhsa_user_sgpr_private_segment_size 0
		.amdhsa_wavefront_size32 1
		.amdhsa_uses_dynamic_stack 0
		.amdhsa_enable_private_segment 0
		.amdhsa_system_sgpr_workgroup_id_x 1
		.amdhsa_system_sgpr_workgroup_id_y 0
		.amdhsa_system_sgpr_workgroup_id_z 0
		.amdhsa_system_sgpr_workgroup_info 0
		.amdhsa_system_vgpr_workitem_id 0
		.amdhsa_next_free_vgpr 1
		.amdhsa_next_free_sgpr 1
		.amdhsa_named_barrier_count 0
		.amdhsa_reserve_vcc 0
		.amdhsa_float_round_mode_32 0
		.amdhsa_float_round_mode_16_64 0
		.amdhsa_float_denorm_mode_32 3
		.amdhsa_float_denorm_mode_16_64 3
		.amdhsa_fp16_overflow 0
		.amdhsa_memory_ordered 1
		.amdhsa_forward_progress 1
		.amdhsa_inst_pref_size 0
		.amdhsa_round_robin_scheduling 0
		.amdhsa_exception_fp_ieee_invalid_op 0
		.amdhsa_exception_fp_denorm_src 0
		.amdhsa_exception_fp_ieee_div_zero 0
		.amdhsa_exception_fp_ieee_overflow 0
		.amdhsa_exception_fp_ieee_underflow 0
		.amdhsa_exception_fp_ieee_inexact 0
		.amdhsa_exception_int_div_zero 0
	.end_amdhsa_kernel
	.section	.text._ZN7rocprim17ROCPRIM_400000_NS6detail17trampoline_kernelINS0_14default_configENS1_25partition_config_selectorILNS1_17partition_subalgoE8ElNS0_10empty_typeEbEEZZNS1_14partition_implILS5_8ELb0ES3_jPlPS6_PKS6_NS0_5tupleIJS9_S6_EEENSD_IJSA_SA_EEENS0_18inequality_wrapperIZN2at6native12_GLOBAL__N_124unique_dim_cuda_templateIlEESt5tupleIJNSH_6TensorESM_SM_EERKSM_lbbbEUlllE0_EEPmJS6_EEE10hipError_tPvRmT3_T4_T5_T6_T7_T9_mT8_P12ihipStream_tbDpT10_ENKUlT_T0_E_clISt17integral_constantIbLb0EES1C_EEDaS17_S18_EUlS17_E_NS1_11comp_targetILNS1_3genE3ELNS1_11target_archE908ELNS1_3gpuE7ELNS1_3repE0EEENS1_30default_config_static_selectorELNS0_4arch9wavefront6targetE0EEEvT1_,"axG",@progbits,_ZN7rocprim17ROCPRIM_400000_NS6detail17trampoline_kernelINS0_14default_configENS1_25partition_config_selectorILNS1_17partition_subalgoE8ElNS0_10empty_typeEbEEZZNS1_14partition_implILS5_8ELb0ES3_jPlPS6_PKS6_NS0_5tupleIJS9_S6_EEENSD_IJSA_SA_EEENS0_18inequality_wrapperIZN2at6native12_GLOBAL__N_124unique_dim_cuda_templateIlEESt5tupleIJNSH_6TensorESM_SM_EERKSM_lbbbEUlllE0_EEPmJS6_EEE10hipError_tPvRmT3_T4_T5_T6_T7_T9_mT8_P12ihipStream_tbDpT10_ENKUlT_T0_E_clISt17integral_constantIbLb0EES1C_EEDaS17_S18_EUlS17_E_NS1_11comp_targetILNS1_3genE3ELNS1_11target_archE908ELNS1_3gpuE7ELNS1_3repE0EEENS1_30default_config_static_selectorELNS0_4arch9wavefront6targetE0EEEvT1_,comdat
.Lfunc_end566:
	.size	_ZN7rocprim17ROCPRIM_400000_NS6detail17trampoline_kernelINS0_14default_configENS1_25partition_config_selectorILNS1_17partition_subalgoE8ElNS0_10empty_typeEbEEZZNS1_14partition_implILS5_8ELb0ES3_jPlPS6_PKS6_NS0_5tupleIJS9_S6_EEENSD_IJSA_SA_EEENS0_18inequality_wrapperIZN2at6native12_GLOBAL__N_124unique_dim_cuda_templateIlEESt5tupleIJNSH_6TensorESM_SM_EERKSM_lbbbEUlllE0_EEPmJS6_EEE10hipError_tPvRmT3_T4_T5_T6_T7_T9_mT8_P12ihipStream_tbDpT10_ENKUlT_T0_E_clISt17integral_constantIbLb0EES1C_EEDaS17_S18_EUlS17_E_NS1_11comp_targetILNS1_3genE3ELNS1_11target_archE908ELNS1_3gpuE7ELNS1_3repE0EEENS1_30default_config_static_selectorELNS0_4arch9wavefront6targetE0EEEvT1_, .Lfunc_end566-_ZN7rocprim17ROCPRIM_400000_NS6detail17trampoline_kernelINS0_14default_configENS1_25partition_config_selectorILNS1_17partition_subalgoE8ElNS0_10empty_typeEbEEZZNS1_14partition_implILS5_8ELb0ES3_jPlPS6_PKS6_NS0_5tupleIJS9_S6_EEENSD_IJSA_SA_EEENS0_18inequality_wrapperIZN2at6native12_GLOBAL__N_124unique_dim_cuda_templateIlEESt5tupleIJNSH_6TensorESM_SM_EERKSM_lbbbEUlllE0_EEPmJS6_EEE10hipError_tPvRmT3_T4_T5_T6_T7_T9_mT8_P12ihipStream_tbDpT10_ENKUlT_T0_E_clISt17integral_constantIbLb0EES1C_EEDaS17_S18_EUlS17_E_NS1_11comp_targetILNS1_3genE3ELNS1_11target_archE908ELNS1_3gpuE7ELNS1_3repE0EEENS1_30default_config_static_selectorELNS0_4arch9wavefront6targetE0EEEvT1_
                                        ; -- End function
	.set _ZN7rocprim17ROCPRIM_400000_NS6detail17trampoline_kernelINS0_14default_configENS1_25partition_config_selectorILNS1_17partition_subalgoE8ElNS0_10empty_typeEbEEZZNS1_14partition_implILS5_8ELb0ES3_jPlPS6_PKS6_NS0_5tupleIJS9_S6_EEENSD_IJSA_SA_EEENS0_18inequality_wrapperIZN2at6native12_GLOBAL__N_124unique_dim_cuda_templateIlEESt5tupleIJNSH_6TensorESM_SM_EERKSM_lbbbEUlllE0_EEPmJS6_EEE10hipError_tPvRmT3_T4_T5_T6_T7_T9_mT8_P12ihipStream_tbDpT10_ENKUlT_T0_E_clISt17integral_constantIbLb0EES1C_EEDaS17_S18_EUlS17_E_NS1_11comp_targetILNS1_3genE3ELNS1_11target_archE908ELNS1_3gpuE7ELNS1_3repE0EEENS1_30default_config_static_selectorELNS0_4arch9wavefront6targetE0EEEvT1_.num_vgpr, 0
	.set _ZN7rocprim17ROCPRIM_400000_NS6detail17trampoline_kernelINS0_14default_configENS1_25partition_config_selectorILNS1_17partition_subalgoE8ElNS0_10empty_typeEbEEZZNS1_14partition_implILS5_8ELb0ES3_jPlPS6_PKS6_NS0_5tupleIJS9_S6_EEENSD_IJSA_SA_EEENS0_18inequality_wrapperIZN2at6native12_GLOBAL__N_124unique_dim_cuda_templateIlEESt5tupleIJNSH_6TensorESM_SM_EERKSM_lbbbEUlllE0_EEPmJS6_EEE10hipError_tPvRmT3_T4_T5_T6_T7_T9_mT8_P12ihipStream_tbDpT10_ENKUlT_T0_E_clISt17integral_constantIbLb0EES1C_EEDaS17_S18_EUlS17_E_NS1_11comp_targetILNS1_3genE3ELNS1_11target_archE908ELNS1_3gpuE7ELNS1_3repE0EEENS1_30default_config_static_selectorELNS0_4arch9wavefront6targetE0EEEvT1_.num_agpr, 0
	.set _ZN7rocprim17ROCPRIM_400000_NS6detail17trampoline_kernelINS0_14default_configENS1_25partition_config_selectorILNS1_17partition_subalgoE8ElNS0_10empty_typeEbEEZZNS1_14partition_implILS5_8ELb0ES3_jPlPS6_PKS6_NS0_5tupleIJS9_S6_EEENSD_IJSA_SA_EEENS0_18inequality_wrapperIZN2at6native12_GLOBAL__N_124unique_dim_cuda_templateIlEESt5tupleIJNSH_6TensorESM_SM_EERKSM_lbbbEUlllE0_EEPmJS6_EEE10hipError_tPvRmT3_T4_T5_T6_T7_T9_mT8_P12ihipStream_tbDpT10_ENKUlT_T0_E_clISt17integral_constantIbLb0EES1C_EEDaS17_S18_EUlS17_E_NS1_11comp_targetILNS1_3genE3ELNS1_11target_archE908ELNS1_3gpuE7ELNS1_3repE0EEENS1_30default_config_static_selectorELNS0_4arch9wavefront6targetE0EEEvT1_.numbered_sgpr, 0
	.set _ZN7rocprim17ROCPRIM_400000_NS6detail17trampoline_kernelINS0_14default_configENS1_25partition_config_selectorILNS1_17partition_subalgoE8ElNS0_10empty_typeEbEEZZNS1_14partition_implILS5_8ELb0ES3_jPlPS6_PKS6_NS0_5tupleIJS9_S6_EEENSD_IJSA_SA_EEENS0_18inequality_wrapperIZN2at6native12_GLOBAL__N_124unique_dim_cuda_templateIlEESt5tupleIJNSH_6TensorESM_SM_EERKSM_lbbbEUlllE0_EEPmJS6_EEE10hipError_tPvRmT3_T4_T5_T6_T7_T9_mT8_P12ihipStream_tbDpT10_ENKUlT_T0_E_clISt17integral_constantIbLb0EES1C_EEDaS17_S18_EUlS17_E_NS1_11comp_targetILNS1_3genE3ELNS1_11target_archE908ELNS1_3gpuE7ELNS1_3repE0EEENS1_30default_config_static_selectorELNS0_4arch9wavefront6targetE0EEEvT1_.num_named_barrier, 0
	.set _ZN7rocprim17ROCPRIM_400000_NS6detail17trampoline_kernelINS0_14default_configENS1_25partition_config_selectorILNS1_17partition_subalgoE8ElNS0_10empty_typeEbEEZZNS1_14partition_implILS5_8ELb0ES3_jPlPS6_PKS6_NS0_5tupleIJS9_S6_EEENSD_IJSA_SA_EEENS0_18inequality_wrapperIZN2at6native12_GLOBAL__N_124unique_dim_cuda_templateIlEESt5tupleIJNSH_6TensorESM_SM_EERKSM_lbbbEUlllE0_EEPmJS6_EEE10hipError_tPvRmT3_T4_T5_T6_T7_T9_mT8_P12ihipStream_tbDpT10_ENKUlT_T0_E_clISt17integral_constantIbLb0EES1C_EEDaS17_S18_EUlS17_E_NS1_11comp_targetILNS1_3genE3ELNS1_11target_archE908ELNS1_3gpuE7ELNS1_3repE0EEENS1_30default_config_static_selectorELNS0_4arch9wavefront6targetE0EEEvT1_.private_seg_size, 0
	.set _ZN7rocprim17ROCPRIM_400000_NS6detail17trampoline_kernelINS0_14default_configENS1_25partition_config_selectorILNS1_17partition_subalgoE8ElNS0_10empty_typeEbEEZZNS1_14partition_implILS5_8ELb0ES3_jPlPS6_PKS6_NS0_5tupleIJS9_S6_EEENSD_IJSA_SA_EEENS0_18inequality_wrapperIZN2at6native12_GLOBAL__N_124unique_dim_cuda_templateIlEESt5tupleIJNSH_6TensorESM_SM_EERKSM_lbbbEUlllE0_EEPmJS6_EEE10hipError_tPvRmT3_T4_T5_T6_T7_T9_mT8_P12ihipStream_tbDpT10_ENKUlT_T0_E_clISt17integral_constantIbLb0EES1C_EEDaS17_S18_EUlS17_E_NS1_11comp_targetILNS1_3genE3ELNS1_11target_archE908ELNS1_3gpuE7ELNS1_3repE0EEENS1_30default_config_static_selectorELNS0_4arch9wavefront6targetE0EEEvT1_.uses_vcc, 0
	.set _ZN7rocprim17ROCPRIM_400000_NS6detail17trampoline_kernelINS0_14default_configENS1_25partition_config_selectorILNS1_17partition_subalgoE8ElNS0_10empty_typeEbEEZZNS1_14partition_implILS5_8ELb0ES3_jPlPS6_PKS6_NS0_5tupleIJS9_S6_EEENSD_IJSA_SA_EEENS0_18inequality_wrapperIZN2at6native12_GLOBAL__N_124unique_dim_cuda_templateIlEESt5tupleIJNSH_6TensorESM_SM_EERKSM_lbbbEUlllE0_EEPmJS6_EEE10hipError_tPvRmT3_T4_T5_T6_T7_T9_mT8_P12ihipStream_tbDpT10_ENKUlT_T0_E_clISt17integral_constantIbLb0EES1C_EEDaS17_S18_EUlS17_E_NS1_11comp_targetILNS1_3genE3ELNS1_11target_archE908ELNS1_3gpuE7ELNS1_3repE0EEENS1_30default_config_static_selectorELNS0_4arch9wavefront6targetE0EEEvT1_.uses_flat_scratch, 0
	.set _ZN7rocprim17ROCPRIM_400000_NS6detail17trampoline_kernelINS0_14default_configENS1_25partition_config_selectorILNS1_17partition_subalgoE8ElNS0_10empty_typeEbEEZZNS1_14partition_implILS5_8ELb0ES3_jPlPS6_PKS6_NS0_5tupleIJS9_S6_EEENSD_IJSA_SA_EEENS0_18inequality_wrapperIZN2at6native12_GLOBAL__N_124unique_dim_cuda_templateIlEESt5tupleIJNSH_6TensorESM_SM_EERKSM_lbbbEUlllE0_EEPmJS6_EEE10hipError_tPvRmT3_T4_T5_T6_T7_T9_mT8_P12ihipStream_tbDpT10_ENKUlT_T0_E_clISt17integral_constantIbLb0EES1C_EEDaS17_S18_EUlS17_E_NS1_11comp_targetILNS1_3genE3ELNS1_11target_archE908ELNS1_3gpuE7ELNS1_3repE0EEENS1_30default_config_static_selectorELNS0_4arch9wavefront6targetE0EEEvT1_.has_dyn_sized_stack, 0
	.set _ZN7rocprim17ROCPRIM_400000_NS6detail17trampoline_kernelINS0_14default_configENS1_25partition_config_selectorILNS1_17partition_subalgoE8ElNS0_10empty_typeEbEEZZNS1_14partition_implILS5_8ELb0ES3_jPlPS6_PKS6_NS0_5tupleIJS9_S6_EEENSD_IJSA_SA_EEENS0_18inequality_wrapperIZN2at6native12_GLOBAL__N_124unique_dim_cuda_templateIlEESt5tupleIJNSH_6TensorESM_SM_EERKSM_lbbbEUlllE0_EEPmJS6_EEE10hipError_tPvRmT3_T4_T5_T6_T7_T9_mT8_P12ihipStream_tbDpT10_ENKUlT_T0_E_clISt17integral_constantIbLb0EES1C_EEDaS17_S18_EUlS17_E_NS1_11comp_targetILNS1_3genE3ELNS1_11target_archE908ELNS1_3gpuE7ELNS1_3repE0EEENS1_30default_config_static_selectorELNS0_4arch9wavefront6targetE0EEEvT1_.has_recursion, 0
	.set _ZN7rocprim17ROCPRIM_400000_NS6detail17trampoline_kernelINS0_14default_configENS1_25partition_config_selectorILNS1_17partition_subalgoE8ElNS0_10empty_typeEbEEZZNS1_14partition_implILS5_8ELb0ES3_jPlPS6_PKS6_NS0_5tupleIJS9_S6_EEENSD_IJSA_SA_EEENS0_18inequality_wrapperIZN2at6native12_GLOBAL__N_124unique_dim_cuda_templateIlEESt5tupleIJNSH_6TensorESM_SM_EERKSM_lbbbEUlllE0_EEPmJS6_EEE10hipError_tPvRmT3_T4_T5_T6_T7_T9_mT8_P12ihipStream_tbDpT10_ENKUlT_T0_E_clISt17integral_constantIbLb0EES1C_EEDaS17_S18_EUlS17_E_NS1_11comp_targetILNS1_3genE3ELNS1_11target_archE908ELNS1_3gpuE7ELNS1_3repE0EEENS1_30default_config_static_selectorELNS0_4arch9wavefront6targetE0EEEvT1_.has_indirect_call, 0
	.section	.AMDGPU.csdata,"",@progbits
; Kernel info:
; codeLenInByte = 0
; TotalNumSgprs: 0
; NumVgprs: 0
; ScratchSize: 0
; MemoryBound: 0
; FloatMode: 240
; IeeeMode: 1
; LDSByteSize: 0 bytes/workgroup (compile time only)
; SGPRBlocks: 0
; VGPRBlocks: 0
; NumSGPRsForWavesPerEU: 1
; NumVGPRsForWavesPerEU: 1
; NamedBarCnt: 0
; Occupancy: 16
; WaveLimiterHint : 0
; COMPUTE_PGM_RSRC2:SCRATCH_EN: 0
; COMPUTE_PGM_RSRC2:USER_SGPR: 2
; COMPUTE_PGM_RSRC2:TRAP_HANDLER: 0
; COMPUTE_PGM_RSRC2:TGID_X_EN: 1
; COMPUTE_PGM_RSRC2:TGID_Y_EN: 0
; COMPUTE_PGM_RSRC2:TGID_Z_EN: 0
; COMPUTE_PGM_RSRC2:TIDIG_COMP_CNT: 0
	.section	.text._ZN7rocprim17ROCPRIM_400000_NS6detail17trampoline_kernelINS0_14default_configENS1_25partition_config_selectorILNS1_17partition_subalgoE8ElNS0_10empty_typeEbEEZZNS1_14partition_implILS5_8ELb0ES3_jPlPS6_PKS6_NS0_5tupleIJS9_S6_EEENSD_IJSA_SA_EEENS0_18inequality_wrapperIZN2at6native12_GLOBAL__N_124unique_dim_cuda_templateIlEESt5tupleIJNSH_6TensorESM_SM_EERKSM_lbbbEUlllE0_EEPmJS6_EEE10hipError_tPvRmT3_T4_T5_T6_T7_T9_mT8_P12ihipStream_tbDpT10_ENKUlT_T0_E_clISt17integral_constantIbLb0EES1C_EEDaS17_S18_EUlS17_E_NS1_11comp_targetILNS1_3genE2ELNS1_11target_archE906ELNS1_3gpuE6ELNS1_3repE0EEENS1_30default_config_static_selectorELNS0_4arch9wavefront6targetE0EEEvT1_,"axG",@progbits,_ZN7rocprim17ROCPRIM_400000_NS6detail17trampoline_kernelINS0_14default_configENS1_25partition_config_selectorILNS1_17partition_subalgoE8ElNS0_10empty_typeEbEEZZNS1_14partition_implILS5_8ELb0ES3_jPlPS6_PKS6_NS0_5tupleIJS9_S6_EEENSD_IJSA_SA_EEENS0_18inequality_wrapperIZN2at6native12_GLOBAL__N_124unique_dim_cuda_templateIlEESt5tupleIJNSH_6TensorESM_SM_EERKSM_lbbbEUlllE0_EEPmJS6_EEE10hipError_tPvRmT3_T4_T5_T6_T7_T9_mT8_P12ihipStream_tbDpT10_ENKUlT_T0_E_clISt17integral_constantIbLb0EES1C_EEDaS17_S18_EUlS17_E_NS1_11comp_targetILNS1_3genE2ELNS1_11target_archE906ELNS1_3gpuE6ELNS1_3repE0EEENS1_30default_config_static_selectorELNS0_4arch9wavefront6targetE0EEEvT1_,comdat
	.globl	_ZN7rocprim17ROCPRIM_400000_NS6detail17trampoline_kernelINS0_14default_configENS1_25partition_config_selectorILNS1_17partition_subalgoE8ElNS0_10empty_typeEbEEZZNS1_14partition_implILS5_8ELb0ES3_jPlPS6_PKS6_NS0_5tupleIJS9_S6_EEENSD_IJSA_SA_EEENS0_18inequality_wrapperIZN2at6native12_GLOBAL__N_124unique_dim_cuda_templateIlEESt5tupleIJNSH_6TensorESM_SM_EERKSM_lbbbEUlllE0_EEPmJS6_EEE10hipError_tPvRmT3_T4_T5_T6_T7_T9_mT8_P12ihipStream_tbDpT10_ENKUlT_T0_E_clISt17integral_constantIbLb0EES1C_EEDaS17_S18_EUlS17_E_NS1_11comp_targetILNS1_3genE2ELNS1_11target_archE906ELNS1_3gpuE6ELNS1_3repE0EEENS1_30default_config_static_selectorELNS0_4arch9wavefront6targetE0EEEvT1_ ; -- Begin function _ZN7rocprim17ROCPRIM_400000_NS6detail17trampoline_kernelINS0_14default_configENS1_25partition_config_selectorILNS1_17partition_subalgoE8ElNS0_10empty_typeEbEEZZNS1_14partition_implILS5_8ELb0ES3_jPlPS6_PKS6_NS0_5tupleIJS9_S6_EEENSD_IJSA_SA_EEENS0_18inequality_wrapperIZN2at6native12_GLOBAL__N_124unique_dim_cuda_templateIlEESt5tupleIJNSH_6TensorESM_SM_EERKSM_lbbbEUlllE0_EEPmJS6_EEE10hipError_tPvRmT3_T4_T5_T6_T7_T9_mT8_P12ihipStream_tbDpT10_ENKUlT_T0_E_clISt17integral_constantIbLb0EES1C_EEDaS17_S18_EUlS17_E_NS1_11comp_targetILNS1_3genE2ELNS1_11target_archE906ELNS1_3gpuE6ELNS1_3repE0EEENS1_30default_config_static_selectorELNS0_4arch9wavefront6targetE0EEEvT1_
	.p2align	8
	.type	_ZN7rocprim17ROCPRIM_400000_NS6detail17trampoline_kernelINS0_14default_configENS1_25partition_config_selectorILNS1_17partition_subalgoE8ElNS0_10empty_typeEbEEZZNS1_14partition_implILS5_8ELb0ES3_jPlPS6_PKS6_NS0_5tupleIJS9_S6_EEENSD_IJSA_SA_EEENS0_18inequality_wrapperIZN2at6native12_GLOBAL__N_124unique_dim_cuda_templateIlEESt5tupleIJNSH_6TensorESM_SM_EERKSM_lbbbEUlllE0_EEPmJS6_EEE10hipError_tPvRmT3_T4_T5_T6_T7_T9_mT8_P12ihipStream_tbDpT10_ENKUlT_T0_E_clISt17integral_constantIbLb0EES1C_EEDaS17_S18_EUlS17_E_NS1_11comp_targetILNS1_3genE2ELNS1_11target_archE906ELNS1_3gpuE6ELNS1_3repE0EEENS1_30default_config_static_selectorELNS0_4arch9wavefront6targetE0EEEvT1_,@function
_ZN7rocprim17ROCPRIM_400000_NS6detail17trampoline_kernelINS0_14default_configENS1_25partition_config_selectorILNS1_17partition_subalgoE8ElNS0_10empty_typeEbEEZZNS1_14partition_implILS5_8ELb0ES3_jPlPS6_PKS6_NS0_5tupleIJS9_S6_EEENSD_IJSA_SA_EEENS0_18inequality_wrapperIZN2at6native12_GLOBAL__N_124unique_dim_cuda_templateIlEESt5tupleIJNSH_6TensorESM_SM_EERKSM_lbbbEUlllE0_EEPmJS6_EEE10hipError_tPvRmT3_T4_T5_T6_T7_T9_mT8_P12ihipStream_tbDpT10_ENKUlT_T0_E_clISt17integral_constantIbLb0EES1C_EEDaS17_S18_EUlS17_E_NS1_11comp_targetILNS1_3genE2ELNS1_11target_archE906ELNS1_3gpuE6ELNS1_3repE0EEENS1_30default_config_static_selectorELNS0_4arch9wavefront6targetE0EEEvT1_: ; @_ZN7rocprim17ROCPRIM_400000_NS6detail17trampoline_kernelINS0_14default_configENS1_25partition_config_selectorILNS1_17partition_subalgoE8ElNS0_10empty_typeEbEEZZNS1_14partition_implILS5_8ELb0ES3_jPlPS6_PKS6_NS0_5tupleIJS9_S6_EEENSD_IJSA_SA_EEENS0_18inequality_wrapperIZN2at6native12_GLOBAL__N_124unique_dim_cuda_templateIlEESt5tupleIJNSH_6TensorESM_SM_EERKSM_lbbbEUlllE0_EEPmJS6_EEE10hipError_tPvRmT3_T4_T5_T6_T7_T9_mT8_P12ihipStream_tbDpT10_ENKUlT_T0_E_clISt17integral_constantIbLb0EES1C_EEDaS17_S18_EUlS17_E_NS1_11comp_targetILNS1_3genE2ELNS1_11target_archE906ELNS1_3gpuE6ELNS1_3repE0EEENS1_30default_config_static_selectorELNS0_4arch9wavefront6targetE0EEEvT1_
; %bb.0:
	.section	.rodata,"a",@progbits
	.p2align	6, 0x0
	.amdhsa_kernel _ZN7rocprim17ROCPRIM_400000_NS6detail17trampoline_kernelINS0_14default_configENS1_25partition_config_selectorILNS1_17partition_subalgoE8ElNS0_10empty_typeEbEEZZNS1_14partition_implILS5_8ELb0ES3_jPlPS6_PKS6_NS0_5tupleIJS9_S6_EEENSD_IJSA_SA_EEENS0_18inequality_wrapperIZN2at6native12_GLOBAL__N_124unique_dim_cuda_templateIlEESt5tupleIJNSH_6TensorESM_SM_EERKSM_lbbbEUlllE0_EEPmJS6_EEE10hipError_tPvRmT3_T4_T5_T6_T7_T9_mT8_P12ihipStream_tbDpT10_ENKUlT_T0_E_clISt17integral_constantIbLb0EES1C_EEDaS17_S18_EUlS17_E_NS1_11comp_targetILNS1_3genE2ELNS1_11target_archE906ELNS1_3gpuE6ELNS1_3repE0EEENS1_30default_config_static_selectorELNS0_4arch9wavefront6targetE0EEEvT1_
		.amdhsa_group_segment_fixed_size 0
		.amdhsa_private_segment_fixed_size 0
		.amdhsa_kernarg_size 120
		.amdhsa_user_sgpr_count 2
		.amdhsa_user_sgpr_dispatch_ptr 0
		.amdhsa_user_sgpr_queue_ptr 0
		.amdhsa_user_sgpr_kernarg_segment_ptr 1
		.amdhsa_user_sgpr_dispatch_id 0
		.amdhsa_user_sgpr_kernarg_preload_length 0
		.amdhsa_user_sgpr_kernarg_preload_offset 0
		.amdhsa_user_sgpr_private_segment_size 0
		.amdhsa_wavefront_size32 1
		.amdhsa_uses_dynamic_stack 0
		.amdhsa_enable_private_segment 0
		.amdhsa_system_sgpr_workgroup_id_x 1
		.amdhsa_system_sgpr_workgroup_id_y 0
		.amdhsa_system_sgpr_workgroup_id_z 0
		.amdhsa_system_sgpr_workgroup_info 0
		.amdhsa_system_vgpr_workitem_id 0
		.amdhsa_next_free_vgpr 1
		.amdhsa_next_free_sgpr 1
		.amdhsa_named_barrier_count 0
		.amdhsa_reserve_vcc 0
		.amdhsa_float_round_mode_32 0
		.amdhsa_float_round_mode_16_64 0
		.amdhsa_float_denorm_mode_32 3
		.amdhsa_float_denorm_mode_16_64 3
		.amdhsa_fp16_overflow 0
		.amdhsa_memory_ordered 1
		.amdhsa_forward_progress 1
		.amdhsa_inst_pref_size 0
		.amdhsa_round_robin_scheduling 0
		.amdhsa_exception_fp_ieee_invalid_op 0
		.amdhsa_exception_fp_denorm_src 0
		.amdhsa_exception_fp_ieee_div_zero 0
		.amdhsa_exception_fp_ieee_overflow 0
		.amdhsa_exception_fp_ieee_underflow 0
		.amdhsa_exception_fp_ieee_inexact 0
		.amdhsa_exception_int_div_zero 0
	.end_amdhsa_kernel
	.section	.text._ZN7rocprim17ROCPRIM_400000_NS6detail17trampoline_kernelINS0_14default_configENS1_25partition_config_selectorILNS1_17partition_subalgoE8ElNS0_10empty_typeEbEEZZNS1_14partition_implILS5_8ELb0ES3_jPlPS6_PKS6_NS0_5tupleIJS9_S6_EEENSD_IJSA_SA_EEENS0_18inequality_wrapperIZN2at6native12_GLOBAL__N_124unique_dim_cuda_templateIlEESt5tupleIJNSH_6TensorESM_SM_EERKSM_lbbbEUlllE0_EEPmJS6_EEE10hipError_tPvRmT3_T4_T5_T6_T7_T9_mT8_P12ihipStream_tbDpT10_ENKUlT_T0_E_clISt17integral_constantIbLb0EES1C_EEDaS17_S18_EUlS17_E_NS1_11comp_targetILNS1_3genE2ELNS1_11target_archE906ELNS1_3gpuE6ELNS1_3repE0EEENS1_30default_config_static_selectorELNS0_4arch9wavefront6targetE0EEEvT1_,"axG",@progbits,_ZN7rocprim17ROCPRIM_400000_NS6detail17trampoline_kernelINS0_14default_configENS1_25partition_config_selectorILNS1_17partition_subalgoE8ElNS0_10empty_typeEbEEZZNS1_14partition_implILS5_8ELb0ES3_jPlPS6_PKS6_NS0_5tupleIJS9_S6_EEENSD_IJSA_SA_EEENS0_18inequality_wrapperIZN2at6native12_GLOBAL__N_124unique_dim_cuda_templateIlEESt5tupleIJNSH_6TensorESM_SM_EERKSM_lbbbEUlllE0_EEPmJS6_EEE10hipError_tPvRmT3_T4_T5_T6_T7_T9_mT8_P12ihipStream_tbDpT10_ENKUlT_T0_E_clISt17integral_constantIbLb0EES1C_EEDaS17_S18_EUlS17_E_NS1_11comp_targetILNS1_3genE2ELNS1_11target_archE906ELNS1_3gpuE6ELNS1_3repE0EEENS1_30default_config_static_selectorELNS0_4arch9wavefront6targetE0EEEvT1_,comdat
.Lfunc_end567:
	.size	_ZN7rocprim17ROCPRIM_400000_NS6detail17trampoline_kernelINS0_14default_configENS1_25partition_config_selectorILNS1_17partition_subalgoE8ElNS0_10empty_typeEbEEZZNS1_14partition_implILS5_8ELb0ES3_jPlPS6_PKS6_NS0_5tupleIJS9_S6_EEENSD_IJSA_SA_EEENS0_18inequality_wrapperIZN2at6native12_GLOBAL__N_124unique_dim_cuda_templateIlEESt5tupleIJNSH_6TensorESM_SM_EERKSM_lbbbEUlllE0_EEPmJS6_EEE10hipError_tPvRmT3_T4_T5_T6_T7_T9_mT8_P12ihipStream_tbDpT10_ENKUlT_T0_E_clISt17integral_constantIbLb0EES1C_EEDaS17_S18_EUlS17_E_NS1_11comp_targetILNS1_3genE2ELNS1_11target_archE906ELNS1_3gpuE6ELNS1_3repE0EEENS1_30default_config_static_selectorELNS0_4arch9wavefront6targetE0EEEvT1_, .Lfunc_end567-_ZN7rocprim17ROCPRIM_400000_NS6detail17trampoline_kernelINS0_14default_configENS1_25partition_config_selectorILNS1_17partition_subalgoE8ElNS0_10empty_typeEbEEZZNS1_14partition_implILS5_8ELb0ES3_jPlPS6_PKS6_NS0_5tupleIJS9_S6_EEENSD_IJSA_SA_EEENS0_18inequality_wrapperIZN2at6native12_GLOBAL__N_124unique_dim_cuda_templateIlEESt5tupleIJNSH_6TensorESM_SM_EERKSM_lbbbEUlllE0_EEPmJS6_EEE10hipError_tPvRmT3_T4_T5_T6_T7_T9_mT8_P12ihipStream_tbDpT10_ENKUlT_T0_E_clISt17integral_constantIbLb0EES1C_EEDaS17_S18_EUlS17_E_NS1_11comp_targetILNS1_3genE2ELNS1_11target_archE906ELNS1_3gpuE6ELNS1_3repE0EEENS1_30default_config_static_selectorELNS0_4arch9wavefront6targetE0EEEvT1_
                                        ; -- End function
	.set _ZN7rocprim17ROCPRIM_400000_NS6detail17trampoline_kernelINS0_14default_configENS1_25partition_config_selectorILNS1_17partition_subalgoE8ElNS0_10empty_typeEbEEZZNS1_14partition_implILS5_8ELb0ES3_jPlPS6_PKS6_NS0_5tupleIJS9_S6_EEENSD_IJSA_SA_EEENS0_18inequality_wrapperIZN2at6native12_GLOBAL__N_124unique_dim_cuda_templateIlEESt5tupleIJNSH_6TensorESM_SM_EERKSM_lbbbEUlllE0_EEPmJS6_EEE10hipError_tPvRmT3_T4_T5_T6_T7_T9_mT8_P12ihipStream_tbDpT10_ENKUlT_T0_E_clISt17integral_constantIbLb0EES1C_EEDaS17_S18_EUlS17_E_NS1_11comp_targetILNS1_3genE2ELNS1_11target_archE906ELNS1_3gpuE6ELNS1_3repE0EEENS1_30default_config_static_selectorELNS0_4arch9wavefront6targetE0EEEvT1_.num_vgpr, 0
	.set _ZN7rocprim17ROCPRIM_400000_NS6detail17trampoline_kernelINS0_14default_configENS1_25partition_config_selectorILNS1_17partition_subalgoE8ElNS0_10empty_typeEbEEZZNS1_14partition_implILS5_8ELb0ES3_jPlPS6_PKS6_NS0_5tupleIJS9_S6_EEENSD_IJSA_SA_EEENS0_18inequality_wrapperIZN2at6native12_GLOBAL__N_124unique_dim_cuda_templateIlEESt5tupleIJNSH_6TensorESM_SM_EERKSM_lbbbEUlllE0_EEPmJS6_EEE10hipError_tPvRmT3_T4_T5_T6_T7_T9_mT8_P12ihipStream_tbDpT10_ENKUlT_T0_E_clISt17integral_constantIbLb0EES1C_EEDaS17_S18_EUlS17_E_NS1_11comp_targetILNS1_3genE2ELNS1_11target_archE906ELNS1_3gpuE6ELNS1_3repE0EEENS1_30default_config_static_selectorELNS0_4arch9wavefront6targetE0EEEvT1_.num_agpr, 0
	.set _ZN7rocprim17ROCPRIM_400000_NS6detail17trampoline_kernelINS0_14default_configENS1_25partition_config_selectorILNS1_17partition_subalgoE8ElNS0_10empty_typeEbEEZZNS1_14partition_implILS5_8ELb0ES3_jPlPS6_PKS6_NS0_5tupleIJS9_S6_EEENSD_IJSA_SA_EEENS0_18inequality_wrapperIZN2at6native12_GLOBAL__N_124unique_dim_cuda_templateIlEESt5tupleIJNSH_6TensorESM_SM_EERKSM_lbbbEUlllE0_EEPmJS6_EEE10hipError_tPvRmT3_T4_T5_T6_T7_T9_mT8_P12ihipStream_tbDpT10_ENKUlT_T0_E_clISt17integral_constantIbLb0EES1C_EEDaS17_S18_EUlS17_E_NS1_11comp_targetILNS1_3genE2ELNS1_11target_archE906ELNS1_3gpuE6ELNS1_3repE0EEENS1_30default_config_static_selectorELNS0_4arch9wavefront6targetE0EEEvT1_.numbered_sgpr, 0
	.set _ZN7rocprim17ROCPRIM_400000_NS6detail17trampoline_kernelINS0_14default_configENS1_25partition_config_selectorILNS1_17partition_subalgoE8ElNS0_10empty_typeEbEEZZNS1_14partition_implILS5_8ELb0ES3_jPlPS6_PKS6_NS0_5tupleIJS9_S6_EEENSD_IJSA_SA_EEENS0_18inequality_wrapperIZN2at6native12_GLOBAL__N_124unique_dim_cuda_templateIlEESt5tupleIJNSH_6TensorESM_SM_EERKSM_lbbbEUlllE0_EEPmJS6_EEE10hipError_tPvRmT3_T4_T5_T6_T7_T9_mT8_P12ihipStream_tbDpT10_ENKUlT_T0_E_clISt17integral_constantIbLb0EES1C_EEDaS17_S18_EUlS17_E_NS1_11comp_targetILNS1_3genE2ELNS1_11target_archE906ELNS1_3gpuE6ELNS1_3repE0EEENS1_30default_config_static_selectorELNS0_4arch9wavefront6targetE0EEEvT1_.num_named_barrier, 0
	.set _ZN7rocprim17ROCPRIM_400000_NS6detail17trampoline_kernelINS0_14default_configENS1_25partition_config_selectorILNS1_17partition_subalgoE8ElNS0_10empty_typeEbEEZZNS1_14partition_implILS5_8ELb0ES3_jPlPS6_PKS6_NS0_5tupleIJS9_S6_EEENSD_IJSA_SA_EEENS0_18inequality_wrapperIZN2at6native12_GLOBAL__N_124unique_dim_cuda_templateIlEESt5tupleIJNSH_6TensorESM_SM_EERKSM_lbbbEUlllE0_EEPmJS6_EEE10hipError_tPvRmT3_T4_T5_T6_T7_T9_mT8_P12ihipStream_tbDpT10_ENKUlT_T0_E_clISt17integral_constantIbLb0EES1C_EEDaS17_S18_EUlS17_E_NS1_11comp_targetILNS1_3genE2ELNS1_11target_archE906ELNS1_3gpuE6ELNS1_3repE0EEENS1_30default_config_static_selectorELNS0_4arch9wavefront6targetE0EEEvT1_.private_seg_size, 0
	.set _ZN7rocprim17ROCPRIM_400000_NS6detail17trampoline_kernelINS0_14default_configENS1_25partition_config_selectorILNS1_17partition_subalgoE8ElNS0_10empty_typeEbEEZZNS1_14partition_implILS5_8ELb0ES3_jPlPS6_PKS6_NS0_5tupleIJS9_S6_EEENSD_IJSA_SA_EEENS0_18inequality_wrapperIZN2at6native12_GLOBAL__N_124unique_dim_cuda_templateIlEESt5tupleIJNSH_6TensorESM_SM_EERKSM_lbbbEUlllE0_EEPmJS6_EEE10hipError_tPvRmT3_T4_T5_T6_T7_T9_mT8_P12ihipStream_tbDpT10_ENKUlT_T0_E_clISt17integral_constantIbLb0EES1C_EEDaS17_S18_EUlS17_E_NS1_11comp_targetILNS1_3genE2ELNS1_11target_archE906ELNS1_3gpuE6ELNS1_3repE0EEENS1_30default_config_static_selectorELNS0_4arch9wavefront6targetE0EEEvT1_.uses_vcc, 0
	.set _ZN7rocprim17ROCPRIM_400000_NS6detail17trampoline_kernelINS0_14default_configENS1_25partition_config_selectorILNS1_17partition_subalgoE8ElNS0_10empty_typeEbEEZZNS1_14partition_implILS5_8ELb0ES3_jPlPS6_PKS6_NS0_5tupleIJS9_S6_EEENSD_IJSA_SA_EEENS0_18inequality_wrapperIZN2at6native12_GLOBAL__N_124unique_dim_cuda_templateIlEESt5tupleIJNSH_6TensorESM_SM_EERKSM_lbbbEUlllE0_EEPmJS6_EEE10hipError_tPvRmT3_T4_T5_T6_T7_T9_mT8_P12ihipStream_tbDpT10_ENKUlT_T0_E_clISt17integral_constantIbLb0EES1C_EEDaS17_S18_EUlS17_E_NS1_11comp_targetILNS1_3genE2ELNS1_11target_archE906ELNS1_3gpuE6ELNS1_3repE0EEENS1_30default_config_static_selectorELNS0_4arch9wavefront6targetE0EEEvT1_.uses_flat_scratch, 0
	.set _ZN7rocprim17ROCPRIM_400000_NS6detail17trampoline_kernelINS0_14default_configENS1_25partition_config_selectorILNS1_17partition_subalgoE8ElNS0_10empty_typeEbEEZZNS1_14partition_implILS5_8ELb0ES3_jPlPS6_PKS6_NS0_5tupleIJS9_S6_EEENSD_IJSA_SA_EEENS0_18inequality_wrapperIZN2at6native12_GLOBAL__N_124unique_dim_cuda_templateIlEESt5tupleIJNSH_6TensorESM_SM_EERKSM_lbbbEUlllE0_EEPmJS6_EEE10hipError_tPvRmT3_T4_T5_T6_T7_T9_mT8_P12ihipStream_tbDpT10_ENKUlT_T0_E_clISt17integral_constantIbLb0EES1C_EEDaS17_S18_EUlS17_E_NS1_11comp_targetILNS1_3genE2ELNS1_11target_archE906ELNS1_3gpuE6ELNS1_3repE0EEENS1_30default_config_static_selectorELNS0_4arch9wavefront6targetE0EEEvT1_.has_dyn_sized_stack, 0
	.set _ZN7rocprim17ROCPRIM_400000_NS6detail17trampoline_kernelINS0_14default_configENS1_25partition_config_selectorILNS1_17partition_subalgoE8ElNS0_10empty_typeEbEEZZNS1_14partition_implILS5_8ELb0ES3_jPlPS6_PKS6_NS0_5tupleIJS9_S6_EEENSD_IJSA_SA_EEENS0_18inequality_wrapperIZN2at6native12_GLOBAL__N_124unique_dim_cuda_templateIlEESt5tupleIJNSH_6TensorESM_SM_EERKSM_lbbbEUlllE0_EEPmJS6_EEE10hipError_tPvRmT3_T4_T5_T6_T7_T9_mT8_P12ihipStream_tbDpT10_ENKUlT_T0_E_clISt17integral_constantIbLb0EES1C_EEDaS17_S18_EUlS17_E_NS1_11comp_targetILNS1_3genE2ELNS1_11target_archE906ELNS1_3gpuE6ELNS1_3repE0EEENS1_30default_config_static_selectorELNS0_4arch9wavefront6targetE0EEEvT1_.has_recursion, 0
	.set _ZN7rocprim17ROCPRIM_400000_NS6detail17trampoline_kernelINS0_14default_configENS1_25partition_config_selectorILNS1_17partition_subalgoE8ElNS0_10empty_typeEbEEZZNS1_14partition_implILS5_8ELb0ES3_jPlPS6_PKS6_NS0_5tupleIJS9_S6_EEENSD_IJSA_SA_EEENS0_18inequality_wrapperIZN2at6native12_GLOBAL__N_124unique_dim_cuda_templateIlEESt5tupleIJNSH_6TensorESM_SM_EERKSM_lbbbEUlllE0_EEPmJS6_EEE10hipError_tPvRmT3_T4_T5_T6_T7_T9_mT8_P12ihipStream_tbDpT10_ENKUlT_T0_E_clISt17integral_constantIbLb0EES1C_EEDaS17_S18_EUlS17_E_NS1_11comp_targetILNS1_3genE2ELNS1_11target_archE906ELNS1_3gpuE6ELNS1_3repE0EEENS1_30default_config_static_selectorELNS0_4arch9wavefront6targetE0EEEvT1_.has_indirect_call, 0
	.section	.AMDGPU.csdata,"",@progbits
; Kernel info:
; codeLenInByte = 0
; TotalNumSgprs: 0
; NumVgprs: 0
; ScratchSize: 0
; MemoryBound: 0
; FloatMode: 240
; IeeeMode: 1
; LDSByteSize: 0 bytes/workgroup (compile time only)
; SGPRBlocks: 0
; VGPRBlocks: 0
; NumSGPRsForWavesPerEU: 1
; NumVGPRsForWavesPerEU: 1
; NamedBarCnt: 0
; Occupancy: 16
; WaveLimiterHint : 0
; COMPUTE_PGM_RSRC2:SCRATCH_EN: 0
; COMPUTE_PGM_RSRC2:USER_SGPR: 2
; COMPUTE_PGM_RSRC2:TRAP_HANDLER: 0
; COMPUTE_PGM_RSRC2:TGID_X_EN: 1
; COMPUTE_PGM_RSRC2:TGID_Y_EN: 0
; COMPUTE_PGM_RSRC2:TGID_Z_EN: 0
; COMPUTE_PGM_RSRC2:TIDIG_COMP_CNT: 0
	.section	.text._ZN7rocprim17ROCPRIM_400000_NS6detail17trampoline_kernelINS0_14default_configENS1_25partition_config_selectorILNS1_17partition_subalgoE8ElNS0_10empty_typeEbEEZZNS1_14partition_implILS5_8ELb0ES3_jPlPS6_PKS6_NS0_5tupleIJS9_S6_EEENSD_IJSA_SA_EEENS0_18inequality_wrapperIZN2at6native12_GLOBAL__N_124unique_dim_cuda_templateIlEESt5tupleIJNSH_6TensorESM_SM_EERKSM_lbbbEUlllE0_EEPmJS6_EEE10hipError_tPvRmT3_T4_T5_T6_T7_T9_mT8_P12ihipStream_tbDpT10_ENKUlT_T0_E_clISt17integral_constantIbLb0EES1C_EEDaS17_S18_EUlS17_E_NS1_11comp_targetILNS1_3genE10ELNS1_11target_archE1200ELNS1_3gpuE4ELNS1_3repE0EEENS1_30default_config_static_selectorELNS0_4arch9wavefront6targetE0EEEvT1_,"axG",@progbits,_ZN7rocprim17ROCPRIM_400000_NS6detail17trampoline_kernelINS0_14default_configENS1_25partition_config_selectorILNS1_17partition_subalgoE8ElNS0_10empty_typeEbEEZZNS1_14partition_implILS5_8ELb0ES3_jPlPS6_PKS6_NS0_5tupleIJS9_S6_EEENSD_IJSA_SA_EEENS0_18inequality_wrapperIZN2at6native12_GLOBAL__N_124unique_dim_cuda_templateIlEESt5tupleIJNSH_6TensorESM_SM_EERKSM_lbbbEUlllE0_EEPmJS6_EEE10hipError_tPvRmT3_T4_T5_T6_T7_T9_mT8_P12ihipStream_tbDpT10_ENKUlT_T0_E_clISt17integral_constantIbLb0EES1C_EEDaS17_S18_EUlS17_E_NS1_11comp_targetILNS1_3genE10ELNS1_11target_archE1200ELNS1_3gpuE4ELNS1_3repE0EEENS1_30default_config_static_selectorELNS0_4arch9wavefront6targetE0EEEvT1_,comdat
	.globl	_ZN7rocprim17ROCPRIM_400000_NS6detail17trampoline_kernelINS0_14default_configENS1_25partition_config_selectorILNS1_17partition_subalgoE8ElNS0_10empty_typeEbEEZZNS1_14partition_implILS5_8ELb0ES3_jPlPS6_PKS6_NS0_5tupleIJS9_S6_EEENSD_IJSA_SA_EEENS0_18inequality_wrapperIZN2at6native12_GLOBAL__N_124unique_dim_cuda_templateIlEESt5tupleIJNSH_6TensorESM_SM_EERKSM_lbbbEUlllE0_EEPmJS6_EEE10hipError_tPvRmT3_T4_T5_T6_T7_T9_mT8_P12ihipStream_tbDpT10_ENKUlT_T0_E_clISt17integral_constantIbLb0EES1C_EEDaS17_S18_EUlS17_E_NS1_11comp_targetILNS1_3genE10ELNS1_11target_archE1200ELNS1_3gpuE4ELNS1_3repE0EEENS1_30default_config_static_selectorELNS0_4arch9wavefront6targetE0EEEvT1_ ; -- Begin function _ZN7rocprim17ROCPRIM_400000_NS6detail17trampoline_kernelINS0_14default_configENS1_25partition_config_selectorILNS1_17partition_subalgoE8ElNS0_10empty_typeEbEEZZNS1_14partition_implILS5_8ELb0ES3_jPlPS6_PKS6_NS0_5tupleIJS9_S6_EEENSD_IJSA_SA_EEENS0_18inequality_wrapperIZN2at6native12_GLOBAL__N_124unique_dim_cuda_templateIlEESt5tupleIJNSH_6TensorESM_SM_EERKSM_lbbbEUlllE0_EEPmJS6_EEE10hipError_tPvRmT3_T4_T5_T6_T7_T9_mT8_P12ihipStream_tbDpT10_ENKUlT_T0_E_clISt17integral_constantIbLb0EES1C_EEDaS17_S18_EUlS17_E_NS1_11comp_targetILNS1_3genE10ELNS1_11target_archE1200ELNS1_3gpuE4ELNS1_3repE0EEENS1_30default_config_static_selectorELNS0_4arch9wavefront6targetE0EEEvT1_
	.p2align	8
	.type	_ZN7rocprim17ROCPRIM_400000_NS6detail17trampoline_kernelINS0_14default_configENS1_25partition_config_selectorILNS1_17partition_subalgoE8ElNS0_10empty_typeEbEEZZNS1_14partition_implILS5_8ELb0ES3_jPlPS6_PKS6_NS0_5tupleIJS9_S6_EEENSD_IJSA_SA_EEENS0_18inequality_wrapperIZN2at6native12_GLOBAL__N_124unique_dim_cuda_templateIlEESt5tupleIJNSH_6TensorESM_SM_EERKSM_lbbbEUlllE0_EEPmJS6_EEE10hipError_tPvRmT3_T4_T5_T6_T7_T9_mT8_P12ihipStream_tbDpT10_ENKUlT_T0_E_clISt17integral_constantIbLb0EES1C_EEDaS17_S18_EUlS17_E_NS1_11comp_targetILNS1_3genE10ELNS1_11target_archE1200ELNS1_3gpuE4ELNS1_3repE0EEENS1_30default_config_static_selectorELNS0_4arch9wavefront6targetE0EEEvT1_,@function
_ZN7rocprim17ROCPRIM_400000_NS6detail17trampoline_kernelINS0_14default_configENS1_25partition_config_selectorILNS1_17partition_subalgoE8ElNS0_10empty_typeEbEEZZNS1_14partition_implILS5_8ELb0ES3_jPlPS6_PKS6_NS0_5tupleIJS9_S6_EEENSD_IJSA_SA_EEENS0_18inequality_wrapperIZN2at6native12_GLOBAL__N_124unique_dim_cuda_templateIlEESt5tupleIJNSH_6TensorESM_SM_EERKSM_lbbbEUlllE0_EEPmJS6_EEE10hipError_tPvRmT3_T4_T5_T6_T7_T9_mT8_P12ihipStream_tbDpT10_ENKUlT_T0_E_clISt17integral_constantIbLb0EES1C_EEDaS17_S18_EUlS17_E_NS1_11comp_targetILNS1_3genE10ELNS1_11target_archE1200ELNS1_3gpuE4ELNS1_3repE0EEENS1_30default_config_static_selectorELNS0_4arch9wavefront6targetE0EEEvT1_: ; @_ZN7rocprim17ROCPRIM_400000_NS6detail17trampoline_kernelINS0_14default_configENS1_25partition_config_selectorILNS1_17partition_subalgoE8ElNS0_10empty_typeEbEEZZNS1_14partition_implILS5_8ELb0ES3_jPlPS6_PKS6_NS0_5tupleIJS9_S6_EEENSD_IJSA_SA_EEENS0_18inequality_wrapperIZN2at6native12_GLOBAL__N_124unique_dim_cuda_templateIlEESt5tupleIJNSH_6TensorESM_SM_EERKSM_lbbbEUlllE0_EEPmJS6_EEE10hipError_tPvRmT3_T4_T5_T6_T7_T9_mT8_P12ihipStream_tbDpT10_ENKUlT_T0_E_clISt17integral_constantIbLb0EES1C_EEDaS17_S18_EUlS17_E_NS1_11comp_targetILNS1_3genE10ELNS1_11target_archE1200ELNS1_3gpuE4ELNS1_3repE0EEENS1_30default_config_static_selectorELNS0_4arch9wavefront6targetE0EEEvT1_
; %bb.0:
	.section	.rodata,"a",@progbits
	.p2align	6, 0x0
	.amdhsa_kernel _ZN7rocprim17ROCPRIM_400000_NS6detail17trampoline_kernelINS0_14default_configENS1_25partition_config_selectorILNS1_17partition_subalgoE8ElNS0_10empty_typeEbEEZZNS1_14partition_implILS5_8ELb0ES3_jPlPS6_PKS6_NS0_5tupleIJS9_S6_EEENSD_IJSA_SA_EEENS0_18inequality_wrapperIZN2at6native12_GLOBAL__N_124unique_dim_cuda_templateIlEESt5tupleIJNSH_6TensorESM_SM_EERKSM_lbbbEUlllE0_EEPmJS6_EEE10hipError_tPvRmT3_T4_T5_T6_T7_T9_mT8_P12ihipStream_tbDpT10_ENKUlT_T0_E_clISt17integral_constantIbLb0EES1C_EEDaS17_S18_EUlS17_E_NS1_11comp_targetILNS1_3genE10ELNS1_11target_archE1200ELNS1_3gpuE4ELNS1_3repE0EEENS1_30default_config_static_selectorELNS0_4arch9wavefront6targetE0EEEvT1_
		.amdhsa_group_segment_fixed_size 0
		.amdhsa_private_segment_fixed_size 0
		.amdhsa_kernarg_size 120
		.amdhsa_user_sgpr_count 2
		.amdhsa_user_sgpr_dispatch_ptr 0
		.amdhsa_user_sgpr_queue_ptr 0
		.amdhsa_user_sgpr_kernarg_segment_ptr 1
		.amdhsa_user_sgpr_dispatch_id 0
		.amdhsa_user_sgpr_kernarg_preload_length 0
		.amdhsa_user_sgpr_kernarg_preload_offset 0
		.amdhsa_user_sgpr_private_segment_size 0
		.amdhsa_wavefront_size32 1
		.amdhsa_uses_dynamic_stack 0
		.amdhsa_enable_private_segment 0
		.amdhsa_system_sgpr_workgroup_id_x 1
		.amdhsa_system_sgpr_workgroup_id_y 0
		.amdhsa_system_sgpr_workgroup_id_z 0
		.amdhsa_system_sgpr_workgroup_info 0
		.amdhsa_system_vgpr_workitem_id 0
		.amdhsa_next_free_vgpr 1
		.amdhsa_next_free_sgpr 1
		.amdhsa_named_barrier_count 0
		.amdhsa_reserve_vcc 0
		.amdhsa_float_round_mode_32 0
		.amdhsa_float_round_mode_16_64 0
		.amdhsa_float_denorm_mode_32 3
		.amdhsa_float_denorm_mode_16_64 3
		.amdhsa_fp16_overflow 0
		.amdhsa_memory_ordered 1
		.amdhsa_forward_progress 1
		.amdhsa_inst_pref_size 0
		.amdhsa_round_robin_scheduling 0
		.amdhsa_exception_fp_ieee_invalid_op 0
		.amdhsa_exception_fp_denorm_src 0
		.amdhsa_exception_fp_ieee_div_zero 0
		.amdhsa_exception_fp_ieee_overflow 0
		.amdhsa_exception_fp_ieee_underflow 0
		.amdhsa_exception_fp_ieee_inexact 0
		.amdhsa_exception_int_div_zero 0
	.end_amdhsa_kernel
	.section	.text._ZN7rocprim17ROCPRIM_400000_NS6detail17trampoline_kernelINS0_14default_configENS1_25partition_config_selectorILNS1_17partition_subalgoE8ElNS0_10empty_typeEbEEZZNS1_14partition_implILS5_8ELb0ES3_jPlPS6_PKS6_NS0_5tupleIJS9_S6_EEENSD_IJSA_SA_EEENS0_18inequality_wrapperIZN2at6native12_GLOBAL__N_124unique_dim_cuda_templateIlEESt5tupleIJNSH_6TensorESM_SM_EERKSM_lbbbEUlllE0_EEPmJS6_EEE10hipError_tPvRmT3_T4_T5_T6_T7_T9_mT8_P12ihipStream_tbDpT10_ENKUlT_T0_E_clISt17integral_constantIbLb0EES1C_EEDaS17_S18_EUlS17_E_NS1_11comp_targetILNS1_3genE10ELNS1_11target_archE1200ELNS1_3gpuE4ELNS1_3repE0EEENS1_30default_config_static_selectorELNS0_4arch9wavefront6targetE0EEEvT1_,"axG",@progbits,_ZN7rocprim17ROCPRIM_400000_NS6detail17trampoline_kernelINS0_14default_configENS1_25partition_config_selectorILNS1_17partition_subalgoE8ElNS0_10empty_typeEbEEZZNS1_14partition_implILS5_8ELb0ES3_jPlPS6_PKS6_NS0_5tupleIJS9_S6_EEENSD_IJSA_SA_EEENS0_18inequality_wrapperIZN2at6native12_GLOBAL__N_124unique_dim_cuda_templateIlEESt5tupleIJNSH_6TensorESM_SM_EERKSM_lbbbEUlllE0_EEPmJS6_EEE10hipError_tPvRmT3_T4_T5_T6_T7_T9_mT8_P12ihipStream_tbDpT10_ENKUlT_T0_E_clISt17integral_constantIbLb0EES1C_EEDaS17_S18_EUlS17_E_NS1_11comp_targetILNS1_3genE10ELNS1_11target_archE1200ELNS1_3gpuE4ELNS1_3repE0EEENS1_30default_config_static_selectorELNS0_4arch9wavefront6targetE0EEEvT1_,comdat
.Lfunc_end568:
	.size	_ZN7rocprim17ROCPRIM_400000_NS6detail17trampoline_kernelINS0_14default_configENS1_25partition_config_selectorILNS1_17partition_subalgoE8ElNS0_10empty_typeEbEEZZNS1_14partition_implILS5_8ELb0ES3_jPlPS6_PKS6_NS0_5tupleIJS9_S6_EEENSD_IJSA_SA_EEENS0_18inequality_wrapperIZN2at6native12_GLOBAL__N_124unique_dim_cuda_templateIlEESt5tupleIJNSH_6TensorESM_SM_EERKSM_lbbbEUlllE0_EEPmJS6_EEE10hipError_tPvRmT3_T4_T5_T6_T7_T9_mT8_P12ihipStream_tbDpT10_ENKUlT_T0_E_clISt17integral_constantIbLb0EES1C_EEDaS17_S18_EUlS17_E_NS1_11comp_targetILNS1_3genE10ELNS1_11target_archE1200ELNS1_3gpuE4ELNS1_3repE0EEENS1_30default_config_static_selectorELNS0_4arch9wavefront6targetE0EEEvT1_, .Lfunc_end568-_ZN7rocprim17ROCPRIM_400000_NS6detail17trampoline_kernelINS0_14default_configENS1_25partition_config_selectorILNS1_17partition_subalgoE8ElNS0_10empty_typeEbEEZZNS1_14partition_implILS5_8ELb0ES3_jPlPS6_PKS6_NS0_5tupleIJS9_S6_EEENSD_IJSA_SA_EEENS0_18inequality_wrapperIZN2at6native12_GLOBAL__N_124unique_dim_cuda_templateIlEESt5tupleIJNSH_6TensorESM_SM_EERKSM_lbbbEUlllE0_EEPmJS6_EEE10hipError_tPvRmT3_T4_T5_T6_T7_T9_mT8_P12ihipStream_tbDpT10_ENKUlT_T0_E_clISt17integral_constantIbLb0EES1C_EEDaS17_S18_EUlS17_E_NS1_11comp_targetILNS1_3genE10ELNS1_11target_archE1200ELNS1_3gpuE4ELNS1_3repE0EEENS1_30default_config_static_selectorELNS0_4arch9wavefront6targetE0EEEvT1_
                                        ; -- End function
	.set _ZN7rocprim17ROCPRIM_400000_NS6detail17trampoline_kernelINS0_14default_configENS1_25partition_config_selectorILNS1_17partition_subalgoE8ElNS0_10empty_typeEbEEZZNS1_14partition_implILS5_8ELb0ES3_jPlPS6_PKS6_NS0_5tupleIJS9_S6_EEENSD_IJSA_SA_EEENS0_18inequality_wrapperIZN2at6native12_GLOBAL__N_124unique_dim_cuda_templateIlEESt5tupleIJNSH_6TensorESM_SM_EERKSM_lbbbEUlllE0_EEPmJS6_EEE10hipError_tPvRmT3_T4_T5_T6_T7_T9_mT8_P12ihipStream_tbDpT10_ENKUlT_T0_E_clISt17integral_constantIbLb0EES1C_EEDaS17_S18_EUlS17_E_NS1_11comp_targetILNS1_3genE10ELNS1_11target_archE1200ELNS1_3gpuE4ELNS1_3repE0EEENS1_30default_config_static_selectorELNS0_4arch9wavefront6targetE0EEEvT1_.num_vgpr, 0
	.set _ZN7rocprim17ROCPRIM_400000_NS6detail17trampoline_kernelINS0_14default_configENS1_25partition_config_selectorILNS1_17partition_subalgoE8ElNS0_10empty_typeEbEEZZNS1_14partition_implILS5_8ELb0ES3_jPlPS6_PKS6_NS0_5tupleIJS9_S6_EEENSD_IJSA_SA_EEENS0_18inequality_wrapperIZN2at6native12_GLOBAL__N_124unique_dim_cuda_templateIlEESt5tupleIJNSH_6TensorESM_SM_EERKSM_lbbbEUlllE0_EEPmJS6_EEE10hipError_tPvRmT3_T4_T5_T6_T7_T9_mT8_P12ihipStream_tbDpT10_ENKUlT_T0_E_clISt17integral_constantIbLb0EES1C_EEDaS17_S18_EUlS17_E_NS1_11comp_targetILNS1_3genE10ELNS1_11target_archE1200ELNS1_3gpuE4ELNS1_3repE0EEENS1_30default_config_static_selectorELNS0_4arch9wavefront6targetE0EEEvT1_.num_agpr, 0
	.set _ZN7rocprim17ROCPRIM_400000_NS6detail17trampoline_kernelINS0_14default_configENS1_25partition_config_selectorILNS1_17partition_subalgoE8ElNS0_10empty_typeEbEEZZNS1_14partition_implILS5_8ELb0ES3_jPlPS6_PKS6_NS0_5tupleIJS9_S6_EEENSD_IJSA_SA_EEENS0_18inequality_wrapperIZN2at6native12_GLOBAL__N_124unique_dim_cuda_templateIlEESt5tupleIJNSH_6TensorESM_SM_EERKSM_lbbbEUlllE0_EEPmJS6_EEE10hipError_tPvRmT3_T4_T5_T6_T7_T9_mT8_P12ihipStream_tbDpT10_ENKUlT_T0_E_clISt17integral_constantIbLb0EES1C_EEDaS17_S18_EUlS17_E_NS1_11comp_targetILNS1_3genE10ELNS1_11target_archE1200ELNS1_3gpuE4ELNS1_3repE0EEENS1_30default_config_static_selectorELNS0_4arch9wavefront6targetE0EEEvT1_.numbered_sgpr, 0
	.set _ZN7rocprim17ROCPRIM_400000_NS6detail17trampoline_kernelINS0_14default_configENS1_25partition_config_selectorILNS1_17partition_subalgoE8ElNS0_10empty_typeEbEEZZNS1_14partition_implILS5_8ELb0ES3_jPlPS6_PKS6_NS0_5tupleIJS9_S6_EEENSD_IJSA_SA_EEENS0_18inequality_wrapperIZN2at6native12_GLOBAL__N_124unique_dim_cuda_templateIlEESt5tupleIJNSH_6TensorESM_SM_EERKSM_lbbbEUlllE0_EEPmJS6_EEE10hipError_tPvRmT3_T4_T5_T6_T7_T9_mT8_P12ihipStream_tbDpT10_ENKUlT_T0_E_clISt17integral_constantIbLb0EES1C_EEDaS17_S18_EUlS17_E_NS1_11comp_targetILNS1_3genE10ELNS1_11target_archE1200ELNS1_3gpuE4ELNS1_3repE0EEENS1_30default_config_static_selectorELNS0_4arch9wavefront6targetE0EEEvT1_.num_named_barrier, 0
	.set _ZN7rocprim17ROCPRIM_400000_NS6detail17trampoline_kernelINS0_14default_configENS1_25partition_config_selectorILNS1_17partition_subalgoE8ElNS0_10empty_typeEbEEZZNS1_14partition_implILS5_8ELb0ES3_jPlPS6_PKS6_NS0_5tupleIJS9_S6_EEENSD_IJSA_SA_EEENS0_18inequality_wrapperIZN2at6native12_GLOBAL__N_124unique_dim_cuda_templateIlEESt5tupleIJNSH_6TensorESM_SM_EERKSM_lbbbEUlllE0_EEPmJS6_EEE10hipError_tPvRmT3_T4_T5_T6_T7_T9_mT8_P12ihipStream_tbDpT10_ENKUlT_T0_E_clISt17integral_constantIbLb0EES1C_EEDaS17_S18_EUlS17_E_NS1_11comp_targetILNS1_3genE10ELNS1_11target_archE1200ELNS1_3gpuE4ELNS1_3repE0EEENS1_30default_config_static_selectorELNS0_4arch9wavefront6targetE0EEEvT1_.private_seg_size, 0
	.set _ZN7rocprim17ROCPRIM_400000_NS6detail17trampoline_kernelINS0_14default_configENS1_25partition_config_selectorILNS1_17partition_subalgoE8ElNS0_10empty_typeEbEEZZNS1_14partition_implILS5_8ELb0ES3_jPlPS6_PKS6_NS0_5tupleIJS9_S6_EEENSD_IJSA_SA_EEENS0_18inequality_wrapperIZN2at6native12_GLOBAL__N_124unique_dim_cuda_templateIlEESt5tupleIJNSH_6TensorESM_SM_EERKSM_lbbbEUlllE0_EEPmJS6_EEE10hipError_tPvRmT3_T4_T5_T6_T7_T9_mT8_P12ihipStream_tbDpT10_ENKUlT_T0_E_clISt17integral_constantIbLb0EES1C_EEDaS17_S18_EUlS17_E_NS1_11comp_targetILNS1_3genE10ELNS1_11target_archE1200ELNS1_3gpuE4ELNS1_3repE0EEENS1_30default_config_static_selectorELNS0_4arch9wavefront6targetE0EEEvT1_.uses_vcc, 0
	.set _ZN7rocprim17ROCPRIM_400000_NS6detail17trampoline_kernelINS0_14default_configENS1_25partition_config_selectorILNS1_17partition_subalgoE8ElNS0_10empty_typeEbEEZZNS1_14partition_implILS5_8ELb0ES3_jPlPS6_PKS6_NS0_5tupleIJS9_S6_EEENSD_IJSA_SA_EEENS0_18inequality_wrapperIZN2at6native12_GLOBAL__N_124unique_dim_cuda_templateIlEESt5tupleIJNSH_6TensorESM_SM_EERKSM_lbbbEUlllE0_EEPmJS6_EEE10hipError_tPvRmT3_T4_T5_T6_T7_T9_mT8_P12ihipStream_tbDpT10_ENKUlT_T0_E_clISt17integral_constantIbLb0EES1C_EEDaS17_S18_EUlS17_E_NS1_11comp_targetILNS1_3genE10ELNS1_11target_archE1200ELNS1_3gpuE4ELNS1_3repE0EEENS1_30default_config_static_selectorELNS0_4arch9wavefront6targetE0EEEvT1_.uses_flat_scratch, 0
	.set _ZN7rocprim17ROCPRIM_400000_NS6detail17trampoline_kernelINS0_14default_configENS1_25partition_config_selectorILNS1_17partition_subalgoE8ElNS0_10empty_typeEbEEZZNS1_14partition_implILS5_8ELb0ES3_jPlPS6_PKS6_NS0_5tupleIJS9_S6_EEENSD_IJSA_SA_EEENS0_18inequality_wrapperIZN2at6native12_GLOBAL__N_124unique_dim_cuda_templateIlEESt5tupleIJNSH_6TensorESM_SM_EERKSM_lbbbEUlllE0_EEPmJS6_EEE10hipError_tPvRmT3_T4_T5_T6_T7_T9_mT8_P12ihipStream_tbDpT10_ENKUlT_T0_E_clISt17integral_constantIbLb0EES1C_EEDaS17_S18_EUlS17_E_NS1_11comp_targetILNS1_3genE10ELNS1_11target_archE1200ELNS1_3gpuE4ELNS1_3repE0EEENS1_30default_config_static_selectorELNS0_4arch9wavefront6targetE0EEEvT1_.has_dyn_sized_stack, 0
	.set _ZN7rocprim17ROCPRIM_400000_NS6detail17trampoline_kernelINS0_14default_configENS1_25partition_config_selectorILNS1_17partition_subalgoE8ElNS0_10empty_typeEbEEZZNS1_14partition_implILS5_8ELb0ES3_jPlPS6_PKS6_NS0_5tupleIJS9_S6_EEENSD_IJSA_SA_EEENS0_18inequality_wrapperIZN2at6native12_GLOBAL__N_124unique_dim_cuda_templateIlEESt5tupleIJNSH_6TensorESM_SM_EERKSM_lbbbEUlllE0_EEPmJS6_EEE10hipError_tPvRmT3_T4_T5_T6_T7_T9_mT8_P12ihipStream_tbDpT10_ENKUlT_T0_E_clISt17integral_constantIbLb0EES1C_EEDaS17_S18_EUlS17_E_NS1_11comp_targetILNS1_3genE10ELNS1_11target_archE1200ELNS1_3gpuE4ELNS1_3repE0EEENS1_30default_config_static_selectorELNS0_4arch9wavefront6targetE0EEEvT1_.has_recursion, 0
	.set _ZN7rocprim17ROCPRIM_400000_NS6detail17trampoline_kernelINS0_14default_configENS1_25partition_config_selectorILNS1_17partition_subalgoE8ElNS0_10empty_typeEbEEZZNS1_14partition_implILS5_8ELb0ES3_jPlPS6_PKS6_NS0_5tupleIJS9_S6_EEENSD_IJSA_SA_EEENS0_18inequality_wrapperIZN2at6native12_GLOBAL__N_124unique_dim_cuda_templateIlEESt5tupleIJNSH_6TensorESM_SM_EERKSM_lbbbEUlllE0_EEPmJS6_EEE10hipError_tPvRmT3_T4_T5_T6_T7_T9_mT8_P12ihipStream_tbDpT10_ENKUlT_T0_E_clISt17integral_constantIbLb0EES1C_EEDaS17_S18_EUlS17_E_NS1_11comp_targetILNS1_3genE10ELNS1_11target_archE1200ELNS1_3gpuE4ELNS1_3repE0EEENS1_30default_config_static_selectorELNS0_4arch9wavefront6targetE0EEEvT1_.has_indirect_call, 0
	.section	.AMDGPU.csdata,"",@progbits
; Kernel info:
; codeLenInByte = 0
; TotalNumSgprs: 0
; NumVgprs: 0
; ScratchSize: 0
; MemoryBound: 0
; FloatMode: 240
; IeeeMode: 1
; LDSByteSize: 0 bytes/workgroup (compile time only)
; SGPRBlocks: 0
; VGPRBlocks: 0
; NumSGPRsForWavesPerEU: 1
; NumVGPRsForWavesPerEU: 1
; NamedBarCnt: 0
; Occupancy: 16
; WaveLimiterHint : 0
; COMPUTE_PGM_RSRC2:SCRATCH_EN: 0
; COMPUTE_PGM_RSRC2:USER_SGPR: 2
; COMPUTE_PGM_RSRC2:TRAP_HANDLER: 0
; COMPUTE_PGM_RSRC2:TGID_X_EN: 1
; COMPUTE_PGM_RSRC2:TGID_Y_EN: 0
; COMPUTE_PGM_RSRC2:TGID_Z_EN: 0
; COMPUTE_PGM_RSRC2:TIDIG_COMP_CNT: 0
	.section	.text._ZN7rocprim17ROCPRIM_400000_NS6detail17trampoline_kernelINS0_14default_configENS1_25partition_config_selectorILNS1_17partition_subalgoE8ElNS0_10empty_typeEbEEZZNS1_14partition_implILS5_8ELb0ES3_jPlPS6_PKS6_NS0_5tupleIJS9_S6_EEENSD_IJSA_SA_EEENS0_18inequality_wrapperIZN2at6native12_GLOBAL__N_124unique_dim_cuda_templateIlEESt5tupleIJNSH_6TensorESM_SM_EERKSM_lbbbEUlllE0_EEPmJS6_EEE10hipError_tPvRmT3_T4_T5_T6_T7_T9_mT8_P12ihipStream_tbDpT10_ENKUlT_T0_E_clISt17integral_constantIbLb0EES1C_EEDaS17_S18_EUlS17_E_NS1_11comp_targetILNS1_3genE9ELNS1_11target_archE1100ELNS1_3gpuE3ELNS1_3repE0EEENS1_30default_config_static_selectorELNS0_4arch9wavefront6targetE0EEEvT1_,"axG",@progbits,_ZN7rocprim17ROCPRIM_400000_NS6detail17trampoline_kernelINS0_14default_configENS1_25partition_config_selectorILNS1_17partition_subalgoE8ElNS0_10empty_typeEbEEZZNS1_14partition_implILS5_8ELb0ES3_jPlPS6_PKS6_NS0_5tupleIJS9_S6_EEENSD_IJSA_SA_EEENS0_18inequality_wrapperIZN2at6native12_GLOBAL__N_124unique_dim_cuda_templateIlEESt5tupleIJNSH_6TensorESM_SM_EERKSM_lbbbEUlllE0_EEPmJS6_EEE10hipError_tPvRmT3_T4_T5_T6_T7_T9_mT8_P12ihipStream_tbDpT10_ENKUlT_T0_E_clISt17integral_constantIbLb0EES1C_EEDaS17_S18_EUlS17_E_NS1_11comp_targetILNS1_3genE9ELNS1_11target_archE1100ELNS1_3gpuE3ELNS1_3repE0EEENS1_30default_config_static_selectorELNS0_4arch9wavefront6targetE0EEEvT1_,comdat
	.globl	_ZN7rocprim17ROCPRIM_400000_NS6detail17trampoline_kernelINS0_14default_configENS1_25partition_config_selectorILNS1_17partition_subalgoE8ElNS0_10empty_typeEbEEZZNS1_14partition_implILS5_8ELb0ES3_jPlPS6_PKS6_NS0_5tupleIJS9_S6_EEENSD_IJSA_SA_EEENS0_18inequality_wrapperIZN2at6native12_GLOBAL__N_124unique_dim_cuda_templateIlEESt5tupleIJNSH_6TensorESM_SM_EERKSM_lbbbEUlllE0_EEPmJS6_EEE10hipError_tPvRmT3_T4_T5_T6_T7_T9_mT8_P12ihipStream_tbDpT10_ENKUlT_T0_E_clISt17integral_constantIbLb0EES1C_EEDaS17_S18_EUlS17_E_NS1_11comp_targetILNS1_3genE9ELNS1_11target_archE1100ELNS1_3gpuE3ELNS1_3repE0EEENS1_30default_config_static_selectorELNS0_4arch9wavefront6targetE0EEEvT1_ ; -- Begin function _ZN7rocprim17ROCPRIM_400000_NS6detail17trampoline_kernelINS0_14default_configENS1_25partition_config_selectorILNS1_17partition_subalgoE8ElNS0_10empty_typeEbEEZZNS1_14partition_implILS5_8ELb0ES3_jPlPS6_PKS6_NS0_5tupleIJS9_S6_EEENSD_IJSA_SA_EEENS0_18inequality_wrapperIZN2at6native12_GLOBAL__N_124unique_dim_cuda_templateIlEESt5tupleIJNSH_6TensorESM_SM_EERKSM_lbbbEUlllE0_EEPmJS6_EEE10hipError_tPvRmT3_T4_T5_T6_T7_T9_mT8_P12ihipStream_tbDpT10_ENKUlT_T0_E_clISt17integral_constantIbLb0EES1C_EEDaS17_S18_EUlS17_E_NS1_11comp_targetILNS1_3genE9ELNS1_11target_archE1100ELNS1_3gpuE3ELNS1_3repE0EEENS1_30default_config_static_selectorELNS0_4arch9wavefront6targetE0EEEvT1_
	.p2align	8
	.type	_ZN7rocprim17ROCPRIM_400000_NS6detail17trampoline_kernelINS0_14default_configENS1_25partition_config_selectorILNS1_17partition_subalgoE8ElNS0_10empty_typeEbEEZZNS1_14partition_implILS5_8ELb0ES3_jPlPS6_PKS6_NS0_5tupleIJS9_S6_EEENSD_IJSA_SA_EEENS0_18inequality_wrapperIZN2at6native12_GLOBAL__N_124unique_dim_cuda_templateIlEESt5tupleIJNSH_6TensorESM_SM_EERKSM_lbbbEUlllE0_EEPmJS6_EEE10hipError_tPvRmT3_T4_T5_T6_T7_T9_mT8_P12ihipStream_tbDpT10_ENKUlT_T0_E_clISt17integral_constantIbLb0EES1C_EEDaS17_S18_EUlS17_E_NS1_11comp_targetILNS1_3genE9ELNS1_11target_archE1100ELNS1_3gpuE3ELNS1_3repE0EEENS1_30default_config_static_selectorELNS0_4arch9wavefront6targetE0EEEvT1_,@function
_ZN7rocprim17ROCPRIM_400000_NS6detail17trampoline_kernelINS0_14default_configENS1_25partition_config_selectorILNS1_17partition_subalgoE8ElNS0_10empty_typeEbEEZZNS1_14partition_implILS5_8ELb0ES3_jPlPS6_PKS6_NS0_5tupleIJS9_S6_EEENSD_IJSA_SA_EEENS0_18inequality_wrapperIZN2at6native12_GLOBAL__N_124unique_dim_cuda_templateIlEESt5tupleIJNSH_6TensorESM_SM_EERKSM_lbbbEUlllE0_EEPmJS6_EEE10hipError_tPvRmT3_T4_T5_T6_T7_T9_mT8_P12ihipStream_tbDpT10_ENKUlT_T0_E_clISt17integral_constantIbLb0EES1C_EEDaS17_S18_EUlS17_E_NS1_11comp_targetILNS1_3genE9ELNS1_11target_archE1100ELNS1_3gpuE3ELNS1_3repE0EEENS1_30default_config_static_selectorELNS0_4arch9wavefront6targetE0EEEvT1_: ; @_ZN7rocprim17ROCPRIM_400000_NS6detail17trampoline_kernelINS0_14default_configENS1_25partition_config_selectorILNS1_17partition_subalgoE8ElNS0_10empty_typeEbEEZZNS1_14partition_implILS5_8ELb0ES3_jPlPS6_PKS6_NS0_5tupleIJS9_S6_EEENSD_IJSA_SA_EEENS0_18inequality_wrapperIZN2at6native12_GLOBAL__N_124unique_dim_cuda_templateIlEESt5tupleIJNSH_6TensorESM_SM_EERKSM_lbbbEUlllE0_EEPmJS6_EEE10hipError_tPvRmT3_T4_T5_T6_T7_T9_mT8_P12ihipStream_tbDpT10_ENKUlT_T0_E_clISt17integral_constantIbLb0EES1C_EEDaS17_S18_EUlS17_E_NS1_11comp_targetILNS1_3genE9ELNS1_11target_archE1100ELNS1_3gpuE3ELNS1_3repE0EEENS1_30default_config_static_selectorELNS0_4arch9wavefront6targetE0EEEvT1_
; %bb.0:
	.section	.rodata,"a",@progbits
	.p2align	6, 0x0
	.amdhsa_kernel _ZN7rocprim17ROCPRIM_400000_NS6detail17trampoline_kernelINS0_14default_configENS1_25partition_config_selectorILNS1_17partition_subalgoE8ElNS0_10empty_typeEbEEZZNS1_14partition_implILS5_8ELb0ES3_jPlPS6_PKS6_NS0_5tupleIJS9_S6_EEENSD_IJSA_SA_EEENS0_18inequality_wrapperIZN2at6native12_GLOBAL__N_124unique_dim_cuda_templateIlEESt5tupleIJNSH_6TensorESM_SM_EERKSM_lbbbEUlllE0_EEPmJS6_EEE10hipError_tPvRmT3_T4_T5_T6_T7_T9_mT8_P12ihipStream_tbDpT10_ENKUlT_T0_E_clISt17integral_constantIbLb0EES1C_EEDaS17_S18_EUlS17_E_NS1_11comp_targetILNS1_3genE9ELNS1_11target_archE1100ELNS1_3gpuE3ELNS1_3repE0EEENS1_30default_config_static_selectorELNS0_4arch9wavefront6targetE0EEEvT1_
		.amdhsa_group_segment_fixed_size 0
		.amdhsa_private_segment_fixed_size 0
		.amdhsa_kernarg_size 120
		.amdhsa_user_sgpr_count 2
		.amdhsa_user_sgpr_dispatch_ptr 0
		.amdhsa_user_sgpr_queue_ptr 0
		.amdhsa_user_sgpr_kernarg_segment_ptr 1
		.amdhsa_user_sgpr_dispatch_id 0
		.amdhsa_user_sgpr_kernarg_preload_length 0
		.amdhsa_user_sgpr_kernarg_preload_offset 0
		.amdhsa_user_sgpr_private_segment_size 0
		.amdhsa_wavefront_size32 1
		.amdhsa_uses_dynamic_stack 0
		.amdhsa_enable_private_segment 0
		.amdhsa_system_sgpr_workgroup_id_x 1
		.amdhsa_system_sgpr_workgroup_id_y 0
		.amdhsa_system_sgpr_workgroup_id_z 0
		.amdhsa_system_sgpr_workgroup_info 0
		.amdhsa_system_vgpr_workitem_id 0
		.amdhsa_next_free_vgpr 1
		.amdhsa_next_free_sgpr 1
		.amdhsa_named_barrier_count 0
		.amdhsa_reserve_vcc 0
		.amdhsa_float_round_mode_32 0
		.amdhsa_float_round_mode_16_64 0
		.amdhsa_float_denorm_mode_32 3
		.amdhsa_float_denorm_mode_16_64 3
		.amdhsa_fp16_overflow 0
		.amdhsa_memory_ordered 1
		.amdhsa_forward_progress 1
		.amdhsa_inst_pref_size 0
		.amdhsa_round_robin_scheduling 0
		.amdhsa_exception_fp_ieee_invalid_op 0
		.amdhsa_exception_fp_denorm_src 0
		.amdhsa_exception_fp_ieee_div_zero 0
		.amdhsa_exception_fp_ieee_overflow 0
		.amdhsa_exception_fp_ieee_underflow 0
		.amdhsa_exception_fp_ieee_inexact 0
		.amdhsa_exception_int_div_zero 0
	.end_amdhsa_kernel
	.section	.text._ZN7rocprim17ROCPRIM_400000_NS6detail17trampoline_kernelINS0_14default_configENS1_25partition_config_selectorILNS1_17partition_subalgoE8ElNS0_10empty_typeEbEEZZNS1_14partition_implILS5_8ELb0ES3_jPlPS6_PKS6_NS0_5tupleIJS9_S6_EEENSD_IJSA_SA_EEENS0_18inequality_wrapperIZN2at6native12_GLOBAL__N_124unique_dim_cuda_templateIlEESt5tupleIJNSH_6TensorESM_SM_EERKSM_lbbbEUlllE0_EEPmJS6_EEE10hipError_tPvRmT3_T4_T5_T6_T7_T9_mT8_P12ihipStream_tbDpT10_ENKUlT_T0_E_clISt17integral_constantIbLb0EES1C_EEDaS17_S18_EUlS17_E_NS1_11comp_targetILNS1_3genE9ELNS1_11target_archE1100ELNS1_3gpuE3ELNS1_3repE0EEENS1_30default_config_static_selectorELNS0_4arch9wavefront6targetE0EEEvT1_,"axG",@progbits,_ZN7rocprim17ROCPRIM_400000_NS6detail17trampoline_kernelINS0_14default_configENS1_25partition_config_selectorILNS1_17partition_subalgoE8ElNS0_10empty_typeEbEEZZNS1_14partition_implILS5_8ELb0ES3_jPlPS6_PKS6_NS0_5tupleIJS9_S6_EEENSD_IJSA_SA_EEENS0_18inequality_wrapperIZN2at6native12_GLOBAL__N_124unique_dim_cuda_templateIlEESt5tupleIJNSH_6TensorESM_SM_EERKSM_lbbbEUlllE0_EEPmJS6_EEE10hipError_tPvRmT3_T4_T5_T6_T7_T9_mT8_P12ihipStream_tbDpT10_ENKUlT_T0_E_clISt17integral_constantIbLb0EES1C_EEDaS17_S18_EUlS17_E_NS1_11comp_targetILNS1_3genE9ELNS1_11target_archE1100ELNS1_3gpuE3ELNS1_3repE0EEENS1_30default_config_static_selectorELNS0_4arch9wavefront6targetE0EEEvT1_,comdat
.Lfunc_end569:
	.size	_ZN7rocprim17ROCPRIM_400000_NS6detail17trampoline_kernelINS0_14default_configENS1_25partition_config_selectorILNS1_17partition_subalgoE8ElNS0_10empty_typeEbEEZZNS1_14partition_implILS5_8ELb0ES3_jPlPS6_PKS6_NS0_5tupleIJS9_S6_EEENSD_IJSA_SA_EEENS0_18inequality_wrapperIZN2at6native12_GLOBAL__N_124unique_dim_cuda_templateIlEESt5tupleIJNSH_6TensorESM_SM_EERKSM_lbbbEUlllE0_EEPmJS6_EEE10hipError_tPvRmT3_T4_T5_T6_T7_T9_mT8_P12ihipStream_tbDpT10_ENKUlT_T0_E_clISt17integral_constantIbLb0EES1C_EEDaS17_S18_EUlS17_E_NS1_11comp_targetILNS1_3genE9ELNS1_11target_archE1100ELNS1_3gpuE3ELNS1_3repE0EEENS1_30default_config_static_selectorELNS0_4arch9wavefront6targetE0EEEvT1_, .Lfunc_end569-_ZN7rocprim17ROCPRIM_400000_NS6detail17trampoline_kernelINS0_14default_configENS1_25partition_config_selectorILNS1_17partition_subalgoE8ElNS0_10empty_typeEbEEZZNS1_14partition_implILS5_8ELb0ES3_jPlPS6_PKS6_NS0_5tupleIJS9_S6_EEENSD_IJSA_SA_EEENS0_18inequality_wrapperIZN2at6native12_GLOBAL__N_124unique_dim_cuda_templateIlEESt5tupleIJNSH_6TensorESM_SM_EERKSM_lbbbEUlllE0_EEPmJS6_EEE10hipError_tPvRmT3_T4_T5_T6_T7_T9_mT8_P12ihipStream_tbDpT10_ENKUlT_T0_E_clISt17integral_constantIbLb0EES1C_EEDaS17_S18_EUlS17_E_NS1_11comp_targetILNS1_3genE9ELNS1_11target_archE1100ELNS1_3gpuE3ELNS1_3repE0EEENS1_30default_config_static_selectorELNS0_4arch9wavefront6targetE0EEEvT1_
                                        ; -- End function
	.set _ZN7rocprim17ROCPRIM_400000_NS6detail17trampoline_kernelINS0_14default_configENS1_25partition_config_selectorILNS1_17partition_subalgoE8ElNS0_10empty_typeEbEEZZNS1_14partition_implILS5_8ELb0ES3_jPlPS6_PKS6_NS0_5tupleIJS9_S6_EEENSD_IJSA_SA_EEENS0_18inequality_wrapperIZN2at6native12_GLOBAL__N_124unique_dim_cuda_templateIlEESt5tupleIJNSH_6TensorESM_SM_EERKSM_lbbbEUlllE0_EEPmJS6_EEE10hipError_tPvRmT3_T4_T5_T6_T7_T9_mT8_P12ihipStream_tbDpT10_ENKUlT_T0_E_clISt17integral_constantIbLb0EES1C_EEDaS17_S18_EUlS17_E_NS1_11comp_targetILNS1_3genE9ELNS1_11target_archE1100ELNS1_3gpuE3ELNS1_3repE0EEENS1_30default_config_static_selectorELNS0_4arch9wavefront6targetE0EEEvT1_.num_vgpr, 0
	.set _ZN7rocprim17ROCPRIM_400000_NS6detail17trampoline_kernelINS0_14default_configENS1_25partition_config_selectorILNS1_17partition_subalgoE8ElNS0_10empty_typeEbEEZZNS1_14partition_implILS5_8ELb0ES3_jPlPS6_PKS6_NS0_5tupleIJS9_S6_EEENSD_IJSA_SA_EEENS0_18inequality_wrapperIZN2at6native12_GLOBAL__N_124unique_dim_cuda_templateIlEESt5tupleIJNSH_6TensorESM_SM_EERKSM_lbbbEUlllE0_EEPmJS6_EEE10hipError_tPvRmT3_T4_T5_T6_T7_T9_mT8_P12ihipStream_tbDpT10_ENKUlT_T0_E_clISt17integral_constantIbLb0EES1C_EEDaS17_S18_EUlS17_E_NS1_11comp_targetILNS1_3genE9ELNS1_11target_archE1100ELNS1_3gpuE3ELNS1_3repE0EEENS1_30default_config_static_selectorELNS0_4arch9wavefront6targetE0EEEvT1_.num_agpr, 0
	.set _ZN7rocprim17ROCPRIM_400000_NS6detail17trampoline_kernelINS0_14default_configENS1_25partition_config_selectorILNS1_17partition_subalgoE8ElNS0_10empty_typeEbEEZZNS1_14partition_implILS5_8ELb0ES3_jPlPS6_PKS6_NS0_5tupleIJS9_S6_EEENSD_IJSA_SA_EEENS0_18inequality_wrapperIZN2at6native12_GLOBAL__N_124unique_dim_cuda_templateIlEESt5tupleIJNSH_6TensorESM_SM_EERKSM_lbbbEUlllE0_EEPmJS6_EEE10hipError_tPvRmT3_T4_T5_T6_T7_T9_mT8_P12ihipStream_tbDpT10_ENKUlT_T0_E_clISt17integral_constantIbLb0EES1C_EEDaS17_S18_EUlS17_E_NS1_11comp_targetILNS1_3genE9ELNS1_11target_archE1100ELNS1_3gpuE3ELNS1_3repE0EEENS1_30default_config_static_selectorELNS0_4arch9wavefront6targetE0EEEvT1_.numbered_sgpr, 0
	.set _ZN7rocprim17ROCPRIM_400000_NS6detail17trampoline_kernelINS0_14default_configENS1_25partition_config_selectorILNS1_17partition_subalgoE8ElNS0_10empty_typeEbEEZZNS1_14partition_implILS5_8ELb0ES3_jPlPS6_PKS6_NS0_5tupleIJS9_S6_EEENSD_IJSA_SA_EEENS0_18inequality_wrapperIZN2at6native12_GLOBAL__N_124unique_dim_cuda_templateIlEESt5tupleIJNSH_6TensorESM_SM_EERKSM_lbbbEUlllE0_EEPmJS6_EEE10hipError_tPvRmT3_T4_T5_T6_T7_T9_mT8_P12ihipStream_tbDpT10_ENKUlT_T0_E_clISt17integral_constantIbLb0EES1C_EEDaS17_S18_EUlS17_E_NS1_11comp_targetILNS1_3genE9ELNS1_11target_archE1100ELNS1_3gpuE3ELNS1_3repE0EEENS1_30default_config_static_selectorELNS0_4arch9wavefront6targetE0EEEvT1_.num_named_barrier, 0
	.set _ZN7rocprim17ROCPRIM_400000_NS6detail17trampoline_kernelINS0_14default_configENS1_25partition_config_selectorILNS1_17partition_subalgoE8ElNS0_10empty_typeEbEEZZNS1_14partition_implILS5_8ELb0ES3_jPlPS6_PKS6_NS0_5tupleIJS9_S6_EEENSD_IJSA_SA_EEENS0_18inequality_wrapperIZN2at6native12_GLOBAL__N_124unique_dim_cuda_templateIlEESt5tupleIJNSH_6TensorESM_SM_EERKSM_lbbbEUlllE0_EEPmJS6_EEE10hipError_tPvRmT3_T4_T5_T6_T7_T9_mT8_P12ihipStream_tbDpT10_ENKUlT_T0_E_clISt17integral_constantIbLb0EES1C_EEDaS17_S18_EUlS17_E_NS1_11comp_targetILNS1_3genE9ELNS1_11target_archE1100ELNS1_3gpuE3ELNS1_3repE0EEENS1_30default_config_static_selectorELNS0_4arch9wavefront6targetE0EEEvT1_.private_seg_size, 0
	.set _ZN7rocprim17ROCPRIM_400000_NS6detail17trampoline_kernelINS0_14default_configENS1_25partition_config_selectorILNS1_17partition_subalgoE8ElNS0_10empty_typeEbEEZZNS1_14partition_implILS5_8ELb0ES3_jPlPS6_PKS6_NS0_5tupleIJS9_S6_EEENSD_IJSA_SA_EEENS0_18inequality_wrapperIZN2at6native12_GLOBAL__N_124unique_dim_cuda_templateIlEESt5tupleIJNSH_6TensorESM_SM_EERKSM_lbbbEUlllE0_EEPmJS6_EEE10hipError_tPvRmT3_T4_T5_T6_T7_T9_mT8_P12ihipStream_tbDpT10_ENKUlT_T0_E_clISt17integral_constantIbLb0EES1C_EEDaS17_S18_EUlS17_E_NS1_11comp_targetILNS1_3genE9ELNS1_11target_archE1100ELNS1_3gpuE3ELNS1_3repE0EEENS1_30default_config_static_selectorELNS0_4arch9wavefront6targetE0EEEvT1_.uses_vcc, 0
	.set _ZN7rocprim17ROCPRIM_400000_NS6detail17trampoline_kernelINS0_14default_configENS1_25partition_config_selectorILNS1_17partition_subalgoE8ElNS0_10empty_typeEbEEZZNS1_14partition_implILS5_8ELb0ES3_jPlPS6_PKS6_NS0_5tupleIJS9_S6_EEENSD_IJSA_SA_EEENS0_18inequality_wrapperIZN2at6native12_GLOBAL__N_124unique_dim_cuda_templateIlEESt5tupleIJNSH_6TensorESM_SM_EERKSM_lbbbEUlllE0_EEPmJS6_EEE10hipError_tPvRmT3_T4_T5_T6_T7_T9_mT8_P12ihipStream_tbDpT10_ENKUlT_T0_E_clISt17integral_constantIbLb0EES1C_EEDaS17_S18_EUlS17_E_NS1_11comp_targetILNS1_3genE9ELNS1_11target_archE1100ELNS1_3gpuE3ELNS1_3repE0EEENS1_30default_config_static_selectorELNS0_4arch9wavefront6targetE0EEEvT1_.uses_flat_scratch, 0
	.set _ZN7rocprim17ROCPRIM_400000_NS6detail17trampoline_kernelINS0_14default_configENS1_25partition_config_selectorILNS1_17partition_subalgoE8ElNS0_10empty_typeEbEEZZNS1_14partition_implILS5_8ELb0ES3_jPlPS6_PKS6_NS0_5tupleIJS9_S6_EEENSD_IJSA_SA_EEENS0_18inequality_wrapperIZN2at6native12_GLOBAL__N_124unique_dim_cuda_templateIlEESt5tupleIJNSH_6TensorESM_SM_EERKSM_lbbbEUlllE0_EEPmJS6_EEE10hipError_tPvRmT3_T4_T5_T6_T7_T9_mT8_P12ihipStream_tbDpT10_ENKUlT_T0_E_clISt17integral_constantIbLb0EES1C_EEDaS17_S18_EUlS17_E_NS1_11comp_targetILNS1_3genE9ELNS1_11target_archE1100ELNS1_3gpuE3ELNS1_3repE0EEENS1_30default_config_static_selectorELNS0_4arch9wavefront6targetE0EEEvT1_.has_dyn_sized_stack, 0
	.set _ZN7rocprim17ROCPRIM_400000_NS6detail17trampoline_kernelINS0_14default_configENS1_25partition_config_selectorILNS1_17partition_subalgoE8ElNS0_10empty_typeEbEEZZNS1_14partition_implILS5_8ELb0ES3_jPlPS6_PKS6_NS0_5tupleIJS9_S6_EEENSD_IJSA_SA_EEENS0_18inequality_wrapperIZN2at6native12_GLOBAL__N_124unique_dim_cuda_templateIlEESt5tupleIJNSH_6TensorESM_SM_EERKSM_lbbbEUlllE0_EEPmJS6_EEE10hipError_tPvRmT3_T4_T5_T6_T7_T9_mT8_P12ihipStream_tbDpT10_ENKUlT_T0_E_clISt17integral_constantIbLb0EES1C_EEDaS17_S18_EUlS17_E_NS1_11comp_targetILNS1_3genE9ELNS1_11target_archE1100ELNS1_3gpuE3ELNS1_3repE0EEENS1_30default_config_static_selectorELNS0_4arch9wavefront6targetE0EEEvT1_.has_recursion, 0
	.set _ZN7rocprim17ROCPRIM_400000_NS6detail17trampoline_kernelINS0_14default_configENS1_25partition_config_selectorILNS1_17partition_subalgoE8ElNS0_10empty_typeEbEEZZNS1_14partition_implILS5_8ELb0ES3_jPlPS6_PKS6_NS0_5tupleIJS9_S6_EEENSD_IJSA_SA_EEENS0_18inequality_wrapperIZN2at6native12_GLOBAL__N_124unique_dim_cuda_templateIlEESt5tupleIJNSH_6TensorESM_SM_EERKSM_lbbbEUlllE0_EEPmJS6_EEE10hipError_tPvRmT3_T4_T5_T6_T7_T9_mT8_P12ihipStream_tbDpT10_ENKUlT_T0_E_clISt17integral_constantIbLb0EES1C_EEDaS17_S18_EUlS17_E_NS1_11comp_targetILNS1_3genE9ELNS1_11target_archE1100ELNS1_3gpuE3ELNS1_3repE0EEENS1_30default_config_static_selectorELNS0_4arch9wavefront6targetE0EEEvT1_.has_indirect_call, 0
	.section	.AMDGPU.csdata,"",@progbits
; Kernel info:
; codeLenInByte = 0
; TotalNumSgprs: 0
; NumVgprs: 0
; ScratchSize: 0
; MemoryBound: 0
; FloatMode: 240
; IeeeMode: 1
; LDSByteSize: 0 bytes/workgroup (compile time only)
; SGPRBlocks: 0
; VGPRBlocks: 0
; NumSGPRsForWavesPerEU: 1
; NumVGPRsForWavesPerEU: 1
; NamedBarCnt: 0
; Occupancy: 16
; WaveLimiterHint : 0
; COMPUTE_PGM_RSRC2:SCRATCH_EN: 0
; COMPUTE_PGM_RSRC2:USER_SGPR: 2
; COMPUTE_PGM_RSRC2:TRAP_HANDLER: 0
; COMPUTE_PGM_RSRC2:TGID_X_EN: 1
; COMPUTE_PGM_RSRC2:TGID_Y_EN: 0
; COMPUTE_PGM_RSRC2:TGID_Z_EN: 0
; COMPUTE_PGM_RSRC2:TIDIG_COMP_CNT: 0
	.section	.text._ZN7rocprim17ROCPRIM_400000_NS6detail17trampoline_kernelINS0_14default_configENS1_25partition_config_selectorILNS1_17partition_subalgoE8ElNS0_10empty_typeEbEEZZNS1_14partition_implILS5_8ELb0ES3_jPlPS6_PKS6_NS0_5tupleIJS9_S6_EEENSD_IJSA_SA_EEENS0_18inequality_wrapperIZN2at6native12_GLOBAL__N_124unique_dim_cuda_templateIlEESt5tupleIJNSH_6TensorESM_SM_EERKSM_lbbbEUlllE0_EEPmJS6_EEE10hipError_tPvRmT3_T4_T5_T6_T7_T9_mT8_P12ihipStream_tbDpT10_ENKUlT_T0_E_clISt17integral_constantIbLb0EES1C_EEDaS17_S18_EUlS17_E_NS1_11comp_targetILNS1_3genE8ELNS1_11target_archE1030ELNS1_3gpuE2ELNS1_3repE0EEENS1_30default_config_static_selectorELNS0_4arch9wavefront6targetE0EEEvT1_,"axG",@progbits,_ZN7rocprim17ROCPRIM_400000_NS6detail17trampoline_kernelINS0_14default_configENS1_25partition_config_selectorILNS1_17partition_subalgoE8ElNS0_10empty_typeEbEEZZNS1_14partition_implILS5_8ELb0ES3_jPlPS6_PKS6_NS0_5tupleIJS9_S6_EEENSD_IJSA_SA_EEENS0_18inequality_wrapperIZN2at6native12_GLOBAL__N_124unique_dim_cuda_templateIlEESt5tupleIJNSH_6TensorESM_SM_EERKSM_lbbbEUlllE0_EEPmJS6_EEE10hipError_tPvRmT3_T4_T5_T6_T7_T9_mT8_P12ihipStream_tbDpT10_ENKUlT_T0_E_clISt17integral_constantIbLb0EES1C_EEDaS17_S18_EUlS17_E_NS1_11comp_targetILNS1_3genE8ELNS1_11target_archE1030ELNS1_3gpuE2ELNS1_3repE0EEENS1_30default_config_static_selectorELNS0_4arch9wavefront6targetE0EEEvT1_,comdat
	.globl	_ZN7rocprim17ROCPRIM_400000_NS6detail17trampoline_kernelINS0_14default_configENS1_25partition_config_selectorILNS1_17partition_subalgoE8ElNS0_10empty_typeEbEEZZNS1_14partition_implILS5_8ELb0ES3_jPlPS6_PKS6_NS0_5tupleIJS9_S6_EEENSD_IJSA_SA_EEENS0_18inequality_wrapperIZN2at6native12_GLOBAL__N_124unique_dim_cuda_templateIlEESt5tupleIJNSH_6TensorESM_SM_EERKSM_lbbbEUlllE0_EEPmJS6_EEE10hipError_tPvRmT3_T4_T5_T6_T7_T9_mT8_P12ihipStream_tbDpT10_ENKUlT_T0_E_clISt17integral_constantIbLb0EES1C_EEDaS17_S18_EUlS17_E_NS1_11comp_targetILNS1_3genE8ELNS1_11target_archE1030ELNS1_3gpuE2ELNS1_3repE0EEENS1_30default_config_static_selectorELNS0_4arch9wavefront6targetE0EEEvT1_ ; -- Begin function _ZN7rocprim17ROCPRIM_400000_NS6detail17trampoline_kernelINS0_14default_configENS1_25partition_config_selectorILNS1_17partition_subalgoE8ElNS0_10empty_typeEbEEZZNS1_14partition_implILS5_8ELb0ES3_jPlPS6_PKS6_NS0_5tupleIJS9_S6_EEENSD_IJSA_SA_EEENS0_18inequality_wrapperIZN2at6native12_GLOBAL__N_124unique_dim_cuda_templateIlEESt5tupleIJNSH_6TensorESM_SM_EERKSM_lbbbEUlllE0_EEPmJS6_EEE10hipError_tPvRmT3_T4_T5_T6_T7_T9_mT8_P12ihipStream_tbDpT10_ENKUlT_T0_E_clISt17integral_constantIbLb0EES1C_EEDaS17_S18_EUlS17_E_NS1_11comp_targetILNS1_3genE8ELNS1_11target_archE1030ELNS1_3gpuE2ELNS1_3repE0EEENS1_30default_config_static_selectorELNS0_4arch9wavefront6targetE0EEEvT1_
	.p2align	8
	.type	_ZN7rocprim17ROCPRIM_400000_NS6detail17trampoline_kernelINS0_14default_configENS1_25partition_config_selectorILNS1_17partition_subalgoE8ElNS0_10empty_typeEbEEZZNS1_14partition_implILS5_8ELb0ES3_jPlPS6_PKS6_NS0_5tupleIJS9_S6_EEENSD_IJSA_SA_EEENS0_18inequality_wrapperIZN2at6native12_GLOBAL__N_124unique_dim_cuda_templateIlEESt5tupleIJNSH_6TensorESM_SM_EERKSM_lbbbEUlllE0_EEPmJS6_EEE10hipError_tPvRmT3_T4_T5_T6_T7_T9_mT8_P12ihipStream_tbDpT10_ENKUlT_T0_E_clISt17integral_constantIbLb0EES1C_EEDaS17_S18_EUlS17_E_NS1_11comp_targetILNS1_3genE8ELNS1_11target_archE1030ELNS1_3gpuE2ELNS1_3repE0EEENS1_30default_config_static_selectorELNS0_4arch9wavefront6targetE0EEEvT1_,@function
_ZN7rocprim17ROCPRIM_400000_NS6detail17trampoline_kernelINS0_14default_configENS1_25partition_config_selectorILNS1_17partition_subalgoE8ElNS0_10empty_typeEbEEZZNS1_14partition_implILS5_8ELb0ES3_jPlPS6_PKS6_NS0_5tupleIJS9_S6_EEENSD_IJSA_SA_EEENS0_18inequality_wrapperIZN2at6native12_GLOBAL__N_124unique_dim_cuda_templateIlEESt5tupleIJNSH_6TensorESM_SM_EERKSM_lbbbEUlllE0_EEPmJS6_EEE10hipError_tPvRmT3_T4_T5_T6_T7_T9_mT8_P12ihipStream_tbDpT10_ENKUlT_T0_E_clISt17integral_constantIbLb0EES1C_EEDaS17_S18_EUlS17_E_NS1_11comp_targetILNS1_3genE8ELNS1_11target_archE1030ELNS1_3gpuE2ELNS1_3repE0EEENS1_30default_config_static_selectorELNS0_4arch9wavefront6targetE0EEEvT1_: ; @_ZN7rocprim17ROCPRIM_400000_NS6detail17trampoline_kernelINS0_14default_configENS1_25partition_config_selectorILNS1_17partition_subalgoE8ElNS0_10empty_typeEbEEZZNS1_14partition_implILS5_8ELb0ES3_jPlPS6_PKS6_NS0_5tupleIJS9_S6_EEENSD_IJSA_SA_EEENS0_18inequality_wrapperIZN2at6native12_GLOBAL__N_124unique_dim_cuda_templateIlEESt5tupleIJNSH_6TensorESM_SM_EERKSM_lbbbEUlllE0_EEPmJS6_EEE10hipError_tPvRmT3_T4_T5_T6_T7_T9_mT8_P12ihipStream_tbDpT10_ENKUlT_T0_E_clISt17integral_constantIbLb0EES1C_EEDaS17_S18_EUlS17_E_NS1_11comp_targetILNS1_3genE8ELNS1_11target_archE1030ELNS1_3gpuE2ELNS1_3repE0EEENS1_30default_config_static_selectorELNS0_4arch9wavefront6targetE0EEEvT1_
; %bb.0:
	.section	.rodata,"a",@progbits
	.p2align	6, 0x0
	.amdhsa_kernel _ZN7rocprim17ROCPRIM_400000_NS6detail17trampoline_kernelINS0_14default_configENS1_25partition_config_selectorILNS1_17partition_subalgoE8ElNS0_10empty_typeEbEEZZNS1_14partition_implILS5_8ELb0ES3_jPlPS6_PKS6_NS0_5tupleIJS9_S6_EEENSD_IJSA_SA_EEENS0_18inequality_wrapperIZN2at6native12_GLOBAL__N_124unique_dim_cuda_templateIlEESt5tupleIJNSH_6TensorESM_SM_EERKSM_lbbbEUlllE0_EEPmJS6_EEE10hipError_tPvRmT3_T4_T5_T6_T7_T9_mT8_P12ihipStream_tbDpT10_ENKUlT_T0_E_clISt17integral_constantIbLb0EES1C_EEDaS17_S18_EUlS17_E_NS1_11comp_targetILNS1_3genE8ELNS1_11target_archE1030ELNS1_3gpuE2ELNS1_3repE0EEENS1_30default_config_static_selectorELNS0_4arch9wavefront6targetE0EEEvT1_
		.amdhsa_group_segment_fixed_size 0
		.amdhsa_private_segment_fixed_size 0
		.amdhsa_kernarg_size 120
		.amdhsa_user_sgpr_count 2
		.amdhsa_user_sgpr_dispatch_ptr 0
		.amdhsa_user_sgpr_queue_ptr 0
		.amdhsa_user_sgpr_kernarg_segment_ptr 1
		.amdhsa_user_sgpr_dispatch_id 0
		.amdhsa_user_sgpr_kernarg_preload_length 0
		.amdhsa_user_sgpr_kernarg_preload_offset 0
		.amdhsa_user_sgpr_private_segment_size 0
		.amdhsa_wavefront_size32 1
		.amdhsa_uses_dynamic_stack 0
		.amdhsa_enable_private_segment 0
		.amdhsa_system_sgpr_workgroup_id_x 1
		.amdhsa_system_sgpr_workgroup_id_y 0
		.amdhsa_system_sgpr_workgroup_id_z 0
		.amdhsa_system_sgpr_workgroup_info 0
		.amdhsa_system_vgpr_workitem_id 0
		.amdhsa_next_free_vgpr 1
		.amdhsa_next_free_sgpr 1
		.amdhsa_named_barrier_count 0
		.amdhsa_reserve_vcc 0
		.amdhsa_float_round_mode_32 0
		.amdhsa_float_round_mode_16_64 0
		.amdhsa_float_denorm_mode_32 3
		.amdhsa_float_denorm_mode_16_64 3
		.amdhsa_fp16_overflow 0
		.amdhsa_memory_ordered 1
		.amdhsa_forward_progress 1
		.amdhsa_inst_pref_size 0
		.amdhsa_round_robin_scheduling 0
		.amdhsa_exception_fp_ieee_invalid_op 0
		.amdhsa_exception_fp_denorm_src 0
		.amdhsa_exception_fp_ieee_div_zero 0
		.amdhsa_exception_fp_ieee_overflow 0
		.amdhsa_exception_fp_ieee_underflow 0
		.amdhsa_exception_fp_ieee_inexact 0
		.amdhsa_exception_int_div_zero 0
	.end_amdhsa_kernel
	.section	.text._ZN7rocprim17ROCPRIM_400000_NS6detail17trampoline_kernelINS0_14default_configENS1_25partition_config_selectorILNS1_17partition_subalgoE8ElNS0_10empty_typeEbEEZZNS1_14partition_implILS5_8ELb0ES3_jPlPS6_PKS6_NS0_5tupleIJS9_S6_EEENSD_IJSA_SA_EEENS0_18inequality_wrapperIZN2at6native12_GLOBAL__N_124unique_dim_cuda_templateIlEESt5tupleIJNSH_6TensorESM_SM_EERKSM_lbbbEUlllE0_EEPmJS6_EEE10hipError_tPvRmT3_T4_T5_T6_T7_T9_mT8_P12ihipStream_tbDpT10_ENKUlT_T0_E_clISt17integral_constantIbLb0EES1C_EEDaS17_S18_EUlS17_E_NS1_11comp_targetILNS1_3genE8ELNS1_11target_archE1030ELNS1_3gpuE2ELNS1_3repE0EEENS1_30default_config_static_selectorELNS0_4arch9wavefront6targetE0EEEvT1_,"axG",@progbits,_ZN7rocprim17ROCPRIM_400000_NS6detail17trampoline_kernelINS0_14default_configENS1_25partition_config_selectorILNS1_17partition_subalgoE8ElNS0_10empty_typeEbEEZZNS1_14partition_implILS5_8ELb0ES3_jPlPS6_PKS6_NS0_5tupleIJS9_S6_EEENSD_IJSA_SA_EEENS0_18inequality_wrapperIZN2at6native12_GLOBAL__N_124unique_dim_cuda_templateIlEESt5tupleIJNSH_6TensorESM_SM_EERKSM_lbbbEUlllE0_EEPmJS6_EEE10hipError_tPvRmT3_T4_T5_T6_T7_T9_mT8_P12ihipStream_tbDpT10_ENKUlT_T0_E_clISt17integral_constantIbLb0EES1C_EEDaS17_S18_EUlS17_E_NS1_11comp_targetILNS1_3genE8ELNS1_11target_archE1030ELNS1_3gpuE2ELNS1_3repE0EEENS1_30default_config_static_selectorELNS0_4arch9wavefront6targetE0EEEvT1_,comdat
.Lfunc_end570:
	.size	_ZN7rocprim17ROCPRIM_400000_NS6detail17trampoline_kernelINS0_14default_configENS1_25partition_config_selectorILNS1_17partition_subalgoE8ElNS0_10empty_typeEbEEZZNS1_14partition_implILS5_8ELb0ES3_jPlPS6_PKS6_NS0_5tupleIJS9_S6_EEENSD_IJSA_SA_EEENS0_18inequality_wrapperIZN2at6native12_GLOBAL__N_124unique_dim_cuda_templateIlEESt5tupleIJNSH_6TensorESM_SM_EERKSM_lbbbEUlllE0_EEPmJS6_EEE10hipError_tPvRmT3_T4_T5_T6_T7_T9_mT8_P12ihipStream_tbDpT10_ENKUlT_T0_E_clISt17integral_constantIbLb0EES1C_EEDaS17_S18_EUlS17_E_NS1_11comp_targetILNS1_3genE8ELNS1_11target_archE1030ELNS1_3gpuE2ELNS1_3repE0EEENS1_30default_config_static_selectorELNS0_4arch9wavefront6targetE0EEEvT1_, .Lfunc_end570-_ZN7rocprim17ROCPRIM_400000_NS6detail17trampoline_kernelINS0_14default_configENS1_25partition_config_selectorILNS1_17partition_subalgoE8ElNS0_10empty_typeEbEEZZNS1_14partition_implILS5_8ELb0ES3_jPlPS6_PKS6_NS0_5tupleIJS9_S6_EEENSD_IJSA_SA_EEENS0_18inequality_wrapperIZN2at6native12_GLOBAL__N_124unique_dim_cuda_templateIlEESt5tupleIJNSH_6TensorESM_SM_EERKSM_lbbbEUlllE0_EEPmJS6_EEE10hipError_tPvRmT3_T4_T5_T6_T7_T9_mT8_P12ihipStream_tbDpT10_ENKUlT_T0_E_clISt17integral_constantIbLb0EES1C_EEDaS17_S18_EUlS17_E_NS1_11comp_targetILNS1_3genE8ELNS1_11target_archE1030ELNS1_3gpuE2ELNS1_3repE0EEENS1_30default_config_static_selectorELNS0_4arch9wavefront6targetE0EEEvT1_
                                        ; -- End function
	.set _ZN7rocprim17ROCPRIM_400000_NS6detail17trampoline_kernelINS0_14default_configENS1_25partition_config_selectorILNS1_17partition_subalgoE8ElNS0_10empty_typeEbEEZZNS1_14partition_implILS5_8ELb0ES3_jPlPS6_PKS6_NS0_5tupleIJS9_S6_EEENSD_IJSA_SA_EEENS0_18inequality_wrapperIZN2at6native12_GLOBAL__N_124unique_dim_cuda_templateIlEESt5tupleIJNSH_6TensorESM_SM_EERKSM_lbbbEUlllE0_EEPmJS6_EEE10hipError_tPvRmT3_T4_T5_T6_T7_T9_mT8_P12ihipStream_tbDpT10_ENKUlT_T0_E_clISt17integral_constantIbLb0EES1C_EEDaS17_S18_EUlS17_E_NS1_11comp_targetILNS1_3genE8ELNS1_11target_archE1030ELNS1_3gpuE2ELNS1_3repE0EEENS1_30default_config_static_selectorELNS0_4arch9wavefront6targetE0EEEvT1_.num_vgpr, 0
	.set _ZN7rocprim17ROCPRIM_400000_NS6detail17trampoline_kernelINS0_14default_configENS1_25partition_config_selectorILNS1_17partition_subalgoE8ElNS0_10empty_typeEbEEZZNS1_14partition_implILS5_8ELb0ES3_jPlPS6_PKS6_NS0_5tupleIJS9_S6_EEENSD_IJSA_SA_EEENS0_18inequality_wrapperIZN2at6native12_GLOBAL__N_124unique_dim_cuda_templateIlEESt5tupleIJNSH_6TensorESM_SM_EERKSM_lbbbEUlllE0_EEPmJS6_EEE10hipError_tPvRmT3_T4_T5_T6_T7_T9_mT8_P12ihipStream_tbDpT10_ENKUlT_T0_E_clISt17integral_constantIbLb0EES1C_EEDaS17_S18_EUlS17_E_NS1_11comp_targetILNS1_3genE8ELNS1_11target_archE1030ELNS1_3gpuE2ELNS1_3repE0EEENS1_30default_config_static_selectorELNS0_4arch9wavefront6targetE0EEEvT1_.num_agpr, 0
	.set _ZN7rocprim17ROCPRIM_400000_NS6detail17trampoline_kernelINS0_14default_configENS1_25partition_config_selectorILNS1_17partition_subalgoE8ElNS0_10empty_typeEbEEZZNS1_14partition_implILS5_8ELb0ES3_jPlPS6_PKS6_NS0_5tupleIJS9_S6_EEENSD_IJSA_SA_EEENS0_18inequality_wrapperIZN2at6native12_GLOBAL__N_124unique_dim_cuda_templateIlEESt5tupleIJNSH_6TensorESM_SM_EERKSM_lbbbEUlllE0_EEPmJS6_EEE10hipError_tPvRmT3_T4_T5_T6_T7_T9_mT8_P12ihipStream_tbDpT10_ENKUlT_T0_E_clISt17integral_constantIbLb0EES1C_EEDaS17_S18_EUlS17_E_NS1_11comp_targetILNS1_3genE8ELNS1_11target_archE1030ELNS1_3gpuE2ELNS1_3repE0EEENS1_30default_config_static_selectorELNS0_4arch9wavefront6targetE0EEEvT1_.numbered_sgpr, 0
	.set _ZN7rocprim17ROCPRIM_400000_NS6detail17trampoline_kernelINS0_14default_configENS1_25partition_config_selectorILNS1_17partition_subalgoE8ElNS0_10empty_typeEbEEZZNS1_14partition_implILS5_8ELb0ES3_jPlPS6_PKS6_NS0_5tupleIJS9_S6_EEENSD_IJSA_SA_EEENS0_18inequality_wrapperIZN2at6native12_GLOBAL__N_124unique_dim_cuda_templateIlEESt5tupleIJNSH_6TensorESM_SM_EERKSM_lbbbEUlllE0_EEPmJS6_EEE10hipError_tPvRmT3_T4_T5_T6_T7_T9_mT8_P12ihipStream_tbDpT10_ENKUlT_T0_E_clISt17integral_constantIbLb0EES1C_EEDaS17_S18_EUlS17_E_NS1_11comp_targetILNS1_3genE8ELNS1_11target_archE1030ELNS1_3gpuE2ELNS1_3repE0EEENS1_30default_config_static_selectorELNS0_4arch9wavefront6targetE0EEEvT1_.num_named_barrier, 0
	.set _ZN7rocprim17ROCPRIM_400000_NS6detail17trampoline_kernelINS0_14default_configENS1_25partition_config_selectorILNS1_17partition_subalgoE8ElNS0_10empty_typeEbEEZZNS1_14partition_implILS5_8ELb0ES3_jPlPS6_PKS6_NS0_5tupleIJS9_S6_EEENSD_IJSA_SA_EEENS0_18inequality_wrapperIZN2at6native12_GLOBAL__N_124unique_dim_cuda_templateIlEESt5tupleIJNSH_6TensorESM_SM_EERKSM_lbbbEUlllE0_EEPmJS6_EEE10hipError_tPvRmT3_T4_T5_T6_T7_T9_mT8_P12ihipStream_tbDpT10_ENKUlT_T0_E_clISt17integral_constantIbLb0EES1C_EEDaS17_S18_EUlS17_E_NS1_11comp_targetILNS1_3genE8ELNS1_11target_archE1030ELNS1_3gpuE2ELNS1_3repE0EEENS1_30default_config_static_selectorELNS0_4arch9wavefront6targetE0EEEvT1_.private_seg_size, 0
	.set _ZN7rocprim17ROCPRIM_400000_NS6detail17trampoline_kernelINS0_14default_configENS1_25partition_config_selectorILNS1_17partition_subalgoE8ElNS0_10empty_typeEbEEZZNS1_14partition_implILS5_8ELb0ES3_jPlPS6_PKS6_NS0_5tupleIJS9_S6_EEENSD_IJSA_SA_EEENS0_18inequality_wrapperIZN2at6native12_GLOBAL__N_124unique_dim_cuda_templateIlEESt5tupleIJNSH_6TensorESM_SM_EERKSM_lbbbEUlllE0_EEPmJS6_EEE10hipError_tPvRmT3_T4_T5_T6_T7_T9_mT8_P12ihipStream_tbDpT10_ENKUlT_T0_E_clISt17integral_constantIbLb0EES1C_EEDaS17_S18_EUlS17_E_NS1_11comp_targetILNS1_3genE8ELNS1_11target_archE1030ELNS1_3gpuE2ELNS1_3repE0EEENS1_30default_config_static_selectorELNS0_4arch9wavefront6targetE0EEEvT1_.uses_vcc, 0
	.set _ZN7rocprim17ROCPRIM_400000_NS6detail17trampoline_kernelINS0_14default_configENS1_25partition_config_selectorILNS1_17partition_subalgoE8ElNS0_10empty_typeEbEEZZNS1_14partition_implILS5_8ELb0ES3_jPlPS6_PKS6_NS0_5tupleIJS9_S6_EEENSD_IJSA_SA_EEENS0_18inequality_wrapperIZN2at6native12_GLOBAL__N_124unique_dim_cuda_templateIlEESt5tupleIJNSH_6TensorESM_SM_EERKSM_lbbbEUlllE0_EEPmJS6_EEE10hipError_tPvRmT3_T4_T5_T6_T7_T9_mT8_P12ihipStream_tbDpT10_ENKUlT_T0_E_clISt17integral_constantIbLb0EES1C_EEDaS17_S18_EUlS17_E_NS1_11comp_targetILNS1_3genE8ELNS1_11target_archE1030ELNS1_3gpuE2ELNS1_3repE0EEENS1_30default_config_static_selectorELNS0_4arch9wavefront6targetE0EEEvT1_.uses_flat_scratch, 0
	.set _ZN7rocprim17ROCPRIM_400000_NS6detail17trampoline_kernelINS0_14default_configENS1_25partition_config_selectorILNS1_17partition_subalgoE8ElNS0_10empty_typeEbEEZZNS1_14partition_implILS5_8ELb0ES3_jPlPS6_PKS6_NS0_5tupleIJS9_S6_EEENSD_IJSA_SA_EEENS0_18inequality_wrapperIZN2at6native12_GLOBAL__N_124unique_dim_cuda_templateIlEESt5tupleIJNSH_6TensorESM_SM_EERKSM_lbbbEUlllE0_EEPmJS6_EEE10hipError_tPvRmT3_T4_T5_T6_T7_T9_mT8_P12ihipStream_tbDpT10_ENKUlT_T0_E_clISt17integral_constantIbLb0EES1C_EEDaS17_S18_EUlS17_E_NS1_11comp_targetILNS1_3genE8ELNS1_11target_archE1030ELNS1_3gpuE2ELNS1_3repE0EEENS1_30default_config_static_selectorELNS0_4arch9wavefront6targetE0EEEvT1_.has_dyn_sized_stack, 0
	.set _ZN7rocprim17ROCPRIM_400000_NS6detail17trampoline_kernelINS0_14default_configENS1_25partition_config_selectorILNS1_17partition_subalgoE8ElNS0_10empty_typeEbEEZZNS1_14partition_implILS5_8ELb0ES3_jPlPS6_PKS6_NS0_5tupleIJS9_S6_EEENSD_IJSA_SA_EEENS0_18inequality_wrapperIZN2at6native12_GLOBAL__N_124unique_dim_cuda_templateIlEESt5tupleIJNSH_6TensorESM_SM_EERKSM_lbbbEUlllE0_EEPmJS6_EEE10hipError_tPvRmT3_T4_T5_T6_T7_T9_mT8_P12ihipStream_tbDpT10_ENKUlT_T0_E_clISt17integral_constantIbLb0EES1C_EEDaS17_S18_EUlS17_E_NS1_11comp_targetILNS1_3genE8ELNS1_11target_archE1030ELNS1_3gpuE2ELNS1_3repE0EEENS1_30default_config_static_selectorELNS0_4arch9wavefront6targetE0EEEvT1_.has_recursion, 0
	.set _ZN7rocprim17ROCPRIM_400000_NS6detail17trampoline_kernelINS0_14default_configENS1_25partition_config_selectorILNS1_17partition_subalgoE8ElNS0_10empty_typeEbEEZZNS1_14partition_implILS5_8ELb0ES3_jPlPS6_PKS6_NS0_5tupleIJS9_S6_EEENSD_IJSA_SA_EEENS0_18inequality_wrapperIZN2at6native12_GLOBAL__N_124unique_dim_cuda_templateIlEESt5tupleIJNSH_6TensorESM_SM_EERKSM_lbbbEUlllE0_EEPmJS6_EEE10hipError_tPvRmT3_T4_T5_T6_T7_T9_mT8_P12ihipStream_tbDpT10_ENKUlT_T0_E_clISt17integral_constantIbLb0EES1C_EEDaS17_S18_EUlS17_E_NS1_11comp_targetILNS1_3genE8ELNS1_11target_archE1030ELNS1_3gpuE2ELNS1_3repE0EEENS1_30default_config_static_selectorELNS0_4arch9wavefront6targetE0EEEvT1_.has_indirect_call, 0
	.section	.AMDGPU.csdata,"",@progbits
; Kernel info:
; codeLenInByte = 0
; TotalNumSgprs: 0
; NumVgprs: 0
; ScratchSize: 0
; MemoryBound: 0
; FloatMode: 240
; IeeeMode: 1
; LDSByteSize: 0 bytes/workgroup (compile time only)
; SGPRBlocks: 0
; VGPRBlocks: 0
; NumSGPRsForWavesPerEU: 1
; NumVGPRsForWavesPerEU: 1
; NamedBarCnt: 0
; Occupancy: 16
; WaveLimiterHint : 0
; COMPUTE_PGM_RSRC2:SCRATCH_EN: 0
; COMPUTE_PGM_RSRC2:USER_SGPR: 2
; COMPUTE_PGM_RSRC2:TRAP_HANDLER: 0
; COMPUTE_PGM_RSRC2:TGID_X_EN: 1
; COMPUTE_PGM_RSRC2:TGID_Y_EN: 0
; COMPUTE_PGM_RSRC2:TGID_Z_EN: 0
; COMPUTE_PGM_RSRC2:TIDIG_COMP_CNT: 0
	.section	.text._ZN7rocprim17ROCPRIM_400000_NS6detail17trampoline_kernelINS0_14default_configENS1_25partition_config_selectorILNS1_17partition_subalgoE8ElNS0_10empty_typeEbEEZZNS1_14partition_implILS5_8ELb0ES3_jPlPS6_PKS6_NS0_5tupleIJS9_S6_EEENSD_IJSA_SA_EEENS0_18inequality_wrapperIZN2at6native12_GLOBAL__N_124unique_dim_cuda_templateIlEESt5tupleIJNSH_6TensorESM_SM_EERKSM_lbbbEUlllE0_EEPmJS6_EEE10hipError_tPvRmT3_T4_T5_T6_T7_T9_mT8_P12ihipStream_tbDpT10_ENKUlT_T0_E_clISt17integral_constantIbLb1EES1C_EEDaS17_S18_EUlS17_E_NS1_11comp_targetILNS1_3genE0ELNS1_11target_archE4294967295ELNS1_3gpuE0ELNS1_3repE0EEENS1_30default_config_static_selectorELNS0_4arch9wavefront6targetE0EEEvT1_,"axG",@progbits,_ZN7rocprim17ROCPRIM_400000_NS6detail17trampoline_kernelINS0_14default_configENS1_25partition_config_selectorILNS1_17partition_subalgoE8ElNS0_10empty_typeEbEEZZNS1_14partition_implILS5_8ELb0ES3_jPlPS6_PKS6_NS0_5tupleIJS9_S6_EEENSD_IJSA_SA_EEENS0_18inequality_wrapperIZN2at6native12_GLOBAL__N_124unique_dim_cuda_templateIlEESt5tupleIJNSH_6TensorESM_SM_EERKSM_lbbbEUlllE0_EEPmJS6_EEE10hipError_tPvRmT3_T4_T5_T6_T7_T9_mT8_P12ihipStream_tbDpT10_ENKUlT_T0_E_clISt17integral_constantIbLb1EES1C_EEDaS17_S18_EUlS17_E_NS1_11comp_targetILNS1_3genE0ELNS1_11target_archE4294967295ELNS1_3gpuE0ELNS1_3repE0EEENS1_30default_config_static_selectorELNS0_4arch9wavefront6targetE0EEEvT1_,comdat
	.globl	_ZN7rocprim17ROCPRIM_400000_NS6detail17trampoline_kernelINS0_14default_configENS1_25partition_config_selectorILNS1_17partition_subalgoE8ElNS0_10empty_typeEbEEZZNS1_14partition_implILS5_8ELb0ES3_jPlPS6_PKS6_NS0_5tupleIJS9_S6_EEENSD_IJSA_SA_EEENS0_18inequality_wrapperIZN2at6native12_GLOBAL__N_124unique_dim_cuda_templateIlEESt5tupleIJNSH_6TensorESM_SM_EERKSM_lbbbEUlllE0_EEPmJS6_EEE10hipError_tPvRmT3_T4_T5_T6_T7_T9_mT8_P12ihipStream_tbDpT10_ENKUlT_T0_E_clISt17integral_constantIbLb1EES1C_EEDaS17_S18_EUlS17_E_NS1_11comp_targetILNS1_3genE0ELNS1_11target_archE4294967295ELNS1_3gpuE0ELNS1_3repE0EEENS1_30default_config_static_selectorELNS0_4arch9wavefront6targetE0EEEvT1_ ; -- Begin function _ZN7rocprim17ROCPRIM_400000_NS6detail17trampoline_kernelINS0_14default_configENS1_25partition_config_selectorILNS1_17partition_subalgoE8ElNS0_10empty_typeEbEEZZNS1_14partition_implILS5_8ELb0ES3_jPlPS6_PKS6_NS0_5tupleIJS9_S6_EEENSD_IJSA_SA_EEENS0_18inequality_wrapperIZN2at6native12_GLOBAL__N_124unique_dim_cuda_templateIlEESt5tupleIJNSH_6TensorESM_SM_EERKSM_lbbbEUlllE0_EEPmJS6_EEE10hipError_tPvRmT3_T4_T5_T6_T7_T9_mT8_P12ihipStream_tbDpT10_ENKUlT_T0_E_clISt17integral_constantIbLb1EES1C_EEDaS17_S18_EUlS17_E_NS1_11comp_targetILNS1_3genE0ELNS1_11target_archE4294967295ELNS1_3gpuE0ELNS1_3repE0EEENS1_30default_config_static_selectorELNS0_4arch9wavefront6targetE0EEEvT1_
	.p2align	8
	.type	_ZN7rocprim17ROCPRIM_400000_NS6detail17trampoline_kernelINS0_14default_configENS1_25partition_config_selectorILNS1_17partition_subalgoE8ElNS0_10empty_typeEbEEZZNS1_14partition_implILS5_8ELb0ES3_jPlPS6_PKS6_NS0_5tupleIJS9_S6_EEENSD_IJSA_SA_EEENS0_18inequality_wrapperIZN2at6native12_GLOBAL__N_124unique_dim_cuda_templateIlEESt5tupleIJNSH_6TensorESM_SM_EERKSM_lbbbEUlllE0_EEPmJS6_EEE10hipError_tPvRmT3_T4_T5_T6_T7_T9_mT8_P12ihipStream_tbDpT10_ENKUlT_T0_E_clISt17integral_constantIbLb1EES1C_EEDaS17_S18_EUlS17_E_NS1_11comp_targetILNS1_3genE0ELNS1_11target_archE4294967295ELNS1_3gpuE0ELNS1_3repE0EEENS1_30default_config_static_selectorELNS0_4arch9wavefront6targetE0EEEvT1_,@function
_ZN7rocprim17ROCPRIM_400000_NS6detail17trampoline_kernelINS0_14default_configENS1_25partition_config_selectorILNS1_17partition_subalgoE8ElNS0_10empty_typeEbEEZZNS1_14partition_implILS5_8ELb0ES3_jPlPS6_PKS6_NS0_5tupleIJS9_S6_EEENSD_IJSA_SA_EEENS0_18inequality_wrapperIZN2at6native12_GLOBAL__N_124unique_dim_cuda_templateIlEESt5tupleIJNSH_6TensorESM_SM_EERKSM_lbbbEUlllE0_EEPmJS6_EEE10hipError_tPvRmT3_T4_T5_T6_T7_T9_mT8_P12ihipStream_tbDpT10_ENKUlT_T0_E_clISt17integral_constantIbLb1EES1C_EEDaS17_S18_EUlS17_E_NS1_11comp_targetILNS1_3genE0ELNS1_11target_archE4294967295ELNS1_3gpuE0ELNS1_3repE0EEENS1_30default_config_static_selectorELNS0_4arch9wavefront6targetE0EEEvT1_: ; @_ZN7rocprim17ROCPRIM_400000_NS6detail17trampoline_kernelINS0_14default_configENS1_25partition_config_selectorILNS1_17partition_subalgoE8ElNS0_10empty_typeEbEEZZNS1_14partition_implILS5_8ELb0ES3_jPlPS6_PKS6_NS0_5tupleIJS9_S6_EEENSD_IJSA_SA_EEENS0_18inequality_wrapperIZN2at6native12_GLOBAL__N_124unique_dim_cuda_templateIlEESt5tupleIJNSH_6TensorESM_SM_EERKSM_lbbbEUlllE0_EEPmJS6_EEE10hipError_tPvRmT3_T4_T5_T6_T7_T9_mT8_P12ihipStream_tbDpT10_ENKUlT_T0_E_clISt17integral_constantIbLb1EES1C_EEDaS17_S18_EUlS17_E_NS1_11comp_targetILNS1_3genE0ELNS1_11target_archE4294967295ELNS1_3gpuE0ELNS1_3repE0EEENS1_30default_config_static_selectorELNS0_4arch9wavefront6targetE0EEEvT1_
; %bb.0:
	s_endpgm
	.section	.rodata,"a",@progbits
	.p2align	6, 0x0
	.amdhsa_kernel _ZN7rocprim17ROCPRIM_400000_NS6detail17trampoline_kernelINS0_14default_configENS1_25partition_config_selectorILNS1_17partition_subalgoE8ElNS0_10empty_typeEbEEZZNS1_14partition_implILS5_8ELb0ES3_jPlPS6_PKS6_NS0_5tupleIJS9_S6_EEENSD_IJSA_SA_EEENS0_18inequality_wrapperIZN2at6native12_GLOBAL__N_124unique_dim_cuda_templateIlEESt5tupleIJNSH_6TensorESM_SM_EERKSM_lbbbEUlllE0_EEPmJS6_EEE10hipError_tPvRmT3_T4_T5_T6_T7_T9_mT8_P12ihipStream_tbDpT10_ENKUlT_T0_E_clISt17integral_constantIbLb1EES1C_EEDaS17_S18_EUlS17_E_NS1_11comp_targetILNS1_3genE0ELNS1_11target_archE4294967295ELNS1_3gpuE0ELNS1_3repE0EEENS1_30default_config_static_selectorELNS0_4arch9wavefront6targetE0EEEvT1_
		.amdhsa_group_segment_fixed_size 0
		.amdhsa_private_segment_fixed_size 0
		.amdhsa_kernarg_size 136
		.amdhsa_user_sgpr_count 2
		.amdhsa_user_sgpr_dispatch_ptr 0
		.amdhsa_user_sgpr_queue_ptr 0
		.amdhsa_user_sgpr_kernarg_segment_ptr 1
		.amdhsa_user_sgpr_dispatch_id 0
		.amdhsa_user_sgpr_kernarg_preload_length 0
		.amdhsa_user_sgpr_kernarg_preload_offset 0
		.amdhsa_user_sgpr_private_segment_size 0
		.amdhsa_wavefront_size32 1
		.amdhsa_uses_dynamic_stack 0
		.amdhsa_enable_private_segment 0
		.amdhsa_system_sgpr_workgroup_id_x 1
		.amdhsa_system_sgpr_workgroup_id_y 0
		.amdhsa_system_sgpr_workgroup_id_z 0
		.amdhsa_system_sgpr_workgroup_info 0
		.amdhsa_system_vgpr_workitem_id 0
		.amdhsa_next_free_vgpr 1
		.amdhsa_next_free_sgpr 1
		.amdhsa_named_barrier_count 0
		.amdhsa_reserve_vcc 0
		.amdhsa_float_round_mode_32 0
		.amdhsa_float_round_mode_16_64 0
		.amdhsa_float_denorm_mode_32 3
		.amdhsa_float_denorm_mode_16_64 3
		.amdhsa_fp16_overflow 0
		.amdhsa_memory_ordered 1
		.amdhsa_forward_progress 1
		.amdhsa_inst_pref_size 1
		.amdhsa_round_robin_scheduling 0
		.amdhsa_exception_fp_ieee_invalid_op 0
		.amdhsa_exception_fp_denorm_src 0
		.amdhsa_exception_fp_ieee_div_zero 0
		.amdhsa_exception_fp_ieee_overflow 0
		.amdhsa_exception_fp_ieee_underflow 0
		.amdhsa_exception_fp_ieee_inexact 0
		.amdhsa_exception_int_div_zero 0
	.end_amdhsa_kernel
	.section	.text._ZN7rocprim17ROCPRIM_400000_NS6detail17trampoline_kernelINS0_14default_configENS1_25partition_config_selectorILNS1_17partition_subalgoE8ElNS0_10empty_typeEbEEZZNS1_14partition_implILS5_8ELb0ES3_jPlPS6_PKS6_NS0_5tupleIJS9_S6_EEENSD_IJSA_SA_EEENS0_18inequality_wrapperIZN2at6native12_GLOBAL__N_124unique_dim_cuda_templateIlEESt5tupleIJNSH_6TensorESM_SM_EERKSM_lbbbEUlllE0_EEPmJS6_EEE10hipError_tPvRmT3_T4_T5_T6_T7_T9_mT8_P12ihipStream_tbDpT10_ENKUlT_T0_E_clISt17integral_constantIbLb1EES1C_EEDaS17_S18_EUlS17_E_NS1_11comp_targetILNS1_3genE0ELNS1_11target_archE4294967295ELNS1_3gpuE0ELNS1_3repE0EEENS1_30default_config_static_selectorELNS0_4arch9wavefront6targetE0EEEvT1_,"axG",@progbits,_ZN7rocprim17ROCPRIM_400000_NS6detail17trampoline_kernelINS0_14default_configENS1_25partition_config_selectorILNS1_17partition_subalgoE8ElNS0_10empty_typeEbEEZZNS1_14partition_implILS5_8ELb0ES3_jPlPS6_PKS6_NS0_5tupleIJS9_S6_EEENSD_IJSA_SA_EEENS0_18inequality_wrapperIZN2at6native12_GLOBAL__N_124unique_dim_cuda_templateIlEESt5tupleIJNSH_6TensorESM_SM_EERKSM_lbbbEUlllE0_EEPmJS6_EEE10hipError_tPvRmT3_T4_T5_T6_T7_T9_mT8_P12ihipStream_tbDpT10_ENKUlT_T0_E_clISt17integral_constantIbLb1EES1C_EEDaS17_S18_EUlS17_E_NS1_11comp_targetILNS1_3genE0ELNS1_11target_archE4294967295ELNS1_3gpuE0ELNS1_3repE0EEENS1_30default_config_static_selectorELNS0_4arch9wavefront6targetE0EEEvT1_,comdat
.Lfunc_end571:
	.size	_ZN7rocprim17ROCPRIM_400000_NS6detail17trampoline_kernelINS0_14default_configENS1_25partition_config_selectorILNS1_17partition_subalgoE8ElNS0_10empty_typeEbEEZZNS1_14partition_implILS5_8ELb0ES3_jPlPS6_PKS6_NS0_5tupleIJS9_S6_EEENSD_IJSA_SA_EEENS0_18inequality_wrapperIZN2at6native12_GLOBAL__N_124unique_dim_cuda_templateIlEESt5tupleIJNSH_6TensorESM_SM_EERKSM_lbbbEUlllE0_EEPmJS6_EEE10hipError_tPvRmT3_T4_T5_T6_T7_T9_mT8_P12ihipStream_tbDpT10_ENKUlT_T0_E_clISt17integral_constantIbLb1EES1C_EEDaS17_S18_EUlS17_E_NS1_11comp_targetILNS1_3genE0ELNS1_11target_archE4294967295ELNS1_3gpuE0ELNS1_3repE0EEENS1_30default_config_static_selectorELNS0_4arch9wavefront6targetE0EEEvT1_, .Lfunc_end571-_ZN7rocprim17ROCPRIM_400000_NS6detail17trampoline_kernelINS0_14default_configENS1_25partition_config_selectorILNS1_17partition_subalgoE8ElNS0_10empty_typeEbEEZZNS1_14partition_implILS5_8ELb0ES3_jPlPS6_PKS6_NS0_5tupleIJS9_S6_EEENSD_IJSA_SA_EEENS0_18inequality_wrapperIZN2at6native12_GLOBAL__N_124unique_dim_cuda_templateIlEESt5tupleIJNSH_6TensorESM_SM_EERKSM_lbbbEUlllE0_EEPmJS6_EEE10hipError_tPvRmT3_T4_T5_T6_T7_T9_mT8_P12ihipStream_tbDpT10_ENKUlT_T0_E_clISt17integral_constantIbLb1EES1C_EEDaS17_S18_EUlS17_E_NS1_11comp_targetILNS1_3genE0ELNS1_11target_archE4294967295ELNS1_3gpuE0ELNS1_3repE0EEENS1_30default_config_static_selectorELNS0_4arch9wavefront6targetE0EEEvT1_
                                        ; -- End function
	.set _ZN7rocprim17ROCPRIM_400000_NS6detail17trampoline_kernelINS0_14default_configENS1_25partition_config_selectorILNS1_17partition_subalgoE8ElNS0_10empty_typeEbEEZZNS1_14partition_implILS5_8ELb0ES3_jPlPS6_PKS6_NS0_5tupleIJS9_S6_EEENSD_IJSA_SA_EEENS0_18inequality_wrapperIZN2at6native12_GLOBAL__N_124unique_dim_cuda_templateIlEESt5tupleIJNSH_6TensorESM_SM_EERKSM_lbbbEUlllE0_EEPmJS6_EEE10hipError_tPvRmT3_T4_T5_T6_T7_T9_mT8_P12ihipStream_tbDpT10_ENKUlT_T0_E_clISt17integral_constantIbLb1EES1C_EEDaS17_S18_EUlS17_E_NS1_11comp_targetILNS1_3genE0ELNS1_11target_archE4294967295ELNS1_3gpuE0ELNS1_3repE0EEENS1_30default_config_static_selectorELNS0_4arch9wavefront6targetE0EEEvT1_.num_vgpr, 0
	.set _ZN7rocprim17ROCPRIM_400000_NS6detail17trampoline_kernelINS0_14default_configENS1_25partition_config_selectorILNS1_17partition_subalgoE8ElNS0_10empty_typeEbEEZZNS1_14partition_implILS5_8ELb0ES3_jPlPS6_PKS6_NS0_5tupleIJS9_S6_EEENSD_IJSA_SA_EEENS0_18inequality_wrapperIZN2at6native12_GLOBAL__N_124unique_dim_cuda_templateIlEESt5tupleIJNSH_6TensorESM_SM_EERKSM_lbbbEUlllE0_EEPmJS6_EEE10hipError_tPvRmT3_T4_T5_T6_T7_T9_mT8_P12ihipStream_tbDpT10_ENKUlT_T0_E_clISt17integral_constantIbLb1EES1C_EEDaS17_S18_EUlS17_E_NS1_11comp_targetILNS1_3genE0ELNS1_11target_archE4294967295ELNS1_3gpuE0ELNS1_3repE0EEENS1_30default_config_static_selectorELNS0_4arch9wavefront6targetE0EEEvT1_.num_agpr, 0
	.set _ZN7rocprim17ROCPRIM_400000_NS6detail17trampoline_kernelINS0_14default_configENS1_25partition_config_selectorILNS1_17partition_subalgoE8ElNS0_10empty_typeEbEEZZNS1_14partition_implILS5_8ELb0ES3_jPlPS6_PKS6_NS0_5tupleIJS9_S6_EEENSD_IJSA_SA_EEENS0_18inequality_wrapperIZN2at6native12_GLOBAL__N_124unique_dim_cuda_templateIlEESt5tupleIJNSH_6TensorESM_SM_EERKSM_lbbbEUlllE0_EEPmJS6_EEE10hipError_tPvRmT3_T4_T5_T6_T7_T9_mT8_P12ihipStream_tbDpT10_ENKUlT_T0_E_clISt17integral_constantIbLb1EES1C_EEDaS17_S18_EUlS17_E_NS1_11comp_targetILNS1_3genE0ELNS1_11target_archE4294967295ELNS1_3gpuE0ELNS1_3repE0EEENS1_30default_config_static_selectorELNS0_4arch9wavefront6targetE0EEEvT1_.numbered_sgpr, 0
	.set _ZN7rocprim17ROCPRIM_400000_NS6detail17trampoline_kernelINS0_14default_configENS1_25partition_config_selectorILNS1_17partition_subalgoE8ElNS0_10empty_typeEbEEZZNS1_14partition_implILS5_8ELb0ES3_jPlPS6_PKS6_NS0_5tupleIJS9_S6_EEENSD_IJSA_SA_EEENS0_18inequality_wrapperIZN2at6native12_GLOBAL__N_124unique_dim_cuda_templateIlEESt5tupleIJNSH_6TensorESM_SM_EERKSM_lbbbEUlllE0_EEPmJS6_EEE10hipError_tPvRmT3_T4_T5_T6_T7_T9_mT8_P12ihipStream_tbDpT10_ENKUlT_T0_E_clISt17integral_constantIbLb1EES1C_EEDaS17_S18_EUlS17_E_NS1_11comp_targetILNS1_3genE0ELNS1_11target_archE4294967295ELNS1_3gpuE0ELNS1_3repE0EEENS1_30default_config_static_selectorELNS0_4arch9wavefront6targetE0EEEvT1_.num_named_barrier, 0
	.set _ZN7rocprim17ROCPRIM_400000_NS6detail17trampoline_kernelINS0_14default_configENS1_25partition_config_selectorILNS1_17partition_subalgoE8ElNS0_10empty_typeEbEEZZNS1_14partition_implILS5_8ELb0ES3_jPlPS6_PKS6_NS0_5tupleIJS9_S6_EEENSD_IJSA_SA_EEENS0_18inequality_wrapperIZN2at6native12_GLOBAL__N_124unique_dim_cuda_templateIlEESt5tupleIJNSH_6TensorESM_SM_EERKSM_lbbbEUlllE0_EEPmJS6_EEE10hipError_tPvRmT3_T4_T5_T6_T7_T9_mT8_P12ihipStream_tbDpT10_ENKUlT_T0_E_clISt17integral_constantIbLb1EES1C_EEDaS17_S18_EUlS17_E_NS1_11comp_targetILNS1_3genE0ELNS1_11target_archE4294967295ELNS1_3gpuE0ELNS1_3repE0EEENS1_30default_config_static_selectorELNS0_4arch9wavefront6targetE0EEEvT1_.private_seg_size, 0
	.set _ZN7rocprim17ROCPRIM_400000_NS6detail17trampoline_kernelINS0_14default_configENS1_25partition_config_selectorILNS1_17partition_subalgoE8ElNS0_10empty_typeEbEEZZNS1_14partition_implILS5_8ELb0ES3_jPlPS6_PKS6_NS0_5tupleIJS9_S6_EEENSD_IJSA_SA_EEENS0_18inequality_wrapperIZN2at6native12_GLOBAL__N_124unique_dim_cuda_templateIlEESt5tupleIJNSH_6TensorESM_SM_EERKSM_lbbbEUlllE0_EEPmJS6_EEE10hipError_tPvRmT3_T4_T5_T6_T7_T9_mT8_P12ihipStream_tbDpT10_ENKUlT_T0_E_clISt17integral_constantIbLb1EES1C_EEDaS17_S18_EUlS17_E_NS1_11comp_targetILNS1_3genE0ELNS1_11target_archE4294967295ELNS1_3gpuE0ELNS1_3repE0EEENS1_30default_config_static_selectorELNS0_4arch9wavefront6targetE0EEEvT1_.uses_vcc, 0
	.set _ZN7rocprim17ROCPRIM_400000_NS6detail17trampoline_kernelINS0_14default_configENS1_25partition_config_selectorILNS1_17partition_subalgoE8ElNS0_10empty_typeEbEEZZNS1_14partition_implILS5_8ELb0ES3_jPlPS6_PKS6_NS0_5tupleIJS9_S6_EEENSD_IJSA_SA_EEENS0_18inequality_wrapperIZN2at6native12_GLOBAL__N_124unique_dim_cuda_templateIlEESt5tupleIJNSH_6TensorESM_SM_EERKSM_lbbbEUlllE0_EEPmJS6_EEE10hipError_tPvRmT3_T4_T5_T6_T7_T9_mT8_P12ihipStream_tbDpT10_ENKUlT_T0_E_clISt17integral_constantIbLb1EES1C_EEDaS17_S18_EUlS17_E_NS1_11comp_targetILNS1_3genE0ELNS1_11target_archE4294967295ELNS1_3gpuE0ELNS1_3repE0EEENS1_30default_config_static_selectorELNS0_4arch9wavefront6targetE0EEEvT1_.uses_flat_scratch, 0
	.set _ZN7rocprim17ROCPRIM_400000_NS6detail17trampoline_kernelINS0_14default_configENS1_25partition_config_selectorILNS1_17partition_subalgoE8ElNS0_10empty_typeEbEEZZNS1_14partition_implILS5_8ELb0ES3_jPlPS6_PKS6_NS0_5tupleIJS9_S6_EEENSD_IJSA_SA_EEENS0_18inequality_wrapperIZN2at6native12_GLOBAL__N_124unique_dim_cuda_templateIlEESt5tupleIJNSH_6TensorESM_SM_EERKSM_lbbbEUlllE0_EEPmJS6_EEE10hipError_tPvRmT3_T4_T5_T6_T7_T9_mT8_P12ihipStream_tbDpT10_ENKUlT_T0_E_clISt17integral_constantIbLb1EES1C_EEDaS17_S18_EUlS17_E_NS1_11comp_targetILNS1_3genE0ELNS1_11target_archE4294967295ELNS1_3gpuE0ELNS1_3repE0EEENS1_30default_config_static_selectorELNS0_4arch9wavefront6targetE0EEEvT1_.has_dyn_sized_stack, 0
	.set _ZN7rocprim17ROCPRIM_400000_NS6detail17trampoline_kernelINS0_14default_configENS1_25partition_config_selectorILNS1_17partition_subalgoE8ElNS0_10empty_typeEbEEZZNS1_14partition_implILS5_8ELb0ES3_jPlPS6_PKS6_NS0_5tupleIJS9_S6_EEENSD_IJSA_SA_EEENS0_18inequality_wrapperIZN2at6native12_GLOBAL__N_124unique_dim_cuda_templateIlEESt5tupleIJNSH_6TensorESM_SM_EERKSM_lbbbEUlllE0_EEPmJS6_EEE10hipError_tPvRmT3_T4_T5_T6_T7_T9_mT8_P12ihipStream_tbDpT10_ENKUlT_T0_E_clISt17integral_constantIbLb1EES1C_EEDaS17_S18_EUlS17_E_NS1_11comp_targetILNS1_3genE0ELNS1_11target_archE4294967295ELNS1_3gpuE0ELNS1_3repE0EEENS1_30default_config_static_selectorELNS0_4arch9wavefront6targetE0EEEvT1_.has_recursion, 0
	.set _ZN7rocprim17ROCPRIM_400000_NS6detail17trampoline_kernelINS0_14default_configENS1_25partition_config_selectorILNS1_17partition_subalgoE8ElNS0_10empty_typeEbEEZZNS1_14partition_implILS5_8ELb0ES3_jPlPS6_PKS6_NS0_5tupleIJS9_S6_EEENSD_IJSA_SA_EEENS0_18inequality_wrapperIZN2at6native12_GLOBAL__N_124unique_dim_cuda_templateIlEESt5tupleIJNSH_6TensorESM_SM_EERKSM_lbbbEUlllE0_EEPmJS6_EEE10hipError_tPvRmT3_T4_T5_T6_T7_T9_mT8_P12ihipStream_tbDpT10_ENKUlT_T0_E_clISt17integral_constantIbLb1EES1C_EEDaS17_S18_EUlS17_E_NS1_11comp_targetILNS1_3genE0ELNS1_11target_archE4294967295ELNS1_3gpuE0ELNS1_3repE0EEENS1_30default_config_static_selectorELNS0_4arch9wavefront6targetE0EEEvT1_.has_indirect_call, 0
	.section	.AMDGPU.csdata,"",@progbits
; Kernel info:
; codeLenInByte = 4
; TotalNumSgprs: 0
; NumVgprs: 0
; ScratchSize: 0
; MemoryBound: 0
; FloatMode: 240
; IeeeMode: 1
; LDSByteSize: 0 bytes/workgroup (compile time only)
; SGPRBlocks: 0
; VGPRBlocks: 0
; NumSGPRsForWavesPerEU: 1
; NumVGPRsForWavesPerEU: 1
; NamedBarCnt: 0
; Occupancy: 16
; WaveLimiterHint : 0
; COMPUTE_PGM_RSRC2:SCRATCH_EN: 0
; COMPUTE_PGM_RSRC2:USER_SGPR: 2
; COMPUTE_PGM_RSRC2:TRAP_HANDLER: 0
; COMPUTE_PGM_RSRC2:TGID_X_EN: 1
; COMPUTE_PGM_RSRC2:TGID_Y_EN: 0
; COMPUTE_PGM_RSRC2:TGID_Z_EN: 0
; COMPUTE_PGM_RSRC2:TIDIG_COMP_CNT: 0
	.section	.text._ZN7rocprim17ROCPRIM_400000_NS6detail17trampoline_kernelINS0_14default_configENS1_25partition_config_selectorILNS1_17partition_subalgoE8ElNS0_10empty_typeEbEEZZNS1_14partition_implILS5_8ELb0ES3_jPlPS6_PKS6_NS0_5tupleIJS9_S6_EEENSD_IJSA_SA_EEENS0_18inequality_wrapperIZN2at6native12_GLOBAL__N_124unique_dim_cuda_templateIlEESt5tupleIJNSH_6TensorESM_SM_EERKSM_lbbbEUlllE0_EEPmJS6_EEE10hipError_tPvRmT3_T4_T5_T6_T7_T9_mT8_P12ihipStream_tbDpT10_ENKUlT_T0_E_clISt17integral_constantIbLb1EES1C_EEDaS17_S18_EUlS17_E_NS1_11comp_targetILNS1_3genE5ELNS1_11target_archE942ELNS1_3gpuE9ELNS1_3repE0EEENS1_30default_config_static_selectorELNS0_4arch9wavefront6targetE0EEEvT1_,"axG",@progbits,_ZN7rocprim17ROCPRIM_400000_NS6detail17trampoline_kernelINS0_14default_configENS1_25partition_config_selectorILNS1_17partition_subalgoE8ElNS0_10empty_typeEbEEZZNS1_14partition_implILS5_8ELb0ES3_jPlPS6_PKS6_NS0_5tupleIJS9_S6_EEENSD_IJSA_SA_EEENS0_18inequality_wrapperIZN2at6native12_GLOBAL__N_124unique_dim_cuda_templateIlEESt5tupleIJNSH_6TensorESM_SM_EERKSM_lbbbEUlllE0_EEPmJS6_EEE10hipError_tPvRmT3_T4_T5_T6_T7_T9_mT8_P12ihipStream_tbDpT10_ENKUlT_T0_E_clISt17integral_constantIbLb1EES1C_EEDaS17_S18_EUlS17_E_NS1_11comp_targetILNS1_3genE5ELNS1_11target_archE942ELNS1_3gpuE9ELNS1_3repE0EEENS1_30default_config_static_selectorELNS0_4arch9wavefront6targetE0EEEvT1_,comdat
	.globl	_ZN7rocprim17ROCPRIM_400000_NS6detail17trampoline_kernelINS0_14default_configENS1_25partition_config_selectorILNS1_17partition_subalgoE8ElNS0_10empty_typeEbEEZZNS1_14partition_implILS5_8ELb0ES3_jPlPS6_PKS6_NS0_5tupleIJS9_S6_EEENSD_IJSA_SA_EEENS0_18inequality_wrapperIZN2at6native12_GLOBAL__N_124unique_dim_cuda_templateIlEESt5tupleIJNSH_6TensorESM_SM_EERKSM_lbbbEUlllE0_EEPmJS6_EEE10hipError_tPvRmT3_T4_T5_T6_T7_T9_mT8_P12ihipStream_tbDpT10_ENKUlT_T0_E_clISt17integral_constantIbLb1EES1C_EEDaS17_S18_EUlS17_E_NS1_11comp_targetILNS1_3genE5ELNS1_11target_archE942ELNS1_3gpuE9ELNS1_3repE0EEENS1_30default_config_static_selectorELNS0_4arch9wavefront6targetE0EEEvT1_ ; -- Begin function _ZN7rocprim17ROCPRIM_400000_NS6detail17trampoline_kernelINS0_14default_configENS1_25partition_config_selectorILNS1_17partition_subalgoE8ElNS0_10empty_typeEbEEZZNS1_14partition_implILS5_8ELb0ES3_jPlPS6_PKS6_NS0_5tupleIJS9_S6_EEENSD_IJSA_SA_EEENS0_18inequality_wrapperIZN2at6native12_GLOBAL__N_124unique_dim_cuda_templateIlEESt5tupleIJNSH_6TensorESM_SM_EERKSM_lbbbEUlllE0_EEPmJS6_EEE10hipError_tPvRmT3_T4_T5_T6_T7_T9_mT8_P12ihipStream_tbDpT10_ENKUlT_T0_E_clISt17integral_constantIbLb1EES1C_EEDaS17_S18_EUlS17_E_NS1_11comp_targetILNS1_3genE5ELNS1_11target_archE942ELNS1_3gpuE9ELNS1_3repE0EEENS1_30default_config_static_selectorELNS0_4arch9wavefront6targetE0EEEvT1_
	.p2align	8
	.type	_ZN7rocprim17ROCPRIM_400000_NS6detail17trampoline_kernelINS0_14default_configENS1_25partition_config_selectorILNS1_17partition_subalgoE8ElNS0_10empty_typeEbEEZZNS1_14partition_implILS5_8ELb0ES3_jPlPS6_PKS6_NS0_5tupleIJS9_S6_EEENSD_IJSA_SA_EEENS0_18inequality_wrapperIZN2at6native12_GLOBAL__N_124unique_dim_cuda_templateIlEESt5tupleIJNSH_6TensorESM_SM_EERKSM_lbbbEUlllE0_EEPmJS6_EEE10hipError_tPvRmT3_T4_T5_T6_T7_T9_mT8_P12ihipStream_tbDpT10_ENKUlT_T0_E_clISt17integral_constantIbLb1EES1C_EEDaS17_S18_EUlS17_E_NS1_11comp_targetILNS1_3genE5ELNS1_11target_archE942ELNS1_3gpuE9ELNS1_3repE0EEENS1_30default_config_static_selectorELNS0_4arch9wavefront6targetE0EEEvT1_,@function
_ZN7rocprim17ROCPRIM_400000_NS6detail17trampoline_kernelINS0_14default_configENS1_25partition_config_selectorILNS1_17partition_subalgoE8ElNS0_10empty_typeEbEEZZNS1_14partition_implILS5_8ELb0ES3_jPlPS6_PKS6_NS0_5tupleIJS9_S6_EEENSD_IJSA_SA_EEENS0_18inequality_wrapperIZN2at6native12_GLOBAL__N_124unique_dim_cuda_templateIlEESt5tupleIJNSH_6TensorESM_SM_EERKSM_lbbbEUlllE0_EEPmJS6_EEE10hipError_tPvRmT3_T4_T5_T6_T7_T9_mT8_P12ihipStream_tbDpT10_ENKUlT_T0_E_clISt17integral_constantIbLb1EES1C_EEDaS17_S18_EUlS17_E_NS1_11comp_targetILNS1_3genE5ELNS1_11target_archE942ELNS1_3gpuE9ELNS1_3repE0EEENS1_30default_config_static_selectorELNS0_4arch9wavefront6targetE0EEEvT1_: ; @_ZN7rocprim17ROCPRIM_400000_NS6detail17trampoline_kernelINS0_14default_configENS1_25partition_config_selectorILNS1_17partition_subalgoE8ElNS0_10empty_typeEbEEZZNS1_14partition_implILS5_8ELb0ES3_jPlPS6_PKS6_NS0_5tupleIJS9_S6_EEENSD_IJSA_SA_EEENS0_18inequality_wrapperIZN2at6native12_GLOBAL__N_124unique_dim_cuda_templateIlEESt5tupleIJNSH_6TensorESM_SM_EERKSM_lbbbEUlllE0_EEPmJS6_EEE10hipError_tPvRmT3_T4_T5_T6_T7_T9_mT8_P12ihipStream_tbDpT10_ENKUlT_T0_E_clISt17integral_constantIbLb1EES1C_EEDaS17_S18_EUlS17_E_NS1_11comp_targetILNS1_3genE5ELNS1_11target_archE942ELNS1_3gpuE9ELNS1_3repE0EEENS1_30default_config_static_selectorELNS0_4arch9wavefront6targetE0EEEvT1_
; %bb.0:
	.section	.rodata,"a",@progbits
	.p2align	6, 0x0
	.amdhsa_kernel _ZN7rocprim17ROCPRIM_400000_NS6detail17trampoline_kernelINS0_14default_configENS1_25partition_config_selectorILNS1_17partition_subalgoE8ElNS0_10empty_typeEbEEZZNS1_14partition_implILS5_8ELb0ES3_jPlPS6_PKS6_NS0_5tupleIJS9_S6_EEENSD_IJSA_SA_EEENS0_18inequality_wrapperIZN2at6native12_GLOBAL__N_124unique_dim_cuda_templateIlEESt5tupleIJNSH_6TensorESM_SM_EERKSM_lbbbEUlllE0_EEPmJS6_EEE10hipError_tPvRmT3_T4_T5_T6_T7_T9_mT8_P12ihipStream_tbDpT10_ENKUlT_T0_E_clISt17integral_constantIbLb1EES1C_EEDaS17_S18_EUlS17_E_NS1_11comp_targetILNS1_3genE5ELNS1_11target_archE942ELNS1_3gpuE9ELNS1_3repE0EEENS1_30default_config_static_selectorELNS0_4arch9wavefront6targetE0EEEvT1_
		.amdhsa_group_segment_fixed_size 0
		.amdhsa_private_segment_fixed_size 0
		.amdhsa_kernarg_size 136
		.amdhsa_user_sgpr_count 2
		.amdhsa_user_sgpr_dispatch_ptr 0
		.amdhsa_user_sgpr_queue_ptr 0
		.amdhsa_user_sgpr_kernarg_segment_ptr 1
		.amdhsa_user_sgpr_dispatch_id 0
		.amdhsa_user_sgpr_kernarg_preload_length 0
		.amdhsa_user_sgpr_kernarg_preload_offset 0
		.amdhsa_user_sgpr_private_segment_size 0
		.amdhsa_wavefront_size32 1
		.amdhsa_uses_dynamic_stack 0
		.amdhsa_enable_private_segment 0
		.amdhsa_system_sgpr_workgroup_id_x 1
		.amdhsa_system_sgpr_workgroup_id_y 0
		.amdhsa_system_sgpr_workgroup_id_z 0
		.amdhsa_system_sgpr_workgroup_info 0
		.amdhsa_system_vgpr_workitem_id 0
		.amdhsa_next_free_vgpr 1
		.amdhsa_next_free_sgpr 1
		.amdhsa_named_barrier_count 0
		.amdhsa_reserve_vcc 0
		.amdhsa_float_round_mode_32 0
		.amdhsa_float_round_mode_16_64 0
		.amdhsa_float_denorm_mode_32 3
		.amdhsa_float_denorm_mode_16_64 3
		.amdhsa_fp16_overflow 0
		.amdhsa_memory_ordered 1
		.amdhsa_forward_progress 1
		.amdhsa_inst_pref_size 0
		.amdhsa_round_robin_scheduling 0
		.amdhsa_exception_fp_ieee_invalid_op 0
		.amdhsa_exception_fp_denorm_src 0
		.amdhsa_exception_fp_ieee_div_zero 0
		.amdhsa_exception_fp_ieee_overflow 0
		.amdhsa_exception_fp_ieee_underflow 0
		.amdhsa_exception_fp_ieee_inexact 0
		.amdhsa_exception_int_div_zero 0
	.end_amdhsa_kernel
	.section	.text._ZN7rocprim17ROCPRIM_400000_NS6detail17trampoline_kernelINS0_14default_configENS1_25partition_config_selectorILNS1_17partition_subalgoE8ElNS0_10empty_typeEbEEZZNS1_14partition_implILS5_8ELb0ES3_jPlPS6_PKS6_NS0_5tupleIJS9_S6_EEENSD_IJSA_SA_EEENS0_18inequality_wrapperIZN2at6native12_GLOBAL__N_124unique_dim_cuda_templateIlEESt5tupleIJNSH_6TensorESM_SM_EERKSM_lbbbEUlllE0_EEPmJS6_EEE10hipError_tPvRmT3_T4_T5_T6_T7_T9_mT8_P12ihipStream_tbDpT10_ENKUlT_T0_E_clISt17integral_constantIbLb1EES1C_EEDaS17_S18_EUlS17_E_NS1_11comp_targetILNS1_3genE5ELNS1_11target_archE942ELNS1_3gpuE9ELNS1_3repE0EEENS1_30default_config_static_selectorELNS0_4arch9wavefront6targetE0EEEvT1_,"axG",@progbits,_ZN7rocprim17ROCPRIM_400000_NS6detail17trampoline_kernelINS0_14default_configENS1_25partition_config_selectorILNS1_17partition_subalgoE8ElNS0_10empty_typeEbEEZZNS1_14partition_implILS5_8ELb0ES3_jPlPS6_PKS6_NS0_5tupleIJS9_S6_EEENSD_IJSA_SA_EEENS0_18inequality_wrapperIZN2at6native12_GLOBAL__N_124unique_dim_cuda_templateIlEESt5tupleIJNSH_6TensorESM_SM_EERKSM_lbbbEUlllE0_EEPmJS6_EEE10hipError_tPvRmT3_T4_T5_T6_T7_T9_mT8_P12ihipStream_tbDpT10_ENKUlT_T0_E_clISt17integral_constantIbLb1EES1C_EEDaS17_S18_EUlS17_E_NS1_11comp_targetILNS1_3genE5ELNS1_11target_archE942ELNS1_3gpuE9ELNS1_3repE0EEENS1_30default_config_static_selectorELNS0_4arch9wavefront6targetE0EEEvT1_,comdat
.Lfunc_end572:
	.size	_ZN7rocprim17ROCPRIM_400000_NS6detail17trampoline_kernelINS0_14default_configENS1_25partition_config_selectorILNS1_17partition_subalgoE8ElNS0_10empty_typeEbEEZZNS1_14partition_implILS5_8ELb0ES3_jPlPS6_PKS6_NS0_5tupleIJS9_S6_EEENSD_IJSA_SA_EEENS0_18inequality_wrapperIZN2at6native12_GLOBAL__N_124unique_dim_cuda_templateIlEESt5tupleIJNSH_6TensorESM_SM_EERKSM_lbbbEUlllE0_EEPmJS6_EEE10hipError_tPvRmT3_T4_T5_T6_T7_T9_mT8_P12ihipStream_tbDpT10_ENKUlT_T0_E_clISt17integral_constantIbLb1EES1C_EEDaS17_S18_EUlS17_E_NS1_11comp_targetILNS1_3genE5ELNS1_11target_archE942ELNS1_3gpuE9ELNS1_3repE0EEENS1_30default_config_static_selectorELNS0_4arch9wavefront6targetE0EEEvT1_, .Lfunc_end572-_ZN7rocprim17ROCPRIM_400000_NS6detail17trampoline_kernelINS0_14default_configENS1_25partition_config_selectorILNS1_17partition_subalgoE8ElNS0_10empty_typeEbEEZZNS1_14partition_implILS5_8ELb0ES3_jPlPS6_PKS6_NS0_5tupleIJS9_S6_EEENSD_IJSA_SA_EEENS0_18inequality_wrapperIZN2at6native12_GLOBAL__N_124unique_dim_cuda_templateIlEESt5tupleIJNSH_6TensorESM_SM_EERKSM_lbbbEUlllE0_EEPmJS6_EEE10hipError_tPvRmT3_T4_T5_T6_T7_T9_mT8_P12ihipStream_tbDpT10_ENKUlT_T0_E_clISt17integral_constantIbLb1EES1C_EEDaS17_S18_EUlS17_E_NS1_11comp_targetILNS1_3genE5ELNS1_11target_archE942ELNS1_3gpuE9ELNS1_3repE0EEENS1_30default_config_static_selectorELNS0_4arch9wavefront6targetE0EEEvT1_
                                        ; -- End function
	.set _ZN7rocprim17ROCPRIM_400000_NS6detail17trampoline_kernelINS0_14default_configENS1_25partition_config_selectorILNS1_17partition_subalgoE8ElNS0_10empty_typeEbEEZZNS1_14partition_implILS5_8ELb0ES3_jPlPS6_PKS6_NS0_5tupleIJS9_S6_EEENSD_IJSA_SA_EEENS0_18inequality_wrapperIZN2at6native12_GLOBAL__N_124unique_dim_cuda_templateIlEESt5tupleIJNSH_6TensorESM_SM_EERKSM_lbbbEUlllE0_EEPmJS6_EEE10hipError_tPvRmT3_T4_T5_T6_T7_T9_mT8_P12ihipStream_tbDpT10_ENKUlT_T0_E_clISt17integral_constantIbLb1EES1C_EEDaS17_S18_EUlS17_E_NS1_11comp_targetILNS1_3genE5ELNS1_11target_archE942ELNS1_3gpuE9ELNS1_3repE0EEENS1_30default_config_static_selectorELNS0_4arch9wavefront6targetE0EEEvT1_.num_vgpr, 0
	.set _ZN7rocprim17ROCPRIM_400000_NS6detail17trampoline_kernelINS0_14default_configENS1_25partition_config_selectorILNS1_17partition_subalgoE8ElNS0_10empty_typeEbEEZZNS1_14partition_implILS5_8ELb0ES3_jPlPS6_PKS6_NS0_5tupleIJS9_S6_EEENSD_IJSA_SA_EEENS0_18inequality_wrapperIZN2at6native12_GLOBAL__N_124unique_dim_cuda_templateIlEESt5tupleIJNSH_6TensorESM_SM_EERKSM_lbbbEUlllE0_EEPmJS6_EEE10hipError_tPvRmT3_T4_T5_T6_T7_T9_mT8_P12ihipStream_tbDpT10_ENKUlT_T0_E_clISt17integral_constantIbLb1EES1C_EEDaS17_S18_EUlS17_E_NS1_11comp_targetILNS1_3genE5ELNS1_11target_archE942ELNS1_3gpuE9ELNS1_3repE0EEENS1_30default_config_static_selectorELNS0_4arch9wavefront6targetE0EEEvT1_.num_agpr, 0
	.set _ZN7rocprim17ROCPRIM_400000_NS6detail17trampoline_kernelINS0_14default_configENS1_25partition_config_selectorILNS1_17partition_subalgoE8ElNS0_10empty_typeEbEEZZNS1_14partition_implILS5_8ELb0ES3_jPlPS6_PKS6_NS0_5tupleIJS9_S6_EEENSD_IJSA_SA_EEENS0_18inequality_wrapperIZN2at6native12_GLOBAL__N_124unique_dim_cuda_templateIlEESt5tupleIJNSH_6TensorESM_SM_EERKSM_lbbbEUlllE0_EEPmJS6_EEE10hipError_tPvRmT3_T4_T5_T6_T7_T9_mT8_P12ihipStream_tbDpT10_ENKUlT_T0_E_clISt17integral_constantIbLb1EES1C_EEDaS17_S18_EUlS17_E_NS1_11comp_targetILNS1_3genE5ELNS1_11target_archE942ELNS1_3gpuE9ELNS1_3repE0EEENS1_30default_config_static_selectorELNS0_4arch9wavefront6targetE0EEEvT1_.numbered_sgpr, 0
	.set _ZN7rocprim17ROCPRIM_400000_NS6detail17trampoline_kernelINS0_14default_configENS1_25partition_config_selectorILNS1_17partition_subalgoE8ElNS0_10empty_typeEbEEZZNS1_14partition_implILS5_8ELb0ES3_jPlPS6_PKS6_NS0_5tupleIJS9_S6_EEENSD_IJSA_SA_EEENS0_18inequality_wrapperIZN2at6native12_GLOBAL__N_124unique_dim_cuda_templateIlEESt5tupleIJNSH_6TensorESM_SM_EERKSM_lbbbEUlllE0_EEPmJS6_EEE10hipError_tPvRmT3_T4_T5_T6_T7_T9_mT8_P12ihipStream_tbDpT10_ENKUlT_T0_E_clISt17integral_constantIbLb1EES1C_EEDaS17_S18_EUlS17_E_NS1_11comp_targetILNS1_3genE5ELNS1_11target_archE942ELNS1_3gpuE9ELNS1_3repE0EEENS1_30default_config_static_selectorELNS0_4arch9wavefront6targetE0EEEvT1_.num_named_barrier, 0
	.set _ZN7rocprim17ROCPRIM_400000_NS6detail17trampoline_kernelINS0_14default_configENS1_25partition_config_selectorILNS1_17partition_subalgoE8ElNS0_10empty_typeEbEEZZNS1_14partition_implILS5_8ELb0ES3_jPlPS6_PKS6_NS0_5tupleIJS9_S6_EEENSD_IJSA_SA_EEENS0_18inequality_wrapperIZN2at6native12_GLOBAL__N_124unique_dim_cuda_templateIlEESt5tupleIJNSH_6TensorESM_SM_EERKSM_lbbbEUlllE0_EEPmJS6_EEE10hipError_tPvRmT3_T4_T5_T6_T7_T9_mT8_P12ihipStream_tbDpT10_ENKUlT_T0_E_clISt17integral_constantIbLb1EES1C_EEDaS17_S18_EUlS17_E_NS1_11comp_targetILNS1_3genE5ELNS1_11target_archE942ELNS1_3gpuE9ELNS1_3repE0EEENS1_30default_config_static_selectorELNS0_4arch9wavefront6targetE0EEEvT1_.private_seg_size, 0
	.set _ZN7rocprim17ROCPRIM_400000_NS6detail17trampoline_kernelINS0_14default_configENS1_25partition_config_selectorILNS1_17partition_subalgoE8ElNS0_10empty_typeEbEEZZNS1_14partition_implILS5_8ELb0ES3_jPlPS6_PKS6_NS0_5tupleIJS9_S6_EEENSD_IJSA_SA_EEENS0_18inequality_wrapperIZN2at6native12_GLOBAL__N_124unique_dim_cuda_templateIlEESt5tupleIJNSH_6TensorESM_SM_EERKSM_lbbbEUlllE0_EEPmJS6_EEE10hipError_tPvRmT3_T4_T5_T6_T7_T9_mT8_P12ihipStream_tbDpT10_ENKUlT_T0_E_clISt17integral_constantIbLb1EES1C_EEDaS17_S18_EUlS17_E_NS1_11comp_targetILNS1_3genE5ELNS1_11target_archE942ELNS1_3gpuE9ELNS1_3repE0EEENS1_30default_config_static_selectorELNS0_4arch9wavefront6targetE0EEEvT1_.uses_vcc, 0
	.set _ZN7rocprim17ROCPRIM_400000_NS6detail17trampoline_kernelINS0_14default_configENS1_25partition_config_selectorILNS1_17partition_subalgoE8ElNS0_10empty_typeEbEEZZNS1_14partition_implILS5_8ELb0ES3_jPlPS6_PKS6_NS0_5tupleIJS9_S6_EEENSD_IJSA_SA_EEENS0_18inequality_wrapperIZN2at6native12_GLOBAL__N_124unique_dim_cuda_templateIlEESt5tupleIJNSH_6TensorESM_SM_EERKSM_lbbbEUlllE0_EEPmJS6_EEE10hipError_tPvRmT3_T4_T5_T6_T7_T9_mT8_P12ihipStream_tbDpT10_ENKUlT_T0_E_clISt17integral_constantIbLb1EES1C_EEDaS17_S18_EUlS17_E_NS1_11comp_targetILNS1_3genE5ELNS1_11target_archE942ELNS1_3gpuE9ELNS1_3repE0EEENS1_30default_config_static_selectorELNS0_4arch9wavefront6targetE0EEEvT1_.uses_flat_scratch, 0
	.set _ZN7rocprim17ROCPRIM_400000_NS6detail17trampoline_kernelINS0_14default_configENS1_25partition_config_selectorILNS1_17partition_subalgoE8ElNS0_10empty_typeEbEEZZNS1_14partition_implILS5_8ELb0ES3_jPlPS6_PKS6_NS0_5tupleIJS9_S6_EEENSD_IJSA_SA_EEENS0_18inequality_wrapperIZN2at6native12_GLOBAL__N_124unique_dim_cuda_templateIlEESt5tupleIJNSH_6TensorESM_SM_EERKSM_lbbbEUlllE0_EEPmJS6_EEE10hipError_tPvRmT3_T4_T5_T6_T7_T9_mT8_P12ihipStream_tbDpT10_ENKUlT_T0_E_clISt17integral_constantIbLb1EES1C_EEDaS17_S18_EUlS17_E_NS1_11comp_targetILNS1_3genE5ELNS1_11target_archE942ELNS1_3gpuE9ELNS1_3repE0EEENS1_30default_config_static_selectorELNS0_4arch9wavefront6targetE0EEEvT1_.has_dyn_sized_stack, 0
	.set _ZN7rocprim17ROCPRIM_400000_NS6detail17trampoline_kernelINS0_14default_configENS1_25partition_config_selectorILNS1_17partition_subalgoE8ElNS0_10empty_typeEbEEZZNS1_14partition_implILS5_8ELb0ES3_jPlPS6_PKS6_NS0_5tupleIJS9_S6_EEENSD_IJSA_SA_EEENS0_18inequality_wrapperIZN2at6native12_GLOBAL__N_124unique_dim_cuda_templateIlEESt5tupleIJNSH_6TensorESM_SM_EERKSM_lbbbEUlllE0_EEPmJS6_EEE10hipError_tPvRmT3_T4_T5_T6_T7_T9_mT8_P12ihipStream_tbDpT10_ENKUlT_T0_E_clISt17integral_constantIbLb1EES1C_EEDaS17_S18_EUlS17_E_NS1_11comp_targetILNS1_3genE5ELNS1_11target_archE942ELNS1_3gpuE9ELNS1_3repE0EEENS1_30default_config_static_selectorELNS0_4arch9wavefront6targetE0EEEvT1_.has_recursion, 0
	.set _ZN7rocprim17ROCPRIM_400000_NS6detail17trampoline_kernelINS0_14default_configENS1_25partition_config_selectorILNS1_17partition_subalgoE8ElNS0_10empty_typeEbEEZZNS1_14partition_implILS5_8ELb0ES3_jPlPS6_PKS6_NS0_5tupleIJS9_S6_EEENSD_IJSA_SA_EEENS0_18inequality_wrapperIZN2at6native12_GLOBAL__N_124unique_dim_cuda_templateIlEESt5tupleIJNSH_6TensorESM_SM_EERKSM_lbbbEUlllE0_EEPmJS6_EEE10hipError_tPvRmT3_T4_T5_T6_T7_T9_mT8_P12ihipStream_tbDpT10_ENKUlT_T0_E_clISt17integral_constantIbLb1EES1C_EEDaS17_S18_EUlS17_E_NS1_11comp_targetILNS1_3genE5ELNS1_11target_archE942ELNS1_3gpuE9ELNS1_3repE0EEENS1_30default_config_static_selectorELNS0_4arch9wavefront6targetE0EEEvT1_.has_indirect_call, 0
	.section	.AMDGPU.csdata,"",@progbits
; Kernel info:
; codeLenInByte = 0
; TotalNumSgprs: 0
; NumVgprs: 0
; ScratchSize: 0
; MemoryBound: 0
; FloatMode: 240
; IeeeMode: 1
; LDSByteSize: 0 bytes/workgroup (compile time only)
; SGPRBlocks: 0
; VGPRBlocks: 0
; NumSGPRsForWavesPerEU: 1
; NumVGPRsForWavesPerEU: 1
; NamedBarCnt: 0
; Occupancy: 16
; WaveLimiterHint : 0
; COMPUTE_PGM_RSRC2:SCRATCH_EN: 0
; COMPUTE_PGM_RSRC2:USER_SGPR: 2
; COMPUTE_PGM_RSRC2:TRAP_HANDLER: 0
; COMPUTE_PGM_RSRC2:TGID_X_EN: 1
; COMPUTE_PGM_RSRC2:TGID_Y_EN: 0
; COMPUTE_PGM_RSRC2:TGID_Z_EN: 0
; COMPUTE_PGM_RSRC2:TIDIG_COMP_CNT: 0
	.section	.text._ZN7rocprim17ROCPRIM_400000_NS6detail17trampoline_kernelINS0_14default_configENS1_25partition_config_selectorILNS1_17partition_subalgoE8ElNS0_10empty_typeEbEEZZNS1_14partition_implILS5_8ELb0ES3_jPlPS6_PKS6_NS0_5tupleIJS9_S6_EEENSD_IJSA_SA_EEENS0_18inequality_wrapperIZN2at6native12_GLOBAL__N_124unique_dim_cuda_templateIlEESt5tupleIJNSH_6TensorESM_SM_EERKSM_lbbbEUlllE0_EEPmJS6_EEE10hipError_tPvRmT3_T4_T5_T6_T7_T9_mT8_P12ihipStream_tbDpT10_ENKUlT_T0_E_clISt17integral_constantIbLb1EES1C_EEDaS17_S18_EUlS17_E_NS1_11comp_targetILNS1_3genE4ELNS1_11target_archE910ELNS1_3gpuE8ELNS1_3repE0EEENS1_30default_config_static_selectorELNS0_4arch9wavefront6targetE0EEEvT1_,"axG",@progbits,_ZN7rocprim17ROCPRIM_400000_NS6detail17trampoline_kernelINS0_14default_configENS1_25partition_config_selectorILNS1_17partition_subalgoE8ElNS0_10empty_typeEbEEZZNS1_14partition_implILS5_8ELb0ES3_jPlPS6_PKS6_NS0_5tupleIJS9_S6_EEENSD_IJSA_SA_EEENS0_18inequality_wrapperIZN2at6native12_GLOBAL__N_124unique_dim_cuda_templateIlEESt5tupleIJNSH_6TensorESM_SM_EERKSM_lbbbEUlllE0_EEPmJS6_EEE10hipError_tPvRmT3_T4_T5_T6_T7_T9_mT8_P12ihipStream_tbDpT10_ENKUlT_T0_E_clISt17integral_constantIbLb1EES1C_EEDaS17_S18_EUlS17_E_NS1_11comp_targetILNS1_3genE4ELNS1_11target_archE910ELNS1_3gpuE8ELNS1_3repE0EEENS1_30default_config_static_selectorELNS0_4arch9wavefront6targetE0EEEvT1_,comdat
	.globl	_ZN7rocprim17ROCPRIM_400000_NS6detail17trampoline_kernelINS0_14default_configENS1_25partition_config_selectorILNS1_17partition_subalgoE8ElNS0_10empty_typeEbEEZZNS1_14partition_implILS5_8ELb0ES3_jPlPS6_PKS6_NS0_5tupleIJS9_S6_EEENSD_IJSA_SA_EEENS0_18inequality_wrapperIZN2at6native12_GLOBAL__N_124unique_dim_cuda_templateIlEESt5tupleIJNSH_6TensorESM_SM_EERKSM_lbbbEUlllE0_EEPmJS6_EEE10hipError_tPvRmT3_T4_T5_T6_T7_T9_mT8_P12ihipStream_tbDpT10_ENKUlT_T0_E_clISt17integral_constantIbLb1EES1C_EEDaS17_S18_EUlS17_E_NS1_11comp_targetILNS1_3genE4ELNS1_11target_archE910ELNS1_3gpuE8ELNS1_3repE0EEENS1_30default_config_static_selectorELNS0_4arch9wavefront6targetE0EEEvT1_ ; -- Begin function _ZN7rocprim17ROCPRIM_400000_NS6detail17trampoline_kernelINS0_14default_configENS1_25partition_config_selectorILNS1_17partition_subalgoE8ElNS0_10empty_typeEbEEZZNS1_14partition_implILS5_8ELb0ES3_jPlPS6_PKS6_NS0_5tupleIJS9_S6_EEENSD_IJSA_SA_EEENS0_18inequality_wrapperIZN2at6native12_GLOBAL__N_124unique_dim_cuda_templateIlEESt5tupleIJNSH_6TensorESM_SM_EERKSM_lbbbEUlllE0_EEPmJS6_EEE10hipError_tPvRmT3_T4_T5_T6_T7_T9_mT8_P12ihipStream_tbDpT10_ENKUlT_T0_E_clISt17integral_constantIbLb1EES1C_EEDaS17_S18_EUlS17_E_NS1_11comp_targetILNS1_3genE4ELNS1_11target_archE910ELNS1_3gpuE8ELNS1_3repE0EEENS1_30default_config_static_selectorELNS0_4arch9wavefront6targetE0EEEvT1_
	.p2align	8
	.type	_ZN7rocprim17ROCPRIM_400000_NS6detail17trampoline_kernelINS0_14default_configENS1_25partition_config_selectorILNS1_17partition_subalgoE8ElNS0_10empty_typeEbEEZZNS1_14partition_implILS5_8ELb0ES3_jPlPS6_PKS6_NS0_5tupleIJS9_S6_EEENSD_IJSA_SA_EEENS0_18inequality_wrapperIZN2at6native12_GLOBAL__N_124unique_dim_cuda_templateIlEESt5tupleIJNSH_6TensorESM_SM_EERKSM_lbbbEUlllE0_EEPmJS6_EEE10hipError_tPvRmT3_T4_T5_T6_T7_T9_mT8_P12ihipStream_tbDpT10_ENKUlT_T0_E_clISt17integral_constantIbLb1EES1C_EEDaS17_S18_EUlS17_E_NS1_11comp_targetILNS1_3genE4ELNS1_11target_archE910ELNS1_3gpuE8ELNS1_3repE0EEENS1_30default_config_static_selectorELNS0_4arch9wavefront6targetE0EEEvT1_,@function
_ZN7rocprim17ROCPRIM_400000_NS6detail17trampoline_kernelINS0_14default_configENS1_25partition_config_selectorILNS1_17partition_subalgoE8ElNS0_10empty_typeEbEEZZNS1_14partition_implILS5_8ELb0ES3_jPlPS6_PKS6_NS0_5tupleIJS9_S6_EEENSD_IJSA_SA_EEENS0_18inequality_wrapperIZN2at6native12_GLOBAL__N_124unique_dim_cuda_templateIlEESt5tupleIJNSH_6TensorESM_SM_EERKSM_lbbbEUlllE0_EEPmJS6_EEE10hipError_tPvRmT3_T4_T5_T6_T7_T9_mT8_P12ihipStream_tbDpT10_ENKUlT_T0_E_clISt17integral_constantIbLb1EES1C_EEDaS17_S18_EUlS17_E_NS1_11comp_targetILNS1_3genE4ELNS1_11target_archE910ELNS1_3gpuE8ELNS1_3repE0EEENS1_30default_config_static_selectorELNS0_4arch9wavefront6targetE0EEEvT1_: ; @_ZN7rocprim17ROCPRIM_400000_NS6detail17trampoline_kernelINS0_14default_configENS1_25partition_config_selectorILNS1_17partition_subalgoE8ElNS0_10empty_typeEbEEZZNS1_14partition_implILS5_8ELb0ES3_jPlPS6_PKS6_NS0_5tupleIJS9_S6_EEENSD_IJSA_SA_EEENS0_18inequality_wrapperIZN2at6native12_GLOBAL__N_124unique_dim_cuda_templateIlEESt5tupleIJNSH_6TensorESM_SM_EERKSM_lbbbEUlllE0_EEPmJS6_EEE10hipError_tPvRmT3_T4_T5_T6_T7_T9_mT8_P12ihipStream_tbDpT10_ENKUlT_T0_E_clISt17integral_constantIbLb1EES1C_EEDaS17_S18_EUlS17_E_NS1_11comp_targetILNS1_3genE4ELNS1_11target_archE910ELNS1_3gpuE8ELNS1_3repE0EEENS1_30default_config_static_selectorELNS0_4arch9wavefront6targetE0EEEvT1_
; %bb.0:
	.section	.rodata,"a",@progbits
	.p2align	6, 0x0
	.amdhsa_kernel _ZN7rocprim17ROCPRIM_400000_NS6detail17trampoline_kernelINS0_14default_configENS1_25partition_config_selectorILNS1_17partition_subalgoE8ElNS0_10empty_typeEbEEZZNS1_14partition_implILS5_8ELb0ES3_jPlPS6_PKS6_NS0_5tupleIJS9_S6_EEENSD_IJSA_SA_EEENS0_18inequality_wrapperIZN2at6native12_GLOBAL__N_124unique_dim_cuda_templateIlEESt5tupleIJNSH_6TensorESM_SM_EERKSM_lbbbEUlllE0_EEPmJS6_EEE10hipError_tPvRmT3_T4_T5_T6_T7_T9_mT8_P12ihipStream_tbDpT10_ENKUlT_T0_E_clISt17integral_constantIbLb1EES1C_EEDaS17_S18_EUlS17_E_NS1_11comp_targetILNS1_3genE4ELNS1_11target_archE910ELNS1_3gpuE8ELNS1_3repE0EEENS1_30default_config_static_selectorELNS0_4arch9wavefront6targetE0EEEvT1_
		.amdhsa_group_segment_fixed_size 0
		.amdhsa_private_segment_fixed_size 0
		.amdhsa_kernarg_size 136
		.amdhsa_user_sgpr_count 2
		.amdhsa_user_sgpr_dispatch_ptr 0
		.amdhsa_user_sgpr_queue_ptr 0
		.amdhsa_user_sgpr_kernarg_segment_ptr 1
		.amdhsa_user_sgpr_dispatch_id 0
		.amdhsa_user_sgpr_kernarg_preload_length 0
		.amdhsa_user_sgpr_kernarg_preload_offset 0
		.amdhsa_user_sgpr_private_segment_size 0
		.amdhsa_wavefront_size32 1
		.amdhsa_uses_dynamic_stack 0
		.amdhsa_enable_private_segment 0
		.amdhsa_system_sgpr_workgroup_id_x 1
		.amdhsa_system_sgpr_workgroup_id_y 0
		.amdhsa_system_sgpr_workgroup_id_z 0
		.amdhsa_system_sgpr_workgroup_info 0
		.amdhsa_system_vgpr_workitem_id 0
		.amdhsa_next_free_vgpr 1
		.amdhsa_next_free_sgpr 1
		.amdhsa_named_barrier_count 0
		.amdhsa_reserve_vcc 0
		.amdhsa_float_round_mode_32 0
		.amdhsa_float_round_mode_16_64 0
		.amdhsa_float_denorm_mode_32 3
		.amdhsa_float_denorm_mode_16_64 3
		.amdhsa_fp16_overflow 0
		.amdhsa_memory_ordered 1
		.amdhsa_forward_progress 1
		.amdhsa_inst_pref_size 0
		.amdhsa_round_robin_scheduling 0
		.amdhsa_exception_fp_ieee_invalid_op 0
		.amdhsa_exception_fp_denorm_src 0
		.amdhsa_exception_fp_ieee_div_zero 0
		.amdhsa_exception_fp_ieee_overflow 0
		.amdhsa_exception_fp_ieee_underflow 0
		.amdhsa_exception_fp_ieee_inexact 0
		.amdhsa_exception_int_div_zero 0
	.end_amdhsa_kernel
	.section	.text._ZN7rocprim17ROCPRIM_400000_NS6detail17trampoline_kernelINS0_14default_configENS1_25partition_config_selectorILNS1_17partition_subalgoE8ElNS0_10empty_typeEbEEZZNS1_14partition_implILS5_8ELb0ES3_jPlPS6_PKS6_NS0_5tupleIJS9_S6_EEENSD_IJSA_SA_EEENS0_18inequality_wrapperIZN2at6native12_GLOBAL__N_124unique_dim_cuda_templateIlEESt5tupleIJNSH_6TensorESM_SM_EERKSM_lbbbEUlllE0_EEPmJS6_EEE10hipError_tPvRmT3_T4_T5_T6_T7_T9_mT8_P12ihipStream_tbDpT10_ENKUlT_T0_E_clISt17integral_constantIbLb1EES1C_EEDaS17_S18_EUlS17_E_NS1_11comp_targetILNS1_3genE4ELNS1_11target_archE910ELNS1_3gpuE8ELNS1_3repE0EEENS1_30default_config_static_selectorELNS0_4arch9wavefront6targetE0EEEvT1_,"axG",@progbits,_ZN7rocprim17ROCPRIM_400000_NS6detail17trampoline_kernelINS0_14default_configENS1_25partition_config_selectorILNS1_17partition_subalgoE8ElNS0_10empty_typeEbEEZZNS1_14partition_implILS5_8ELb0ES3_jPlPS6_PKS6_NS0_5tupleIJS9_S6_EEENSD_IJSA_SA_EEENS0_18inequality_wrapperIZN2at6native12_GLOBAL__N_124unique_dim_cuda_templateIlEESt5tupleIJNSH_6TensorESM_SM_EERKSM_lbbbEUlllE0_EEPmJS6_EEE10hipError_tPvRmT3_T4_T5_T6_T7_T9_mT8_P12ihipStream_tbDpT10_ENKUlT_T0_E_clISt17integral_constantIbLb1EES1C_EEDaS17_S18_EUlS17_E_NS1_11comp_targetILNS1_3genE4ELNS1_11target_archE910ELNS1_3gpuE8ELNS1_3repE0EEENS1_30default_config_static_selectorELNS0_4arch9wavefront6targetE0EEEvT1_,comdat
.Lfunc_end573:
	.size	_ZN7rocprim17ROCPRIM_400000_NS6detail17trampoline_kernelINS0_14default_configENS1_25partition_config_selectorILNS1_17partition_subalgoE8ElNS0_10empty_typeEbEEZZNS1_14partition_implILS5_8ELb0ES3_jPlPS6_PKS6_NS0_5tupleIJS9_S6_EEENSD_IJSA_SA_EEENS0_18inequality_wrapperIZN2at6native12_GLOBAL__N_124unique_dim_cuda_templateIlEESt5tupleIJNSH_6TensorESM_SM_EERKSM_lbbbEUlllE0_EEPmJS6_EEE10hipError_tPvRmT3_T4_T5_T6_T7_T9_mT8_P12ihipStream_tbDpT10_ENKUlT_T0_E_clISt17integral_constantIbLb1EES1C_EEDaS17_S18_EUlS17_E_NS1_11comp_targetILNS1_3genE4ELNS1_11target_archE910ELNS1_3gpuE8ELNS1_3repE0EEENS1_30default_config_static_selectorELNS0_4arch9wavefront6targetE0EEEvT1_, .Lfunc_end573-_ZN7rocprim17ROCPRIM_400000_NS6detail17trampoline_kernelINS0_14default_configENS1_25partition_config_selectorILNS1_17partition_subalgoE8ElNS0_10empty_typeEbEEZZNS1_14partition_implILS5_8ELb0ES3_jPlPS6_PKS6_NS0_5tupleIJS9_S6_EEENSD_IJSA_SA_EEENS0_18inequality_wrapperIZN2at6native12_GLOBAL__N_124unique_dim_cuda_templateIlEESt5tupleIJNSH_6TensorESM_SM_EERKSM_lbbbEUlllE0_EEPmJS6_EEE10hipError_tPvRmT3_T4_T5_T6_T7_T9_mT8_P12ihipStream_tbDpT10_ENKUlT_T0_E_clISt17integral_constantIbLb1EES1C_EEDaS17_S18_EUlS17_E_NS1_11comp_targetILNS1_3genE4ELNS1_11target_archE910ELNS1_3gpuE8ELNS1_3repE0EEENS1_30default_config_static_selectorELNS0_4arch9wavefront6targetE0EEEvT1_
                                        ; -- End function
	.set _ZN7rocprim17ROCPRIM_400000_NS6detail17trampoline_kernelINS0_14default_configENS1_25partition_config_selectorILNS1_17partition_subalgoE8ElNS0_10empty_typeEbEEZZNS1_14partition_implILS5_8ELb0ES3_jPlPS6_PKS6_NS0_5tupleIJS9_S6_EEENSD_IJSA_SA_EEENS0_18inequality_wrapperIZN2at6native12_GLOBAL__N_124unique_dim_cuda_templateIlEESt5tupleIJNSH_6TensorESM_SM_EERKSM_lbbbEUlllE0_EEPmJS6_EEE10hipError_tPvRmT3_T4_T5_T6_T7_T9_mT8_P12ihipStream_tbDpT10_ENKUlT_T0_E_clISt17integral_constantIbLb1EES1C_EEDaS17_S18_EUlS17_E_NS1_11comp_targetILNS1_3genE4ELNS1_11target_archE910ELNS1_3gpuE8ELNS1_3repE0EEENS1_30default_config_static_selectorELNS0_4arch9wavefront6targetE0EEEvT1_.num_vgpr, 0
	.set _ZN7rocprim17ROCPRIM_400000_NS6detail17trampoline_kernelINS0_14default_configENS1_25partition_config_selectorILNS1_17partition_subalgoE8ElNS0_10empty_typeEbEEZZNS1_14partition_implILS5_8ELb0ES3_jPlPS6_PKS6_NS0_5tupleIJS9_S6_EEENSD_IJSA_SA_EEENS0_18inequality_wrapperIZN2at6native12_GLOBAL__N_124unique_dim_cuda_templateIlEESt5tupleIJNSH_6TensorESM_SM_EERKSM_lbbbEUlllE0_EEPmJS6_EEE10hipError_tPvRmT3_T4_T5_T6_T7_T9_mT8_P12ihipStream_tbDpT10_ENKUlT_T0_E_clISt17integral_constantIbLb1EES1C_EEDaS17_S18_EUlS17_E_NS1_11comp_targetILNS1_3genE4ELNS1_11target_archE910ELNS1_3gpuE8ELNS1_3repE0EEENS1_30default_config_static_selectorELNS0_4arch9wavefront6targetE0EEEvT1_.num_agpr, 0
	.set _ZN7rocprim17ROCPRIM_400000_NS6detail17trampoline_kernelINS0_14default_configENS1_25partition_config_selectorILNS1_17partition_subalgoE8ElNS0_10empty_typeEbEEZZNS1_14partition_implILS5_8ELb0ES3_jPlPS6_PKS6_NS0_5tupleIJS9_S6_EEENSD_IJSA_SA_EEENS0_18inequality_wrapperIZN2at6native12_GLOBAL__N_124unique_dim_cuda_templateIlEESt5tupleIJNSH_6TensorESM_SM_EERKSM_lbbbEUlllE0_EEPmJS6_EEE10hipError_tPvRmT3_T4_T5_T6_T7_T9_mT8_P12ihipStream_tbDpT10_ENKUlT_T0_E_clISt17integral_constantIbLb1EES1C_EEDaS17_S18_EUlS17_E_NS1_11comp_targetILNS1_3genE4ELNS1_11target_archE910ELNS1_3gpuE8ELNS1_3repE0EEENS1_30default_config_static_selectorELNS0_4arch9wavefront6targetE0EEEvT1_.numbered_sgpr, 0
	.set _ZN7rocprim17ROCPRIM_400000_NS6detail17trampoline_kernelINS0_14default_configENS1_25partition_config_selectorILNS1_17partition_subalgoE8ElNS0_10empty_typeEbEEZZNS1_14partition_implILS5_8ELb0ES3_jPlPS6_PKS6_NS0_5tupleIJS9_S6_EEENSD_IJSA_SA_EEENS0_18inequality_wrapperIZN2at6native12_GLOBAL__N_124unique_dim_cuda_templateIlEESt5tupleIJNSH_6TensorESM_SM_EERKSM_lbbbEUlllE0_EEPmJS6_EEE10hipError_tPvRmT3_T4_T5_T6_T7_T9_mT8_P12ihipStream_tbDpT10_ENKUlT_T0_E_clISt17integral_constantIbLb1EES1C_EEDaS17_S18_EUlS17_E_NS1_11comp_targetILNS1_3genE4ELNS1_11target_archE910ELNS1_3gpuE8ELNS1_3repE0EEENS1_30default_config_static_selectorELNS0_4arch9wavefront6targetE0EEEvT1_.num_named_barrier, 0
	.set _ZN7rocprim17ROCPRIM_400000_NS6detail17trampoline_kernelINS0_14default_configENS1_25partition_config_selectorILNS1_17partition_subalgoE8ElNS0_10empty_typeEbEEZZNS1_14partition_implILS5_8ELb0ES3_jPlPS6_PKS6_NS0_5tupleIJS9_S6_EEENSD_IJSA_SA_EEENS0_18inequality_wrapperIZN2at6native12_GLOBAL__N_124unique_dim_cuda_templateIlEESt5tupleIJNSH_6TensorESM_SM_EERKSM_lbbbEUlllE0_EEPmJS6_EEE10hipError_tPvRmT3_T4_T5_T6_T7_T9_mT8_P12ihipStream_tbDpT10_ENKUlT_T0_E_clISt17integral_constantIbLb1EES1C_EEDaS17_S18_EUlS17_E_NS1_11comp_targetILNS1_3genE4ELNS1_11target_archE910ELNS1_3gpuE8ELNS1_3repE0EEENS1_30default_config_static_selectorELNS0_4arch9wavefront6targetE0EEEvT1_.private_seg_size, 0
	.set _ZN7rocprim17ROCPRIM_400000_NS6detail17trampoline_kernelINS0_14default_configENS1_25partition_config_selectorILNS1_17partition_subalgoE8ElNS0_10empty_typeEbEEZZNS1_14partition_implILS5_8ELb0ES3_jPlPS6_PKS6_NS0_5tupleIJS9_S6_EEENSD_IJSA_SA_EEENS0_18inequality_wrapperIZN2at6native12_GLOBAL__N_124unique_dim_cuda_templateIlEESt5tupleIJNSH_6TensorESM_SM_EERKSM_lbbbEUlllE0_EEPmJS6_EEE10hipError_tPvRmT3_T4_T5_T6_T7_T9_mT8_P12ihipStream_tbDpT10_ENKUlT_T0_E_clISt17integral_constantIbLb1EES1C_EEDaS17_S18_EUlS17_E_NS1_11comp_targetILNS1_3genE4ELNS1_11target_archE910ELNS1_3gpuE8ELNS1_3repE0EEENS1_30default_config_static_selectorELNS0_4arch9wavefront6targetE0EEEvT1_.uses_vcc, 0
	.set _ZN7rocprim17ROCPRIM_400000_NS6detail17trampoline_kernelINS0_14default_configENS1_25partition_config_selectorILNS1_17partition_subalgoE8ElNS0_10empty_typeEbEEZZNS1_14partition_implILS5_8ELb0ES3_jPlPS6_PKS6_NS0_5tupleIJS9_S6_EEENSD_IJSA_SA_EEENS0_18inequality_wrapperIZN2at6native12_GLOBAL__N_124unique_dim_cuda_templateIlEESt5tupleIJNSH_6TensorESM_SM_EERKSM_lbbbEUlllE0_EEPmJS6_EEE10hipError_tPvRmT3_T4_T5_T6_T7_T9_mT8_P12ihipStream_tbDpT10_ENKUlT_T0_E_clISt17integral_constantIbLb1EES1C_EEDaS17_S18_EUlS17_E_NS1_11comp_targetILNS1_3genE4ELNS1_11target_archE910ELNS1_3gpuE8ELNS1_3repE0EEENS1_30default_config_static_selectorELNS0_4arch9wavefront6targetE0EEEvT1_.uses_flat_scratch, 0
	.set _ZN7rocprim17ROCPRIM_400000_NS6detail17trampoline_kernelINS0_14default_configENS1_25partition_config_selectorILNS1_17partition_subalgoE8ElNS0_10empty_typeEbEEZZNS1_14partition_implILS5_8ELb0ES3_jPlPS6_PKS6_NS0_5tupleIJS9_S6_EEENSD_IJSA_SA_EEENS0_18inequality_wrapperIZN2at6native12_GLOBAL__N_124unique_dim_cuda_templateIlEESt5tupleIJNSH_6TensorESM_SM_EERKSM_lbbbEUlllE0_EEPmJS6_EEE10hipError_tPvRmT3_T4_T5_T6_T7_T9_mT8_P12ihipStream_tbDpT10_ENKUlT_T0_E_clISt17integral_constantIbLb1EES1C_EEDaS17_S18_EUlS17_E_NS1_11comp_targetILNS1_3genE4ELNS1_11target_archE910ELNS1_3gpuE8ELNS1_3repE0EEENS1_30default_config_static_selectorELNS0_4arch9wavefront6targetE0EEEvT1_.has_dyn_sized_stack, 0
	.set _ZN7rocprim17ROCPRIM_400000_NS6detail17trampoline_kernelINS0_14default_configENS1_25partition_config_selectorILNS1_17partition_subalgoE8ElNS0_10empty_typeEbEEZZNS1_14partition_implILS5_8ELb0ES3_jPlPS6_PKS6_NS0_5tupleIJS9_S6_EEENSD_IJSA_SA_EEENS0_18inequality_wrapperIZN2at6native12_GLOBAL__N_124unique_dim_cuda_templateIlEESt5tupleIJNSH_6TensorESM_SM_EERKSM_lbbbEUlllE0_EEPmJS6_EEE10hipError_tPvRmT3_T4_T5_T6_T7_T9_mT8_P12ihipStream_tbDpT10_ENKUlT_T0_E_clISt17integral_constantIbLb1EES1C_EEDaS17_S18_EUlS17_E_NS1_11comp_targetILNS1_3genE4ELNS1_11target_archE910ELNS1_3gpuE8ELNS1_3repE0EEENS1_30default_config_static_selectorELNS0_4arch9wavefront6targetE0EEEvT1_.has_recursion, 0
	.set _ZN7rocprim17ROCPRIM_400000_NS6detail17trampoline_kernelINS0_14default_configENS1_25partition_config_selectorILNS1_17partition_subalgoE8ElNS0_10empty_typeEbEEZZNS1_14partition_implILS5_8ELb0ES3_jPlPS6_PKS6_NS0_5tupleIJS9_S6_EEENSD_IJSA_SA_EEENS0_18inequality_wrapperIZN2at6native12_GLOBAL__N_124unique_dim_cuda_templateIlEESt5tupleIJNSH_6TensorESM_SM_EERKSM_lbbbEUlllE0_EEPmJS6_EEE10hipError_tPvRmT3_T4_T5_T6_T7_T9_mT8_P12ihipStream_tbDpT10_ENKUlT_T0_E_clISt17integral_constantIbLb1EES1C_EEDaS17_S18_EUlS17_E_NS1_11comp_targetILNS1_3genE4ELNS1_11target_archE910ELNS1_3gpuE8ELNS1_3repE0EEENS1_30default_config_static_selectorELNS0_4arch9wavefront6targetE0EEEvT1_.has_indirect_call, 0
	.section	.AMDGPU.csdata,"",@progbits
; Kernel info:
; codeLenInByte = 0
; TotalNumSgprs: 0
; NumVgprs: 0
; ScratchSize: 0
; MemoryBound: 0
; FloatMode: 240
; IeeeMode: 1
; LDSByteSize: 0 bytes/workgroup (compile time only)
; SGPRBlocks: 0
; VGPRBlocks: 0
; NumSGPRsForWavesPerEU: 1
; NumVGPRsForWavesPerEU: 1
; NamedBarCnt: 0
; Occupancy: 16
; WaveLimiterHint : 0
; COMPUTE_PGM_RSRC2:SCRATCH_EN: 0
; COMPUTE_PGM_RSRC2:USER_SGPR: 2
; COMPUTE_PGM_RSRC2:TRAP_HANDLER: 0
; COMPUTE_PGM_RSRC2:TGID_X_EN: 1
; COMPUTE_PGM_RSRC2:TGID_Y_EN: 0
; COMPUTE_PGM_RSRC2:TGID_Z_EN: 0
; COMPUTE_PGM_RSRC2:TIDIG_COMP_CNT: 0
	.section	.text._ZN7rocprim17ROCPRIM_400000_NS6detail17trampoline_kernelINS0_14default_configENS1_25partition_config_selectorILNS1_17partition_subalgoE8ElNS0_10empty_typeEbEEZZNS1_14partition_implILS5_8ELb0ES3_jPlPS6_PKS6_NS0_5tupleIJS9_S6_EEENSD_IJSA_SA_EEENS0_18inequality_wrapperIZN2at6native12_GLOBAL__N_124unique_dim_cuda_templateIlEESt5tupleIJNSH_6TensorESM_SM_EERKSM_lbbbEUlllE0_EEPmJS6_EEE10hipError_tPvRmT3_T4_T5_T6_T7_T9_mT8_P12ihipStream_tbDpT10_ENKUlT_T0_E_clISt17integral_constantIbLb1EES1C_EEDaS17_S18_EUlS17_E_NS1_11comp_targetILNS1_3genE3ELNS1_11target_archE908ELNS1_3gpuE7ELNS1_3repE0EEENS1_30default_config_static_selectorELNS0_4arch9wavefront6targetE0EEEvT1_,"axG",@progbits,_ZN7rocprim17ROCPRIM_400000_NS6detail17trampoline_kernelINS0_14default_configENS1_25partition_config_selectorILNS1_17partition_subalgoE8ElNS0_10empty_typeEbEEZZNS1_14partition_implILS5_8ELb0ES3_jPlPS6_PKS6_NS0_5tupleIJS9_S6_EEENSD_IJSA_SA_EEENS0_18inequality_wrapperIZN2at6native12_GLOBAL__N_124unique_dim_cuda_templateIlEESt5tupleIJNSH_6TensorESM_SM_EERKSM_lbbbEUlllE0_EEPmJS6_EEE10hipError_tPvRmT3_T4_T5_T6_T7_T9_mT8_P12ihipStream_tbDpT10_ENKUlT_T0_E_clISt17integral_constantIbLb1EES1C_EEDaS17_S18_EUlS17_E_NS1_11comp_targetILNS1_3genE3ELNS1_11target_archE908ELNS1_3gpuE7ELNS1_3repE0EEENS1_30default_config_static_selectorELNS0_4arch9wavefront6targetE0EEEvT1_,comdat
	.globl	_ZN7rocprim17ROCPRIM_400000_NS6detail17trampoline_kernelINS0_14default_configENS1_25partition_config_selectorILNS1_17partition_subalgoE8ElNS0_10empty_typeEbEEZZNS1_14partition_implILS5_8ELb0ES3_jPlPS6_PKS6_NS0_5tupleIJS9_S6_EEENSD_IJSA_SA_EEENS0_18inequality_wrapperIZN2at6native12_GLOBAL__N_124unique_dim_cuda_templateIlEESt5tupleIJNSH_6TensorESM_SM_EERKSM_lbbbEUlllE0_EEPmJS6_EEE10hipError_tPvRmT3_T4_T5_T6_T7_T9_mT8_P12ihipStream_tbDpT10_ENKUlT_T0_E_clISt17integral_constantIbLb1EES1C_EEDaS17_S18_EUlS17_E_NS1_11comp_targetILNS1_3genE3ELNS1_11target_archE908ELNS1_3gpuE7ELNS1_3repE0EEENS1_30default_config_static_selectorELNS0_4arch9wavefront6targetE0EEEvT1_ ; -- Begin function _ZN7rocprim17ROCPRIM_400000_NS6detail17trampoline_kernelINS0_14default_configENS1_25partition_config_selectorILNS1_17partition_subalgoE8ElNS0_10empty_typeEbEEZZNS1_14partition_implILS5_8ELb0ES3_jPlPS6_PKS6_NS0_5tupleIJS9_S6_EEENSD_IJSA_SA_EEENS0_18inequality_wrapperIZN2at6native12_GLOBAL__N_124unique_dim_cuda_templateIlEESt5tupleIJNSH_6TensorESM_SM_EERKSM_lbbbEUlllE0_EEPmJS6_EEE10hipError_tPvRmT3_T4_T5_T6_T7_T9_mT8_P12ihipStream_tbDpT10_ENKUlT_T0_E_clISt17integral_constantIbLb1EES1C_EEDaS17_S18_EUlS17_E_NS1_11comp_targetILNS1_3genE3ELNS1_11target_archE908ELNS1_3gpuE7ELNS1_3repE0EEENS1_30default_config_static_selectorELNS0_4arch9wavefront6targetE0EEEvT1_
	.p2align	8
	.type	_ZN7rocprim17ROCPRIM_400000_NS6detail17trampoline_kernelINS0_14default_configENS1_25partition_config_selectorILNS1_17partition_subalgoE8ElNS0_10empty_typeEbEEZZNS1_14partition_implILS5_8ELb0ES3_jPlPS6_PKS6_NS0_5tupleIJS9_S6_EEENSD_IJSA_SA_EEENS0_18inequality_wrapperIZN2at6native12_GLOBAL__N_124unique_dim_cuda_templateIlEESt5tupleIJNSH_6TensorESM_SM_EERKSM_lbbbEUlllE0_EEPmJS6_EEE10hipError_tPvRmT3_T4_T5_T6_T7_T9_mT8_P12ihipStream_tbDpT10_ENKUlT_T0_E_clISt17integral_constantIbLb1EES1C_EEDaS17_S18_EUlS17_E_NS1_11comp_targetILNS1_3genE3ELNS1_11target_archE908ELNS1_3gpuE7ELNS1_3repE0EEENS1_30default_config_static_selectorELNS0_4arch9wavefront6targetE0EEEvT1_,@function
_ZN7rocprim17ROCPRIM_400000_NS6detail17trampoline_kernelINS0_14default_configENS1_25partition_config_selectorILNS1_17partition_subalgoE8ElNS0_10empty_typeEbEEZZNS1_14partition_implILS5_8ELb0ES3_jPlPS6_PKS6_NS0_5tupleIJS9_S6_EEENSD_IJSA_SA_EEENS0_18inequality_wrapperIZN2at6native12_GLOBAL__N_124unique_dim_cuda_templateIlEESt5tupleIJNSH_6TensorESM_SM_EERKSM_lbbbEUlllE0_EEPmJS6_EEE10hipError_tPvRmT3_T4_T5_T6_T7_T9_mT8_P12ihipStream_tbDpT10_ENKUlT_T0_E_clISt17integral_constantIbLb1EES1C_EEDaS17_S18_EUlS17_E_NS1_11comp_targetILNS1_3genE3ELNS1_11target_archE908ELNS1_3gpuE7ELNS1_3repE0EEENS1_30default_config_static_selectorELNS0_4arch9wavefront6targetE0EEEvT1_: ; @_ZN7rocprim17ROCPRIM_400000_NS6detail17trampoline_kernelINS0_14default_configENS1_25partition_config_selectorILNS1_17partition_subalgoE8ElNS0_10empty_typeEbEEZZNS1_14partition_implILS5_8ELb0ES3_jPlPS6_PKS6_NS0_5tupleIJS9_S6_EEENSD_IJSA_SA_EEENS0_18inequality_wrapperIZN2at6native12_GLOBAL__N_124unique_dim_cuda_templateIlEESt5tupleIJNSH_6TensorESM_SM_EERKSM_lbbbEUlllE0_EEPmJS6_EEE10hipError_tPvRmT3_T4_T5_T6_T7_T9_mT8_P12ihipStream_tbDpT10_ENKUlT_T0_E_clISt17integral_constantIbLb1EES1C_EEDaS17_S18_EUlS17_E_NS1_11comp_targetILNS1_3genE3ELNS1_11target_archE908ELNS1_3gpuE7ELNS1_3repE0EEENS1_30default_config_static_selectorELNS0_4arch9wavefront6targetE0EEEvT1_
; %bb.0:
	.section	.rodata,"a",@progbits
	.p2align	6, 0x0
	.amdhsa_kernel _ZN7rocprim17ROCPRIM_400000_NS6detail17trampoline_kernelINS0_14default_configENS1_25partition_config_selectorILNS1_17partition_subalgoE8ElNS0_10empty_typeEbEEZZNS1_14partition_implILS5_8ELb0ES3_jPlPS6_PKS6_NS0_5tupleIJS9_S6_EEENSD_IJSA_SA_EEENS0_18inequality_wrapperIZN2at6native12_GLOBAL__N_124unique_dim_cuda_templateIlEESt5tupleIJNSH_6TensorESM_SM_EERKSM_lbbbEUlllE0_EEPmJS6_EEE10hipError_tPvRmT3_T4_T5_T6_T7_T9_mT8_P12ihipStream_tbDpT10_ENKUlT_T0_E_clISt17integral_constantIbLb1EES1C_EEDaS17_S18_EUlS17_E_NS1_11comp_targetILNS1_3genE3ELNS1_11target_archE908ELNS1_3gpuE7ELNS1_3repE0EEENS1_30default_config_static_selectorELNS0_4arch9wavefront6targetE0EEEvT1_
		.amdhsa_group_segment_fixed_size 0
		.amdhsa_private_segment_fixed_size 0
		.amdhsa_kernarg_size 136
		.amdhsa_user_sgpr_count 2
		.amdhsa_user_sgpr_dispatch_ptr 0
		.amdhsa_user_sgpr_queue_ptr 0
		.amdhsa_user_sgpr_kernarg_segment_ptr 1
		.amdhsa_user_sgpr_dispatch_id 0
		.amdhsa_user_sgpr_kernarg_preload_length 0
		.amdhsa_user_sgpr_kernarg_preload_offset 0
		.amdhsa_user_sgpr_private_segment_size 0
		.amdhsa_wavefront_size32 1
		.amdhsa_uses_dynamic_stack 0
		.amdhsa_enable_private_segment 0
		.amdhsa_system_sgpr_workgroup_id_x 1
		.amdhsa_system_sgpr_workgroup_id_y 0
		.amdhsa_system_sgpr_workgroup_id_z 0
		.amdhsa_system_sgpr_workgroup_info 0
		.amdhsa_system_vgpr_workitem_id 0
		.amdhsa_next_free_vgpr 1
		.amdhsa_next_free_sgpr 1
		.amdhsa_named_barrier_count 0
		.amdhsa_reserve_vcc 0
		.amdhsa_float_round_mode_32 0
		.amdhsa_float_round_mode_16_64 0
		.amdhsa_float_denorm_mode_32 3
		.amdhsa_float_denorm_mode_16_64 3
		.amdhsa_fp16_overflow 0
		.amdhsa_memory_ordered 1
		.amdhsa_forward_progress 1
		.amdhsa_inst_pref_size 0
		.amdhsa_round_robin_scheduling 0
		.amdhsa_exception_fp_ieee_invalid_op 0
		.amdhsa_exception_fp_denorm_src 0
		.amdhsa_exception_fp_ieee_div_zero 0
		.amdhsa_exception_fp_ieee_overflow 0
		.amdhsa_exception_fp_ieee_underflow 0
		.amdhsa_exception_fp_ieee_inexact 0
		.amdhsa_exception_int_div_zero 0
	.end_amdhsa_kernel
	.section	.text._ZN7rocprim17ROCPRIM_400000_NS6detail17trampoline_kernelINS0_14default_configENS1_25partition_config_selectorILNS1_17partition_subalgoE8ElNS0_10empty_typeEbEEZZNS1_14partition_implILS5_8ELb0ES3_jPlPS6_PKS6_NS0_5tupleIJS9_S6_EEENSD_IJSA_SA_EEENS0_18inequality_wrapperIZN2at6native12_GLOBAL__N_124unique_dim_cuda_templateIlEESt5tupleIJNSH_6TensorESM_SM_EERKSM_lbbbEUlllE0_EEPmJS6_EEE10hipError_tPvRmT3_T4_T5_T6_T7_T9_mT8_P12ihipStream_tbDpT10_ENKUlT_T0_E_clISt17integral_constantIbLb1EES1C_EEDaS17_S18_EUlS17_E_NS1_11comp_targetILNS1_3genE3ELNS1_11target_archE908ELNS1_3gpuE7ELNS1_3repE0EEENS1_30default_config_static_selectorELNS0_4arch9wavefront6targetE0EEEvT1_,"axG",@progbits,_ZN7rocprim17ROCPRIM_400000_NS6detail17trampoline_kernelINS0_14default_configENS1_25partition_config_selectorILNS1_17partition_subalgoE8ElNS0_10empty_typeEbEEZZNS1_14partition_implILS5_8ELb0ES3_jPlPS6_PKS6_NS0_5tupleIJS9_S6_EEENSD_IJSA_SA_EEENS0_18inequality_wrapperIZN2at6native12_GLOBAL__N_124unique_dim_cuda_templateIlEESt5tupleIJNSH_6TensorESM_SM_EERKSM_lbbbEUlllE0_EEPmJS6_EEE10hipError_tPvRmT3_T4_T5_T6_T7_T9_mT8_P12ihipStream_tbDpT10_ENKUlT_T0_E_clISt17integral_constantIbLb1EES1C_EEDaS17_S18_EUlS17_E_NS1_11comp_targetILNS1_3genE3ELNS1_11target_archE908ELNS1_3gpuE7ELNS1_3repE0EEENS1_30default_config_static_selectorELNS0_4arch9wavefront6targetE0EEEvT1_,comdat
.Lfunc_end574:
	.size	_ZN7rocprim17ROCPRIM_400000_NS6detail17trampoline_kernelINS0_14default_configENS1_25partition_config_selectorILNS1_17partition_subalgoE8ElNS0_10empty_typeEbEEZZNS1_14partition_implILS5_8ELb0ES3_jPlPS6_PKS6_NS0_5tupleIJS9_S6_EEENSD_IJSA_SA_EEENS0_18inequality_wrapperIZN2at6native12_GLOBAL__N_124unique_dim_cuda_templateIlEESt5tupleIJNSH_6TensorESM_SM_EERKSM_lbbbEUlllE0_EEPmJS6_EEE10hipError_tPvRmT3_T4_T5_T6_T7_T9_mT8_P12ihipStream_tbDpT10_ENKUlT_T0_E_clISt17integral_constantIbLb1EES1C_EEDaS17_S18_EUlS17_E_NS1_11comp_targetILNS1_3genE3ELNS1_11target_archE908ELNS1_3gpuE7ELNS1_3repE0EEENS1_30default_config_static_selectorELNS0_4arch9wavefront6targetE0EEEvT1_, .Lfunc_end574-_ZN7rocprim17ROCPRIM_400000_NS6detail17trampoline_kernelINS0_14default_configENS1_25partition_config_selectorILNS1_17partition_subalgoE8ElNS0_10empty_typeEbEEZZNS1_14partition_implILS5_8ELb0ES3_jPlPS6_PKS6_NS0_5tupleIJS9_S6_EEENSD_IJSA_SA_EEENS0_18inequality_wrapperIZN2at6native12_GLOBAL__N_124unique_dim_cuda_templateIlEESt5tupleIJNSH_6TensorESM_SM_EERKSM_lbbbEUlllE0_EEPmJS6_EEE10hipError_tPvRmT3_T4_T5_T6_T7_T9_mT8_P12ihipStream_tbDpT10_ENKUlT_T0_E_clISt17integral_constantIbLb1EES1C_EEDaS17_S18_EUlS17_E_NS1_11comp_targetILNS1_3genE3ELNS1_11target_archE908ELNS1_3gpuE7ELNS1_3repE0EEENS1_30default_config_static_selectorELNS0_4arch9wavefront6targetE0EEEvT1_
                                        ; -- End function
	.set _ZN7rocprim17ROCPRIM_400000_NS6detail17trampoline_kernelINS0_14default_configENS1_25partition_config_selectorILNS1_17partition_subalgoE8ElNS0_10empty_typeEbEEZZNS1_14partition_implILS5_8ELb0ES3_jPlPS6_PKS6_NS0_5tupleIJS9_S6_EEENSD_IJSA_SA_EEENS0_18inequality_wrapperIZN2at6native12_GLOBAL__N_124unique_dim_cuda_templateIlEESt5tupleIJNSH_6TensorESM_SM_EERKSM_lbbbEUlllE0_EEPmJS6_EEE10hipError_tPvRmT3_T4_T5_T6_T7_T9_mT8_P12ihipStream_tbDpT10_ENKUlT_T0_E_clISt17integral_constantIbLb1EES1C_EEDaS17_S18_EUlS17_E_NS1_11comp_targetILNS1_3genE3ELNS1_11target_archE908ELNS1_3gpuE7ELNS1_3repE0EEENS1_30default_config_static_selectorELNS0_4arch9wavefront6targetE0EEEvT1_.num_vgpr, 0
	.set _ZN7rocprim17ROCPRIM_400000_NS6detail17trampoline_kernelINS0_14default_configENS1_25partition_config_selectorILNS1_17partition_subalgoE8ElNS0_10empty_typeEbEEZZNS1_14partition_implILS5_8ELb0ES3_jPlPS6_PKS6_NS0_5tupleIJS9_S6_EEENSD_IJSA_SA_EEENS0_18inequality_wrapperIZN2at6native12_GLOBAL__N_124unique_dim_cuda_templateIlEESt5tupleIJNSH_6TensorESM_SM_EERKSM_lbbbEUlllE0_EEPmJS6_EEE10hipError_tPvRmT3_T4_T5_T6_T7_T9_mT8_P12ihipStream_tbDpT10_ENKUlT_T0_E_clISt17integral_constantIbLb1EES1C_EEDaS17_S18_EUlS17_E_NS1_11comp_targetILNS1_3genE3ELNS1_11target_archE908ELNS1_3gpuE7ELNS1_3repE0EEENS1_30default_config_static_selectorELNS0_4arch9wavefront6targetE0EEEvT1_.num_agpr, 0
	.set _ZN7rocprim17ROCPRIM_400000_NS6detail17trampoline_kernelINS0_14default_configENS1_25partition_config_selectorILNS1_17partition_subalgoE8ElNS0_10empty_typeEbEEZZNS1_14partition_implILS5_8ELb0ES3_jPlPS6_PKS6_NS0_5tupleIJS9_S6_EEENSD_IJSA_SA_EEENS0_18inequality_wrapperIZN2at6native12_GLOBAL__N_124unique_dim_cuda_templateIlEESt5tupleIJNSH_6TensorESM_SM_EERKSM_lbbbEUlllE0_EEPmJS6_EEE10hipError_tPvRmT3_T4_T5_T6_T7_T9_mT8_P12ihipStream_tbDpT10_ENKUlT_T0_E_clISt17integral_constantIbLb1EES1C_EEDaS17_S18_EUlS17_E_NS1_11comp_targetILNS1_3genE3ELNS1_11target_archE908ELNS1_3gpuE7ELNS1_3repE0EEENS1_30default_config_static_selectorELNS0_4arch9wavefront6targetE0EEEvT1_.numbered_sgpr, 0
	.set _ZN7rocprim17ROCPRIM_400000_NS6detail17trampoline_kernelINS0_14default_configENS1_25partition_config_selectorILNS1_17partition_subalgoE8ElNS0_10empty_typeEbEEZZNS1_14partition_implILS5_8ELb0ES3_jPlPS6_PKS6_NS0_5tupleIJS9_S6_EEENSD_IJSA_SA_EEENS0_18inequality_wrapperIZN2at6native12_GLOBAL__N_124unique_dim_cuda_templateIlEESt5tupleIJNSH_6TensorESM_SM_EERKSM_lbbbEUlllE0_EEPmJS6_EEE10hipError_tPvRmT3_T4_T5_T6_T7_T9_mT8_P12ihipStream_tbDpT10_ENKUlT_T0_E_clISt17integral_constantIbLb1EES1C_EEDaS17_S18_EUlS17_E_NS1_11comp_targetILNS1_3genE3ELNS1_11target_archE908ELNS1_3gpuE7ELNS1_3repE0EEENS1_30default_config_static_selectorELNS0_4arch9wavefront6targetE0EEEvT1_.num_named_barrier, 0
	.set _ZN7rocprim17ROCPRIM_400000_NS6detail17trampoline_kernelINS0_14default_configENS1_25partition_config_selectorILNS1_17partition_subalgoE8ElNS0_10empty_typeEbEEZZNS1_14partition_implILS5_8ELb0ES3_jPlPS6_PKS6_NS0_5tupleIJS9_S6_EEENSD_IJSA_SA_EEENS0_18inequality_wrapperIZN2at6native12_GLOBAL__N_124unique_dim_cuda_templateIlEESt5tupleIJNSH_6TensorESM_SM_EERKSM_lbbbEUlllE0_EEPmJS6_EEE10hipError_tPvRmT3_T4_T5_T6_T7_T9_mT8_P12ihipStream_tbDpT10_ENKUlT_T0_E_clISt17integral_constantIbLb1EES1C_EEDaS17_S18_EUlS17_E_NS1_11comp_targetILNS1_3genE3ELNS1_11target_archE908ELNS1_3gpuE7ELNS1_3repE0EEENS1_30default_config_static_selectorELNS0_4arch9wavefront6targetE0EEEvT1_.private_seg_size, 0
	.set _ZN7rocprim17ROCPRIM_400000_NS6detail17trampoline_kernelINS0_14default_configENS1_25partition_config_selectorILNS1_17partition_subalgoE8ElNS0_10empty_typeEbEEZZNS1_14partition_implILS5_8ELb0ES3_jPlPS6_PKS6_NS0_5tupleIJS9_S6_EEENSD_IJSA_SA_EEENS0_18inequality_wrapperIZN2at6native12_GLOBAL__N_124unique_dim_cuda_templateIlEESt5tupleIJNSH_6TensorESM_SM_EERKSM_lbbbEUlllE0_EEPmJS6_EEE10hipError_tPvRmT3_T4_T5_T6_T7_T9_mT8_P12ihipStream_tbDpT10_ENKUlT_T0_E_clISt17integral_constantIbLb1EES1C_EEDaS17_S18_EUlS17_E_NS1_11comp_targetILNS1_3genE3ELNS1_11target_archE908ELNS1_3gpuE7ELNS1_3repE0EEENS1_30default_config_static_selectorELNS0_4arch9wavefront6targetE0EEEvT1_.uses_vcc, 0
	.set _ZN7rocprim17ROCPRIM_400000_NS6detail17trampoline_kernelINS0_14default_configENS1_25partition_config_selectorILNS1_17partition_subalgoE8ElNS0_10empty_typeEbEEZZNS1_14partition_implILS5_8ELb0ES3_jPlPS6_PKS6_NS0_5tupleIJS9_S6_EEENSD_IJSA_SA_EEENS0_18inequality_wrapperIZN2at6native12_GLOBAL__N_124unique_dim_cuda_templateIlEESt5tupleIJNSH_6TensorESM_SM_EERKSM_lbbbEUlllE0_EEPmJS6_EEE10hipError_tPvRmT3_T4_T5_T6_T7_T9_mT8_P12ihipStream_tbDpT10_ENKUlT_T0_E_clISt17integral_constantIbLb1EES1C_EEDaS17_S18_EUlS17_E_NS1_11comp_targetILNS1_3genE3ELNS1_11target_archE908ELNS1_3gpuE7ELNS1_3repE0EEENS1_30default_config_static_selectorELNS0_4arch9wavefront6targetE0EEEvT1_.uses_flat_scratch, 0
	.set _ZN7rocprim17ROCPRIM_400000_NS6detail17trampoline_kernelINS0_14default_configENS1_25partition_config_selectorILNS1_17partition_subalgoE8ElNS0_10empty_typeEbEEZZNS1_14partition_implILS5_8ELb0ES3_jPlPS6_PKS6_NS0_5tupleIJS9_S6_EEENSD_IJSA_SA_EEENS0_18inequality_wrapperIZN2at6native12_GLOBAL__N_124unique_dim_cuda_templateIlEESt5tupleIJNSH_6TensorESM_SM_EERKSM_lbbbEUlllE0_EEPmJS6_EEE10hipError_tPvRmT3_T4_T5_T6_T7_T9_mT8_P12ihipStream_tbDpT10_ENKUlT_T0_E_clISt17integral_constantIbLb1EES1C_EEDaS17_S18_EUlS17_E_NS1_11comp_targetILNS1_3genE3ELNS1_11target_archE908ELNS1_3gpuE7ELNS1_3repE0EEENS1_30default_config_static_selectorELNS0_4arch9wavefront6targetE0EEEvT1_.has_dyn_sized_stack, 0
	.set _ZN7rocprim17ROCPRIM_400000_NS6detail17trampoline_kernelINS0_14default_configENS1_25partition_config_selectorILNS1_17partition_subalgoE8ElNS0_10empty_typeEbEEZZNS1_14partition_implILS5_8ELb0ES3_jPlPS6_PKS6_NS0_5tupleIJS9_S6_EEENSD_IJSA_SA_EEENS0_18inequality_wrapperIZN2at6native12_GLOBAL__N_124unique_dim_cuda_templateIlEESt5tupleIJNSH_6TensorESM_SM_EERKSM_lbbbEUlllE0_EEPmJS6_EEE10hipError_tPvRmT3_T4_T5_T6_T7_T9_mT8_P12ihipStream_tbDpT10_ENKUlT_T0_E_clISt17integral_constantIbLb1EES1C_EEDaS17_S18_EUlS17_E_NS1_11comp_targetILNS1_3genE3ELNS1_11target_archE908ELNS1_3gpuE7ELNS1_3repE0EEENS1_30default_config_static_selectorELNS0_4arch9wavefront6targetE0EEEvT1_.has_recursion, 0
	.set _ZN7rocprim17ROCPRIM_400000_NS6detail17trampoline_kernelINS0_14default_configENS1_25partition_config_selectorILNS1_17partition_subalgoE8ElNS0_10empty_typeEbEEZZNS1_14partition_implILS5_8ELb0ES3_jPlPS6_PKS6_NS0_5tupleIJS9_S6_EEENSD_IJSA_SA_EEENS0_18inequality_wrapperIZN2at6native12_GLOBAL__N_124unique_dim_cuda_templateIlEESt5tupleIJNSH_6TensorESM_SM_EERKSM_lbbbEUlllE0_EEPmJS6_EEE10hipError_tPvRmT3_T4_T5_T6_T7_T9_mT8_P12ihipStream_tbDpT10_ENKUlT_T0_E_clISt17integral_constantIbLb1EES1C_EEDaS17_S18_EUlS17_E_NS1_11comp_targetILNS1_3genE3ELNS1_11target_archE908ELNS1_3gpuE7ELNS1_3repE0EEENS1_30default_config_static_selectorELNS0_4arch9wavefront6targetE0EEEvT1_.has_indirect_call, 0
	.section	.AMDGPU.csdata,"",@progbits
; Kernel info:
; codeLenInByte = 0
; TotalNumSgprs: 0
; NumVgprs: 0
; ScratchSize: 0
; MemoryBound: 0
; FloatMode: 240
; IeeeMode: 1
; LDSByteSize: 0 bytes/workgroup (compile time only)
; SGPRBlocks: 0
; VGPRBlocks: 0
; NumSGPRsForWavesPerEU: 1
; NumVGPRsForWavesPerEU: 1
; NamedBarCnt: 0
; Occupancy: 16
; WaveLimiterHint : 0
; COMPUTE_PGM_RSRC2:SCRATCH_EN: 0
; COMPUTE_PGM_RSRC2:USER_SGPR: 2
; COMPUTE_PGM_RSRC2:TRAP_HANDLER: 0
; COMPUTE_PGM_RSRC2:TGID_X_EN: 1
; COMPUTE_PGM_RSRC2:TGID_Y_EN: 0
; COMPUTE_PGM_RSRC2:TGID_Z_EN: 0
; COMPUTE_PGM_RSRC2:TIDIG_COMP_CNT: 0
	.section	.text._ZN7rocprim17ROCPRIM_400000_NS6detail17trampoline_kernelINS0_14default_configENS1_25partition_config_selectorILNS1_17partition_subalgoE8ElNS0_10empty_typeEbEEZZNS1_14partition_implILS5_8ELb0ES3_jPlPS6_PKS6_NS0_5tupleIJS9_S6_EEENSD_IJSA_SA_EEENS0_18inequality_wrapperIZN2at6native12_GLOBAL__N_124unique_dim_cuda_templateIlEESt5tupleIJNSH_6TensorESM_SM_EERKSM_lbbbEUlllE0_EEPmJS6_EEE10hipError_tPvRmT3_T4_T5_T6_T7_T9_mT8_P12ihipStream_tbDpT10_ENKUlT_T0_E_clISt17integral_constantIbLb1EES1C_EEDaS17_S18_EUlS17_E_NS1_11comp_targetILNS1_3genE2ELNS1_11target_archE906ELNS1_3gpuE6ELNS1_3repE0EEENS1_30default_config_static_selectorELNS0_4arch9wavefront6targetE0EEEvT1_,"axG",@progbits,_ZN7rocprim17ROCPRIM_400000_NS6detail17trampoline_kernelINS0_14default_configENS1_25partition_config_selectorILNS1_17partition_subalgoE8ElNS0_10empty_typeEbEEZZNS1_14partition_implILS5_8ELb0ES3_jPlPS6_PKS6_NS0_5tupleIJS9_S6_EEENSD_IJSA_SA_EEENS0_18inequality_wrapperIZN2at6native12_GLOBAL__N_124unique_dim_cuda_templateIlEESt5tupleIJNSH_6TensorESM_SM_EERKSM_lbbbEUlllE0_EEPmJS6_EEE10hipError_tPvRmT3_T4_T5_T6_T7_T9_mT8_P12ihipStream_tbDpT10_ENKUlT_T0_E_clISt17integral_constantIbLb1EES1C_EEDaS17_S18_EUlS17_E_NS1_11comp_targetILNS1_3genE2ELNS1_11target_archE906ELNS1_3gpuE6ELNS1_3repE0EEENS1_30default_config_static_selectorELNS0_4arch9wavefront6targetE0EEEvT1_,comdat
	.globl	_ZN7rocprim17ROCPRIM_400000_NS6detail17trampoline_kernelINS0_14default_configENS1_25partition_config_selectorILNS1_17partition_subalgoE8ElNS0_10empty_typeEbEEZZNS1_14partition_implILS5_8ELb0ES3_jPlPS6_PKS6_NS0_5tupleIJS9_S6_EEENSD_IJSA_SA_EEENS0_18inequality_wrapperIZN2at6native12_GLOBAL__N_124unique_dim_cuda_templateIlEESt5tupleIJNSH_6TensorESM_SM_EERKSM_lbbbEUlllE0_EEPmJS6_EEE10hipError_tPvRmT3_T4_T5_T6_T7_T9_mT8_P12ihipStream_tbDpT10_ENKUlT_T0_E_clISt17integral_constantIbLb1EES1C_EEDaS17_S18_EUlS17_E_NS1_11comp_targetILNS1_3genE2ELNS1_11target_archE906ELNS1_3gpuE6ELNS1_3repE0EEENS1_30default_config_static_selectorELNS0_4arch9wavefront6targetE0EEEvT1_ ; -- Begin function _ZN7rocprim17ROCPRIM_400000_NS6detail17trampoline_kernelINS0_14default_configENS1_25partition_config_selectorILNS1_17partition_subalgoE8ElNS0_10empty_typeEbEEZZNS1_14partition_implILS5_8ELb0ES3_jPlPS6_PKS6_NS0_5tupleIJS9_S6_EEENSD_IJSA_SA_EEENS0_18inequality_wrapperIZN2at6native12_GLOBAL__N_124unique_dim_cuda_templateIlEESt5tupleIJNSH_6TensorESM_SM_EERKSM_lbbbEUlllE0_EEPmJS6_EEE10hipError_tPvRmT3_T4_T5_T6_T7_T9_mT8_P12ihipStream_tbDpT10_ENKUlT_T0_E_clISt17integral_constantIbLb1EES1C_EEDaS17_S18_EUlS17_E_NS1_11comp_targetILNS1_3genE2ELNS1_11target_archE906ELNS1_3gpuE6ELNS1_3repE0EEENS1_30default_config_static_selectorELNS0_4arch9wavefront6targetE0EEEvT1_
	.p2align	8
	.type	_ZN7rocprim17ROCPRIM_400000_NS6detail17trampoline_kernelINS0_14default_configENS1_25partition_config_selectorILNS1_17partition_subalgoE8ElNS0_10empty_typeEbEEZZNS1_14partition_implILS5_8ELb0ES3_jPlPS6_PKS6_NS0_5tupleIJS9_S6_EEENSD_IJSA_SA_EEENS0_18inequality_wrapperIZN2at6native12_GLOBAL__N_124unique_dim_cuda_templateIlEESt5tupleIJNSH_6TensorESM_SM_EERKSM_lbbbEUlllE0_EEPmJS6_EEE10hipError_tPvRmT3_T4_T5_T6_T7_T9_mT8_P12ihipStream_tbDpT10_ENKUlT_T0_E_clISt17integral_constantIbLb1EES1C_EEDaS17_S18_EUlS17_E_NS1_11comp_targetILNS1_3genE2ELNS1_11target_archE906ELNS1_3gpuE6ELNS1_3repE0EEENS1_30default_config_static_selectorELNS0_4arch9wavefront6targetE0EEEvT1_,@function
_ZN7rocprim17ROCPRIM_400000_NS6detail17trampoline_kernelINS0_14default_configENS1_25partition_config_selectorILNS1_17partition_subalgoE8ElNS0_10empty_typeEbEEZZNS1_14partition_implILS5_8ELb0ES3_jPlPS6_PKS6_NS0_5tupleIJS9_S6_EEENSD_IJSA_SA_EEENS0_18inequality_wrapperIZN2at6native12_GLOBAL__N_124unique_dim_cuda_templateIlEESt5tupleIJNSH_6TensorESM_SM_EERKSM_lbbbEUlllE0_EEPmJS6_EEE10hipError_tPvRmT3_T4_T5_T6_T7_T9_mT8_P12ihipStream_tbDpT10_ENKUlT_T0_E_clISt17integral_constantIbLb1EES1C_EEDaS17_S18_EUlS17_E_NS1_11comp_targetILNS1_3genE2ELNS1_11target_archE906ELNS1_3gpuE6ELNS1_3repE0EEENS1_30default_config_static_selectorELNS0_4arch9wavefront6targetE0EEEvT1_: ; @_ZN7rocprim17ROCPRIM_400000_NS6detail17trampoline_kernelINS0_14default_configENS1_25partition_config_selectorILNS1_17partition_subalgoE8ElNS0_10empty_typeEbEEZZNS1_14partition_implILS5_8ELb0ES3_jPlPS6_PKS6_NS0_5tupleIJS9_S6_EEENSD_IJSA_SA_EEENS0_18inequality_wrapperIZN2at6native12_GLOBAL__N_124unique_dim_cuda_templateIlEESt5tupleIJNSH_6TensorESM_SM_EERKSM_lbbbEUlllE0_EEPmJS6_EEE10hipError_tPvRmT3_T4_T5_T6_T7_T9_mT8_P12ihipStream_tbDpT10_ENKUlT_T0_E_clISt17integral_constantIbLb1EES1C_EEDaS17_S18_EUlS17_E_NS1_11comp_targetILNS1_3genE2ELNS1_11target_archE906ELNS1_3gpuE6ELNS1_3repE0EEENS1_30default_config_static_selectorELNS0_4arch9wavefront6targetE0EEEvT1_
; %bb.0:
	.section	.rodata,"a",@progbits
	.p2align	6, 0x0
	.amdhsa_kernel _ZN7rocprim17ROCPRIM_400000_NS6detail17trampoline_kernelINS0_14default_configENS1_25partition_config_selectorILNS1_17partition_subalgoE8ElNS0_10empty_typeEbEEZZNS1_14partition_implILS5_8ELb0ES3_jPlPS6_PKS6_NS0_5tupleIJS9_S6_EEENSD_IJSA_SA_EEENS0_18inequality_wrapperIZN2at6native12_GLOBAL__N_124unique_dim_cuda_templateIlEESt5tupleIJNSH_6TensorESM_SM_EERKSM_lbbbEUlllE0_EEPmJS6_EEE10hipError_tPvRmT3_T4_T5_T6_T7_T9_mT8_P12ihipStream_tbDpT10_ENKUlT_T0_E_clISt17integral_constantIbLb1EES1C_EEDaS17_S18_EUlS17_E_NS1_11comp_targetILNS1_3genE2ELNS1_11target_archE906ELNS1_3gpuE6ELNS1_3repE0EEENS1_30default_config_static_selectorELNS0_4arch9wavefront6targetE0EEEvT1_
		.amdhsa_group_segment_fixed_size 0
		.amdhsa_private_segment_fixed_size 0
		.amdhsa_kernarg_size 136
		.amdhsa_user_sgpr_count 2
		.amdhsa_user_sgpr_dispatch_ptr 0
		.amdhsa_user_sgpr_queue_ptr 0
		.amdhsa_user_sgpr_kernarg_segment_ptr 1
		.amdhsa_user_sgpr_dispatch_id 0
		.amdhsa_user_sgpr_kernarg_preload_length 0
		.amdhsa_user_sgpr_kernarg_preload_offset 0
		.amdhsa_user_sgpr_private_segment_size 0
		.amdhsa_wavefront_size32 1
		.amdhsa_uses_dynamic_stack 0
		.amdhsa_enable_private_segment 0
		.amdhsa_system_sgpr_workgroup_id_x 1
		.amdhsa_system_sgpr_workgroup_id_y 0
		.amdhsa_system_sgpr_workgroup_id_z 0
		.amdhsa_system_sgpr_workgroup_info 0
		.amdhsa_system_vgpr_workitem_id 0
		.amdhsa_next_free_vgpr 1
		.amdhsa_next_free_sgpr 1
		.amdhsa_named_barrier_count 0
		.amdhsa_reserve_vcc 0
		.amdhsa_float_round_mode_32 0
		.amdhsa_float_round_mode_16_64 0
		.amdhsa_float_denorm_mode_32 3
		.amdhsa_float_denorm_mode_16_64 3
		.amdhsa_fp16_overflow 0
		.amdhsa_memory_ordered 1
		.amdhsa_forward_progress 1
		.amdhsa_inst_pref_size 0
		.amdhsa_round_robin_scheduling 0
		.amdhsa_exception_fp_ieee_invalid_op 0
		.amdhsa_exception_fp_denorm_src 0
		.amdhsa_exception_fp_ieee_div_zero 0
		.amdhsa_exception_fp_ieee_overflow 0
		.amdhsa_exception_fp_ieee_underflow 0
		.amdhsa_exception_fp_ieee_inexact 0
		.amdhsa_exception_int_div_zero 0
	.end_amdhsa_kernel
	.section	.text._ZN7rocprim17ROCPRIM_400000_NS6detail17trampoline_kernelINS0_14default_configENS1_25partition_config_selectorILNS1_17partition_subalgoE8ElNS0_10empty_typeEbEEZZNS1_14partition_implILS5_8ELb0ES3_jPlPS6_PKS6_NS0_5tupleIJS9_S6_EEENSD_IJSA_SA_EEENS0_18inequality_wrapperIZN2at6native12_GLOBAL__N_124unique_dim_cuda_templateIlEESt5tupleIJNSH_6TensorESM_SM_EERKSM_lbbbEUlllE0_EEPmJS6_EEE10hipError_tPvRmT3_T4_T5_T6_T7_T9_mT8_P12ihipStream_tbDpT10_ENKUlT_T0_E_clISt17integral_constantIbLb1EES1C_EEDaS17_S18_EUlS17_E_NS1_11comp_targetILNS1_3genE2ELNS1_11target_archE906ELNS1_3gpuE6ELNS1_3repE0EEENS1_30default_config_static_selectorELNS0_4arch9wavefront6targetE0EEEvT1_,"axG",@progbits,_ZN7rocprim17ROCPRIM_400000_NS6detail17trampoline_kernelINS0_14default_configENS1_25partition_config_selectorILNS1_17partition_subalgoE8ElNS0_10empty_typeEbEEZZNS1_14partition_implILS5_8ELb0ES3_jPlPS6_PKS6_NS0_5tupleIJS9_S6_EEENSD_IJSA_SA_EEENS0_18inequality_wrapperIZN2at6native12_GLOBAL__N_124unique_dim_cuda_templateIlEESt5tupleIJNSH_6TensorESM_SM_EERKSM_lbbbEUlllE0_EEPmJS6_EEE10hipError_tPvRmT3_T4_T5_T6_T7_T9_mT8_P12ihipStream_tbDpT10_ENKUlT_T0_E_clISt17integral_constantIbLb1EES1C_EEDaS17_S18_EUlS17_E_NS1_11comp_targetILNS1_3genE2ELNS1_11target_archE906ELNS1_3gpuE6ELNS1_3repE0EEENS1_30default_config_static_selectorELNS0_4arch9wavefront6targetE0EEEvT1_,comdat
.Lfunc_end575:
	.size	_ZN7rocprim17ROCPRIM_400000_NS6detail17trampoline_kernelINS0_14default_configENS1_25partition_config_selectorILNS1_17partition_subalgoE8ElNS0_10empty_typeEbEEZZNS1_14partition_implILS5_8ELb0ES3_jPlPS6_PKS6_NS0_5tupleIJS9_S6_EEENSD_IJSA_SA_EEENS0_18inequality_wrapperIZN2at6native12_GLOBAL__N_124unique_dim_cuda_templateIlEESt5tupleIJNSH_6TensorESM_SM_EERKSM_lbbbEUlllE0_EEPmJS6_EEE10hipError_tPvRmT3_T4_T5_T6_T7_T9_mT8_P12ihipStream_tbDpT10_ENKUlT_T0_E_clISt17integral_constantIbLb1EES1C_EEDaS17_S18_EUlS17_E_NS1_11comp_targetILNS1_3genE2ELNS1_11target_archE906ELNS1_3gpuE6ELNS1_3repE0EEENS1_30default_config_static_selectorELNS0_4arch9wavefront6targetE0EEEvT1_, .Lfunc_end575-_ZN7rocprim17ROCPRIM_400000_NS6detail17trampoline_kernelINS0_14default_configENS1_25partition_config_selectorILNS1_17partition_subalgoE8ElNS0_10empty_typeEbEEZZNS1_14partition_implILS5_8ELb0ES3_jPlPS6_PKS6_NS0_5tupleIJS9_S6_EEENSD_IJSA_SA_EEENS0_18inequality_wrapperIZN2at6native12_GLOBAL__N_124unique_dim_cuda_templateIlEESt5tupleIJNSH_6TensorESM_SM_EERKSM_lbbbEUlllE0_EEPmJS6_EEE10hipError_tPvRmT3_T4_T5_T6_T7_T9_mT8_P12ihipStream_tbDpT10_ENKUlT_T0_E_clISt17integral_constantIbLb1EES1C_EEDaS17_S18_EUlS17_E_NS1_11comp_targetILNS1_3genE2ELNS1_11target_archE906ELNS1_3gpuE6ELNS1_3repE0EEENS1_30default_config_static_selectorELNS0_4arch9wavefront6targetE0EEEvT1_
                                        ; -- End function
	.set _ZN7rocprim17ROCPRIM_400000_NS6detail17trampoline_kernelINS0_14default_configENS1_25partition_config_selectorILNS1_17partition_subalgoE8ElNS0_10empty_typeEbEEZZNS1_14partition_implILS5_8ELb0ES3_jPlPS6_PKS6_NS0_5tupleIJS9_S6_EEENSD_IJSA_SA_EEENS0_18inequality_wrapperIZN2at6native12_GLOBAL__N_124unique_dim_cuda_templateIlEESt5tupleIJNSH_6TensorESM_SM_EERKSM_lbbbEUlllE0_EEPmJS6_EEE10hipError_tPvRmT3_T4_T5_T6_T7_T9_mT8_P12ihipStream_tbDpT10_ENKUlT_T0_E_clISt17integral_constantIbLb1EES1C_EEDaS17_S18_EUlS17_E_NS1_11comp_targetILNS1_3genE2ELNS1_11target_archE906ELNS1_3gpuE6ELNS1_3repE0EEENS1_30default_config_static_selectorELNS0_4arch9wavefront6targetE0EEEvT1_.num_vgpr, 0
	.set _ZN7rocprim17ROCPRIM_400000_NS6detail17trampoline_kernelINS0_14default_configENS1_25partition_config_selectorILNS1_17partition_subalgoE8ElNS0_10empty_typeEbEEZZNS1_14partition_implILS5_8ELb0ES3_jPlPS6_PKS6_NS0_5tupleIJS9_S6_EEENSD_IJSA_SA_EEENS0_18inequality_wrapperIZN2at6native12_GLOBAL__N_124unique_dim_cuda_templateIlEESt5tupleIJNSH_6TensorESM_SM_EERKSM_lbbbEUlllE0_EEPmJS6_EEE10hipError_tPvRmT3_T4_T5_T6_T7_T9_mT8_P12ihipStream_tbDpT10_ENKUlT_T0_E_clISt17integral_constantIbLb1EES1C_EEDaS17_S18_EUlS17_E_NS1_11comp_targetILNS1_3genE2ELNS1_11target_archE906ELNS1_3gpuE6ELNS1_3repE0EEENS1_30default_config_static_selectorELNS0_4arch9wavefront6targetE0EEEvT1_.num_agpr, 0
	.set _ZN7rocprim17ROCPRIM_400000_NS6detail17trampoline_kernelINS0_14default_configENS1_25partition_config_selectorILNS1_17partition_subalgoE8ElNS0_10empty_typeEbEEZZNS1_14partition_implILS5_8ELb0ES3_jPlPS6_PKS6_NS0_5tupleIJS9_S6_EEENSD_IJSA_SA_EEENS0_18inequality_wrapperIZN2at6native12_GLOBAL__N_124unique_dim_cuda_templateIlEESt5tupleIJNSH_6TensorESM_SM_EERKSM_lbbbEUlllE0_EEPmJS6_EEE10hipError_tPvRmT3_T4_T5_T6_T7_T9_mT8_P12ihipStream_tbDpT10_ENKUlT_T0_E_clISt17integral_constantIbLb1EES1C_EEDaS17_S18_EUlS17_E_NS1_11comp_targetILNS1_3genE2ELNS1_11target_archE906ELNS1_3gpuE6ELNS1_3repE0EEENS1_30default_config_static_selectorELNS0_4arch9wavefront6targetE0EEEvT1_.numbered_sgpr, 0
	.set _ZN7rocprim17ROCPRIM_400000_NS6detail17trampoline_kernelINS0_14default_configENS1_25partition_config_selectorILNS1_17partition_subalgoE8ElNS0_10empty_typeEbEEZZNS1_14partition_implILS5_8ELb0ES3_jPlPS6_PKS6_NS0_5tupleIJS9_S6_EEENSD_IJSA_SA_EEENS0_18inequality_wrapperIZN2at6native12_GLOBAL__N_124unique_dim_cuda_templateIlEESt5tupleIJNSH_6TensorESM_SM_EERKSM_lbbbEUlllE0_EEPmJS6_EEE10hipError_tPvRmT3_T4_T5_T6_T7_T9_mT8_P12ihipStream_tbDpT10_ENKUlT_T0_E_clISt17integral_constantIbLb1EES1C_EEDaS17_S18_EUlS17_E_NS1_11comp_targetILNS1_3genE2ELNS1_11target_archE906ELNS1_3gpuE6ELNS1_3repE0EEENS1_30default_config_static_selectorELNS0_4arch9wavefront6targetE0EEEvT1_.num_named_barrier, 0
	.set _ZN7rocprim17ROCPRIM_400000_NS6detail17trampoline_kernelINS0_14default_configENS1_25partition_config_selectorILNS1_17partition_subalgoE8ElNS0_10empty_typeEbEEZZNS1_14partition_implILS5_8ELb0ES3_jPlPS6_PKS6_NS0_5tupleIJS9_S6_EEENSD_IJSA_SA_EEENS0_18inequality_wrapperIZN2at6native12_GLOBAL__N_124unique_dim_cuda_templateIlEESt5tupleIJNSH_6TensorESM_SM_EERKSM_lbbbEUlllE0_EEPmJS6_EEE10hipError_tPvRmT3_T4_T5_T6_T7_T9_mT8_P12ihipStream_tbDpT10_ENKUlT_T0_E_clISt17integral_constantIbLb1EES1C_EEDaS17_S18_EUlS17_E_NS1_11comp_targetILNS1_3genE2ELNS1_11target_archE906ELNS1_3gpuE6ELNS1_3repE0EEENS1_30default_config_static_selectorELNS0_4arch9wavefront6targetE0EEEvT1_.private_seg_size, 0
	.set _ZN7rocprim17ROCPRIM_400000_NS6detail17trampoline_kernelINS0_14default_configENS1_25partition_config_selectorILNS1_17partition_subalgoE8ElNS0_10empty_typeEbEEZZNS1_14partition_implILS5_8ELb0ES3_jPlPS6_PKS6_NS0_5tupleIJS9_S6_EEENSD_IJSA_SA_EEENS0_18inequality_wrapperIZN2at6native12_GLOBAL__N_124unique_dim_cuda_templateIlEESt5tupleIJNSH_6TensorESM_SM_EERKSM_lbbbEUlllE0_EEPmJS6_EEE10hipError_tPvRmT3_T4_T5_T6_T7_T9_mT8_P12ihipStream_tbDpT10_ENKUlT_T0_E_clISt17integral_constantIbLb1EES1C_EEDaS17_S18_EUlS17_E_NS1_11comp_targetILNS1_3genE2ELNS1_11target_archE906ELNS1_3gpuE6ELNS1_3repE0EEENS1_30default_config_static_selectorELNS0_4arch9wavefront6targetE0EEEvT1_.uses_vcc, 0
	.set _ZN7rocprim17ROCPRIM_400000_NS6detail17trampoline_kernelINS0_14default_configENS1_25partition_config_selectorILNS1_17partition_subalgoE8ElNS0_10empty_typeEbEEZZNS1_14partition_implILS5_8ELb0ES3_jPlPS6_PKS6_NS0_5tupleIJS9_S6_EEENSD_IJSA_SA_EEENS0_18inequality_wrapperIZN2at6native12_GLOBAL__N_124unique_dim_cuda_templateIlEESt5tupleIJNSH_6TensorESM_SM_EERKSM_lbbbEUlllE0_EEPmJS6_EEE10hipError_tPvRmT3_T4_T5_T6_T7_T9_mT8_P12ihipStream_tbDpT10_ENKUlT_T0_E_clISt17integral_constantIbLb1EES1C_EEDaS17_S18_EUlS17_E_NS1_11comp_targetILNS1_3genE2ELNS1_11target_archE906ELNS1_3gpuE6ELNS1_3repE0EEENS1_30default_config_static_selectorELNS0_4arch9wavefront6targetE0EEEvT1_.uses_flat_scratch, 0
	.set _ZN7rocprim17ROCPRIM_400000_NS6detail17trampoline_kernelINS0_14default_configENS1_25partition_config_selectorILNS1_17partition_subalgoE8ElNS0_10empty_typeEbEEZZNS1_14partition_implILS5_8ELb0ES3_jPlPS6_PKS6_NS0_5tupleIJS9_S6_EEENSD_IJSA_SA_EEENS0_18inequality_wrapperIZN2at6native12_GLOBAL__N_124unique_dim_cuda_templateIlEESt5tupleIJNSH_6TensorESM_SM_EERKSM_lbbbEUlllE0_EEPmJS6_EEE10hipError_tPvRmT3_T4_T5_T6_T7_T9_mT8_P12ihipStream_tbDpT10_ENKUlT_T0_E_clISt17integral_constantIbLb1EES1C_EEDaS17_S18_EUlS17_E_NS1_11comp_targetILNS1_3genE2ELNS1_11target_archE906ELNS1_3gpuE6ELNS1_3repE0EEENS1_30default_config_static_selectorELNS0_4arch9wavefront6targetE0EEEvT1_.has_dyn_sized_stack, 0
	.set _ZN7rocprim17ROCPRIM_400000_NS6detail17trampoline_kernelINS0_14default_configENS1_25partition_config_selectorILNS1_17partition_subalgoE8ElNS0_10empty_typeEbEEZZNS1_14partition_implILS5_8ELb0ES3_jPlPS6_PKS6_NS0_5tupleIJS9_S6_EEENSD_IJSA_SA_EEENS0_18inequality_wrapperIZN2at6native12_GLOBAL__N_124unique_dim_cuda_templateIlEESt5tupleIJNSH_6TensorESM_SM_EERKSM_lbbbEUlllE0_EEPmJS6_EEE10hipError_tPvRmT3_T4_T5_T6_T7_T9_mT8_P12ihipStream_tbDpT10_ENKUlT_T0_E_clISt17integral_constantIbLb1EES1C_EEDaS17_S18_EUlS17_E_NS1_11comp_targetILNS1_3genE2ELNS1_11target_archE906ELNS1_3gpuE6ELNS1_3repE0EEENS1_30default_config_static_selectorELNS0_4arch9wavefront6targetE0EEEvT1_.has_recursion, 0
	.set _ZN7rocprim17ROCPRIM_400000_NS6detail17trampoline_kernelINS0_14default_configENS1_25partition_config_selectorILNS1_17partition_subalgoE8ElNS0_10empty_typeEbEEZZNS1_14partition_implILS5_8ELb0ES3_jPlPS6_PKS6_NS0_5tupleIJS9_S6_EEENSD_IJSA_SA_EEENS0_18inequality_wrapperIZN2at6native12_GLOBAL__N_124unique_dim_cuda_templateIlEESt5tupleIJNSH_6TensorESM_SM_EERKSM_lbbbEUlllE0_EEPmJS6_EEE10hipError_tPvRmT3_T4_T5_T6_T7_T9_mT8_P12ihipStream_tbDpT10_ENKUlT_T0_E_clISt17integral_constantIbLb1EES1C_EEDaS17_S18_EUlS17_E_NS1_11comp_targetILNS1_3genE2ELNS1_11target_archE906ELNS1_3gpuE6ELNS1_3repE0EEENS1_30default_config_static_selectorELNS0_4arch9wavefront6targetE0EEEvT1_.has_indirect_call, 0
	.section	.AMDGPU.csdata,"",@progbits
; Kernel info:
; codeLenInByte = 0
; TotalNumSgprs: 0
; NumVgprs: 0
; ScratchSize: 0
; MemoryBound: 0
; FloatMode: 240
; IeeeMode: 1
; LDSByteSize: 0 bytes/workgroup (compile time only)
; SGPRBlocks: 0
; VGPRBlocks: 0
; NumSGPRsForWavesPerEU: 1
; NumVGPRsForWavesPerEU: 1
; NamedBarCnt: 0
; Occupancy: 16
; WaveLimiterHint : 0
; COMPUTE_PGM_RSRC2:SCRATCH_EN: 0
; COMPUTE_PGM_RSRC2:USER_SGPR: 2
; COMPUTE_PGM_RSRC2:TRAP_HANDLER: 0
; COMPUTE_PGM_RSRC2:TGID_X_EN: 1
; COMPUTE_PGM_RSRC2:TGID_Y_EN: 0
; COMPUTE_PGM_RSRC2:TGID_Z_EN: 0
; COMPUTE_PGM_RSRC2:TIDIG_COMP_CNT: 0
	.section	.text._ZN7rocprim17ROCPRIM_400000_NS6detail17trampoline_kernelINS0_14default_configENS1_25partition_config_selectorILNS1_17partition_subalgoE8ElNS0_10empty_typeEbEEZZNS1_14partition_implILS5_8ELb0ES3_jPlPS6_PKS6_NS0_5tupleIJS9_S6_EEENSD_IJSA_SA_EEENS0_18inequality_wrapperIZN2at6native12_GLOBAL__N_124unique_dim_cuda_templateIlEESt5tupleIJNSH_6TensorESM_SM_EERKSM_lbbbEUlllE0_EEPmJS6_EEE10hipError_tPvRmT3_T4_T5_T6_T7_T9_mT8_P12ihipStream_tbDpT10_ENKUlT_T0_E_clISt17integral_constantIbLb1EES1C_EEDaS17_S18_EUlS17_E_NS1_11comp_targetILNS1_3genE10ELNS1_11target_archE1200ELNS1_3gpuE4ELNS1_3repE0EEENS1_30default_config_static_selectorELNS0_4arch9wavefront6targetE0EEEvT1_,"axG",@progbits,_ZN7rocprim17ROCPRIM_400000_NS6detail17trampoline_kernelINS0_14default_configENS1_25partition_config_selectorILNS1_17partition_subalgoE8ElNS0_10empty_typeEbEEZZNS1_14partition_implILS5_8ELb0ES3_jPlPS6_PKS6_NS0_5tupleIJS9_S6_EEENSD_IJSA_SA_EEENS0_18inequality_wrapperIZN2at6native12_GLOBAL__N_124unique_dim_cuda_templateIlEESt5tupleIJNSH_6TensorESM_SM_EERKSM_lbbbEUlllE0_EEPmJS6_EEE10hipError_tPvRmT3_T4_T5_T6_T7_T9_mT8_P12ihipStream_tbDpT10_ENKUlT_T0_E_clISt17integral_constantIbLb1EES1C_EEDaS17_S18_EUlS17_E_NS1_11comp_targetILNS1_3genE10ELNS1_11target_archE1200ELNS1_3gpuE4ELNS1_3repE0EEENS1_30default_config_static_selectorELNS0_4arch9wavefront6targetE0EEEvT1_,comdat
	.globl	_ZN7rocprim17ROCPRIM_400000_NS6detail17trampoline_kernelINS0_14default_configENS1_25partition_config_selectorILNS1_17partition_subalgoE8ElNS0_10empty_typeEbEEZZNS1_14partition_implILS5_8ELb0ES3_jPlPS6_PKS6_NS0_5tupleIJS9_S6_EEENSD_IJSA_SA_EEENS0_18inequality_wrapperIZN2at6native12_GLOBAL__N_124unique_dim_cuda_templateIlEESt5tupleIJNSH_6TensorESM_SM_EERKSM_lbbbEUlllE0_EEPmJS6_EEE10hipError_tPvRmT3_T4_T5_T6_T7_T9_mT8_P12ihipStream_tbDpT10_ENKUlT_T0_E_clISt17integral_constantIbLb1EES1C_EEDaS17_S18_EUlS17_E_NS1_11comp_targetILNS1_3genE10ELNS1_11target_archE1200ELNS1_3gpuE4ELNS1_3repE0EEENS1_30default_config_static_selectorELNS0_4arch9wavefront6targetE0EEEvT1_ ; -- Begin function _ZN7rocprim17ROCPRIM_400000_NS6detail17trampoline_kernelINS0_14default_configENS1_25partition_config_selectorILNS1_17partition_subalgoE8ElNS0_10empty_typeEbEEZZNS1_14partition_implILS5_8ELb0ES3_jPlPS6_PKS6_NS0_5tupleIJS9_S6_EEENSD_IJSA_SA_EEENS0_18inequality_wrapperIZN2at6native12_GLOBAL__N_124unique_dim_cuda_templateIlEESt5tupleIJNSH_6TensorESM_SM_EERKSM_lbbbEUlllE0_EEPmJS6_EEE10hipError_tPvRmT3_T4_T5_T6_T7_T9_mT8_P12ihipStream_tbDpT10_ENKUlT_T0_E_clISt17integral_constantIbLb1EES1C_EEDaS17_S18_EUlS17_E_NS1_11comp_targetILNS1_3genE10ELNS1_11target_archE1200ELNS1_3gpuE4ELNS1_3repE0EEENS1_30default_config_static_selectorELNS0_4arch9wavefront6targetE0EEEvT1_
	.p2align	8
	.type	_ZN7rocprim17ROCPRIM_400000_NS6detail17trampoline_kernelINS0_14default_configENS1_25partition_config_selectorILNS1_17partition_subalgoE8ElNS0_10empty_typeEbEEZZNS1_14partition_implILS5_8ELb0ES3_jPlPS6_PKS6_NS0_5tupleIJS9_S6_EEENSD_IJSA_SA_EEENS0_18inequality_wrapperIZN2at6native12_GLOBAL__N_124unique_dim_cuda_templateIlEESt5tupleIJNSH_6TensorESM_SM_EERKSM_lbbbEUlllE0_EEPmJS6_EEE10hipError_tPvRmT3_T4_T5_T6_T7_T9_mT8_P12ihipStream_tbDpT10_ENKUlT_T0_E_clISt17integral_constantIbLb1EES1C_EEDaS17_S18_EUlS17_E_NS1_11comp_targetILNS1_3genE10ELNS1_11target_archE1200ELNS1_3gpuE4ELNS1_3repE0EEENS1_30default_config_static_selectorELNS0_4arch9wavefront6targetE0EEEvT1_,@function
_ZN7rocprim17ROCPRIM_400000_NS6detail17trampoline_kernelINS0_14default_configENS1_25partition_config_selectorILNS1_17partition_subalgoE8ElNS0_10empty_typeEbEEZZNS1_14partition_implILS5_8ELb0ES3_jPlPS6_PKS6_NS0_5tupleIJS9_S6_EEENSD_IJSA_SA_EEENS0_18inequality_wrapperIZN2at6native12_GLOBAL__N_124unique_dim_cuda_templateIlEESt5tupleIJNSH_6TensorESM_SM_EERKSM_lbbbEUlllE0_EEPmJS6_EEE10hipError_tPvRmT3_T4_T5_T6_T7_T9_mT8_P12ihipStream_tbDpT10_ENKUlT_T0_E_clISt17integral_constantIbLb1EES1C_EEDaS17_S18_EUlS17_E_NS1_11comp_targetILNS1_3genE10ELNS1_11target_archE1200ELNS1_3gpuE4ELNS1_3repE0EEENS1_30default_config_static_selectorELNS0_4arch9wavefront6targetE0EEEvT1_: ; @_ZN7rocprim17ROCPRIM_400000_NS6detail17trampoline_kernelINS0_14default_configENS1_25partition_config_selectorILNS1_17partition_subalgoE8ElNS0_10empty_typeEbEEZZNS1_14partition_implILS5_8ELb0ES3_jPlPS6_PKS6_NS0_5tupleIJS9_S6_EEENSD_IJSA_SA_EEENS0_18inequality_wrapperIZN2at6native12_GLOBAL__N_124unique_dim_cuda_templateIlEESt5tupleIJNSH_6TensorESM_SM_EERKSM_lbbbEUlllE0_EEPmJS6_EEE10hipError_tPvRmT3_T4_T5_T6_T7_T9_mT8_P12ihipStream_tbDpT10_ENKUlT_T0_E_clISt17integral_constantIbLb1EES1C_EEDaS17_S18_EUlS17_E_NS1_11comp_targetILNS1_3genE10ELNS1_11target_archE1200ELNS1_3gpuE4ELNS1_3repE0EEENS1_30default_config_static_selectorELNS0_4arch9wavefront6targetE0EEEvT1_
; %bb.0:
	.section	.rodata,"a",@progbits
	.p2align	6, 0x0
	.amdhsa_kernel _ZN7rocprim17ROCPRIM_400000_NS6detail17trampoline_kernelINS0_14default_configENS1_25partition_config_selectorILNS1_17partition_subalgoE8ElNS0_10empty_typeEbEEZZNS1_14partition_implILS5_8ELb0ES3_jPlPS6_PKS6_NS0_5tupleIJS9_S6_EEENSD_IJSA_SA_EEENS0_18inequality_wrapperIZN2at6native12_GLOBAL__N_124unique_dim_cuda_templateIlEESt5tupleIJNSH_6TensorESM_SM_EERKSM_lbbbEUlllE0_EEPmJS6_EEE10hipError_tPvRmT3_T4_T5_T6_T7_T9_mT8_P12ihipStream_tbDpT10_ENKUlT_T0_E_clISt17integral_constantIbLb1EES1C_EEDaS17_S18_EUlS17_E_NS1_11comp_targetILNS1_3genE10ELNS1_11target_archE1200ELNS1_3gpuE4ELNS1_3repE0EEENS1_30default_config_static_selectorELNS0_4arch9wavefront6targetE0EEEvT1_
		.amdhsa_group_segment_fixed_size 0
		.amdhsa_private_segment_fixed_size 0
		.amdhsa_kernarg_size 136
		.amdhsa_user_sgpr_count 2
		.amdhsa_user_sgpr_dispatch_ptr 0
		.amdhsa_user_sgpr_queue_ptr 0
		.amdhsa_user_sgpr_kernarg_segment_ptr 1
		.amdhsa_user_sgpr_dispatch_id 0
		.amdhsa_user_sgpr_kernarg_preload_length 0
		.amdhsa_user_sgpr_kernarg_preload_offset 0
		.amdhsa_user_sgpr_private_segment_size 0
		.amdhsa_wavefront_size32 1
		.amdhsa_uses_dynamic_stack 0
		.amdhsa_enable_private_segment 0
		.amdhsa_system_sgpr_workgroup_id_x 1
		.amdhsa_system_sgpr_workgroup_id_y 0
		.amdhsa_system_sgpr_workgroup_id_z 0
		.amdhsa_system_sgpr_workgroup_info 0
		.amdhsa_system_vgpr_workitem_id 0
		.amdhsa_next_free_vgpr 1
		.amdhsa_next_free_sgpr 1
		.amdhsa_named_barrier_count 0
		.amdhsa_reserve_vcc 0
		.amdhsa_float_round_mode_32 0
		.amdhsa_float_round_mode_16_64 0
		.amdhsa_float_denorm_mode_32 3
		.amdhsa_float_denorm_mode_16_64 3
		.amdhsa_fp16_overflow 0
		.amdhsa_memory_ordered 1
		.amdhsa_forward_progress 1
		.amdhsa_inst_pref_size 0
		.amdhsa_round_robin_scheduling 0
		.amdhsa_exception_fp_ieee_invalid_op 0
		.amdhsa_exception_fp_denorm_src 0
		.amdhsa_exception_fp_ieee_div_zero 0
		.amdhsa_exception_fp_ieee_overflow 0
		.amdhsa_exception_fp_ieee_underflow 0
		.amdhsa_exception_fp_ieee_inexact 0
		.amdhsa_exception_int_div_zero 0
	.end_amdhsa_kernel
	.section	.text._ZN7rocprim17ROCPRIM_400000_NS6detail17trampoline_kernelINS0_14default_configENS1_25partition_config_selectorILNS1_17partition_subalgoE8ElNS0_10empty_typeEbEEZZNS1_14partition_implILS5_8ELb0ES3_jPlPS6_PKS6_NS0_5tupleIJS9_S6_EEENSD_IJSA_SA_EEENS0_18inequality_wrapperIZN2at6native12_GLOBAL__N_124unique_dim_cuda_templateIlEESt5tupleIJNSH_6TensorESM_SM_EERKSM_lbbbEUlllE0_EEPmJS6_EEE10hipError_tPvRmT3_T4_T5_T6_T7_T9_mT8_P12ihipStream_tbDpT10_ENKUlT_T0_E_clISt17integral_constantIbLb1EES1C_EEDaS17_S18_EUlS17_E_NS1_11comp_targetILNS1_3genE10ELNS1_11target_archE1200ELNS1_3gpuE4ELNS1_3repE0EEENS1_30default_config_static_selectorELNS0_4arch9wavefront6targetE0EEEvT1_,"axG",@progbits,_ZN7rocprim17ROCPRIM_400000_NS6detail17trampoline_kernelINS0_14default_configENS1_25partition_config_selectorILNS1_17partition_subalgoE8ElNS0_10empty_typeEbEEZZNS1_14partition_implILS5_8ELb0ES3_jPlPS6_PKS6_NS0_5tupleIJS9_S6_EEENSD_IJSA_SA_EEENS0_18inequality_wrapperIZN2at6native12_GLOBAL__N_124unique_dim_cuda_templateIlEESt5tupleIJNSH_6TensorESM_SM_EERKSM_lbbbEUlllE0_EEPmJS6_EEE10hipError_tPvRmT3_T4_T5_T6_T7_T9_mT8_P12ihipStream_tbDpT10_ENKUlT_T0_E_clISt17integral_constantIbLb1EES1C_EEDaS17_S18_EUlS17_E_NS1_11comp_targetILNS1_3genE10ELNS1_11target_archE1200ELNS1_3gpuE4ELNS1_3repE0EEENS1_30default_config_static_selectorELNS0_4arch9wavefront6targetE0EEEvT1_,comdat
.Lfunc_end576:
	.size	_ZN7rocprim17ROCPRIM_400000_NS6detail17trampoline_kernelINS0_14default_configENS1_25partition_config_selectorILNS1_17partition_subalgoE8ElNS0_10empty_typeEbEEZZNS1_14partition_implILS5_8ELb0ES3_jPlPS6_PKS6_NS0_5tupleIJS9_S6_EEENSD_IJSA_SA_EEENS0_18inequality_wrapperIZN2at6native12_GLOBAL__N_124unique_dim_cuda_templateIlEESt5tupleIJNSH_6TensorESM_SM_EERKSM_lbbbEUlllE0_EEPmJS6_EEE10hipError_tPvRmT3_T4_T5_T6_T7_T9_mT8_P12ihipStream_tbDpT10_ENKUlT_T0_E_clISt17integral_constantIbLb1EES1C_EEDaS17_S18_EUlS17_E_NS1_11comp_targetILNS1_3genE10ELNS1_11target_archE1200ELNS1_3gpuE4ELNS1_3repE0EEENS1_30default_config_static_selectorELNS0_4arch9wavefront6targetE0EEEvT1_, .Lfunc_end576-_ZN7rocprim17ROCPRIM_400000_NS6detail17trampoline_kernelINS0_14default_configENS1_25partition_config_selectorILNS1_17partition_subalgoE8ElNS0_10empty_typeEbEEZZNS1_14partition_implILS5_8ELb0ES3_jPlPS6_PKS6_NS0_5tupleIJS9_S6_EEENSD_IJSA_SA_EEENS0_18inequality_wrapperIZN2at6native12_GLOBAL__N_124unique_dim_cuda_templateIlEESt5tupleIJNSH_6TensorESM_SM_EERKSM_lbbbEUlllE0_EEPmJS6_EEE10hipError_tPvRmT3_T4_T5_T6_T7_T9_mT8_P12ihipStream_tbDpT10_ENKUlT_T0_E_clISt17integral_constantIbLb1EES1C_EEDaS17_S18_EUlS17_E_NS1_11comp_targetILNS1_3genE10ELNS1_11target_archE1200ELNS1_3gpuE4ELNS1_3repE0EEENS1_30default_config_static_selectorELNS0_4arch9wavefront6targetE0EEEvT1_
                                        ; -- End function
	.set _ZN7rocprim17ROCPRIM_400000_NS6detail17trampoline_kernelINS0_14default_configENS1_25partition_config_selectorILNS1_17partition_subalgoE8ElNS0_10empty_typeEbEEZZNS1_14partition_implILS5_8ELb0ES3_jPlPS6_PKS6_NS0_5tupleIJS9_S6_EEENSD_IJSA_SA_EEENS0_18inequality_wrapperIZN2at6native12_GLOBAL__N_124unique_dim_cuda_templateIlEESt5tupleIJNSH_6TensorESM_SM_EERKSM_lbbbEUlllE0_EEPmJS6_EEE10hipError_tPvRmT3_T4_T5_T6_T7_T9_mT8_P12ihipStream_tbDpT10_ENKUlT_T0_E_clISt17integral_constantIbLb1EES1C_EEDaS17_S18_EUlS17_E_NS1_11comp_targetILNS1_3genE10ELNS1_11target_archE1200ELNS1_3gpuE4ELNS1_3repE0EEENS1_30default_config_static_selectorELNS0_4arch9wavefront6targetE0EEEvT1_.num_vgpr, 0
	.set _ZN7rocprim17ROCPRIM_400000_NS6detail17trampoline_kernelINS0_14default_configENS1_25partition_config_selectorILNS1_17partition_subalgoE8ElNS0_10empty_typeEbEEZZNS1_14partition_implILS5_8ELb0ES3_jPlPS6_PKS6_NS0_5tupleIJS9_S6_EEENSD_IJSA_SA_EEENS0_18inequality_wrapperIZN2at6native12_GLOBAL__N_124unique_dim_cuda_templateIlEESt5tupleIJNSH_6TensorESM_SM_EERKSM_lbbbEUlllE0_EEPmJS6_EEE10hipError_tPvRmT3_T4_T5_T6_T7_T9_mT8_P12ihipStream_tbDpT10_ENKUlT_T0_E_clISt17integral_constantIbLb1EES1C_EEDaS17_S18_EUlS17_E_NS1_11comp_targetILNS1_3genE10ELNS1_11target_archE1200ELNS1_3gpuE4ELNS1_3repE0EEENS1_30default_config_static_selectorELNS0_4arch9wavefront6targetE0EEEvT1_.num_agpr, 0
	.set _ZN7rocprim17ROCPRIM_400000_NS6detail17trampoline_kernelINS0_14default_configENS1_25partition_config_selectorILNS1_17partition_subalgoE8ElNS0_10empty_typeEbEEZZNS1_14partition_implILS5_8ELb0ES3_jPlPS6_PKS6_NS0_5tupleIJS9_S6_EEENSD_IJSA_SA_EEENS0_18inequality_wrapperIZN2at6native12_GLOBAL__N_124unique_dim_cuda_templateIlEESt5tupleIJNSH_6TensorESM_SM_EERKSM_lbbbEUlllE0_EEPmJS6_EEE10hipError_tPvRmT3_T4_T5_T6_T7_T9_mT8_P12ihipStream_tbDpT10_ENKUlT_T0_E_clISt17integral_constantIbLb1EES1C_EEDaS17_S18_EUlS17_E_NS1_11comp_targetILNS1_3genE10ELNS1_11target_archE1200ELNS1_3gpuE4ELNS1_3repE0EEENS1_30default_config_static_selectorELNS0_4arch9wavefront6targetE0EEEvT1_.numbered_sgpr, 0
	.set _ZN7rocprim17ROCPRIM_400000_NS6detail17trampoline_kernelINS0_14default_configENS1_25partition_config_selectorILNS1_17partition_subalgoE8ElNS0_10empty_typeEbEEZZNS1_14partition_implILS5_8ELb0ES3_jPlPS6_PKS6_NS0_5tupleIJS9_S6_EEENSD_IJSA_SA_EEENS0_18inequality_wrapperIZN2at6native12_GLOBAL__N_124unique_dim_cuda_templateIlEESt5tupleIJNSH_6TensorESM_SM_EERKSM_lbbbEUlllE0_EEPmJS6_EEE10hipError_tPvRmT3_T4_T5_T6_T7_T9_mT8_P12ihipStream_tbDpT10_ENKUlT_T0_E_clISt17integral_constantIbLb1EES1C_EEDaS17_S18_EUlS17_E_NS1_11comp_targetILNS1_3genE10ELNS1_11target_archE1200ELNS1_3gpuE4ELNS1_3repE0EEENS1_30default_config_static_selectorELNS0_4arch9wavefront6targetE0EEEvT1_.num_named_barrier, 0
	.set _ZN7rocprim17ROCPRIM_400000_NS6detail17trampoline_kernelINS0_14default_configENS1_25partition_config_selectorILNS1_17partition_subalgoE8ElNS0_10empty_typeEbEEZZNS1_14partition_implILS5_8ELb0ES3_jPlPS6_PKS6_NS0_5tupleIJS9_S6_EEENSD_IJSA_SA_EEENS0_18inequality_wrapperIZN2at6native12_GLOBAL__N_124unique_dim_cuda_templateIlEESt5tupleIJNSH_6TensorESM_SM_EERKSM_lbbbEUlllE0_EEPmJS6_EEE10hipError_tPvRmT3_T4_T5_T6_T7_T9_mT8_P12ihipStream_tbDpT10_ENKUlT_T0_E_clISt17integral_constantIbLb1EES1C_EEDaS17_S18_EUlS17_E_NS1_11comp_targetILNS1_3genE10ELNS1_11target_archE1200ELNS1_3gpuE4ELNS1_3repE0EEENS1_30default_config_static_selectorELNS0_4arch9wavefront6targetE0EEEvT1_.private_seg_size, 0
	.set _ZN7rocprim17ROCPRIM_400000_NS6detail17trampoline_kernelINS0_14default_configENS1_25partition_config_selectorILNS1_17partition_subalgoE8ElNS0_10empty_typeEbEEZZNS1_14partition_implILS5_8ELb0ES3_jPlPS6_PKS6_NS0_5tupleIJS9_S6_EEENSD_IJSA_SA_EEENS0_18inequality_wrapperIZN2at6native12_GLOBAL__N_124unique_dim_cuda_templateIlEESt5tupleIJNSH_6TensorESM_SM_EERKSM_lbbbEUlllE0_EEPmJS6_EEE10hipError_tPvRmT3_T4_T5_T6_T7_T9_mT8_P12ihipStream_tbDpT10_ENKUlT_T0_E_clISt17integral_constantIbLb1EES1C_EEDaS17_S18_EUlS17_E_NS1_11comp_targetILNS1_3genE10ELNS1_11target_archE1200ELNS1_3gpuE4ELNS1_3repE0EEENS1_30default_config_static_selectorELNS0_4arch9wavefront6targetE0EEEvT1_.uses_vcc, 0
	.set _ZN7rocprim17ROCPRIM_400000_NS6detail17trampoline_kernelINS0_14default_configENS1_25partition_config_selectorILNS1_17partition_subalgoE8ElNS0_10empty_typeEbEEZZNS1_14partition_implILS5_8ELb0ES3_jPlPS6_PKS6_NS0_5tupleIJS9_S6_EEENSD_IJSA_SA_EEENS0_18inequality_wrapperIZN2at6native12_GLOBAL__N_124unique_dim_cuda_templateIlEESt5tupleIJNSH_6TensorESM_SM_EERKSM_lbbbEUlllE0_EEPmJS6_EEE10hipError_tPvRmT3_T4_T5_T6_T7_T9_mT8_P12ihipStream_tbDpT10_ENKUlT_T0_E_clISt17integral_constantIbLb1EES1C_EEDaS17_S18_EUlS17_E_NS1_11comp_targetILNS1_3genE10ELNS1_11target_archE1200ELNS1_3gpuE4ELNS1_3repE0EEENS1_30default_config_static_selectorELNS0_4arch9wavefront6targetE0EEEvT1_.uses_flat_scratch, 0
	.set _ZN7rocprim17ROCPRIM_400000_NS6detail17trampoline_kernelINS0_14default_configENS1_25partition_config_selectorILNS1_17partition_subalgoE8ElNS0_10empty_typeEbEEZZNS1_14partition_implILS5_8ELb0ES3_jPlPS6_PKS6_NS0_5tupleIJS9_S6_EEENSD_IJSA_SA_EEENS0_18inequality_wrapperIZN2at6native12_GLOBAL__N_124unique_dim_cuda_templateIlEESt5tupleIJNSH_6TensorESM_SM_EERKSM_lbbbEUlllE0_EEPmJS6_EEE10hipError_tPvRmT3_T4_T5_T6_T7_T9_mT8_P12ihipStream_tbDpT10_ENKUlT_T0_E_clISt17integral_constantIbLb1EES1C_EEDaS17_S18_EUlS17_E_NS1_11comp_targetILNS1_3genE10ELNS1_11target_archE1200ELNS1_3gpuE4ELNS1_3repE0EEENS1_30default_config_static_selectorELNS0_4arch9wavefront6targetE0EEEvT1_.has_dyn_sized_stack, 0
	.set _ZN7rocprim17ROCPRIM_400000_NS6detail17trampoline_kernelINS0_14default_configENS1_25partition_config_selectorILNS1_17partition_subalgoE8ElNS0_10empty_typeEbEEZZNS1_14partition_implILS5_8ELb0ES3_jPlPS6_PKS6_NS0_5tupleIJS9_S6_EEENSD_IJSA_SA_EEENS0_18inequality_wrapperIZN2at6native12_GLOBAL__N_124unique_dim_cuda_templateIlEESt5tupleIJNSH_6TensorESM_SM_EERKSM_lbbbEUlllE0_EEPmJS6_EEE10hipError_tPvRmT3_T4_T5_T6_T7_T9_mT8_P12ihipStream_tbDpT10_ENKUlT_T0_E_clISt17integral_constantIbLb1EES1C_EEDaS17_S18_EUlS17_E_NS1_11comp_targetILNS1_3genE10ELNS1_11target_archE1200ELNS1_3gpuE4ELNS1_3repE0EEENS1_30default_config_static_selectorELNS0_4arch9wavefront6targetE0EEEvT1_.has_recursion, 0
	.set _ZN7rocprim17ROCPRIM_400000_NS6detail17trampoline_kernelINS0_14default_configENS1_25partition_config_selectorILNS1_17partition_subalgoE8ElNS0_10empty_typeEbEEZZNS1_14partition_implILS5_8ELb0ES3_jPlPS6_PKS6_NS0_5tupleIJS9_S6_EEENSD_IJSA_SA_EEENS0_18inequality_wrapperIZN2at6native12_GLOBAL__N_124unique_dim_cuda_templateIlEESt5tupleIJNSH_6TensorESM_SM_EERKSM_lbbbEUlllE0_EEPmJS6_EEE10hipError_tPvRmT3_T4_T5_T6_T7_T9_mT8_P12ihipStream_tbDpT10_ENKUlT_T0_E_clISt17integral_constantIbLb1EES1C_EEDaS17_S18_EUlS17_E_NS1_11comp_targetILNS1_3genE10ELNS1_11target_archE1200ELNS1_3gpuE4ELNS1_3repE0EEENS1_30default_config_static_selectorELNS0_4arch9wavefront6targetE0EEEvT1_.has_indirect_call, 0
	.section	.AMDGPU.csdata,"",@progbits
; Kernel info:
; codeLenInByte = 0
; TotalNumSgprs: 0
; NumVgprs: 0
; ScratchSize: 0
; MemoryBound: 0
; FloatMode: 240
; IeeeMode: 1
; LDSByteSize: 0 bytes/workgroup (compile time only)
; SGPRBlocks: 0
; VGPRBlocks: 0
; NumSGPRsForWavesPerEU: 1
; NumVGPRsForWavesPerEU: 1
; NamedBarCnt: 0
; Occupancy: 16
; WaveLimiterHint : 0
; COMPUTE_PGM_RSRC2:SCRATCH_EN: 0
; COMPUTE_PGM_RSRC2:USER_SGPR: 2
; COMPUTE_PGM_RSRC2:TRAP_HANDLER: 0
; COMPUTE_PGM_RSRC2:TGID_X_EN: 1
; COMPUTE_PGM_RSRC2:TGID_Y_EN: 0
; COMPUTE_PGM_RSRC2:TGID_Z_EN: 0
; COMPUTE_PGM_RSRC2:TIDIG_COMP_CNT: 0
	.section	.text._ZN7rocprim17ROCPRIM_400000_NS6detail17trampoline_kernelINS0_14default_configENS1_25partition_config_selectorILNS1_17partition_subalgoE8ElNS0_10empty_typeEbEEZZNS1_14partition_implILS5_8ELb0ES3_jPlPS6_PKS6_NS0_5tupleIJS9_S6_EEENSD_IJSA_SA_EEENS0_18inequality_wrapperIZN2at6native12_GLOBAL__N_124unique_dim_cuda_templateIlEESt5tupleIJNSH_6TensorESM_SM_EERKSM_lbbbEUlllE0_EEPmJS6_EEE10hipError_tPvRmT3_T4_T5_T6_T7_T9_mT8_P12ihipStream_tbDpT10_ENKUlT_T0_E_clISt17integral_constantIbLb1EES1C_EEDaS17_S18_EUlS17_E_NS1_11comp_targetILNS1_3genE9ELNS1_11target_archE1100ELNS1_3gpuE3ELNS1_3repE0EEENS1_30default_config_static_selectorELNS0_4arch9wavefront6targetE0EEEvT1_,"axG",@progbits,_ZN7rocprim17ROCPRIM_400000_NS6detail17trampoline_kernelINS0_14default_configENS1_25partition_config_selectorILNS1_17partition_subalgoE8ElNS0_10empty_typeEbEEZZNS1_14partition_implILS5_8ELb0ES3_jPlPS6_PKS6_NS0_5tupleIJS9_S6_EEENSD_IJSA_SA_EEENS0_18inequality_wrapperIZN2at6native12_GLOBAL__N_124unique_dim_cuda_templateIlEESt5tupleIJNSH_6TensorESM_SM_EERKSM_lbbbEUlllE0_EEPmJS6_EEE10hipError_tPvRmT3_T4_T5_T6_T7_T9_mT8_P12ihipStream_tbDpT10_ENKUlT_T0_E_clISt17integral_constantIbLb1EES1C_EEDaS17_S18_EUlS17_E_NS1_11comp_targetILNS1_3genE9ELNS1_11target_archE1100ELNS1_3gpuE3ELNS1_3repE0EEENS1_30default_config_static_selectorELNS0_4arch9wavefront6targetE0EEEvT1_,comdat
	.globl	_ZN7rocprim17ROCPRIM_400000_NS6detail17trampoline_kernelINS0_14default_configENS1_25partition_config_selectorILNS1_17partition_subalgoE8ElNS0_10empty_typeEbEEZZNS1_14partition_implILS5_8ELb0ES3_jPlPS6_PKS6_NS0_5tupleIJS9_S6_EEENSD_IJSA_SA_EEENS0_18inequality_wrapperIZN2at6native12_GLOBAL__N_124unique_dim_cuda_templateIlEESt5tupleIJNSH_6TensorESM_SM_EERKSM_lbbbEUlllE0_EEPmJS6_EEE10hipError_tPvRmT3_T4_T5_T6_T7_T9_mT8_P12ihipStream_tbDpT10_ENKUlT_T0_E_clISt17integral_constantIbLb1EES1C_EEDaS17_S18_EUlS17_E_NS1_11comp_targetILNS1_3genE9ELNS1_11target_archE1100ELNS1_3gpuE3ELNS1_3repE0EEENS1_30default_config_static_selectorELNS0_4arch9wavefront6targetE0EEEvT1_ ; -- Begin function _ZN7rocprim17ROCPRIM_400000_NS6detail17trampoline_kernelINS0_14default_configENS1_25partition_config_selectorILNS1_17partition_subalgoE8ElNS0_10empty_typeEbEEZZNS1_14partition_implILS5_8ELb0ES3_jPlPS6_PKS6_NS0_5tupleIJS9_S6_EEENSD_IJSA_SA_EEENS0_18inequality_wrapperIZN2at6native12_GLOBAL__N_124unique_dim_cuda_templateIlEESt5tupleIJNSH_6TensorESM_SM_EERKSM_lbbbEUlllE0_EEPmJS6_EEE10hipError_tPvRmT3_T4_T5_T6_T7_T9_mT8_P12ihipStream_tbDpT10_ENKUlT_T0_E_clISt17integral_constantIbLb1EES1C_EEDaS17_S18_EUlS17_E_NS1_11comp_targetILNS1_3genE9ELNS1_11target_archE1100ELNS1_3gpuE3ELNS1_3repE0EEENS1_30default_config_static_selectorELNS0_4arch9wavefront6targetE0EEEvT1_
	.p2align	8
	.type	_ZN7rocprim17ROCPRIM_400000_NS6detail17trampoline_kernelINS0_14default_configENS1_25partition_config_selectorILNS1_17partition_subalgoE8ElNS0_10empty_typeEbEEZZNS1_14partition_implILS5_8ELb0ES3_jPlPS6_PKS6_NS0_5tupleIJS9_S6_EEENSD_IJSA_SA_EEENS0_18inequality_wrapperIZN2at6native12_GLOBAL__N_124unique_dim_cuda_templateIlEESt5tupleIJNSH_6TensorESM_SM_EERKSM_lbbbEUlllE0_EEPmJS6_EEE10hipError_tPvRmT3_T4_T5_T6_T7_T9_mT8_P12ihipStream_tbDpT10_ENKUlT_T0_E_clISt17integral_constantIbLb1EES1C_EEDaS17_S18_EUlS17_E_NS1_11comp_targetILNS1_3genE9ELNS1_11target_archE1100ELNS1_3gpuE3ELNS1_3repE0EEENS1_30default_config_static_selectorELNS0_4arch9wavefront6targetE0EEEvT1_,@function
_ZN7rocprim17ROCPRIM_400000_NS6detail17trampoline_kernelINS0_14default_configENS1_25partition_config_selectorILNS1_17partition_subalgoE8ElNS0_10empty_typeEbEEZZNS1_14partition_implILS5_8ELb0ES3_jPlPS6_PKS6_NS0_5tupleIJS9_S6_EEENSD_IJSA_SA_EEENS0_18inequality_wrapperIZN2at6native12_GLOBAL__N_124unique_dim_cuda_templateIlEESt5tupleIJNSH_6TensorESM_SM_EERKSM_lbbbEUlllE0_EEPmJS6_EEE10hipError_tPvRmT3_T4_T5_T6_T7_T9_mT8_P12ihipStream_tbDpT10_ENKUlT_T0_E_clISt17integral_constantIbLb1EES1C_EEDaS17_S18_EUlS17_E_NS1_11comp_targetILNS1_3genE9ELNS1_11target_archE1100ELNS1_3gpuE3ELNS1_3repE0EEENS1_30default_config_static_selectorELNS0_4arch9wavefront6targetE0EEEvT1_: ; @_ZN7rocprim17ROCPRIM_400000_NS6detail17trampoline_kernelINS0_14default_configENS1_25partition_config_selectorILNS1_17partition_subalgoE8ElNS0_10empty_typeEbEEZZNS1_14partition_implILS5_8ELb0ES3_jPlPS6_PKS6_NS0_5tupleIJS9_S6_EEENSD_IJSA_SA_EEENS0_18inequality_wrapperIZN2at6native12_GLOBAL__N_124unique_dim_cuda_templateIlEESt5tupleIJNSH_6TensorESM_SM_EERKSM_lbbbEUlllE0_EEPmJS6_EEE10hipError_tPvRmT3_T4_T5_T6_T7_T9_mT8_P12ihipStream_tbDpT10_ENKUlT_T0_E_clISt17integral_constantIbLb1EES1C_EEDaS17_S18_EUlS17_E_NS1_11comp_targetILNS1_3genE9ELNS1_11target_archE1100ELNS1_3gpuE3ELNS1_3repE0EEENS1_30default_config_static_selectorELNS0_4arch9wavefront6targetE0EEEvT1_
; %bb.0:
	.section	.rodata,"a",@progbits
	.p2align	6, 0x0
	.amdhsa_kernel _ZN7rocprim17ROCPRIM_400000_NS6detail17trampoline_kernelINS0_14default_configENS1_25partition_config_selectorILNS1_17partition_subalgoE8ElNS0_10empty_typeEbEEZZNS1_14partition_implILS5_8ELb0ES3_jPlPS6_PKS6_NS0_5tupleIJS9_S6_EEENSD_IJSA_SA_EEENS0_18inequality_wrapperIZN2at6native12_GLOBAL__N_124unique_dim_cuda_templateIlEESt5tupleIJNSH_6TensorESM_SM_EERKSM_lbbbEUlllE0_EEPmJS6_EEE10hipError_tPvRmT3_T4_T5_T6_T7_T9_mT8_P12ihipStream_tbDpT10_ENKUlT_T0_E_clISt17integral_constantIbLb1EES1C_EEDaS17_S18_EUlS17_E_NS1_11comp_targetILNS1_3genE9ELNS1_11target_archE1100ELNS1_3gpuE3ELNS1_3repE0EEENS1_30default_config_static_selectorELNS0_4arch9wavefront6targetE0EEEvT1_
		.amdhsa_group_segment_fixed_size 0
		.amdhsa_private_segment_fixed_size 0
		.amdhsa_kernarg_size 136
		.amdhsa_user_sgpr_count 2
		.amdhsa_user_sgpr_dispatch_ptr 0
		.amdhsa_user_sgpr_queue_ptr 0
		.amdhsa_user_sgpr_kernarg_segment_ptr 1
		.amdhsa_user_sgpr_dispatch_id 0
		.amdhsa_user_sgpr_kernarg_preload_length 0
		.amdhsa_user_sgpr_kernarg_preload_offset 0
		.amdhsa_user_sgpr_private_segment_size 0
		.amdhsa_wavefront_size32 1
		.amdhsa_uses_dynamic_stack 0
		.amdhsa_enable_private_segment 0
		.amdhsa_system_sgpr_workgroup_id_x 1
		.amdhsa_system_sgpr_workgroup_id_y 0
		.amdhsa_system_sgpr_workgroup_id_z 0
		.amdhsa_system_sgpr_workgroup_info 0
		.amdhsa_system_vgpr_workitem_id 0
		.amdhsa_next_free_vgpr 1
		.amdhsa_next_free_sgpr 1
		.amdhsa_named_barrier_count 0
		.amdhsa_reserve_vcc 0
		.amdhsa_float_round_mode_32 0
		.amdhsa_float_round_mode_16_64 0
		.amdhsa_float_denorm_mode_32 3
		.amdhsa_float_denorm_mode_16_64 3
		.amdhsa_fp16_overflow 0
		.amdhsa_memory_ordered 1
		.amdhsa_forward_progress 1
		.amdhsa_inst_pref_size 0
		.amdhsa_round_robin_scheduling 0
		.amdhsa_exception_fp_ieee_invalid_op 0
		.amdhsa_exception_fp_denorm_src 0
		.amdhsa_exception_fp_ieee_div_zero 0
		.amdhsa_exception_fp_ieee_overflow 0
		.amdhsa_exception_fp_ieee_underflow 0
		.amdhsa_exception_fp_ieee_inexact 0
		.amdhsa_exception_int_div_zero 0
	.end_amdhsa_kernel
	.section	.text._ZN7rocprim17ROCPRIM_400000_NS6detail17trampoline_kernelINS0_14default_configENS1_25partition_config_selectorILNS1_17partition_subalgoE8ElNS0_10empty_typeEbEEZZNS1_14partition_implILS5_8ELb0ES3_jPlPS6_PKS6_NS0_5tupleIJS9_S6_EEENSD_IJSA_SA_EEENS0_18inequality_wrapperIZN2at6native12_GLOBAL__N_124unique_dim_cuda_templateIlEESt5tupleIJNSH_6TensorESM_SM_EERKSM_lbbbEUlllE0_EEPmJS6_EEE10hipError_tPvRmT3_T4_T5_T6_T7_T9_mT8_P12ihipStream_tbDpT10_ENKUlT_T0_E_clISt17integral_constantIbLb1EES1C_EEDaS17_S18_EUlS17_E_NS1_11comp_targetILNS1_3genE9ELNS1_11target_archE1100ELNS1_3gpuE3ELNS1_3repE0EEENS1_30default_config_static_selectorELNS0_4arch9wavefront6targetE0EEEvT1_,"axG",@progbits,_ZN7rocprim17ROCPRIM_400000_NS6detail17trampoline_kernelINS0_14default_configENS1_25partition_config_selectorILNS1_17partition_subalgoE8ElNS0_10empty_typeEbEEZZNS1_14partition_implILS5_8ELb0ES3_jPlPS6_PKS6_NS0_5tupleIJS9_S6_EEENSD_IJSA_SA_EEENS0_18inequality_wrapperIZN2at6native12_GLOBAL__N_124unique_dim_cuda_templateIlEESt5tupleIJNSH_6TensorESM_SM_EERKSM_lbbbEUlllE0_EEPmJS6_EEE10hipError_tPvRmT3_T4_T5_T6_T7_T9_mT8_P12ihipStream_tbDpT10_ENKUlT_T0_E_clISt17integral_constantIbLb1EES1C_EEDaS17_S18_EUlS17_E_NS1_11comp_targetILNS1_3genE9ELNS1_11target_archE1100ELNS1_3gpuE3ELNS1_3repE0EEENS1_30default_config_static_selectorELNS0_4arch9wavefront6targetE0EEEvT1_,comdat
.Lfunc_end577:
	.size	_ZN7rocprim17ROCPRIM_400000_NS6detail17trampoline_kernelINS0_14default_configENS1_25partition_config_selectorILNS1_17partition_subalgoE8ElNS0_10empty_typeEbEEZZNS1_14partition_implILS5_8ELb0ES3_jPlPS6_PKS6_NS0_5tupleIJS9_S6_EEENSD_IJSA_SA_EEENS0_18inequality_wrapperIZN2at6native12_GLOBAL__N_124unique_dim_cuda_templateIlEESt5tupleIJNSH_6TensorESM_SM_EERKSM_lbbbEUlllE0_EEPmJS6_EEE10hipError_tPvRmT3_T4_T5_T6_T7_T9_mT8_P12ihipStream_tbDpT10_ENKUlT_T0_E_clISt17integral_constantIbLb1EES1C_EEDaS17_S18_EUlS17_E_NS1_11comp_targetILNS1_3genE9ELNS1_11target_archE1100ELNS1_3gpuE3ELNS1_3repE0EEENS1_30default_config_static_selectorELNS0_4arch9wavefront6targetE0EEEvT1_, .Lfunc_end577-_ZN7rocprim17ROCPRIM_400000_NS6detail17trampoline_kernelINS0_14default_configENS1_25partition_config_selectorILNS1_17partition_subalgoE8ElNS0_10empty_typeEbEEZZNS1_14partition_implILS5_8ELb0ES3_jPlPS6_PKS6_NS0_5tupleIJS9_S6_EEENSD_IJSA_SA_EEENS0_18inequality_wrapperIZN2at6native12_GLOBAL__N_124unique_dim_cuda_templateIlEESt5tupleIJNSH_6TensorESM_SM_EERKSM_lbbbEUlllE0_EEPmJS6_EEE10hipError_tPvRmT3_T4_T5_T6_T7_T9_mT8_P12ihipStream_tbDpT10_ENKUlT_T0_E_clISt17integral_constantIbLb1EES1C_EEDaS17_S18_EUlS17_E_NS1_11comp_targetILNS1_3genE9ELNS1_11target_archE1100ELNS1_3gpuE3ELNS1_3repE0EEENS1_30default_config_static_selectorELNS0_4arch9wavefront6targetE0EEEvT1_
                                        ; -- End function
	.set _ZN7rocprim17ROCPRIM_400000_NS6detail17trampoline_kernelINS0_14default_configENS1_25partition_config_selectorILNS1_17partition_subalgoE8ElNS0_10empty_typeEbEEZZNS1_14partition_implILS5_8ELb0ES3_jPlPS6_PKS6_NS0_5tupleIJS9_S6_EEENSD_IJSA_SA_EEENS0_18inequality_wrapperIZN2at6native12_GLOBAL__N_124unique_dim_cuda_templateIlEESt5tupleIJNSH_6TensorESM_SM_EERKSM_lbbbEUlllE0_EEPmJS6_EEE10hipError_tPvRmT3_T4_T5_T6_T7_T9_mT8_P12ihipStream_tbDpT10_ENKUlT_T0_E_clISt17integral_constantIbLb1EES1C_EEDaS17_S18_EUlS17_E_NS1_11comp_targetILNS1_3genE9ELNS1_11target_archE1100ELNS1_3gpuE3ELNS1_3repE0EEENS1_30default_config_static_selectorELNS0_4arch9wavefront6targetE0EEEvT1_.num_vgpr, 0
	.set _ZN7rocprim17ROCPRIM_400000_NS6detail17trampoline_kernelINS0_14default_configENS1_25partition_config_selectorILNS1_17partition_subalgoE8ElNS0_10empty_typeEbEEZZNS1_14partition_implILS5_8ELb0ES3_jPlPS6_PKS6_NS0_5tupleIJS9_S6_EEENSD_IJSA_SA_EEENS0_18inequality_wrapperIZN2at6native12_GLOBAL__N_124unique_dim_cuda_templateIlEESt5tupleIJNSH_6TensorESM_SM_EERKSM_lbbbEUlllE0_EEPmJS6_EEE10hipError_tPvRmT3_T4_T5_T6_T7_T9_mT8_P12ihipStream_tbDpT10_ENKUlT_T0_E_clISt17integral_constantIbLb1EES1C_EEDaS17_S18_EUlS17_E_NS1_11comp_targetILNS1_3genE9ELNS1_11target_archE1100ELNS1_3gpuE3ELNS1_3repE0EEENS1_30default_config_static_selectorELNS0_4arch9wavefront6targetE0EEEvT1_.num_agpr, 0
	.set _ZN7rocprim17ROCPRIM_400000_NS6detail17trampoline_kernelINS0_14default_configENS1_25partition_config_selectorILNS1_17partition_subalgoE8ElNS0_10empty_typeEbEEZZNS1_14partition_implILS5_8ELb0ES3_jPlPS6_PKS6_NS0_5tupleIJS9_S6_EEENSD_IJSA_SA_EEENS0_18inequality_wrapperIZN2at6native12_GLOBAL__N_124unique_dim_cuda_templateIlEESt5tupleIJNSH_6TensorESM_SM_EERKSM_lbbbEUlllE0_EEPmJS6_EEE10hipError_tPvRmT3_T4_T5_T6_T7_T9_mT8_P12ihipStream_tbDpT10_ENKUlT_T0_E_clISt17integral_constantIbLb1EES1C_EEDaS17_S18_EUlS17_E_NS1_11comp_targetILNS1_3genE9ELNS1_11target_archE1100ELNS1_3gpuE3ELNS1_3repE0EEENS1_30default_config_static_selectorELNS0_4arch9wavefront6targetE0EEEvT1_.numbered_sgpr, 0
	.set _ZN7rocprim17ROCPRIM_400000_NS6detail17trampoline_kernelINS0_14default_configENS1_25partition_config_selectorILNS1_17partition_subalgoE8ElNS0_10empty_typeEbEEZZNS1_14partition_implILS5_8ELb0ES3_jPlPS6_PKS6_NS0_5tupleIJS9_S6_EEENSD_IJSA_SA_EEENS0_18inequality_wrapperIZN2at6native12_GLOBAL__N_124unique_dim_cuda_templateIlEESt5tupleIJNSH_6TensorESM_SM_EERKSM_lbbbEUlllE0_EEPmJS6_EEE10hipError_tPvRmT3_T4_T5_T6_T7_T9_mT8_P12ihipStream_tbDpT10_ENKUlT_T0_E_clISt17integral_constantIbLb1EES1C_EEDaS17_S18_EUlS17_E_NS1_11comp_targetILNS1_3genE9ELNS1_11target_archE1100ELNS1_3gpuE3ELNS1_3repE0EEENS1_30default_config_static_selectorELNS0_4arch9wavefront6targetE0EEEvT1_.num_named_barrier, 0
	.set _ZN7rocprim17ROCPRIM_400000_NS6detail17trampoline_kernelINS0_14default_configENS1_25partition_config_selectorILNS1_17partition_subalgoE8ElNS0_10empty_typeEbEEZZNS1_14partition_implILS5_8ELb0ES3_jPlPS6_PKS6_NS0_5tupleIJS9_S6_EEENSD_IJSA_SA_EEENS0_18inequality_wrapperIZN2at6native12_GLOBAL__N_124unique_dim_cuda_templateIlEESt5tupleIJNSH_6TensorESM_SM_EERKSM_lbbbEUlllE0_EEPmJS6_EEE10hipError_tPvRmT3_T4_T5_T6_T7_T9_mT8_P12ihipStream_tbDpT10_ENKUlT_T0_E_clISt17integral_constantIbLb1EES1C_EEDaS17_S18_EUlS17_E_NS1_11comp_targetILNS1_3genE9ELNS1_11target_archE1100ELNS1_3gpuE3ELNS1_3repE0EEENS1_30default_config_static_selectorELNS0_4arch9wavefront6targetE0EEEvT1_.private_seg_size, 0
	.set _ZN7rocprim17ROCPRIM_400000_NS6detail17trampoline_kernelINS0_14default_configENS1_25partition_config_selectorILNS1_17partition_subalgoE8ElNS0_10empty_typeEbEEZZNS1_14partition_implILS5_8ELb0ES3_jPlPS6_PKS6_NS0_5tupleIJS9_S6_EEENSD_IJSA_SA_EEENS0_18inequality_wrapperIZN2at6native12_GLOBAL__N_124unique_dim_cuda_templateIlEESt5tupleIJNSH_6TensorESM_SM_EERKSM_lbbbEUlllE0_EEPmJS6_EEE10hipError_tPvRmT3_T4_T5_T6_T7_T9_mT8_P12ihipStream_tbDpT10_ENKUlT_T0_E_clISt17integral_constantIbLb1EES1C_EEDaS17_S18_EUlS17_E_NS1_11comp_targetILNS1_3genE9ELNS1_11target_archE1100ELNS1_3gpuE3ELNS1_3repE0EEENS1_30default_config_static_selectorELNS0_4arch9wavefront6targetE0EEEvT1_.uses_vcc, 0
	.set _ZN7rocprim17ROCPRIM_400000_NS6detail17trampoline_kernelINS0_14default_configENS1_25partition_config_selectorILNS1_17partition_subalgoE8ElNS0_10empty_typeEbEEZZNS1_14partition_implILS5_8ELb0ES3_jPlPS6_PKS6_NS0_5tupleIJS9_S6_EEENSD_IJSA_SA_EEENS0_18inequality_wrapperIZN2at6native12_GLOBAL__N_124unique_dim_cuda_templateIlEESt5tupleIJNSH_6TensorESM_SM_EERKSM_lbbbEUlllE0_EEPmJS6_EEE10hipError_tPvRmT3_T4_T5_T6_T7_T9_mT8_P12ihipStream_tbDpT10_ENKUlT_T0_E_clISt17integral_constantIbLb1EES1C_EEDaS17_S18_EUlS17_E_NS1_11comp_targetILNS1_3genE9ELNS1_11target_archE1100ELNS1_3gpuE3ELNS1_3repE0EEENS1_30default_config_static_selectorELNS0_4arch9wavefront6targetE0EEEvT1_.uses_flat_scratch, 0
	.set _ZN7rocprim17ROCPRIM_400000_NS6detail17trampoline_kernelINS0_14default_configENS1_25partition_config_selectorILNS1_17partition_subalgoE8ElNS0_10empty_typeEbEEZZNS1_14partition_implILS5_8ELb0ES3_jPlPS6_PKS6_NS0_5tupleIJS9_S6_EEENSD_IJSA_SA_EEENS0_18inequality_wrapperIZN2at6native12_GLOBAL__N_124unique_dim_cuda_templateIlEESt5tupleIJNSH_6TensorESM_SM_EERKSM_lbbbEUlllE0_EEPmJS6_EEE10hipError_tPvRmT3_T4_T5_T6_T7_T9_mT8_P12ihipStream_tbDpT10_ENKUlT_T0_E_clISt17integral_constantIbLb1EES1C_EEDaS17_S18_EUlS17_E_NS1_11comp_targetILNS1_3genE9ELNS1_11target_archE1100ELNS1_3gpuE3ELNS1_3repE0EEENS1_30default_config_static_selectorELNS0_4arch9wavefront6targetE0EEEvT1_.has_dyn_sized_stack, 0
	.set _ZN7rocprim17ROCPRIM_400000_NS6detail17trampoline_kernelINS0_14default_configENS1_25partition_config_selectorILNS1_17partition_subalgoE8ElNS0_10empty_typeEbEEZZNS1_14partition_implILS5_8ELb0ES3_jPlPS6_PKS6_NS0_5tupleIJS9_S6_EEENSD_IJSA_SA_EEENS0_18inequality_wrapperIZN2at6native12_GLOBAL__N_124unique_dim_cuda_templateIlEESt5tupleIJNSH_6TensorESM_SM_EERKSM_lbbbEUlllE0_EEPmJS6_EEE10hipError_tPvRmT3_T4_T5_T6_T7_T9_mT8_P12ihipStream_tbDpT10_ENKUlT_T0_E_clISt17integral_constantIbLb1EES1C_EEDaS17_S18_EUlS17_E_NS1_11comp_targetILNS1_3genE9ELNS1_11target_archE1100ELNS1_3gpuE3ELNS1_3repE0EEENS1_30default_config_static_selectorELNS0_4arch9wavefront6targetE0EEEvT1_.has_recursion, 0
	.set _ZN7rocprim17ROCPRIM_400000_NS6detail17trampoline_kernelINS0_14default_configENS1_25partition_config_selectorILNS1_17partition_subalgoE8ElNS0_10empty_typeEbEEZZNS1_14partition_implILS5_8ELb0ES3_jPlPS6_PKS6_NS0_5tupleIJS9_S6_EEENSD_IJSA_SA_EEENS0_18inequality_wrapperIZN2at6native12_GLOBAL__N_124unique_dim_cuda_templateIlEESt5tupleIJNSH_6TensorESM_SM_EERKSM_lbbbEUlllE0_EEPmJS6_EEE10hipError_tPvRmT3_T4_T5_T6_T7_T9_mT8_P12ihipStream_tbDpT10_ENKUlT_T0_E_clISt17integral_constantIbLb1EES1C_EEDaS17_S18_EUlS17_E_NS1_11comp_targetILNS1_3genE9ELNS1_11target_archE1100ELNS1_3gpuE3ELNS1_3repE0EEENS1_30default_config_static_selectorELNS0_4arch9wavefront6targetE0EEEvT1_.has_indirect_call, 0
	.section	.AMDGPU.csdata,"",@progbits
; Kernel info:
; codeLenInByte = 0
; TotalNumSgprs: 0
; NumVgprs: 0
; ScratchSize: 0
; MemoryBound: 0
; FloatMode: 240
; IeeeMode: 1
; LDSByteSize: 0 bytes/workgroup (compile time only)
; SGPRBlocks: 0
; VGPRBlocks: 0
; NumSGPRsForWavesPerEU: 1
; NumVGPRsForWavesPerEU: 1
; NamedBarCnt: 0
; Occupancy: 16
; WaveLimiterHint : 0
; COMPUTE_PGM_RSRC2:SCRATCH_EN: 0
; COMPUTE_PGM_RSRC2:USER_SGPR: 2
; COMPUTE_PGM_RSRC2:TRAP_HANDLER: 0
; COMPUTE_PGM_RSRC2:TGID_X_EN: 1
; COMPUTE_PGM_RSRC2:TGID_Y_EN: 0
; COMPUTE_PGM_RSRC2:TGID_Z_EN: 0
; COMPUTE_PGM_RSRC2:TIDIG_COMP_CNT: 0
	.section	.text._ZN7rocprim17ROCPRIM_400000_NS6detail17trampoline_kernelINS0_14default_configENS1_25partition_config_selectorILNS1_17partition_subalgoE8ElNS0_10empty_typeEbEEZZNS1_14partition_implILS5_8ELb0ES3_jPlPS6_PKS6_NS0_5tupleIJS9_S6_EEENSD_IJSA_SA_EEENS0_18inequality_wrapperIZN2at6native12_GLOBAL__N_124unique_dim_cuda_templateIlEESt5tupleIJNSH_6TensorESM_SM_EERKSM_lbbbEUlllE0_EEPmJS6_EEE10hipError_tPvRmT3_T4_T5_T6_T7_T9_mT8_P12ihipStream_tbDpT10_ENKUlT_T0_E_clISt17integral_constantIbLb1EES1C_EEDaS17_S18_EUlS17_E_NS1_11comp_targetILNS1_3genE8ELNS1_11target_archE1030ELNS1_3gpuE2ELNS1_3repE0EEENS1_30default_config_static_selectorELNS0_4arch9wavefront6targetE0EEEvT1_,"axG",@progbits,_ZN7rocprim17ROCPRIM_400000_NS6detail17trampoline_kernelINS0_14default_configENS1_25partition_config_selectorILNS1_17partition_subalgoE8ElNS0_10empty_typeEbEEZZNS1_14partition_implILS5_8ELb0ES3_jPlPS6_PKS6_NS0_5tupleIJS9_S6_EEENSD_IJSA_SA_EEENS0_18inequality_wrapperIZN2at6native12_GLOBAL__N_124unique_dim_cuda_templateIlEESt5tupleIJNSH_6TensorESM_SM_EERKSM_lbbbEUlllE0_EEPmJS6_EEE10hipError_tPvRmT3_T4_T5_T6_T7_T9_mT8_P12ihipStream_tbDpT10_ENKUlT_T0_E_clISt17integral_constantIbLb1EES1C_EEDaS17_S18_EUlS17_E_NS1_11comp_targetILNS1_3genE8ELNS1_11target_archE1030ELNS1_3gpuE2ELNS1_3repE0EEENS1_30default_config_static_selectorELNS0_4arch9wavefront6targetE0EEEvT1_,comdat
	.globl	_ZN7rocprim17ROCPRIM_400000_NS6detail17trampoline_kernelINS0_14default_configENS1_25partition_config_selectorILNS1_17partition_subalgoE8ElNS0_10empty_typeEbEEZZNS1_14partition_implILS5_8ELb0ES3_jPlPS6_PKS6_NS0_5tupleIJS9_S6_EEENSD_IJSA_SA_EEENS0_18inequality_wrapperIZN2at6native12_GLOBAL__N_124unique_dim_cuda_templateIlEESt5tupleIJNSH_6TensorESM_SM_EERKSM_lbbbEUlllE0_EEPmJS6_EEE10hipError_tPvRmT3_T4_T5_T6_T7_T9_mT8_P12ihipStream_tbDpT10_ENKUlT_T0_E_clISt17integral_constantIbLb1EES1C_EEDaS17_S18_EUlS17_E_NS1_11comp_targetILNS1_3genE8ELNS1_11target_archE1030ELNS1_3gpuE2ELNS1_3repE0EEENS1_30default_config_static_selectorELNS0_4arch9wavefront6targetE0EEEvT1_ ; -- Begin function _ZN7rocprim17ROCPRIM_400000_NS6detail17trampoline_kernelINS0_14default_configENS1_25partition_config_selectorILNS1_17partition_subalgoE8ElNS0_10empty_typeEbEEZZNS1_14partition_implILS5_8ELb0ES3_jPlPS6_PKS6_NS0_5tupleIJS9_S6_EEENSD_IJSA_SA_EEENS0_18inequality_wrapperIZN2at6native12_GLOBAL__N_124unique_dim_cuda_templateIlEESt5tupleIJNSH_6TensorESM_SM_EERKSM_lbbbEUlllE0_EEPmJS6_EEE10hipError_tPvRmT3_T4_T5_T6_T7_T9_mT8_P12ihipStream_tbDpT10_ENKUlT_T0_E_clISt17integral_constantIbLb1EES1C_EEDaS17_S18_EUlS17_E_NS1_11comp_targetILNS1_3genE8ELNS1_11target_archE1030ELNS1_3gpuE2ELNS1_3repE0EEENS1_30default_config_static_selectorELNS0_4arch9wavefront6targetE0EEEvT1_
	.p2align	8
	.type	_ZN7rocprim17ROCPRIM_400000_NS6detail17trampoline_kernelINS0_14default_configENS1_25partition_config_selectorILNS1_17partition_subalgoE8ElNS0_10empty_typeEbEEZZNS1_14partition_implILS5_8ELb0ES3_jPlPS6_PKS6_NS0_5tupleIJS9_S6_EEENSD_IJSA_SA_EEENS0_18inequality_wrapperIZN2at6native12_GLOBAL__N_124unique_dim_cuda_templateIlEESt5tupleIJNSH_6TensorESM_SM_EERKSM_lbbbEUlllE0_EEPmJS6_EEE10hipError_tPvRmT3_T4_T5_T6_T7_T9_mT8_P12ihipStream_tbDpT10_ENKUlT_T0_E_clISt17integral_constantIbLb1EES1C_EEDaS17_S18_EUlS17_E_NS1_11comp_targetILNS1_3genE8ELNS1_11target_archE1030ELNS1_3gpuE2ELNS1_3repE0EEENS1_30default_config_static_selectorELNS0_4arch9wavefront6targetE0EEEvT1_,@function
_ZN7rocprim17ROCPRIM_400000_NS6detail17trampoline_kernelINS0_14default_configENS1_25partition_config_selectorILNS1_17partition_subalgoE8ElNS0_10empty_typeEbEEZZNS1_14partition_implILS5_8ELb0ES3_jPlPS6_PKS6_NS0_5tupleIJS9_S6_EEENSD_IJSA_SA_EEENS0_18inequality_wrapperIZN2at6native12_GLOBAL__N_124unique_dim_cuda_templateIlEESt5tupleIJNSH_6TensorESM_SM_EERKSM_lbbbEUlllE0_EEPmJS6_EEE10hipError_tPvRmT3_T4_T5_T6_T7_T9_mT8_P12ihipStream_tbDpT10_ENKUlT_T0_E_clISt17integral_constantIbLb1EES1C_EEDaS17_S18_EUlS17_E_NS1_11comp_targetILNS1_3genE8ELNS1_11target_archE1030ELNS1_3gpuE2ELNS1_3repE0EEENS1_30default_config_static_selectorELNS0_4arch9wavefront6targetE0EEEvT1_: ; @_ZN7rocprim17ROCPRIM_400000_NS6detail17trampoline_kernelINS0_14default_configENS1_25partition_config_selectorILNS1_17partition_subalgoE8ElNS0_10empty_typeEbEEZZNS1_14partition_implILS5_8ELb0ES3_jPlPS6_PKS6_NS0_5tupleIJS9_S6_EEENSD_IJSA_SA_EEENS0_18inequality_wrapperIZN2at6native12_GLOBAL__N_124unique_dim_cuda_templateIlEESt5tupleIJNSH_6TensorESM_SM_EERKSM_lbbbEUlllE0_EEPmJS6_EEE10hipError_tPvRmT3_T4_T5_T6_T7_T9_mT8_P12ihipStream_tbDpT10_ENKUlT_T0_E_clISt17integral_constantIbLb1EES1C_EEDaS17_S18_EUlS17_E_NS1_11comp_targetILNS1_3genE8ELNS1_11target_archE1030ELNS1_3gpuE2ELNS1_3repE0EEENS1_30default_config_static_selectorELNS0_4arch9wavefront6targetE0EEEvT1_
; %bb.0:
	.section	.rodata,"a",@progbits
	.p2align	6, 0x0
	.amdhsa_kernel _ZN7rocprim17ROCPRIM_400000_NS6detail17trampoline_kernelINS0_14default_configENS1_25partition_config_selectorILNS1_17partition_subalgoE8ElNS0_10empty_typeEbEEZZNS1_14partition_implILS5_8ELb0ES3_jPlPS6_PKS6_NS0_5tupleIJS9_S6_EEENSD_IJSA_SA_EEENS0_18inequality_wrapperIZN2at6native12_GLOBAL__N_124unique_dim_cuda_templateIlEESt5tupleIJNSH_6TensorESM_SM_EERKSM_lbbbEUlllE0_EEPmJS6_EEE10hipError_tPvRmT3_T4_T5_T6_T7_T9_mT8_P12ihipStream_tbDpT10_ENKUlT_T0_E_clISt17integral_constantIbLb1EES1C_EEDaS17_S18_EUlS17_E_NS1_11comp_targetILNS1_3genE8ELNS1_11target_archE1030ELNS1_3gpuE2ELNS1_3repE0EEENS1_30default_config_static_selectorELNS0_4arch9wavefront6targetE0EEEvT1_
		.amdhsa_group_segment_fixed_size 0
		.amdhsa_private_segment_fixed_size 0
		.amdhsa_kernarg_size 136
		.amdhsa_user_sgpr_count 2
		.amdhsa_user_sgpr_dispatch_ptr 0
		.amdhsa_user_sgpr_queue_ptr 0
		.amdhsa_user_sgpr_kernarg_segment_ptr 1
		.amdhsa_user_sgpr_dispatch_id 0
		.amdhsa_user_sgpr_kernarg_preload_length 0
		.amdhsa_user_sgpr_kernarg_preload_offset 0
		.amdhsa_user_sgpr_private_segment_size 0
		.amdhsa_wavefront_size32 1
		.amdhsa_uses_dynamic_stack 0
		.amdhsa_enable_private_segment 0
		.amdhsa_system_sgpr_workgroup_id_x 1
		.amdhsa_system_sgpr_workgroup_id_y 0
		.amdhsa_system_sgpr_workgroup_id_z 0
		.amdhsa_system_sgpr_workgroup_info 0
		.amdhsa_system_vgpr_workitem_id 0
		.amdhsa_next_free_vgpr 1
		.amdhsa_next_free_sgpr 1
		.amdhsa_named_barrier_count 0
		.amdhsa_reserve_vcc 0
		.amdhsa_float_round_mode_32 0
		.amdhsa_float_round_mode_16_64 0
		.amdhsa_float_denorm_mode_32 3
		.amdhsa_float_denorm_mode_16_64 3
		.amdhsa_fp16_overflow 0
		.amdhsa_memory_ordered 1
		.amdhsa_forward_progress 1
		.amdhsa_inst_pref_size 0
		.amdhsa_round_robin_scheduling 0
		.amdhsa_exception_fp_ieee_invalid_op 0
		.amdhsa_exception_fp_denorm_src 0
		.amdhsa_exception_fp_ieee_div_zero 0
		.amdhsa_exception_fp_ieee_overflow 0
		.amdhsa_exception_fp_ieee_underflow 0
		.amdhsa_exception_fp_ieee_inexact 0
		.amdhsa_exception_int_div_zero 0
	.end_amdhsa_kernel
	.section	.text._ZN7rocprim17ROCPRIM_400000_NS6detail17trampoline_kernelINS0_14default_configENS1_25partition_config_selectorILNS1_17partition_subalgoE8ElNS0_10empty_typeEbEEZZNS1_14partition_implILS5_8ELb0ES3_jPlPS6_PKS6_NS0_5tupleIJS9_S6_EEENSD_IJSA_SA_EEENS0_18inequality_wrapperIZN2at6native12_GLOBAL__N_124unique_dim_cuda_templateIlEESt5tupleIJNSH_6TensorESM_SM_EERKSM_lbbbEUlllE0_EEPmJS6_EEE10hipError_tPvRmT3_T4_T5_T6_T7_T9_mT8_P12ihipStream_tbDpT10_ENKUlT_T0_E_clISt17integral_constantIbLb1EES1C_EEDaS17_S18_EUlS17_E_NS1_11comp_targetILNS1_3genE8ELNS1_11target_archE1030ELNS1_3gpuE2ELNS1_3repE0EEENS1_30default_config_static_selectorELNS0_4arch9wavefront6targetE0EEEvT1_,"axG",@progbits,_ZN7rocprim17ROCPRIM_400000_NS6detail17trampoline_kernelINS0_14default_configENS1_25partition_config_selectorILNS1_17partition_subalgoE8ElNS0_10empty_typeEbEEZZNS1_14partition_implILS5_8ELb0ES3_jPlPS6_PKS6_NS0_5tupleIJS9_S6_EEENSD_IJSA_SA_EEENS0_18inequality_wrapperIZN2at6native12_GLOBAL__N_124unique_dim_cuda_templateIlEESt5tupleIJNSH_6TensorESM_SM_EERKSM_lbbbEUlllE0_EEPmJS6_EEE10hipError_tPvRmT3_T4_T5_T6_T7_T9_mT8_P12ihipStream_tbDpT10_ENKUlT_T0_E_clISt17integral_constantIbLb1EES1C_EEDaS17_S18_EUlS17_E_NS1_11comp_targetILNS1_3genE8ELNS1_11target_archE1030ELNS1_3gpuE2ELNS1_3repE0EEENS1_30default_config_static_selectorELNS0_4arch9wavefront6targetE0EEEvT1_,comdat
.Lfunc_end578:
	.size	_ZN7rocprim17ROCPRIM_400000_NS6detail17trampoline_kernelINS0_14default_configENS1_25partition_config_selectorILNS1_17partition_subalgoE8ElNS0_10empty_typeEbEEZZNS1_14partition_implILS5_8ELb0ES3_jPlPS6_PKS6_NS0_5tupleIJS9_S6_EEENSD_IJSA_SA_EEENS0_18inequality_wrapperIZN2at6native12_GLOBAL__N_124unique_dim_cuda_templateIlEESt5tupleIJNSH_6TensorESM_SM_EERKSM_lbbbEUlllE0_EEPmJS6_EEE10hipError_tPvRmT3_T4_T5_T6_T7_T9_mT8_P12ihipStream_tbDpT10_ENKUlT_T0_E_clISt17integral_constantIbLb1EES1C_EEDaS17_S18_EUlS17_E_NS1_11comp_targetILNS1_3genE8ELNS1_11target_archE1030ELNS1_3gpuE2ELNS1_3repE0EEENS1_30default_config_static_selectorELNS0_4arch9wavefront6targetE0EEEvT1_, .Lfunc_end578-_ZN7rocprim17ROCPRIM_400000_NS6detail17trampoline_kernelINS0_14default_configENS1_25partition_config_selectorILNS1_17partition_subalgoE8ElNS0_10empty_typeEbEEZZNS1_14partition_implILS5_8ELb0ES3_jPlPS6_PKS6_NS0_5tupleIJS9_S6_EEENSD_IJSA_SA_EEENS0_18inequality_wrapperIZN2at6native12_GLOBAL__N_124unique_dim_cuda_templateIlEESt5tupleIJNSH_6TensorESM_SM_EERKSM_lbbbEUlllE0_EEPmJS6_EEE10hipError_tPvRmT3_T4_T5_T6_T7_T9_mT8_P12ihipStream_tbDpT10_ENKUlT_T0_E_clISt17integral_constantIbLb1EES1C_EEDaS17_S18_EUlS17_E_NS1_11comp_targetILNS1_3genE8ELNS1_11target_archE1030ELNS1_3gpuE2ELNS1_3repE0EEENS1_30default_config_static_selectorELNS0_4arch9wavefront6targetE0EEEvT1_
                                        ; -- End function
	.set _ZN7rocprim17ROCPRIM_400000_NS6detail17trampoline_kernelINS0_14default_configENS1_25partition_config_selectorILNS1_17partition_subalgoE8ElNS0_10empty_typeEbEEZZNS1_14partition_implILS5_8ELb0ES3_jPlPS6_PKS6_NS0_5tupleIJS9_S6_EEENSD_IJSA_SA_EEENS0_18inequality_wrapperIZN2at6native12_GLOBAL__N_124unique_dim_cuda_templateIlEESt5tupleIJNSH_6TensorESM_SM_EERKSM_lbbbEUlllE0_EEPmJS6_EEE10hipError_tPvRmT3_T4_T5_T6_T7_T9_mT8_P12ihipStream_tbDpT10_ENKUlT_T0_E_clISt17integral_constantIbLb1EES1C_EEDaS17_S18_EUlS17_E_NS1_11comp_targetILNS1_3genE8ELNS1_11target_archE1030ELNS1_3gpuE2ELNS1_3repE0EEENS1_30default_config_static_selectorELNS0_4arch9wavefront6targetE0EEEvT1_.num_vgpr, 0
	.set _ZN7rocprim17ROCPRIM_400000_NS6detail17trampoline_kernelINS0_14default_configENS1_25partition_config_selectorILNS1_17partition_subalgoE8ElNS0_10empty_typeEbEEZZNS1_14partition_implILS5_8ELb0ES3_jPlPS6_PKS6_NS0_5tupleIJS9_S6_EEENSD_IJSA_SA_EEENS0_18inequality_wrapperIZN2at6native12_GLOBAL__N_124unique_dim_cuda_templateIlEESt5tupleIJNSH_6TensorESM_SM_EERKSM_lbbbEUlllE0_EEPmJS6_EEE10hipError_tPvRmT3_T4_T5_T6_T7_T9_mT8_P12ihipStream_tbDpT10_ENKUlT_T0_E_clISt17integral_constantIbLb1EES1C_EEDaS17_S18_EUlS17_E_NS1_11comp_targetILNS1_3genE8ELNS1_11target_archE1030ELNS1_3gpuE2ELNS1_3repE0EEENS1_30default_config_static_selectorELNS0_4arch9wavefront6targetE0EEEvT1_.num_agpr, 0
	.set _ZN7rocprim17ROCPRIM_400000_NS6detail17trampoline_kernelINS0_14default_configENS1_25partition_config_selectorILNS1_17partition_subalgoE8ElNS0_10empty_typeEbEEZZNS1_14partition_implILS5_8ELb0ES3_jPlPS6_PKS6_NS0_5tupleIJS9_S6_EEENSD_IJSA_SA_EEENS0_18inequality_wrapperIZN2at6native12_GLOBAL__N_124unique_dim_cuda_templateIlEESt5tupleIJNSH_6TensorESM_SM_EERKSM_lbbbEUlllE0_EEPmJS6_EEE10hipError_tPvRmT3_T4_T5_T6_T7_T9_mT8_P12ihipStream_tbDpT10_ENKUlT_T0_E_clISt17integral_constantIbLb1EES1C_EEDaS17_S18_EUlS17_E_NS1_11comp_targetILNS1_3genE8ELNS1_11target_archE1030ELNS1_3gpuE2ELNS1_3repE0EEENS1_30default_config_static_selectorELNS0_4arch9wavefront6targetE0EEEvT1_.numbered_sgpr, 0
	.set _ZN7rocprim17ROCPRIM_400000_NS6detail17trampoline_kernelINS0_14default_configENS1_25partition_config_selectorILNS1_17partition_subalgoE8ElNS0_10empty_typeEbEEZZNS1_14partition_implILS5_8ELb0ES3_jPlPS6_PKS6_NS0_5tupleIJS9_S6_EEENSD_IJSA_SA_EEENS0_18inequality_wrapperIZN2at6native12_GLOBAL__N_124unique_dim_cuda_templateIlEESt5tupleIJNSH_6TensorESM_SM_EERKSM_lbbbEUlllE0_EEPmJS6_EEE10hipError_tPvRmT3_T4_T5_T6_T7_T9_mT8_P12ihipStream_tbDpT10_ENKUlT_T0_E_clISt17integral_constantIbLb1EES1C_EEDaS17_S18_EUlS17_E_NS1_11comp_targetILNS1_3genE8ELNS1_11target_archE1030ELNS1_3gpuE2ELNS1_3repE0EEENS1_30default_config_static_selectorELNS0_4arch9wavefront6targetE0EEEvT1_.num_named_barrier, 0
	.set _ZN7rocprim17ROCPRIM_400000_NS6detail17trampoline_kernelINS0_14default_configENS1_25partition_config_selectorILNS1_17partition_subalgoE8ElNS0_10empty_typeEbEEZZNS1_14partition_implILS5_8ELb0ES3_jPlPS6_PKS6_NS0_5tupleIJS9_S6_EEENSD_IJSA_SA_EEENS0_18inequality_wrapperIZN2at6native12_GLOBAL__N_124unique_dim_cuda_templateIlEESt5tupleIJNSH_6TensorESM_SM_EERKSM_lbbbEUlllE0_EEPmJS6_EEE10hipError_tPvRmT3_T4_T5_T6_T7_T9_mT8_P12ihipStream_tbDpT10_ENKUlT_T0_E_clISt17integral_constantIbLb1EES1C_EEDaS17_S18_EUlS17_E_NS1_11comp_targetILNS1_3genE8ELNS1_11target_archE1030ELNS1_3gpuE2ELNS1_3repE0EEENS1_30default_config_static_selectorELNS0_4arch9wavefront6targetE0EEEvT1_.private_seg_size, 0
	.set _ZN7rocprim17ROCPRIM_400000_NS6detail17trampoline_kernelINS0_14default_configENS1_25partition_config_selectorILNS1_17partition_subalgoE8ElNS0_10empty_typeEbEEZZNS1_14partition_implILS5_8ELb0ES3_jPlPS6_PKS6_NS0_5tupleIJS9_S6_EEENSD_IJSA_SA_EEENS0_18inequality_wrapperIZN2at6native12_GLOBAL__N_124unique_dim_cuda_templateIlEESt5tupleIJNSH_6TensorESM_SM_EERKSM_lbbbEUlllE0_EEPmJS6_EEE10hipError_tPvRmT3_T4_T5_T6_T7_T9_mT8_P12ihipStream_tbDpT10_ENKUlT_T0_E_clISt17integral_constantIbLb1EES1C_EEDaS17_S18_EUlS17_E_NS1_11comp_targetILNS1_3genE8ELNS1_11target_archE1030ELNS1_3gpuE2ELNS1_3repE0EEENS1_30default_config_static_selectorELNS0_4arch9wavefront6targetE0EEEvT1_.uses_vcc, 0
	.set _ZN7rocprim17ROCPRIM_400000_NS6detail17trampoline_kernelINS0_14default_configENS1_25partition_config_selectorILNS1_17partition_subalgoE8ElNS0_10empty_typeEbEEZZNS1_14partition_implILS5_8ELb0ES3_jPlPS6_PKS6_NS0_5tupleIJS9_S6_EEENSD_IJSA_SA_EEENS0_18inequality_wrapperIZN2at6native12_GLOBAL__N_124unique_dim_cuda_templateIlEESt5tupleIJNSH_6TensorESM_SM_EERKSM_lbbbEUlllE0_EEPmJS6_EEE10hipError_tPvRmT3_T4_T5_T6_T7_T9_mT8_P12ihipStream_tbDpT10_ENKUlT_T0_E_clISt17integral_constantIbLb1EES1C_EEDaS17_S18_EUlS17_E_NS1_11comp_targetILNS1_3genE8ELNS1_11target_archE1030ELNS1_3gpuE2ELNS1_3repE0EEENS1_30default_config_static_selectorELNS0_4arch9wavefront6targetE0EEEvT1_.uses_flat_scratch, 0
	.set _ZN7rocprim17ROCPRIM_400000_NS6detail17trampoline_kernelINS0_14default_configENS1_25partition_config_selectorILNS1_17partition_subalgoE8ElNS0_10empty_typeEbEEZZNS1_14partition_implILS5_8ELb0ES3_jPlPS6_PKS6_NS0_5tupleIJS9_S6_EEENSD_IJSA_SA_EEENS0_18inequality_wrapperIZN2at6native12_GLOBAL__N_124unique_dim_cuda_templateIlEESt5tupleIJNSH_6TensorESM_SM_EERKSM_lbbbEUlllE0_EEPmJS6_EEE10hipError_tPvRmT3_T4_T5_T6_T7_T9_mT8_P12ihipStream_tbDpT10_ENKUlT_T0_E_clISt17integral_constantIbLb1EES1C_EEDaS17_S18_EUlS17_E_NS1_11comp_targetILNS1_3genE8ELNS1_11target_archE1030ELNS1_3gpuE2ELNS1_3repE0EEENS1_30default_config_static_selectorELNS0_4arch9wavefront6targetE0EEEvT1_.has_dyn_sized_stack, 0
	.set _ZN7rocprim17ROCPRIM_400000_NS6detail17trampoline_kernelINS0_14default_configENS1_25partition_config_selectorILNS1_17partition_subalgoE8ElNS0_10empty_typeEbEEZZNS1_14partition_implILS5_8ELb0ES3_jPlPS6_PKS6_NS0_5tupleIJS9_S6_EEENSD_IJSA_SA_EEENS0_18inequality_wrapperIZN2at6native12_GLOBAL__N_124unique_dim_cuda_templateIlEESt5tupleIJNSH_6TensorESM_SM_EERKSM_lbbbEUlllE0_EEPmJS6_EEE10hipError_tPvRmT3_T4_T5_T6_T7_T9_mT8_P12ihipStream_tbDpT10_ENKUlT_T0_E_clISt17integral_constantIbLb1EES1C_EEDaS17_S18_EUlS17_E_NS1_11comp_targetILNS1_3genE8ELNS1_11target_archE1030ELNS1_3gpuE2ELNS1_3repE0EEENS1_30default_config_static_selectorELNS0_4arch9wavefront6targetE0EEEvT1_.has_recursion, 0
	.set _ZN7rocprim17ROCPRIM_400000_NS6detail17trampoline_kernelINS0_14default_configENS1_25partition_config_selectorILNS1_17partition_subalgoE8ElNS0_10empty_typeEbEEZZNS1_14partition_implILS5_8ELb0ES3_jPlPS6_PKS6_NS0_5tupleIJS9_S6_EEENSD_IJSA_SA_EEENS0_18inequality_wrapperIZN2at6native12_GLOBAL__N_124unique_dim_cuda_templateIlEESt5tupleIJNSH_6TensorESM_SM_EERKSM_lbbbEUlllE0_EEPmJS6_EEE10hipError_tPvRmT3_T4_T5_T6_T7_T9_mT8_P12ihipStream_tbDpT10_ENKUlT_T0_E_clISt17integral_constantIbLb1EES1C_EEDaS17_S18_EUlS17_E_NS1_11comp_targetILNS1_3genE8ELNS1_11target_archE1030ELNS1_3gpuE2ELNS1_3repE0EEENS1_30default_config_static_selectorELNS0_4arch9wavefront6targetE0EEEvT1_.has_indirect_call, 0
	.section	.AMDGPU.csdata,"",@progbits
; Kernel info:
; codeLenInByte = 0
; TotalNumSgprs: 0
; NumVgprs: 0
; ScratchSize: 0
; MemoryBound: 0
; FloatMode: 240
; IeeeMode: 1
; LDSByteSize: 0 bytes/workgroup (compile time only)
; SGPRBlocks: 0
; VGPRBlocks: 0
; NumSGPRsForWavesPerEU: 1
; NumVGPRsForWavesPerEU: 1
; NamedBarCnt: 0
; Occupancy: 16
; WaveLimiterHint : 0
; COMPUTE_PGM_RSRC2:SCRATCH_EN: 0
; COMPUTE_PGM_RSRC2:USER_SGPR: 2
; COMPUTE_PGM_RSRC2:TRAP_HANDLER: 0
; COMPUTE_PGM_RSRC2:TGID_X_EN: 1
; COMPUTE_PGM_RSRC2:TGID_Y_EN: 0
; COMPUTE_PGM_RSRC2:TGID_Z_EN: 0
; COMPUTE_PGM_RSRC2:TIDIG_COMP_CNT: 0
	.section	.text._ZN7rocprim17ROCPRIM_400000_NS6detail17trampoline_kernelINS0_14default_configENS1_25partition_config_selectorILNS1_17partition_subalgoE8ElNS0_10empty_typeEbEEZZNS1_14partition_implILS5_8ELb0ES3_jPlPS6_PKS6_NS0_5tupleIJS9_S6_EEENSD_IJSA_SA_EEENS0_18inequality_wrapperIZN2at6native12_GLOBAL__N_124unique_dim_cuda_templateIlEESt5tupleIJNSH_6TensorESM_SM_EERKSM_lbbbEUlllE0_EEPmJS6_EEE10hipError_tPvRmT3_T4_T5_T6_T7_T9_mT8_P12ihipStream_tbDpT10_ENKUlT_T0_E_clISt17integral_constantIbLb1EES1B_IbLb0EEEEDaS17_S18_EUlS17_E_NS1_11comp_targetILNS1_3genE0ELNS1_11target_archE4294967295ELNS1_3gpuE0ELNS1_3repE0EEENS1_30default_config_static_selectorELNS0_4arch9wavefront6targetE0EEEvT1_,"axG",@progbits,_ZN7rocprim17ROCPRIM_400000_NS6detail17trampoline_kernelINS0_14default_configENS1_25partition_config_selectorILNS1_17partition_subalgoE8ElNS0_10empty_typeEbEEZZNS1_14partition_implILS5_8ELb0ES3_jPlPS6_PKS6_NS0_5tupleIJS9_S6_EEENSD_IJSA_SA_EEENS0_18inequality_wrapperIZN2at6native12_GLOBAL__N_124unique_dim_cuda_templateIlEESt5tupleIJNSH_6TensorESM_SM_EERKSM_lbbbEUlllE0_EEPmJS6_EEE10hipError_tPvRmT3_T4_T5_T6_T7_T9_mT8_P12ihipStream_tbDpT10_ENKUlT_T0_E_clISt17integral_constantIbLb1EES1B_IbLb0EEEEDaS17_S18_EUlS17_E_NS1_11comp_targetILNS1_3genE0ELNS1_11target_archE4294967295ELNS1_3gpuE0ELNS1_3repE0EEENS1_30default_config_static_selectorELNS0_4arch9wavefront6targetE0EEEvT1_,comdat
	.globl	_ZN7rocprim17ROCPRIM_400000_NS6detail17trampoline_kernelINS0_14default_configENS1_25partition_config_selectorILNS1_17partition_subalgoE8ElNS0_10empty_typeEbEEZZNS1_14partition_implILS5_8ELb0ES3_jPlPS6_PKS6_NS0_5tupleIJS9_S6_EEENSD_IJSA_SA_EEENS0_18inequality_wrapperIZN2at6native12_GLOBAL__N_124unique_dim_cuda_templateIlEESt5tupleIJNSH_6TensorESM_SM_EERKSM_lbbbEUlllE0_EEPmJS6_EEE10hipError_tPvRmT3_T4_T5_T6_T7_T9_mT8_P12ihipStream_tbDpT10_ENKUlT_T0_E_clISt17integral_constantIbLb1EES1B_IbLb0EEEEDaS17_S18_EUlS17_E_NS1_11comp_targetILNS1_3genE0ELNS1_11target_archE4294967295ELNS1_3gpuE0ELNS1_3repE0EEENS1_30default_config_static_selectorELNS0_4arch9wavefront6targetE0EEEvT1_ ; -- Begin function _ZN7rocprim17ROCPRIM_400000_NS6detail17trampoline_kernelINS0_14default_configENS1_25partition_config_selectorILNS1_17partition_subalgoE8ElNS0_10empty_typeEbEEZZNS1_14partition_implILS5_8ELb0ES3_jPlPS6_PKS6_NS0_5tupleIJS9_S6_EEENSD_IJSA_SA_EEENS0_18inequality_wrapperIZN2at6native12_GLOBAL__N_124unique_dim_cuda_templateIlEESt5tupleIJNSH_6TensorESM_SM_EERKSM_lbbbEUlllE0_EEPmJS6_EEE10hipError_tPvRmT3_T4_T5_T6_T7_T9_mT8_P12ihipStream_tbDpT10_ENKUlT_T0_E_clISt17integral_constantIbLb1EES1B_IbLb0EEEEDaS17_S18_EUlS17_E_NS1_11comp_targetILNS1_3genE0ELNS1_11target_archE4294967295ELNS1_3gpuE0ELNS1_3repE0EEENS1_30default_config_static_selectorELNS0_4arch9wavefront6targetE0EEEvT1_
	.p2align	8
	.type	_ZN7rocprim17ROCPRIM_400000_NS6detail17trampoline_kernelINS0_14default_configENS1_25partition_config_selectorILNS1_17partition_subalgoE8ElNS0_10empty_typeEbEEZZNS1_14partition_implILS5_8ELb0ES3_jPlPS6_PKS6_NS0_5tupleIJS9_S6_EEENSD_IJSA_SA_EEENS0_18inequality_wrapperIZN2at6native12_GLOBAL__N_124unique_dim_cuda_templateIlEESt5tupleIJNSH_6TensorESM_SM_EERKSM_lbbbEUlllE0_EEPmJS6_EEE10hipError_tPvRmT3_T4_T5_T6_T7_T9_mT8_P12ihipStream_tbDpT10_ENKUlT_T0_E_clISt17integral_constantIbLb1EES1B_IbLb0EEEEDaS17_S18_EUlS17_E_NS1_11comp_targetILNS1_3genE0ELNS1_11target_archE4294967295ELNS1_3gpuE0ELNS1_3repE0EEENS1_30default_config_static_selectorELNS0_4arch9wavefront6targetE0EEEvT1_,@function
_ZN7rocprim17ROCPRIM_400000_NS6detail17trampoline_kernelINS0_14default_configENS1_25partition_config_selectorILNS1_17partition_subalgoE8ElNS0_10empty_typeEbEEZZNS1_14partition_implILS5_8ELb0ES3_jPlPS6_PKS6_NS0_5tupleIJS9_S6_EEENSD_IJSA_SA_EEENS0_18inequality_wrapperIZN2at6native12_GLOBAL__N_124unique_dim_cuda_templateIlEESt5tupleIJNSH_6TensorESM_SM_EERKSM_lbbbEUlllE0_EEPmJS6_EEE10hipError_tPvRmT3_T4_T5_T6_T7_T9_mT8_P12ihipStream_tbDpT10_ENKUlT_T0_E_clISt17integral_constantIbLb1EES1B_IbLb0EEEEDaS17_S18_EUlS17_E_NS1_11comp_targetILNS1_3genE0ELNS1_11target_archE4294967295ELNS1_3gpuE0ELNS1_3repE0EEENS1_30default_config_static_selectorELNS0_4arch9wavefront6targetE0EEEvT1_: ; @_ZN7rocprim17ROCPRIM_400000_NS6detail17trampoline_kernelINS0_14default_configENS1_25partition_config_selectorILNS1_17partition_subalgoE8ElNS0_10empty_typeEbEEZZNS1_14partition_implILS5_8ELb0ES3_jPlPS6_PKS6_NS0_5tupleIJS9_S6_EEENSD_IJSA_SA_EEENS0_18inequality_wrapperIZN2at6native12_GLOBAL__N_124unique_dim_cuda_templateIlEESt5tupleIJNSH_6TensorESM_SM_EERKSM_lbbbEUlllE0_EEPmJS6_EEE10hipError_tPvRmT3_T4_T5_T6_T7_T9_mT8_P12ihipStream_tbDpT10_ENKUlT_T0_E_clISt17integral_constantIbLb1EES1B_IbLb0EEEEDaS17_S18_EUlS17_E_NS1_11comp_targetILNS1_3genE0ELNS1_11target_archE4294967295ELNS1_3gpuE0ELNS1_3repE0EEENS1_30default_config_static_selectorELNS0_4arch9wavefront6targetE0EEEvT1_
; %bb.0:
	s_endpgm
	.section	.rodata,"a",@progbits
	.p2align	6, 0x0
	.amdhsa_kernel _ZN7rocprim17ROCPRIM_400000_NS6detail17trampoline_kernelINS0_14default_configENS1_25partition_config_selectorILNS1_17partition_subalgoE8ElNS0_10empty_typeEbEEZZNS1_14partition_implILS5_8ELb0ES3_jPlPS6_PKS6_NS0_5tupleIJS9_S6_EEENSD_IJSA_SA_EEENS0_18inequality_wrapperIZN2at6native12_GLOBAL__N_124unique_dim_cuda_templateIlEESt5tupleIJNSH_6TensorESM_SM_EERKSM_lbbbEUlllE0_EEPmJS6_EEE10hipError_tPvRmT3_T4_T5_T6_T7_T9_mT8_P12ihipStream_tbDpT10_ENKUlT_T0_E_clISt17integral_constantIbLb1EES1B_IbLb0EEEEDaS17_S18_EUlS17_E_NS1_11comp_targetILNS1_3genE0ELNS1_11target_archE4294967295ELNS1_3gpuE0ELNS1_3repE0EEENS1_30default_config_static_selectorELNS0_4arch9wavefront6targetE0EEEvT1_
		.amdhsa_group_segment_fixed_size 0
		.amdhsa_private_segment_fixed_size 0
		.amdhsa_kernarg_size 120
		.amdhsa_user_sgpr_count 2
		.amdhsa_user_sgpr_dispatch_ptr 0
		.amdhsa_user_sgpr_queue_ptr 0
		.amdhsa_user_sgpr_kernarg_segment_ptr 1
		.amdhsa_user_sgpr_dispatch_id 0
		.amdhsa_user_sgpr_kernarg_preload_length 0
		.amdhsa_user_sgpr_kernarg_preload_offset 0
		.amdhsa_user_sgpr_private_segment_size 0
		.amdhsa_wavefront_size32 1
		.amdhsa_uses_dynamic_stack 0
		.amdhsa_enable_private_segment 0
		.amdhsa_system_sgpr_workgroup_id_x 1
		.amdhsa_system_sgpr_workgroup_id_y 0
		.amdhsa_system_sgpr_workgroup_id_z 0
		.amdhsa_system_sgpr_workgroup_info 0
		.amdhsa_system_vgpr_workitem_id 0
		.amdhsa_next_free_vgpr 1
		.amdhsa_next_free_sgpr 1
		.amdhsa_named_barrier_count 0
		.amdhsa_reserve_vcc 0
		.amdhsa_float_round_mode_32 0
		.amdhsa_float_round_mode_16_64 0
		.amdhsa_float_denorm_mode_32 3
		.amdhsa_float_denorm_mode_16_64 3
		.amdhsa_fp16_overflow 0
		.amdhsa_memory_ordered 1
		.amdhsa_forward_progress 1
		.amdhsa_inst_pref_size 1
		.amdhsa_round_robin_scheduling 0
		.amdhsa_exception_fp_ieee_invalid_op 0
		.amdhsa_exception_fp_denorm_src 0
		.amdhsa_exception_fp_ieee_div_zero 0
		.amdhsa_exception_fp_ieee_overflow 0
		.amdhsa_exception_fp_ieee_underflow 0
		.amdhsa_exception_fp_ieee_inexact 0
		.amdhsa_exception_int_div_zero 0
	.end_amdhsa_kernel
	.section	.text._ZN7rocprim17ROCPRIM_400000_NS6detail17trampoline_kernelINS0_14default_configENS1_25partition_config_selectorILNS1_17partition_subalgoE8ElNS0_10empty_typeEbEEZZNS1_14partition_implILS5_8ELb0ES3_jPlPS6_PKS6_NS0_5tupleIJS9_S6_EEENSD_IJSA_SA_EEENS0_18inequality_wrapperIZN2at6native12_GLOBAL__N_124unique_dim_cuda_templateIlEESt5tupleIJNSH_6TensorESM_SM_EERKSM_lbbbEUlllE0_EEPmJS6_EEE10hipError_tPvRmT3_T4_T5_T6_T7_T9_mT8_P12ihipStream_tbDpT10_ENKUlT_T0_E_clISt17integral_constantIbLb1EES1B_IbLb0EEEEDaS17_S18_EUlS17_E_NS1_11comp_targetILNS1_3genE0ELNS1_11target_archE4294967295ELNS1_3gpuE0ELNS1_3repE0EEENS1_30default_config_static_selectorELNS0_4arch9wavefront6targetE0EEEvT1_,"axG",@progbits,_ZN7rocprim17ROCPRIM_400000_NS6detail17trampoline_kernelINS0_14default_configENS1_25partition_config_selectorILNS1_17partition_subalgoE8ElNS0_10empty_typeEbEEZZNS1_14partition_implILS5_8ELb0ES3_jPlPS6_PKS6_NS0_5tupleIJS9_S6_EEENSD_IJSA_SA_EEENS0_18inequality_wrapperIZN2at6native12_GLOBAL__N_124unique_dim_cuda_templateIlEESt5tupleIJNSH_6TensorESM_SM_EERKSM_lbbbEUlllE0_EEPmJS6_EEE10hipError_tPvRmT3_T4_T5_T6_T7_T9_mT8_P12ihipStream_tbDpT10_ENKUlT_T0_E_clISt17integral_constantIbLb1EES1B_IbLb0EEEEDaS17_S18_EUlS17_E_NS1_11comp_targetILNS1_3genE0ELNS1_11target_archE4294967295ELNS1_3gpuE0ELNS1_3repE0EEENS1_30default_config_static_selectorELNS0_4arch9wavefront6targetE0EEEvT1_,comdat
.Lfunc_end579:
	.size	_ZN7rocprim17ROCPRIM_400000_NS6detail17trampoline_kernelINS0_14default_configENS1_25partition_config_selectorILNS1_17partition_subalgoE8ElNS0_10empty_typeEbEEZZNS1_14partition_implILS5_8ELb0ES3_jPlPS6_PKS6_NS0_5tupleIJS9_S6_EEENSD_IJSA_SA_EEENS0_18inequality_wrapperIZN2at6native12_GLOBAL__N_124unique_dim_cuda_templateIlEESt5tupleIJNSH_6TensorESM_SM_EERKSM_lbbbEUlllE0_EEPmJS6_EEE10hipError_tPvRmT3_T4_T5_T6_T7_T9_mT8_P12ihipStream_tbDpT10_ENKUlT_T0_E_clISt17integral_constantIbLb1EES1B_IbLb0EEEEDaS17_S18_EUlS17_E_NS1_11comp_targetILNS1_3genE0ELNS1_11target_archE4294967295ELNS1_3gpuE0ELNS1_3repE0EEENS1_30default_config_static_selectorELNS0_4arch9wavefront6targetE0EEEvT1_, .Lfunc_end579-_ZN7rocprim17ROCPRIM_400000_NS6detail17trampoline_kernelINS0_14default_configENS1_25partition_config_selectorILNS1_17partition_subalgoE8ElNS0_10empty_typeEbEEZZNS1_14partition_implILS5_8ELb0ES3_jPlPS6_PKS6_NS0_5tupleIJS9_S6_EEENSD_IJSA_SA_EEENS0_18inequality_wrapperIZN2at6native12_GLOBAL__N_124unique_dim_cuda_templateIlEESt5tupleIJNSH_6TensorESM_SM_EERKSM_lbbbEUlllE0_EEPmJS6_EEE10hipError_tPvRmT3_T4_T5_T6_T7_T9_mT8_P12ihipStream_tbDpT10_ENKUlT_T0_E_clISt17integral_constantIbLb1EES1B_IbLb0EEEEDaS17_S18_EUlS17_E_NS1_11comp_targetILNS1_3genE0ELNS1_11target_archE4294967295ELNS1_3gpuE0ELNS1_3repE0EEENS1_30default_config_static_selectorELNS0_4arch9wavefront6targetE0EEEvT1_
                                        ; -- End function
	.set _ZN7rocprim17ROCPRIM_400000_NS6detail17trampoline_kernelINS0_14default_configENS1_25partition_config_selectorILNS1_17partition_subalgoE8ElNS0_10empty_typeEbEEZZNS1_14partition_implILS5_8ELb0ES3_jPlPS6_PKS6_NS0_5tupleIJS9_S6_EEENSD_IJSA_SA_EEENS0_18inequality_wrapperIZN2at6native12_GLOBAL__N_124unique_dim_cuda_templateIlEESt5tupleIJNSH_6TensorESM_SM_EERKSM_lbbbEUlllE0_EEPmJS6_EEE10hipError_tPvRmT3_T4_T5_T6_T7_T9_mT8_P12ihipStream_tbDpT10_ENKUlT_T0_E_clISt17integral_constantIbLb1EES1B_IbLb0EEEEDaS17_S18_EUlS17_E_NS1_11comp_targetILNS1_3genE0ELNS1_11target_archE4294967295ELNS1_3gpuE0ELNS1_3repE0EEENS1_30default_config_static_selectorELNS0_4arch9wavefront6targetE0EEEvT1_.num_vgpr, 0
	.set _ZN7rocprim17ROCPRIM_400000_NS6detail17trampoline_kernelINS0_14default_configENS1_25partition_config_selectorILNS1_17partition_subalgoE8ElNS0_10empty_typeEbEEZZNS1_14partition_implILS5_8ELb0ES3_jPlPS6_PKS6_NS0_5tupleIJS9_S6_EEENSD_IJSA_SA_EEENS0_18inequality_wrapperIZN2at6native12_GLOBAL__N_124unique_dim_cuda_templateIlEESt5tupleIJNSH_6TensorESM_SM_EERKSM_lbbbEUlllE0_EEPmJS6_EEE10hipError_tPvRmT3_T4_T5_T6_T7_T9_mT8_P12ihipStream_tbDpT10_ENKUlT_T0_E_clISt17integral_constantIbLb1EES1B_IbLb0EEEEDaS17_S18_EUlS17_E_NS1_11comp_targetILNS1_3genE0ELNS1_11target_archE4294967295ELNS1_3gpuE0ELNS1_3repE0EEENS1_30default_config_static_selectorELNS0_4arch9wavefront6targetE0EEEvT1_.num_agpr, 0
	.set _ZN7rocprim17ROCPRIM_400000_NS6detail17trampoline_kernelINS0_14default_configENS1_25partition_config_selectorILNS1_17partition_subalgoE8ElNS0_10empty_typeEbEEZZNS1_14partition_implILS5_8ELb0ES3_jPlPS6_PKS6_NS0_5tupleIJS9_S6_EEENSD_IJSA_SA_EEENS0_18inequality_wrapperIZN2at6native12_GLOBAL__N_124unique_dim_cuda_templateIlEESt5tupleIJNSH_6TensorESM_SM_EERKSM_lbbbEUlllE0_EEPmJS6_EEE10hipError_tPvRmT3_T4_T5_T6_T7_T9_mT8_P12ihipStream_tbDpT10_ENKUlT_T0_E_clISt17integral_constantIbLb1EES1B_IbLb0EEEEDaS17_S18_EUlS17_E_NS1_11comp_targetILNS1_3genE0ELNS1_11target_archE4294967295ELNS1_3gpuE0ELNS1_3repE0EEENS1_30default_config_static_selectorELNS0_4arch9wavefront6targetE0EEEvT1_.numbered_sgpr, 0
	.set _ZN7rocprim17ROCPRIM_400000_NS6detail17trampoline_kernelINS0_14default_configENS1_25partition_config_selectorILNS1_17partition_subalgoE8ElNS0_10empty_typeEbEEZZNS1_14partition_implILS5_8ELb0ES3_jPlPS6_PKS6_NS0_5tupleIJS9_S6_EEENSD_IJSA_SA_EEENS0_18inequality_wrapperIZN2at6native12_GLOBAL__N_124unique_dim_cuda_templateIlEESt5tupleIJNSH_6TensorESM_SM_EERKSM_lbbbEUlllE0_EEPmJS6_EEE10hipError_tPvRmT3_T4_T5_T6_T7_T9_mT8_P12ihipStream_tbDpT10_ENKUlT_T0_E_clISt17integral_constantIbLb1EES1B_IbLb0EEEEDaS17_S18_EUlS17_E_NS1_11comp_targetILNS1_3genE0ELNS1_11target_archE4294967295ELNS1_3gpuE0ELNS1_3repE0EEENS1_30default_config_static_selectorELNS0_4arch9wavefront6targetE0EEEvT1_.num_named_barrier, 0
	.set _ZN7rocprim17ROCPRIM_400000_NS6detail17trampoline_kernelINS0_14default_configENS1_25partition_config_selectorILNS1_17partition_subalgoE8ElNS0_10empty_typeEbEEZZNS1_14partition_implILS5_8ELb0ES3_jPlPS6_PKS6_NS0_5tupleIJS9_S6_EEENSD_IJSA_SA_EEENS0_18inequality_wrapperIZN2at6native12_GLOBAL__N_124unique_dim_cuda_templateIlEESt5tupleIJNSH_6TensorESM_SM_EERKSM_lbbbEUlllE0_EEPmJS6_EEE10hipError_tPvRmT3_T4_T5_T6_T7_T9_mT8_P12ihipStream_tbDpT10_ENKUlT_T0_E_clISt17integral_constantIbLb1EES1B_IbLb0EEEEDaS17_S18_EUlS17_E_NS1_11comp_targetILNS1_3genE0ELNS1_11target_archE4294967295ELNS1_3gpuE0ELNS1_3repE0EEENS1_30default_config_static_selectorELNS0_4arch9wavefront6targetE0EEEvT1_.private_seg_size, 0
	.set _ZN7rocprim17ROCPRIM_400000_NS6detail17trampoline_kernelINS0_14default_configENS1_25partition_config_selectorILNS1_17partition_subalgoE8ElNS0_10empty_typeEbEEZZNS1_14partition_implILS5_8ELb0ES3_jPlPS6_PKS6_NS0_5tupleIJS9_S6_EEENSD_IJSA_SA_EEENS0_18inequality_wrapperIZN2at6native12_GLOBAL__N_124unique_dim_cuda_templateIlEESt5tupleIJNSH_6TensorESM_SM_EERKSM_lbbbEUlllE0_EEPmJS6_EEE10hipError_tPvRmT3_T4_T5_T6_T7_T9_mT8_P12ihipStream_tbDpT10_ENKUlT_T0_E_clISt17integral_constantIbLb1EES1B_IbLb0EEEEDaS17_S18_EUlS17_E_NS1_11comp_targetILNS1_3genE0ELNS1_11target_archE4294967295ELNS1_3gpuE0ELNS1_3repE0EEENS1_30default_config_static_selectorELNS0_4arch9wavefront6targetE0EEEvT1_.uses_vcc, 0
	.set _ZN7rocprim17ROCPRIM_400000_NS6detail17trampoline_kernelINS0_14default_configENS1_25partition_config_selectorILNS1_17partition_subalgoE8ElNS0_10empty_typeEbEEZZNS1_14partition_implILS5_8ELb0ES3_jPlPS6_PKS6_NS0_5tupleIJS9_S6_EEENSD_IJSA_SA_EEENS0_18inequality_wrapperIZN2at6native12_GLOBAL__N_124unique_dim_cuda_templateIlEESt5tupleIJNSH_6TensorESM_SM_EERKSM_lbbbEUlllE0_EEPmJS6_EEE10hipError_tPvRmT3_T4_T5_T6_T7_T9_mT8_P12ihipStream_tbDpT10_ENKUlT_T0_E_clISt17integral_constantIbLb1EES1B_IbLb0EEEEDaS17_S18_EUlS17_E_NS1_11comp_targetILNS1_3genE0ELNS1_11target_archE4294967295ELNS1_3gpuE0ELNS1_3repE0EEENS1_30default_config_static_selectorELNS0_4arch9wavefront6targetE0EEEvT1_.uses_flat_scratch, 0
	.set _ZN7rocprim17ROCPRIM_400000_NS6detail17trampoline_kernelINS0_14default_configENS1_25partition_config_selectorILNS1_17partition_subalgoE8ElNS0_10empty_typeEbEEZZNS1_14partition_implILS5_8ELb0ES3_jPlPS6_PKS6_NS0_5tupleIJS9_S6_EEENSD_IJSA_SA_EEENS0_18inequality_wrapperIZN2at6native12_GLOBAL__N_124unique_dim_cuda_templateIlEESt5tupleIJNSH_6TensorESM_SM_EERKSM_lbbbEUlllE0_EEPmJS6_EEE10hipError_tPvRmT3_T4_T5_T6_T7_T9_mT8_P12ihipStream_tbDpT10_ENKUlT_T0_E_clISt17integral_constantIbLb1EES1B_IbLb0EEEEDaS17_S18_EUlS17_E_NS1_11comp_targetILNS1_3genE0ELNS1_11target_archE4294967295ELNS1_3gpuE0ELNS1_3repE0EEENS1_30default_config_static_selectorELNS0_4arch9wavefront6targetE0EEEvT1_.has_dyn_sized_stack, 0
	.set _ZN7rocprim17ROCPRIM_400000_NS6detail17trampoline_kernelINS0_14default_configENS1_25partition_config_selectorILNS1_17partition_subalgoE8ElNS0_10empty_typeEbEEZZNS1_14partition_implILS5_8ELb0ES3_jPlPS6_PKS6_NS0_5tupleIJS9_S6_EEENSD_IJSA_SA_EEENS0_18inequality_wrapperIZN2at6native12_GLOBAL__N_124unique_dim_cuda_templateIlEESt5tupleIJNSH_6TensorESM_SM_EERKSM_lbbbEUlllE0_EEPmJS6_EEE10hipError_tPvRmT3_T4_T5_T6_T7_T9_mT8_P12ihipStream_tbDpT10_ENKUlT_T0_E_clISt17integral_constantIbLb1EES1B_IbLb0EEEEDaS17_S18_EUlS17_E_NS1_11comp_targetILNS1_3genE0ELNS1_11target_archE4294967295ELNS1_3gpuE0ELNS1_3repE0EEENS1_30default_config_static_selectorELNS0_4arch9wavefront6targetE0EEEvT1_.has_recursion, 0
	.set _ZN7rocprim17ROCPRIM_400000_NS6detail17trampoline_kernelINS0_14default_configENS1_25partition_config_selectorILNS1_17partition_subalgoE8ElNS0_10empty_typeEbEEZZNS1_14partition_implILS5_8ELb0ES3_jPlPS6_PKS6_NS0_5tupleIJS9_S6_EEENSD_IJSA_SA_EEENS0_18inequality_wrapperIZN2at6native12_GLOBAL__N_124unique_dim_cuda_templateIlEESt5tupleIJNSH_6TensorESM_SM_EERKSM_lbbbEUlllE0_EEPmJS6_EEE10hipError_tPvRmT3_T4_T5_T6_T7_T9_mT8_P12ihipStream_tbDpT10_ENKUlT_T0_E_clISt17integral_constantIbLb1EES1B_IbLb0EEEEDaS17_S18_EUlS17_E_NS1_11comp_targetILNS1_3genE0ELNS1_11target_archE4294967295ELNS1_3gpuE0ELNS1_3repE0EEENS1_30default_config_static_selectorELNS0_4arch9wavefront6targetE0EEEvT1_.has_indirect_call, 0
	.section	.AMDGPU.csdata,"",@progbits
; Kernel info:
; codeLenInByte = 4
; TotalNumSgprs: 0
; NumVgprs: 0
; ScratchSize: 0
; MemoryBound: 0
; FloatMode: 240
; IeeeMode: 1
; LDSByteSize: 0 bytes/workgroup (compile time only)
; SGPRBlocks: 0
; VGPRBlocks: 0
; NumSGPRsForWavesPerEU: 1
; NumVGPRsForWavesPerEU: 1
; NamedBarCnt: 0
; Occupancy: 16
; WaveLimiterHint : 0
; COMPUTE_PGM_RSRC2:SCRATCH_EN: 0
; COMPUTE_PGM_RSRC2:USER_SGPR: 2
; COMPUTE_PGM_RSRC2:TRAP_HANDLER: 0
; COMPUTE_PGM_RSRC2:TGID_X_EN: 1
; COMPUTE_PGM_RSRC2:TGID_Y_EN: 0
; COMPUTE_PGM_RSRC2:TGID_Z_EN: 0
; COMPUTE_PGM_RSRC2:TIDIG_COMP_CNT: 0
	.section	.text._ZN7rocprim17ROCPRIM_400000_NS6detail17trampoline_kernelINS0_14default_configENS1_25partition_config_selectorILNS1_17partition_subalgoE8ElNS0_10empty_typeEbEEZZNS1_14partition_implILS5_8ELb0ES3_jPlPS6_PKS6_NS0_5tupleIJS9_S6_EEENSD_IJSA_SA_EEENS0_18inequality_wrapperIZN2at6native12_GLOBAL__N_124unique_dim_cuda_templateIlEESt5tupleIJNSH_6TensorESM_SM_EERKSM_lbbbEUlllE0_EEPmJS6_EEE10hipError_tPvRmT3_T4_T5_T6_T7_T9_mT8_P12ihipStream_tbDpT10_ENKUlT_T0_E_clISt17integral_constantIbLb1EES1B_IbLb0EEEEDaS17_S18_EUlS17_E_NS1_11comp_targetILNS1_3genE5ELNS1_11target_archE942ELNS1_3gpuE9ELNS1_3repE0EEENS1_30default_config_static_selectorELNS0_4arch9wavefront6targetE0EEEvT1_,"axG",@progbits,_ZN7rocprim17ROCPRIM_400000_NS6detail17trampoline_kernelINS0_14default_configENS1_25partition_config_selectorILNS1_17partition_subalgoE8ElNS0_10empty_typeEbEEZZNS1_14partition_implILS5_8ELb0ES3_jPlPS6_PKS6_NS0_5tupleIJS9_S6_EEENSD_IJSA_SA_EEENS0_18inequality_wrapperIZN2at6native12_GLOBAL__N_124unique_dim_cuda_templateIlEESt5tupleIJNSH_6TensorESM_SM_EERKSM_lbbbEUlllE0_EEPmJS6_EEE10hipError_tPvRmT3_T4_T5_T6_T7_T9_mT8_P12ihipStream_tbDpT10_ENKUlT_T0_E_clISt17integral_constantIbLb1EES1B_IbLb0EEEEDaS17_S18_EUlS17_E_NS1_11comp_targetILNS1_3genE5ELNS1_11target_archE942ELNS1_3gpuE9ELNS1_3repE0EEENS1_30default_config_static_selectorELNS0_4arch9wavefront6targetE0EEEvT1_,comdat
	.globl	_ZN7rocprim17ROCPRIM_400000_NS6detail17trampoline_kernelINS0_14default_configENS1_25partition_config_selectorILNS1_17partition_subalgoE8ElNS0_10empty_typeEbEEZZNS1_14partition_implILS5_8ELb0ES3_jPlPS6_PKS6_NS0_5tupleIJS9_S6_EEENSD_IJSA_SA_EEENS0_18inequality_wrapperIZN2at6native12_GLOBAL__N_124unique_dim_cuda_templateIlEESt5tupleIJNSH_6TensorESM_SM_EERKSM_lbbbEUlllE0_EEPmJS6_EEE10hipError_tPvRmT3_T4_T5_T6_T7_T9_mT8_P12ihipStream_tbDpT10_ENKUlT_T0_E_clISt17integral_constantIbLb1EES1B_IbLb0EEEEDaS17_S18_EUlS17_E_NS1_11comp_targetILNS1_3genE5ELNS1_11target_archE942ELNS1_3gpuE9ELNS1_3repE0EEENS1_30default_config_static_selectorELNS0_4arch9wavefront6targetE0EEEvT1_ ; -- Begin function _ZN7rocprim17ROCPRIM_400000_NS6detail17trampoline_kernelINS0_14default_configENS1_25partition_config_selectorILNS1_17partition_subalgoE8ElNS0_10empty_typeEbEEZZNS1_14partition_implILS5_8ELb0ES3_jPlPS6_PKS6_NS0_5tupleIJS9_S6_EEENSD_IJSA_SA_EEENS0_18inequality_wrapperIZN2at6native12_GLOBAL__N_124unique_dim_cuda_templateIlEESt5tupleIJNSH_6TensorESM_SM_EERKSM_lbbbEUlllE0_EEPmJS6_EEE10hipError_tPvRmT3_T4_T5_T6_T7_T9_mT8_P12ihipStream_tbDpT10_ENKUlT_T0_E_clISt17integral_constantIbLb1EES1B_IbLb0EEEEDaS17_S18_EUlS17_E_NS1_11comp_targetILNS1_3genE5ELNS1_11target_archE942ELNS1_3gpuE9ELNS1_3repE0EEENS1_30default_config_static_selectorELNS0_4arch9wavefront6targetE0EEEvT1_
	.p2align	8
	.type	_ZN7rocprim17ROCPRIM_400000_NS6detail17trampoline_kernelINS0_14default_configENS1_25partition_config_selectorILNS1_17partition_subalgoE8ElNS0_10empty_typeEbEEZZNS1_14partition_implILS5_8ELb0ES3_jPlPS6_PKS6_NS0_5tupleIJS9_S6_EEENSD_IJSA_SA_EEENS0_18inequality_wrapperIZN2at6native12_GLOBAL__N_124unique_dim_cuda_templateIlEESt5tupleIJNSH_6TensorESM_SM_EERKSM_lbbbEUlllE0_EEPmJS6_EEE10hipError_tPvRmT3_T4_T5_T6_T7_T9_mT8_P12ihipStream_tbDpT10_ENKUlT_T0_E_clISt17integral_constantIbLb1EES1B_IbLb0EEEEDaS17_S18_EUlS17_E_NS1_11comp_targetILNS1_3genE5ELNS1_11target_archE942ELNS1_3gpuE9ELNS1_3repE0EEENS1_30default_config_static_selectorELNS0_4arch9wavefront6targetE0EEEvT1_,@function
_ZN7rocprim17ROCPRIM_400000_NS6detail17trampoline_kernelINS0_14default_configENS1_25partition_config_selectorILNS1_17partition_subalgoE8ElNS0_10empty_typeEbEEZZNS1_14partition_implILS5_8ELb0ES3_jPlPS6_PKS6_NS0_5tupleIJS9_S6_EEENSD_IJSA_SA_EEENS0_18inequality_wrapperIZN2at6native12_GLOBAL__N_124unique_dim_cuda_templateIlEESt5tupleIJNSH_6TensorESM_SM_EERKSM_lbbbEUlllE0_EEPmJS6_EEE10hipError_tPvRmT3_T4_T5_T6_T7_T9_mT8_P12ihipStream_tbDpT10_ENKUlT_T0_E_clISt17integral_constantIbLb1EES1B_IbLb0EEEEDaS17_S18_EUlS17_E_NS1_11comp_targetILNS1_3genE5ELNS1_11target_archE942ELNS1_3gpuE9ELNS1_3repE0EEENS1_30default_config_static_selectorELNS0_4arch9wavefront6targetE0EEEvT1_: ; @_ZN7rocprim17ROCPRIM_400000_NS6detail17trampoline_kernelINS0_14default_configENS1_25partition_config_selectorILNS1_17partition_subalgoE8ElNS0_10empty_typeEbEEZZNS1_14partition_implILS5_8ELb0ES3_jPlPS6_PKS6_NS0_5tupleIJS9_S6_EEENSD_IJSA_SA_EEENS0_18inequality_wrapperIZN2at6native12_GLOBAL__N_124unique_dim_cuda_templateIlEESt5tupleIJNSH_6TensorESM_SM_EERKSM_lbbbEUlllE0_EEPmJS6_EEE10hipError_tPvRmT3_T4_T5_T6_T7_T9_mT8_P12ihipStream_tbDpT10_ENKUlT_T0_E_clISt17integral_constantIbLb1EES1B_IbLb0EEEEDaS17_S18_EUlS17_E_NS1_11comp_targetILNS1_3genE5ELNS1_11target_archE942ELNS1_3gpuE9ELNS1_3repE0EEENS1_30default_config_static_selectorELNS0_4arch9wavefront6targetE0EEEvT1_
; %bb.0:
	.section	.rodata,"a",@progbits
	.p2align	6, 0x0
	.amdhsa_kernel _ZN7rocprim17ROCPRIM_400000_NS6detail17trampoline_kernelINS0_14default_configENS1_25partition_config_selectorILNS1_17partition_subalgoE8ElNS0_10empty_typeEbEEZZNS1_14partition_implILS5_8ELb0ES3_jPlPS6_PKS6_NS0_5tupleIJS9_S6_EEENSD_IJSA_SA_EEENS0_18inequality_wrapperIZN2at6native12_GLOBAL__N_124unique_dim_cuda_templateIlEESt5tupleIJNSH_6TensorESM_SM_EERKSM_lbbbEUlllE0_EEPmJS6_EEE10hipError_tPvRmT3_T4_T5_T6_T7_T9_mT8_P12ihipStream_tbDpT10_ENKUlT_T0_E_clISt17integral_constantIbLb1EES1B_IbLb0EEEEDaS17_S18_EUlS17_E_NS1_11comp_targetILNS1_3genE5ELNS1_11target_archE942ELNS1_3gpuE9ELNS1_3repE0EEENS1_30default_config_static_selectorELNS0_4arch9wavefront6targetE0EEEvT1_
		.amdhsa_group_segment_fixed_size 0
		.amdhsa_private_segment_fixed_size 0
		.amdhsa_kernarg_size 120
		.amdhsa_user_sgpr_count 2
		.amdhsa_user_sgpr_dispatch_ptr 0
		.amdhsa_user_sgpr_queue_ptr 0
		.amdhsa_user_sgpr_kernarg_segment_ptr 1
		.amdhsa_user_sgpr_dispatch_id 0
		.amdhsa_user_sgpr_kernarg_preload_length 0
		.amdhsa_user_sgpr_kernarg_preload_offset 0
		.amdhsa_user_sgpr_private_segment_size 0
		.amdhsa_wavefront_size32 1
		.amdhsa_uses_dynamic_stack 0
		.amdhsa_enable_private_segment 0
		.amdhsa_system_sgpr_workgroup_id_x 1
		.amdhsa_system_sgpr_workgroup_id_y 0
		.amdhsa_system_sgpr_workgroup_id_z 0
		.amdhsa_system_sgpr_workgroup_info 0
		.amdhsa_system_vgpr_workitem_id 0
		.amdhsa_next_free_vgpr 1
		.amdhsa_next_free_sgpr 1
		.amdhsa_named_barrier_count 0
		.amdhsa_reserve_vcc 0
		.amdhsa_float_round_mode_32 0
		.amdhsa_float_round_mode_16_64 0
		.amdhsa_float_denorm_mode_32 3
		.amdhsa_float_denorm_mode_16_64 3
		.amdhsa_fp16_overflow 0
		.amdhsa_memory_ordered 1
		.amdhsa_forward_progress 1
		.amdhsa_inst_pref_size 0
		.amdhsa_round_robin_scheduling 0
		.amdhsa_exception_fp_ieee_invalid_op 0
		.amdhsa_exception_fp_denorm_src 0
		.amdhsa_exception_fp_ieee_div_zero 0
		.amdhsa_exception_fp_ieee_overflow 0
		.amdhsa_exception_fp_ieee_underflow 0
		.amdhsa_exception_fp_ieee_inexact 0
		.amdhsa_exception_int_div_zero 0
	.end_amdhsa_kernel
	.section	.text._ZN7rocprim17ROCPRIM_400000_NS6detail17trampoline_kernelINS0_14default_configENS1_25partition_config_selectorILNS1_17partition_subalgoE8ElNS0_10empty_typeEbEEZZNS1_14partition_implILS5_8ELb0ES3_jPlPS6_PKS6_NS0_5tupleIJS9_S6_EEENSD_IJSA_SA_EEENS0_18inequality_wrapperIZN2at6native12_GLOBAL__N_124unique_dim_cuda_templateIlEESt5tupleIJNSH_6TensorESM_SM_EERKSM_lbbbEUlllE0_EEPmJS6_EEE10hipError_tPvRmT3_T4_T5_T6_T7_T9_mT8_P12ihipStream_tbDpT10_ENKUlT_T0_E_clISt17integral_constantIbLb1EES1B_IbLb0EEEEDaS17_S18_EUlS17_E_NS1_11comp_targetILNS1_3genE5ELNS1_11target_archE942ELNS1_3gpuE9ELNS1_3repE0EEENS1_30default_config_static_selectorELNS0_4arch9wavefront6targetE0EEEvT1_,"axG",@progbits,_ZN7rocprim17ROCPRIM_400000_NS6detail17trampoline_kernelINS0_14default_configENS1_25partition_config_selectorILNS1_17partition_subalgoE8ElNS0_10empty_typeEbEEZZNS1_14partition_implILS5_8ELb0ES3_jPlPS6_PKS6_NS0_5tupleIJS9_S6_EEENSD_IJSA_SA_EEENS0_18inequality_wrapperIZN2at6native12_GLOBAL__N_124unique_dim_cuda_templateIlEESt5tupleIJNSH_6TensorESM_SM_EERKSM_lbbbEUlllE0_EEPmJS6_EEE10hipError_tPvRmT3_T4_T5_T6_T7_T9_mT8_P12ihipStream_tbDpT10_ENKUlT_T0_E_clISt17integral_constantIbLb1EES1B_IbLb0EEEEDaS17_S18_EUlS17_E_NS1_11comp_targetILNS1_3genE5ELNS1_11target_archE942ELNS1_3gpuE9ELNS1_3repE0EEENS1_30default_config_static_selectorELNS0_4arch9wavefront6targetE0EEEvT1_,comdat
.Lfunc_end580:
	.size	_ZN7rocprim17ROCPRIM_400000_NS6detail17trampoline_kernelINS0_14default_configENS1_25partition_config_selectorILNS1_17partition_subalgoE8ElNS0_10empty_typeEbEEZZNS1_14partition_implILS5_8ELb0ES3_jPlPS6_PKS6_NS0_5tupleIJS9_S6_EEENSD_IJSA_SA_EEENS0_18inequality_wrapperIZN2at6native12_GLOBAL__N_124unique_dim_cuda_templateIlEESt5tupleIJNSH_6TensorESM_SM_EERKSM_lbbbEUlllE0_EEPmJS6_EEE10hipError_tPvRmT3_T4_T5_T6_T7_T9_mT8_P12ihipStream_tbDpT10_ENKUlT_T0_E_clISt17integral_constantIbLb1EES1B_IbLb0EEEEDaS17_S18_EUlS17_E_NS1_11comp_targetILNS1_3genE5ELNS1_11target_archE942ELNS1_3gpuE9ELNS1_3repE0EEENS1_30default_config_static_selectorELNS0_4arch9wavefront6targetE0EEEvT1_, .Lfunc_end580-_ZN7rocprim17ROCPRIM_400000_NS6detail17trampoline_kernelINS0_14default_configENS1_25partition_config_selectorILNS1_17partition_subalgoE8ElNS0_10empty_typeEbEEZZNS1_14partition_implILS5_8ELb0ES3_jPlPS6_PKS6_NS0_5tupleIJS9_S6_EEENSD_IJSA_SA_EEENS0_18inequality_wrapperIZN2at6native12_GLOBAL__N_124unique_dim_cuda_templateIlEESt5tupleIJNSH_6TensorESM_SM_EERKSM_lbbbEUlllE0_EEPmJS6_EEE10hipError_tPvRmT3_T4_T5_T6_T7_T9_mT8_P12ihipStream_tbDpT10_ENKUlT_T0_E_clISt17integral_constantIbLb1EES1B_IbLb0EEEEDaS17_S18_EUlS17_E_NS1_11comp_targetILNS1_3genE5ELNS1_11target_archE942ELNS1_3gpuE9ELNS1_3repE0EEENS1_30default_config_static_selectorELNS0_4arch9wavefront6targetE0EEEvT1_
                                        ; -- End function
	.set _ZN7rocprim17ROCPRIM_400000_NS6detail17trampoline_kernelINS0_14default_configENS1_25partition_config_selectorILNS1_17partition_subalgoE8ElNS0_10empty_typeEbEEZZNS1_14partition_implILS5_8ELb0ES3_jPlPS6_PKS6_NS0_5tupleIJS9_S6_EEENSD_IJSA_SA_EEENS0_18inequality_wrapperIZN2at6native12_GLOBAL__N_124unique_dim_cuda_templateIlEESt5tupleIJNSH_6TensorESM_SM_EERKSM_lbbbEUlllE0_EEPmJS6_EEE10hipError_tPvRmT3_T4_T5_T6_T7_T9_mT8_P12ihipStream_tbDpT10_ENKUlT_T0_E_clISt17integral_constantIbLb1EES1B_IbLb0EEEEDaS17_S18_EUlS17_E_NS1_11comp_targetILNS1_3genE5ELNS1_11target_archE942ELNS1_3gpuE9ELNS1_3repE0EEENS1_30default_config_static_selectorELNS0_4arch9wavefront6targetE0EEEvT1_.num_vgpr, 0
	.set _ZN7rocprim17ROCPRIM_400000_NS6detail17trampoline_kernelINS0_14default_configENS1_25partition_config_selectorILNS1_17partition_subalgoE8ElNS0_10empty_typeEbEEZZNS1_14partition_implILS5_8ELb0ES3_jPlPS6_PKS6_NS0_5tupleIJS9_S6_EEENSD_IJSA_SA_EEENS0_18inequality_wrapperIZN2at6native12_GLOBAL__N_124unique_dim_cuda_templateIlEESt5tupleIJNSH_6TensorESM_SM_EERKSM_lbbbEUlllE0_EEPmJS6_EEE10hipError_tPvRmT3_T4_T5_T6_T7_T9_mT8_P12ihipStream_tbDpT10_ENKUlT_T0_E_clISt17integral_constantIbLb1EES1B_IbLb0EEEEDaS17_S18_EUlS17_E_NS1_11comp_targetILNS1_3genE5ELNS1_11target_archE942ELNS1_3gpuE9ELNS1_3repE0EEENS1_30default_config_static_selectorELNS0_4arch9wavefront6targetE0EEEvT1_.num_agpr, 0
	.set _ZN7rocprim17ROCPRIM_400000_NS6detail17trampoline_kernelINS0_14default_configENS1_25partition_config_selectorILNS1_17partition_subalgoE8ElNS0_10empty_typeEbEEZZNS1_14partition_implILS5_8ELb0ES3_jPlPS6_PKS6_NS0_5tupleIJS9_S6_EEENSD_IJSA_SA_EEENS0_18inequality_wrapperIZN2at6native12_GLOBAL__N_124unique_dim_cuda_templateIlEESt5tupleIJNSH_6TensorESM_SM_EERKSM_lbbbEUlllE0_EEPmJS6_EEE10hipError_tPvRmT3_T4_T5_T6_T7_T9_mT8_P12ihipStream_tbDpT10_ENKUlT_T0_E_clISt17integral_constantIbLb1EES1B_IbLb0EEEEDaS17_S18_EUlS17_E_NS1_11comp_targetILNS1_3genE5ELNS1_11target_archE942ELNS1_3gpuE9ELNS1_3repE0EEENS1_30default_config_static_selectorELNS0_4arch9wavefront6targetE0EEEvT1_.numbered_sgpr, 0
	.set _ZN7rocprim17ROCPRIM_400000_NS6detail17trampoline_kernelINS0_14default_configENS1_25partition_config_selectorILNS1_17partition_subalgoE8ElNS0_10empty_typeEbEEZZNS1_14partition_implILS5_8ELb0ES3_jPlPS6_PKS6_NS0_5tupleIJS9_S6_EEENSD_IJSA_SA_EEENS0_18inequality_wrapperIZN2at6native12_GLOBAL__N_124unique_dim_cuda_templateIlEESt5tupleIJNSH_6TensorESM_SM_EERKSM_lbbbEUlllE0_EEPmJS6_EEE10hipError_tPvRmT3_T4_T5_T6_T7_T9_mT8_P12ihipStream_tbDpT10_ENKUlT_T0_E_clISt17integral_constantIbLb1EES1B_IbLb0EEEEDaS17_S18_EUlS17_E_NS1_11comp_targetILNS1_3genE5ELNS1_11target_archE942ELNS1_3gpuE9ELNS1_3repE0EEENS1_30default_config_static_selectorELNS0_4arch9wavefront6targetE0EEEvT1_.num_named_barrier, 0
	.set _ZN7rocprim17ROCPRIM_400000_NS6detail17trampoline_kernelINS0_14default_configENS1_25partition_config_selectorILNS1_17partition_subalgoE8ElNS0_10empty_typeEbEEZZNS1_14partition_implILS5_8ELb0ES3_jPlPS6_PKS6_NS0_5tupleIJS9_S6_EEENSD_IJSA_SA_EEENS0_18inequality_wrapperIZN2at6native12_GLOBAL__N_124unique_dim_cuda_templateIlEESt5tupleIJNSH_6TensorESM_SM_EERKSM_lbbbEUlllE0_EEPmJS6_EEE10hipError_tPvRmT3_T4_T5_T6_T7_T9_mT8_P12ihipStream_tbDpT10_ENKUlT_T0_E_clISt17integral_constantIbLb1EES1B_IbLb0EEEEDaS17_S18_EUlS17_E_NS1_11comp_targetILNS1_3genE5ELNS1_11target_archE942ELNS1_3gpuE9ELNS1_3repE0EEENS1_30default_config_static_selectorELNS0_4arch9wavefront6targetE0EEEvT1_.private_seg_size, 0
	.set _ZN7rocprim17ROCPRIM_400000_NS6detail17trampoline_kernelINS0_14default_configENS1_25partition_config_selectorILNS1_17partition_subalgoE8ElNS0_10empty_typeEbEEZZNS1_14partition_implILS5_8ELb0ES3_jPlPS6_PKS6_NS0_5tupleIJS9_S6_EEENSD_IJSA_SA_EEENS0_18inequality_wrapperIZN2at6native12_GLOBAL__N_124unique_dim_cuda_templateIlEESt5tupleIJNSH_6TensorESM_SM_EERKSM_lbbbEUlllE0_EEPmJS6_EEE10hipError_tPvRmT3_T4_T5_T6_T7_T9_mT8_P12ihipStream_tbDpT10_ENKUlT_T0_E_clISt17integral_constantIbLb1EES1B_IbLb0EEEEDaS17_S18_EUlS17_E_NS1_11comp_targetILNS1_3genE5ELNS1_11target_archE942ELNS1_3gpuE9ELNS1_3repE0EEENS1_30default_config_static_selectorELNS0_4arch9wavefront6targetE0EEEvT1_.uses_vcc, 0
	.set _ZN7rocprim17ROCPRIM_400000_NS6detail17trampoline_kernelINS0_14default_configENS1_25partition_config_selectorILNS1_17partition_subalgoE8ElNS0_10empty_typeEbEEZZNS1_14partition_implILS5_8ELb0ES3_jPlPS6_PKS6_NS0_5tupleIJS9_S6_EEENSD_IJSA_SA_EEENS0_18inequality_wrapperIZN2at6native12_GLOBAL__N_124unique_dim_cuda_templateIlEESt5tupleIJNSH_6TensorESM_SM_EERKSM_lbbbEUlllE0_EEPmJS6_EEE10hipError_tPvRmT3_T4_T5_T6_T7_T9_mT8_P12ihipStream_tbDpT10_ENKUlT_T0_E_clISt17integral_constantIbLb1EES1B_IbLb0EEEEDaS17_S18_EUlS17_E_NS1_11comp_targetILNS1_3genE5ELNS1_11target_archE942ELNS1_3gpuE9ELNS1_3repE0EEENS1_30default_config_static_selectorELNS0_4arch9wavefront6targetE0EEEvT1_.uses_flat_scratch, 0
	.set _ZN7rocprim17ROCPRIM_400000_NS6detail17trampoline_kernelINS0_14default_configENS1_25partition_config_selectorILNS1_17partition_subalgoE8ElNS0_10empty_typeEbEEZZNS1_14partition_implILS5_8ELb0ES3_jPlPS6_PKS6_NS0_5tupleIJS9_S6_EEENSD_IJSA_SA_EEENS0_18inequality_wrapperIZN2at6native12_GLOBAL__N_124unique_dim_cuda_templateIlEESt5tupleIJNSH_6TensorESM_SM_EERKSM_lbbbEUlllE0_EEPmJS6_EEE10hipError_tPvRmT3_T4_T5_T6_T7_T9_mT8_P12ihipStream_tbDpT10_ENKUlT_T0_E_clISt17integral_constantIbLb1EES1B_IbLb0EEEEDaS17_S18_EUlS17_E_NS1_11comp_targetILNS1_3genE5ELNS1_11target_archE942ELNS1_3gpuE9ELNS1_3repE0EEENS1_30default_config_static_selectorELNS0_4arch9wavefront6targetE0EEEvT1_.has_dyn_sized_stack, 0
	.set _ZN7rocprim17ROCPRIM_400000_NS6detail17trampoline_kernelINS0_14default_configENS1_25partition_config_selectorILNS1_17partition_subalgoE8ElNS0_10empty_typeEbEEZZNS1_14partition_implILS5_8ELb0ES3_jPlPS6_PKS6_NS0_5tupleIJS9_S6_EEENSD_IJSA_SA_EEENS0_18inequality_wrapperIZN2at6native12_GLOBAL__N_124unique_dim_cuda_templateIlEESt5tupleIJNSH_6TensorESM_SM_EERKSM_lbbbEUlllE0_EEPmJS6_EEE10hipError_tPvRmT3_T4_T5_T6_T7_T9_mT8_P12ihipStream_tbDpT10_ENKUlT_T0_E_clISt17integral_constantIbLb1EES1B_IbLb0EEEEDaS17_S18_EUlS17_E_NS1_11comp_targetILNS1_3genE5ELNS1_11target_archE942ELNS1_3gpuE9ELNS1_3repE0EEENS1_30default_config_static_selectorELNS0_4arch9wavefront6targetE0EEEvT1_.has_recursion, 0
	.set _ZN7rocprim17ROCPRIM_400000_NS6detail17trampoline_kernelINS0_14default_configENS1_25partition_config_selectorILNS1_17partition_subalgoE8ElNS0_10empty_typeEbEEZZNS1_14partition_implILS5_8ELb0ES3_jPlPS6_PKS6_NS0_5tupleIJS9_S6_EEENSD_IJSA_SA_EEENS0_18inequality_wrapperIZN2at6native12_GLOBAL__N_124unique_dim_cuda_templateIlEESt5tupleIJNSH_6TensorESM_SM_EERKSM_lbbbEUlllE0_EEPmJS6_EEE10hipError_tPvRmT3_T4_T5_T6_T7_T9_mT8_P12ihipStream_tbDpT10_ENKUlT_T0_E_clISt17integral_constantIbLb1EES1B_IbLb0EEEEDaS17_S18_EUlS17_E_NS1_11comp_targetILNS1_3genE5ELNS1_11target_archE942ELNS1_3gpuE9ELNS1_3repE0EEENS1_30default_config_static_selectorELNS0_4arch9wavefront6targetE0EEEvT1_.has_indirect_call, 0
	.section	.AMDGPU.csdata,"",@progbits
; Kernel info:
; codeLenInByte = 0
; TotalNumSgprs: 0
; NumVgprs: 0
; ScratchSize: 0
; MemoryBound: 0
; FloatMode: 240
; IeeeMode: 1
; LDSByteSize: 0 bytes/workgroup (compile time only)
; SGPRBlocks: 0
; VGPRBlocks: 0
; NumSGPRsForWavesPerEU: 1
; NumVGPRsForWavesPerEU: 1
; NamedBarCnt: 0
; Occupancy: 16
; WaveLimiterHint : 0
; COMPUTE_PGM_RSRC2:SCRATCH_EN: 0
; COMPUTE_PGM_RSRC2:USER_SGPR: 2
; COMPUTE_PGM_RSRC2:TRAP_HANDLER: 0
; COMPUTE_PGM_RSRC2:TGID_X_EN: 1
; COMPUTE_PGM_RSRC2:TGID_Y_EN: 0
; COMPUTE_PGM_RSRC2:TGID_Z_EN: 0
; COMPUTE_PGM_RSRC2:TIDIG_COMP_CNT: 0
	.section	.text._ZN7rocprim17ROCPRIM_400000_NS6detail17trampoline_kernelINS0_14default_configENS1_25partition_config_selectorILNS1_17partition_subalgoE8ElNS0_10empty_typeEbEEZZNS1_14partition_implILS5_8ELb0ES3_jPlPS6_PKS6_NS0_5tupleIJS9_S6_EEENSD_IJSA_SA_EEENS0_18inequality_wrapperIZN2at6native12_GLOBAL__N_124unique_dim_cuda_templateIlEESt5tupleIJNSH_6TensorESM_SM_EERKSM_lbbbEUlllE0_EEPmJS6_EEE10hipError_tPvRmT3_T4_T5_T6_T7_T9_mT8_P12ihipStream_tbDpT10_ENKUlT_T0_E_clISt17integral_constantIbLb1EES1B_IbLb0EEEEDaS17_S18_EUlS17_E_NS1_11comp_targetILNS1_3genE4ELNS1_11target_archE910ELNS1_3gpuE8ELNS1_3repE0EEENS1_30default_config_static_selectorELNS0_4arch9wavefront6targetE0EEEvT1_,"axG",@progbits,_ZN7rocprim17ROCPRIM_400000_NS6detail17trampoline_kernelINS0_14default_configENS1_25partition_config_selectorILNS1_17partition_subalgoE8ElNS0_10empty_typeEbEEZZNS1_14partition_implILS5_8ELb0ES3_jPlPS6_PKS6_NS0_5tupleIJS9_S6_EEENSD_IJSA_SA_EEENS0_18inequality_wrapperIZN2at6native12_GLOBAL__N_124unique_dim_cuda_templateIlEESt5tupleIJNSH_6TensorESM_SM_EERKSM_lbbbEUlllE0_EEPmJS6_EEE10hipError_tPvRmT3_T4_T5_T6_T7_T9_mT8_P12ihipStream_tbDpT10_ENKUlT_T0_E_clISt17integral_constantIbLb1EES1B_IbLb0EEEEDaS17_S18_EUlS17_E_NS1_11comp_targetILNS1_3genE4ELNS1_11target_archE910ELNS1_3gpuE8ELNS1_3repE0EEENS1_30default_config_static_selectorELNS0_4arch9wavefront6targetE0EEEvT1_,comdat
	.globl	_ZN7rocprim17ROCPRIM_400000_NS6detail17trampoline_kernelINS0_14default_configENS1_25partition_config_selectorILNS1_17partition_subalgoE8ElNS0_10empty_typeEbEEZZNS1_14partition_implILS5_8ELb0ES3_jPlPS6_PKS6_NS0_5tupleIJS9_S6_EEENSD_IJSA_SA_EEENS0_18inequality_wrapperIZN2at6native12_GLOBAL__N_124unique_dim_cuda_templateIlEESt5tupleIJNSH_6TensorESM_SM_EERKSM_lbbbEUlllE0_EEPmJS6_EEE10hipError_tPvRmT3_T4_T5_T6_T7_T9_mT8_P12ihipStream_tbDpT10_ENKUlT_T0_E_clISt17integral_constantIbLb1EES1B_IbLb0EEEEDaS17_S18_EUlS17_E_NS1_11comp_targetILNS1_3genE4ELNS1_11target_archE910ELNS1_3gpuE8ELNS1_3repE0EEENS1_30default_config_static_selectorELNS0_4arch9wavefront6targetE0EEEvT1_ ; -- Begin function _ZN7rocprim17ROCPRIM_400000_NS6detail17trampoline_kernelINS0_14default_configENS1_25partition_config_selectorILNS1_17partition_subalgoE8ElNS0_10empty_typeEbEEZZNS1_14partition_implILS5_8ELb0ES3_jPlPS6_PKS6_NS0_5tupleIJS9_S6_EEENSD_IJSA_SA_EEENS0_18inequality_wrapperIZN2at6native12_GLOBAL__N_124unique_dim_cuda_templateIlEESt5tupleIJNSH_6TensorESM_SM_EERKSM_lbbbEUlllE0_EEPmJS6_EEE10hipError_tPvRmT3_T4_T5_T6_T7_T9_mT8_P12ihipStream_tbDpT10_ENKUlT_T0_E_clISt17integral_constantIbLb1EES1B_IbLb0EEEEDaS17_S18_EUlS17_E_NS1_11comp_targetILNS1_3genE4ELNS1_11target_archE910ELNS1_3gpuE8ELNS1_3repE0EEENS1_30default_config_static_selectorELNS0_4arch9wavefront6targetE0EEEvT1_
	.p2align	8
	.type	_ZN7rocprim17ROCPRIM_400000_NS6detail17trampoline_kernelINS0_14default_configENS1_25partition_config_selectorILNS1_17partition_subalgoE8ElNS0_10empty_typeEbEEZZNS1_14partition_implILS5_8ELb0ES3_jPlPS6_PKS6_NS0_5tupleIJS9_S6_EEENSD_IJSA_SA_EEENS0_18inequality_wrapperIZN2at6native12_GLOBAL__N_124unique_dim_cuda_templateIlEESt5tupleIJNSH_6TensorESM_SM_EERKSM_lbbbEUlllE0_EEPmJS6_EEE10hipError_tPvRmT3_T4_T5_T6_T7_T9_mT8_P12ihipStream_tbDpT10_ENKUlT_T0_E_clISt17integral_constantIbLb1EES1B_IbLb0EEEEDaS17_S18_EUlS17_E_NS1_11comp_targetILNS1_3genE4ELNS1_11target_archE910ELNS1_3gpuE8ELNS1_3repE0EEENS1_30default_config_static_selectorELNS0_4arch9wavefront6targetE0EEEvT1_,@function
_ZN7rocprim17ROCPRIM_400000_NS6detail17trampoline_kernelINS0_14default_configENS1_25partition_config_selectorILNS1_17partition_subalgoE8ElNS0_10empty_typeEbEEZZNS1_14partition_implILS5_8ELb0ES3_jPlPS6_PKS6_NS0_5tupleIJS9_S6_EEENSD_IJSA_SA_EEENS0_18inequality_wrapperIZN2at6native12_GLOBAL__N_124unique_dim_cuda_templateIlEESt5tupleIJNSH_6TensorESM_SM_EERKSM_lbbbEUlllE0_EEPmJS6_EEE10hipError_tPvRmT3_T4_T5_T6_T7_T9_mT8_P12ihipStream_tbDpT10_ENKUlT_T0_E_clISt17integral_constantIbLb1EES1B_IbLb0EEEEDaS17_S18_EUlS17_E_NS1_11comp_targetILNS1_3genE4ELNS1_11target_archE910ELNS1_3gpuE8ELNS1_3repE0EEENS1_30default_config_static_selectorELNS0_4arch9wavefront6targetE0EEEvT1_: ; @_ZN7rocprim17ROCPRIM_400000_NS6detail17trampoline_kernelINS0_14default_configENS1_25partition_config_selectorILNS1_17partition_subalgoE8ElNS0_10empty_typeEbEEZZNS1_14partition_implILS5_8ELb0ES3_jPlPS6_PKS6_NS0_5tupleIJS9_S6_EEENSD_IJSA_SA_EEENS0_18inequality_wrapperIZN2at6native12_GLOBAL__N_124unique_dim_cuda_templateIlEESt5tupleIJNSH_6TensorESM_SM_EERKSM_lbbbEUlllE0_EEPmJS6_EEE10hipError_tPvRmT3_T4_T5_T6_T7_T9_mT8_P12ihipStream_tbDpT10_ENKUlT_T0_E_clISt17integral_constantIbLb1EES1B_IbLb0EEEEDaS17_S18_EUlS17_E_NS1_11comp_targetILNS1_3genE4ELNS1_11target_archE910ELNS1_3gpuE8ELNS1_3repE0EEENS1_30default_config_static_selectorELNS0_4arch9wavefront6targetE0EEEvT1_
; %bb.0:
	.section	.rodata,"a",@progbits
	.p2align	6, 0x0
	.amdhsa_kernel _ZN7rocprim17ROCPRIM_400000_NS6detail17trampoline_kernelINS0_14default_configENS1_25partition_config_selectorILNS1_17partition_subalgoE8ElNS0_10empty_typeEbEEZZNS1_14partition_implILS5_8ELb0ES3_jPlPS6_PKS6_NS0_5tupleIJS9_S6_EEENSD_IJSA_SA_EEENS0_18inequality_wrapperIZN2at6native12_GLOBAL__N_124unique_dim_cuda_templateIlEESt5tupleIJNSH_6TensorESM_SM_EERKSM_lbbbEUlllE0_EEPmJS6_EEE10hipError_tPvRmT3_T4_T5_T6_T7_T9_mT8_P12ihipStream_tbDpT10_ENKUlT_T0_E_clISt17integral_constantIbLb1EES1B_IbLb0EEEEDaS17_S18_EUlS17_E_NS1_11comp_targetILNS1_3genE4ELNS1_11target_archE910ELNS1_3gpuE8ELNS1_3repE0EEENS1_30default_config_static_selectorELNS0_4arch9wavefront6targetE0EEEvT1_
		.amdhsa_group_segment_fixed_size 0
		.amdhsa_private_segment_fixed_size 0
		.amdhsa_kernarg_size 120
		.amdhsa_user_sgpr_count 2
		.amdhsa_user_sgpr_dispatch_ptr 0
		.amdhsa_user_sgpr_queue_ptr 0
		.amdhsa_user_sgpr_kernarg_segment_ptr 1
		.amdhsa_user_sgpr_dispatch_id 0
		.amdhsa_user_sgpr_kernarg_preload_length 0
		.amdhsa_user_sgpr_kernarg_preload_offset 0
		.amdhsa_user_sgpr_private_segment_size 0
		.amdhsa_wavefront_size32 1
		.amdhsa_uses_dynamic_stack 0
		.amdhsa_enable_private_segment 0
		.amdhsa_system_sgpr_workgroup_id_x 1
		.amdhsa_system_sgpr_workgroup_id_y 0
		.amdhsa_system_sgpr_workgroup_id_z 0
		.amdhsa_system_sgpr_workgroup_info 0
		.amdhsa_system_vgpr_workitem_id 0
		.amdhsa_next_free_vgpr 1
		.amdhsa_next_free_sgpr 1
		.amdhsa_named_barrier_count 0
		.amdhsa_reserve_vcc 0
		.amdhsa_float_round_mode_32 0
		.amdhsa_float_round_mode_16_64 0
		.amdhsa_float_denorm_mode_32 3
		.amdhsa_float_denorm_mode_16_64 3
		.amdhsa_fp16_overflow 0
		.amdhsa_memory_ordered 1
		.amdhsa_forward_progress 1
		.amdhsa_inst_pref_size 0
		.amdhsa_round_robin_scheduling 0
		.amdhsa_exception_fp_ieee_invalid_op 0
		.amdhsa_exception_fp_denorm_src 0
		.amdhsa_exception_fp_ieee_div_zero 0
		.amdhsa_exception_fp_ieee_overflow 0
		.amdhsa_exception_fp_ieee_underflow 0
		.amdhsa_exception_fp_ieee_inexact 0
		.amdhsa_exception_int_div_zero 0
	.end_amdhsa_kernel
	.section	.text._ZN7rocprim17ROCPRIM_400000_NS6detail17trampoline_kernelINS0_14default_configENS1_25partition_config_selectorILNS1_17partition_subalgoE8ElNS0_10empty_typeEbEEZZNS1_14partition_implILS5_8ELb0ES3_jPlPS6_PKS6_NS0_5tupleIJS9_S6_EEENSD_IJSA_SA_EEENS0_18inequality_wrapperIZN2at6native12_GLOBAL__N_124unique_dim_cuda_templateIlEESt5tupleIJNSH_6TensorESM_SM_EERKSM_lbbbEUlllE0_EEPmJS6_EEE10hipError_tPvRmT3_T4_T5_T6_T7_T9_mT8_P12ihipStream_tbDpT10_ENKUlT_T0_E_clISt17integral_constantIbLb1EES1B_IbLb0EEEEDaS17_S18_EUlS17_E_NS1_11comp_targetILNS1_3genE4ELNS1_11target_archE910ELNS1_3gpuE8ELNS1_3repE0EEENS1_30default_config_static_selectorELNS0_4arch9wavefront6targetE0EEEvT1_,"axG",@progbits,_ZN7rocprim17ROCPRIM_400000_NS6detail17trampoline_kernelINS0_14default_configENS1_25partition_config_selectorILNS1_17partition_subalgoE8ElNS0_10empty_typeEbEEZZNS1_14partition_implILS5_8ELb0ES3_jPlPS6_PKS6_NS0_5tupleIJS9_S6_EEENSD_IJSA_SA_EEENS0_18inequality_wrapperIZN2at6native12_GLOBAL__N_124unique_dim_cuda_templateIlEESt5tupleIJNSH_6TensorESM_SM_EERKSM_lbbbEUlllE0_EEPmJS6_EEE10hipError_tPvRmT3_T4_T5_T6_T7_T9_mT8_P12ihipStream_tbDpT10_ENKUlT_T0_E_clISt17integral_constantIbLb1EES1B_IbLb0EEEEDaS17_S18_EUlS17_E_NS1_11comp_targetILNS1_3genE4ELNS1_11target_archE910ELNS1_3gpuE8ELNS1_3repE0EEENS1_30default_config_static_selectorELNS0_4arch9wavefront6targetE0EEEvT1_,comdat
.Lfunc_end581:
	.size	_ZN7rocprim17ROCPRIM_400000_NS6detail17trampoline_kernelINS0_14default_configENS1_25partition_config_selectorILNS1_17partition_subalgoE8ElNS0_10empty_typeEbEEZZNS1_14partition_implILS5_8ELb0ES3_jPlPS6_PKS6_NS0_5tupleIJS9_S6_EEENSD_IJSA_SA_EEENS0_18inequality_wrapperIZN2at6native12_GLOBAL__N_124unique_dim_cuda_templateIlEESt5tupleIJNSH_6TensorESM_SM_EERKSM_lbbbEUlllE0_EEPmJS6_EEE10hipError_tPvRmT3_T4_T5_T6_T7_T9_mT8_P12ihipStream_tbDpT10_ENKUlT_T0_E_clISt17integral_constantIbLb1EES1B_IbLb0EEEEDaS17_S18_EUlS17_E_NS1_11comp_targetILNS1_3genE4ELNS1_11target_archE910ELNS1_3gpuE8ELNS1_3repE0EEENS1_30default_config_static_selectorELNS0_4arch9wavefront6targetE0EEEvT1_, .Lfunc_end581-_ZN7rocprim17ROCPRIM_400000_NS6detail17trampoline_kernelINS0_14default_configENS1_25partition_config_selectorILNS1_17partition_subalgoE8ElNS0_10empty_typeEbEEZZNS1_14partition_implILS5_8ELb0ES3_jPlPS6_PKS6_NS0_5tupleIJS9_S6_EEENSD_IJSA_SA_EEENS0_18inequality_wrapperIZN2at6native12_GLOBAL__N_124unique_dim_cuda_templateIlEESt5tupleIJNSH_6TensorESM_SM_EERKSM_lbbbEUlllE0_EEPmJS6_EEE10hipError_tPvRmT3_T4_T5_T6_T7_T9_mT8_P12ihipStream_tbDpT10_ENKUlT_T0_E_clISt17integral_constantIbLb1EES1B_IbLb0EEEEDaS17_S18_EUlS17_E_NS1_11comp_targetILNS1_3genE4ELNS1_11target_archE910ELNS1_3gpuE8ELNS1_3repE0EEENS1_30default_config_static_selectorELNS0_4arch9wavefront6targetE0EEEvT1_
                                        ; -- End function
	.set _ZN7rocprim17ROCPRIM_400000_NS6detail17trampoline_kernelINS0_14default_configENS1_25partition_config_selectorILNS1_17partition_subalgoE8ElNS0_10empty_typeEbEEZZNS1_14partition_implILS5_8ELb0ES3_jPlPS6_PKS6_NS0_5tupleIJS9_S6_EEENSD_IJSA_SA_EEENS0_18inequality_wrapperIZN2at6native12_GLOBAL__N_124unique_dim_cuda_templateIlEESt5tupleIJNSH_6TensorESM_SM_EERKSM_lbbbEUlllE0_EEPmJS6_EEE10hipError_tPvRmT3_T4_T5_T6_T7_T9_mT8_P12ihipStream_tbDpT10_ENKUlT_T0_E_clISt17integral_constantIbLb1EES1B_IbLb0EEEEDaS17_S18_EUlS17_E_NS1_11comp_targetILNS1_3genE4ELNS1_11target_archE910ELNS1_3gpuE8ELNS1_3repE0EEENS1_30default_config_static_selectorELNS0_4arch9wavefront6targetE0EEEvT1_.num_vgpr, 0
	.set _ZN7rocprim17ROCPRIM_400000_NS6detail17trampoline_kernelINS0_14default_configENS1_25partition_config_selectorILNS1_17partition_subalgoE8ElNS0_10empty_typeEbEEZZNS1_14partition_implILS5_8ELb0ES3_jPlPS6_PKS6_NS0_5tupleIJS9_S6_EEENSD_IJSA_SA_EEENS0_18inequality_wrapperIZN2at6native12_GLOBAL__N_124unique_dim_cuda_templateIlEESt5tupleIJNSH_6TensorESM_SM_EERKSM_lbbbEUlllE0_EEPmJS6_EEE10hipError_tPvRmT3_T4_T5_T6_T7_T9_mT8_P12ihipStream_tbDpT10_ENKUlT_T0_E_clISt17integral_constantIbLb1EES1B_IbLb0EEEEDaS17_S18_EUlS17_E_NS1_11comp_targetILNS1_3genE4ELNS1_11target_archE910ELNS1_3gpuE8ELNS1_3repE0EEENS1_30default_config_static_selectorELNS0_4arch9wavefront6targetE0EEEvT1_.num_agpr, 0
	.set _ZN7rocprim17ROCPRIM_400000_NS6detail17trampoline_kernelINS0_14default_configENS1_25partition_config_selectorILNS1_17partition_subalgoE8ElNS0_10empty_typeEbEEZZNS1_14partition_implILS5_8ELb0ES3_jPlPS6_PKS6_NS0_5tupleIJS9_S6_EEENSD_IJSA_SA_EEENS0_18inequality_wrapperIZN2at6native12_GLOBAL__N_124unique_dim_cuda_templateIlEESt5tupleIJNSH_6TensorESM_SM_EERKSM_lbbbEUlllE0_EEPmJS6_EEE10hipError_tPvRmT3_T4_T5_T6_T7_T9_mT8_P12ihipStream_tbDpT10_ENKUlT_T0_E_clISt17integral_constantIbLb1EES1B_IbLb0EEEEDaS17_S18_EUlS17_E_NS1_11comp_targetILNS1_3genE4ELNS1_11target_archE910ELNS1_3gpuE8ELNS1_3repE0EEENS1_30default_config_static_selectorELNS0_4arch9wavefront6targetE0EEEvT1_.numbered_sgpr, 0
	.set _ZN7rocprim17ROCPRIM_400000_NS6detail17trampoline_kernelINS0_14default_configENS1_25partition_config_selectorILNS1_17partition_subalgoE8ElNS0_10empty_typeEbEEZZNS1_14partition_implILS5_8ELb0ES3_jPlPS6_PKS6_NS0_5tupleIJS9_S6_EEENSD_IJSA_SA_EEENS0_18inequality_wrapperIZN2at6native12_GLOBAL__N_124unique_dim_cuda_templateIlEESt5tupleIJNSH_6TensorESM_SM_EERKSM_lbbbEUlllE0_EEPmJS6_EEE10hipError_tPvRmT3_T4_T5_T6_T7_T9_mT8_P12ihipStream_tbDpT10_ENKUlT_T0_E_clISt17integral_constantIbLb1EES1B_IbLb0EEEEDaS17_S18_EUlS17_E_NS1_11comp_targetILNS1_3genE4ELNS1_11target_archE910ELNS1_3gpuE8ELNS1_3repE0EEENS1_30default_config_static_selectorELNS0_4arch9wavefront6targetE0EEEvT1_.num_named_barrier, 0
	.set _ZN7rocprim17ROCPRIM_400000_NS6detail17trampoline_kernelINS0_14default_configENS1_25partition_config_selectorILNS1_17partition_subalgoE8ElNS0_10empty_typeEbEEZZNS1_14partition_implILS5_8ELb0ES3_jPlPS6_PKS6_NS0_5tupleIJS9_S6_EEENSD_IJSA_SA_EEENS0_18inequality_wrapperIZN2at6native12_GLOBAL__N_124unique_dim_cuda_templateIlEESt5tupleIJNSH_6TensorESM_SM_EERKSM_lbbbEUlllE0_EEPmJS6_EEE10hipError_tPvRmT3_T4_T5_T6_T7_T9_mT8_P12ihipStream_tbDpT10_ENKUlT_T0_E_clISt17integral_constantIbLb1EES1B_IbLb0EEEEDaS17_S18_EUlS17_E_NS1_11comp_targetILNS1_3genE4ELNS1_11target_archE910ELNS1_3gpuE8ELNS1_3repE0EEENS1_30default_config_static_selectorELNS0_4arch9wavefront6targetE0EEEvT1_.private_seg_size, 0
	.set _ZN7rocprim17ROCPRIM_400000_NS6detail17trampoline_kernelINS0_14default_configENS1_25partition_config_selectorILNS1_17partition_subalgoE8ElNS0_10empty_typeEbEEZZNS1_14partition_implILS5_8ELb0ES3_jPlPS6_PKS6_NS0_5tupleIJS9_S6_EEENSD_IJSA_SA_EEENS0_18inequality_wrapperIZN2at6native12_GLOBAL__N_124unique_dim_cuda_templateIlEESt5tupleIJNSH_6TensorESM_SM_EERKSM_lbbbEUlllE0_EEPmJS6_EEE10hipError_tPvRmT3_T4_T5_T6_T7_T9_mT8_P12ihipStream_tbDpT10_ENKUlT_T0_E_clISt17integral_constantIbLb1EES1B_IbLb0EEEEDaS17_S18_EUlS17_E_NS1_11comp_targetILNS1_3genE4ELNS1_11target_archE910ELNS1_3gpuE8ELNS1_3repE0EEENS1_30default_config_static_selectorELNS0_4arch9wavefront6targetE0EEEvT1_.uses_vcc, 0
	.set _ZN7rocprim17ROCPRIM_400000_NS6detail17trampoline_kernelINS0_14default_configENS1_25partition_config_selectorILNS1_17partition_subalgoE8ElNS0_10empty_typeEbEEZZNS1_14partition_implILS5_8ELb0ES3_jPlPS6_PKS6_NS0_5tupleIJS9_S6_EEENSD_IJSA_SA_EEENS0_18inequality_wrapperIZN2at6native12_GLOBAL__N_124unique_dim_cuda_templateIlEESt5tupleIJNSH_6TensorESM_SM_EERKSM_lbbbEUlllE0_EEPmJS6_EEE10hipError_tPvRmT3_T4_T5_T6_T7_T9_mT8_P12ihipStream_tbDpT10_ENKUlT_T0_E_clISt17integral_constantIbLb1EES1B_IbLb0EEEEDaS17_S18_EUlS17_E_NS1_11comp_targetILNS1_3genE4ELNS1_11target_archE910ELNS1_3gpuE8ELNS1_3repE0EEENS1_30default_config_static_selectorELNS0_4arch9wavefront6targetE0EEEvT1_.uses_flat_scratch, 0
	.set _ZN7rocprim17ROCPRIM_400000_NS6detail17trampoline_kernelINS0_14default_configENS1_25partition_config_selectorILNS1_17partition_subalgoE8ElNS0_10empty_typeEbEEZZNS1_14partition_implILS5_8ELb0ES3_jPlPS6_PKS6_NS0_5tupleIJS9_S6_EEENSD_IJSA_SA_EEENS0_18inequality_wrapperIZN2at6native12_GLOBAL__N_124unique_dim_cuda_templateIlEESt5tupleIJNSH_6TensorESM_SM_EERKSM_lbbbEUlllE0_EEPmJS6_EEE10hipError_tPvRmT3_T4_T5_T6_T7_T9_mT8_P12ihipStream_tbDpT10_ENKUlT_T0_E_clISt17integral_constantIbLb1EES1B_IbLb0EEEEDaS17_S18_EUlS17_E_NS1_11comp_targetILNS1_3genE4ELNS1_11target_archE910ELNS1_3gpuE8ELNS1_3repE0EEENS1_30default_config_static_selectorELNS0_4arch9wavefront6targetE0EEEvT1_.has_dyn_sized_stack, 0
	.set _ZN7rocprim17ROCPRIM_400000_NS6detail17trampoline_kernelINS0_14default_configENS1_25partition_config_selectorILNS1_17partition_subalgoE8ElNS0_10empty_typeEbEEZZNS1_14partition_implILS5_8ELb0ES3_jPlPS6_PKS6_NS0_5tupleIJS9_S6_EEENSD_IJSA_SA_EEENS0_18inequality_wrapperIZN2at6native12_GLOBAL__N_124unique_dim_cuda_templateIlEESt5tupleIJNSH_6TensorESM_SM_EERKSM_lbbbEUlllE0_EEPmJS6_EEE10hipError_tPvRmT3_T4_T5_T6_T7_T9_mT8_P12ihipStream_tbDpT10_ENKUlT_T0_E_clISt17integral_constantIbLb1EES1B_IbLb0EEEEDaS17_S18_EUlS17_E_NS1_11comp_targetILNS1_3genE4ELNS1_11target_archE910ELNS1_3gpuE8ELNS1_3repE0EEENS1_30default_config_static_selectorELNS0_4arch9wavefront6targetE0EEEvT1_.has_recursion, 0
	.set _ZN7rocprim17ROCPRIM_400000_NS6detail17trampoline_kernelINS0_14default_configENS1_25partition_config_selectorILNS1_17partition_subalgoE8ElNS0_10empty_typeEbEEZZNS1_14partition_implILS5_8ELb0ES3_jPlPS6_PKS6_NS0_5tupleIJS9_S6_EEENSD_IJSA_SA_EEENS0_18inequality_wrapperIZN2at6native12_GLOBAL__N_124unique_dim_cuda_templateIlEESt5tupleIJNSH_6TensorESM_SM_EERKSM_lbbbEUlllE0_EEPmJS6_EEE10hipError_tPvRmT3_T4_T5_T6_T7_T9_mT8_P12ihipStream_tbDpT10_ENKUlT_T0_E_clISt17integral_constantIbLb1EES1B_IbLb0EEEEDaS17_S18_EUlS17_E_NS1_11comp_targetILNS1_3genE4ELNS1_11target_archE910ELNS1_3gpuE8ELNS1_3repE0EEENS1_30default_config_static_selectorELNS0_4arch9wavefront6targetE0EEEvT1_.has_indirect_call, 0
	.section	.AMDGPU.csdata,"",@progbits
; Kernel info:
; codeLenInByte = 0
; TotalNumSgprs: 0
; NumVgprs: 0
; ScratchSize: 0
; MemoryBound: 0
; FloatMode: 240
; IeeeMode: 1
; LDSByteSize: 0 bytes/workgroup (compile time only)
; SGPRBlocks: 0
; VGPRBlocks: 0
; NumSGPRsForWavesPerEU: 1
; NumVGPRsForWavesPerEU: 1
; NamedBarCnt: 0
; Occupancy: 16
; WaveLimiterHint : 0
; COMPUTE_PGM_RSRC2:SCRATCH_EN: 0
; COMPUTE_PGM_RSRC2:USER_SGPR: 2
; COMPUTE_PGM_RSRC2:TRAP_HANDLER: 0
; COMPUTE_PGM_RSRC2:TGID_X_EN: 1
; COMPUTE_PGM_RSRC2:TGID_Y_EN: 0
; COMPUTE_PGM_RSRC2:TGID_Z_EN: 0
; COMPUTE_PGM_RSRC2:TIDIG_COMP_CNT: 0
	.section	.text._ZN7rocprim17ROCPRIM_400000_NS6detail17trampoline_kernelINS0_14default_configENS1_25partition_config_selectorILNS1_17partition_subalgoE8ElNS0_10empty_typeEbEEZZNS1_14partition_implILS5_8ELb0ES3_jPlPS6_PKS6_NS0_5tupleIJS9_S6_EEENSD_IJSA_SA_EEENS0_18inequality_wrapperIZN2at6native12_GLOBAL__N_124unique_dim_cuda_templateIlEESt5tupleIJNSH_6TensorESM_SM_EERKSM_lbbbEUlllE0_EEPmJS6_EEE10hipError_tPvRmT3_T4_T5_T6_T7_T9_mT8_P12ihipStream_tbDpT10_ENKUlT_T0_E_clISt17integral_constantIbLb1EES1B_IbLb0EEEEDaS17_S18_EUlS17_E_NS1_11comp_targetILNS1_3genE3ELNS1_11target_archE908ELNS1_3gpuE7ELNS1_3repE0EEENS1_30default_config_static_selectorELNS0_4arch9wavefront6targetE0EEEvT1_,"axG",@progbits,_ZN7rocprim17ROCPRIM_400000_NS6detail17trampoline_kernelINS0_14default_configENS1_25partition_config_selectorILNS1_17partition_subalgoE8ElNS0_10empty_typeEbEEZZNS1_14partition_implILS5_8ELb0ES3_jPlPS6_PKS6_NS0_5tupleIJS9_S6_EEENSD_IJSA_SA_EEENS0_18inequality_wrapperIZN2at6native12_GLOBAL__N_124unique_dim_cuda_templateIlEESt5tupleIJNSH_6TensorESM_SM_EERKSM_lbbbEUlllE0_EEPmJS6_EEE10hipError_tPvRmT3_T4_T5_T6_T7_T9_mT8_P12ihipStream_tbDpT10_ENKUlT_T0_E_clISt17integral_constantIbLb1EES1B_IbLb0EEEEDaS17_S18_EUlS17_E_NS1_11comp_targetILNS1_3genE3ELNS1_11target_archE908ELNS1_3gpuE7ELNS1_3repE0EEENS1_30default_config_static_selectorELNS0_4arch9wavefront6targetE0EEEvT1_,comdat
	.globl	_ZN7rocprim17ROCPRIM_400000_NS6detail17trampoline_kernelINS0_14default_configENS1_25partition_config_selectorILNS1_17partition_subalgoE8ElNS0_10empty_typeEbEEZZNS1_14partition_implILS5_8ELb0ES3_jPlPS6_PKS6_NS0_5tupleIJS9_S6_EEENSD_IJSA_SA_EEENS0_18inequality_wrapperIZN2at6native12_GLOBAL__N_124unique_dim_cuda_templateIlEESt5tupleIJNSH_6TensorESM_SM_EERKSM_lbbbEUlllE0_EEPmJS6_EEE10hipError_tPvRmT3_T4_T5_T6_T7_T9_mT8_P12ihipStream_tbDpT10_ENKUlT_T0_E_clISt17integral_constantIbLb1EES1B_IbLb0EEEEDaS17_S18_EUlS17_E_NS1_11comp_targetILNS1_3genE3ELNS1_11target_archE908ELNS1_3gpuE7ELNS1_3repE0EEENS1_30default_config_static_selectorELNS0_4arch9wavefront6targetE0EEEvT1_ ; -- Begin function _ZN7rocprim17ROCPRIM_400000_NS6detail17trampoline_kernelINS0_14default_configENS1_25partition_config_selectorILNS1_17partition_subalgoE8ElNS0_10empty_typeEbEEZZNS1_14partition_implILS5_8ELb0ES3_jPlPS6_PKS6_NS0_5tupleIJS9_S6_EEENSD_IJSA_SA_EEENS0_18inequality_wrapperIZN2at6native12_GLOBAL__N_124unique_dim_cuda_templateIlEESt5tupleIJNSH_6TensorESM_SM_EERKSM_lbbbEUlllE0_EEPmJS6_EEE10hipError_tPvRmT3_T4_T5_T6_T7_T9_mT8_P12ihipStream_tbDpT10_ENKUlT_T0_E_clISt17integral_constantIbLb1EES1B_IbLb0EEEEDaS17_S18_EUlS17_E_NS1_11comp_targetILNS1_3genE3ELNS1_11target_archE908ELNS1_3gpuE7ELNS1_3repE0EEENS1_30default_config_static_selectorELNS0_4arch9wavefront6targetE0EEEvT1_
	.p2align	8
	.type	_ZN7rocprim17ROCPRIM_400000_NS6detail17trampoline_kernelINS0_14default_configENS1_25partition_config_selectorILNS1_17partition_subalgoE8ElNS0_10empty_typeEbEEZZNS1_14partition_implILS5_8ELb0ES3_jPlPS6_PKS6_NS0_5tupleIJS9_S6_EEENSD_IJSA_SA_EEENS0_18inequality_wrapperIZN2at6native12_GLOBAL__N_124unique_dim_cuda_templateIlEESt5tupleIJNSH_6TensorESM_SM_EERKSM_lbbbEUlllE0_EEPmJS6_EEE10hipError_tPvRmT3_T4_T5_T6_T7_T9_mT8_P12ihipStream_tbDpT10_ENKUlT_T0_E_clISt17integral_constantIbLb1EES1B_IbLb0EEEEDaS17_S18_EUlS17_E_NS1_11comp_targetILNS1_3genE3ELNS1_11target_archE908ELNS1_3gpuE7ELNS1_3repE0EEENS1_30default_config_static_selectorELNS0_4arch9wavefront6targetE0EEEvT1_,@function
_ZN7rocprim17ROCPRIM_400000_NS6detail17trampoline_kernelINS0_14default_configENS1_25partition_config_selectorILNS1_17partition_subalgoE8ElNS0_10empty_typeEbEEZZNS1_14partition_implILS5_8ELb0ES3_jPlPS6_PKS6_NS0_5tupleIJS9_S6_EEENSD_IJSA_SA_EEENS0_18inequality_wrapperIZN2at6native12_GLOBAL__N_124unique_dim_cuda_templateIlEESt5tupleIJNSH_6TensorESM_SM_EERKSM_lbbbEUlllE0_EEPmJS6_EEE10hipError_tPvRmT3_T4_T5_T6_T7_T9_mT8_P12ihipStream_tbDpT10_ENKUlT_T0_E_clISt17integral_constantIbLb1EES1B_IbLb0EEEEDaS17_S18_EUlS17_E_NS1_11comp_targetILNS1_3genE3ELNS1_11target_archE908ELNS1_3gpuE7ELNS1_3repE0EEENS1_30default_config_static_selectorELNS0_4arch9wavefront6targetE0EEEvT1_: ; @_ZN7rocprim17ROCPRIM_400000_NS6detail17trampoline_kernelINS0_14default_configENS1_25partition_config_selectorILNS1_17partition_subalgoE8ElNS0_10empty_typeEbEEZZNS1_14partition_implILS5_8ELb0ES3_jPlPS6_PKS6_NS0_5tupleIJS9_S6_EEENSD_IJSA_SA_EEENS0_18inequality_wrapperIZN2at6native12_GLOBAL__N_124unique_dim_cuda_templateIlEESt5tupleIJNSH_6TensorESM_SM_EERKSM_lbbbEUlllE0_EEPmJS6_EEE10hipError_tPvRmT3_T4_T5_T6_T7_T9_mT8_P12ihipStream_tbDpT10_ENKUlT_T0_E_clISt17integral_constantIbLb1EES1B_IbLb0EEEEDaS17_S18_EUlS17_E_NS1_11comp_targetILNS1_3genE3ELNS1_11target_archE908ELNS1_3gpuE7ELNS1_3repE0EEENS1_30default_config_static_selectorELNS0_4arch9wavefront6targetE0EEEvT1_
; %bb.0:
	.section	.rodata,"a",@progbits
	.p2align	6, 0x0
	.amdhsa_kernel _ZN7rocprim17ROCPRIM_400000_NS6detail17trampoline_kernelINS0_14default_configENS1_25partition_config_selectorILNS1_17partition_subalgoE8ElNS0_10empty_typeEbEEZZNS1_14partition_implILS5_8ELb0ES3_jPlPS6_PKS6_NS0_5tupleIJS9_S6_EEENSD_IJSA_SA_EEENS0_18inequality_wrapperIZN2at6native12_GLOBAL__N_124unique_dim_cuda_templateIlEESt5tupleIJNSH_6TensorESM_SM_EERKSM_lbbbEUlllE0_EEPmJS6_EEE10hipError_tPvRmT3_T4_T5_T6_T7_T9_mT8_P12ihipStream_tbDpT10_ENKUlT_T0_E_clISt17integral_constantIbLb1EES1B_IbLb0EEEEDaS17_S18_EUlS17_E_NS1_11comp_targetILNS1_3genE3ELNS1_11target_archE908ELNS1_3gpuE7ELNS1_3repE0EEENS1_30default_config_static_selectorELNS0_4arch9wavefront6targetE0EEEvT1_
		.amdhsa_group_segment_fixed_size 0
		.amdhsa_private_segment_fixed_size 0
		.amdhsa_kernarg_size 120
		.amdhsa_user_sgpr_count 2
		.amdhsa_user_sgpr_dispatch_ptr 0
		.amdhsa_user_sgpr_queue_ptr 0
		.amdhsa_user_sgpr_kernarg_segment_ptr 1
		.amdhsa_user_sgpr_dispatch_id 0
		.amdhsa_user_sgpr_kernarg_preload_length 0
		.amdhsa_user_sgpr_kernarg_preload_offset 0
		.amdhsa_user_sgpr_private_segment_size 0
		.amdhsa_wavefront_size32 1
		.amdhsa_uses_dynamic_stack 0
		.amdhsa_enable_private_segment 0
		.amdhsa_system_sgpr_workgroup_id_x 1
		.amdhsa_system_sgpr_workgroup_id_y 0
		.amdhsa_system_sgpr_workgroup_id_z 0
		.amdhsa_system_sgpr_workgroup_info 0
		.amdhsa_system_vgpr_workitem_id 0
		.amdhsa_next_free_vgpr 1
		.amdhsa_next_free_sgpr 1
		.amdhsa_named_barrier_count 0
		.amdhsa_reserve_vcc 0
		.amdhsa_float_round_mode_32 0
		.amdhsa_float_round_mode_16_64 0
		.amdhsa_float_denorm_mode_32 3
		.amdhsa_float_denorm_mode_16_64 3
		.amdhsa_fp16_overflow 0
		.amdhsa_memory_ordered 1
		.amdhsa_forward_progress 1
		.amdhsa_inst_pref_size 0
		.amdhsa_round_robin_scheduling 0
		.amdhsa_exception_fp_ieee_invalid_op 0
		.amdhsa_exception_fp_denorm_src 0
		.amdhsa_exception_fp_ieee_div_zero 0
		.amdhsa_exception_fp_ieee_overflow 0
		.amdhsa_exception_fp_ieee_underflow 0
		.amdhsa_exception_fp_ieee_inexact 0
		.amdhsa_exception_int_div_zero 0
	.end_amdhsa_kernel
	.section	.text._ZN7rocprim17ROCPRIM_400000_NS6detail17trampoline_kernelINS0_14default_configENS1_25partition_config_selectorILNS1_17partition_subalgoE8ElNS0_10empty_typeEbEEZZNS1_14partition_implILS5_8ELb0ES3_jPlPS6_PKS6_NS0_5tupleIJS9_S6_EEENSD_IJSA_SA_EEENS0_18inequality_wrapperIZN2at6native12_GLOBAL__N_124unique_dim_cuda_templateIlEESt5tupleIJNSH_6TensorESM_SM_EERKSM_lbbbEUlllE0_EEPmJS6_EEE10hipError_tPvRmT3_T4_T5_T6_T7_T9_mT8_P12ihipStream_tbDpT10_ENKUlT_T0_E_clISt17integral_constantIbLb1EES1B_IbLb0EEEEDaS17_S18_EUlS17_E_NS1_11comp_targetILNS1_3genE3ELNS1_11target_archE908ELNS1_3gpuE7ELNS1_3repE0EEENS1_30default_config_static_selectorELNS0_4arch9wavefront6targetE0EEEvT1_,"axG",@progbits,_ZN7rocprim17ROCPRIM_400000_NS6detail17trampoline_kernelINS0_14default_configENS1_25partition_config_selectorILNS1_17partition_subalgoE8ElNS0_10empty_typeEbEEZZNS1_14partition_implILS5_8ELb0ES3_jPlPS6_PKS6_NS0_5tupleIJS9_S6_EEENSD_IJSA_SA_EEENS0_18inequality_wrapperIZN2at6native12_GLOBAL__N_124unique_dim_cuda_templateIlEESt5tupleIJNSH_6TensorESM_SM_EERKSM_lbbbEUlllE0_EEPmJS6_EEE10hipError_tPvRmT3_T4_T5_T6_T7_T9_mT8_P12ihipStream_tbDpT10_ENKUlT_T0_E_clISt17integral_constantIbLb1EES1B_IbLb0EEEEDaS17_S18_EUlS17_E_NS1_11comp_targetILNS1_3genE3ELNS1_11target_archE908ELNS1_3gpuE7ELNS1_3repE0EEENS1_30default_config_static_selectorELNS0_4arch9wavefront6targetE0EEEvT1_,comdat
.Lfunc_end582:
	.size	_ZN7rocprim17ROCPRIM_400000_NS6detail17trampoline_kernelINS0_14default_configENS1_25partition_config_selectorILNS1_17partition_subalgoE8ElNS0_10empty_typeEbEEZZNS1_14partition_implILS5_8ELb0ES3_jPlPS6_PKS6_NS0_5tupleIJS9_S6_EEENSD_IJSA_SA_EEENS0_18inequality_wrapperIZN2at6native12_GLOBAL__N_124unique_dim_cuda_templateIlEESt5tupleIJNSH_6TensorESM_SM_EERKSM_lbbbEUlllE0_EEPmJS6_EEE10hipError_tPvRmT3_T4_T5_T6_T7_T9_mT8_P12ihipStream_tbDpT10_ENKUlT_T0_E_clISt17integral_constantIbLb1EES1B_IbLb0EEEEDaS17_S18_EUlS17_E_NS1_11comp_targetILNS1_3genE3ELNS1_11target_archE908ELNS1_3gpuE7ELNS1_3repE0EEENS1_30default_config_static_selectorELNS0_4arch9wavefront6targetE0EEEvT1_, .Lfunc_end582-_ZN7rocprim17ROCPRIM_400000_NS6detail17trampoline_kernelINS0_14default_configENS1_25partition_config_selectorILNS1_17partition_subalgoE8ElNS0_10empty_typeEbEEZZNS1_14partition_implILS5_8ELb0ES3_jPlPS6_PKS6_NS0_5tupleIJS9_S6_EEENSD_IJSA_SA_EEENS0_18inequality_wrapperIZN2at6native12_GLOBAL__N_124unique_dim_cuda_templateIlEESt5tupleIJNSH_6TensorESM_SM_EERKSM_lbbbEUlllE0_EEPmJS6_EEE10hipError_tPvRmT3_T4_T5_T6_T7_T9_mT8_P12ihipStream_tbDpT10_ENKUlT_T0_E_clISt17integral_constantIbLb1EES1B_IbLb0EEEEDaS17_S18_EUlS17_E_NS1_11comp_targetILNS1_3genE3ELNS1_11target_archE908ELNS1_3gpuE7ELNS1_3repE0EEENS1_30default_config_static_selectorELNS0_4arch9wavefront6targetE0EEEvT1_
                                        ; -- End function
	.set _ZN7rocprim17ROCPRIM_400000_NS6detail17trampoline_kernelINS0_14default_configENS1_25partition_config_selectorILNS1_17partition_subalgoE8ElNS0_10empty_typeEbEEZZNS1_14partition_implILS5_8ELb0ES3_jPlPS6_PKS6_NS0_5tupleIJS9_S6_EEENSD_IJSA_SA_EEENS0_18inequality_wrapperIZN2at6native12_GLOBAL__N_124unique_dim_cuda_templateIlEESt5tupleIJNSH_6TensorESM_SM_EERKSM_lbbbEUlllE0_EEPmJS6_EEE10hipError_tPvRmT3_T4_T5_T6_T7_T9_mT8_P12ihipStream_tbDpT10_ENKUlT_T0_E_clISt17integral_constantIbLb1EES1B_IbLb0EEEEDaS17_S18_EUlS17_E_NS1_11comp_targetILNS1_3genE3ELNS1_11target_archE908ELNS1_3gpuE7ELNS1_3repE0EEENS1_30default_config_static_selectorELNS0_4arch9wavefront6targetE0EEEvT1_.num_vgpr, 0
	.set _ZN7rocprim17ROCPRIM_400000_NS6detail17trampoline_kernelINS0_14default_configENS1_25partition_config_selectorILNS1_17partition_subalgoE8ElNS0_10empty_typeEbEEZZNS1_14partition_implILS5_8ELb0ES3_jPlPS6_PKS6_NS0_5tupleIJS9_S6_EEENSD_IJSA_SA_EEENS0_18inequality_wrapperIZN2at6native12_GLOBAL__N_124unique_dim_cuda_templateIlEESt5tupleIJNSH_6TensorESM_SM_EERKSM_lbbbEUlllE0_EEPmJS6_EEE10hipError_tPvRmT3_T4_T5_T6_T7_T9_mT8_P12ihipStream_tbDpT10_ENKUlT_T0_E_clISt17integral_constantIbLb1EES1B_IbLb0EEEEDaS17_S18_EUlS17_E_NS1_11comp_targetILNS1_3genE3ELNS1_11target_archE908ELNS1_3gpuE7ELNS1_3repE0EEENS1_30default_config_static_selectorELNS0_4arch9wavefront6targetE0EEEvT1_.num_agpr, 0
	.set _ZN7rocprim17ROCPRIM_400000_NS6detail17trampoline_kernelINS0_14default_configENS1_25partition_config_selectorILNS1_17partition_subalgoE8ElNS0_10empty_typeEbEEZZNS1_14partition_implILS5_8ELb0ES3_jPlPS6_PKS6_NS0_5tupleIJS9_S6_EEENSD_IJSA_SA_EEENS0_18inequality_wrapperIZN2at6native12_GLOBAL__N_124unique_dim_cuda_templateIlEESt5tupleIJNSH_6TensorESM_SM_EERKSM_lbbbEUlllE0_EEPmJS6_EEE10hipError_tPvRmT3_T4_T5_T6_T7_T9_mT8_P12ihipStream_tbDpT10_ENKUlT_T0_E_clISt17integral_constantIbLb1EES1B_IbLb0EEEEDaS17_S18_EUlS17_E_NS1_11comp_targetILNS1_3genE3ELNS1_11target_archE908ELNS1_3gpuE7ELNS1_3repE0EEENS1_30default_config_static_selectorELNS0_4arch9wavefront6targetE0EEEvT1_.numbered_sgpr, 0
	.set _ZN7rocprim17ROCPRIM_400000_NS6detail17trampoline_kernelINS0_14default_configENS1_25partition_config_selectorILNS1_17partition_subalgoE8ElNS0_10empty_typeEbEEZZNS1_14partition_implILS5_8ELb0ES3_jPlPS6_PKS6_NS0_5tupleIJS9_S6_EEENSD_IJSA_SA_EEENS0_18inequality_wrapperIZN2at6native12_GLOBAL__N_124unique_dim_cuda_templateIlEESt5tupleIJNSH_6TensorESM_SM_EERKSM_lbbbEUlllE0_EEPmJS6_EEE10hipError_tPvRmT3_T4_T5_T6_T7_T9_mT8_P12ihipStream_tbDpT10_ENKUlT_T0_E_clISt17integral_constantIbLb1EES1B_IbLb0EEEEDaS17_S18_EUlS17_E_NS1_11comp_targetILNS1_3genE3ELNS1_11target_archE908ELNS1_3gpuE7ELNS1_3repE0EEENS1_30default_config_static_selectorELNS0_4arch9wavefront6targetE0EEEvT1_.num_named_barrier, 0
	.set _ZN7rocprim17ROCPRIM_400000_NS6detail17trampoline_kernelINS0_14default_configENS1_25partition_config_selectorILNS1_17partition_subalgoE8ElNS0_10empty_typeEbEEZZNS1_14partition_implILS5_8ELb0ES3_jPlPS6_PKS6_NS0_5tupleIJS9_S6_EEENSD_IJSA_SA_EEENS0_18inequality_wrapperIZN2at6native12_GLOBAL__N_124unique_dim_cuda_templateIlEESt5tupleIJNSH_6TensorESM_SM_EERKSM_lbbbEUlllE0_EEPmJS6_EEE10hipError_tPvRmT3_T4_T5_T6_T7_T9_mT8_P12ihipStream_tbDpT10_ENKUlT_T0_E_clISt17integral_constantIbLb1EES1B_IbLb0EEEEDaS17_S18_EUlS17_E_NS1_11comp_targetILNS1_3genE3ELNS1_11target_archE908ELNS1_3gpuE7ELNS1_3repE0EEENS1_30default_config_static_selectorELNS0_4arch9wavefront6targetE0EEEvT1_.private_seg_size, 0
	.set _ZN7rocprim17ROCPRIM_400000_NS6detail17trampoline_kernelINS0_14default_configENS1_25partition_config_selectorILNS1_17partition_subalgoE8ElNS0_10empty_typeEbEEZZNS1_14partition_implILS5_8ELb0ES3_jPlPS6_PKS6_NS0_5tupleIJS9_S6_EEENSD_IJSA_SA_EEENS0_18inequality_wrapperIZN2at6native12_GLOBAL__N_124unique_dim_cuda_templateIlEESt5tupleIJNSH_6TensorESM_SM_EERKSM_lbbbEUlllE0_EEPmJS6_EEE10hipError_tPvRmT3_T4_T5_T6_T7_T9_mT8_P12ihipStream_tbDpT10_ENKUlT_T0_E_clISt17integral_constantIbLb1EES1B_IbLb0EEEEDaS17_S18_EUlS17_E_NS1_11comp_targetILNS1_3genE3ELNS1_11target_archE908ELNS1_3gpuE7ELNS1_3repE0EEENS1_30default_config_static_selectorELNS0_4arch9wavefront6targetE0EEEvT1_.uses_vcc, 0
	.set _ZN7rocprim17ROCPRIM_400000_NS6detail17trampoline_kernelINS0_14default_configENS1_25partition_config_selectorILNS1_17partition_subalgoE8ElNS0_10empty_typeEbEEZZNS1_14partition_implILS5_8ELb0ES3_jPlPS6_PKS6_NS0_5tupleIJS9_S6_EEENSD_IJSA_SA_EEENS0_18inequality_wrapperIZN2at6native12_GLOBAL__N_124unique_dim_cuda_templateIlEESt5tupleIJNSH_6TensorESM_SM_EERKSM_lbbbEUlllE0_EEPmJS6_EEE10hipError_tPvRmT3_T4_T5_T6_T7_T9_mT8_P12ihipStream_tbDpT10_ENKUlT_T0_E_clISt17integral_constantIbLb1EES1B_IbLb0EEEEDaS17_S18_EUlS17_E_NS1_11comp_targetILNS1_3genE3ELNS1_11target_archE908ELNS1_3gpuE7ELNS1_3repE0EEENS1_30default_config_static_selectorELNS0_4arch9wavefront6targetE0EEEvT1_.uses_flat_scratch, 0
	.set _ZN7rocprim17ROCPRIM_400000_NS6detail17trampoline_kernelINS0_14default_configENS1_25partition_config_selectorILNS1_17partition_subalgoE8ElNS0_10empty_typeEbEEZZNS1_14partition_implILS5_8ELb0ES3_jPlPS6_PKS6_NS0_5tupleIJS9_S6_EEENSD_IJSA_SA_EEENS0_18inequality_wrapperIZN2at6native12_GLOBAL__N_124unique_dim_cuda_templateIlEESt5tupleIJNSH_6TensorESM_SM_EERKSM_lbbbEUlllE0_EEPmJS6_EEE10hipError_tPvRmT3_T4_T5_T6_T7_T9_mT8_P12ihipStream_tbDpT10_ENKUlT_T0_E_clISt17integral_constantIbLb1EES1B_IbLb0EEEEDaS17_S18_EUlS17_E_NS1_11comp_targetILNS1_3genE3ELNS1_11target_archE908ELNS1_3gpuE7ELNS1_3repE0EEENS1_30default_config_static_selectorELNS0_4arch9wavefront6targetE0EEEvT1_.has_dyn_sized_stack, 0
	.set _ZN7rocprim17ROCPRIM_400000_NS6detail17trampoline_kernelINS0_14default_configENS1_25partition_config_selectorILNS1_17partition_subalgoE8ElNS0_10empty_typeEbEEZZNS1_14partition_implILS5_8ELb0ES3_jPlPS6_PKS6_NS0_5tupleIJS9_S6_EEENSD_IJSA_SA_EEENS0_18inequality_wrapperIZN2at6native12_GLOBAL__N_124unique_dim_cuda_templateIlEESt5tupleIJNSH_6TensorESM_SM_EERKSM_lbbbEUlllE0_EEPmJS6_EEE10hipError_tPvRmT3_T4_T5_T6_T7_T9_mT8_P12ihipStream_tbDpT10_ENKUlT_T0_E_clISt17integral_constantIbLb1EES1B_IbLb0EEEEDaS17_S18_EUlS17_E_NS1_11comp_targetILNS1_3genE3ELNS1_11target_archE908ELNS1_3gpuE7ELNS1_3repE0EEENS1_30default_config_static_selectorELNS0_4arch9wavefront6targetE0EEEvT1_.has_recursion, 0
	.set _ZN7rocprim17ROCPRIM_400000_NS6detail17trampoline_kernelINS0_14default_configENS1_25partition_config_selectorILNS1_17partition_subalgoE8ElNS0_10empty_typeEbEEZZNS1_14partition_implILS5_8ELb0ES3_jPlPS6_PKS6_NS0_5tupleIJS9_S6_EEENSD_IJSA_SA_EEENS0_18inequality_wrapperIZN2at6native12_GLOBAL__N_124unique_dim_cuda_templateIlEESt5tupleIJNSH_6TensorESM_SM_EERKSM_lbbbEUlllE0_EEPmJS6_EEE10hipError_tPvRmT3_T4_T5_T6_T7_T9_mT8_P12ihipStream_tbDpT10_ENKUlT_T0_E_clISt17integral_constantIbLb1EES1B_IbLb0EEEEDaS17_S18_EUlS17_E_NS1_11comp_targetILNS1_3genE3ELNS1_11target_archE908ELNS1_3gpuE7ELNS1_3repE0EEENS1_30default_config_static_selectorELNS0_4arch9wavefront6targetE0EEEvT1_.has_indirect_call, 0
	.section	.AMDGPU.csdata,"",@progbits
; Kernel info:
; codeLenInByte = 0
; TotalNumSgprs: 0
; NumVgprs: 0
; ScratchSize: 0
; MemoryBound: 0
; FloatMode: 240
; IeeeMode: 1
; LDSByteSize: 0 bytes/workgroup (compile time only)
; SGPRBlocks: 0
; VGPRBlocks: 0
; NumSGPRsForWavesPerEU: 1
; NumVGPRsForWavesPerEU: 1
; NamedBarCnt: 0
; Occupancy: 16
; WaveLimiterHint : 0
; COMPUTE_PGM_RSRC2:SCRATCH_EN: 0
; COMPUTE_PGM_RSRC2:USER_SGPR: 2
; COMPUTE_PGM_RSRC2:TRAP_HANDLER: 0
; COMPUTE_PGM_RSRC2:TGID_X_EN: 1
; COMPUTE_PGM_RSRC2:TGID_Y_EN: 0
; COMPUTE_PGM_RSRC2:TGID_Z_EN: 0
; COMPUTE_PGM_RSRC2:TIDIG_COMP_CNT: 0
	.section	.text._ZN7rocprim17ROCPRIM_400000_NS6detail17trampoline_kernelINS0_14default_configENS1_25partition_config_selectorILNS1_17partition_subalgoE8ElNS0_10empty_typeEbEEZZNS1_14partition_implILS5_8ELb0ES3_jPlPS6_PKS6_NS0_5tupleIJS9_S6_EEENSD_IJSA_SA_EEENS0_18inequality_wrapperIZN2at6native12_GLOBAL__N_124unique_dim_cuda_templateIlEESt5tupleIJNSH_6TensorESM_SM_EERKSM_lbbbEUlllE0_EEPmJS6_EEE10hipError_tPvRmT3_T4_T5_T6_T7_T9_mT8_P12ihipStream_tbDpT10_ENKUlT_T0_E_clISt17integral_constantIbLb1EES1B_IbLb0EEEEDaS17_S18_EUlS17_E_NS1_11comp_targetILNS1_3genE2ELNS1_11target_archE906ELNS1_3gpuE6ELNS1_3repE0EEENS1_30default_config_static_selectorELNS0_4arch9wavefront6targetE0EEEvT1_,"axG",@progbits,_ZN7rocprim17ROCPRIM_400000_NS6detail17trampoline_kernelINS0_14default_configENS1_25partition_config_selectorILNS1_17partition_subalgoE8ElNS0_10empty_typeEbEEZZNS1_14partition_implILS5_8ELb0ES3_jPlPS6_PKS6_NS0_5tupleIJS9_S6_EEENSD_IJSA_SA_EEENS0_18inequality_wrapperIZN2at6native12_GLOBAL__N_124unique_dim_cuda_templateIlEESt5tupleIJNSH_6TensorESM_SM_EERKSM_lbbbEUlllE0_EEPmJS6_EEE10hipError_tPvRmT3_T4_T5_T6_T7_T9_mT8_P12ihipStream_tbDpT10_ENKUlT_T0_E_clISt17integral_constantIbLb1EES1B_IbLb0EEEEDaS17_S18_EUlS17_E_NS1_11comp_targetILNS1_3genE2ELNS1_11target_archE906ELNS1_3gpuE6ELNS1_3repE0EEENS1_30default_config_static_selectorELNS0_4arch9wavefront6targetE0EEEvT1_,comdat
	.globl	_ZN7rocprim17ROCPRIM_400000_NS6detail17trampoline_kernelINS0_14default_configENS1_25partition_config_selectorILNS1_17partition_subalgoE8ElNS0_10empty_typeEbEEZZNS1_14partition_implILS5_8ELb0ES3_jPlPS6_PKS6_NS0_5tupleIJS9_S6_EEENSD_IJSA_SA_EEENS0_18inequality_wrapperIZN2at6native12_GLOBAL__N_124unique_dim_cuda_templateIlEESt5tupleIJNSH_6TensorESM_SM_EERKSM_lbbbEUlllE0_EEPmJS6_EEE10hipError_tPvRmT3_T4_T5_T6_T7_T9_mT8_P12ihipStream_tbDpT10_ENKUlT_T0_E_clISt17integral_constantIbLb1EES1B_IbLb0EEEEDaS17_S18_EUlS17_E_NS1_11comp_targetILNS1_3genE2ELNS1_11target_archE906ELNS1_3gpuE6ELNS1_3repE0EEENS1_30default_config_static_selectorELNS0_4arch9wavefront6targetE0EEEvT1_ ; -- Begin function _ZN7rocprim17ROCPRIM_400000_NS6detail17trampoline_kernelINS0_14default_configENS1_25partition_config_selectorILNS1_17partition_subalgoE8ElNS0_10empty_typeEbEEZZNS1_14partition_implILS5_8ELb0ES3_jPlPS6_PKS6_NS0_5tupleIJS9_S6_EEENSD_IJSA_SA_EEENS0_18inequality_wrapperIZN2at6native12_GLOBAL__N_124unique_dim_cuda_templateIlEESt5tupleIJNSH_6TensorESM_SM_EERKSM_lbbbEUlllE0_EEPmJS6_EEE10hipError_tPvRmT3_T4_T5_T6_T7_T9_mT8_P12ihipStream_tbDpT10_ENKUlT_T0_E_clISt17integral_constantIbLb1EES1B_IbLb0EEEEDaS17_S18_EUlS17_E_NS1_11comp_targetILNS1_3genE2ELNS1_11target_archE906ELNS1_3gpuE6ELNS1_3repE0EEENS1_30default_config_static_selectorELNS0_4arch9wavefront6targetE0EEEvT1_
	.p2align	8
	.type	_ZN7rocprim17ROCPRIM_400000_NS6detail17trampoline_kernelINS0_14default_configENS1_25partition_config_selectorILNS1_17partition_subalgoE8ElNS0_10empty_typeEbEEZZNS1_14partition_implILS5_8ELb0ES3_jPlPS6_PKS6_NS0_5tupleIJS9_S6_EEENSD_IJSA_SA_EEENS0_18inequality_wrapperIZN2at6native12_GLOBAL__N_124unique_dim_cuda_templateIlEESt5tupleIJNSH_6TensorESM_SM_EERKSM_lbbbEUlllE0_EEPmJS6_EEE10hipError_tPvRmT3_T4_T5_T6_T7_T9_mT8_P12ihipStream_tbDpT10_ENKUlT_T0_E_clISt17integral_constantIbLb1EES1B_IbLb0EEEEDaS17_S18_EUlS17_E_NS1_11comp_targetILNS1_3genE2ELNS1_11target_archE906ELNS1_3gpuE6ELNS1_3repE0EEENS1_30default_config_static_selectorELNS0_4arch9wavefront6targetE0EEEvT1_,@function
_ZN7rocprim17ROCPRIM_400000_NS6detail17trampoline_kernelINS0_14default_configENS1_25partition_config_selectorILNS1_17partition_subalgoE8ElNS0_10empty_typeEbEEZZNS1_14partition_implILS5_8ELb0ES3_jPlPS6_PKS6_NS0_5tupleIJS9_S6_EEENSD_IJSA_SA_EEENS0_18inequality_wrapperIZN2at6native12_GLOBAL__N_124unique_dim_cuda_templateIlEESt5tupleIJNSH_6TensorESM_SM_EERKSM_lbbbEUlllE0_EEPmJS6_EEE10hipError_tPvRmT3_T4_T5_T6_T7_T9_mT8_P12ihipStream_tbDpT10_ENKUlT_T0_E_clISt17integral_constantIbLb1EES1B_IbLb0EEEEDaS17_S18_EUlS17_E_NS1_11comp_targetILNS1_3genE2ELNS1_11target_archE906ELNS1_3gpuE6ELNS1_3repE0EEENS1_30default_config_static_selectorELNS0_4arch9wavefront6targetE0EEEvT1_: ; @_ZN7rocprim17ROCPRIM_400000_NS6detail17trampoline_kernelINS0_14default_configENS1_25partition_config_selectorILNS1_17partition_subalgoE8ElNS0_10empty_typeEbEEZZNS1_14partition_implILS5_8ELb0ES3_jPlPS6_PKS6_NS0_5tupleIJS9_S6_EEENSD_IJSA_SA_EEENS0_18inequality_wrapperIZN2at6native12_GLOBAL__N_124unique_dim_cuda_templateIlEESt5tupleIJNSH_6TensorESM_SM_EERKSM_lbbbEUlllE0_EEPmJS6_EEE10hipError_tPvRmT3_T4_T5_T6_T7_T9_mT8_P12ihipStream_tbDpT10_ENKUlT_T0_E_clISt17integral_constantIbLb1EES1B_IbLb0EEEEDaS17_S18_EUlS17_E_NS1_11comp_targetILNS1_3genE2ELNS1_11target_archE906ELNS1_3gpuE6ELNS1_3repE0EEENS1_30default_config_static_selectorELNS0_4arch9wavefront6targetE0EEEvT1_
; %bb.0:
	.section	.rodata,"a",@progbits
	.p2align	6, 0x0
	.amdhsa_kernel _ZN7rocprim17ROCPRIM_400000_NS6detail17trampoline_kernelINS0_14default_configENS1_25partition_config_selectorILNS1_17partition_subalgoE8ElNS0_10empty_typeEbEEZZNS1_14partition_implILS5_8ELb0ES3_jPlPS6_PKS6_NS0_5tupleIJS9_S6_EEENSD_IJSA_SA_EEENS0_18inequality_wrapperIZN2at6native12_GLOBAL__N_124unique_dim_cuda_templateIlEESt5tupleIJNSH_6TensorESM_SM_EERKSM_lbbbEUlllE0_EEPmJS6_EEE10hipError_tPvRmT3_T4_T5_T6_T7_T9_mT8_P12ihipStream_tbDpT10_ENKUlT_T0_E_clISt17integral_constantIbLb1EES1B_IbLb0EEEEDaS17_S18_EUlS17_E_NS1_11comp_targetILNS1_3genE2ELNS1_11target_archE906ELNS1_3gpuE6ELNS1_3repE0EEENS1_30default_config_static_selectorELNS0_4arch9wavefront6targetE0EEEvT1_
		.amdhsa_group_segment_fixed_size 0
		.amdhsa_private_segment_fixed_size 0
		.amdhsa_kernarg_size 120
		.amdhsa_user_sgpr_count 2
		.amdhsa_user_sgpr_dispatch_ptr 0
		.amdhsa_user_sgpr_queue_ptr 0
		.amdhsa_user_sgpr_kernarg_segment_ptr 1
		.amdhsa_user_sgpr_dispatch_id 0
		.amdhsa_user_sgpr_kernarg_preload_length 0
		.amdhsa_user_sgpr_kernarg_preload_offset 0
		.amdhsa_user_sgpr_private_segment_size 0
		.amdhsa_wavefront_size32 1
		.amdhsa_uses_dynamic_stack 0
		.amdhsa_enable_private_segment 0
		.amdhsa_system_sgpr_workgroup_id_x 1
		.amdhsa_system_sgpr_workgroup_id_y 0
		.amdhsa_system_sgpr_workgroup_id_z 0
		.amdhsa_system_sgpr_workgroup_info 0
		.amdhsa_system_vgpr_workitem_id 0
		.amdhsa_next_free_vgpr 1
		.amdhsa_next_free_sgpr 1
		.amdhsa_named_barrier_count 0
		.amdhsa_reserve_vcc 0
		.amdhsa_float_round_mode_32 0
		.amdhsa_float_round_mode_16_64 0
		.amdhsa_float_denorm_mode_32 3
		.amdhsa_float_denorm_mode_16_64 3
		.amdhsa_fp16_overflow 0
		.amdhsa_memory_ordered 1
		.amdhsa_forward_progress 1
		.amdhsa_inst_pref_size 0
		.amdhsa_round_robin_scheduling 0
		.amdhsa_exception_fp_ieee_invalid_op 0
		.amdhsa_exception_fp_denorm_src 0
		.amdhsa_exception_fp_ieee_div_zero 0
		.amdhsa_exception_fp_ieee_overflow 0
		.amdhsa_exception_fp_ieee_underflow 0
		.amdhsa_exception_fp_ieee_inexact 0
		.amdhsa_exception_int_div_zero 0
	.end_amdhsa_kernel
	.section	.text._ZN7rocprim17ROCPRIM_400000_NS6detail17trampoline_kernelINS0_14default_configENS1_25partition_config_selectorILNS1_17partition_subalgoE8ElNS0_10empty_typeEbEEZZNS1_14partition_implILS5_8ELb0ES3_jPlPS6_PKS6_NS0_5tupleIJS9_S6_EEENSD_IJSA_SA_EEENS0_18inequality_wrapperIZN2at6native12_GLOBAL__N_124unique_dim_cuda_templateIlEESt5tupleIJNSH_6TensorESM_SM_EERKSM_lbbbEUlllE0_EEPmJS6_EEE10hipError_tPvRmT3_T4_T5_T6_T7_T9_mT8_P12ihipStream_tbDpT10_ENKUlT_T0_E_clISt17integral_constantIbLb1EES1B_IbLb0EEEEDaS17_S18_EUlS17_E_NS1_11comp_targetILNS1_3genE2ELNS1_11target_archE906ELNS1_3gpuE6ELNS1_3repE0EEENS1_30default_config_static_selectorELNS0_4arch9wavefront6targetE0EEEvT1_,"axG",@progbits,_ZN7rocprim17ROCPRIM_400000_NS6detail17trampoline_kernelINS0_14default_configENS1_25partition_config_selectorILNS1_17partition_subalgoE8ElNS0_10empty_typeEbEEZZNS1_14partition_implILS5_8ELb0ES3_jPlPS6_PKS6_NS0_5tupleIJS9_S6_EEENSD_IJSA_SA_EEENS0_18inequality_wrapperIZN2at6native12_GLOBAL__N_124unique_dim_cuda_templateIlEESt5tupleIJNSH_6TensorESM_SM_EERKSM_lbbbEUlllE0_EEPmJS6_EEE10hipError_tPvRmT3_T4_T5_T6_T7_T9_mT8_P12ihipStream_tbDpT10_ENKUlT_T0_E_clISt17integral_constantIbLb1EES1B_IbLb0EEEEDaS17_S18_EUlS17_E_NS1_11comp_targetILNS1_3genE2ELNS1_11target_archE906ELNS1_3gpuE6ELNS1_3repE0EEENS1_30default_config_static_selectorELNS0_4arch9wavefront6targetE0EEEvT1_,comdat
.Lfunc_end583:
	.size	_ZN7rocprim17ROCPRIM_400000_NS6detail17trampoline_kernelINS0_14default_configENS1_25partition_config_selectorILNS1_17partition_subalgoE8ElNS0_10empty_typeEbEEZZNS1_14partition_implILS5_8ELb0ES3_jPlPS6_PKS6_NS0_5tupleIJS9_S6_EEENSD_IJSA_SA_EEENS0_18inequality_wrapperIZN2at6native12_GLOBAL__N_124unique_dim_cuda_templateIlEESt5tupleIJNSH_6TensorESM_SM_EERKSM_lbbbEUlllE0_EEPmJS6_EEE10hipError_tPvRmT3_T4_T5_T6_T7_T9_mT8_P12ihipStream_tbDpT10_ENKUlT_T0_E_clISt17integral_constantIbLb1EES1B_IbLb0EEEEDaS17_S18_EUlS17_E_NS1_11comp_targetILNS1_3genE2ELNS1_11target_archE906ELNS1_3gpuE6ELNS1_3repE0EEENS1_30default_config_static_selectorELNS0_4arch9wavefront6targetE0EEEvT1_, .Lfunc_end583-_ZN7rocprim17ROCPRIM_400000_NS6detail17trampoline_kernelINS0_14default_configENS1_25partition_config_selectorILNS1_17partition_subalgoE8ElNS0_10empty_typeEbEEZZNS1_14partition_implILS5_8ELb0ES3_jPlPS6_PKS6_NS0_5tupleIJS9_S6_EEENSD_IJSA_SA_EEENS0_18inequality_wrapperIZN2at6native12_GLOBAL__N_124unique_dim_cuda_templateIlEESt5tupleIJNSH_6TensorESM_SM_EERKSM_lbbbEUlllE0_EEPmJS6_EEE10hipError_tPvRmT3_T4_T5_T6_T7_T9_mT8_P12ihipStream_tbDpT10_ENKUlT_T0_E_clISt17integral_constantIbLb1EES1B_IbLb0EEEEDaS17_S18_EUlS17_E_NS1_11comp_targetILNS1_3genE2ELNS1_11target_archE906ELNS1_3gpuE6ELNS1_3repE0EEENS1_30default_config_static_selectorELNS0_4arch9wavefront6targetE0EEEvT1_
                                        ; -- End function
	.set _ZN7rocprim17ROCPRIM_400000_NS6detail17trampoline_kernelINS0_14default_configENS1_25partition_config_selectorILNS1_17partition_subalgoE8ElNS0_10empty_typeEbEEZZNS1_14partition_implILS5_8ELb0ES3_jPlPS6_PKS6_NS0_5tupleIJS9_S6_EEENSD_IJSA_SA_EEENS0_18inequality_wrapperIZN2at6native12_GLOBAL__N_124unique_dim_cuda_templateIlEESt5tupleIJNSH_6TensorESM_SM_EERKSM_lbbbEUlllE0_EEPmJS6_EEE10hipError_tPvRmT3_T4_T5_T6_T7_T9_mT8_P12ihipStream_tbDpT10_ENKUlT_T0_E_clISt17integral_constantIbLb1EES1B_IbLb0EEEEDaS17_S18_EUlS17_E_NS1_11comp_targetILNS1_3genE2ELNS1_11target_archE906ELNS1_3gpuE6ELNS1_3repE0EEENS1_30default_config_static_selectorELNS0_4arch9wavefront6targetE0EEEvT1_.num_vgpr, 0
	.set _ZN7rocprim17ROCPRIM_400000_NS6detail17trampoline_kernelINS0_14default_configENS1_25partition_config_selectorILNS1_17partition_subalgoE8ElNS0_10empty_typeEbEEZZNS1_14partition_implILS5_8ELb0ES3_jPlPS6_PKS6_NS0_5tupleIJS9_S6_EEENSD_IJSA_SA_EEENS0_18inequality_wrapperIZN2at6native12_GLOBAL__N_124unique_dim_cuda_templateIlEESt5tupleIJNSH_6TensorESM_SM_EERKSM_lbbbEUlllE0_EEPmJS6_EEE10hipError_tPvRmT3_T4_T5_T6_T7_T9_mT8_P12ihipStream_tbDpT10_ENKUlT_T0_E_clISt17integral_constantIbLb1EES1B_IbLb0EEEEDaS17_S18_EUlS17_E_NS1_11comp_targetILNS1_3genE2ELNS1_11target_archE906ELNS1_3gpuE6ELNS1_3repE0EEENS1_30default_config_static_selectorELNS0_4arch9wavefront6targetE0EEEvT1_.num_agpr, 0
	.set _ZN7rocprim17ROCPRIM_400000_NS6detail17trampoline_kernelINS0_14default_configENS1_25partition_config_selectorILNS1_17partition_subalgoE8ElNS0_10empty_typeEbEEZZNS1_14partition_implILS5_8ELb0ES3_jPlPS6_PKS6_NS0_5tupleIJS9_S6_EEENSD_IJSA_SA_EEENS0_18inequality_wrapperIZN2at6native12_GLOBAL__N_124unique_dim_cuda_templateIlEESt5tupleIJNSH_6TensorESM_SM_EERKSM_lbbbEUlllE0_EEPmJS6_EEE10hipError_tPvRmT3_T4_T5_T6_T7_T9_mT8_P12ihipStream_tbDpT10_ENKUlT_T0_E_clISt17integral_constantIbLb1EES1B_IbLb0EEEEDaS17_S18_EUlS17_E_NS1_11comp_targetILNS1_3genE2ELNS1_11target_archE906ELNS1_3gpuE6ELNS1_3repE0EEENS1_30default_config_static_selectorELNS0_4arch9wavefront6targetE0EEEvT1_.numbered_sgpr, 0
	.set _ZN7rocprim17ROCPRIM_400000_NS6detail17trampoline_kernelINS0_14default_configENS1_25partition_config_selectorILNS1_17partition_subalgoE8ElNS0_10empty_typeEbEEZZNS1_14partition_implILS5_8ELb0ES3_jPlPS6_PKS6_NS0_5tupleIJS9_S6_EEENSD_IJSA_SA_EEENS0_18inequality_wrapperIZN2at6native12_GLOBAL__N_124unique_dim_cuda_templateIlEESt5tupleIJNSH_6TensorESM_SM_EERKSM_lbbbEUlllE0_EEPmJS6_EEE10hipError_tPvRmT3_T4_T5_T6_T7_T9_mT8_P12ihipStream_tbDpT10_ENKUlT_T0_E_clISt17integral_constantIbLb1EES1B_IbLb0EEEEDaS17_S18_EUlS17_E_NS1_11comp_targetILNS1_3genE2ELNS1_11target_archE906ELNS1_3gpuE6ELNS1_3repE0EEENS1_30default_config_static_selectorELNS0_4arch9wavefront6targetE0EEEvT1_.num_named_barrier, 0
	.set _ZN7rocprim17ROCPRIM_400000_NS6detail17trampoline_kernelINS0_14default_configENS1_25partition_config_selectorILNS1_17partition_subalgoE8ElNS0_10empty_typeEbEEZZNS1_14partition_implILS5_8ELb0ES3_jPlPS6_PKS6_NS0_5tupleIJS9_S6_EEENSD_IJSA_SA_EEENS0_18inequality_wrapperIZN2at6native12_GLOBAL__N_124unique_dim_cuda_templateIlEESt5tupleIJNSH_6TensorESM_SM_EERKSM_lbbbEUlllE0_EEPmJS6_EEE10hipError_tPvRmT3_T4_T5_T6_T7_T9_mT8_P12ihipStream_tbDpT10_ENKUlT_T0_E_clISt17integral_constantIbLb1EES1B_IbLb0EEEEDaS17_S18_EUlS17_E_NS1_11comp_targetILNS1_3genE2ELNS1_11target_archE906ELNS1_3gpuE6ELNS1_3repE0EEENS1_30default_config_static_selectorELNS0_4arch9wavefront6targetE0EEEvT1_.private_seg_size, 0
	.set _ZN7rocprim17ROCPRIM_400000_NS6detail17trampoline_kernelINS0_14default_configENS1_25partition_config_selectorILNS1_17partition_subalgoE8ElNS0_10empty_typeEbEEZZNS1_14partition_implILS5_8ELb0ES3_jPlPS6_PKS6_NS0_5tupleIJS9_S6_EEENSD_IJSA_SA_EEENS0_18inequality_wrapperIZN2at6native12_GLOBAL__N_124unique_dim_cuda_templateIlEESt5tupleIJNSH_6TensorESM_SM_EERKSM_lbbbEUlllE0_EEPmJS6_EEE10hipError_tPvRmT3_T4_T5_T6_T7_T9_mT8_P12ihipStream_tbDpT10_ENKUlT_T0_E_clISt17integral_constantIbLb1EES1B_IbLb0EEEEDaS17_S18_EUlS17_E_NS1_11comp_targetILNS1_3genE2ELNS1_11target_archE906ELNS1_3gpuE6ELNS1_3repE0EEENS1_30default_config_static_selectorELNS0_4arch9wavefront6targetE0EEEvT1_.uses_vcc, 0
	.set _ZN7rocprim17ROCPRIM_400000_NS6detail17trampoline_kernelINS0_14default_configENS1_25partition_config_selectorILNS1_17partition_subalgoE8ElNS0_10empty_typeEbEEZZNS1_14partition_implILS5_8ELb0ES3_jPlPS6_PKS6_NS0_5tupleIJS9_S6_EEENSD_IJSA_SA_EEENS0_18inequality_wrapperIZN2at6native12_GLOBAL__N_124unique_dim_cuda_templateIlEESt5tupleIJNSH_6TensorESM_SM_EERKSM_lbbbEUlllE0_EEPmJS6_EEE10hipError_tPvRmT3_T4_T5_T6_T7_T9_mT8_P12ihipStream_tbDpT10_ENKUlT_T0_E_clISt17integral_constantIbLb1EES1B_IbLb0EEEEDaS17_S18_EUlS17_E_NS1_11comp_targetILNS1_3genE2ELNS1_11target_archE906ELNS1_3gpuE6ELNS1_3repE0EEENS1_30default_config_static_selectorELNS0_4arch9wavefront6targetE0EEEvT1_.uses_flat_scratch, 0
	.set _ZN7rocprim17ROCPRIM_400000_NS6detail17trampoline_kernelINS0_14default_configENS1_25partition_config_selectorILNS1_17partition_subalgoE8ElNS0_10empty_typeEbEEZZNS1_14partition_implILS5_8ELb0ES3_jPlPS6_PKS6_NS0_5tupleIJS9_S6_EEENSD_IJSA_SA_EEENS0_18inequality_wrapperIZN2at6native12_GLOBAL__N_124unique_dim_cuda_templateIlEESt5tupleIJNSH_6TensorESM_SM_EERKSM_lbbbEUlllE0_EEPmJS6_EEE10hipError_tPvRmT3_T4_T5_T6_T7_T9_mT8_P12ihipStream_tbDpT10_ENKUlT_T0_E_clISt17integral_constantIbLb1EES1B_IbLb0EEEEDaS17_S18_EUlS17_E_NS1_11comp_targetILNS1_3genE2ELNS1_11target_archE906ELNS1_3gpuE6ELNS1_3repE0EEENS1_30default_config_static_selectorELNS0_4arch9wavefront6targetE0EEEvT1_.has_dyn_sized_stack, 0
	.set _ZN7rocprim17ROCPRIM_400000_NS6detail17trampoline_kernelINS0_14default_configENS1_25partition_config_selectorILNS1_17partition_subalgoE8ElNS0_10empty_typeEbEEZZNS1_14partition_implILS5_8ELb0ES3_jPlPS6_PKS6_NS0_5tupleIJS9_S6_EEENSD_IJSA_SA_EEENS0_18inequality_wrapperIZN2at6native12_GLOBAL__N_124unique_dim_cuda_templateIlEESt5tupleIJNSH_6TensorESM_SM_EERKSM_lbbbEUlllE0_EEPmJS6_EEE10hipError_tPvRmT3_T4_T5_T6_T7_T9_mT8_P12ihipStream_tbDpT10_ENKUlT_T0_E_clISt17integral_constantIbLb1EES1B_IbLb0EEEEDaS17_S18_EUlS17_E_NS1_11comp_targetILNS1_3genE2ELNS1_11target_archE906ELNS1_3gpuE6ELNS1_3repE0EEENS1_30default_config_static_selectorELNS0_4arch9wavefront6targetE0EEEvT1_.has_recursion, 0
	.set _ZN7rocprim17ROCPRIM_400000_NS6detail17trampoline_kernelINS0_14default_configENS1_25partition_config_selectorILNS1_17partition_subalgoE8ElNS0_10empty_typeEbEEZZNS1_14partition_implILS5_8ELb0ES3_jPlPS6_PKS6_NS0_5tupleIJS9_S6_EEENSD_IJSA_SA_EEENS0_18inequality_wrapperIZN2at6native12_GLOBAL__N_124unique_dim_cuda_templateIlEESt5tupleIJNSH_6TensorESM_SM_EERKSM_lbbbEUlllE0_EEPmJS6_EEE10hipError_tPvRmT3_T4_T5_T6_T7_T9_mT8_P12ihipStream_tbDpT10_ENKUlT_T0_E_clISt17integral_constantIbLb1EES1B_IbLb0EEEEDaS17_S18_EUlS17_E_NS1_11comp_targetILNS1_3genE2ELNS1_11target_archE906ELNS1_3gpuE6ELNS1_3repE0EEENS1_30default_config_static_selectorELNS0_4arch9wavefront6targetE0EEEvT1_.has_indirect_call, 0
	.section	.AMDGPU.csdata,"",@progbits
; Kernel info:
; codeLenInByte = 0
; TotalNumSgprs: 0
; NumVgprs: 0
; ScratchSize: 0
; MemoryBound: 0
; FloatMode: 240
; IeeeMode: 1
; LDSByteSize: 0 bytes/workgroup (compile time only)
; SGPRBlocks: 0
; VGPRBlocks: 0
; NumSGPRsForWavesPerEU: 1
; NumVGPRsForWavesPerEU: 1
; NamedBarCnt: 0
; Occupancy: 16
; WaveLimiterHint : 0
; COMPUTE_PGM_RSRC2:SCRATCH_EN: 0
; COMPUTE_PGM_RSRC2:USER_SGPR: 2
; COMPUTE_PGM_RSRC2:TRAP_HANDLER: 0
; COMPUTE_PGM_RSRC2:TGID_X_EN: 1
; COMPUTE_PGM_RSRC2:TGID_Y_EN: 0
; COMPUTE_PGM_RSRC2:TGID_Z_EN: 0
; COMPUTE_PGM_RSRC2:TIDIG_COMP_CNT: 0
	.section	.text._ZN7rocprim17ROCPRIM_400000_NS6detail17trampoline_kernelINS0_14default_configENS1_25partition_config_selectorILNS1_17partition_subalgoE8ElNS0_10empty_typeEbEEZZNS1_14partition_implILS5_8ELb0ES3_jPlPS6_PKS6_NS0_5tupleIJS9_S6_EEENSD_IJSA_SA_EEENS0_18inequality_wrapperIZN2at6native12_GLOBAL__N_124unique_dim_cuda_templateIlEESt5tupleIJNSH_6TensorESM_SM_EERKSM_lbbbEUlllE0_EEPmJS6_EEE10hipError_tPvRmT3_T4_T5_T6_T7_T9_mT8_P12ihipStream_tbDpT10_ENKUlT_T0_E_clISt17integral_constantIbLb1EES1B_IbLb0EEEEDaS17_S18_EUlS17_E_NS1_11comp_targetILNS1_3genE10ELNS1_11target_archE1200ELNS1_3gpuE4ELNS1_3repE0EEENS1_30default_config_static_selectorELNS0_4arch9wavefront6targetE0EEEvT1_,"axG",@progbits,_ZN7rocprim17ROCPRIM_400000_NS6detail17trampoline_kernelINS0_14default_configENS1_25partition_config_selectorILNS1_17partition_subalgoE8ElNS0_10empty_typeEbEEZZNS1_14partition_implILS5_8ELb0ES3_jPlPS6_PKS6_NS0_5tupleIJS9_S6_EEENSD_IJSA_SA_EEENS0_18inequality_wrapperIZN2at6native12_GLOBAL__N_124unique_dim_cuda_templateIlEESt5tupleIJNSH_6TensorESM_SM_EERKSM_lbbbEUlllE0_EEPmJS6_EEE10hipError_tPvRmT3_T4_T5_T6_T7_T9_mT8_P12ihipStream_tbDpT10_ENKUlT_T0_E_clISt17integral_constantIbLb1EES1B_IbLb0EEEEDaS17_S18_EUlS17_E_NS1_11comp_targetILNS1_3genE10ELNS1_11target_archE1200ELNS1_3gpuE4ELNS1_3repE0EEENS1_30default_config_static_selectorELNS0_4arch9wavefront6targetE0EEEvT1_,comdat
	.globl	_ZN7rocprim17ROCPRIM_400000_NS6detail17trampoline_kernelINS0_14default_configENS1_25partition_config_selectorILNS1_17partition_subalgoE8ElNS0_10empty_typeEbEEZZNS1_14partition_implILS5_8ELb0ES3_jPlPS6_PKS6_NS0_5tupleIJS9_S6_EEENSD_IJSA_SA_EEENS0_18inequality_wrapperIZN2at6native12_GLOBAL__N_124unique_dim_cuda_templateIlEESt5tupleIJNSH_6TensorESM_SM_EERKSM_lbbbEUlllE0_EEPmJS6_EEE10hipError_tPvRmT3_T4_T5_T6_T7_T9_mT8_P12ihipStream_tbDpT10_ENKUlT_T0_E_clISt17integral_constantIbLb1EES1B_IbLb0EEEEDaS17_S18_EUlS17_E_NS1_11comp_targetILNS1_3genE10ELNS1_11target_archE1200ELNS1_3gpuE4ELNS1_3repE0EEENS1_30default_config_static_selectorELNS0_4arch9wavefront6targetE0EEEvT1_ ; -- Begin function _ZN7rocprim17ROCPRIM_400000_NS6detail17trampoline_kernelINS0_14default_configENS1_25partition_config_selectorILNS1_17partition_subalgoE8ElNS0_10empty_typeEbEEZZNS1_14partition_implILS5_8ELb0ES3_jPlPS6_PKS6_NS0_5tupleIJS9_S6_EEENSD_IJSA_SA_EEENS0_18inequality_wrapperIZN2at6native12_GLOBAL__N_124unique_dim_cuda_templateIlEESt5tupleIJNSH_6TensorESM_SM_EERKSM_lbbbEUlllE0_EEPmJS6_EEE10hipError_tPvRmT3_T4_T5_T6_T7_T9_mT8_P12ihipStream_tbDpT10_ENKUlT_T0_E_clISt17integral_constantIbLb1EES1B_IbLb0EEEEDaS17_S18_EUlS17_E_NS1_11comp_targetILNS1_3genE10ELNS1_11target_archE1200ELNS1_3gpuE4ELNS1_3repE0EEENS1_30default_config_static_selectorELNS0_4arch9wavefront6targetE0EEEvT1_
	.p2align	8
	.type	_ZN7rocprim17ROCPRIM_400000_NS6detail17trampoline_kernelINS0_14default_configENS1_25partition_config_selectorILNS1_17partition_subalgoE8ElNS0_10empty_typeEbEEZZNS1_14partition_implILS5_8ELb0ES3_jPlPS6_PKS6_NS0_5tupleIJS9_S6_EEENSD_IJSA_SA_EEENS0_18inequality_wrapperIZN2at6native12_GLOBAL__N_124unique_dim_cuda_templateIlEESt5tupleIJNSH_6TensorESM_SM_EERKSM_lbbbEUlllE0_EEPmJS6_EEE10hipError_tPvRmT3_T4_T5_T6_T7_T9_mT8_P12ihipStream_tbDpT10_ENKUlT_T0_E_clISt17integral_constantIbLb1EES1B_IbLb0EEEEDaS17_S18_EUlS17_E_NS1_11comp_targetILNS1_3genE10ELNS1_11target_archE1200ELNS1_3gpuE4ELNS1_3repE0EEENS1_30default_config_static_selectorELNS0_4arch9wavefront6targetE0EEEvT1_,@function
_ZN7rocprim17ROCPRIM_400000_NS6detail17trampoline_kernelINS0_14default_configENS1_25partition_config_selectorILNS1_17partition_subalgoE8ElNS0_10empty_typeEbEEZZNS1_14partition_implILS5_8ELb0ES3_jPlPS6_PKS6_NS0_5tupleIJS9_S6_EEENSD_IJSA_SA_EEENS0_18inequality_wrapperIZN2at6native12_GLOBAL__N_124unique_dim_cuda_templateIlEESt5tupleIJNSH_6TensorESM_SM_EERKSM_lbbbEUlllE0_EEPmJS6_EEE10hipError_tPvRmT3_T4_T5_T6_T7_T9_mT8_P12ihipStream_tbDpT10_ENKUlT_T0_E_clISt17integral_constantIbLb1EES1B_IbLb0EEEEDaS17_S18_EUlS17_E_NS1_11comp_targetILNS1_3genE10ELNS1_11target_archE1200ELNS1_3gpuE4ELNS1_3repE0EEENS1_30default_config_static_selectorELNS0_4arch9wavefront6targetE0EEEvT1_: ; @_ZN7rocprim17ROCPRIM_400000_NS6detail17trampoline_kernelINS0_14default_configENS1_25partition_config_selectorILNS1_17partition_subalgoE8ElNS0_10empty_typeEbEEZZNS1_14partition_implILS5_8ELb0ES3_jPlPS6_PKS6_NS0_5tupleIJS9_S6_EEENSD_IJSA_SA_EEENS0_18inequality_wrapperIZN2at6native12_GLOBAL__N_124unique_dim_cuda_templateIlEESt5tupleIJNSH_6TensorESM_SM_EERKSM_lbbbEUlllE0_EEPmJS6_EEE10hipError_tPvRmT3_T4_T5_T6_T7_T9_mT8_P12ihipStream_tbDpT10_ENKUlT_T0_E_clISt17integral_constantIbLb1EES1B_IbLb0EEEEDaS17_S18_EUlS17_E_NS1_11comp_targetILNS1_3genE10ELNS1_11target_archE1200ELNS1_3gpuE4ELNS1_3repE0EEENS1_30default_config_static_selectorELNS0_4arch9wavefront6targetE0EEEvT1_
; %bb.0:
	.section	.rodata,"a",@progbits
	.p2align	6, 0x0
	.amdhsa_kernel _ZN7rocprim17ROCPRIM_400000_NS6detail17trampoline_kernelINS0_14default_configENS1_25partition_config_selectorILNS1_17partition_subalgoE8ElNS0_10empty_typeEbEEZZNS1_14partition_implILS5_8ELb0ES3_jPlPS6_PKS6_NS0_5tupleIJS9_S6_EEENSD_IJSA_SA_EEENS0_18inequality_wrapperIZN2at6native12_GLOBAL__N_124unique_dim_cuda_templateIlEESt5tupleIJNSH_6TensorESM_SM_EERKSM_lbbbEUlllE0_EEPmJS6_EEE10hipError_tPvRmT3_T4_T5_T6_T7_T9_mT8_P12ihipStream_tbDpT10_ENKUlT_T0_E_clISt17integral_constantIbLb1EES1B_IbLb0EEEEDaS17_S18_EUlS17_E_NS1_11comp_targetILNS1_3genE10ELNS1_11target_archE1200ELNS1_3gpuE4ELNS1_3repE0EEENS1_30default_config_static_selectorELNS0_4arch9wavefront6targetE0EEEvT1_
		.amdhsa_group_segment_fixed_size 0
		.amdhsa_private_segment_fixed_size 0
		.amdhsa_kernarg_size 120
		.amdhsa_user_sgpr_count 2
		.amdhsa_user_sgpr_dispatch_ptr 0
		.amdhsa_user_sgpr_queue_ptr 0
		.amdhsa_user_sgpr_kernarg_segment_ptr 1
		.amdhsa_user_sgpr_dispatch_id 0
		.amdhsa_user_sgpr_kernarg_preload_length 0
		.amdhsa_user_sgpr_kernarg_preload_offset 0
		.amdhsa_user_sgpr_private_segment_size 0
		.amdhsa_wavefront_size32 1
		.amdhsa_uses_dynamic_stack 0
		.amdhsa_enable_private_segment 0
		.amdhsa_system_sgpr_workgroup_id_x 1
		.amdhsa_system_sgpr_workgroup_id_y 0
		.amdhsa_system_sgpr_workgroup_id_z 0
		.amdhsa_system_sgpr_workgroup_info 0
		.amdhsa_system_vgpr_workitem_id 0
		.amdhsa_next_free_vgpr 1
		.amdhsa_next_free_sgpr 1
		.amdhsa_named_barrier_count 0
		.amdhsa_reserve_vcc 0
		.amdhsa_float_round_mode_32 0
		.amdhsa_float_round_mode_16_64 0
		.amdhsa_float_denorm_mode_32 3
		.amdhsa_float_denorm_mode_16_64 3
		.amdhsa_fp16_overflow 0
		.amdhsa_memory_ordered 1
		.amdhsa_forward_progress 1
		.amdhsa_inst_pref_size 0
		.amdhsa_round_robin_scheduling 0
		.amdhsa_exception_fp_ieee_invalid_op 0
		.amdhsa_exception_fp_denorm_src 0
		.amdhsa_exception_fp_ieee_div_zero 0
		.amdhsa_exception_fp_ieee_overflow 0
		.amdhsa_exception_fp_ieee_underflow 0
		.amdhsa_exception_fp_ieee_inexact 0
		.amdhsa_exception_int_div_zero 0
	.end_amdhsa_kernel
	.section	.text._ZN7rocprim17ROCPRIM_400000_NS6detail17trampoline_kernelINS0_14default_configENS1_25partition_config_selectorILNS1_17partition_subalgoE8ElNS0_10empty_typeEbEEZZNS1_14partition_implILS5_8ELb0ES3_jPlPS6_PKS6_NS0_5tupleIJS9_S6_EEENSD_IJSA_SA_EEENS0_18inequality_wrapperIZN2at6native12_GLOBAL__N_124unique_dim_cuda_templateIlEESt5tupleIJNSH_6TensorESM_SM_EERKSM_lbbbEUlllE0_EEPmJS6_EEE10hipError_tPvRmT3_T4_T5_T6_T7_T9_mT8_P12ihipStream_tbDpT10_ENKUlT_T0_E_clISt17integral_constantIbLb1EES1B_IbLb0EEEEDaS17_S18_EUlS17_E_NS1_11comp_targetILNS1_3genE10ELNS1_11target_archE1200ELNS1_3gpuE4ELNS1_3repE0EEENS1_30default_config_static_selectorELNS0_4arch9wavefront6targetE0EEEvT1_,"axG",@progbits,_ZN7rocprim17ROCPRIM_400000_NS6detail17trampoline_kernelINS0_14default_configENS1_25partition_config_selectorILNS1_17partition_subalgoE8ElNS0_10empty_typeEbEEZZNS1_14partition_implILS5_8ELb0ES3_jPlPS6_PKS6_NS0_5tupleIJS9_S6_EEENSD_IJSA_SA_EEENS0_18inequality_wrapperIZN2at6native12_GLOBAL__N_124unique_dim_cuda_templateIlEESt5tupleIJNSH_6TensorESM_SM_EERKSM_lbbbEUlllE0_EEPmJS6_EEE10hipError_tPvRmT3_T4_T5_T6_T7_T9_mT8_P12ihipStream_tbDpT10_ENKUlT_T0_E_clISt17integral_constantIbLb1EES1B_IbLb0EEEEDaS17_S18_EUlS17_E_NS1_11comp_targetILNS1_3genE10ELNS1_11target_archE1200ELNS1_3gpuE4ELNS1_3repE0EEENS1_30default_config_static_selectorELNS0_4arch9wavefront6targetE0EEEvT1_,comdat
.Lfunc_end584:
	.size	_ZN7rocprim17ROCPRIM_400000_NS6detail17trampoline_kernelINS0_14default_configENS1_25partition_config_selectorILNS1_17partition_subalgoE8ElNS0_10empty_typeEbEEZZNS1_14partition_implILS5_8ELb0ES3_jPlPS6_PKS6_NS0_5tupleIJS9_S6_EEENSD_IJSA_SA_EEENS0_18inequality_wrapperIZN2at6native12_GLOBAL__N_124unique_dim_cuda_templateIlEESt5tupleIJNSH_6TensorESM_SM_EERKSM_lbbbEUlllE0_EEPmJS6_EEE10hipError_tPvRmT3_T4_T5_T6_T7_T9_mT8_P12ihipStream_tbDpT10_ENKUlT_T0_E_clISt17integral_constantIbLb1EES1B_IbLb0EEEEDaS17_S18_EUlS17_E_NS1_11comp_targetILNS1_3genE10ELNS1_11target_archE1200ELNS1_3gpuE4ELNS1_3repE0EEENS1_30default_config_static_selectorELNS0_4arch9wavefront6targetE0EEEvT1_, .Lfunc_end584-_ZN7rocprim17ROCPRIM_400000_NS6detail17trampoline_kernelINS0_14default_configENS1_25partition_config_selectorILNS1_17partition_subalgoE8ElNS0_10empty_typeEbEEZZNS1_14partition_implILS5_8ELb0ES3_jPlPS6_PKS6_NS0_5tupleIJS9_S6_EEENSD_IJSA_SA_EEENS0_18inequality_wrapperIZN2at6native12_GLOBAL__N_124unique_dim_cuda_templateIlEESt5tupleIJNSH_6TensorESM_SM_EERKSM_lbbbEUlllE0_EEPmJS6_EEE10hipError_tPvRmT3_T4_T5_T6_T7_T9_mT8_P12ihipStream_tbDpT10_ENKUlT_T0_E_clISt17integral_constantIbLb1EES1B_IbLb0EEEEDaS17_S18_EUlS17_E_NS1_11comp_targetILNS1_3genE10ELNS1_11target_archE1200ELNS1_3gpuE4ELNS1_3repE0EEENS1_30default_config_static_selectorELNS0_4arch9wavefront6targetE0EEEvT1_
                                        ; -- End function
	.set _ZN7rocprim17ROCPRIM_400000_NS6detail17trampoline_kernelINS0_14default_configENS1_25partition_config_selectorILNS1_17partition_subalgoE8ElNS0_10empty_typeEbEEZZNS1_14partition_implILS5_8ELb0ES3_jPlPS6_PKS6_NS0_5tupleIJS9_S6_EEENSD_IJSA_SA_EEENS0_18inequality_wrapperIZN2at6native12_GLOBAL__N_124unique_dim_cuda_templateIlEESt5tupleIJNSH_6TensorESM_SM_EERKSM_lbbbEUlllE0_EEPmJS6_EEE10hipError_tPvRmT3_T4_T5_T6_T7_T9_mT8_P12ihipStream_tbDpT10_ENKUlT_T0_E_clISt17integral_constantIbLb1EES1B_IbLb0EEEEDaS17_S18_EUlS17_E_NS1_11comp_targetILNS1_3genE10ELNS1_11target_archE1200ELNS1_3gpuE4ELNS1_3repE0EEENS1_30default_config_static_selectorELNS0_4arch9wavefront6targetE0EEEvT1_.num_vgpr, 0
	.set _ZN7rocprim17ROCPRIM_400000_NS6detail17trampoline_kernelINS0_14default_configENS1_25partition_config_selectorILNS1_17partition_subalgoE8ElNS0_10empty_typeEbEEZZNS1_14partition_implILS5_8ELb0ES3_jPlPS6_PKS6_NS0_5tupleIJS9_S6_EEENSD_IJSA_SA_EEENS0_18inequality_wrapperIZN2at6native12_GLOBAL__N_124unique_dim_cuda_templateIlEESt5tupleIJNSH_6TensorESM_SM_EERKSM_lbbbEUlllE0_EEPmJS6_EEE10hipError_tPvRmT3_T4_T5_T6_T7_T9_mT8_P12ihipStream_tbDpT10_ENKUlT_T0_E_clISt17integral_constantIbLb1EES1B_IbLb0EEEEDaS17_S18_EUlS17_E_NS1_11comp_targetILNS1_3genE10ELNS1_11target_archE1200ELNS1_3gpuE4ELNS1_3repE0EEENS1_30default_config_static_selectorELNS0_4arch9wavefront6targetE0EEEvT1_.num_agpr, 0
	.set _ZN7rocprim17ROCPRIM_400000_NS6detail17trampoline_kernelINS0_14default_configENS1_25partition_config_selectorILNS1_17partition_subalgoE8ElNS0_10empty_typeEbEEZZNS1_14partition_implILS5_8ELb0ES3_jPlPS6_PKS6_NS0_5tupleIJS9_S6_EEENSD_IJSA_SA_EEENS0_18inequality_wrapperIZN2at6native12_GLOBAL__N_124unique_dim_cuda_templateIlEESt5tupleIJNSH_6TensorESM_SM_EERKSM_lbbbEUlllE0_EEPmJS6_EEE10hipError_tPvRmT3_T4_T5_T6_T7_T9_mT8_P12ihipStream_tbDpT10_ENKUlT_T0_E_clISt17integral_constantIbLb1EES1B_IbLb0EEEEDaS17_S18_EUlS17_E_NS1_11comp_targetILNS1_3genE10ELNS1_11target_archE1200ELNS1_3gpuE4ELNS1_3repE0EEENS1_30default_config_static_selectorELNS0_4arch9wavefront6targetE0EEEvT1_.numbered_sgpr, 0
	.set _ZN7rocprim17ROCPRIM_400000_NS6detail17trampoline_kernelINS0_14default_configENS1_25partition_config_selectorILNS1_17partition_subalgoE8ElNS0_10empty_typeEbEEZZNS1_14partition_implILS5_8ELb0ES3_jPlPS6_PKS6_NS0_5tupleIJS9_S6_EEENSD_IJSA_SA_EEENS0_18inequality_wrapperIZN2at6native12_GLOBAL__N_124unique_dim_cuda_templateIlEESt5tupleIJNSH_6TensorESM_SM_EERKSM_lbbbEUlllE0_EEPmJS6_EEE10hipError_tPvRmT3_T4_T5_T6_T7_T9_mT8_P12ihipStream_tbDpT10_ENKUlT_T0_E_clISt17integral_constantIbLb1EES1B_IbLb0EEEEDaS17_S18_EUlS17_E_NS1_11comp_targetILNS1_3genE10ELNS1_11target_archE1200ELNS1_3gpuE4ELNS1_3repE0EEENS1_30default_config_static_selectorELNS0_4arch9wavefront6targetE0EEEvT1_.num_named_barrier, 0
	.set _ZN7rocprim17ROCPRIM_400000_NS6detail17trampoline_kernelINS0_14default_configENS1_25partition_config_selectorILNS1_17partition_subalgoE8ElNS0_10empty_typeEbEEZZNS1_14partition_implILS5_8ELb0ES3_jPlPS6_PKS6_NS0_5tupleIJS9_S6_EEENSD_IJSA_SA_EEENS0_18inequality_wrapperIZN2at6native12_GLOBAL__N_124unique_dim_cuda_templateIlEESt5tupleIJNSH_6TensorESM_SM_EERKSM_lbbbEUlllE0_EEPmJS6_EEE10hipError_tPvRmT3_T4_T5_T6_T7_T9_mT8_P12ihipStream_tbDpT10_ENKUlT_T0_E_clISt17integral_constantIbLb1EES1B_IbLb0EEEEDaS17_S18_EUlS17_E_NS1_11comp_targetILNS1_3genE10ELNS1_11target_archE1200ELNS1_3gpuE4ELNS1_3repE0EEENS1_30default_config_static_selectorELNS0_4arch9wavefront6targetE0EEEvT1_.private_seg_size, 0
	.set _ZN7rocprim17ROCPRIM_400000_NS6detail17trampoline_kernelINS0_14default_configENS1_25partition_config_selectorILNS1_17partition_subalgoE8ElNS0_10empty_typeEbEEZZNS1_14partition_implILS5_8ELb0ES3_jPlPS6_PKS6_NS0_5tupleIJS9_S6_EEENSD_IJSA_SA_EEENS0_18inequality_wrapperIZN2at6native12_GLOBAL__N_124unique_dim_cuda_templateIlEESt5tupleIJNSH_6TensorESM_SM_EERKSM_lbbbEUlllE0_EEPmJS6_EEE10hipError_tPvRmT3_T4_T5_T6_T7_T9_mT8_P12ihipStream_tbDpT10_ENKUlT_T0_E_clISt17integral_constantIbLb1EES1B_IbLb0EEEEDaS17_S18_EUlS17_E_NS1_11comp_targetILNS1_3genE10ELNS1_11target_archE1200ELNS1_3gpuE4ELNS1_3repE0EEENS1_30default_config_static_selectorELNS0_4arch9wavefront6targetE0EEEvT1_.uses_vcc, 0
	.set _ZN7rocprim17ROCPRIM_400000_NS6detail17trampoline_kernelINS0_14default_configENS1_25partition_config_selectorILNS1_17partition_subalgoE8ElNS0_10empty_typeEbEEZZNS1_14partition_implILS5_8ELb0ES3_jPlPS6_PKS6_NS0_5tupleIJS9_S6_EEENSD_IJSA_SA_EEENS0_18inequality_wrapperIZN2at6native12_GLOBAL__N_124unique_dim_cuda_templateIlEESt5tupleIJNSH_6TensorESM_SM_EERKSM_lbbbEUlllE0_EEPmJS6_EEE10hipError_tPvRmT3_T4_T5_T6_T7_T9_mT8_P12ihipStream_tbDpT10_ENKUlT_T0_E_clISt17integral_constantIbLb1EES1B_IbLb0EEEEDaS17_S18_EUlS17_E_NS1_11comp_targetILNS1_3genE10ELNS1_11target_archE1200ELNS1_3gpuE4ELNS1_3repE0EEENS1_30default_config_static_selectorELNS0_4arch9wavefront6targetE0EEEvT1_.uses_flat_scratch, 0
	.set _ZN7rocprim17ROCPRIM_400000_NS6detail17trampoline_kernelINS0_14default_configENS1_25partition_config_selectorILNS1_17partition_subalgoE8ElNS0_10empty_typeEbEEZZNS1_14partition_implILS5_8ELb0ES3_jPlPS6_PKS6_NS0_5tupleIJS9_S6_EEENSD_IJSA_SA_EEENS0_18inequality_wrapperIZN2at6native12_GLOBAL__N_124unique_dim_cuda_templateIlEESt5tupleIJNSH_6TensorESM_SM_EERKSM_lbbbEUlllE0_EEPmJS6_EEE10hipError_tPvRmT3_T4_T5_T6_T7_T9_mT8_P12ihipStream_tbDpT10_ENKUlT_T0_E_clISt17integral_constantIbLb1EES1B_IbLb0EEEEDaS17_S18_EUlS17_E_NS1_11comp_targetILNS1_3genE10ELNS1_11target_archE1200ELNS1_3gpuE4ELNS1_3repE0EEENS1_30default_config_static_selectorELNS0_4arch9wavefront6targetE0EEEvT1_.has_dyn_sized_stack, 0
	.set _ZN7rocprim17ROCPRIM_400000_NS6detail17trampoline_kernelINS0_14default_configENS1_25partition_config_selectorILNS1_17partition_subalgoE8ElNS0_10empty_typeEbEEZZNS1_14partition_implILS5_8ELb0ES3_jPlPS6_PKS6_NS0_5tupleIJS9_S6_EEENSD_IJSA_SA_EEENS0_18inequality_wrapperIZN2at6native12_GLOBAL__N_124unique_dim_cuda_templateIlEESt5tupleIJNSH_6TensorESM_SM_EERKSM_lbbbEUlllE0_EEPmJS6_EEE10hipError_tPvRmT3_T4_T5_T6_T7_T9_mT8_P12ihipStream_tbDpT10_ENKUlT_T0_E_clISt17integral_constantIbLb1EES1B_IbLb0EEEEDaS17_S18_EUlS17_E_NS1_11comp_targetILNS1_3genE10ELNS1_11target_archE1200ELNS1_3gpuE4ELNS1_3repE0EEENS1_30default_config_static_selectorELNS0_4arch9wavefront6targetE0EEEvT1_.has_recursion, 0
	.set _ZN7rocprim17ROCPRIM_400000_NS6detail17trampoline_kernelINS0_14default_configENS1_25partition_config_selectorILNS1_17partition_subalgoE8ElNS0_10empty_typeEbEEZZNS1_14partition_implILS5_8ELb0ES3_jPlPS6_PKS6_NS0_5tupleIJS9_S6_EEENSD_IJSA_SA_EEENS0_18inequality_wrapperIZN2at6native12_GLOBAL__N_124unique_dim_cuda_templateIlEESt5tupleIJNSH_6TensorESM_SM_EERKSM_lbbbEUlllE0_EEPmJS6_EEE10hipError_tPvRmT3_T4_T5_T6_T7_T9_mT8_P12ihipStream_tbDpT10_ENKUlT_T0_E_clISt17integral_constantIbLb1EES1B_IbLb0EEEEDaS17_S18_EUlS17_E_NS1_11comp_targetILNS1_3genE10ELNS1_11target_archE1200ELNS1_3gpuE4ELNS1_3repE0EEENS1_30default_config_static_selectorELNS0_4arch9wavefront6targetE0EEEvT1_.has_indirect_call, 0
	.section	.AMDGPU.csdata,"",@progbits
; Kernel info:
; codeLenInByte = 0
; TotalNumSgprs: 0
; NumVgprs: 0
; ScratchSize: 0
; MemoryBound: 0
; FloatMode: 240
; IeeeMode: 1
; LDSByteSize: 0 bytes/workgroup (compile time only)
; SGPRBlocks: 0
; VGPRBlocks: 0
; NumSGPRsForWavesPerEU: 1
; NumVGPRsForWavesPerEU: 1
; NamedBarCnt: 0
; Occupancy: 16
; WaveLimiterHint : 0
; COMPUTE_PGM_RSRC2:SCRATCH_EN: 0
; COMPUTE_PGM_RSRC2:USER_SGPR: 2
; COMPUTE_PGM_RSRC2:TRAP_HANDLER: 0
; COMPUTE_PGM_RSRC2:TGID_X_EN: 1
; COMPUTE_PGM_RSRC2:TGID_Y_EN: 0
; COMPUTE_PGM_RSRC2:TGID_Z_EN: 0
; COMPUTE_PGM_RSRC2:TIDIG_COMP_CNT: 0
	.section	.text._ZN7rocprim17ROCPRIM_400000_NS6detail17trampoline_kernelINS0_14default_configENS1_25partition_config_selectorILNS1_17partition_subalgoE8ElNS0_10empty_typeEbEEZZNS1_14partition_implILS5_8ELb0ES3_jPlPS6_PKS6_NS0_5tupleIJS9_S6_EEENSD_IJSA_SA_EEENS0_18inequality_wrapperIZN2at6native12_GLOBAL__N_124unique_dim_cuda_templateIlEESt5tupleIJNSH_6TensorESM_SM_EERKSM_lbbbEUlllE0_EEPmJS6_EEE10hipError_tPvRmT3_T4_T5_T6_T7_T9_mT8_P12ihipStream_tbDpT10_ENKUlT_T0_E_clISt17integral_constantIbLb1EES1B_IbLb0EEEEDaS17_S18_EUlS17_E_NS1_11comp_targetILNS1_3genE9ELNS1_11target_archE1100ELNS1_3gpuE3ELNS1_3repE0EEENS1_30default_config_static_selectorELNS0_4arch9wavefront6targetE0EEEvT1_,"axG",@progbits,_ZN7rocprim17ROCPRIM_400000_NS6detail17trampoline_kernelINS0_14default_configENS1_25partition_config_selectorILNS1_17partition_subalgoE8ElNS0_10empty_typeEbEEZZNS1_14partition_implILS5_8ELb0ES3_jPlPS6_PKS6_NS0_5tupleIJS9_S6_EEENSD_IJSA_SA_EEENS0_18inequality_wrapperIZN2at6native12_GLOBAL__N_124unique_dim_cuda_templateIlEESt5tupleIJNSH_6TensorESM_SM_EERKSM_lbbbEUlllE0_EEPmJS6_EEE10hipError_tPvRmT3_T4_T5_T6_T7_T9_mT8_P12ihipStream_tbDpT10_ENKUlT_T0_E_clISt17integral_constantIbLb1EES1B_IbLb0EEEEDaS17_S18_EUlS17_E_NS1_11comp_targetILNS1_3genE9ELNS1_11target_archE1100ELNS1_3gpuE3ELNS1_3repE0EEENS1_30default_config_static_selectorELNS0_4arch9wavefront6targetE0EEEvT1_,comdat
	.globl	_ZN7rocprim17ROCPRIM_400000_NS6detail17trampoline_kernelINS0_14default_configENS1_25partition_config_selectorILNS1_17partition_subalgoE8ElNS0_10empty_typeEbEEZZNS1_14partition_implILS5_8ELb0ES3_jPlPS6_PKS6_NS0_5tupleIJS9_S6_EEENSD_IJSA_SA_EEENS0_18inequality_wrapperIZN2at6native12_GLOBAL__N_124unique_dim_cuda_templateIlEESt5tupleIJNSH_6TensorESM_SM_EERKSM_lbbbEUlllE0_EEPmJS6_EEE10hipError_tPvRmT3_T4_T5_T6_T7_T9_mT8_P12ihipStream_tbDpT10_ENKUlT_T0_E_clISt17integral_constantIbLb1EES1B_IbLb0EEEEDaS17_S18_EUlS17_E_NS1_11comp_targetILNS1_3genE9ELNS1_11target_archE1100ELNS1_3gpuE3ELNS1_3repE0EEENS1_30default_config_static_selectorELNS0_4arch9wavefront6targetE0EEEvT1_ ; -- Begin function _ZN7rocprim17ROCPRIM_400000_NS6detail17trampoline_kernelINS0_14default_configENS1_25partition_config_selectorILNS1_17partition_subalgoE8ElNS0_10empty_typeEbEEZZNS1_14partition_implILS5_8ELb0ES3_jPlPS6_PKS6_NS0_5tupleIJS9_S6_EEENSD_IJSA_SA_EEENS0_18inequality_wrapperIZN2at6native12_GLOBAL__N_124unique_dim_cuda_templateIlEESt5tupleIJNSH_6TensorESM_SM_EERKSM_lbbbEUlllE0_EEPmJS6_EEE10hipError_tPvRmT3_T4_T5_T6_T7_T9_mT8_P12ihipStream_tbDpT10_ENKUlT_T0_E_clISt17integral_constantIbLb1EES1B_IbLb0EEEEDaS17_S18_EUlS17_E_NS1_11comp_targetILNS1_3genE9ELNS1_11target_archE1100ELNS1_3gpuE3ELNS1_3repE0EEENS1_30default_config_static_selectorELNS0_4arch9wavefront6targetE0EEEvT1_
	.p2align	8
	.type	_ZN7rocprim17ROCPRIM_400000_NS6detail17trampoline_kernelINS0_14default_configENS1_25partition_config_selectorILNS1_17partition_subalgoE8ElNS0_10empty_typeEbEEZZNS1_14partition_implILS5_8ELb0ES3_jPlPS6_PKS6_NS0_5tupleIJS9_S6_EEENSD_IJSA_SA_EEENS0_18inequality_wrapperIZN2at6native12_GLOBAL__N_124unique_dim_cuda_templateIlEESt5tupleIJNSH_6TensorESM_SM_EERKSM_lbbbEUlllE0_EEPmJS6_EEE10hipError_tPvRmT3_T4_T5_T6_T7_T9_mT8_P12ihipStream_tbDpT10_ENKUlT_T0_E_clISt17integral_constantIbLb1EES1B_IbLb0EEEEDaS17_S18_EUlS17_E_NS1_11comp_targetILNS1_3genE9ELNS1_11target_archE1100ELNS1_3gpuE3ELNS1_3repE0EEENS1_30default_config_static_selectorELNS0_4arch9wavefront6targetE0EEEvT1_,@function
_ZN7rocprim17ROCPRIM_400000_NS6detail17trampoline_kernelINS0_14default_configENS1_25partition_config_selectorILNS1_17partition_subalgoE8ElNS0_10empty_typeEbEEZZNS1_14partition_implILS5_8ELb0ES3_jPlPS6_PKS6_NS0_5tupleIJS9_S6_EEENSD_IJSA_SA_EEENS0_18inequality_wrapperIZN2at6native12_GLOBAL__N_124unique_dim_cuda_templateIlEESt5tupleIJNSH_6TensorESM_SM_EERKSM_lbbbEUlllE0_EEPmJS6_EEE10hipError_tPvRmT3_T4_T5_T6_T7_T9_mT8_P12ihipStream_tbDpT10_ENKUlT_T0_E_clISt17integral_constantIbLb1EES1B_IbLb0EEEEDaS17_S18_EUlS17_E_NS1_11comp_targetILNS1_3genE9ELNS1_11target_archE1100ELNS1_3gpuE3ELNS1_3repE0EEENS1_30default_config_static_selectorELNS0_4arch9wavefront6targetE0EEEvT1_: ; @_ZN7rocprim17ROCPRIM_400000_NS6detail17trampoline_kernelINS0_14default_configENS1_25partition_config_selectorILNS1_17partition_subalgoE8ElNS0_10empty_typeEbEEZZNS1_14partition_implILS5_8ELb0ES3_jPlPS6_PKS6_NS0_5tupleIJS9_S6_EEENSD_IJSA_SA_EEENS0_18inequality_wrapperIZN2at6native12_GLOBAL__N_124unique_dim_cuda_templateIlEESt5tupleIJNSH_6TensorESM_SM_EERKSM_lbbbEUlllE0_EEPmJS6_EEE10hipError_tPvRmT3_T4_T5_T6_T7_T9_mT8_P12ihipStream_tbDpT10_ENKUlT_T0_E_clISt17integral_constantIbLb1EES1B_IbLb0EEEEDaS17_S18_EUlS17_E_NS1_11comp_targetILNS1_3genE9ELNS1_11target_archE1100ELNS1_3gpuE3ELNS1_3repE0EEENS1_30default_config_static_selectorELNS0_4arch9wavefront6targetE0EEEvT1_
; %bb.0:
	.section	.rodata,"a",@progbits
	.p2align	6, 0x0
	.amdhsa_kernel _ZN7rocprim17ROCPRIM_400000_NS6detail17trampoline_kernelINS0_14default_configENS1_25partition_config_selectorILNS1_17partition_subalgoE8ElNS0_10empty_typeEbEEZZNS1_14partition_implILS5_8ELb0ES3_jPlPS6_PKS6_NS0_5tupleIJS9_S6_EEENSD_IJSA_SA_EEENS0_18inequality_wrapperIZN2at6native12_GLOBAL__N_124unique_dim_cuda_templateIlEESt5tupleIJNSH_6TensorESM_SM_EERKSM_lbbbEUlllE0_EEPmJS6_EEE10hipError_tPvRmT3_T4_T5_T6_T7_T9_mT8_P12ihipStream_tbDpT10_ENKUlT_T0_E_clISt17integral_constantIbLb1EES1B_IbLb0EEEEDaS17_S18_EUlS17_E_NS1_11comp_targetILNS1_3genE9ELNS1_11target_archE1100ELNS1_3gpuE3ELNS1_3repE0EEENS1_30default_config_static_selectorELNS0_4arch9wavefront6targetE0EEEvT1_
		.amdhsa_group_segment_fixed_size 0
		.amdhsa_private_segment_fixed_size 0
		.amdhsa_kernarg_size 120
		.amdhsa_user_sgpr_count 2
		.amdhsa_user_sgpr_dispatch_ptr 0
		.amdhsa_user_sgpr_queue_ptr 0
		.amdhsa_user_sgpr_kernarg_segment_ptr 1
		.amdhsa_user_sgpr_dispatch_id 0
		.amdhsa_user_sgpr_kernarg_preload_length 0
		.amdhsa_user_sgpr_kernarg_preload_offset 0
		.amdhsa_user_sgpr_private_segment_size 0
		.amdhsa_wavefront_size32 1
		.amdhsa_uses_dynamic_stack 0
		.amdhsa_enable_private_segment 0
		.amdhsa_system_sgpr_workgroup_id_x 1
		.amdhsa_system_sgpr_workgroup_id_y 0
		.amdhsa_system_sgpr_workgroup_id_z 0
		.amdhsa_system_sgpr_workgroup_info 0
		.amdhsa_system_vgpr_workitem_id 0
		.amdhsa_next_free_vgpr 1
		.amdhsa_next_free_sgpr 1
		.amdhsa_named_barrier_count 0
		.amdhsa_reserve_vcc 0
		.amdhsa_float_round_mode_32 0
		.amdhsa_float_round_mode_16_64 0
		.amdhsa_float_denorm_mode_32 3
		.amdhsa_float_denorm_mode_16_64 3
		.amdhsa_fp16_overflow 0
		.amdhsa_memory_ordered 1
		.amdhsa_forward_progress 1
		.amdhsa_inst_pref_size 0
		.amdhsa_round_robin_scheduling 0
		.amdhsa_exception_fp_ieee_invalid_op 0
		.amdhsa_exception_fp_denorm_src 0
		.amdhsa_exception_fp_ieee_div_zero 0
		.amdhsa_exception_fp_ieee_overflow 0
		.amdhsa_exception_fp_ieee_underflow 0
		.amdhsa_exception_fp_ieee_inexact 0
		.amdhsa_exception_int_div_zero 0
	.end_amdhsa_kernel
	.section	.text._ZN7rocprim17ROCPRIM_400000_NS6detail17trampoline_kernelINS0_14default_configENS1_25partition_config_selectorILNS1_17partition_subalgoE8ElNS0_10empty_typeEbEEZZNS1_14partition_implILS5_8ELb0ES3_jPlPS6_PKS6_NS0_5tupleIJS9_S6_EEENSD_IJSA_SA_EEENS0_18inequality_wrapperIZN2at6native12_GLOBAL__N_124unique_dim_cuda_templateIlEESt5tupleIJNSH_6TensorESM_SM_EERKSM_lbbbEUlllE0_EEPmJS6_EEE10hipError_tPvRmT3_T4_T5_T6_T7_T9_mT8_P12ihipStream_tbDpT10_ENKUlT_T0_E_clISt17integral_constantIbLb1EES1B_IbLb0EEEEDaS17_S18_EUlS17_E_NS1_11comp_targetILNS1_3genE9ELNS1_11target_archE1100ELNS1_3gpuE3ELNS1_3repE0EEENS1_30default_config_static_selectorELNS0_4arch9wavefront6targetE0EEEvT1_,"axG",@progbits,_ZN7rocprim17ROCPRIM_400000_NS6detail17trampoline_kernelINS0_14default_configENS1_25partition_config_selectorILNS1_17partition_subalgoE8ElNS0_10empty_typeEbEEZZNS1_14partition_implILS5_8ELb0ES3_jPlPS6_PKS6_NS0_5tupleIJS9_S6_EEENSD_IJSA_SA_EEENS0_18inequality_wrapperIZN2at6native12_GLOBAL__N_124unique_dim_cuda_templateIlEESt5tupleIJNSH_6TensorESM_SM_EERKSM_lbbbEUlllE0_EEPmJS6_EEE10hipError_tPvRmT3_T4_T5_T6_T7_T9_mT8_P12ihipStream_tbDpT10_ENKUlT_T0_E_clISt17integral_constantIbLb1EES1B_IbLb0EEEEDaS17_S18_EUlS17_E_NS1_11comp_targetILNS1_3genE9ELNS1_11target_archE1100ELNS1_3gpuE3ELNS1_3repE0EEENS1_30default_config_static_selectorELNS0_4arch9wavefront6targetE0EEEvT1_,comdat
.Lfunc_end585:
	.size	_ZN7rocprim17ROCPRIM_400000_NS6detail17trampoline_kernelINS0_14default_configENS1_25partition_config_selectorILNS1_17partition_subalgoE8ElNS0_10empty_typeEbEEZZNS1_14partition_implILS5_8ELb0ES3_jPlPS6_PKS6_NS0_5tupleIJS9_S6_EEENSD_IJSA_SA_EEENS0_18inequality_wrapperIZN2at6native12_GLOBAL__N_124unique_dim_cuda_templateIlEESt5tupleIJNSH_6TensorESM_SM_EERKSM_lbbbEUlllE0_EEPmJS6_EEE10hipError_tPvRmT3_T4_T5_T6_T7_T9_mT8_P12ihipStream_tbDpT10_ENKUlT_T0_E_clISt17integral_constantIbLb1EES1B_IbLb0EEEEDaS17_S18_EUlS17_E_NS1_11comp_targetILNS1_3genE9ELNS1_11target_archE1100ELNS1_3gpuE3ELNS1_3repE0EEENS1_30default_config_static_selectorELNS0_4arch9wavefront6targetE0EEEvT1_, .Lfunc_end585-_ZN7rocprim17ROCPRIM_400000_NS6detail17trampoline_kernelINS0_14default_configENS1_25partition_config_selectorILNS1_17partition_subalgoE8ElNS0_10empty_typeEbEEZZNS1_14partition_implILS5_8ELb0ES3_jPlPS6_PKS6_NS0_5tupleIJS9_S6_EEENSD_IJSA_SA_EEENS0_18inequality_wrapperIZN2at6native12_GLOBAL__N_124unique_dim_cuda_templateIlEESt5tupleIJNSH_6TensorESM_SM_EERKSM_lbbbEUlllE0_EEPmJS6_EEE10hipError_tPvRmT3_T4_T5_T6_T7_T9_mT8_P12ihipStream_tbDpT10_ENKUlT_T0_E_clISt17integral_constantIbLb1EES1B_IbLb0EEEEDaS17_S18_EUlS17_E_NS1_11comp_targetILNS1_3genE9ELNS1_11target_archE1100ELNS1_3gpuE3ELNS1_3repE0EEENS1_30default_config_static_selectorELNS0_4arch9wavefront6targetE0EEEvT1_
                                        ; -- End function
	.set _ZN7rocprim17ROCPRIM_400000_NS6detail17trampoline_kernelINS0_14default_configENS1_25partition_config_selectorILNS1_17partition_subalgoE8ElNS0_10empty_typeEbEEZZNS1_14partition_implILS5_8ELb0ES3_jPlPS6_PKS6_NS0_5tupleIJS9_S6_EEENSD_IJSA_SA_EEENS0_18inequality_wrapperIZN2at6native12_GLOBAL__N_124unique_dim_cuda_templateIlEESt5tupleIJNSH_6TensorESM_SM_EERKSM_lbbbEUlllE0_EEPmJS6_EEE10hipError_tPvRmT3_T4_T5_T6_T7_T9_mT8_P12ihipStream_tbDpT10_ENKUlT_T0_E_clISt17integral_constantIbLb1EES1B_IbLb0EEEEDaS17_S18_EUlS17_E_NS1_11comp_targetILNS1_3genE9ELNS1_11target_archE1100ELNS1_3gpuE3ELNS1_3repE0EEENS1_30default_config_static_selectorELNS0_4arch9wavefront6targetE0EEEvT1_.num_vgpr, 0
	.set _ZN7rocprim17ROCPRIM_400000_NS6detail17trampoline_kernelINS0_14default_configENS1_25partition_config_selectorILNS1_17partition_subalgoE8ElNS0_10empty_typeEbEEZZNS1_14partition_implILS5_8ELb0ES3_jPlPS6_PKS6_NS0_5tupleIJS9_S6_EEENSD_IJSA_SA_EEENS0_18inequality_wrapperIZN2at6native12_GLOBAL__N_124unique_dim_cuda_templateIlEESt5tupleIJNSH_6TensorESM_SM_EERKSM_lbbbEUlllE0_EEPmJS6_EEE10hipError_tPvRmT3_T4_T5_T6_T7_T9_mT8_P12ihipStream_tbDpT10_ENKUlT_T0_E_clISt17integral_constantIbLb1EES1B_IbLb0EEEEDaS17_S18_EUlS17_E_NS1_11comp_targetILNS1_3genE9ELNS1_11target_archE1100ELNS1_3gpuE3ELNS1_3repE0EEENS1_30default_config_static_selectorELNS0_4arch9wavefront6targetE0EEEvT1_.num_agpr, 0
	.set _ZN7rocprim17ROCPRIM_400000_NS6detail17trampoline_kernelINS0_14default_configENS1_25partition_config_selectorILNS1_17partition_subalgoE8ElNS0_10empty_typeEbEEZZNS1_14partition_implILS5_8ELb0ES3_jPlPS6_PKS6_NS0_5tupleIJS9_S6_EEENSD_IJSA_SA_EEENS0_18inequality_wrapperIZN2at6native12_GLOBAL__N_124unique_dim_cuda_templateIlEESt5tupleIJNSH_6TensorESM_SM_EERKSM_lbbbEUlllE0_EEPmJS6_EEE10hipError_tPvRmT3_T4_T5_T6_T7_T9_mT8_P12ihipStream_tbDpT10_ENKUlT_T0_E_clISt17integral_constantIbLb1EES1B_IbLb0EEEEDaS17_S18_EUlS17_E_NS1_11comp_targetILNS1_3genE9ELNS1_11target_archE1100ELNS1_3gpuE3ELNS1_3repE0EEENS1_30default_config_static_selectorELNS0_4arch9wavefront6targetE0EEEvT1_.numbered_sgpr, 0
	.set _ZN7rocprim17ROCPRIM_400000_NS6detail17trampoline_kernelINS0_14default_configENS1_25partition_config_selectorILNS1_17partition_subalgoE8ElNS0_10empty_typeEbEEZZNS1_14partition_implILS5_8ELb0ES3_jPlPS6_PKS6_NS0_5tupleIJS9_S6_EEENSD_IJSA_SA_EEENS0_18inequality_wrapperIZN2at6native12_GLOBAL__N_124unique_dim_cuda_templateIlEESt5tupleIJNSH_6TensorESM_SM_EERKSM_lbbbEUlllE0_EEPmJS6_EEE10hipError_tPvRmT3_T4_T5_T6_T7_T9_mT8_P12ihipStream_tbDpT10_ENKUlT_T0_E_clISt17integral_constantIbLb1EES1B_IbLb0EEEEDaS17_S18_EUlS17_E_NS1_11comp_targetILNS1_3genE9ELNS1_11target_archE1100ELNS1_3gpuE3ELNS1_3repE0EEENS1_30default_config_static_selectorELNS0_4arch9wavefront6targetE0EEEvT1_.num_named_barrier, 0
	.set _ZN7rocprim17ROCPRIM_400000_NS6detail17trampoline_kernelINS0_14default_configENS1_25partition_config_selectorILNS1_17partition_subalgoE8ElNS0_10empty_typeEbEEZZNS1_14partition_implILS5_8ELb0ES3_jPlPS6_PKS6_NS0_5tupleIJS9_S6_EEENSD_IJSA_SA_EEENS0_18inequality_wrapperIZN2at6native12_GLOBAL__N_124unique_dim_cuda_templateIlEESt5tupleIJNSH_6TensorESM_SM_EERKSM_lbbbEUlllE0_EEPmJS6_EEE10hipError_tPvRmT3_T4_T5_T6_T7_T9_mT8_P12ihipStream_tbDpT10_ENKUlT_T0_E_clISt17integral_constantIbLb1EES1B_IbLb0EEEEDaS17_S18_EUlS17_E_NS1_11comp_targetILNS1_3genE9ELNS1_11target_archE1100ELNS1_3gpuE3ELNS1_3repE0EEENS1_30default_config_static_selectorELNS0_4arch9wavefront6targetE0EEEvT1_.private_seg_size, 0
	.set _ZN7rocprim17ROCPRIM_400000_NS6detail17trampoline_kernelINS0_14default_configENS1_25partition_config_selectorILNS1_17partition_subalgoE8ElNS0_10empty_typeEbEEZZNS1_14partition_implILS5_8ELb0ES3_jPlPS6_PKS6_NS0_5tupleIJS9_S6_EEENSD_IJSA_SA_EEENS0_18inequality_wrapperIZN2at6native12_GLOBAL__N_124unique_dim_cuda_templateIlEESt5tupleIJNSH_6TensorESM_SM_EERKSM_lbbbEUlllE0_EEPmJS6_EEE10hipError_tPvRmT3_T4_T5_T6_T7_T9_mT8_P12ihipStream_tbDpT10_ENKUlT_T0_E_clISt17integral_constantIbLb1EES1B_IbLb0EEEEDaS17_S18_EUlS17_E_NS1_11comp_targetILNS1_3genE9ELNS1_11target_archE1100ELNS1_3gpuE3ELNS1_3repE0EEENS1_30default_config_static_selectorELNS0_4arch9wavefront6targetE0EEEvT1_.uses_vcc, 0
	.set _ZN7rocprim17ROCPRIM_400000_NS6detail17trampoline_kernelINS0_14default_configENS1_25partition_config_selectorILNS1_17partition_subalgoE8ElNS0_10empty_typeEbEEZZNS1_14partition_implILS5_8ELb0ES3_jPlPS6_PKS6_NS0_5tupleIJS9_S6_EEENSD_IJSA_SA_EEENS0_18inequality_wrapperIZN2at6native12_GLOBAL__N_124unique_dim_cuda_templateIlEESt5tupleIJNSH_6TensorESM_SM_EERKSM_lbbbEUlllE0_EEPmJS6_EEE10hipError_tPvRmT3_T4_T5_T6_T7_T9_mT8_P12ihipStream_tbDpT10_ENKUlT_T0_E_clISt17integral_constantIbLb1EES1B_IbLb0EEEEDaS17_S18_EUlS17_E_NS1_11comp_targetILNS1_3genE9ELNS1_11target_archE1100ELNS1_3gpuE3ELNS1_3repE0EEENS1_30default_config_static_selectorELNS0_4arch9wavefront6targetE0EEEvT1_.uses_flat_scratch, 0
	.set _ZN7rocprim17ROCPRIM_400000_NS6detail17trampoline_kernelINS0_14default_configENS1_25partition_config_selectorILNS1_17partition_subalgoE8ElNS0_10empty_typeEbEEZZNS1_14partition_implILS5_8ELb0ES3_jPlPS6_PKS6_NS0_5tupleIJS9_S6_EEENSD_IJSA_SA_EEENS0_18inequality_wrapperIZN2at6native12_GLOBAL__N_124unique_dim_cuda_templateIlEESt5tupleIJNSH_6TensorESM_SM_EERKSM_lbbbEUlllE0_EEPmJS6_EEE10hipError_tPvRmT3_T4_T5_T6_T7_T9_mT8_P12ihipStream_tbDpT10_ENKUlT_T0_E_clISt17integral_constantIbLb1EES1B_IbLb0EEEEDaS17_S18_EUlS17_E_NS1_11comp_targetILNS1_3genE9ELNS1_11target_archE1100ELNS1_3gpuE3ELNS1_3repE0EEENS1_30default_config_static_selectorELNS0_4arch9wavefront6targetE0EEEvT1_.has_dyn_sized_stack, 0
	.set _ZN7rocprim17ROCPRIM_400000_NS6detail17trampoline_kernelINS0_14default_configENS1_25partition_config_selectorILNS1_17partition_subalgoE8ElNS0_10empty_typeEbEEZZNS1_14partition_implILS5_8ELb0ES3_jPlPS6_PKS6_NS0_5tupleIJS9_S6_EEENSD_IJSA_SA_EEENS0_18inequality_wrapperIZN2at6native12_GLOBAL__N_124unique_dim_cuda_templateIlEESt5tupleIJNSH_6TensorESM_SM_EERKSM_lbbbEUlllE0_EEPmJS6_EEE10hipError_tPvRmT3_T4_T5_T6_T7_T9_mT8_P12ihipStream_tbDpT10_ENKUlT_T0_E_clISt17integral_constantIbLb1EES1B_IbLb0EEEEDaS17_S18_EUlS17_E_NS1_11comp_targetILNS1_3genE9ELNS1_11target_archE1100ELNS1_3gpuE3ELNS1_3repE0EEENS1_30default_config_static_selectorELNS0_4arch9wavefront6targetE0EEEvT1_.has_recursion, 0
	.set _ZN7rocprim17ROCPRIM_400000_NS6detail17trampoline_kernelINS0_14default_configENS1_25partition_config_selectorILNS1_17partition_subalgoE8ElNS0_10empty_typeEbEEZZNS1_14partition_implILS5_8ELb0ES3_jPlPS6_PKS6_NS0_5tupleIJS9_S6_EEENSD_IJSA_SA_EEENS0_18inequality_wrapperIZN2at6native12_GLOBAL__N_124unique_dim_cuda_templateIlEESt5tupleIJNSH_6TensorESM_SM_EERKSM_lbbbEUlllE0_EEPmJS6_EEE10hipError_tPvRmT3_T4_T5_T6_T7_T9_mT8_P12ihipStream_tbDpT10_ENKUlT_T0_E_clISt17integral_constantIbLb1EES1B_IbLb0EEEEDaS17_S18_EUlS17_E_NS1_11comp_targetILNS1_3genE9ELNS1_11target_archE1100ELNS1_3gpuE3ELNS1_3repE0EEENS1_30default_config_static_selectorELNS0_4arch9wavefront6targetE0EEEvT1_.has_indirect_call, 0
	.section	.AMDGPU.csdata,"",@progbits
; Kernel info:
; codeLenInByte = 0
; TotalNumSgprs: 0
; NumVgprs: 0
; ScratchSize: 0
; MemoryBound: 0
; FloatMode: 240
; IeeeMode: 1
; LDSByteSize: 0 bytes/workgroup (compile time only)
; SGPRBlocks: 0
; VGPRBlocks: 0
; NumSGPRsForWavesPerEU: 1
; NumVGPRsForWavesPerEU: 1
; NamedBarCnt: 0
; Occupancy: 16
; WaveLimiterHint : 0
; COMPUTE_PGM_RSRC2:SCRATCH_EN: 0
; COMPUTE_PGM_RSRC2:USER_SGPR: 2
; COMPUTE_PGM_RSRC2:TRAP_HANDLER: 0
; COMPUTE_PGM_RSRC2:TGID_X_EN: 1
; COMPUTE_PGM_RSRC2:TGID_Y_EN: 0
; COMPUTE_PGM_RSRC2:TGID_Z_EN: 0
; COMPUTE_PGM_RSRC2:TIDIG_COMP_CNT: 0
	.section	.text._ZN7rocprim17ROCPRIM_400000_NS6detail17trampoline_kernelINS0_14default_configENS1_25partition_config_selectorILNS1_17partition_subalgoE8ElNS0_10empty_typeEbEEZZNS1_14partition_implILS5_8ELb0ES3_jPlPS6_PKS6_NS0_5tupleIJS9_S6_EEENSD_IJSA_SA_EEENS0_18inequality_wrapperIZN2at6native12_GLOBAL__N_124unique_dim_cuda_templateIlEESt5tupleIJNSH_6TensorESM_SM_EERKSM_lbbbEUlllE0_EEPmJS6_EEE10hipError_tPvRmT3_T4_T5_T6_T7_T9_mT8_P12ihipStream_tbDpT10_ENKUlT_T0_E_clISt17integral_constantIbLb1EES1B_IbLb0EEEEDaS17_S18_EUlS17_E_NS1_11comp_targetILNS1_3genE8ELNS1_11target_archE1030ELNS1_3gpuE2ELNS1_3repE0EEENS1_30default_config_static_selectorELNS0_4arch9wavefront6targetE0EEEvT1_,"axG",@progbits,_ZN7rocprim17ROCPRIM_400000_NS6detail17trampoline_kernelINS0_14default_configENS1_25partition_config_selectorILNS1_17partition_subalgoE8ElNS0_10empty_typeEbEEZZNS1_14partition_implILS5_8ELb0ES3_jPlPS6_PKS6_NS0_5tupleIJS9_S6_EEENSD_IJSA_SA_EEENS0_18inequality_wrapperIZN2at6native12_GLOBAL__N_124unique_dim_cuda_templateIlEESt5tupleIJNSH_6TensorESM_SM_EERKSM_lbbbEUlllE0_EEPmJS6_EEE10hipError_tPvRmT3_T4_T5_T6_T7_T9_mT8_P12ihipStream_tbDpT10_ENKUlT_T0_E_clISt17integral_constantIbLb1EES1B_IbLb0EEEEDaS17_S18_EUlS17_E_NS1_11comp_targetILNS1_3genE8ELNS1_11target_archE1030ELNS1_3gpuE2ELNS1_3repE0EEENS1_30default_config_static_selectorELNS0_4arch9wavefront6targetE0EEEvT1_,comdat
	.globl	_ZN7rocprim17ROCPRIM_400000_NS6detail17trampoline_kernelINS0_14default_configENS1_25partition_config_selectorILNS1_17partition_subalgoE8ElNS0_10empty_typeEbEEZZNS1_14partition_implILS5_8ELb0ES3_jPlPS6_PKS6_NS0_5tupleIJS9_S6_EEENSD_IJSA_SA_EEENS0_18inequality_wrapperIZN2at6native12_GLOBAL__N_124unique_dim_cuda_templateIlEESt5tupleIJNSH_6TensorESM_SM_EERKSM_lbbbEUlllE0_EEPmJS6_EEE10hipError_tPvRmT3_T4_T5_T6_T7_T9_mT8_P12ihipStream_tbDpT10_ENKUlT_T0_E_clISt17integral_constantIbLb1EES1B_IbLb0EEEEDaS17_S18_EUlS17_E_NS1_11comp_targetILNS1_3genE8ELNS1_11target_archE1030ELNS1_3gpuE2ELNS1_3repE0EEENS1_30default_config_static_selectorELNS0_4arch9wavefront6targetE0EEEvT1_ ; -- Begin function _ZN7rocprim17ROCPRIM_400000_NS6detail17trampoline_kernelINS0_14default_configENS1_25partition_config_selectorILNS1_17partition_subalgoE8ElNS0_10empty_typeEbEEZZNS1_14partition_implILS5_8ELb0ES3_jPlPS6_PKS6_NS0_5tupleIJS9_S6_EEENSD_IJSA_SA_EEENS0_18inequality_wrapperIZN2at6native12_GLOBAL__N_124unique_dim_cuda_templateIlEESt5tupleIJNSH_6TensorESM_SM_EERKSM_lbbbEUlllE0_EEPmJS6_EEE10hipError_tPvRmT3_T4_T5_T6_T7_T9_mT8_P12ihipStream_tbDpT10_ENKUlT_T0_E_clISt17integral_constantIbLb1EES1B_IbLb0EEEEDaS17_S18_EUlS17_E_NS1_11comp_targetILNS1_3genE8ELNS1_11target_archE1030ELNS1_3gpuE2ELNS1_3repE0EEENS1_30default_config_static_selectorELNS0_4arch9wavefront6targetE0EEEvT1_
	.p2align	8
	.type	_ZN7rocprim17ROCPRIM_400000_NS6detail17trampoline_kernelINS0_14default_configENS1_25partition_config_selectorILNS1_17partition_subalgoE8ElNS0_10empty_typeEbEEZZNS1_14partition_implILS5_8ELb0ES3_jPlPS6_PKS6_NS0_5tupleIJS9_S6_EEENSD_IJSA_SA_EEENS0_18inequality_wrapperIZN2at6native12_GLOBAL__N_124unique_dim_cuda_templateIlEESt5tupleIJNSH_6TensorESM_SM_EERKSM_lbbbEUlllE0_EEPmJS6_EEE10hipError_tPvRmT3_T4_T5_T6_T7_T9_mT8_P12ihipStream_tbDpT10_ENKUlT_T0_E_clISt17integral_constantIbLb1EES1B_IbLb0EEEEDaS17_S18_EUlS17_E_NS1_11comp_targetILNS1_3genE8ELNS1_11target_archE1030ELNS1_3gpuE2ELNS1_3repE0EEENS1_30default_config_static_selectorELNS0_4arch9wavefront6targetE0EEEvT1_,@function
_ZN7rocprim17ROCPRIM_400000_NS6detail17trampoline_kernelINS0_14default_configENS1_25partition_config_selectorILNS1_17partition_subalgoE8ElNS0_10empty_typeEbEEZZNS1_14partition_implILS5_8ELb0ES3_jPlPS6_PKS6_NS0_5tupleIJS9_S6_EEENSD_IJSA_SA_EEENS0_18inequality_wrapperIZN2at6native12_GLOBAL__N_124unique_dim_cuda_templateIlEESt5tupleIJNSH_6TensorESM_SM_EERKSM_lbbbEUlllE0_EEPmJS6_EEE10hipError_tPvRmT3_T4_T5_T6_T7_T9_mT8_P12ihipStream_tbDpT10_ENKUlT_T0_E_clISt17integral_constantIbLb1EES1B_IbLb0EEEEDaS17_S18_EUlS17_E_NS1_11comp_targetILNS1_3genE8ELNS1_11target_archE1030ELNS1_3gpuE2ELNS1_3repE0EEENS1_30default_config_static_selectorELNS0_4arch9wavefront6targetE0EEEvT1_: ; @_ZN7rocprim17ROCPRIM_400000_NS6detail17trampoline_kernelINS0_14default_configENS1_25partition_config_selectorILNS1_17partition_subalgoE8ElNS0_10empty_typeEbEEZZNS1_14partition_implILS5_8ELb0ES3_jPlPS6_PKS6_NS0_5tupleIJS9_S6_EEENSD_IJSA_SA_EEENS0_18inequality_wrapperIZN2at6native12_GLOBAL__N_124unique_dim_cuda_templateIlEESt5tupleIJNSH_6TensorESM_SM_EERKSM_lbbbEUlllE0_EEPmJS6_EEE10hipError_tPvRmT3_T4_T5_T6_T7_T9_mT8_P12ihipStream_tbDpT10_ENKUlT_T0_E_clISt17integral_constantIbLb1EES1B_IbLb0EEEEDaS17_S18_EUlS17_E_NS1_11comp_targetILNS1_3genE8ELNS1_11target_archE1030ELNS1_3gpuE2ELNS1_3repE0EEENS1_30default_config_static_selectorELNS0_4arch9wavefront6targetE0EEEvT1_
; %bb.0:
	.section	.rodata,"a",@progbits
	.p2align	6, 0x0
	.amdhsa_kernel _ZN7rocprim17ROCPRIM_400000_NS6detail17trampoline_kernelINS0_14default_configENS1_25partition_config_selectorILNS1_17partition_subalgoE8ElNS0_10empty_typeEbEEZZNS1_14partition_implILS5_8ELb0ES3_jPlPS6_PKS6_NS0_5tupleIJS9_S6_EEENSD_IJSA_SA_EEENS0_18inequality_wrapperIZN2at6native12_GLOBAL__N_124unique_dim_cuda_templateIlEESt5tupleIJNSH_6TensorESM_SM_EERKSM_lbbbEUlllE0_EEPmJS6_EEE10hipError_tPvRmT3_T4_T5_T6_T7_T9_mT8_P12ihipStream_tbDpT10_ENKUlT_T0_E_clISt17integral_constantIbLb1EES1B_IbLb0EEEEDaS17_S18_EUlS17_E_NS1_11comp_targetILNS1_3genE8ELNS1_11target_archE1030ELNS1_3gpuE2ELNS1_3repE0EEENS1_30default_config_static_selectorELNS0_4arch9wavefront6targetE0EEEvT1_
		.amdhsa_group_segment_fixed_size 0
		.amdhsa_private_segment_fixed_size 0
		.amdhsa_kernarg_size 120
		.amdhsa_user_sgpr_count 2
		.amdhsa_user_sgpr_dispatch_ptr 0
		.amdhsa_user_sgpr_queue_ptr 0
		.amdhsa_user_sgpr_kernarg_segment_ptr 1
		.amdhsa_user_sgpr_dispatch_id 0
		.amdhsa_user_sgpr_kernarg_preload_length 0
		.amdhsa_user_sgpr_kernarg_preload_offset 0
		.amdhsa_user_sgpr_private_segment_size 0
		.amdhsa_wavefront_size32 1
		.amdhsa_uses_dynamic_stack 0
		.amdhsa_enable_private_segment 0
		.amdhsa_system_sgpr_workgroup_id_x 1
		.amdhsa_system_sgpr_workgroup_id_y 0
		.amdhsa_system_sgpr_workgroup_id_z 0
		.amdhsa_system_sgpr_workgroup_info 0
		.amdhsa_system_vgpr_workitem_id 0
		.amdhsa_next_free_vgpr 1
		.amdhsa_next_free_sgpr 1
		.amdhsa_named_barrier_count 0
		.amdhsa_reserve_vcc 0
		.amdhsa_float_round_mode_32 0
		.amdhsa_float_round_mode_16_64 0
		.amdhsa_float_denorm_mode_32 3
		.amdhsa_float_denorm_mode_16_64 3
		.amdhsa_fp16_overflow 0
		.amdhsa_memory_ordered 1
		.amdhsa_forward_progress 1
		.amdhsa_inst_pref_size 0
		.amdhsa_round_robin_scheduling 0
		.amdhsa_exception_fp_ieee_invalid_op 0
		.amdhsa_exception_fp_denorm_src 0
		.amdhsa_exception_fp_ieee_div_zero 0
		.amdhsa_exception_fp_ieee_overflow 0
		.amdhsa_exception_fp_ieee_underflow 0
		.amdhsa_exception_fp_ieee_inexact 0
		.amdhsa_exception_int_div_zero 0
	.end_amdhsa_kernel
	.section	.text._ZN7rocprim17ROCPRIM_400000_NS6detail17trampoline_kernelINS0_14default_configENS1_25partition_config_selectorILNS1_17partition_subalgoE8ElNS0_10empty_typeEbEEZZNS1_14partition_implILS5_8ELb0ES3_jPlPS6_PKS6_NS0_5tupleIJS9_S6_EEENSD_IJSA_SA_EEENS0_18inequality_wrapperIZN2at6native12_GLOBAL__N_124unique_dim_cuda_templateIlEESt5tupleIJNSH_6TensorESM_SM_EERKSM_lbbbEUlllE0_EEPmJS6_EEE10hipError_tPvRmT3_T4_T5_T6_T7_T9_mT8_P12ihipStream_tbDpT10_ENKUlT_T0_E_clISt17integral_constantIbLb1EES1B_IbLb0EEEEDaS17_S18_EUlS17_E_NS1_11comp_targetILNS1_3genE8ELNS1_11target_archE1030ELNS1_3gpuE2ELNS1_3repE0EEENS1_30default_config_static_selectorELNS0_4arch9wavefront6targetE0EEEvT1_,"axG",@progbits,_ZN7rocprim17ROCPRIM_400000_NS6detail17trampoline_kernelINS0_14default_configENS1_25partition_config_selectorILNS1_17partition_subalgoE8ElNS0_10empty_typeEbEEZZNS1_14partition_implILS5_8ELb0ES3_jPlPS6_PKS6_NS0_5tupleIJS9_S6_EEENSD_IJSA_SA_EEENS0_18inequality_wrapperIZN2at6native12_GLOBAL__N_124unique_dim_cuda_templateIlEESt5tupleIJNSH_6TensorESM_SM_EERKSM_lbbbEUlllE0_EEPmJS6_EEE10hipError_tPvRmT3_T4_T5_T6_T7_T9_mT8_P12ihipStream_tbDpT10_ENKUlT_T0_E_clISt17integral_constantIbLb1EES1B_IbLb0EEEEDaS17_S18_EUlS17_E_NS1_11comp_targetILNS1_3genE8ELNS1_11target_archE1030ELNS1_3gpuE2ELNS1_3repE0EEENS1_30default_config_static_selectorELNS0_4arch9wavefront6targetE0EEEvT1_,comdat
.Lfunc_end586:
	.size	_ZN7rocprim17ROCPRIM_400000_NS6detail17trampoline_kernelINS0_14default_configENS1_25partition_config_selectorILNS1_17partition_subalgoE8ElNS0_10empty_typeEbEEZZNS1_14partition_implILS5_8ELb0ES3_jPlPS6_PKS6_NS0_5tupleIJS9_S6_EEENSD_IJSA_SA_EEENS0_18inequality_wrapperIZN2at6native12_GLOBAL__N_124unique_dim_cuda_templateIlEESt5tupleIJNSH_6TensorESM_SM_EERKSM_lbbbEUlllE0_EEPmJS6_EEE10hipError_tPvRmT3_T4_T5_T6_T7_T9_mT8_P12ihipStream_tbDpT10_ENKUlT_T0_E_clISt17integral_constantIbLb1EES1B_IbLb0EEEEDaS17_S18_EUlS17_E_NS1_11comp_targetILNS1_3genE8ELNS1_11target_archE1030ELNS1_3gpuE2ELNS1_3repE0EEENS1_30default_config_static_selectorELNS0_4arch9wavefront6targetE0EEEvT1_, .Lfunc_end586-_ZN7rocprim17ROCPRIM_400000_NS6detail17trampoline_kernelINS0_14default_configENS1_25partition_config_selectorILNS1_17partition_subalgoE8ElNS0_10empty_typeEbEEZZNS1_14partition_implILS5_8ELb0ES3_jPlPS6_PKS6_NS0_5tupleIJS9_S6_EEENSD_IJSA_SA_EEENS0_18inequality_wrapperIZN2at6native12_GLOBAL__N_124unique_dim_cuda_templateIlEESt5tupleIJNSH_6TensorESM_SM_EERKSM_lbbbEUlllE0_EEPmJS6_EEE10hipError_tPvRmT3_T4_T5_T6_T7_T9_mT8_P12ihipStream_tbDpT10_ENKUlT_T0_E_clISt17integral_constantIbLb1EES1B_IbLb0EEEEDaS17_S18_EUlS17_E_NS1_11comp_targetILNS1_3genE8ELNS1_11target_archE1030ELNS1_3gpuE2ELNS1_3repE0EEENS1_30default_config_static_selectorELNS0_4arch9wavefront6targetE0EEEvT1_
                                        ; -- End function
	.set _ZN7rocprim17ROCPRIM_400000_NS6detail17trampoline_kernelINS0_14default_configENS1_25partition_config_selectorILNS1_17partition_subalgoE8ElNS0_10empty_typeEbEEZZNS1_14partition_implILS5_8ELb0ES3_jPlPS6_PKS6_NS0_5tupleIJS9_S6_EEENSD_IJSA_SA_EEENS0_18inequality_wrapperIZN2at6native12_GLOBAL__N_124unique_dim_cuda_templateIlEESt5tupleIJNSH_6TensorESM_SM_EERKSM_lbbbEUlllE0_EEPmJS6_EEE10hipError_tPvRmT3_T4_T5_T6_T7_T9_mT8_P12ihipStream_tbDpT10_ENKUlT_T0_E_clISt17integral_constantIbLb1EES1B_IbLb0EEEEDaS17_S18_EUlS17_E_NS1_11comp_targetILNS1_3genE8ELNS1_11target_archE1030ELNS1_3gpuE2ELNS1_3repE0EEENS1_30default_config_static_selectorELNS0_4arch9wavefront6targetE0EEEvT1_.num_vgpr, 0
	.set _ZN7rocprim17ROCPRIM_400000_NS6detail17trampoline_kernelINS0_14default_configENS1_25partition_config_selectorILNS1_17partition_subalgoE8ElNS0_10empty_typeEbEEZZNS1_14partition_implILS5_8ELb0ES3_jPlPS6_PKS6_NS0_5tupleIJS9_S6_EEENSD_IJSA_SA_EEENS0_18inequality_wrapperIZN2at6native12_GLOBAL__N_124unique_dim_cuda_templateIlEESt5tupleIJNSH_6TensorESM_SM_EERKSM_lbbbEUlllE0_EEPmJS6_EEE10hipError_tPvRmT3_T4_T5_T6_T7_T9_mT8_P12ihipStream_tbDpT10_ENKUlT_T0_E_clISt17integral_constantIbLb1EES1B_IbLb0EEEEDaS17_S18_EUlS17_E_NS1_11comp_targetILNS1_3genE8ELNS1_11target_archE1030ELNS1_3gpuE2ELNS1_3repE0EEENS1_30default_config_static_selectorELNS0_4arch9wavefront6targetE0EEEvT1_.num_agpr, 0
	.set _ZN7rocprim17ROCPRIM_400000_NS6detail17trampoline_kernelINS0_14default_configENS1_25partition_config_selectorILNS1_17partition_subalgoE8ElNS0_10empty_typeEbEEZZNS1_14partition_implILS5_8ELb0ES3_jPlPS6_PKS6_NS0_5tupleIJS9_S6_EEENSD_IJSA_SA_EEENS0_18inequality_wrapperIZN2at6native12_GLOBAL__N_124unique_dim_cuda_templateIlEESt5tupleIJNSH_6TensorESM_SM_EERKSM_lbbbEUlllE0_EEPmJS6_EEE10hipError_tPvRmT3_T4_T5_T6_T7_T9_mT8_P12ihipStream_tbDpT10_ENKUlT_T0_E_clISt17integral_constantIbLb1EES1B_IbLb0EEEEDaS17_S18_EUlS17_E_NS1_11comp_targetILNS1_3genE8ELNS1_11target_archE1030ELNS1_3gpuE2ELNS1_3repE0EEENS1_30default_config_static_selectorELNS0_4arch9wavefront6targetE0EEEvT1_.numbered_sgpr, 0
	.set _ZN7rocprim17ROCPRIM_400000_NS6detail17trampoline_kernelINS0_14default_configENS1_25partition_config_selectorILNS1_17partition_subalgoE8ElNS0_10empty_typeEbEEZZNS1_14partition_implILS5_8ELb0ES3_jPlPS6_PKS6_NS0_5tupleIJS9_S6_EEENSD_IJSA_SA_EEENS0_18inequality_wrapperIZN2at6native12_GLOBAL__N_124unique_dim_cuda_templateIlEESt5tupleIJNSH_6TensorESM_SM_EERKSM_lbbbEUlllE0_EEPmJS6_EEE10hipError_tPvRmT3_T4_T5_T6_T7_T9_mT8_P12ihipStream_tbDpT10_ENKUlT_T0_E_clISt17integral_constantIbLb1EES1B_IbLb0EEEEDaS17_S18_EUlS17_E_NS1_11comp_targetILNS1_3genE8ELNS1_11target_archE1030ELNS1_3gpuE2ELNS1_3repE0EEENS1_30default_config_static_selectorELNS0_4arch9wavefront6targetE0EEEvT1_.num_named_barrier, 0
	.set _ZN7rocprim17ROCPRIM_400000_NS6detail17trampoline_kernelINS0_14default_configENS1_25partition_config_selectorILNS1_17partition_subalgoE8ElNS0_10empty_typeEbEEZZNS1_14partition_implILS5_8ELb0ES3_jPlPS6_PKS6_NS0_5tupleIJS9_S6_EEENSD_IJSA_SA_EEENS0_18inequality_wrapperIZN2at6native12_GLOBAL__N_124unique_dim_cuda_templateIlEESt5tupleIJNSH_6TensorESM_SM_EERKSM_lbbbEUlllE0_EEPmJS6_EEE10hipError_tPvRmT3_T4_T5_T6_T7_T9_mT8_P12ihipStream_tbDpT10_ENKUlT_T0_E_clISt17integral_constantIbLb1EES1B_IbLb0EEEEDaS17_S18_EUlS17_E_NS1_11comp_targetILNS1_3genE8ELNS1_11target_archE1030ELNS1_3gpuE2ELNS1_3repE0EEENS1_30default_config_static_selectorELNS0_4arch9wavefront6targetE0EEEvT1_.private_seg_size, 0
	.set _ZN7rocprim17ROCPRIM_400000_NS6detail17trampoline_kernelINS0_14default_configENS1_25partition_config_selectorILNS1_17partition_subalgoE8ElNS0_10empty_typeEbEEZZNS1_14partition_implILS5_8ELb0ES3_jPlPS6_PKS6_NS0_5tupleIJS9_S6_EEENSD_IJSA_SA_EEENS0_18inequality_wrapperIZN2at6native12_GLOBAL__N_124unique_dim_cuda_templateIlEESt5tupleIJNSH_6TensorESM_SM_EERKSM_lbbbEUlllE0_EEPmJS6_EEE10hipError_tPvRmT3_T4_T5_T6_T7_T9_mT8_P12ihipStream_tbDpT10_ENKUlT_T0_E_clISt17integral_constantIbLb1EES1B_IbLb0EEEEDaS17_S18_EUlS17_E_NS1_11comp_targetILNS1_3genE8ELNS1_11target_archE1030ELNS1_3gpuE2ELNS1_3repE0EEENS1_30default_config_static_selectorELNS0_4arch9wavefront6targetE0EEEvT1_.uses_vcc, 0
	.set _ZN7rocprim17ROCPRIM_400000_NS6detail17trampoline_kernelINS0_14default_configENS1_25partition_config_selectorILNS1_17partition_subalgoE8ElNS0_10empty_typeEbEEZZNS1_14partition_implILS5_8ELb0ES3_jPlPS6_PKS6_NS0_5tupleIJS9_S6_EEENSD_IJSA_SA_EEENS0_18inequality_wrapperIZN2at6native12_GLOBAL__N_124unique_dim_cuda_templateIlEESt5tupleIJNSH_6TensorESM_SM_EERKSM_lbbbEUlllE0_EEPmJS6_EEE10hipError_tPvRmT3_T4_T5_T6_T7_T9_mT8_P12ihipStream_tbDpT10_ENKUlT_T0_E_clISt17integral_constantIbLb1EES1B_IbLb0EEEEDaS17_S18_EUlS17_E_NS1_11comp_targetILNS1_3genE8ELNS1_11target_archE1030ELNS1_3gpuE2ELNS1_3repE0EEENS1_30default_config_static_selectorELNS0_4arch9wavefront6targetE0EEEvT1_.uses_flat_scratch, 0
	.set _ZN7rocprim17ROCPRIM_400000_NS6detail17trampoline_kernelINS0_14default_configENS1_25partition_config_selectorILNS1_17partition_subalgoE8ElNS0_10empty_typeEbEEZZNS1_14partition_implILS5_8ELb0ES3_jPlPS6_PKS6_NS0_5tupleIJS9_S6_EEENSD_IJSA_SA_EEENS0_18inequality_wrapperIZN2at6native12_GLOBAL__N_124unique_dim_cuda_templateIlEESt5tupleIJNSH_6TensorESM_SM_EERKSM_lbbbEUlllE0_EEPmJS6_EEE10hipError_tPvRmT3_T4_T5_T6_T7_T9_mT8_P12ihipStream_tbDpT10_ENKUlT_T0_E_clISt17integral_constantIbLb1EES1B_IbLb0EEEEDaS17_S18_EUlS17_E_NS1_11comp_targetILNS1_3genE8ELNS1_11target_archE1030ELNS1_3gpuE2ELNS1_3repE0EEENS1_30default_config_static_selectorELNS0_4arch9wavefront6targetE0EEEvT1_.has_dyn_sized_stack, 0
	.set _ZN7rocprim17ROCPRIM_400000_NS6detail17trampoline_kernelINS0_14default_configENS1_25partition_config_selectorILNS1_17partition_subalgoE8ElNS0_10empty_typeEbEEZZNS1_14partition_implILS5_8ELb0ES3_jPlPS6_PKS6_NS0_5tupleIJS9_S6_EEENSD_IJSA_SA_EEENS0_18inequality_wrapperIZN2at6native12_GLOBAL__N_124unique_dim_cuda_templateIlEESt5tupleIJNSH_6TensorESM_SM_EERKSM_lbbbEUlllE0_EEPmJS6_EEE10hipError_tPvRmT3_T4_T5_T6_T7_T9_mT8_P12ihipStream_tbDpT10_ENKUlT_T0_E_clISt17integral_constantIbLb1EES1B_IbLb0EEEEDaS17_S18_EUlS17_E_NS1_11comp_targetILNS1_3genE8ELNS1_11target_archE1030ELNS1_3gpuE2ELNS1_3repE0EEENS1_30default_config_static_selectorELNS0_4arch9wavefront6targetE0EEEvT1_.has_recursion, 0
	.set _ZN7rocprim17ROCPRIM_400000_NS6detail17trampoline_kernelINS0_14default_configENS1_25partition_config_selectorILNS1_17partition_subalgoE8ElNS0_10empty_typeEbEEZZNS1_14partition_implILS5_8ELb0ES3_jPlPS6_PKS6_NS0_5tupleIJS9_S6_EEENSD_IJSA_SA_EEENS0_18inequality_wrapperIZN2at6native12_GLOBAL__N_124unique_dim_cuda_templateIlEESt5tupleIJNSH_6TensorESM_SM_EERKSM_lbbbEUlllE0_EEPmJS6_EEE10hipError_tPvRmT3_T4_T5_T6_T7_T9_mT8_P12ihipStream_tbDpT10_ENKUlT_T0_E_clISt17integral_constantIbLb1EES1B_IbLb0EEEEDaS17_S18_EUlS17_E_NS1_11comp_targetILNS1_3genE8ELNS1_11target_archE1030ELNS1_3gpuE2ELNS1_3repE0EEENS1_30default_config_static_selectorELNS0_4arch9wavefront6targetE0EEEvT1_.has_indirect_call, 0
	.section	.AMDGPU.csdata,"",@progbits
; Kernel info:
; codeLenInByte = 0
; TotalNumSgprs: 0
; NumVgprs: 0
; ScratchSize: 0
; MemoryBound: 0
; FloatMode: 240
; IeeeMode: 1
; LDSByteSize: 0 bytes/workgroup (compile time only)
; SGPRBlocks: 0
; VGPRBlocks: 0
; NumSGPRsForWavesPerEU: 1
; NumVGPRsForWavesPerEU: 1
; NamedBarCnt: 0
; Occupancy: 16
; WaveLimiterHint : 0
; COMPUTE_PGM_RSRC2:SCRATCH_EN: 0
; COMPUTE_PGM_RSRC2:USER_SGPR: 2
; COMPUTE_PGM_RSRC2:TRAP_HANDLER: 0
; COMPUTE_PGM_RSRC2:TGID_X_EN: 1
; COMPUTE_PGM_RSRC2:TGID_Y_EN: 0
; COMPUTE_PGM_RSRC2:TGID_Z_EN: 0
; COMPUTE_PGM_RSRC2:TIDIG_COMP_CNT: 0
	.section	.text._ZN7rocprim17ROCPRIM_400000_NS6detail17trampoline_kernelINS0_14default_configENS1_25partition_config_selectorILNS1_17partition_subalgoE8ElNS0_10empty_typeEbEEZZNS1_14partition_implILS5_8ELb0ES3_jPlPS6_PKS6_NS0_5tupleIJS9_S6_EEENSD_IJSA_SA_EEENS0_18inequality_wrapperIZN2at6native12_GLOBAL__N_124unique_dim_cuda_templateIlEESt5tupleIJNSH_6TensorESM_SM_EERKSM_lbbbEUlllE0_EEPmJS6_EEE10hipError_tPvRmT3_T4_T5_T6_T7_T9_mT8_P12ihipStream_tbDpT10_ENKUlT_T0_E_clISt17integral_constantIbLb0EES1B_IbLb1EEEEDaS17_S18_EUlS17_E_NS1_11comp_targetILNS1_3genE0ELNS1_11target_archE4294967295ELNS1_3gpuE0ELNS1_3repE0EEENS1_30default_config_static_selectorELNS0_4arch9wavefront6targetE0EEEvT1_,"axG",@progbits,_ZN7rocprim17ROCPRIM_400000_NS6detail17trampoline_kernelINS0_14default_configENS1_25partition_config_selectorILNS1_17partition_subalgoE8ElNS0_10empty_typeEbEEZZNS1_14partition_implILS5_8ELb0ES3_jPlPS6_PKS6_NS0_5tupleIJS9_S6_EEENSD_IJSA_SA_EEENS0_18inequality_wrapperIZN2at6native12_GLOBAL__N_124unique_dim_cuda_templateIlEESt5tupleIJNSH_6TensorESM_SM_EERKSM_lbbbEUlllE0_EEPmJS6_EEE10hipError_tPvRmT3_T4_T5_T6_T7_T9_mT8_P12ihipStream_tbDpT10_ENKUlT_T0_E_clISt17integral_constantIbLb0EES1B_IbLb1EEEEDaS17_S18_EUlS17_E_NS1_11comp_targetILNS1_3genE0ELNS1_11target_archE4294967295ELNS1_3gpuE0ELNS1_3repE0EEENS1_30default_config_static_selectorELNS0_4arch9wavefront6targetE0EEEvT1_,comdat
	.globl	_ZN7rocprim17ROCPRIM_400000_NS6detail17trampoline_kernelINS0_14default_configENS1_25partition_config_selectorILNS1_17partition_subalgoE8ElNS0_10empty_typeEbEEZZNS1_14partition_implILS5_8ELb0ES3_jPlPS6_PKS6_NS0_5tupleIJS9_S6_EEENSD_IJSA_SA_EEENS0_18inequality_wrapperIZN2at6native12_GLOBAL__N_124unique_dim_cuda_templateIlEESt5tupleIJNSH_6TensorESM_SM_EERKSM_lbbbEUlllE0_EEPmJS6_EEE10hipError_tPvRmT3_T4_T5_T6_T7_T9_mT8_P12ihipStream_tbDpT10_ENKUlT_T0_E_clISt17integral_constantIbLb0EES1B_IbLb1EEEEDaS17_S18_EUlS17_E_NS1_11comp_targetILNS1_3genE0ELNS1_11target_archE4294967295ELNS1_3gpuE0ELNS1_3repE0EEENS1_30default_config_static_selectorELNS0_4arch9wavefront6targetE0EEEvT1_ ; -- Begin function _ZN7rocprim17ROCPRIM_400000_NS6detail17trampoline_kernelINS0_14default_configENS1_25partition_config_selectorILNS1_17partition_subalgoE8ElNS0_10empty_typeEbEEZZNS1_14partition_implILS5_8ELb0ES3_jPlPS6_PKS6_NS0_5tupleIJS9_S6_EEENSD_IJSA_SA_EEENS0_18inequality_wrapperIZN2at6native12_GLOBAL__N_124unique_dim_cuda_templateIlEESt5tupleIJNSH_6TensorESM_SM_EERKSM_lbbbEUlllE0_EEPmJS6_EEE10hipError_tPvRmT3_T4_T5_T6_T7_T9_mT8_P12ihipStream_tbDpT10_ENKUlT_T0_E_clISt17integral_constantIbLb0EES1B_IbLb1EEEEDaS17_S18_EUlS17_E_NS1_11comp_targetILNS1_3genE0ELNS1_11target_archE4294967295ELNS1_3gpuE0ELNS1_3repE0EEENS1_30default_config_static_selectorELNS0_4arch9wavefront6targetE0EEEvT1_
	.p2align	8
	.type	_ZN7rocprim17ROCPRIM_400000_NS6detail17trampoline_kernelINS0_14default_configENS1_25partition_config_selectorILNS1_17partition_subalgoE8ElNS0_10empty_typeEbEEZZNS1_14partition_implILS5_8ELb0ES3_jPlPS6_PKS6_NS0_5tupleIJS9_S6_EEENSD_IJSA_SA_EEENS0_18inequality_wrapperIZN2at6native12_GLOBAL__N_124unique_dim_cuda_templateIlEESt5tupleIJNSH_6TensorESM_SM_EERKSM_lbbbEUlllE0_EEPmJS6_EEE10hipError_tPvRmT3_T4_T5_T6_T7_T9_mT8_P12ihipStream_tbDpT10_ENKUlT_T0_E_clISt17integral_constantIbLb0EES1B_IbLb1EEEEDaS17_S18_EUlS17_E_NS1_11comp_targetILNS1_3genE0ELNS1_11target_archE4294967295ELNS1_3gpuE0ELNS1_3repE0EEENS1_30default_config_static_selectorELNS0_4arch9wavefront6targetE0EEEvT1_,@function
_ZN7rocprim17ROCPRIM_400000_NS6detail17trampoline_kernelINS0_14default_configENS1_25partition_config_selectorILNS1_17partition_subalgoE8ElNS0_10empty_typeEbEEZZNS1_14partition_implILS5_8ELb0ES3_jPlPS6_PKS6_NS0_5tupleIJS9_S6_EEENSD_IJSA_SA_EEENS0_18inequality_wrapperIZN2at6native12_GLOBAL__N_124unique_dim_cuda_templateIlEESt5tupleIJNSH_6TensorESM_SM_EERKSM_lbbbEUlllE0_EEPmJS6_EEE10hipError_tPvRmT3_T4_T5_T6_T7_T9_mT8_P12ihipStream_tbDpT10_ENKUlT_T0_E_clISt17integral_constantIbLb0EES1B_IbLb1EEEEDaS17_S18_EUlS17_E_NS1_11comp_targetILNS1_3genE0ELNS1_11target_archE4294967295ELNS1_3gpuE0ELNS1_3repE0EEENS1_30default_config_static_selectorELNS0_4arch9wavefront6targetE0EEEvT1_: ; @_ZN7rocprim17ROCPRIM_400000_NS6detail17trampoline_kernelINS0_14default_configENS1_25partition_config_selectorILNS1_17partition_subalgoE8ElNS0_10empty_typeEbEEZZNS1_14partition_implILS5_8ELb0ES3_jPlPS6_PKS6_NS0_5tupleIJS9_S6_EEENSD_IJSA_SA_EEENS0_18inequality_wrapperIZN2at6native12_GLOBAL__N_124unique_dim_cuda_templateIlEESt5tupleIJNSH_6TensorESM_SM_EERKSM_lbbbEUlllE0_EEPmJS6_EEE10hipError_tPvRmT3_T4_T5_T6_T7_T9_mT8_P12ihipStream_tbDpT10_ENKUlT_T0_E_clISt17integral_constantIbLb0EES1B_IbLb1EEEEDaS17_S18_EUlS17_E_NS1_11comp_targetILNS1_3genE0ELNS1_11target_archE4294967295ELNS1_3gpuE0ELNS1_3repE0EEENS1_30default_config_static_selectorELNS0_4arch9wavefront6targetE0EEEvT1_
; %bb.0:
	s_clause 0x1
	s_load_b256 s[12:19], s[0:1], 0x40
	s_load_b128 s[8:11], s[0:1], 0x60
	v_cmp_ne_u32_e64 s3, 0, v0
	v_cmp_eq_u32_e64 s2, 0, v0
	s_and_saveexec_b32 s4, s2
	s_cbranch_execz .LBB587_4
; %bb.1:
	s_mov_b32 s6, exec_lo
	s_mov_b32 s5, exec_lo
	v_mbcnt_lo_u32_b32 v1, s6, 0
                                        ; implicit-def: $vgpr2
	s_delay_alu instid0(VALU_DEP_1)
	v_cmpx_eq_u32_e32 0, v1
	s_cbranch_execz .LBB587_3
; %bb.2:
	s_load_b64 s[20:21], s[0:1], 0x78
	s_bcnt1_i32_b32 s6, s6
	s_delay_alu instid0(SALU_CYCLE_1)
	v_dual_mov_b32 v2, 0 :: v_dual_mov_b32 v3, s6
	s_wait_xcnt 0x0
	s_wait_kmcnt 0x0
	global_atomic_add_u32 v2, v2, v3, s[20:21] th:TH_ATOMIC_RETURN scope:SCOPE_DEV
.LBB587_3:
	s_wait_xcnt 0x0
	s_or_b32 exec_lo, exec_lo, s5
	s_wait_loadcnt 0x0
	v_readfirstlane_b32 s5, v2
	s_delay_alu instid0(VALU_DEP_1)
	v_dual_mov_b32 v2, 0 :: v_dual_add_nc_u32 v1, s5, v1
	ds_store_b32 v2, v1
.LBB587_4:
	s_or_b32 exec_lo, exec_lo, s4
	v_dual_mov_b32 v3, 0 :: v_dual_lshlrev_b32 v18, 3, v0
	s_clause 0x2
	s_load_b128 s[4:7], s[0:1], 0x8
	s_load_b64 s[20:21], s[0:1], 0x28
	s_load_b32 s22, s[0:1], 0x70
	s_wait_dscnt 0x0
	s_barrier_signal -1
	s_barrier_wait -1
	ds_load_b32 v1, v3
	s_wait_dscnt 0x0
	s_barrier_signal -1
	s_barrier_wait -1
	s_wait_kmcnt 0x0
	global_load_b64 v[4:5], v3, s[14:15]
	s_wait_xcnt 0x0
	s_mov_b32 s15, 0
	s_lshl_b64 s[0:1], s[6:7], 3
	s_mul_i32 s14, s22, 0xe00
	s_add_co_i32 s26, s22, -1
	s_add_nc_u64 s[24:25], s[6:7], s[14:15]
	s_add_co_i32 s14, s14, s6
	v_cmp_le_u64_e64 s15, s[16:17], s[24:25]
	v_mul_lo_u32 v2, 0xe00, v1
	v_readfirstlane_b32 s22, v1
	s_sub_co_i32 s23, s16, s14
	s_add_nc_u64 s[0:1], s[4:5], s[0:1]
	s_cmp_eq_u32 s22, s26
	s_cselect_b32 s16, -1, 0
	s_delay_alu instid0(SALU_CYCLE_1) | instskip(SKIP_2) | instid1(SALU_CYCLE_1)
	s_and_b32 s24, s15, s16
	v_lshlrev_b64_e32 v[2:3], 3, v[2:3]
	s_xor_b32 s17, s24, -1
	s_and_b32 vcc_lo, exec_lo, s17
	s_delay_alu instid0(VALU_DEP_1)
	v_add_nc_u64_e32 v[20:21], s[0:1], v[2:3]
	s_mov_b32 s0, -1
	s_wait_loadcnt 0x0
	v_readfirstlane_b32 s14, v4
	v_readfirstlane_b32 s15, v5
	s_cbranch_vccz .LBB587_6
; %bb.5:
	v_readfirstlane_b32 s0, v20
	v_readfirstlane_b32 s1, v21
	v_lshlrev_b32_e32 v1, 3, v0
	s_clause 0x6
	global_load_b64 v[2:3], v0, s[0:1] scale_offset
	global_load_b64 v[4:5], v0, s[0:1] offset:4096 scale_offset
	global_load_b64 v[6:7], v0, s[0:1] offset:8192 scale_offset
	;; [unrolled: 1-line block ×6, first 2 shown]
	s_wait_xcnt 0x0
	s_mov_b32 s0, 0
	s_wait_loadcnt 0x5
	ds_store_2addr_stride64_b64 v1, v[2:3], v[4:5] offset1:8
	s_wait_loadcnt 0x3
	ds_store_2addr_stride64_b64 v1, v[6:7], v[8:9] offset0:16 offset1:24
	s_wait_loadcnt 0x1
	ds_store_2addr_stride64_b64 v1, v[10:11], v[12:13] offset0:32 offset1:40
	s_wait_loadcnt 0x0
	ds_store_b64 v1, v[14:15] offset:24576
	s_wait_dscnt 0x0
	s_barrier_signal -1
	s_barrier_wait -1
.LBB587_6:
	s_and_not1_b32 vcc_lo, exec_lo, s0
	s_addk_co_i32 s23, 0xe00
	s_cbranch_vccnz .LBB587_22
; %bb.7:
	v_mov_b32_e32 v2, 0
	s_mov_b32 s0, exec_lo
	s_delay_alu instid0(VALU_DEP_1)
	v_dual_mov_b32 v3, v2 :: v_dual_mov_b32 v4, v2
	v_dual_mov_b32 v5, v2 :: v_dual_mov_b32 v6, v2
	;; [unrolled: 1-line block ×6, first 2 shown]
	v_mov_b32_e32 v15, v2
	v_cmpx_gt_u32_e64 s23, v0
	s_cbranch_execz .LBB587_9
; %bb.8:
	v_readfirstlane_b32 s4, v20
	v_readfirstlane_b32 s5, v21
	v_dual_mov_b32 v6, v2 :: v_dual_mov_b32 v7, v2
	v_dual_mov_b32 v8, v2 :: v_dual_mov_b32 v9, v2
	global_load_b64 v[4:5], v0, s[4:5] scale_offset
	v_dual_mov_b32 v10, v2 :: v_dual_mov_b32 v11, v2
	v_dual_mov_b32 v12, v2 :: v_dual_mov_b32 v13, v2
	;; [unrolled: 1-line block ×4, first 2 shown]
	s_wait_loadcnt 0x0
	v_mov_b64_e32 v[2:3], v[4:5]
	v_mov_b64_e32 v[4:5], v[6:7]
	;; [unrolled: 1-line block ×8, first 2 shown]
.LBB587_9:
	s_or_b32 exec_lo, exec_lo, s0
	v_or_b32_e32 v1, 0x200, v0
	s_mov_b32 s0, exec_lo
	s_delay_alu instid0(VALU_DEP_1)
	v_cmpx_gt_u32_e64 s23, v1
	s_cbranch_execz .LBB587_11
; %bb.10:
	v_readfirstlane_b32 s4, v20
	v_readfirstlane_b32 s5, v21
	global_load_b64 v[4:5], v0, s[4:5] offset:4096 scale_offset
.LBB587_11:
	s_wait_xcnt 0x0
	s_or_b32 exec_lo, exec_lo, s0
	v_or_b32_e32 v1, 0x400, v0
	s_mov_b32 s0, exec_lo
	s_delay_alu instid0(VALU_DEP_1)
	v_cmpx_gt_u32_e64 s23, v1
	s_cbranch_execz .LBB587_13
; %bb.12:
	v_readfirstlane_b32 s4, v20
	v_readfirstlane_b32 s5, v21
	global_load_b64 v[6:7], v0, s[4:5] offset:8192 scale_offset
.LBB587_13:
	s_wait_xcnt 0x0
	;; [unrolled: 12-line block ×6, first 2 shown]
	s_or_b32 exec_lo, exec_lo, s0
	v_lshlrev_b32_e32 v1, 3, v0
	s_wait_loadcnt 0x0
	ds_store_2addr_stride64_b64 v1, v[2:3], v[4:5] offset1:8
	ds_store_2addr_stride64_b64 v1, v[6:7], v[8:9] offset0:16 offset1:24
	ds_store_2addr_stride64_b64 v1, v[10:11], v[12:13] offset0:32 offset1:40
	ds_store_b64 v1, v[14:15] offset:24576
	s_wait_dscnt 0x0
	s_barrier_signal -1
	s_barrier_wait -1
.LBB587_22:
	v_mul_u32_u24_e32 v1, 7, v0
	s_cmp_lg_u32 s22, 0
	s_cselect_b32 s25, -1, 0
	s_delay_alu instid0(VALU_DEP_1)
	v_lshlrev_b32_e32 v26, 3, v1
	s_cmp_lg_u64 s[6:7], 0
	v_cmp_gt_i64_e64 s7, s[18:19], 0
	s_cselect_b32 s0, -1, 0
	s_mov_b32 s6, 0
	ds_load_2addr_b64 v[10:13], v26 offset1:1
	ds_load_2addr_b64 v[6:9], v26 offset0:2 offset1:3
	ds_load_2addr_b64 v[2:5], v26 offset0:4 offset1:5
	ds_load_b64 v[14:15], v26 offset:48
	s_or_b32 s0, s0, s25
	s_wait_dscnt 0x0
	s_and_b32 vcc_lo, exec_lo, s0
	s_barrier_signal -1
	s_barrier_wait -1
	s_cbranch_vccz .LBB587_38
; %bb.23:
	global_load_b64 v[20:21], v[20:21], off offset:-8
	v_cndmask_b32_e64 v27, 0, 1, s7
	v_lshlrev_b32_e32 v28, 3, v0
	s_and_b32 vcc_lo, exec_lo, s17
	s_delay_alu instid0(VALU_DEP_2)
	v_cmp_ne_u32_e64 s0, 1, v27
	ds_store_b64 v28, v[14:15]
	s_cbranch_vccz .LBB587_40
; %bb.24:
	s_and_b32 vcc_lo, exec_lo, s0
	s_cbranch_vccnz .LBB587_41
; %bb.25:
	v_mul_u64_e32 v[16:17], s[18:19], v[4:5]
	v_mul_u64_e32 v[22:23], s[18:19], v[14:15]
	s_add_nc_u64 s[4:5], s[18:19], -1
	s_mov_b32 s26, 0
	s_mov_b64 s[0:1], s[4:5]
                                        ; implicit-def: $sgpr6
	s_delay_alu instid0(VALU_DEP_2) | instskip(NEXT) | instid1(VALU_DEP_2)
	v_lshl_add_u64 v[16:17], v[16:17], 3, s[8:9]
	v_lshl_add_u64 v[22:23], v[22:23], 3, s[8:9]
	s_delay_alu instid0(VALU_DEP_2)
	v_mov_b64_e32 v[24:25], v[16:17]
.LBB587_26:                             ; =>This Inner Loop Header: Depth=1
	global_load_b64 v[30:31], v[24:25], off
	global_load_b64 v[32:33], v[22:23], off
	s_cmp_eq_u64 s[0:1], 0
	s_add_nc_u64 s[28:29], s[0:1], -1
	s_cselect_b32 s1, -1, 0
	s_wait_xcnt 0x1
	v_add_nc_u64_e32 v[24:25], 8, v[24:25]
	s_wait_xcnt 0x0
	v_add_nc_u64_e32 v[22:23], 8, v[22:23]
	s_wait_loadcnt 0x0
	v_cmp_ne_u64_e32 vcc_lo, v[30:31], v[32:33]
	v_cmp_eq_u64_e64 s0, v[30:31], v[32:33]
	s_or_b32 s1, vcc_lo, s1
	s_delay_alu instid0(SALU_CYCLE_1) | instskip(NEXT) | instid1(SALU_CYCLE_1)
	s_and_b32 s1, exec_lo, s1
	s_or_b32 s26, s1, s26
	s_and_not1_b32 s6, s6, exec_lo
	s_and_b32 s27, s0, exec_lo
	s_mov_b64 s[0:1], s[28:29]
	s_or_b32 s6, s6, s27
	s_and_not1_b32 exec_lo, exec_lo, s26
	s_cbranch_execnz .LBB587_26
; %bb.27:
	s_or_b32 exec_lo, exec_lo, s26
	v_mul_u64_e32 v[22:23], s[18:19], v[2:3]
	s_mov_b32 s27, 0
	s_mov_b64 s[0:1], s[4:5]
                                        ; implicit-def: $sgpr26
	s_delay_alu instid0(VALU_DEP_1) | instskip(NEXT) | instid1(VALU_DEP_1)
	v_lshl_add_u64 v[22:23], v[22:23], 3, s[8:9]
	v_mov_b64_e32 v[24:25], v[22:23]
.LBB587_28:                             ; =>This Inner Loop Header: Depth=1
	global_load_b64 v[30:31], v[24:25], off
	global_load_b64 v[32:33], v[16:17], off
	s_cmp_eq_u64 s[0:1], 0
	s_add_nc_u64 s[28:29], s[0:1], -1
	s_cselect_b32 s1, -1, 0
	s_wait_xcnt 0x1
	v_add_nc_u64_e32 v[24:25], 8, v[24:25]
	s_wait_xcnt 0x0
	v_add_nc_u64_e32 v[16:17], 8, v[16:17]
	s_wait_loadcnt 0x0
	v_cmp_ne_u64_e32 vcc_lo, v[30:31], v[32:33]
	v_cmp_eq_u64_e64 s0, v[30:31], v[32:33]
	s_or_b32 s1, vcc_lo, s1
	s_delay_alu instid0(SALU_CYCLE_1) | instskip(NEXT) | instid1(SALU_CYCLE_1)
	s_and_b32 s1, exec_lo, s1
	s_or_b32 s27, s1, s27
	s_and_not1_b32 s26, s26, exec_lo
	s_and_b32 s30, s0, exec_lo
	s_mov_b64 s[0:1], s[28:29]
	s_or_b32 s26, s26, s30
	s_and_not1_b32 exec_lo, exec_lo, s27
	s_cbranch_execnz .LBB587_28
; %bb.29:
	s_or_b32 exec_lo, exec_lo, s27
	v_mul_u64_e32 v[16:17], s[18:19], v[8:9]
	s_mov_b32 s28, 0
	s_mov_b64 s[0:1], s[4:5]
                                        ; implicit-def: $sgpr27
	s_delay_alu instid0(VALU_DEP_1) | instskip(NEXT) | instid1(VALU_DEP_1)
	v_lshl_add_u64 v[16:17], v[16:17], 3, s[8:9]
	v_mov_b64_e32 v[24:25], v[16:17]
.LBB587_30:                             ; =>This Inner Loop Header: Depth=1
	global_load_b64 v[30:31], v[24:25], off
	global_load_b64 v[32:33], v[22:23], off
	s_cmp_eq_u64 s[0:1], 0
	s_add_nc_u64 s[30:31], s[0:1], -1
	s_cselect_b32 s1, -1, 0
	s_wait_xcnt 0x1
	v_add_nc_u64_e32 v[24:25], 8, v[24:25]
	s_wait_xcnt 0x0
	v_add_nc_u64_e32 v[22:23], 8, v[22:23]
	s_wait_loadcnt 0x0
	v_cmp_ne_u64_e32 vcc_lo, v[30:31], v[32:33]
	v_cmp_eq_u64_e64 s0, v[30:31], v[32:33]
	s_or_b32 s1, vcc_lo, s1
	s_delay_alu instid0(SALU_CYCLE_1) | instskip(NEXT) | instid1(SALU_CYCLE_1)
	s_and_b32 s1, exec_lo, s1
	s_or_b32 s28, s1, s28
	s_and_not1_b32 s27, s27, exec_lo
	s_and_b32 s29, s0, exec_lo
	s_mov_b64 s[0:1], s[30:31]
	s_or_b32 s27, s27, s29
	s_and_not1_b32 exec_lo, exec_lo, s28
	s_cbranch_execnz .LBB587_30
; %bb.31:
	s_or_b32 exec_lo, exec_lo, s28
	v_mul_u64_e32 v[22:23], s[18:19], v[6:7]
	s_mov_b32 s29, 0
	s_mov_b64 s[0:1], s[4:5]
                                        ; implicit-def: $sgpr28
	s_delay_alu instid0(VALU_DEP_1) | instskip(NEXT) | instid1(VALU_DEP_1)
	v_lshl_add_u64 v[22:23], v[22:23], 3, s[8:9]
	v_mov_b64_e32 v[24:25], v[22:23]
.LBB587_32:                             ; =>This Inner Loop Header: Depth=1
	global_load_b64 v[30:31], v[24:25], off
	global_load_b64 v[32:33], v[16:17], off
	s_cmp_eq_u64 s[0:1], 0
	s_add_nc_u64 s[30:31], s[0:1], -1
	s_cselect_b32 s1, -1, 0
	s_wait_xcnt 0x1
	v_add_nc_u64_e32 v[24:25], 8, v[24:25]
	s_wait_xcnt 0x0
	v_add_nc_u64_e32 v[16:17], 8, v[16:17]
	s_wait_loadcnt 0x0
	v_cmp_ne_u64_e32 vcc_lo, v[30:31], v[32:33]
	v_cmp_eq_u64_e64 s0, v[30:31], v[32:33]
	s_or_b32 s1, vcc_lo, s1
	s_delay_alu instid0(SALU_CYCLE_1) | instskip(NEXT) | instid1(SALU_CYCLE_1)
	s_and_b32 s1, exec_lo, s1
	s_or_b32 s29, s1, s29
	s_and_not1_b32 s28, s28, exec_lo
	s_and_b32 s33, s0, exec_lo
	s_mov_b64 s[0:1], s[30:31]
	s_or_b32 s28, s28, s33
	s_and_not1_b32 exec_lo, exec_lo, s29
	s_cbranch_execnz .LBB587_32
; %bb.33:
	s_or_b32 exec_lo, exec_lo, s29
	v_mul_u64_e32 v[16:17], s[18:19], v[12:13]
	s_mov_b32 s30, 0
	s_mov_b64 s[0:1], s[4:5]
                                        ; implicit-def: $sgpr29
	s_delay_alu instid0(VALU_DEP_1) | instskip(NEXT) | instid1(VALU_DEP_1)
	v_lshl_add_u64 v[16:17], v[16:17], 3, s[8:9]
	v_mov_b64_e32 v[24:25], v[16:17]
.LBB587_34:                             ; =>This Inner Loop Header: Depth=1
	global_load_b64 v[30:31], v[24:25], off
	global_load_b64 v[32:33], v[22:23], off
	s_cmp_eq_u64 s[0:1], 0
	s_add_nc_u64 s[34:35], s[0:1], -1
	s_cselect_b32 s1, -1, 0
	s_wait_xcnt 0x1
	v_add_nc_u64_e32 v[24:25], 8, v[24:25]
	s_wait_xcnt 0x0
	v_add_nc_u64_e32 v[22:23], 8, v[22:23]
	s_wait_loadcnt 0x0
	v_cmp_ne_u64_e32 vcc_lo, v[30:31], v[32:33]
	v_cmp_eq_u64_e64 s0, v[30:31], v[32:33]
	s_or_b32 s1, vcc_lo, s1
	s_delay_alu instid0(SALU_CYCLE_1) | instskip(NEXT) | instid1(SALU_CYCLE_1)
	s_and_b32 s1, exec_lo, s1
	s_or_b32 s30, s1, s30
	s_and_not1_b32 s29, s29, exec_lo
	s_and_b32 s31, s0, exec_lo
	s_mov_b64 s[0:1], s[34:35]
	s_or_b32 s29, s29, s31
	s_and_not1_b32 exec_lo, exec_lo, s30
	s_cbranch_execnz .LBB587_34
; %bb.35:
	s_or_b32 exec_lo, exec_lo, s30
	v_mul_u64_e32 v[22:23], s[18:19], v[10:11]
	s_mov_b32 s30, 0
                                        ; implicit-def: $sgpr1
	s_delay_alu instid0(VALU_DEP_1)
	v_lshl_add_u64 v[22:23], v[22:23], 3, s[8:9]
.LBB587_36:                             ; =>This Inner Loop Header: Depth=1
	global_load_b64 v[24:25], v[22:23], off
	global_load_b64 v[30:31], v[16:17], off
	s_cmp_eq_u64 s[4:5], 0
	s_add_nc_u64 s[34:35], s[4:5], -1
	s_cselect_b32 s4, -1, 0
	s_wait_xcnt 0x1
	v_add_nc_u64_e32 v[22:23], 8, v[22:23]
	s_wait_xcnt 0x0
	v_add_nc_u64_e32 v[16:17], 8, v[16:17]
	s_wait_loadcnt 0x0
	v_cmp_ne_u64_e32 vcc_lo, v[24:25], v[30:31]
	v_cmp_eq_u64_e64 s0, v[24:25], v[30:31]
	s_or_b32 s4, vcc_lo, s4
	s_delay_alu instid0(SALU_CYCLE_1) | instskip(NEXT) | instid1(SALU_CYCLE_1)
	s_and_b32 s4, exec_lo, s4
	s_or_b32 s30, s4, s30
	s_and_not1_b32 s1, s1, exec_lo
	s_and_b32 s0, s0, exec_lo
	s_mov_b64 s[4:5], s[34:35]
	s_or_b32 s1, s1, s0
	s_and_not1_b32 exec_lo, exec_lo, s30
	s_cbranch_execnz .LBB587_36
; %bb.37:
	s_or_b32 exec_lo, exec_lo, s30
	s_xor_b32 s0, s28, -1
	s_delay_alu instid0(SALU_CYCLE_1) | instskip(SKIP_1) | instid1(SALU_CYCLE_1)
	v_cndmask_b32_e64 v16, 0, 1, s0
	s_xor_b32 s0, s29, -1
	v_cndmask_b32_e64 v17, 0, 1, s0
	s_xor_b32 s0, s26, -1
	s_delay_alu instid0(VALU_DEP_2) | instskip(SKIP_2) | instid1(SALU_CYCLE_1)
	v_lshlrev_b16 v16, 8, v16
	v_cndmask_b32_e64 v30, 0, 1, s0
	s_xor_b32 s0, s6, -1
	v_cndmask_b32_e64 v19, 0, 1, s0
	s_delay_alu instid0(VALU_DEP_3) | instskip(SKIP_1) | instid1(VALU_DEP_1)
	v_lshrrev_b32_e32 v16, 8, v16
	s_xor_b32 s0, s27, -1
	v_and_b32_e32 v16, 1, v16
	s_delay_alu instid0(VALU_DEP_1) | instskip(NEXT) | instid1(VALU_DEP_1)
	v_lshlrev_b16 v16, 8, v16
	v_or_b32_e32 v16, v17, v16
	v_cndmask_b32_e64 v17, 0, 1, s0
	s_xor_b32 s0, s1, -1
	s_delay_alu instid0(VALU_DEP_2)
	v_lshlrev_b32_e32 v16, 16, v16
	s_branch .LBB587_42
.LBB587_38:
                                        ; implicit-def: $sgpr0
                                        ; implicit-def: $vgpr19
                                        ; implicit-def: $vgpr30
                                        ; implicit-def: $vgpr17
                                        ; implicit-def: $vgpr22
	s_branch .LBB587_95
.LBB587_39:
                                        ; implicit-def: $vgpr32
                                        ; implicit-def: $vgpr31
                                        ; implicit-def: $vgpr20
	s_branch .LBB587_164
.LBB587_40:
                                        ; implicit-def: $sgpr0
                                        ; implicit-def: $vgpr19
                                        ; implicit-def: $vgpr30
                                        ; implicit-def: $vgpr17
                                        ; implicit-def: $vgpr22
	s_cbranch_execnz .LBB587_49
	s_branch .LBB587_94
.LBB587_41:
	v_dual_mov_b32 v16, 0 :: v_dual_mov_b32 v19, 0
	v_dual_mov_b32 v30, 0 :: v_dual_mov_b32 v17, 0
	s_mov_b32 s0, 0
.LBB587_42:
	s_wait_loadcnt 0x0
	v_mov_b64_e32 v[22:23], v[20:21]
	s_wait_dscnt 0x0
	s_barrier_signal -1
	s_barrier_wait -1
	s_and_saveexec_b32 s1, s3
; %bb.43:
	v_add_nc_u32_e32 v22, -8, v28
	ds_load_b64 v[22:23], v22
; %bb.44:
	s_or_b32 exec_lo, exec_lo, s1
	v_cndmask_b32_e64 v24, 0, 1, s0
	v_lshrrev_b32_e32 v25, 16, v16
	s_mov_b32 s4, 0
	s_and_not1_b32 vcc_lo, exec_lo, s7
	s_mov_b32 s0, 0
	v_lshlrev_b16 v24, 8, v24
	s_delay_alu instid0(VALU_DEP_1) | instskip(SKIP_1) | instid1(VALU_DEP_2)
	v_bitop3_b16 v24, v16, v24, 0xff bitop3:0xec
	v_perm_b32 v16, v25, v16, 0xc0c0304
	v_and_b32_e32 v29, 0xffff, v24
	s_cbranch_vccnz .LBB587_48
; %bb.45:
	s_wait_dscnt 0x0
	v_mul_u64_e32 v[22:23], s[18:19], v[22:23]
	v_mul_u64_e32 v[24:25], s[18:19], v[10:11]
	s_add_nc_u64 s[0:1], s[18:19], -1
	s_mov_b32 s5, 0
                                        ; implicit-def: $sgpr6
	s_delay_alu instid0(VALU_DEP_2) | instskip(NEXT) | instid1(VALU_DEP_2)
	v_lshl_add_u64 v[22:23], v[22:23], 3, s[8:9]
	v_lshl_add_u64 v[24:25], v[24:25], 3, s[8:9]
.LBB587_46:                             ; =>This Inner Loop Header: Depth=1
	global_load_b64 v[32:33], v[22:23], off
	global_load_b64 v[34:35], v[24:25], off
	s_cmp_eq_u64 s[0:1], 0
	s_add_nc_u64 s[26:27], s[0:1], -1
	s_cselect_b32 s1, -1, 0
	s_wait_xcnt 0x1
	v_add_nc_u64_e32 v[22:23], 8, v[22:23]
	s_wait_xcnt 0x0
	v_add_nc_u64_e32 v[24:25], 8, v[24:25]
	s_wait_loadcnt 0x0
	v_cmp_ne_u64_e32 vcc_lo, v[32:33], v[34:35]
	v_cmp_eq_u64_e64 s0, v[32:33], v[34:35]
	s_or_b32 s1, vcc_lo, s1
	s_delay_alu instid0(SALU_CYCLE_1) | instskip(NEXT) | instid1(SALU_CYCLE_1)
	s_and_b32 s1, exec_lo, s1
	s_or_b32 s5, s1, s5
	s_and_not1_b32 s6, s6, exec_lo
	s_and_b32 s28, s0, exec_lo
	s_mov_b64 s[0:1], s[26:27]
	s_or_b32 s6, s6, s28
	s_and_not1_b32 exec_lo, exec_lo, s5
	s_cbranch_execnz .LBB587_46
; %bb.47:
	s_or_b32 exec_lo, exec_lo, s5
	s_xor_b32 s0, s6, -1
.LBB587_48:
	s_wait_dscnt 0x0
	s_delay_alu instid0(VALU_DEP_1)
	v_lshl_or_b32 v22, v16, 16, v29
	s_and_b32 vcc_lo, exec_lo, s4
	s_cbranch_vccz .LBB587_94
.LBB587_49:
	v_add_nc_u32_e32 v16, 6, v1
	s_mov_b32 s5, 0
	s_mov_b32 s4, 0
	s_mov_b32 s6, exec_lo
	s_wait_xcnt 0x0
	v_cmpx_gt_u32_e64 s23, v16
	s_cbranch_execz .LBB587_55
; %bb.50:
	s_and_not1_b32 vcc_lo, exec_lo, s7
	s_mov_b32 s0, 0
	s_cbranch_vccnz .LBB587_54
; %bb.51:
	v_mul_u64_e32 v[16:17], s[18:19], v[4:5]
	v_mul_u64_e32 v[22:23], s[18:19], v[14:15]
	s_add_nc_u64 s[0:1], s[18:19], -1
                                        ; implicit-def: $sgpr7
	s_delay_alu instid0(VALU_DEP_2) | instskip(NEXT) | instid1(VALU_DEP_2)
	v_lshl_add_u64 v[16:17], v[16:17], 3, s[8:9]
	v_lshl_add_u64 v[22:23], v[22:23], 3, s[8:9]
.LBB587_52:                             ; =>This Inner Loop Header: Depth=1
	global_load_b64 v[24:25], v[16:17], off
	global_load_b64 v[30:31], v[22:23], off
	s_cmp_eq_u64 s[0:1], 0
	s_add_nc_u64 s[26:27], s[0:1], -1
	s_cselect_b32 s1, -1, 0
	s_wait_xcnt 0x1
	v_add_nc_u64_e32 v[16:17], 8, v[16:17]
	s_wait_xcnt 0x0
	v_add_nc_u64_e32 v[22:23], 8, v[22:23]
	s_wait_loadcnt 0x0
	v_cmp_ne_u64_e32 vcc_lo, v[24:25], v[30:31]
	v_cmp_eq_u64_e64 s0, v[24:25], v[30:31]
	s_or_b32 s1, vcc_lo, s1
	s_delay_alu instid0(SALU_CYCLE_1) | instskip(NEXT) | instid1(SALU_CYCLE_1)
	s_and_b32 s1, exec_lo, s1
	s_or_b32 s4, s1, s4
	s_and_not1_b32 s7, s7, exec_lo
	s_and_b32 s28, s0, exec_lo
	s_mov_b64 s[0:1], s[26:27]
	s_or_b32 s7, s7, s28
	s_and_not1_b32 exec_lo, exec_lo, s4
	s_cbranch_execnz .LBB587_52
; %bb.53:
	s_or_b32 exec_lo, exec_lo, s4
	s_xor_b32 s0, s7, -1
.LBB587_54:
	s_delay_alu instid0(SALU_CYCLE_1)
	s_and_b32 s4, s0, exec_lo
.LBB587_55:
	s_or_b32 exec_lo, exec_lo, s6
	v_add_nc_u32_e32 v16, 5, v1
	s_mov_b32 s6, exec_lo
	s_delay_alu instid0(VALU_DEP_1)
	v_cmpx_gt_u32_e64 s23, v16
	s_cbranch_execz .LBB587_61
; %bb.56:
	v_cmp_ne_u32_e32 vcc_lo, 1, v27
	s_mov_b32 s0, 0
	s_cbranch_vccnz .LBB587_60
; %bb.57:
	v_mul_u64_e32 v[16:17], s[18:19], v[2:3]
	v_mul_u64_e32 v[22:23], s[18:19], v[4:5]
	s_add_nc_u64 s[0:1], s[18:19], -1
	s_mov_b32 s5, 0
                                        ; implicit-def: $sgpr7
	s_delay_alu instid0(VALU_DEP_2) | instskip(NEXT) | instid1(VALU_DEP_2)
	v_lshl_add_u64 v[16:17], v[16:17], 3, s[8:9]
	v_lshl_add_u64 v[22:23], v[22:23], 3, s[8:9]
.LBB587_58:                             ; =>This Inner Loop Header: Depth=1
	global_load_b64 v[24:25], v[16:17], off
	global_load_b64 v[30:31], v[22:23], off
	s_cmp_eq_u64 s[0:1], 0
	s_add_nc_u64 s[26:27], s[0:1], -1
	s_cselect_b32 s1, -1, 0
	s_wait_xcnt 0x1
	v_add_nc_u64_e32 v[16:17], 8, v[16:17]
	s_wait_xcnt 0x0
	v_add_nc_u64_e32 v[22:23], 8, v[22:23]
	s_wait_loadcnt 0x0
	v_cmp_ne_u64_e32 vcc_lo, v[24:25], v[30:31]
	v_cmp_eq_u64_e64 s0, v[24:25], v[30:31]
	s_or_b32 s1, vcc_lo, s1
	s_delay_alu instid0(SALU_CYCLE_1) | instskip(NEXT) | instid1(SALU_CYCLE_1)
	s_and_b32 s1, exec_lo, s1
	s_or_b32 s5, s1, s5
	s_and_not1_b32 s7, s7, exec_lo
	s_and_b32 s28, s0, exec_lo
	s_mov_b64 s[0:1], s[26:27]
	s_or_b32 s7, s7, s28
	s_and_not1_b32 exec_lo, exec_lo, s5
	s_cbranch_execnz .LBB587_58
; %bb.59:
	s_or_b32 exec_lo, exec_lo, s5
	s_xor_b32 s0, s7, -1
.LBB587_60:
	s_delay_alu instid0(SALU_CYCLE_1)
	s_and_b32 s5, s0, exec_lo
.LBB587_61:
	s_or_b32 exec_lo, exec_lo, s6
	v_add_nc_u32_e32 v16, 4, v1
	s_mov_b32 s7, 0
	s_mov_b32 s6, 0
	s_mov_b32 s26, exec_lo
	s_delay_alu instid0(VALU_DEP_1)
	v_cmpx_gt_u32_e64 s23, v16
	s_cbranch_execz .LBB587_67
; %bb.62:
	v_cmp_ne_u32_e32 vcc_lo, 1, v27
	s_mov_b32 s0, 0
	s_cbranch_vccnz .LBB587_66
; %bb.63:
	v_mul_u64_e32 v[16:17], s[18:19], v[8:9]
	v_mul_u64_e32 v[22:23], s[18:19], v[2:3]
	s_add_nc_u64 s[0:1], s[18:19], -1
                                        ; implicit-def: $sgpr27
	s_delay_alu instid0(VALU_DEP_2) | instskip(NEXT) | instid1(VALU_DEP_2)
	v_lshl_add_u64 v[16:17], v[16:17], 3, s[8:9]
	v_lshl_add_u64 v[22:23], v[22:23], 3, s[8:9]
.LBB587_64:                             ; =>This Inner Loop Header: Depth=1
	global_load_b64 v[24:25], v[16:17], off
	global_load_b64 v[30:31], v[22:23], off
	s_cmp_eq_u64 s[0:1], 0
	s_add_nc_u64 s[28:29], s[0:1], -1
	s_cselect_b32 s1, -1, 0
	s_wait_xcnt 0x1
	v_add_nc_u64_e32 v[16:17], 8, v[16:17]
	s_wait_xcnt 0x0
	v_add_nc_u64_e32 v[22:23], 8, v[22:23]
	s_wait_loadcnt 0x0
	v_cmp_ne_u64_e32 vcc_lo, v[24:25], v[30:31]
	v_cmp_eq_u64_e64 s0, v[24:25], v[30:31]
	s_or_b32 s1, vcc_lo, s1
	s_delay_alu instid0(SALU_CYCLE_1) | instskip(NEXT) | instid1(SALU_CYCLE_1)
	s_and_b32 s1, exec_lo, s1
	s_or_b32 s6, s1, s6
	s_and_not1_b32 s27, s27, exec_lo
	s_and_b32 s30, s0, exec_lo
	s_mov_b64 s[0:1], s[28:29]
	s_or_b32 s27, s27, s30
	s_and_not1_b32 exec_lo, exec_lo, s6
	s_cbranch_execnz .LBB587_64
; %bb.65:
	s_or_b32 exec_lo, exec_lo, s6
	s_xor_b32 s0, s27, -1
.LBB587_66:
	s_delay_alu instid0(SALU_CYCLE_1)
	s_and_b32 s6, s0, exec_lo
.LBB587_67:
	s_or_b32 exec_lo, exec_lo, s26
	v_add_nc_u32_e32 v16, 3, v1
	s_mov_b32 s26, exec_lo
	s_delay_alu instid0(VALU_DEP_1)
	v_cmpx_gt_u32_e64 s23, v16
	s_cbranch_execz .LBB587_73
; %bb.68:
	v_cmp_ne_u32_e32 vcc_lo, 1, v27
	s_mov_b32 s0, 0
	s_cbranch_vccnz .LBB587_72
; %bb.69:
	v_mul_u64_e32 v[16:17], s[18:19], v[6:7]
	v_mul_u64_e32 v[22:23], s[18:19], v[8:9]
	s_add_nc_u64 s[0:1], s[18:19], -1
	s_mov_b32 s7, 0
                                        ; implicit-def: $sgpr27
	s_delay_alu instid0(VALU_DEP_2) | instskip(NEXT) | instid1(VALU_DEP_2)
	v_lshl_add_u64 v[16:17], v[16:17], 3, s[8:9]
	v_lshl_add_u64 v[22:23], v[22:23], 3, s[8:9]
.LBB587_70:                             ; =>This Inner Loop Header: Depth=1
	global_load_b64 v[24:25], v[16:17], off
	global_load_b64 v[30:31], v[22:23], off
	s_cmp_eq_u64 s[0:1], 0
	s_add_nc_u64 s[28:29], s[0:1], -1
	s_cselect_b32 s1, -1, 0
	s_wait_xcnt 0x1
	v_add_nc_u64_e32 v[16:17], 8, v[16:17]
	s_wait_xcnt 0x0
	v_add_nc_u64_e32 v[22:23], 8, v[22:23]
	s_wait_loadcnt 0x0
	v_cmp_ne_u64_e32 vcc_lo, v[24:25], v[30:31]
	v_cmp_eq_u64_e64 s0, v[24:25], v[30:31]
	s_or_b32 s1, vcc_lo, s1
	s_delay_alu instid0(SALU_CYCLE_1) | instskip(NEXT) | instid1(SALU_CYCLE_1)
	s_and_b32 s1, exec_lo, s1
	s_or_b32 s7, s1, s7
	s_and_not1_b32 s27, s27, exec_lo
	s_and_b32 s30, s0, exec_lo
	s_mov_b64 s[0:1], s[28:29]
	s_or_b32 s27, s27, s30
	s_and_not1_b32 exec_lo, exec_lo, s7
	s_cbranch_execnz .LBB587_70
; %bb.71:
	s_or_b32 exec_lo, exec_lo, s7
	s_xor_b32 s0, s27, -1
.LBB587_72:
	s_delay_alu instid0(SALU_CYCLE_1)
	s_and_b32 s7, s0, exec_lo
.LBB587_73:
	s_or_b32 exec_lo, exec_lo, s26
	v_add_nc_u32_e32 v16, 2, v1
	s_mov_b32 s26, 0
	s_mov_b32 s27, 0
	s_mov_b32 s28, exec_lo
	s_delay_alu instid0(VALU_DEP_1)
	v_cmpx_gt_u32_e64 s23, v16
	s_cbranch_execz .LBB587_79
; %bb.74:
	v_cmp_ne_u32_e32 vcc_lo, 1, v27
	s_mov_b32 s0, 0
	s_cbranch_vccnz .LBB587_78
; %bb.75:
	v_mul_u64_e32 v[16:17], s[18:19], v[12:13]
	v_mul_u64_e32 v[22:23], s[18:19], v[6:7]
	s_add_nc_u64 s[0:1], s[18:19], -1
                                        ; implicit-def: $sgpr29
	s_delay_alu instid0(VALU_DEP_2) | instskip(NEXT) | instid1(VALU_DEP_2)
	v_lshl_add_u64 v[16:17], v[16:17], 3, s[8:9]
	v_lshl_add_u64 v[22:23], v[22:23], 3, s[8:9]
.LBB587_76:                             ; =>This Inner Loop Header: Depth=1
	global_load_b64 v[24:25], v[16:17], off
	global_load_b64 v[30:31], v[22:23], off
	s_cmp_eq_u64 s[0:1], 0
	s_add_nc_u64 s[30:31], s[0:1], -1
	s_cselect_b32 s1, -1, 0
	s_wait_xcnt 0x1
	v_add_nc_u64_e32 v[16:17], 8, v[16:17]
	s_wait_xcnt 0x0
	v_add_nc_u64_e32 v[22:23], 8, v[22:23]
	s_wait_loadcnt 0x0
	v_cmp_ne_u64_e32 vcc_lo, v[24:25], v[30:31]
	v_cmp_eq_u64_e64 s0, v[24:25], v[30:31]
	s_or_b32 s1, vcc_lo, s1
	s_delay_alu instid0(SALU_CYCLE_1) | instskip(NEXT) | instid1(SALU_CYCLE_1)
	s_and_b32 s1, exec_lo, s1
	s_or_b32 s27, s1, s27
	s_and_not1_b32 s29, s29, exec_lo
	s_and_b32 s33, s0, exec_lo
	s_mov_b64 s[0:1], s[30:31]
	s_or_b32 s29, s29, s33
	s_and_not1_b32 exec_lo, exec_lo, s27
	s_cbranch_execnz .LBB587_76
; %bb.77:
	s_or_b32 exec_lo, exec_lo, s27
	s_xor_b32 s0, s29, -1
.LBB587_78:
	s_delay_alu instid0(SALU_CYCLE_1)
	s_and_b32 s27, s0, exec_lo
.LBB587_79:
	s_or_b32 exec_lo, exec_lo, s28
	v_add_nc_u32_e32 v16, 1, v1
	s_mov_b32 s28, exec_lo
	s_delay_alu instid0(VALU_DEP_1)
	v_cmpx_gt_u32_e64 s23, v16
	s_cbranch_execz .LBB587_85
; %bb.80:
	v_cmp_ne_u32_e32 vcc_lo, 1, v27
	s_mov_b32 s0, 0
	s_cbranch_vccnz .LBB587_84
; %bb.81:
	v_mul_u64_e32 v[16:17], s[18:19], v[10:11]
	v_mul_u64_e32 v[22:23], s[18:19], v[12:13]
	s_add_nc_u64 s[0:1], s[18:19], -1
	s_mov_b32 s26, 0
                                        ; implicit-def: $sgpr29
	s_delay_alu instid0(VALU_DEP_2) | instskip(NEXT) | instid1(VALU_DEP_2)
	v_lshl_add_u64 v[16:17], v[16:17], 3, s[8:9]
	v_lshl_add_u64 v[22:23], v[22:23], 3, s[8:9]
.LBB587_82:                             ; =>This Inner Loop Header: Depth=1
	global_load_b64 v[24:25], v[16:17], off
	global_load_b64 v[30:31], v[22:23], off
	s_cmp_eq_u64 s[0:1], 0
	s_add_nc_u64 s[30:31], s[0:1], -1
	s_cselect_b32 s1, -1, 0
	s_wait_xcnt 0x1
	v_add_nc_u64_e32 v[16:17], 8, v[16:17]
	s_wait_xcnt 0x0
	v_add_nc_u64_e32 v[22:23], 8, v[22:23]
	s_wait_loadcnt 0x0
	v_cmp_ne_u64_e32 vcc_lo, v[24:25], v[30:31]
	v_cmp_eq_u64_e64 s0, v[24:25], v[30:31]
	s_or_b32 s1, vcc_lo, s1
	s_delay_alu instid0(SALU_CYCLE_1) | instskip(NEXT) | instid1(SALU_CYCLE_1)
	s_and_b32 s1, exec_lo, s1
	s_or_b32 s26, s1, s26
	s_and_not1_b32 s29, s29, exec_lo
	s_and_b32 s33, s0, exec_lo
	s_mov_b64 s[0:1], s[30:31]
	s_or_b32 s29, s29, s33
	s_and_not1_b32 exec_lo, exec_lo, s26
	s_cbranch_execnz .LBB587_82
; %bb.83:
	s_or_b32 exec_lo, exec_lo, s26
	s_xor_b32 s0, s29, -1
.LBB587_84:
	s_delay_alu instid0(SALU_CYCLE_1)
	s_and_b32 s26, s0, exec_lo
.LBB587_85:
	s_or_b32 exec_lo, exec_lo, s28
	s_wait_loadcnt_dscnt 0x0
	s_barrier_signal -1
	s_barrier_wait -1
	s_and_saveexec_b32 s0, s3
; %bb.86:
	v_add_nc_u32_e32 v16, -8, v28
	ds_load_b64 v[20:21], v16
; %bb.87:
	s_or_b32 exec_lo, exec_lo, s0
	v_cndmask_b32_e64 v16, 0, 1, s7
	v_cndmask_b32_e64 v17, 0, 1, s27
	;; [unrolled: 1-line block ×3, first 2 shown]
	s_mov_b32 s0, 0
	s_mov_b32 s7, exec_lo
	v_lshlrev_b16 v16, 8, v16
	s_delay_alu instid0(VALU_DEP_2) | instskip(NEXT) | instid1(VALU_DEP_2)
	v_lshlrev_b16 v19, 8, v19
	v_or_b32_e32 v16, v17, v16
	s_delay_alu instid0(VALU_DEP_2) | instskip(NEXT) | instid1(VALU_DEP_2)
	v_and_b32_e32 v22, 0xffff, v19
	v_lshlrev_b32_e32 v23, 16, v16
	v_cmpx_gt_u32_e64 s23, v1
	s_cbranch_execz .LBB587_93
; %bb.88:
	v_cmp_ne_u32_e32 vcc_lo, 1, v27
	s_cbranch_vccnz .LBB587_92
; %bb.89:
	s_wait_dscnt 0x0
	v_mul_u64_e32 v[16:17], s[18:19], v[20:21]
	v_mul_u64_e32 v[20:21], s[18:19], v[10:11]
	s_add_nc_u64 s[0:1], s[18:19], -1
	s_mov_b32 s26, 0
                                        ; implicit-def: $sgpr27
	s_delay_alu instid0(VALU_DEP_2) | instskip(NEXT) | instid1(VALU_DEP_2)
	v_lshl_add_u64 v[16:17], v[16:17], 3, s[8:9]
	v_lshl_add_u64 v[20:21], v[20:21], 3, s[8:9]
.LBB587_90:                             ; =>This Inner Loop Header: Depth=1
	global_load_b64 v[24:25], v[16:17], off
	global_load_b64 v[28:29], v[20:21], off
	s_cmp_eq_u64 s[0:1], 0
	s_add_nc_u64 s[28:29], s[0:1], -1
	s_cselect_b32 s1, -1, 0
	s_wait_xcnt 0x1
	v_add_nc_u64_e32 v[16:17], 8, v[16:17]
	s_wait_xcnt 0x0
	v_add_nc_u64_e32 v[20:21], 8, v[20:21]
	s_wait_loadcnt 0x0
	v_cmp_ne_u64_e32 vcc_lo, v[24:25], v[28:29]
	v_cmp_eq_u64_e64 s0, v[24:25], v[28:29]
	s_or_b32 s1, vcc_lo, s1
	s_delay_alu instid0(SALU_CYCLE_1) | instskip(NEXT) | instid1(SALU_CYCLE_1)
	s_and_b32 s1, exec_lo, s1
	s_or_b32 s26, s1, s26
	s_and_not1_b32 s27, s27, exec_lo
	s_and_b32 s30, s0, exec_lo
	s_mov_b64 s[0:1], s[28:29]
	s_or_b32 s27, s27, s30
	s_and_not1_b32 exec_lo, exec_lo, s26
	s_cbranch_execnz .LBB587_90
; %bb.91:
	s_or_b32 exec_lo, exec_lo, s26
	s_xor_b32 s0, s27, -1
.LBB587_92:
	s_delay_alu instid0(SALU_CYCLE_1)
	s_and_b32 s0, s0, exec_lo
.LBB587_93:
	s_or_b32 exec_lo, exec_lo, s7
	v_cndmask_b32_e64 v17, 0, 1, s6
	v_cndmask_b32_e64 v30, 0, 1, s5
	;; [unrolled: 1-line block ×3, first 2 shown]
	v_or_b32_e32 v22, v22, v23
.LBB587_94:
	s_mov_b32 s6, -1
	s_cbranch_execnz .LBB587_39
.LBB587_95:
	v_cmp_gt_i64_e64 s7, s[18:19], 0
	v_mad_i32_i24 v26, 0xffffffd0, v0, v26
	s_and_b32 vcc_lo, exec_lo, s17
	ds_store_b64 v26, v[14:15]
	s_cbranch_vccz .LBB587_110
; %bb.96:
	s_and_not1_b32 vcc_lo, exec_lo, s7
	s_cbranch_vccnz .LBB587_111
; %bb.97:
	v_mul_u64_e32 v[16:17], s[18:19], v[4:5]
	s_wait_loadcnt_dscnt 0x1
	v_mul_u64_e32 v[20:21], s[18:19], v[14:15]
	s_add_nc_u64 s[4:5], s[18:19], -1
	s_mov_b32 s27, 0
	s_mov_b64 s[0:1], s[4:5]
                                        ; implicit-def: $sgpr26
	s_delay_alu instid0(VALU_DEP_2) | instskip(NEXT) | instid1(VALU_DEP_2)
	v_lshl_add_u64 v[16:17], v[16:17], 3, s[8:9]
	v_lshl_add_u64 v[20:21], v[20:21], 3, s[8:9]
	s_delay_alu instid0(VALU_DEP_2)
	v_mov_b64_e32 v[22:23], v[16:17]
.LBB587_98:                             ; =>This Inner Loop Header: Depth=1
	global_load_b64 v[24:25], v[22:23], off
	global_load_b64 v[28:29], v[20:21], off
	s_cmp_eq_u64 s[0:1], 0
	s_add_nc_u64 s[28:29], s[0:1], -1
	s_cselect_b32 s1, -1, 0
	s_wait_xcnt 0x1
	v_add_nc_u64_e32 v[22:23], 8, v[22:23]
	s_wait_xcnt 0x0
	v_add_nc_u64_e32 v[20:21], 8, v[20:21]
	s_wait_loadcnt 0x0
	v_cmp_ne_u64_e32 vcc_lo, v[24:25], v[28:29]
	v_cmp_eq_u64_e64 s0, v[24:25], v[28:29]
	s_or_b32 s1, vcc_lo, s1
	s_delay_alu instid0(SALU_CYCLE_1) | instskip(NEXT) | instid1(SALU_CYCLE_1)
	s_and_b32 s1, exec_lo, s1
	s_or_b32 s27, s1, s27
	s_and_not1_b32 s26, s26, exec_lo
	s_and_b32 s30, s0, exec_lo
	s_mov_b64 s[0:1], s[28:29]
	s_or_b32 s26, s26, s30
	s_and_not1_b32 exec_lo, exec_lo, s27
	s_cbranch_execnz .LBB587_98
; %bb.99:
	s_or_b32 exec_lo, exec_lo, s27
	v_mul_u64_e32 v[20:21], s[18:19], v[2:3]
	s_mov_b32 s28, 0
	s_mov_b64 s[0:1], s[4:5]
                                        ; implicit-def: $sgpr27
	s_delay_alu instid0(VALU_DEP_1) | instskip(NEXT) | instid1(VALU_DEP_1)
	v_lshl_add_u64 v[20:21], v[20:21], 3, s[8:9]
	v_mov_b64_e32 v[22:23], v[20:21]
.LBB587_100:                            ; =>This Inner Loop Header: Depth=1
	global_load_b64 v[24:25], v[22:23], off
	global_load_b64 v[28:29], v[16:17], off
	s_cmp_eq_u64 s[0:1], 0
	s_add_nc_u64 s[30:31], s[0:1], -1
	s_cselect_b32 s1, -1, 0
	s_wait_xcnt 0x1
	v_add_nc_u64_e32 v[22:23], 8, v[22:23]
	s_wait_xcnt 0x0
	v_add_nc_u64_e32 v[16:17], 8, v[16:17]
	s_wait_loadcnt 0x0
	v_cmp_ne_u64_e32 vcc_lo, v[24:25], v[28:29]
	v_cmp_eq_u64_e64 s0, v[24:25], v[28:29]
	s_or_b32 s1, vcc_lo, s1
	s_delay_alu instid0(SALU_CYCLE_1) | instskip(NEXT) | instid1(SALU_CYCLE_1)
	s_and_b32 s1, exec_lo, s1
	s_or_b32 s28, s1, s28
	s_and_not1_b32 s27, s27, exec_lo
	s_and_b32 s29, s0, exec_lo
	s_mov_b64 s[0:1], s[30:31]
	s_or_b32 s27, s27, s29
	s_and_not1_b32 exec_lo, exec_lo, s28
	s_cbranch_execnz .LBB587_100
; %bb.101:
	s_or_b32 exec_lo, exec_lo, s28
	v_mul_u64_e32 v[16:17], s[18:19], v[8:9]
	s_mov_b32 s29, 0
	s_mov_b64 s[0:1], s[4:5]
                                        ; implicit-def: $sgpr28
	s_delay_alu instid0(VALU_DEP_1) | instskip(NEXT) | instid1(VALU_DEP_1)
	v_lshl_add_u64 v[16:17], v[16:17], 3, s[8:9]
	v_mov_b64_e32 v[22:23], v[16:17]
.LBB587_102:                            ; =>This Inner Loop Header: Depth=1
	global_load_b64 v[24:25], v[22:23], off
	global_load_b64 v[28:29], v[20:21], off
	s_cmp_eq_u64 s[0:1], 0
	s_add_nc_u64 s[30:31], s[0:1], -1
	s_cselect_b32 s1, -1, 0
	s_wait_xcnt 0x1
	v_add_nc_u64_e32 v[22:23], 8, v[22:23]
	s_wait_xcnt 0x0
	v_add_nc_u64_e32 v[20:21], 8, v[20:21]
	s_wait_loadcnt 0x0
	v_cmp_ne_u64_e32 vcc_lo, v[24:25], v[28:29]
	v_cmp_eq_u64_e64 s0, v[24:25], v[28:29]
	s_or_b32 s1, vcc_lo, s1
	s_delay_alu instid0(SALU_CYCLE_1) | instskip(NEXT) | instid1(SALU_CYCLE_1)
	s_and_b32 s1, exec_lo, s1
	s_or_b32 s29, s1, s29
	s_and_not1_b32 s28, s28, exec_lo
	s_and_b32 s33, s0, exec_lo
	s_mov_b64 s[0:1], s[30:31]
	s_or_b32 s28, s28, s33
	s_and_not1_b32 exec_lo, exec_lo, s29
	s_cbranch_execnz .LBB587_102
; %bb.103:
	s_or_b32 exec_lo, exec_lo, s29
	v_mul_u64_e32 v[20:21], s[18:19], v[6:7]
	s_mov_b32 s30, 0
	s_mov_b64 s[0:1], s[4:5]
                                        ; implicit-def: $sgpr29
	s_delay_alu instid0(VALU_DEP_1) | instskip(NEXT) | instid1(VALU_DEP_1)
	v_lshl_add_u64 v[20:21], v[20:21], 3, s[8:9]
	v_mov_b64_e32 v[22:23], v[20:21]
.LBB587_104:                            ; =>This Inner Loop Header: Depth=1
	global_load_b64 v[24:25], v[22:23], off
	global_load_b64 v[28:29], v[16:17], off
	s_cmp_eq_u64 s[0:1], 0
	s_add_nc_u64 s[34:35], s[0:1], -1
	s_cselect_b32 s1, -1, 0
	s_wait_xcnt 0x1
	v_add_nc_u64_e32 v[22:23], 8, v[22:23]
	s_wait_xcnt 0x0
	v_add_nc_u64_e32 v[16:17], 8, v[16:17]
	s_wait_loadcnt 0x0
	v_cmp_ne_u64_e32 vcc_lo, v[24:25], v[28:29]
	v_cmp_eq_u64_e64 s0, v[24:25], v[28:29]
	s_or_b32 s1, vcc_lo, s1
	s_delay_alu instid0(SALU_CYCLE_1) | instskip(NEXT) | instid1(SALU_CYCLE_1)
	s_and_b32 s1, exec_lo, s1
	s_or_b32 s30, s1, s30
	s_and_not1_b32 s29, s29, exec_lo
	s_and_b32 s31, s0, exec_lo
	s_mov_b64 s[0:1], s[34:35]
	s_or_b32 s29, s29, s31
	s_and_not1_b32 exec_lo, exec_lo, s30
	s_cbranch_execnz .LBB587_104
; %bb.105:
	s_or_b32 exec_lo, exec_lo, s30
	v_mul_u64_e32 v[16:17], s[18:19], v[12:13]
	s_mov_b32 s31, 0
	s_mov_b64 s[0:1], s[4:5]
                                        ; implicit-def: $sgpr30
	s_delay_alu instid0(VALU_DEP_1) | instskip(NEXT) | instid1(VALU_DEP_1)
	v_lshl_add_u64 v[16:17], v[16:17], 3, s[8:9]
	v_mov_b64_e32 v[22:23], v[16:17]
.LBB587_106:                            ; =>This Inner Loop Header: Depth=1
	global_load_b64 v[24:25], v[22:23], off
	global_load_b64 v[28:29], v[20:21], off
	s_cmp_eq_u64 s[0:1], 0
	s_add_nc_u64 s[34:35], s[0:1], -1
	s_cselect_b32 s1, -1, 0
	s_wait_xcnt 0x1
	v_add_nc_u64_e32 v[22:23], 8, v[22:23]
	s_wait_xcnt 0x0
	v_add_nc_u64_e32 v[20:21], 8, v[20:21]
	s_wait_loadcnt 0x0
	v_cmp_ne_u64_e32 vcc_lo, v[24:25], v[28:29]
	v_cmp_eq_u64_e64 s0, v[24:25], v[28:29]
	s_or_b32 s1, vcc_lo, s1
	s_delay_alu instid0(SALU_CYCLE_1) | instskip(NEXT) | instid1(SALU_CYCLE_1)
	s_and_b32 s1, exec_lo, s1
	s_or_b32 s31, s1, s31
	s_and_not1_b32 s30, s30, exec_lo
	s_and_b32 s33, s0, exec_lo
	s_mov_b64 s[0:1], s[34:35]
	s_or_b32 s30, s30, s33
	s_and_not1_b32 exec_lo, exec_lo, s31
	s_cbranch_execnz .LBB587_106
; %bb.107:
	s_or_b32 exec_lo, exec_lo, s31
	v_mul_u64_e32 v[20:21], s[18:19], v[10:11]
	s_mov_b32 s31, 0
                                        ; implicit-def: $sgpr1
	s_delay_alu instid0(VALU_DEP_1)
	v_lshl_add_u64 v[20:21], v[20:21], 3, s[8:9]
.LBB587_108:                            ; =>This Inner Loop Header: Depth=1
	global_load_b64 v[22:23], v[20:21], off
	global_load_b64 v[24:25], v[16:17], off
	s_cmp_eq_u64 s[4:5], 0
	s_add_nc_u64 s[34:35], s[4:5], -1
	s_cselect_b32 s4, -1, 0
	s_wait_xcnt 0x1
	v_add_nc_u64_e32 v[20:21], 8, v[20:21]
	s_wait_xcnt 0x0
	v_add_nc_u64_e32 v[16:17], 8, v[16:17]
	s_wait_loadcnt 0x0
	v_cmp_ne_u64_e32 vcc_lo, v[22:23], v[24:25]
	v_cmp_eq_u64_e64 s0, v[22:23], v[24:25]
	s_or_b32 s4, vcc_lo, s4
	s_delay_alu instid0(SALU_CYCLE_1) | instskip(NEXT) | instid1(SALU_CYCLE_1)
	s_and_b32 s4, exec_lo, s4
	s_or_b32 s31, s4, s31
	s_and_not1_b32 s1, s1, exec_lo
	s_and_b32 s0, s0, exec_lo
	s_mov_b64 s[4:5], s[34:35]
	s_or_b32 s1, s1, s0
	s_and_not1_b32 exec_lo, exec_lo, s31
	s_cbranch_execnz .LBB587_108
; %bb.109:
	s_or_b32 exec_lo, exec_lo, s31
	s_xor_b32 s0, s29, -1
	s_delay_alu instid0(SALU_CYCLE_1) | instskip(SKIP_1) | instid1(SALU_CYCLE_1)
	v_cndmask_b32_e64 v16, 0, 1, s0
	s_xor_b32 s0, s30, -1
	v_cndmask_b32_e64 v17, 0, 1, s0
	s_xor_b32 s0, s27, -1
	s_delay_alu instid0(VALU_DEP_2) | instskip(SKIP_2) | instid1(SALU_CYCLE_1)
	v_lshlrev_b16 v16, 8, v16
	v_cndmask_b32_e64 v30, 0, 1, s0
	s_xor_b32 s0, s26, -1
	v_cndmask_b32_e64 v19, 0, 1, s0
	s_delay_alu instid0(VALU_DEP_3) | instskip(SKIP_1) | instid1(VALU_DEP_1)
	v_lshrrev_b32_e32 v16, 8, v16
	s_xor_b32 s0, s28, -1
	v_and_b32_e32 v16, 1, v16
	s_delay_alu instid0(VALU_DEP_1) | instskip(NEXT) | instid1(VALU_DEP_1)
	v_lshlrev_b16 v16, 8, v16
	v_or_b32_e32 v16, v17, v16
	v_cndmask_b32_e64 v17, 0, 1, s0
	s_xor_b32 s0, s1, -1
	s_delay_alu instid0(VALU_DEP_2)
	v_lshlrev_b32_e32 v16, 16, v16
	s_branch .LBB587_112
.LBB587_110:
                                        ; implicit-def: $sgpr0
                                        ; implicit-def: $vgpr19
                                        ; implicit-def: $vgpr30
                                        ; implicit-def: $vgpr17
                                        ; implicit-def: $vgpr22
                                        ; implicit-def: $vgpr32
                                        ; implicit-def: $vgpr31
                                        ; implicit-def: $vgpr20
	s_cbranch_execnz .LBB587_119
	s_branch .LBB587_164
.LBB587_111:
	v_dual_mov_b32 v16, 0 :: v_dual_mov_b32 v19, 0
	v_dual_mov_b32 v30, 0 :: v_dual_mov_b32 v17, 0
	s_mov_b32 s0, 0
.LBB587_112:
	s_wait_loadcnt_dscnt 0x1
	s_delay_alu instid0(VALU_DEP_1)
	v_dual_lshrrev_b32 v31, 16, v16 :: v_dual_lshrrev_b32 v20, 24, v16
	v_cndmask_b32_e64 v32, 0, 1, s0
	v_mov_b32_e32 v16, 1
	s_wait_dscnt 0x0
	s_barrier_signal -1
	s_barrier_wait -1
                                        ; implicit-def: $sgpr0
                                        ; implicit-def: $vgpr22
	s_and_saveexec_b32 s1, s3
	s_delay_alu instid0(SALU_CYCLE_1)
	s_xor_b32 s4, exec_lo, s1
	s_cbranch_execz .LBB587_118
; %bb.113:
	v_lshlrev_b16 v21, 8, v20
	v_lshlrev_b16 v22, 8, v32
	s_and_not1_b32 vcc_lo, exec_lo, s7
	s_mov_b32 s0, 0
	s_delay_alu instid0(VALU_DEP_2) | instskip(NEXT) | instid1(VALU_DEP_1)
	v_bitop3_b16 v21, v31, v21, 0xff bitop3:0xec
	v_dual_lshlrev_b32 v21, 16, v21 :: v_dual_bitop2_b32 v22, 1, v22 bitop3:0x54
	s_delay_alu instid0(VALU_DEP_1) | instskip(NEXT) | instid1(VALU_DEP_1)
	v_and_b32_e32 v22, 0xffff, v22
	v_or_b32_e32 v21, v22, v21
	s_cbranch_vccnz .LBB587_117
; %bb.114:
	v_add_nc_u32_e32 v22, -8, v26
	v_mul_u64_e32 v[24:25], s[18:19], v[10:11]
	s_add_nc_u64 s[0:1], s[18:19], -1
	s_mov_b32 s5, 0
                                        ; implicit-def: $sgpr26
	ds_load_b64 v[22:23], v22
	s_wait_dscnt 0x0
	v_mul_u64_e32 v[22:23], s[18:19], v[22:23]
	v_lshl_add_u64 v[24:25], v[24:25], 3, s[8:9]
	s_delay_alu instid0(VALU_DEP_2)
	v_lshl_add_u64 v[22:23], v[22:23], 3, s[8:9]
.LBB587_115:                            ; =>This Inner Loop Header: Depth=1
	global_load_b64 v[28:29], v[22:23], off
	global_load_b64 v[34:35], v[24:25], off
	s_cmp_eq_u64 s[0:1], 0
	s_add_nc_u64 s[28:29], s[0:1], -1
	s_cselect_b32 s1, -1, 0
	s_wait_xcnt 0x1
	v_add_nc_u64_e32 v[22:23], 8, v[22:23]
	s_wait_xcnt 0x0
	v_add_nc_u64_e32 v[24:25], 8, v[24:25]
	s_wait_loadcnt 0x0
	v_cmp_ne_u64_e32 vcc_lo, v[28:29], v[34:35]
	v_cmp_eq_u64_e64 s0, v[28:29], v[34:35]
	s_or_b32 s1, vcc_lo, s1
	s_delay_alu instid0(SALU_CYCLE_1) | instskip(NEXT) | instid1(SALU_CYCLE_1)
	s_and_b32 s1, exec_lo, s1
	s_or_b32 s5, s1, s5
	s_and_not1_b32 s26, s26, exec_lo
	s_and_b32 s27, s0, exec_lo
	s_mov_b64 s[0:1], s[28:29]
	s_or_b32 s26, s26, s27
	s_and_not1_b32 exec_lo, exec_lo, s5
	s_cbranch_execnz .LBB587_115
; %bb.116:
	s_or_b32 exec_lo, exec_lo, s5
	s_xor_b32 s0, s26, -1
.LBB587_117:
	s_delay_alu instid0(VALU_DEP_1)
	v_perm_b32 v22, v21, v21, 0x3020104
	s_or_b32 s6, s6, exec_lo
.LBB587_118:
	s_or_b32 exec_lo, exec_lo, s4
	s_branch .LBB587_164
.LBB587_119:
	v_add_nc_u32_e32 v16, 6, v1
	s_mov_b32 s5, 0
	s_mov_b32 s4, 0
	s_mov_b32 s26, exec_lo
	s_wait_xcnt 0x0
	v_cmpx_gt_u32_e64 s23, v16
	s_cbranch_execz .LBB587_125
; %bb.120:
	s_and_not1_b32 vcc_lo, exec_lo, s7
	s_mov_b32 s0, 0
	s_cbranch_vccnz .LBB587_124
; %bb.121:
	v_mul_u64_e32 v[16:17], s[18:19], v[4:5]
	s_wait_loadcnt_dscnt 0x1
	v_mul_u64_e32 v[20:21], s[18:19], v[14:15]
	s_add_nc_u64 s[0:1], s[18:19], -1
                                        ; implicit-def: $sgpr27
	s_delay_alu instid0(VALU_DEP_2) | instskip(NEXT) | instid1(VALU_DEP_2)
	v_lshl_add_u64 v[16:17], v[16:17], 3, s[8:9]
	v_lshl_add_u64 v[20:21], v[20:21], 3, s[8:9]
.LBB587_122:                            ; =>This Inner Loop Header: Depth=1
	global_load_b64 v[22:23], v[16:17], off
	global_load_b64 v[24:25], v[20:21], off
	s_cmp_eq_u64 s[0:1], 0
	s_add_nc_u64 s[28:29], s[0:1], -1
	s_cselect_b32 s1, -1, 0
	s_wait_xcnt 0x1
	v_add_nc_u64_e32 v[16:17], 8, v[16:17]
	s_wait_xcnt 0x0
	v_add_nc_u64_e32 v[20:21], 8, v[20:21]
	s_wait_loadcnt 0x0
	v_cmp_ne_u64_e32 vcc_lo, v[22:23], v[24:25]
	v_cmp_eq_u64_e64 s0, v[22:23], v[24:25]
	s_or_b32 s1, vcc_lo, s1
	s_delay_alu instid0(SALU_CYCLE_1) | instskip(NEXT) | instid1(SALU_CYCLE_1)
	s_and_b32 s1, exec_lo, s1
	s_or_b32 s4, s1, s4
	s_and_not1_b32 s27, s27, exec_lo
	s_and_b32 s30, s0, exec_lo
	s_mov_b64 s[0:1], s[28:29]
	s_or_b32 s27, s27, s30
	s_and_not1_b32 exec_lo, exec_lo, s4
	s_cbranch_execnz .LBB587_122
; %bb.123:
	s_or_b32 exec_lo, exec_lo, s4
	s_xor_b32 s0, s27, -1
.LBB587_124:
	s_delay_alu instid0(SALU_CYCLE_1)
	s_and_b32 s4, s0, exec_lo
.LBB587_125:
	s_or_b32 exec_lo, exec_lo, s26
	v_add_nc_u32_e32 v16, 5, v1
	s_mov_b32 s26, exec_lo
	s_delay_alu instid0(VALU_DEP_1)
	v_cmpx_gt_u32_e64 s23, v16
	s_cbranch_execz .LBB587_131
; %bb.126:
	s_and_not1_b32 vcc_lo, exec_lo, s7
	s_mov_b32 s0, 0
	s_cbranch_vccnz .LBB587_130
; %bb.127:
	v_mul_u64_e32 v[16:17], s[18:19], v[2:3]
	s_wait_loadcnt_dscnt 0x1
	v_mul_u64_e32 v[20:21], s[18:19], v[4:5]
	s_add_nc_u64 s[0:1], s[18:19], -1
	s_mov_b32 s5, 0
                                        ; implicit-def: $sgpr27
	s_delay_alu instid0(VALU_DEP_2) | instskip(NEXT) | instid1(VALU_DEP_2)
	v_lshl_add_u64 v[16:17], v[16:17], 3, s[8:9]
	v_lshl_add_u64 v[20:21], v[20:21], 3, s[8:9]
.LBB587_128:                            ; =>This Inner Loop Header: Depth=1
	global_load_b64 v[22:23], v[16:17], off
	global_load_b64 v[24:25], v[20:21], off
	s_cmp_eq_u64 s[0:1], 0
	s_add_nc_u64 s[28:29], s[0:1], -1
	s_cselect_b32 s1, -1, 0
	s_wait_xcnt 0x1
	v_add_nc_u64_e32 v[16:17], 8, v[16:17]
	s_wait_xcnt 0x0
	v_add_nc_u64_e32 v[20:21], 8, v[20:21]
	s_wait_loadcnt 0x0
	v_cmp_ne_u64_e32 vcc_lo, v[22:23], v[24:25]
	v_cmp_eq_u64_e64 s0, v[22:23], v[24:25]
	s_or_b32 s1, vcc_lo, s1
	s_delay_alu instid0(SALU_CYCLE_1) | instskip(NEXT) | instid1(SALU_CYCLE_1)
	s_and_b32 s1, exec_lo, s1
	s_or_b32 s5, s1, s5
	s_and_not1_b32 s27, s27, exec_lo
	s_and_b32 s30, s0, exec_lo
	s_mov_b64 s[0:1], s[28:29]
	s_or_b32 s27, s27, s30
	s_and_not1_b32 exec_lo, exec_lo, s5
	s_cbranch_execnz .LBB587_128
; %bb.129:
	s_or_b32 exec_lo, exec_lo, s5
	s_xor_b32 s0, s27, -1
.LBB587_130:
	s_delay_alu instid0(SALU_CYCLE_1)
	s_and_b32 s5, s0, exec_lo
.LBB587_131:
	s_or_b32 exec_lo, exec_lo, s26
	v_add_nc_u32_e32 v16, 4, v1
	s_mov_b32 s26, 0
	s_mov_b32 s27, 0
	s_mov_b32 s28, exec_lo
	s_delay_alu instid0(VALU_DEP_1)
	v_cmpx_gt_u32_e64 s23, v16
	s_cbranch_execz .LBB587_137
; %bb.132:
	s_and_not1_b32 vcc_lo, exec_lo, s7
	s_mov_b32 s0, 0
	s_cbranch_vccnz .LBB587_136
; %bb.133:
	v_mul_u64_e32 v[16:17], s[18:19], v[8:9]
	s_wait_loadcnt_dscnt 0x1
	v_mul_u64_e32 v[20:21], s[18:19], v[2:3]
	s_add_nc_u64 s[0:1], s[18:19], -1
                                        ; implicit-def: $sgpr29
	s_delay_alu instid0(VALU_DEP_2) | instskip(NEXT) | instid1(VALU_DEP_2)
	v_lshl_add_u64 v[16:17], v[16:17], 3, s[8:9]
	v_lshl_add_u64 v[20:21], v[20:21], 3, s[8:9]
.LBB587_134:                            ; =>This Inner Loop Header: Depth=1
	global_load_b64 v[22:23], v[16:17], off
	global_load_b64 v[24:25], v[20:21], off
	s_cmp_eq_u64 s[0:1], 0
	s_add_nc_u64 s[30:31], s[0:1], -1
	s_cselect_b32 s1, -1, 0
	s_wait_xcnt 0x1
	v_add_nc_u64_e32 v[16:17], 8, v[16:17]
	s_wait_xcnt 0x0
	v_add_nc_u64_e32 v[20:21], 8, v[20:21]
	s_wait_loadcnt 0x0
	v_cmp_ne_u64_e32 vcc_lo, v[22:23], v[24:25]
	v_cmp_eq_u64_e64 s0, v[22:23], v[24:25]
	s_or_b32 s1, vcc_lo, s1
	s_delay_alu instid0(SALU_CYCLE_1) | instskip(NEXT) | instid1(SALU_CYCLE_1)
	s_and_b32 s1, exec_lo, s1
	s_or_b32 s27, s1, s27
	s_and_not1_b32 s29, s29, exec_lo
	s_and_b32 s33, s0, exec_lo
	s_mov_b64 s[0:1], s[30:31]
	s_or_b32 s29, s29, s33
	s_and_not1_b32 exec_lo, exec_lo, s27
	s_cbranch_execnz .LBB587_134
; %bb.135:
	s_or_b32 exec_lo, exec_lo, s27
	s_xor_b32 s0, s29, -1
.LBB587_136:
	s_delay_alu instid0(SALU_CYCLE_1)
	s_and_b32 s27, s0, exec_lo
.LBB587_137:
	s_or_b32 exec_lo, exec_lo, s28
	v_add_nc_u32_e32 v16, 3, v1
	s_mov_b32 s28, exec_lo
	s_delay_alu instid0(VALU_DEP_1)
	v_cmpx_gt_u32_e64 s23, v16
	s_cbranch_execz .LBB587_143
; %bb.138:
	s_and_not1_b32 vcc_lo, exec_lo, s7
	s_mov_b32 s0, 0
	s_cbranch_vccnz .LBB587_142
; %bb.139:
	v_mul_u64_e32 v[16:17], s[18:19], v[6:7]
	s_wait_loadcnt_dscnt 0x1
	v_mul_u64_e32 v[20:21], s[18:19], v[8:9]
	s_add_nc_u64 s[0:1], s[18:19], -1
	s_mov_b32 s26, 0
                                        ; implicit-def: $sgpr29
	s_delay_alu instid0(VALU_DEP_2) | instskip(NEXT) | instid1(VALU_DEP_2)
	v_lshl_add_u64 v[16:17], v[16:17], 3, s[8:9]
	v_lshl_add_u64 v[20:21], v[20:21], 3, s[8:9]
.LBB587_140:                            ; =>This Inner Loop Header: Depth=1
	global_load_b64 v[22:23], v[16:17], off
	global_load_b64 v[24:25], v[20:21], off
	s_cmp_eq_u64 s[0:1], 0
	s_add_nc_u64 s[30:31], s[0:1], -1
	s_cselect_b32 s1, -1, 0
	s_wait_xcnt 0x1
	v_add_nc_u64_e32 v[16:17], 8, v[16:17]
	s_wait_xcnt 0x0
	v_add_nc_u64_e32 v[20:21], 8, v[20:21]
	s_wait_loadcnt 0x0
	v_cmp_ne_u64_e32 vcc_lo, v[22:23], v[24:25]
	v_cmp_eq_u64_e64 s0, v[22:23], v[24:25]
	s_or_b32 s1, vcc_lo, s1
	s_delay_alu instid0(SALU_CYCLE_1) | instskip(NEXT) | instid1(SALU_CYCLE_1)
	s_and_b32 s1, exec_lo, s1
	s_or_b32 s26, s1, s26
	s_and_not1_b32 s29, s29, exec_lo
	s_and_b32 s33, s0, exec_lo
	s_mov_b64 s[0:1], s[30:31]
	s_or_b32 s29, s29, s33
	s_and_not1_b32 exec_lo, exec_lo, s26
	s_cbranch_execnz .LBB587_140
; %bb.141:
	s_or_b32 exec_lo, exec_lo, s26
	s_xor_b32 s0, s29, -1
.LBB587_142:
	s_delay_alu instid0(SALU_CYCLE_1)
	s_and_b32 s26, s0, exec_lo
.LBB587_143:
	s_or_b32 exec_lo, exec_lo, s28
	v_add_nc_u32_e32 v16, 2, v1
	s_mov_b32 s28, 0
	s_mov_b32 s29, 0
	s_mov_b32 s30, exec_lo
	s_delay_alu instid0(VALU_DEP_1)
	v_cmpx_gt_u32_e64 s23, v16
	s_cbranch_execz .LBB587_149
; %bb.144:
	s_and_not1_b32 vcc_lo, exec_lo, s7
	s_mov_b32 s0, 0
	s_cbranch_vccnz .LBB587_148
; %bb.145:
	v_mul_u64_e32 v[16:17], s[18:19], v[12:13]
	s_wait_loadcnt_dscnt 0x1
	v_mul_u64_e32 v[20:21], s[18:19], v[6:7]
	s_add_nc_u64 s[0:1], s[18:19], -1
                                        ; implicit-def: $sgpr31
	s_delay_alu instid0(VALU_DEP_2) | instskip(NEXT) | instid1(VALU_DEP_2)
	v_lshl_add_u64 v[16:17], v[16:17], 3, s[8:9]
	v_lshl_add_u64 v[20:21], v[20:21], 3, s[8:9]
.LBB587_146:                            ; =>This Inner Loop Header: Depth=1
	global_load_b64 v[22:23], v[16:17], off
	global_load_b64 v[24:25], v[20:21], off
	s_cmp_eq_u64 s[0:1], 0
	s_add_nc_u64 s[34:35], s[0:1], -1
	s_cselect_b32 s1, -1, 0
	s_wait_xcnt 0x1
	v_add_nc_u64_e32 v[16:17], 8, v[16:17]
	s_wait_xcnt 0x0
	v_add_nc_u64_e32 v[20:21], 8, v[20:21]
	s_wait_loadcnt 0x0
	v_cmp_ne_u64_e32 vcc_lo, v[22:23], v[24:25]
	v_cmp_eq_u64_e64 s0, v[22:23], v[24:25]
	s_or_b32 s1, vcc_lo, s1
	s_delay_alu instid0(SALU_CYCLE_1) | instskip(NEXT) | instid1(SALU_CYCLE_1)
	s_and_b32 s1, exec_lo, s1
	s_or_b32 s29, s1, s29
	s_and_not1_b32 s31, s31, exec_lo
	s_and_b32 s33, s0, exec_lo
	s_mov_b64 s[0:1], s[34:35]
	s_or_b32 s31, s31, s33
	s_and_not1_b32 exec_lo, exec_lo, s29
	s_cbranch_execnz .LBB587_146
; %bb.147:
	s_or_b32 exec_lo, exec_lo, s29
	s_xor_b32 s0, s31, -1
.LBB587_148:
	s_delay_alu instid0(SALU_CYCLE_1)
	s_and_b32 s29, s0, exec_lo
.LBB587_149:
	s_or_b32 exec_lo, exec_lo, s30
	v_add_nc_u32_e32 v16, 1, v1
	s_mov_b32 s30, exec_lo
	s_delay_alu instid0(VALU_DEP_1)
	v_cmpx_gt_u32_e64 s23, v16
	s_cbranch_execz .LBB587_155
; %bb.150:
	s_and_not1_b32 vcc_lo, exec_lo, s7
	s_mov_b32 s0, 0
	s_cbranch_vccnz .LBB587_154
; %bb.151:
	v_mul_u64_e32 v[16:17], s[18:19], v[10:11]
	s_wait_loadcnt_dscnt 0x1
	v_mul_u64_e32 v[20:21], s[18:19], v[12:13]
	s_add_nc_u64 s[0:1], s[18:19], -1
	s_mov_b32 s28, 0
                                        ; implicit-def: $sgpr31
	s_delay_alu instid0(VALU_DEP_2) | instskip(NEXT) | instid1(VALU_DEP_2)
	v_lshl_add_u64 v[16:17], v[16:17], 3, s[8:9]
	v_lshl_add_u64 v[20:21], v[20:21], 3, s[8:9]
.LBB587_152:                            ; =>This Inner Loop Header: Depth=1
	global_load_b64 v[22:23], v[16:17], off
	global_load_b64 v[24:25], v[20:21], off
	s_cmp_eq_u64 s[0:1], 0
	s_add_nc_u64 s[34:35], s[0:1], -1
	s_cselect_b32 s1, -1, 0
	s_wait_xcnt 0x1
	v_add_nc_u64_e32 v[16:17], 8, v[16:17]
	s_wait_xcnt 0x0
	v_add_nc_u64_e32 v[20:21], 8, v[20:21]
	s_wait_loadcnt 0x0
	v_cmp_ne_u64_e32 vcc_lo, v[22:23], v[24:25]
	v_cmp_eq_u64_e64 s0, v[22:23], v[24:25]
	s_or_b32 s1, vcc_lo, s1
	s_delay_alu instid0(SALU_CYCLE_1) | instskip(NEXT) | instid1(SALU_CYCLE_1)
	s_and_b32 s1, exec_lo, s1
	s_or_b32 s28, s1, s28
	s_and_not1_b32 s31, s31, exec_lo
	s_and_b32 s33, s0, exec_lo
	s_mov_b64 s[0:1], s[34:35]
	s_or_b32 s31, s31, s33
	s_and_not1_b32 exec_lo, exec_lo, s28
	s_cbranch_execnz .LBB587_152
; %bb.153:
	s_or_b32 exec_lo, exec_lo, s28
	s_xor_b32 s0, s31, -1
.LBB587_154:
	s_delay_alu instid0(SALU_CYCLE_1)
	s_and_b32 s28, s0, exec_lo
.LBB587_155:
	s_or_b32 exec_lo, exec_lo, s30
	v_cndmask_b32_e64 v17, 0, 1, s27
	v_cndmask_b32_e64 v30, 0, 1, s5
	;; [unrolled: 1-line block ×4, first 2 shown]
	s_wait_loadcnt_dscnt 0x1
	v_cndmask_b32_e64 v20, 0, 1, s26
	v_cndmask_b32_e64 v32, 0, 1, s28
	v_mov_b32_e32 v16, 1
	s_wait_dscnt 0x0
	s_barrier_signal -1
	s_barrier_wait -1
                                        ; implicit-def: $sgpr0
                                        ; implicit-def: $vgpr22
	s_and_saveexec_b32 s4, s3
	s_cbranch_execz .LBB587_163
; %bb.156:
	v_lshlrev_b16 v21, 8, v32
	v_lshlrev_b16 v22, 8, v20
	s_mov_b32 s0, 0
	s_mov_b32 s3, exec_lo
	s_delay_alu instid0(VALU_DEP_1) | instskip(NEXT) | instid1(VALU_DEP_1)
	v_or_b32_e32 v22, v31, v22
	v_dual_lshlrev_b32 v22, 16, v22 :: v_dual_bitop2_b32 v21, 1, v21 bitop3:0x54
	s_delay_alu instid0(VALU_DEP_1) | instskip(NEXT) | instid1(VALU_DEP_1)
	v_and_b32_e32 v21, 0xffff, v21
	v_or_b32_e32 v21, v21, v22
	v_cmpx_gt_u32_e64 s23, v1
	s_cbranch_execz .LBB587_162
; %bb.157:
	s_and_not1_b32 vcc_lo, exec_lo, s7
	s_cbranch_vccnz .LBB587_161
; %bb.158:
	v_add_nc_u32_e32 v22, -8, v26
	v_mul_u64_e32 v[24:25], s[18:19], v[10:11]
	s_add_nc_u64 s[0:1], s[18:19], -1
	s_mov_b32 s5, 0
                                        ; implicit-def: $sgpr7
	ds_load_b64 v[22:23], v22
	s_wait_dscnt 0x0
	v_mul_u64_e32 v[22:23], s[18:19], v[22:23]
	v_lshl_add_u64 v[24:25], v[24:25], 3, s[8:9]
	s_delay_alu instid0(VALU_DEP_2)
	v_lshl_add_u64 v[22:23], v[22:23], 3, s[8:9]
.LBB587_159:                            ; =>This Inner Loop Header: Depth=1
	global_load_b64 v[26:27], v[22:23], off
	global_load_b64 v[28:29], v[24:25], off
	s_cmp_eq_u64 s[0:1], 0
	s_add_nc_u64 s[8:9], s[0:1], -1
	s_cselect_b32 s1, -1, 0
	s_wait_xcnt 0x1
	v_add_nc_u64_e32 v[22:23], 8, v[22:23]
	s_wait_xcnt 0x0
	v_add_nc_u64_e32 v[24:25], 8, v[24:25]
	s_wait_loadcnt 0x0
	v_cmp_ne_u64_e32 vcc_lo, v[26:27], v[28:29]
	v_cmp_eq_u64_e64 s0, v[26:27], v[28:29]
	s_or_b32 s1, vcc_lo, s1
	s_delay_alu instid0(SALU_CYCLE_1) | instskip(NEXT) | instid1(SALU_CYCLE_1)
	s_and_b32 s1, exec_lo, s1
	s_or_b32 s5, s1, s5
	s_and_not1_b32 s7, s7, exec_lo
	s_and_b32 s18, s0, exec_lo
	s_mov_b64 s[0:1], s[8:9]
	s_or_b32 s7, s7, s18
	s_and_not1_b32 exec_lo, exec_lo, s5
	s_cbranch_execnz .LBB587_159
; %bb.160:
	s_or_b32 exec_lo, exec_lo, s5
	s_xor_b32 s0, s7, -1
.LBB587_161:
	s_delay_alu instid0(SALU_CYCLE_1)
	s_and_b32 s0, s0, exec_lo
.LBB587_162:
	s_or_b32 exec_lo, exec_lo, s3
	s_delay_alu instid0(VALU_DEP_2)
	v_perm_b32 v22, v21, v21, 0x3020104
	s_or_b32 s6, s6, exec_lo
.LBB587_163:
	s_or_b32 exec_lo, exec_lo, s4
.LBB587_164:
	s_wait_xcnt 0x0
	s_and_saveexec_b32 s1, s6
	s_cbranch_execz .LBB587_166
; %bb.165:
	s_wait_loadcnt_dscnt 0x0
	v_dual_lshrrev_b32 v20, 24, v22 :: v_dual_lshrrev_b32 v31, 16, v22
	v_lshrrev_b32_e32 v32, 8, v22
	v_cndmask_b32_e64 v16, 0, 1, s0
.LBB587_166:
	s_or_b32 exec_lo, exec_lo, s1
	s_delay_alu instid0(SALU_CYCLE_1)
	s_and_not1_b32 vcc_lo, exec_lo, s24
	s_cbranch_vccnz .LBB587_170
; %bb.167:
	s_delay_alu instid0(VALU_DEP_1)
	v_perm_b32 v16, v16, v32, 0xc0c0004
	s_wait_loadcnt_dscnt 0x0
	v_perm_b32 v20, v31, v20, 0xc0c0004
	v_cmp_gt_u32_e32 vcc_lo, s23, v1
	v_and_b32_e32 v19, 0xff, v19
	v_perm_b32 v17, v17, v30, 0xc0c0004
	v_add_nc_u32_e32 v21, 1, v1
	v_lshl_or_b32 v16, v20, 16, v16
	s_delay_alu instid0(VALU_DEP_4) | instskip(NEXT) | instid1(VALU_DEP_2)
	v_dual_add_nc_u32 v22, 4, v1 :: v_dual_lshlrev_b32 v19, 16, v19
	v_cndmask_b32_e32 v20, 0, v16, vcc_lo
	s_delay_alu instid0(VALU_DEP_4) | instskip(SKIP_1) | instid1(VALU_DEP_3)
	v_cmp_gt_u32_e32 vcc_lo, s23, v21
	v_add_nc_u32_e32 v21, 2, v1
	v_and_b32_e32 v20, 0xff, v20
	s_delay_alu instid0(VALU_DEP_1) | instskip(NEXT) | instid1(VALU_DEP_3)
	v_cndmask_b32_e32 v20, v20, v16, vcc_lo
	v_cmp_gt_u32_e32 vcc_lo, s23, v21
	s_delay_alu instid0(VALU_DEP_2) | instskip(SKIP_2) | instid1(VALU_DEP_3)
	v_and_b32_e32 v20, 0xffff, v20
	v_or_b32_e32 v23, v17, v19
	v_bitop3_b32 v17, v17, 0xffff00, v19 bitop3:0xc8
	v_cndmask_b32_e32 v19, v20, v16, vcc_lo
	v_cmp_gt_u32_e32 vcc_lo, s23, v22
	v_add_nc_u32_e32 v20, 5, v1
	s_delay_alu instid0(VALU_DEP_3) | instskip(SKIP_1) | instid1(VALU_DEP_3)
	v_and_b32_e32 v19, 0xffffff, v19
	v_dual_add_nc_u32 v21, 3, v1 :: v_dual_cndmask_b32 v17, v17, v23, vcc_lo
	v_cmp_gt_u32_e64 s0, s23, v20
	s_delay_alu instid0(VALU_DEP_2) | instskip(NEXT) | instid1(VALU_DEP_3)
	v_cmp_gt_u32_e64 s1, s23, v21
	v_and_b32_e32 v17, 0xffff00ff, v17
	s_or_b32 vcc_lo, s0, vcc_lo
	s_delay_alu instid0(VALU_DEP_1) | instskip(SKIP_1) | instid1(VALU_DEP_1)
	v_dual_cndmask_b32 v19, v19, v16, s1 :: v_dual_cndmask_b32 v17, v17, v23, s0
	s_mov_b32 s0, exec_lo
	v_dual_cndmask_b32 v16, v19, v16 :: v_dual_add_nc_u32 v1, 6, v1
	s_delay_alu instid0(VALU_DEP_2) | instskip(NEXT) | instid1(VALU_DEP_2)
	v_dual_lshrrev_b32 v30, 8, v17 :: v_dual_lshrrev_b32 v19, 16, v17
	v_lshrrev_b32_e32 v32, 8, v16
	v_lshrrev_b64 v[20:21], 24, v[16:17]
	v_lshrrev_b32_e32 v31, 16, v16
	v_cmpx_le_u32_e64 s23, v1
; %bb.168:
	v_mov_b32_e32 v19, 0
; %bb.169:
	s_or_b32 exec_lo, exec_lo, s0
.LBB587_170:
	s_delay_alu instid0(VALU_DEP_1)
	v_and_b32_e32 v1, 0xff, v16
	s_wait_loadcnt_dscnt 0x0
	v_and_b32_e32 v21, 0xff, v32
	v_and_b32_e32 v33, 0xff, v31
	;; [unrolled: 1-line block ×4, first 2 shown]
	v_mbcnt_lo_u32_b32 v37, -1, 0
	v_and_b32_e32 v36, 0xff, v30
	v_add3_u32 v22, v21, v1, v33
	v_and_b32_e32 v23, 0xff, v19
	s_delay_alu instid0(VALU_DEP_4) | instskip(SKIP_1) | instid1(VALU_DEP_3)
	v_dual_lshrrev_b32 v38, 5, v0 :: v_dual_bitop2_b32 v24, 15, v37 bitop3:0x40
	s_and_b32 vcc_lo, exec_lo, s25
	v_add3_u32 v22, v22, v34, v35
	s_mov_b32 s7, -1
	s_delay_alu instid0(VALU_DEP_2) | instskip(SKIP_1) | instid1(VALU_DEP_3)
	v_cmp_eq_u32_e64 s0, 0, v24
	v_cmp_lt_u32_e64 s3, 1, v24
	v_add3_u32 v39, v22, v36, v23
	v_and_b32_e32 v22, 16, v37
	v_or_b32_e32 v23, 31, v0
	v_cmp_lt_u32_e64 s4, 3, v24
	v_cmp_lt_u32_e64 s1, 7, v24
	s_barrier_signal -1
	v_cmp_eq_u32_e64 s6, 0, v22
	v_cmp_eq_u32_e64 s5, v0, v23
	s_barrier_wait -1
                                        ; implicit-def: $vgpr25
                                        ; implicit-def: $vgpr26
                                        ; implicit-def: $vgpr27
                                        ; implicit-def: $vgpr28
                                        ; implicit-def: $vgpr29
                                        ; implicit-def: $vgpr40
                                        ; implicit-def: $vgpr41
                                        ; implicit-def: $vgpr24
                                        ; implicit-def: $vgpr22
	s_cbranch_vccz .LBB587_197
; %bb.171:
	v_mov_b32_dpp v22, v39 row_shr:1 row_mask:0xf bank_mask:0xf
	s_delay_alu instid0(VALU_DEP_1) | instskip(NEXT) | instid1(VALU_DEP_1)
	v_cndmask_b32_e64 v22, v22, 0, s0
	v_add_nc_u32_e32 v22, v22, v39
	s_delay_alu instid0(VALU_DEP_1) | instskip(NEXT) | instid1(VALU_DEP_1)
	v_mov_b32_dpp v23, v22 row_shr:2 row_mask:0xf bank_mask:0xf
	v_cndmask_b32_e64 v23, 0, v23, s3
	s_delay_alu instid0(VALU_DEP_1) | instskip(NEXT) | instid1(VALU_DEP_1)
	v_add_nc_u32_e32 v22, v22, v23
	v_mov_b32_dpp v23, v22 row_shr:4 row_mask:0xf bank_mask:0xf
	s_delay_alu instid0(VALU_DEP_1) | instskip(NEXT) | instid1(VALU_DEP_1)
	v_cndmask_b32_e64 v23, 0, v23, s4
	v_add_nc_u32_e32 v22, v22, v23
	s_delay_alu instid0(VALU_DEP_1) | instskip(NEXT) | instid1(VALU_DEP_1)
	v_mov_b32_dpp v23, v22 row_shr:8 row_mask:0xf bank_mask:0xf
	v_cndmask_b32_e64 v23, 0, v23, s1
	s_delay_alu instid0(VALU_DEP_1) | instskip(SKIP_3) | instid1(VALU_DEP_1)
	v_add_nc_u32_e32 v22, v22, v23
	ds_swizzle_b32 v23, v22 offset:swizzle(BROADCAST,32,15)
	s_wait_dscnt 0x0
	v_cndmask_b32_e64 v23, v23, 0, s6
	v_add_nc_u32_e32 v22, v22, v23
	s_and_saveexec_b32 s7, s5
; %bb.172:
	v_lshlrev_b32_e32 v23, 2, v38
	ds_store_b32 v23, v22
; %bb.173:
	s_or_b32 exec_lo, exec_lo, s7
	s_delay_alu instid0(SALU_CYCLE_1)
	s_mov_b32 s7, exec_lo
	s_wait_dscnt 0x0
	s_barrier_signal -1
	s_barrier_wait -1
	v_cmpx_gt_u32_e32 16, v0
	s_cbranch_execz .LBB587_175
; %bb.174:
	v_lshlrev_b32_e32 v23, 2, v0
	ds_load_b32 v24, v23
	s_wait_dscnt 0x0
	v_mov_b32_dpp v25, v24 row_shr:1 row_mask:0xf bank_mask:0xf
	s_delay_alu instid0(VALU_DEP_1) | instskip(NEXT) | instid1(VALU_DEP_1)
	v_cndmask_b32_e64 v25, v25, 0, s0
	v_add_nc_u32_e32 v24, v25, v24
	s_delay_alu instid0(VALU_DEP_1) | instskip(NEXT) | instid1(VALU_DEP_1)
	v_mov_b32_dpp v25, v24 row_shr:2 row_mask:0xf bank_mask:0xf
	v_cndmask_b32_e64 v25, 0, v25, s3
	s_delay_alu instid0(VALU_DEP_1) | instskip(NEXT) | instid1(VALU_DEP_1)
	v_add_nc_u32_e32 v24, v24, v25
	v_mov_b32_dpp v25, v24 row_shr:4 row_mask:0xf bank_mask:0xf
	s_delay_alu instid0(VALU_DEP_1) | instskip(NEXT) | instid1(VALU_DEP_1)
	v_cndmask_b32_e64 v25, 0, v25, s4
	v_add_nc_u32_e32 v24, v24, v25
	s_delay_alu instid0(VALU_DEP_1) | instskip(NEXT) | instid1(VALU_DEP_1)
	v_mov_b32_dpp v25, v24 row_shr:8 row_mask:0xf bank_mask:0xf
	v_cndmask_b32_e64 v25, 0, v25, s1
	s_delay_alu instid0(VALU_DEP_1)
	v_add_nc_u32_e32 v24, v24, v25
	ds_store_b32 v23, v24
.LBB587_175:
	s_or_b32 exec_lo, exec_lo, s7
	s_delay_alu instid0(SALU_CYCLE_1)
	s_mov_b32 s8, exec_lo
	v_cmp_gt_u32_e32 vcc_lo, 32, v0
	s_wait_dscnt 0x0
	s_barrier_signal -1
	s_barrier_wait -1
                                        ; implicit-def: $vgpr40
	v_cmpx_lt_u32_e32 31, v0
	s_cbranch_execz .LBB587_177
; %bb.176:
	v_lshl_add_u32 v23, v38, 2, -4
	ds_load_b32 v40, v23
	s_wait_dscnt 0x0
	v_add_nc_u32_e32 v22, v40, v22
.LBB587_177:
	s_or_b32 exec_lo, exec_lo, s8
	v_sub_co_u32 v23, s7, v37, 1
	s_delay_alu instid0(VALU_DEP_1) | instskip(NEXT) | instid1(VALU_DEP_1)
	v_cmp_gt_i32_e64 s8, 0, v23
	v_cndmask_b32_e64 v23, v23, v37, s8
	s_delay_alu instid0(VALU_DEP_1)
	v_lshlrev_b32_e32 v23, 2, v23
	ds_bpermute_b32 v41, v23, v22
	s_and_saveexec_b32 s8, vcc_lo
	s_cbranch_execz .LBB587_196
; %bb.178:
	v_mov_b32_e32 v29, 0
	ds_load_b32 v22, v29 offset:60
	s_and_saveexec_b32 s9, s7
	s_cbranch_execz .LBB587_180
; %bb.179:
	s_add_co_i32 s18, s22, 32
	s_delay_alu instid0(SALU_CYCLE_1)
	v_dual_mov_b32 v23, 1 :: v_dual_mov_b32 v24, s18
	s_wait_dscnt 0x0
	global_store_b64 v24, v[22:23], s[10:11] scale_offset scope:SCOPE_DEV
.LBB587_180:
	s_wait_xcnt 0x0
	s_or_b32 exec_lo, exec_lo, s9
	v_xad_u32 v24, v37, -1, s22
	s_mov_b32 s18, 0
	s_mov_b32 s9, exec_lo
	s_delay_alu instid0(VALU_DEP_1) | instskip(SKIP_4) | instid1(VALU_DEP_1)
	v_add_nc_u32_e32 v28, 32, v24
	global_load_b64 v[26:27], v28, s[10:11] scale_offset scope:SCOPE_DEV
	s_wait_loadcnt 0x0
	v_and_b32_e32 v23, 0xff, v27
	s_wait_xcnt 0x0
	v_cmpx_eq_u16_e32 0, v23
	s_cbranch_execz .LBB587_184
; %bb.181:
	v_lshl_add_u64 v[28:29], v[28:29], 3, s[10:11]
.LBB587_182:                            ; =>This Inner Loop Header: Depth=1
	global_load_b64 v[26:27], v[28:29], off scope:SCOPE_DEV
	s_wait_loadcnt 0x0
	v_and_b32_e32 v23, 0xff, v27
	s_delay_alu instid0(VALU_DEP_1)
	v_cmp_ne_u16_e32 vcc_lo, 0, v23
	s_or_b32 s18, vcc_lo, s18
	s_wait_xcnt 0x0
	s_and_not1_b32 exec_lo, exec_lo, s18
	s_cbranch_execnz .LBB587_182
; %bb.183:
	s_or_b32 exec_lo, exec_lo, s18
.LBB587_184:
	s_delay_alu instid0(SALU_CYCLE_1)
	s_or_b32 exec_lo, exec_lo, s9
	v_cmp_ne_u32_e32 vcc_lo, 31, v37
	v_lshlrev_b32_e64 v43, v37, -1
	v_lshl_or_b32 v50, v37, 2, 64
	v_dual_add_nc_u32 v45, 2, v37 :: v_dual_add_nc_u32 v47, 4, v37
	v_add_co_ci_u32_e64 v23, null, 0, v37, vcc_lo
	v_dual_add_nc_u32 v49, 8, v37 :: v_dual_add_nc_u32 v51, 16, v37
	s_delay_alu instid0(VALU_DEP_2)
	v_lshlrev_b32_e32 v42, 2, v23
	v_and_b32_e32 v23, 0xff, v27
	ds_bpermute_b32 v25, v42, v26
	v_cmp_eq_u16_e32 vcc_lo, 2, v23
	v_and_or_b32 v23, vcc_lo, v43, 0x80000000
	v_cmp_gt_u32_e32 vcc_lo, 30, v37
	s_delay_alu instid0(VALU_DEP_2) | instskip(SKIP_1) | instid1(VALU_DEP_2)
	v_ctz_i32_b32_e32 v23, v23
	v_cndmask_b32_e64 v28, 0, 2, vcc_lo
	v_cmp_lt_u32_e32 vcc_lo, v37, v23
	s_delay_alu instid0(VALU_DEP_2) | instskip(SKIP_3) | instid1(VALU_DEP_2)
	v_add_lshl_u32 v44, v28, v37, 2
	s_wait_dscnt 0x0
	v_cndmask_b32_e32 v25, 0, v25, vcc_lo
	v_cmp_gt_u32_e32 vcc_lo, 28, v37
	v_add_nc_u32_e32 v25, v25, v26
	v_cndmask_b32_e64 v28, 0, 4, vcc_lo
	v_cmp_le_u32_e32 vcc_lo, v45, v23
	ds_bpermute_b32 v26, v44, v25
	v_add_lshl_u32 v46, v28, v37, 2
	s_wait_dscnt 0x0
	v_cndmask_b32_e32 v26, 0, v26, vcc_lo
	v_cmp_gt_u32_e32 vcc_lo, 24, v37
	v_cndmask_b32_e64 v28, 0, 8, vcc_lo
	v_cmp_le_u32_e32 vcc_lo, v47, v23
	s_delay_alu instid0(VALU_DEP_4) | instskip(NEXT) | instid1(VALU_DEP_3)
	v_add_nc_u32_e32 v25, v25, v26
	v_add_lshl_u32 v48, v28, v37, 2
	ds_bpermute_b32 v26, v46, v25
	s_wait_dscnt 0x0
	v_cndmask_b32_e32 v26, 0, v26, vcc_lo
	v_cmp_le_u32_e32 vcc_lo, v49, v23
	s_delay_alu instid0(VALU_DEP_2) | instskip(SKIP_4) | instid1(VALU_DEP_2)
	v_add_nc_u32_e32 v25, v25, v26
	ds_bpermute_b32 v26, v48, v25
	s_wait_dscnt 0x0
	v_cndmask_b32_e32 v26, 0, v26, vcc_lo
	v_cmp_le_u32_e32 vcc_lo, v51, v23
	v_add_nc_u32_e32 v25, v25, v26
	ds_bpermute_b32 v26, v50, v25
	s_wait_dscnt 0x0
	v_cndmask_b32_e32 v23, 0, v26, vcc_lo
	s_delay_alu instid0(VALU_DEP_1)
	v_dual_mov_b32 v25, 0 :: v_dual_add_nc_u32 v26, v25, v23
	s_branch .LBB587_187
.LBB587_185:                            ;   in Loop: Header=BB587_187 Depth=1
	s_or_b32 exec_lo, exec_lo, s9
	v_and_b32_e32 v28, 0xff, v27
	ds_bpermute_b32 v29, v42, v26
	v_subrev_nc_u32_e32 v24, 32, v24
	s_mov_b32 s9, 0
	v_cmp_eq_u16_e32 vcc_lo, 2, v28
	v_and_or_b32 v28, vcc_lo, v43, 0x80000000
	s_delay_alu instid0(VALU_DEP_1) | instskip(NEXT) | instid1(VALU_DEP_1)
	v_ctz_i32_b32_e32 v28, v28
	v_cmp_lt_u32_e32 vcc_lo, v37, v28
	s_wait_dscnt 0x0
	v_cndmask_b32_e32 v29, 0, v29, vcc_lo
	v_cmp_le_u32_e32 vcc_lo, v45, v28
	s_delay_alu instid0(VALU_DEP_2) | instskip(SKIP_4) | instid1(VALU_DEP_2)
	v_add_nc_u32_e32 v26, v29, v26
	ds_bpermute_b32 v29, v44, v26
	s_wait_dscnt 0x0
	v_cndmask_b32_e32 v29, 0, v29, vcc_lo
	v_cmp_le_u32_e32 vcc_lo, v47, v28
	v_add_nc_u32_e32 v26, v26, v29
	ds_bpermute_b32 v29, v46, v26
	s_wait_dscnt 0x0
	v_cndmask_b32_e32 v29, 0, v29, vcc_lo
	v_cmp_le_u32_e32 vcc_lo, v49, v28
	s_delay_alu instid0(VALU_DEP_2) | instskip(SKIP_4) | instid1(VALU_DEP_2)
	v_add_nc_u32_e32 v26, v26, v29
	ds_bpermute_b32 v29, v48, v26
	s_wait_dscnt 0x0
	v_cndmask_b32_e32 v29, 0, v29, vcc_lo
	v_cmp_le_u32_e32 vcc_lo, v51, v28
	v_add_nc_u32_e32 v26, v26, v29
	ds_bpermute_b32 v29, v50, v26
	s_wait_dscnt 0x0
	v_cndmask_b32_e32 v28, 0, v29, vcc_lo
	s_delay_alu instid0(VALU_DEP_1)
	v_add3_u32 v26, v28, v23, v26
.LBB587_186:                            ;   in Loop: Header=BB587_187 Depth=1
	s_and_b32 vcc_lo, exec_lo, s9
	s_cbranch_vccnz .LBB587_192
.LBB587_187:                            ; =>This Loop Header: Depth=1
                                        ;     Child Loop BB587_190 Depth 2
	v_and_b32_e32 v23, 0xff, v27
	s_mov_b32 s9, -1
                                        ; implicit-def: $vgpr27
	s_delay_alu instid0(VALU_DEP_1)
	v_cmp_ne_u16_e32 vcc_lo, 2, v23
	v_mov_b32_e32 v23, v26
                                        ; implicit-def: $vgpr26
	s_cmp_lg_u32 vcc_lo, exec_lo
	s_cbranch_scc1 .LBB587_186
; %bb.188:                              ;   in Loop: Header=BB587_187 Depth=1
	global_load_b64 v[26:27], v24, s[10:11] scale_offset scope:SCOPE_DEV
	s_mov_b32 s9, exec_lo
	s_wait_loadcnt 0x0
	v_and_b32_e32 v28, 0xff, v27
	s_wait_xcnt 0x0
	s_delay_alu instid0(VALU_DEP_1)
	v_cmpx_eq_u16_e32 0, v28
	s_cbranch_execz .LBB587_185
; %bb.189:                              ;   in Loop: Header=BB587_187 Depth=1
	v_lshl_add_u64 v[28:29], v[24:25], 3, s[10:11]
	s_mov_b32 s18, 0
.LBB587_190:                            ;   Parent Loop BB587_187 Depth=1
                                        ; =>  This Inner Loop Header: Depth=2
	global_load_b64 v[26:27], v[28:29], off scope:SCOPE_DEV
	s_wait_loadcnt 0x0
	v_and_b32_e32 v52, 0xff, v27
	s_delay_alu instid0(VALU_DEP_1)
	v_cmp_ne_u16_e32 vcc_lo, 0, v52
	s_or_b32 s18, vcc_lo, s18
	s_wait_xcnt 0x0
	s_and_not1_b32 exec_lo, exec_lo, s18
	s_cbranch_execnz .LBB587_190
; %bb.191:                              ;   in Loop: Header=BB587_187 Depth=1
	s_or_b32 exec_lo, exec_lo, s18
	s_branch .LBB587_185
.LBB587_192:
	s_and_saveexec_b32 s9, s7
	s_cbranch_execz .LBB587_194
; %bb.193:
	s_add_co_i32 s18, s22, 32
	v_dual_mov_b32 v25, 2 :: v_dual_add_nc_u32 v24, v23, v22
	v_dual_mov_b32 v26, s18 :: v_dual_mov_b32 v27, 0
	global_store_b64 v26, v[24:25], s[10:11] scale_offset scope:SCOPE_DEV
	ds_store_b64 v27, v[22:23] offset:28672
.LBB587_194:
	s_wait_xcnt 0x0
	s_or_b32 exec_lo, exec_lo, s9
	s_delay_alu instid0(SALU_CYCLE_1)
	s_and_b32 exec_lo, exec_lo, s2
; %bb.195:
	v_mov_b32_e32 v22, 0
	ds_store_b32 v22, v23 offset:60
.LBB587_196:
	s_or_b32 exec_lo, exec_lo, s8
	s_wait_dscnt 0x0
	v_dual_mov_b32 v22, 0 :: v_dual_cndmask_b32 v24, v41, v40, s7
	s_wait_storecnt 0x0
	s_barrier_signal -1
	s_barrier_wait -1
	ds_load_b32 v23, v22 offset:60
	v_cndmask_b32_e64 v24, v24, 0, s2
	s_wait_dscnt 0x0
	s_barrier_signal -1
	s_barrier_wait -1
	s_mov_b32 s7, 0
	v_add_nc_u32_e32 v41, v23, v24
	ds_load_b64 v[22:23], v22 offset:28672
	v_add_nc_u32_e32 v40, v41, v1
	s_delay_alu instid0(VALU_DEP_1) | instskip(NEXT) | instid1(VALU_DEP_1)
	v_add_nc_u32_e32 v29, v40, v21
	v_add_nc_u32_e32 v28, v29, v33
	s_wait_dscnt 0x0
	s_delay_alu instid0(VALU_DEP_1) | instskip(NEXT) | instid1(VALU_DEP_1)
	v_dual_mov_b32 v24, v23 :: v_dual_add_nc_u32 v27, v28, v34
	v_add_nc_u32_e32 v26, v27, v35
	s_delay_alu instid0(VALU_DEP_1)
	v_add_nc_u32_e32 v25, v26, v36
.LBB587_197:
	s_and_b32 vcc_lo, exec_lo, s7
	s_cbranch_vccz .LBB587_207
; %bb.198:
	v_mov_b32_dpp v22, v39 row_shr:1 row_mask:0xf bank_mask:0xf
	s_delay_alu instid0(VALU_DEP_1) | instskip(NEXT) | instid1(VALU_DEP_1)
	v_cndmask_b32_e64 v22, v22, 0, s0
	v_add_nc_u32_e32 v22, v22, v39
	s_delay_alu instid0(VALU_DEP_1) | instskip(NEXT) | instid1(VALU_DEP_1)
	v_mov_b32_dpp v23, v22 row_shr:2 row_mask:0xf bank_mask:0xf
	v_cndmask_b32_e64 v23, 0, v23, s3
	s_delay_alu instid0(VALU_DEP_1) | instskip(NEXT) | instid1(VALU_DEP_1)
	v_add_nc_u32_e32 v22, v22, v23
	v_mov_b32_dpp v23, v22 row_shr:4 row_mask:0xf bank_mask:0xf
	s_delay_alu instid0(VALU_DEP_1) | instskip(NEXT) | instid1(VALU_DEP_1)
	v_cndmask_b32_e64 v23, 0, v23, s4
	v_add_nc_u32_e32 v22, v22, v23
	s_delay_alu instid0(VALU_DEP_1) | instskip(NEXT) | instid1(VALU_DEP_1)
	v_mov_b32_dpp v23, v22 row_shr:8 row_mask:0xf bank_mask:0xf
	v_cndmask_b32_e64 v23, 0, v23, s1
	s_delay_alu instid0(VALU_DEP_1) | instskip(SKIP_3) | instid1(VALU_DEP_1)
	v_add_nc_u32_e32 v22, v22, v23
	ds_swizzle_b32 v23, v22 offset:swizzle(BROADCAST,32,15)
	s_wait_dscnt 0x0
	v_cndmask_b32_e64 v23, v23, 0, s6
	v_add_nc_u32_e32 v22, v22, v23
	s_and_saveexec_b32 s6, s5
; %bb.199:
	v_lshlrev_b32_e32 v23, 2, v38
	ds_store_b32 v23, v22
; %bb.200:
	s_or_b32 exec_lo, exec_lo, s6
	s_delay_alu instid0(SALU_CYCLE_1)
	s_mov_b32 s5, exec_lo
	s_wait_dscnt 0x0
	s_barrier_signal -1
	s_barrier_wait -1
	v_cmpx_gt_u32_e32 16, v0
	s_cbranch_execz .LBB587_202
; %bb.201:
	v_lshlrev_b32_e32 v23, 2, v0
	ds_load_b32 v24, v23
	s_wait_dscnt 0x0
	v_mov_b32_dpp v25, v24 row_shr:1 row_mask:0xf bank_mask:0xf
	s_delay_alu instid0(VALU_DEP_1) | instskip(NEXT) | instid1(VALU_DEP_1)
	v_cndmask_b32_e64 v25, v25, 0, s0
	v_add_nc_u32_e32 v24, v25, v24
	s_delay_alu instid0(VALU_DEP_1) | instskip(NEXT) | instid1(VALU_DEP_1)
	v_mov_b32_dpp v25, v24 row_shr:2 row_mask:0xf bank_mask:0xf
	v_cndmask_b32_e64 v25, 0, v25, s3
	s_delay_alu instid0(VALU_DEP_1) | instskip(NEXT) | instid1(VALU_DEP_1)
	v_add_nc_u32_e32 v24, v24, v25
	v_mov_b32_dpp v25, v24 row_shr:4 row_mask:0xf bank_mask:0xf
	s_delay_alu instid0(VALU_DEP_1) | instskip(NEXT) | instid1(VALU_DEP_1)
	v_cndmask_b32_e64 v25, 0, v25, s4
	v_add_nc_u32_e32 v24, v24, v25
	s_delay_alu instid0(VALU_DEP_1) | instskip(NEXT) | instid1(VALU_DEP_1)
	v_mov_b32_dpp v25, v24 row_shr:8 row_mask:0xf bank_mask:0xf
	v_cndmask_b32_e64 v25, 0, v25, s1
	s_delay_alu instid0(VALU_DEP_1)
	v_add_nc_u32_e32 v24, v24, v25
	ds_store_b32 v23, v24
.LBB587_202:
	s_or_b32 exec_lo, exec_lo, s5
	v_dual_mov_b32 v23, 0 :: v_dual_mov_b32 v24, 0
	s_mov_b32 s0, exec_lo
	s_wait_dscnt 0x0
	s_barrier_signal -1
	s_barrier_wait -1
	v_cmpx_lt_u32_e32 31, v0
; %bb.203:
	v_lshl_add_u32 v24, v38, 2, -4
	ds_load_b32 v24, v24
; %bb.204:
	s_or_b32 exec_lo, exec_lo, s0
	v_sub_co_u32 v25, vcc_lo, v37, 1
	s_wait_dscnt 0x0
	v_add_nc_u32_e32 v22, v24, v22
	s_delay_alu instid0(VALU_DEP_2) | instskip(NEXT) | instid1(VALU_DEP_1)
	v_cmp_gt_i32_e64 s0, 0, v25
	v_cndmask_b32_e64 v25, v25, v37, s0
	s_delay_alu instid0(VALU_DEP_1)
	v_lshlrev_b32_e32 v25, 2, v25
	ds_bpermute_b32 v25, v25, v22
	ds_load_b32 v22, v23 offset:60
	s_and_saveexec_b32 s0, s2
	s_cbranch_execz .LBB587_206
; %bb.205:
	v_dual_mov_b32 v26, 0 :: v_dual_mov_b32 v23, 2
	s_wait_dscnt 0x0
	global_store_b64 v26, v[22:23], s[10:11] offset:256 scope:SCOPE_DEV
.LBB587_206:
	s_wait_xcnt 0x0
	s_or_b32 exec_lo, exec_lo, s0
	s_wait_dscnt 0x1
	v_cndmask_b32_e32 v23, v25, v24, vcc_lo
	s_wait_storecnt_dscnt 0x0
	s_barrier_signal -1
	s_barrier_wait -1
	s_delay_alu instid0(VALU_DEP_1) | instskip(NEXT) | instid1(VALU_DEP_1)
	v_cndmask_b32_e64 v41, v23, 0, s2
	v_dual_mov_b32 v24, 0 :: v_dual_add_nc_u32 v40, v41, v1
	s_delay_alu instid0(VALU_DEP_1) | instskip(NEXT) | instid1(VALU_DEP_1)
	v_add_nc_u32_e32 v29, v40, v21
	v_add_nc_u32_e32 v28, v29, v33
	s_delay_alu instid0(VALU_DEP_1) | instskip(NEXT) | instid1(VALU_DEP_1)
	v_add_nc_u32_e32 v27, v28, v34
	v_add_nc_u32_e32 v26, v27, v35
	s_delay_alu instid0(VALU_DEP_1)
	v_add_nc_u32_e32 v25, v26, v36
.LBB587_207:
	v_and_b32_e32 v1, 1, v16
	v_cmp_gt_u32_e32 vcc_lo, 0x201, v22
	s_mov_b32 s1, -1
	s_delay_alu instid0(VALU_DEP_2)
	v_cmp_eq_u32_e64 s0, 1, v1
	s_cbranch_vccnz .LBB587_211
; %bb.208:
	s_and_b32 vcc_lo, exec_lo, s1
	s_cbranch_vccnz .LBB587_226
.LBB587_209:
	s_and_b32 s0, s2, s16
	s_delay_alu instid0(SALU_CYCLE_1)
	s_and_saveexec_b32 s1, s0
	s_cbranch_execnz .LBB587_243
.LBB587_210:
	s_endpgm
.LBB587_211:
	v_add_nc_u32_e32 v16, v24, v22
	s_delay_alu instid0(VALU_DEP_1) | instskip(SKIP_1) | instid1(SALU_CYCLE_1)
	v_cmp_lt_u32_e32 vcc_lo, v41, v16
	s_or_b32 s1, s17, vcc_lo
	s_and_b32 s1, s1, s0
	s_delay_alu instid0(SALU_CYCLE_1)
	s_and_saveexec_b32 s0, s1
	s_cbranch_execz .LBB587_213
; %bb.212:
	s_lshl_b64 s[4:5], s[14:15], 3
	s_delay_alu instid0(SALU_CYCLE_1)
	s_add_nc_u64 s[4:5], s[20:21], s[4:5]
	global_store_b64 v41, v[10:11], s[4:5] scale_offset
.LBB587_213:
	s_wait_xcnt 0x0
	s_or_b32 exec_lo, exec_lo, s0
	v_and_b32_e32 v21, 1, v32
	v_cmp_lt_u32_e32 vcc_lo, v40, v16
	s_delay_alu instid0(VALU_DEP_2) | instskip(SKIP_1) | instid1(SALU_CYCLE_1)
	v_cmp_eq_u32_e64 s0, 1, v21
	s_or_b32 s1, s17, vcc_lo
	s_and_b32 s1, s1, s0
	s_delay_alu instid0(SALU_CYCLE_1)
	s_and_saveexec_b32 s0, s1
	s_cbranch_execz .LBB587_215
; %bb.214:
	s_lshl_b64 s[4:5], s[14:15], 3
	s_delay_alu instid0(SALU_CYCLE_1)
	s_add_nc_u64 s[4:5], s[20:21], s[4:5]
	global_store_b64 v40, v[12:13], s[4:5] scale_offset
.LBB587_215:
	s_wait_xcnt 0x0
	s_or_b32 exec_lo, exec_lo, s0
	v_and_b32_e32 v21, 1, v31
	v_cmp_lt_u32_e32 vcc_lo, v29, v16
	s_delay_alu instid0(VALU_DEP_2) | instskip(SKIP_1) | instid1(SALU_CYCLE_1)
	v_cmp_eq_u32_e64 s0, 1, v21
	;; [unrolled: 17-line block ×6, first 2 shown]
	s_or_b32 s1, s17, vcc_lo
	s_and_b32 s1, s1, s0
	s_delay_alu instid0(SALU_CYCLE_1)
	s_and_saveexec_b32 s0, s1
	s_cbranch_execz .LBB587_225
; %bb.224:
	s_lshl_b64 s[4:5], s[14:15], 3
	s_delay_alu instid0(SALU_CYCLE_1)
	s_add_nc_u64 s[4:5], s[20:21], s[4:5]
	global_store_b64 v25, v[14:15], s[4:5] scale_offset
.LBB587_225:
	s_wait_xcnt 0x0
	s_or_b32 exec_lo, exec_lo, s0
	s_branch .LBB587_209
.LBB587_226:
	s_mov_b32 s0, exec_lo
	v_cmpx_eq_u32_e32 1, v1
; %bb.227:
	v_sub_nc_u32_e32 v1, v41, v24
	s_delay_alu instid0(VALU_DEP_1)
	v_lshlrev_b32_e32 v1, 3, v1
	ds_store_b64 v1, v[10:11]
; %bb.228:
	s_or_b32 exec_lo, exec_lo, s0
	v_and_b32_e32 v1, 1, v32
	s_mov_b32 s0, exec_lo
	s_delay_alu instid0(VALU_DEP_1)
	v_cmpx_eq_u32_e32 1, v1
; %bb.229:
	v_sub_nc_u32_e32 v1, v40, v24
	s_delay_alu instid0(VALU_DEP_1)
	v_lshlrev_b32_e32 v1, 3, v1
	ds_store_b64 v1, v[12:13]
; %bb.230:
	s_or_b32 exec_lo, exec_lo, s0
	v_and_b32_e32 v1, 1, v31
	s_mov_b32 s0, exec_lo
	s_delay_alu instid0(VALU_DEP_1)
	;; [unrolled: 11-line block ×6, first 2 shown]
	v_cmpx_eq_u32_e32 1, v1
; %bb.239:
	v_sub_nc_u32_e32 v1, v25, v24
	s_delay_alu instid0(VALU_DEP_1)
	v_lshlrev_b32_e32 v1, 3, v1
	ds_store_b64 v1, v[14:15]
; %bb.240:
	s_or_b32 exec_lo, exec_lo, s0
	v_mov_b32_e32 v25, 0
	s_lshl_b64 s[0:1], s[14:15], 3
	s_wait_storecnt_dscnt 0x0
	s_barrier_signal -1
	s_barrier_wait -1
	v_lshlrev_b64_e32 v[2:3], 3, v[24:25]
	v_mov_b32_e32 v19, v25
	s_delay_alu instid0(VALU_DEP_2) | instskip(SKIP_1) | instid1(VALU_DEP_1)
	v_add_nc_u64_e32 v[2:3], s[0:1], v[2:3]
	s_mov_b32 s0, 0
	v_add_nc_u64_e32 v[2:3], s[20:21], v[2:3]
	s_delay_alu instid0(VALU_DEP_1)
	v_add_nc_u64_e32 v[2:3], v[2:3], v[18:19]
.LBB587_241:                            ; =>This Inner Loop Header: Depth=1
	ds_load_b64 v[4:5], v18
	v_add_nc_u32_e32 v0, 0x200, v0
	v_add_nc_u32_e32 v18, 0x1000, v18
	s_delay_alu instid0(VALU_DEP_2)
	v_cmp_ge_u32_e32 vcc_lo, v0, v22
	s_or_b32 s0, vcc_lo, s0
	s_wait_dscnt 0x0
	global_store_b64 v[2:3], v[4:5], off
	s_wait_xcnt 0x0
	v_add_nc_u64_e32 v[2:3], 0x1000, v[2:3]
	s_and_not1_b32 exec_lo, exec_lo, s0
	s_cbranch_execnz .LBB587_241
; %bb.242:
	s_or_b32 exec_lo, exec_lo, s0
	s_and_b32 s0, s2, s16
	s_delay_alu instid0(SALU_CYCLE_1)
	s_and_saveexec_b32 s1, s0
	s_cbranch_execz .LBB587_210
.LBB587_243:
	v_mov_b32_e32 v23, 0
	s_delay_alu instid0(VALU_DEP_1) | instskip(SKIP_1) | instid1(VALU_DEP_1)
	v_add_nc_u64_e32 v[0:1], s[14:15], v[22:23]
	v_mov_b32_e32 v25, v23
	v_add_nc_u64_e32 v[0:1], v[0:1], v[24:25]
	global_store_b64 v23, v[0:1], s[12:13]
	s_endpgm
	.section	.rodata,"a",@progbits
	.p2align	6, 0x0
	.amdhsa_kernel _ZN7rocprim17ROCPRIM_400000_NS6detail17trampoline_kernelINS0_14default_configENS1_25partition_config_selectorILNS1_17partition_subalgoE8ElNS0_10empty_typeEbEEZZNS1_14partition_implILS5_8ELb0ES3_jPlPS6_PKS6_NS0_5tupleIJS9_S6_EEENSD_IJSA_SA_EEENS0_18inequality_wrapperIZN2at6native12_GLOBAL__N_124unique_dim_cuda_templateIlEESt5tupleIJNSH_6TensorESM_SM_EERKSM_lbbbEUlllE0_EEPmJS6_EEE10hipError_tPvRmT3_T4_T5_T6_T7_T9_mT8_P12ihipStream_tbDpT10_ENKUlT_T0_E_clISt17integral_constantIbLb0EES1B_IbLb1EEEEDaS17_S18_EUlS17_E_NS1_11comp_targetILNS1_3genE0ELNS1_11target_archE4294967295ELNS1_3gpuE0ELNS1_3repE0EEENS1_30default_config_static_selectorELNS0_4arch9wavefront6targetE0EEEvT1_
		.amdhsa_group_segment_fixed_size 28680
		.amdhsa_private_segment_fixed_size 0
		.amdhsa_kernarg_size 136
		.amdhsa_user_sgpr_count 2
		.amdhsa_user_sgpr_dispatch_ptr 0
		.amdhsa_user_sgpr_queue_ptr 0
		.amdhsa_user_sgpr_kernarg_segment_ptr 1
		.amdhsa_user_sgpr_dispatch_id 0
		.amdhsa_user_sgpr_kernarg_preload_length 0
		.amdhsa_user_sgpr_kernarg_preload_offset 0
		.amdhsa_user_sgpr_private_segment_size 0
		.amdhsa_wavefront_size32 1
		.amdhsa_uses_dynamic_stack 0
		.amdhsa_enable_private_segment 0
		.amdhsa_system_sgpr_workgroup_id_x 1
		.amdhsa_system_sgpr_workgroup_id_y 0
		.amdhsa_system_sgpr_workgroup_id_z 0
		.amdhsa_system_sgpr_workgroup_info 0
		.amdhsa_system_vgpr_workitem_id 0
		.amdhsa_next_free_vgpr 53
		.amdhsa_next_free_sgpr 36
		.amdhsa_named_barrier_count 0
		.amdhsa_reserve_vcc 1
		.amdhsa_float_round_mode_32 0
		.amdhsa_float_round_mode_16_64 0
		.amdhsa_float_denorm_mode_32 3
		.amdhsa_float_denorm_mode_16_64 3
		.amdhsa_fp16_overflow 0
		.amdhsa_memory_ordered 1
		.amdhsa_forward_progress 1
		.amdhsa_inst_pref_size 83
		.amdhsa_round_robin_scheduling 0
		.amdhsa_exception_fp_ieee_invalid_op 0
		.amdhsa_exception_fp_denorm_src 0
		.amdhsa_exception_fp_ieee_div_zero 0
		.amdhsa_exception_fp_ieee_overflow 0
		.amdhsa_exception_fp_ieee_underflow 0
		.amdhsa_exception_fp_ieee_inexact 0
		.amdhsa_exception_int_div_zero 0
	.end_amdhsa_kernel
	.section	.text._ZN7rocprim17ROCPRIM_400000_NS6detail17trampoline_kernelINS0_14default_configENS1_25partition_config_selectorILNS1_17partition_subalgoE8ElNS0_10empty_typeEbEEZZNS1_14partition_implILS5_8ELb0ES3_jPlPS6_PKS6_NS0_5tupleIJS9_S6_EEENSD_IJSA_SA_EEENS0_18inequality_wrapperIZN2at6native12_GLOBAL__N_124unique_dim_cuda_templateIlEESt5tupleIJNSH_6TensorESM_SM_EERKSM_lbbbEUlllE0_EEPmJS6_EEE10hipError_tPvRmT3_T4_T5_T6_T7_T9_mT8_P12ihipStream_tbDpT10_ENKUlT_T0_E_clISt17integral_constantIbLb0EES1B_IbLb1EEEEDaS17_S18_EUlS17_E_NS1_11comp_targetILNS1_3genE0ELNS1_11target_archE4294967295ELNS1_3gpuE0ELNS1_3repE0EEENS1_30default_config_static_selectorELNS0_4arch9wavefront6targetE0EEEvT1_,"axG",@progbits,_ZN7rocprim17ROCPRIM_400000_NS6detail17trampoline_kernelINS0_14default_configENS1_25partition_config_selectorILNS1_17partition_subalgoE8ElNS0_10empty_typeEbEEZZNS1_14partition_implILS5_8ELb0ES3_jPlPS6_PKS6_NS0_5tupleIJS9_S6_EEENSD_IJSA_SA_EEENS0_18inequality_wrapperIZN2at6native12_GLOBAL__N_124unique_dim_cuda_templateIlEESt5tupleIJNSH_6TensorESM_SM_EERKSM_lbbbEUlllE0_EEPmJS6_EEE10hipError_tPvRmT3_T4_T5_T6_T7_T9_mT8_P12ihipStream_tbDpT10_ENKUlT_T0_E_clISt17integral_constantIbLb0EES1B_IbLb1EEEEDaS17_S18_EUlS17_E_NS1_11comp_targetILNS1_3genE0ELNS1_11target_archE4294967295ELNS1_3gpuE0ELNS1_3repE0EEENS1_30default_config_static_selectorELNS0_4arch9wavefront6targetE0EEEvT1_,comdat
.Lfunc_end587:
	.size	_ZN7rocprim17ROCPRIM_400000_NS6detail17trampoline_kernelINS0_14default_configENS1_25partition_config_selectorILNS1_17partition_subalgoE8ElNS0_10empty_typeEbEEZZNS1_14partition_implILS5_8ELb0ES3_jPlPS6_PKS6_NS0_5tupleIJS9_S6_EEENSD_IJSA_SA_EEENS0_18inequality_wrapperIZN2at6native12_GLOBAL__N_124unique_dim_cuda_templateIlEESt5tupleIJNSH_6TensorESM_SM_EERKSM_lbbbEUlllE0_EEPmJS6_EEE10hipError_tPvRmT3_T4_T5_T6_T7_T9_mT8_P12ihipStream_tbDpT10_ENKUlT_T0_E_clISt17integral_constantIbLb0EES1B_IbLb1EEEEDaS17_S18_EUlS17_E_NS1_11comp_targetILNS1_3genE0ELNS1_11target_archE4294967295ELNS1_3gpuE0ELNS1_3repE0EEENS1_30default_config_static_selectorELNS0_4arch9wavefront6targetE0EEEvT1_, .Lfunc_end587-_ZN7rocprim17ROCPRIM_400000_NS6detail17trampoline_kernelINS0_14default_configENS1_25partition_config_selectorILNS1_17partition_subalgoE8ElNS0_10empty_typeEbEEZZNS1_14partition_implILS5_8ELb0ES3_jPlPS6_PKS6_NS0_5tupleIJS9_S6_EEENSD_IJSA_SA_EEENS0_18inequality_wrapperIZN2at6native12_GLOBAL__N_124unique_dim_cuda_templateIlEESt5tupleIJNSH_6TensorESM_SM_EERKSM_lbbbEUlllE0_EEPmJS6_EEE10hipError_tPvRmT3_T4_T5_T6_T7_T9_mT8_P12ihipStream_tbDpT10_ENKUlT_T0_E_clISt17integral_constantIbLb0EES1B_IbLb1EEEEDaS17_S18_EUlS17_E_NS1_11comp_targetILNS1_3genE0ELNS1_11target_archE4294967295ELNS1_3gpuE0ELNS1_3repE0EEENS1_30default_config_static_selectorELNS0_4arch9wavefront6targetE0EEEvT1_
                                        ; -- End function
	.set _ZN7rocprim17ROCPRIM_400000_NS6detail17trampoline_kernelINS0_14default_configENS1_25partition_config_selectorILNS1_17partition_subalgoE8ElNS0_10empty_typeEbEEZZNS1_14partition_implILS5_8ELb0ES3_jPlPS6_PKS6_NS0_5tupleIJS9_S6_EEENSD_IJSA_SA_EEENS0_18inequality_wrapperIZN2at6native12_GLOBAL__N_124unique_dim_cuda_templateIlEESt5tupleIJNSH_6TensorESM_SM_EERKSM_lbbbEUlllE0_EEPmJS6_EEE10hipError_tPvRmT3_T4_T5_T6_T7_T9_mT8_P12ihipStream_tbDpT10_ENKUlT_T0_E_clISt17integral_constantIbLb0EES1B_IbLb1EEEEDaS17_S18_EUlS17_E_NS1_11comp_targetILNS1_3genE0ELNS1_11target_archE4294967295ELNS1_3gpuE0ELNS1_3repE0EEENS1_30default_config_static_selectorELNS0_4arch9wavefront6targetE0EEEvT1_.num_vgpr, 53
	.set _ZN7rocprim17ROCPRIM_400000_NS6detail17trampoline_kernelINS0_14default_configENS1_25partition_config_selectorILNS1_17partition_subalgoE8ElNS0_10empty_typeEbEEZZNS1_14partition_implILS5_8ELb0ES3_jPlPS6_PKS6_NS0_5tupleIJS9_S6_EEENSD_IJSA_SA_EEENS0_18inequality_wrapperIZN2at6native12_GLOBAL__N_124unique_dim_cuda_templateIlEESt5tupleIJNSH_6TensorESM_SM_EERKSM_lbbbEUlllE0_EEPmJS6_EEE10hipError_tPvRmT3_T4_T5_T6_T7_T9_mT8_P12ihipStream_tbDpT10_ENKUlT_T0_E_clISt17integral_constantIbLb0EES1B_IbLb1EEEEDaS17_S18_EUlS17_E_NS1_11comp_targetILNS1_3genE0ELNS1_11target_archE4294967295ELNS1_3gpuE0ELNS1_3repE0EEENS1_30default_config_static_selectorELNS0_4arch9wavefront6targetE0EEEvT1_.num_agpr, 0
	.set _ZN7rocprim17ROCPRIM_400000_NS6detail17trampoline_kernelINS0_14default_configENS1_25partition_config_selectorILNS1_17partition_subalgoE8ElNS0_10empty_typeEbEEZZNS1_14partition_implILS5_8ELb0ES3_jPlPS6_PKS6_NS0_5tupleIJS9_S6_EEENSD_IJSA_SA_EEENS0_18inequality_wrapperIZN2at6native12_GLOBAL__N_124unique_dim_cuda_templateIlEESt5tupleIJNSH_6TensorESM_SM_EERKSM_lbbbEUlllE0_EEPmJS6_EEE10hipError_tPvRmT3_T4_T5_T6_T7_T9_mT8_P12ihipStream_tbDpT10_ENKUlT_T0_E_clISt17integral_constantIbLb0EES1B_IbLb1EEEEDaS17_S18_EUlS17_E_NS1_11comp_targetILNS1_3genE0ELNS1_11target_archE4294967295ELNS1_3gpuE0ELNS1_3repE0EEENS1_30default_config_static_selectorELNS0_4arch9wavefront6targetE0EEEvT1_.numbered_sgpr, 36
	.set _ZN7rocprim17ROCPRIM_400000_NS6detail17trampoline_kernelINS0_14default_configENS1_25partition_config_selectorILNS1_17partition_subalgoE8ElNS0_10empty_typeEbEEZZNS1_14partition_implILS5_8ELb0ES3_jPlPS6_PKS6_NS0_5tupleIJS9_S6_EEENSD_IJSA_SA_EEENS0_18inequality_wrapperIZN2at6native12_GLOBAL__N_124unique_dim_cuda_templateIlEESt5tupleIJNSH_6TensorESM_SM_EERKSM_lbbbEUlllE0_EEPmJS6_EEE10hipError_tPvRmT3_T4_T5_T6_T7_T9_mT8_P12ihipStream_tbDpT10_ENKUlT_T0_E_clISt17integral_constantIbLb0EES1B_IbLb1EEEEDaS17_S18_EUlS17_E_NS1_11comp_targetILNS1_3genE0ELNS1_11target_archE4294967295ELNS1_3gpuE0ELNS1_3repE0EEENS1_30default_config_static_selectorELNS0_4arch9wavefront6targetE0EEEvT1_.num_named_barrier, 0
	.set _ZN7rocprim17ROCPRIM_400000_NS6detail17trampoline_kernelINS0_14default_configENS1_25partition_config_selectorILNS1_17partition_subalgoE8ElNS0_10empty_typeEbEEZZNS1_14partition_implILS5_8ELb0ES3_jPlPS6_PKS6_NS0_5tupleIJS9_S6_EEENSD_IJSA_SA_EEENS0_18inequality_wrapperIZN2at6native12_GLOBAL__N_124unique_dim_cuda_templateIlEESt5tupleIJNSH_6TensorESM_SM_EERKSM_lbbbEUlllE0_EEPmJS6_EEE10hipError_tPvRmT3_T4_T5_T6_T7_T9_mT8_P12ihipStream_tbDpT10_ENKUlT_T0_E_clISt17integral_constantIbLb0EES1B_IbLb1EEEEDaS17_S18_EUlS17_E_NS1_11comp_targetILNS1_3genE0ELNS1_11target_archE4294967295ELNS1_3gpuE0ELNS1_3repE0EEENS1_30default_config_static_selectorELNS0_4arch9wavefront6targetE0EEEvT1_.private_seg_size, 0
	.set _ZN7rocprim17ROCPRIM_400000_NS6detail17trampoline_kernelINS0_14default_configENS1_25partition_config_selectorILNS1_17partition_subalgoE8ElNS0_10empty_typeEbEEZZNS1_14partition_implILS5_8ELb0ES3_jPlPS6_PKS6_NS0_5tupleIJS9_S6_EEENSD_IJSA_SA_EEENS0_18inequality_wrapperIZN2at6native12_GLOBAL__N_124unique_dim_cuda_templateIlEESt5tupleIJNSH_6TensorESM_SM_EERKSM_lbbbEUlllE0_EEPmJS6_EEE10hipError_tPvRmT3_T4_T5_T6_T7_T9_mT8_P12ihipStream_tbDpT10_ENKUlT_T0_E_clISt17integral_constantIbLb0EES1B_IbLb1EEEEDaS17_S18_EUlS17_E_NS1_11comp_targetILNS1_3genE0ELNS1_11target_archE4294967295ELNS1_3gpuE0ELNS1_3repE0EEENS1_30default_config_static_selectorELNS0_4arch9wavefront6targetE0EEEvT1_.uses_vcc, 1
	.set _ZN7rocprim17ROCPRIM_400000_NS6detail17trampoline_kernelINS0_14default_configENS1_25partition_config_selectorILNS1_17partition_subalgoE8ElNS0_10empty_typeEbEEZZNS1_14partition_implILS5_8ELb0ES3_jPlPS6_PKS6_NS0_5tupleIJS9_S6_EEENSD_IJSA_SA_EEENS0_18inequality_wrapperIZN2at6native12_GLOBAL__N_124unique_dim_cuda_templateIlEESt5tupleIJNSH_6TensorESM_SM_EERKSM_lbbbEUlllE0_EEPmJS6_EEE10hipError_tPvRmT3_T4_T5_T6_T7_T9_mT8_P12ihipStream_tbDpT10_ENKUlT_T0_E_clISt17integral_constantIbLb0EES1B_IbLb1EEEEDaS17_S18_EUlS17_E_NS1_11comp_targetILNS1_3genE0ELNS1_11target_archE4294967295ELNS1_3gpuE0ELNS1_3repE0EEENS1_30default_config_static_selectorELNS0_4arch9wavefront6targetE0EEEvT1_.uses_flat_scratch, 0
	.set _ZN7rocprim17ROCPRIM_400000_NS6detail17trampoline_kernelINS0_14default_configENS1_25partition_config_selectorILNS1_17partition_subalgoE8ElNS0_10empty_typeEbEEZZNS1_14partition_implILS5_8ELb0ES3_jPlPS6_PKS6_NS0_5tupleIJS9_S6_EEENSD_IJSA_SA_EEENS0_18inequality_wrapperIZN2at6native12_GLOBAL__N_124unique_dim_cuda_templateIlEESt5tupleIJNSH_6TensorESM_SM_EERKSM_lbbbEUlllE0_EEPmJS6_EEE10hipError_tPvRmT3_T4_T5_T6_T7_T9_mT8_P12ihipStream_tbDpT10_ENKUlT_T0_E_clISt17integral_constantIbLb0EES1B_IbLb1EEEEDaS17_S18_EUlS17_E_NS1_11comp_targetILNS1_3genE0ELNS1_11target_archE4294967295ELNS1_3gpuE0ELNS1_3repE0EEENS1_30default_config_static_selectorELNS0_4arch9wavefront6targetE0EEEvT1_.has_dyn_sized_stack, 0
	.set _ZN7rocprim17ROCPRIM_400000_NS6detail17trampoline_kernelINS0_14default_configENS1_25partition_config_selectorILNS1_17partition_subalgoE8ElNS0_10empty_typeEbEEZZNS1_14partition_implILS5_8ELb0ES3_jPlPS6_PKS6_NS0_5tupleIJS9_S6_EEENSD_IJSA_SA_EEENS0_18inequality_wrapperIZN2at6native12_GLOBAL__N_124unique_dim_cuda_templateIlEESt5tupleIJNSH_6TensorESM_SM_EERKSM_lbbbEUlllE0_EEPmJS6_EEE10hipError_tPvRmT3_T4_T5_T6_T7_T9_mT8_P12ihipStream_tbDpT10_ENKUlT_T0_E_clISt17integral_constantIbLb0EES1B_IbLb1EEEEDaS17_S18_EUlS17_E_NS1_11comp_targetILNS1_3genE0ELNS1_11target_archE4294967295ELNS1_3gpuE0ELNS1_3repE0EEENS1_30default_config_static_selectorELNS0_4arch9wavefront6targetE0EEEvT1_.has_recursion, 0
	.set _ZN7rocprim17ROCPRIM_400000_NS6detail17trampoline_kernelINS0_14default_configENS1_25partition_config_selectorILNS1_17partition_subalgoE8ElNS0_10empty_typeEbEEZZNS1_14partition_implILS5_8ELb0ES3_jPlPS6_PKS6_NS0_5tupleIJS9_S6_EEENSD_IJSA_SA_EEENS0_18inequality_wrapperIZN2at6native12_GLOBAL__N_124unique_dim_cuda_templateIlEESt5tupleIJNSH_6TensorESM_SM_EERKSM_lbbbEUlllE0_EEPmJS6_EEE10hipError_tPvRmT3_T4_T5_T6_T7_T9_mT8_P12ihipStream_tbDpT10_ENKUlT_T0_E_clISt17integral_constantIbLb0EES1B_IbLb1EEEEDaS17_S18_EUlS17_E_NS1_11comp_targetILNS1_3genE0ELNS1_11target_archE4294967295ELNS1_3gpuE0ELNS1_3repE0EEENS1_30default_config_static_selectorELNS0_4arch9wavefront6targetE0EEEvT1_.has_indirect_call, 0
	.section	.AMDGPU.csdata,"",@progbits
; Kernel info:
; codeLenInByte = 10604
; TotalNumSgprs: 38
; NumVgprs: 53
; ScratchSize: 0
; MemoryBound: 0
; FloatMode: 240
; IeeeMode: 1
; LDSByteSize: 28680 bytes/workgroup (compile time only)
; SGPRBlocks: 0
; VGPRBlocks: 3
; NumSGPRsForWavesPerEU: 38
; NumVGPRsForWavesPerEU: 53
; NamedBarCnt: 0
; Occupancy: 16
; WaveLimiterHint : 1
; COMPUTE_PGM_RSRC2:SCRATCH_EN: 0
; COMPUTE_PGM_RSRC2:USER_SGPR: 2
; COMPUTE_PGM_RSRC2:TRAP_HANDLER: 0
; COMPUTE_PGM_RSRC2:TGID_X_EN: 1
; COMPUTE_PGM_RSRC2:TGID_Y_EN: 0
; COMPUTE_PGM_RSRC2:TGID_Z_EN: 0
; COMPUTE_PGM_RSRC2:TIDIG_COMP_CNT: 0
	.section	.text._ZN7rocprim17ROCPRIM_400000_NS6detail17trampoline_kernelINS0_14default_configENS1_25partition_config_selectorILNS1_17partition_subalgoE8ElNS0_10empty_typeEbEEZZNS1_14partition_implILS5_8ELb0ES3_jPlPS6_PKS6_NS0_5tupleIJS9_S6_EEENSD_IJSA_SA_EEENS0_18inequality_wrapperIZN2at6native12_GLOBAL__N_124unique_dim_cuda_templateIlEESt5tupleIJNSH_6TensorESM_SM_EERKSM_lbbbEUlllE0_EEPmJS6_EEE10hipError_tPvRmT3_T4_T5_T6_T7_T9_mT8_P12ihipStream_tbDpT10_ENKUlT_T0_E_clISt17integral_constantIbLb0EES1B_IbLb1EEEEDaS17_S18_EUlS17_E_NS1_11comp_targetILNS1_3genE5ELNS1_11target_archE942ELNS1_3gpuE9ELNS1_3repE0EEENS1_30default_config_static_selectorELNS0_4arch9wavefront6targetE0EEEvT1_,"axG",@progbits,_ZN7rocprim17ROCPRIM_400000_NS6detail17trampoline_kernelINS0_14default_configENS1_25partition_config_selectorILNS1_17partition_subalgoE8ElNS0_10empty_typeEbEEZZNS1_14partition_implILS5_8ELb0ES3_jPlPS6_PKS6_NS0_5tupleIJS9_S6_EEENSD_IJSA_SA_EEENS0_18inequality_wrapperIZN2at6native12_GLOBAL__N_124unique_dim_cuda_templateIlEESt5tupleIJNSH_6TensorESM_SM_EERKSM_lbbbEUlllE0_EEPmJS6_EEE10hipError_tPvRmT3_T4_T5_T6_T7_T9_mT8_P12ihipStream_tbDpT10_ENKUlT_T0_E_clISt17integral_constantIbLb0EES1B_IbLb1EEEEDaS17_S18_EUlS17_E_NS1_11comp_targetILNS1_3genE5ELNS1_11target_archE942ELNS1_3gpuE9ELNS1_3repE0EEENS1_30default_config_static_selectorELNS0_4arch9wavefront6targetE0EEEvT1_,comdat
	.globl	_ZN7rocprim17ROCPRIM_400000_NS6detail17trampoline_kernelINS0_14default_configENS1_25partition_config_selectorILNS1_17partition_subalgoE8ElNS0_10empty_typeEbEEZZNS1_14partition_implILS5_8ELb0ES3_jPlPS6_PKS6_NS0_5tupleIJS9_S6_EEENSD_IJSA_SA_EEENS0_18inequality_wrapperIZN2at6native12_GLOBAL__N_124unique_dim_cuda_templateIlEESt5tupleIJNSH_6TensorESM_SM_EERKSM_lbbbEUlllE0_EEPmJS6_EEE10hipError_tPvRmT3_T4_T5_T6_T7_T9_mT8_P12ihipStream_tbDpT10_ENKUlT_T0_E_clISt17integral_constantIbLb0EES1B_IbLb1EEEEDaS17_S18_EUlS17_E_NS1_11comp_targetILNS1_3genE5ELNS1_11target_archE942ELNS1_3gpuE9ELNS1_3repE0EEENS1_30default_config_static_selectorELNS0_4arch9wavefront6targetE0EEEvT1_ ; -- Begin function _ZN7rocprim17ROCPRIM_400000_NS6detail17trampoline_kernelINS0_14default_configENS1_25partition_config_selectorILNS1_17partition_subalgoE8ElNS0_10empty_typeEbEEZZNS1_14partition_implILS5_8ELb0ES3_jPlPS6_PKS6_NS0_5tupleIJS9_S6_EEENSD_IJSA_SA_EEENS0_18inequality_wrapperIZN2at6native12_GLOBAL__N_124unique_dim_cuda_templateIlEESt5tupleIJNSH_6TensorESM_SM_EERKSM_lbbbEUlllE0_EEPmJS6_EEE10hipError_tPvRmT3_T4_T5_T6_T7_T9_mT8_P12ihipStream_tbDpT10_ENKUlT_T0_E_clISt17integral_constantIbLb0EES1B_IbLb1EEEEDaS17_S18_EUlS17_E_NS1_11comp_targetILNS1_3genE5ELNS1_11target_archE942ELNS1_3gpuE9ELNS1_3repE0EEENS1_30default_config_static_selectorELNS0_4arch9wavefront6targetE0EEEvT1_
	.p2align	8
	.type	_ZN7rocprim17ROCPRIM_400000_NS6detail17trampoline_kernelINS0_14default_configENS1_25partition_config_selectorILNS1_17partition_subalgoE8ElNS0_10empty_typeEbEEZZNS1_14partition_implILS5_8ELb0ES3_jPlPS6_PKS6_NS0_5tupleIJS9_S6_EEENSD_IJSA_SA_EEENS0_18inequality_wrapperIZN2at6native12_GLOBAL__N_124unique_dim_cuda_templateIlEESt5tupleIJNSH_6TensorESM_SM_EERKSM_lbbbEUlllE0_EEPmJS6_EEE10hipError_tPvRmT3_T4_T5_T6_T7_T9_mT8_P12ihipStream_tbDpT10_ENKUlT_T0_E_clISt17integral_constantIbLb0EES1B_IbLb1EEEEDaS17_S18_EUlS17_E_NS1_11comp_targetILNS1_3genE5ELNS1_11target_archE942ELNS1_3gpuE9ELNS1_3repE0EEENS1_30default_config_static_selectorELNS0_4arch9wavefront6targetE0EEEvT1_,@function
_ZN7rocprim17ROCPRIM_400000_NS6detail17trampoline_kernelINS0_14default_configENS1_25partition_config_selectorILNS1_17partition_subalgoE8ElNS0_10empty_typeEbEEZZNS1_14partition_implILS5_8ELb0ES3_jPlPS6_PKS6_NS0_5tupleIJS9_S6_EEENSD_IJSA_SA_EEENS0_18inequality_wrapperIZN2at6native12_GLOBAL__N_124unique_dim_cuda_templateIlEESt5tupleIJNSH_6TensorESM_SM_EERKSM_lbbbEUlllE0_EEPmJS6_EEE10hipError_tPvRmT3_T4_T5_T6_T7_T9_mT8_P12ihipStream_tbDpT10_ENKUlT_T0_E_clISt17integral_constantIbLb0EES1B_IbLb1EEEEDaS17_S18_EUlS17_E_NS1_11comp_targetILNS1_3genE5ELNS1_11target_archE942ELNS1_3gpuE9ELNS1_3repE0EEENS1_30default_config_static_selectorELNS0_4arch9wavefront6targetE0EEEvT1_: ; @_ZN7rocprim17ROCPRIM_400000_NS6detail17trampoline_kernelINS0_14default_configENS1_25partition_config_selectorILNS1_17partition_subalgoE8ElNS0_10empty_typeEbEEZZNS1_14partition_implILS5_8ELb0ES3_jPlPS6_PKS6_NS0_5tupleIJS9_S6_EEENSD_IJSA_SA_EEENS0_18inequality_wrapperIZN2at6native12_GLOBAL__N_124unique_dim_cuda_templateIlEESt5tupleIJNSH_6TensorESM_SM_EERKSM_lbbbEUlllE0_EEPmJS6_EEE10hipError_tPvRmT3_T4_T5_T6_T7_T9_mT8_P12ihipStream_tbDpT10_ENKUlT_T0_E_clISt17integral_constantIbLb0EES1B_IbLb1EEEEDaS17_S18_EUlS17_E_NS1_11comp_targetILNS1_3genE5ELNS1_11target_archE942ELNS1_3gpuE9ELNS1_3repE0EEENS1_30default_config_static_selectorELNS0_4arch9wavefront6targetE0EEEvT1_
; %bb.0:
	.section	.rodata,"a",@progbits
	.p2align	6, 0x0
	.amdhsa_kernel _ZN7rocprim17ROCPRIM_400000_NS6detail17trampoline_kernelINS0_14default_configENS1_25partition_config_selectorILNS1_17partition_subalgoE8ElNS0_10empty_typeEbEEZZNS1_14partition_implILS5_8ELb0ES3_jPlPS6_PKS6_NS0_5tupleIJS9_S6_EEENSD_IJSA_SA_EEENS0_18inequality_wrapperIZN2at6native12_GLOBAL__N_124unique_dim_cuda_templateIlEESt5tupleIJNSH_6TensorESM_SM_EERKSM_lbbbEUlllE0_EEPmJS6_EEE10hipError_tPvRmT3_T4_T5_T6_T7_T9_mT8_P12ihipStream_tbDpT10_ENKUlT_T0_E_clISt17integral_constantIbLb0EES1B_IbLb1EEEEDaS17_S18_EUlS17_E_NS1_11comp_targetILNS1_3genE5ELNS1_11target_archE942ELNS1_3gpuE9ELNS1_3repE0EEENS1_30default_config_static_selectorELNS0_4arch9wavefront6targetE0EEEvT1_
		.amdhsa_group_segment_fixed_size 0
		.amdhsa_private_segment_fixed_size 0
		.amdhsa_kernarg_size 136
		.amdhsa_user_sgpr_count 2
		.amdhsa_user_sgpr_dispatch_ptr 0
		.amdhsa_user_sgpr_queue_ptr 0
		.amdhsa_user_sgpr_kernarg_segment_ptr 1
		.amdhsa_user_sgpr_dispatch_id 0
		.amdhsa_user_sgpr_kernarg_preload_length 0
		.amdhsa_user_sgpr_kernarg_preload_offset 0
		.amdhsa_user_sgpr_private_segment_size 0
		.amdhsa_wavefront_size32 1
		.amdhsa_uses_dynamic_stack 0
		.amdhsa_enable_private_segment 0
		.amdhsa_system_sgpr_workgroup_id_x 1
		.amdhsa_system_sgpr_workgroup_id_y 0
		.amdhsa_system_sgpr_workgroup_id_z 0
		.amdhsa_system_sgpr_workgroup_info 0
		.amdhsa_system_vgpr_workitem_id 0
		.amdhsa_next_free_vgpr 1
		.amdhsa_next_free_sgpr 1
		.amdhsa_named_barrier_count 0
		.amdhsa_reserve_vcc 0
		.amdhsa_float_round_mode_32 0
		.amdhsa_float_round_mode_16_64 0
		.amdhsa_float_denorm_mode_32 3
		.amdhsa_float_denorm_mode_16_64 3
		.amdhsa_fp16_overflow 0
		.amdhsa_memory_ordered 1
		.amdhsa_forward_progress 1
		.amdhsa_inst_pref_size 0
		.amdhsa_round_robin_scheduling 0
		.amdhsa_exception_fp_ieee_invalid_op 0
		.amdhsa_exception_fp_denorm_src 0
		.amdhsa_exception_fp_ieee_div_zero 0
		.amdhsa_exception_fp_ieee_overflow 0
		.amdhsa_exception_fp_ieee_underflow 0
		.amdhsa_exception_fp_ieee_inexact 0
		.amdhsa_exception_int_div_zero 0
	.end_amdhsa_kernel
	.section	.text._ZN7rocprim17ROCPRIM_400000_NS6detail17trampoline_kernelINS0_14default_configENS1_25partition_config_selectorILNS1_17partition_subalgoE8ElNS0_10empty_typeEbEEZZNS1_14partition_implILS5_8ELb0ES3_jPlPS6_PKS6_NS0_5tupleIJS9_S6_EEENSD_IJSA_SA_EEENS0_18inequality_wrapperIZN2at6native12_GLOBAL__N_124unique_dim_cuda_templateIlEESt5tupleIJNSH_6TensorESM_SM_EERKSM_lbbbEUlllE0_EEPmJS6_EEE10hipError_tPvRmT3_T4_T5_T6_T7_T9_mT8_P12ihipStream_tbDpT10_ENKUlT_T0_E_clISt17integral_constantIbLb0EES1B_IbLb1EEEEDaS17_S18_EUlS17_E_NS1_11comp_targetILNS1_3genE5ELNS1_11target_archE942ELNS1_3gpuE9ELNS1_3repE0EEENS1_30default_config_static_selectorELNS0_4arch9wavefront6targetE0EEEvT1_,"axG",@progbits,_ZN7rocprim17ROCPRIM_400000_NS6detail17trampoline_kernelINS0_14default_configENS1_25partition_config_selectorILNS1_17partition_subalgoE8ElNS0_10empty_typeEbEEZZNS1_14partition_implILS5_8ELb0ES3_jPlPS6_PKS6_NS0_5tupleIJS9_S6_EEENSD_IJSA_SA_EEENS0_18inequality_wrapperIZN2at6native12_GLOBAL__N_124unique_dim_cuda_templateIlEESt5tupleIJNSH_6TensorESM_SM_EERKSM_lbbbEUlllE0_EEPmJS6_EEE10hipError_tPvRmT3_T4_T5_T6_T7_T9_mT8_P12ihipStream_tbDpT10_ENKUlT_T0_E_clISt17integral_constantIbLb0EES1B_IbLb1EEEEDaS17_S18_EUlS17_E_NS1_11comp_targetILNS1_3genE5ELNS1_11target_archE942ELNS1_3gpuE9ELNS1_3repE0EEENS1_30default_config_static_selectorELNS0_4arch9wavefront6targetE0EEEvT1_,comdat
.Lfunc_end588:
	.size	_ZN7rocprim17ROCPRIM_400000_NS6detail17trampoline_kernelINS0_14default_configENS1_25partition_config_selectorILNS1_17partition_subalgoE8ElNS0_10empty_typeEbEEZZNS1_14partition_implILS5_8ELb0ES3_jPlPS6_PKS6_NS0_5tupleIJS9_S6_EEENSD_IJSA_SA_EEENS0_18inequality_wrapperIZN2at6native12_GLOBAL__N_124unique_dim_cuda_templateIlEESt5tupleIJNSH_6TensorESM_SM_EERKSM_lbbbEUlllE0_EEPmJS6_EEE10hipError_tPvRmT3_T4_T5_T6_T7_T9_mT8_P12ihipStream_tbDpT10_ENKUlT_T0_E_clISt17integral_constantIbLb0EES1B_IbLb1EEEEDaS17_S18_EUlS17_E_NS1_11comp_targetILNS1_3genE5ELNS1_11target_archE942ELNS1_3gpuE9ELNS1_3repE0EEENS1_30default_config_static_selectorELNS0_4arch9wavefront6targetE0EEEvT1_, .Lfunc_end588-_ZN7rocprim17ROCPRIM_400000_NS6detail17trampoline_kernelINS0_14default_configENS1_25partition_config_selectorILNS1_17partition_subalgoE8ElNS0_10empty_typeEbEEZZNS1_14partition_implILS5_8ELb0ES3_jPlPS6_PKS6_NS0_5tupleIJS9_S6_EEENSD_IJSA_SA_EEENS0_18inequality_wrapperIZN2at6native12_GLOBAL__N_124unique_dim_cuda_templateIlEESt5tupleIJNSH_6TensorESM_SM_EERKSM_lbbbEUlllE0_EEPmJS6_EEE10hipError_tPvRmT3_T4_T5_T6_T7_T9_mT8_P12ihipStream_tbDpT10_ENKUlT_T0_E_clISt17integral_constantIbLb0EES1B_IbLb1EEEEDaS17_S18_EUlS17_E_NS1_11comp_targetILNS1_3genE5ELNS1_11target_archE942ELNS1_3gpuE9ELNS1_3repE0EEENS1_30default_config_static_selectorELNS0_4arch9wavefront6targetE0EEEvT1_
                                        ; -- End function
	.set _ZN7rocprim17ROCPRIM_400000_NS6detail17trampoline_kernelINS0_14default_configENS1_25partition_config_selectorILNS1_17partition_subalgoE8ElNS0_10empty_typeEbEEZZNS1_14partition_implILS5_8ELb0ES3_jPlPS6_PKS6_NS0_5tupleIJS9_S6_EEENSD_IJSA_SA_EEENS0_18inequality_wrapperIZN2at6native12_GLOBAL__N_124unique_dim_cuda_templateIlEESt5tupleIJNSH_6TensorESM_SM_EERKSM_lbbbEUlllE0_EEPmJS6_EEE10hipError_tPvRmT3_T4_T5_T6_T7_T9_mT8_P12ihipStream_tbDpT10_ENKUlT_T0_E_clISt17integral_constantIbLb0EES1B_IbLb1EEEEDaS17_S18_EUlS17_E_NS1_11comp_targetILNS1_3genE5ELNS1_11target_archE942ELNS1_3gpuE9ELNS1_3repE0EEENS1_30default_config_static_selectorELNS0_4arch9wavefront6targetE0EEEvT1_.num_vgpr, 0
	.set _ZN7rocprim17ROCPRIM_400000_NS6detail17trampoline_kernelINS0_14default_configENS1_25partition_config_selectorILNS1_17partition_subalgoE8ElNS0_10empty_typeEbEEZZNS1_14partition_implILS5_8ELb0ES3_jPlPS6_PKS6_NS0_5tupleIJS9_S6_EEENSD_IJSA_SA_EEENS0_18inequality_wrapperIZN2at6native12_GLOBAL__N_124unique_dim_cuda_templateIlEESt5tupleIJNSH_6TensorESM_SM_EERKSM_lbbbEUlllE0_EEPmJS6_EEE10hipError_tPvRmT3_T4_T5_T6_T7_T9_mT8_P12ihipStream_tbDpT10_ENKUlT_T0_E_clISt17integral_constantIbLb0EES1B_IbLb1EEEEDaS17_S18_EUlS17_E_NS1_11comp_targetILNS1_3genE5ELNS1_11target_archE942ELNS1_3gpuE9ELNS1_3repE0EEENS1_30default_config_static_selectorELNS0_4arch9wavefront6targetE0EEEvT1_.num_agpr, 0
	.set _ZN7rocprim17ROCPRIM_400000_NS6detail17trampoline_kernelINS0_14default_configENS1_25partition_config_selectorILNS1_17partition_subalgoE8ElNS0_10empty_typeEbEEZZNS1_14partition_implILS5_8ELb0ES3_jPlPS6_PKS6_NS0_5tupleIJS9_S6_EEENSD_IJSA_SA_EEENS0_18inequality_wrapperIZN2at6native12_GLOBAL__N_124unique_dim_cuda_templateIlEESt5tupleIJNSH_6TensorESM_SM_EERKSM_lbbbEUlllE0_EEPmJS6_EEE10hipError_tPvRmT3_T4_T5_T6_T7_T9_mT8_P12ihipStream_tbDpT10_ENKUlT_T0_E_clISt17integral_constantIbLb0EES1B_IbLb1EEEEDaS17_S18_EUlS17_E_NS1_11comp_targetILNS1_3genE5ELNS1_11target_archE942ELNS1_3gpuE9ELNS1_3repE0EEENS1_30default_config_static_selectorELNS0_4arch9wavefront6targetE0EEEvT1_.numbered_sgpr, 0
	.set _ZN7rocprim17ROCPRIM_400000_NS6detail17trampoline_kernelINS0_14default_configENS1_25partition_config_selectorILNS1_17partition_subalgoE8ElNS0_10empty_typeEbEEZZNS1_14partition_implILS5_8ELb0ES3_jPlPS6_PKS6_NS0_5tupleIJS9_S6_EEENSD_IJSA_SA_EEENS0_18inequality_wrapperIZN2at6native12_GLOBAL__N_124unique_dim_cuda_templateIlEESt5tupleIJNSH_6TensorESM_SM_EERKSM_lbbbEUlllE0_EEPmJS6_EEE10hipError_tPvRmT3_T4_T5_T6_T7_T9_mT8_P12ihipStream_tbDpT10_ENKUlT_T0_E_clISt17integral_constantIbLb0EES1B_IbLb1EEEEDaS17_S18_EUlS17_E_NS1_11comp_targetILNS1_3genE5ELNS1_11target_archE942ELNS1_3gpuE9ELNS1_3repE0EEENS1_30default_config_static_selectorELNS0_4arch9wavefront6targetE0EEEvT1_.num_named_barrier, 0
	.set _ZN7rocprim17ROCPRIM_400000_NS6detail17trampoline_kernelINS0_14default_configENS1_25partition_config_selectorILNS1_17partition_subalgoE8ElNS0_10empty_typeEbEEZZNS1_14partition_implILS5_8ELb0ES3_jPlPS6_PKS6_NS0_5tupleIJS9_S6_EEENSD_IJSA_SA_EEENS0_18inequality_wrapperIZN2at6native12_GLOBAL__N_124unique_dim_cuda_templateIlEESt5tupleIJNSH_6TensorESM_SM_EERKSM_lbbbEUlllE0_EEPmJS6_EEE10hipError_tPvRmT3_T4_T5_T6_T7_T9_mT8_P12ihipStream_tbDpT10_ENKUlT_T0_E_clISt17integral_constantIbLb0EES1B_IbLb1EEEEDaS17_S18_EUlS17_E_NS1_11comp_targetILNS1_3genE5ELNS1_11target_archE942ELNS1_3gpuE9ELNS1_3repE0EEENS1_30default_config_static_selectorELNS0_4arch9wavefront6targetE0EEEvT1_.private_seg_size, 0
	.set _ZN7rocprim17ROCPRIM_400000_NS6detail17trampoline_kernelINS0_14default_configENS1_25partition_config_selectorILNS1_17partition_subalgoE8ElNS0_10empty_typeEbEEZZNS1_14partition_implILS5_8ELb0ES3_jPlPS6_PKS6_NS0_5tupleIJS9_S6_EEENSD_IJSA_SA_EEENS0_18inequality_wrapperIZN2at6native12_GLOBAL__N_124unique_dim_cuda_templateIlEESt5tupleIJNSH_6TensorESM_SM_EERKSM_lbbbEUlllE0_EEPmJS6_EEE10hipError_tPvRmT3_T4_T5_T6_T7_T9_mT8_P12ihipStream_tbDpT10_ENKUlT_T0_E_clISt17integral_constantIbLb0EES1B_IbLb1EEEEDaS17_S18_EUlS17_E_NS1_11comp_targetILNS1_3genE5ELNS1_11target_archE942ELNS1_3gpuE9ELNS1_3repE0EEENS1_30default_config_static_selectorELNS0_4arch9wavefront6targetE0EEEvT1_.uses_vcc, 0
	.set _ZN7rocprim17ROCPRIM_400000_NS6detail17trampoline_kernelINS0_14default_configENS1_25partition_config_selectorILNS1_17partition_subalgoE8ElNS0_10empty_typeEbEEZZNS1_14partition_implILS5_8ELb0ES3_jPlPS6_PKS6_NS0_5tupleIJS9_S6_EEENSD_IJSA_SA_EEENS0_18inequality_wrapperIZN2at6native12_GLOBAL__N_124unique_dim_cuda_templateIlEESt5tupleIJNSH_6TensorESM_SM_EERKSM_lbbbEUlllE0_EEPmJS6_EEE10hipError_tPvRmT3_T4_T5_T6_T7_T9_mT8_P12ihipStream_tbDpT10_ENKUlT_T0_E_clISt17integral_constantIbLb0EES1B_IbLb1EEEEDaS17_S18_EUlS17_E_NS1_11comp_targetILNS1_3genE5ELNS1_11target_archE942ELNS1_3gpuE9ELNS1_3repE0EEENS1_30default_config_static_selectorELNS0_4arch9wavefront6targetE0EEEvT1_.uses_flat_scratch, 0
	.set _ZN7rocprim17ROCPRIM_400000_NS6detail17trampoline_kernelINS0_14default_configENS1_25partition_config_selectorILNS1_17partition_subalgoE8ElNS0_10empty_typeEbEEZZNS1_14partition_implILS5_8ELb0ES3_jPlPS6_PKS6_NS0_5tupleIJS9_S6_EEENSD_IJSA_SA_EEENS0_18inequality_wrapperIZN2at6native12_GLOBAL__N_124unique_dim_cuda_templateIlEESt5tupleIJNSH_6TensorESM_SM_EERKSM_lbbbEUlllE0_EEPmJS6_EEE10hipError_tPvRmT3_T4_T5_T6_T7_T9_mT8_P12ihipStream_tbDpT10_ENKUlT_T0_E_clISt17integral_constantIbLb0EES1B_IbLb1EEEEDaS17_S18_EUlS17_E_NS1_11comp_targetILNS1_3genE5ELNS1_11target_archE942ELNS1_3gpuE9ELNS1_3repE0EEENS1_30default_config_static_selectorELNS0_4arch9wavefront6targetE0EEEvT1_.has_dyn_sized_stack, 0
	.set _ZN7rocprim17ROCPRIM_400000_NS6detail17trampoline_kernelINS0_14default_configENS1_25partition_config_selectorILNS1_17partition_subalgoE8ElNS0_10empty_typeEbEEZZNS1_14partition_implILS5_8ELb0ES3_jPlPS6_PKS6_NS0_5tupleIJS9_S6_EEENSD_IJSA_SA_EEENS0_18inequality_wrapperIZN2at6native12_GLOBAL__N_124unique_dim_cuda_templateIlEESt5tupleIJNSH_6TensorESM_SM_EERKSM_lbbbEUlllE0_EEPmJS6_EEE10hipError_tPvRmT3_T4_T5_T6_T7_T9_mT8_P12ihipStream_tbDpT10_ENKUlT_T0_E_clISt17integral_constantIbLb0EES1B_IbLb1EEEEDaS17_S18_EUlS17_E_NS1_11comp_targetILNS1_3genE5ELNS1_11target_archE942ELNS1_3gpuE9ELNS1_3repE0EEENS1_30default_config_static_selectorELNS0_4arch9wavefront6targetE0EEEvT1_.has_recursion, 0
	.set _ZN7rocprim17ROCPRIM_400000_NS6detail17trampoline_kernelINS0_14default_configENS1_25partition_config_selectorILNS1_17partition_subalgoE8ElNS0_10empty_typeEbEEZZNS1_14partition_implILS5_8ELb0ES3_jPlPS6_PKS6_NS0_5tupleIJS9_S6_EEENSD_IJSA_SA_EEENS0_18inequality_wrapperIZN2at6native12_GLOBAL__N_124unique_dim_cuda_templateIlEESt5tupleIJNSH_6TensorESM_SM_EERKSM_lbbbEUlllE0_EEPmJS6_EEE10hipError_tPvRmT3_T4_T5_T6_T7_T9_mT8_P12ihipStream_tbDpT10_ENKUlT_T0_E_clISt17integral_constantIbLb0EES1B_IbLb1EEEEDaS17_S18_EUlS17_E_NS1_11comp_targetILNS1_3genE5ELNS1_11target_archE942ELNS1_3gpuE9ELNS1_3repE0EEENS1_30default_config_static_selectorELNS0_4arch9wavefront6targetE0EEEvT1_.has_indirect_call, 0
	.section	.AMDGPU.csdata,"",@progbits
; Kernel info:
; codeLenInByte = 0
; TotalNumSgprs: 0
; NumVgprs: 0
; ScratchSize: 0
; MemoryBound: 0
; FloatMode: 240
; IeeeMode: 1
; LDSByteSize: 0 bytes/workgroup (compile time only)
; SGPRBlocks: 0
; VGPRBlocks: 0
; NumSGPRsForWavesPerEU: 1
; NumVGPRsForWavesPerEU: 1
; NamedBarCnt: 0
; Occupancy: 16
; WaveLimiterHint : 0
; COMPUTE_PGM_RSRC2:SCRATCH_EN: 0
; COMPUTE_PGM_RSRC2:USER_SGPR: 2
; COMPUTE_PGM_RSRC2:TRAP_HANDLER: 0
; COMPUTE_PGM_RSRC2:TGID_X_EN: 1
; COMPUTE_PGM_RSRC2:TGID_Y_EN: 0
; COMPUTE_PGM_RSRC2:TGID_Z_EN: 0
; COMPUTE_PGM_RSRC2:TIDIG_COMP_CNT: 0
	.section	.text._ZN7rocprim17ROCPRIM_400000_NS6detail17trampoline_kernelINS0_14default_configENS1_25partition_config_selectorILNS1_17partition_subalgoE8ElNS0_10empty_typeEbEEZZNS1_14partition_implILS5_8ELb0ES3_jPlPS6_PKS6_NS0_5tupleIJS9_S6_EEENSD_IJSA_SA_EEENS0_18inequality_wrapperIZN2at6native12_GLOBAL__N_124unique_dim_cuda_templateIlEESt5tupleIJNSH_6TensorESM_SM_EERKSM_lbbbEUlllE0_EEPmJS6_EEE10hipError_tPvRmT3_T4_T5_T6_T7_T9_mT8_P12ihipStream_tbDpT10_ENKUlT_T0_E_clISt17integral_constantIbLb0EES1B_IbLb1EEEEDaS17_S18_EUlS17_E_NS1_11comp_targetILNS1_3genE4ELNS1_11target_archE910ELNS1_3gpuE8ELNS1_3repE0EEENS1_30default_config_static_selectorELNS0_4arch9wavefront6targetE0EEEvT1_,"axG",@progbits,_ZN7rocprim17ROCPRIM_400000_NS6detail17trampoline_kernelINS0_14default_configENS1_25partition_config_selectorILNS1_17partition_subalgoE8ElNS0_10empty_typeEbEEZZNS1_14partition_implILS5_8ELb0ES3_jPlPS6_PKS6_NS0_5tupleIJS9_S6_EEENSD_IJSA_SA_EEENS0_18inequality_wrapperIZN2at6native12_GLOBAL__N_124unique_dim_cuda_templateIlEESt5tupleIJNSH_6TensorESM_SM_EERKSM_lbbbEUlllE0_EEPmJS6_EEE10hipError_tPvRmT3_T4_T5_T6_T7_T9_mT8_P12ihipStream_tbDpT10_ENKUlT_T0_E_clISt17integral_constantIbLb0EES1B_IbLb1EEEEDaS17_S18_EUlS17_E_NS1_11comp_targetILNS1_3genE4ELNS1_11target_archE910ELNS1_3gpuE8ELNS1_3repE0EEENS1_30default_config_static_selectorELNS0_4arch9wavefront6targetE0EEEvT1_,comdat
	.globl	_ZN7rocprim17ROCPRIM_400000_NS6detail17trampoline_kernelINS0_14default_configENS1_25partition_config_selectorILNS1_17partition_subalgoE8ElNS0_10empty_typeEbEEZZNS1_14partition_implILS5_8ELb0ES3_jPlPS6_PKS6_NS0_5tupleIJS9_S6_EEENSD_IJSA_SA_EEENS0_18inequality_wrapperIZN2at6native12_GLOBAL__N_124unique_dim_cuda_templateIlEESt5tupleIJNSH_6TensorESM_SM_EERKSM_lbbbEUlllE0_EEPmJS6_EEE10hipError_tPvRmT3_T4_T5_T6_T7_T9_mT8_P12ihipStream_tbDpT10_ENKUlT_T0_E_clISt17integral_constantIbLb0EES1B_IbLb1EEEEDaS17_S18_EUlS17_E_NS1_11comp_targetILNS1_3genE4ELNS1_11target_archE910ELNS1_3gpuE8ELNS1_3repE0EEENS1_30default_config_static_selectorELNS0_4arch9wavefront6targetE0EEEvT1_ ; -- Begin function _ZN7rocprim17ROCPRIM_400000_NS6detail17trampoline_kernelINS0_14default_configENS1_25partition_config_selectorILNS1_17partition_subalgoE8ElNS0_10empty_typeEbEEZZNS1_14partition_implILS5_8ELb0ES3_jPlPS6_PKS6_NS0_5tupleIJS9_S6_EEENSD_IJSA_SA_EEENS0_18inequality_wrapperIZN2at6native12_GLOBAL__N_124unique_dim_cuda_templateIlEESt5tupleIJNSH_6TensorESM_SM_EERKSM_lbbbEUlllE0_EEPmJS6_EEE10hipError_tPvRmT3_T4_T5_T6_T7_T9_mT8_P12ihipStream_tbDpT10_ENKUlT_T0_E_clISt17integral_constantIbLb0EES1B_IbLb1EEEEDaS17_S18_EUlS17_E_NS1_11comp_targetILNS1_3genE4ELNS1_11target_archE910ELNS1_3gpuE8ELNS1_3repE0EEENS1_30default_config_static_selectorELNS0_4arch9wavefront6targetE0EEEvT1_
	.p2align	8
	.type	_ZN7rocprim17ROCPRIM_400000_NS6detail17trampoline_kernelINS0_14default_configENS1_25partition_config_selectorILNS1_17partition_subalgoE8ElNS0_10empty_typeEbEEZZNS1_14partition_implILS5_8ELb0ES3_jPlPS6_PKS6_NS0_5tupleIJS9_S6_EEENSD_IJSA_SA_EEENS0_18inequality_wrapperIZN2at6native12_GLOBAL__N_124unique_dim_cuda_templateIlEESt5tupleIJNSH_6TensorESM_SM_EERKSM_lbbbEUlllE0_EEPmJS6_EEE10hipError_tPvRmT3_T4_T5_T6_T7_T9_mT8_P12ihipStream_tbDpT10_ENKUlT_T0_E_clISt17integral_constantIbLb0EES1B_IbLb1EEEEDaS17_S18_EUlS17_E_NS1_11comp_targetILNS1_3genE4ELNS1_11target_archE910ELNS1_3gpuE8ELNS1_3repE0EEENS1_30default_config_static_selectorELNS0_4arch9wavefront6targetE0EEEvT1_,@function
_ZN7rocprim17ROCPRIM_400000_NS6detail17trampoline_kernelINS0_14default_configENS1_25partition_config_selectorILNS1_17partition_subalgoE8ElNS0_10empty_typeEbEEZZNS1_14partition_implILS5_8ELb0ES3_jPlPS6_PKS6_NS0_5tupleIJS9_S6_EEENSD_IJSA_SA_EEENS0_18inequality_wrapperIZN2at6native12_GLOBAL__N_124unique_dim_cuda_templateIlEESt5tupleIJNSH_6TensorESM_SM_EERKSM_lbbbEUlllE0_EEPmJS6_EEE10hipError_tPvRmT3_T4_T5_T6_T7_T9_mT8_P12ihipStream_tbDpT10_ENKUlT_T0_E_clISt17integral_constantIbLb0EES1B_IbLb1EEEEDaS17_S18_EUlS17_E_NS1_11comp_targetILNS1_3genE4ELNS1_11target_archE910ELNS1_3gpuE8ELNS1_3repE0EEENS1_30default_config_static_selectorELNS0_4arch9wavefront6targetE0EEEvT1_: ; @_ZN7rocprim17ROCPRIM_400000_NS6detail17trampoline_kernelINS0_14default_configENS1_25partition_config_selectorILNS1_17partition_subalgoE8ElNS0_10empty_typeEbEEZZNS1_14partition_implILS5_8ELb0ES3_jPlPS6_PKS6_NS0_5tupleIJS9_S6_EEENSD_IJSA_SA_EEENS0_18inequality_wrapperIZN2at6native12_GLOBAL__N_124unique_dim_cuda_templateIlEESt5tupleIJNSH_6TensorESM_SM_EERKSM_lbbbEUlllE0_EEPmJS6_EEE10hipError_tPvRmT3_T4_T5_T6_T7_T9_mT8_P12ihipStream_tbDpT10_ENKUlT_T0_E_clISt17integral_constantIbLb0EES1B_IbLb1EEEEDaS17_S18_EUlS17_E_NS1_11comp_targetILNS1_3genE4ELNS1_11target_archE910ELNS1_3gpuE8ELNS1_3repE0EEENS1_30default_config_static_selectorELNS0_4arch9wavefront6targetE0EEEvT1_
; %bb.0:
	.section	.rodata,"a",@progbits
	.p2align	6, 0x0
	.amdhsa_kernel _ZN7rocprim17ROCPRIM_400000_NS6detail17trampoline_kernelINS0_14default_configENS1_25partition_config_selectorILNS1_17partition_subalgoE8ElNS0_10empty_typeEbEEZZNS1_14partition_implILS5_8ELb0ES3_jPlPS6_PKS6_NS0_5tupleIJS9_S6_EEENSD_IJSA_SA_EEENS0_18inequality_wrapperIZN2at6native12_GLOBAL__N_124unique_dim_cuda_templateIlEESt5tupleIJNSH_6TensorESM_SM_EERKSM_lbbbEUlllE0_EEPmJS6_EEE10hipError_tPvRmT3_T4_T5_T6_T7_T9_mT8_P12ihipStream_tbDpT10_ENKUlT_T0_E_clISt17integral_constantIbLb0EES1B_IbLb1EEEEDaS17_S18_EUlS17_E_NS1_11comp_targetILNS1_3genE4ELNS1_11target_archE910ELNS1_3gpuE8ELNS1_3repE0EEENS1_30default_config_static_selectorELNS0_4arch9wavefront6targetE0EEEvT1_
		.amdhsa_group_segment_fixed_size 0
		.amdhsa_private_segment_fixed_size 0
		.amdhsa_kernarg_size 136
		.amdhsa_user_sgpr_count 2
		.amdhsa_user_sgpr_dispatch_ptr 0
		.amdhsa_user_sgpr_queue_ptr 0
		.amdhsa_user_sgpr_kernarg_segment_ptr 1
		.amdhsa_user_sgpr_dispatch_id 0
		.amdhsa_user_sgpr_kernarg_preload_length 0
		.amdhsa_user_sgpr_kernarg_preload_offset 0
		.amdhsa_user_sgpr_private_segment_size 0
		.amdhsa_wavefront_size32 1
		.amdhsa_uses_dynamic_stack 0
		.amdhsa_enable_private_segment 0
		.amdhsa_system_sgpr_workgroup_id_x 1
		.amdhsa_system_sgpr_workgroup_id_y 0
		.amdhsa_system_sgpr_workgroup_id_z 0
		.amdhsa_system_sgpr_workgroup_info 0
		.amdhsa_system_vgpr_workitem_id 0
		.amdhsa_next_free_vgpr 1
		.amdhsa_next_free_sgpr 1
		.amdhsa_named_barrier_count 0
		.amdhsa_reserve_vcc 0
		.amdhsa_float_round_mode_32 0
		.amdhsa_float_round_mode_16_64 0
		.amdhsa_float_denorm_mode_32 3
		.amdhsa_float_denorm_mode_16_64 3
		.amdhsa_fp16_overflow 0
		.amdhsa_memory_ordered 1
		.amdhsa_forward_progress 1
		.amdhsa_inst_pref_size 0
		.amdhsa_round_robin_scheduling 0
		.amdhsa_exception_fp_ieee_invalid_op 0
		.amdhsa_exception_fp_denorm_src 0
		.amdhsa_exception_fp_ieee_div_zero 0
		.amdhsa_exception_fp_ieee_overflow 0
		.amdhsa_exception_fp_ieee_underflow 0
		.amdhsa_exception_fp_ieee_inexact 0
		.amdhsa_exception_int_div_zero 0
	.end_amdhsa_kernel
	.section	.text._ZN7rocprim17ROCPRIM_400000_NS6detail17trampoline_kernelINS0_14default_configENS1_25partition_config_selectorILNS1_17partition_subalgoE8ElNS0_10empty_typeEbEEZZNS1_14partition_implILS5_8ELb0ES3_jPlPS6_PKS6_NS0_5tupleIJS9_S6_EEENSD_IJSA_SA_EEENS0_18inequality_wrapperIZN2at6native12_GLOBAL__N_124unique_dim_cuda_templateIlEESt5tupleIJNSH_6TensorESM_SM_EERKSM_lbbbEUlllE0_EEPmJS6_EEE10hipError_tPvRmT3_T4_T5_T6_T7_T9_mT8_P12ihipStream_tbDpT10_ENKUlT_T0_E_clISt17integral_constantIbLb0EES1B_IbLb1EEEEDaS17_S18_EUlS17_E_NS1_11comp_targetILNS1_3genE4ELNS1_11target_archE910ELNS1_3gpuE8ELNS1_3repE0EEENS1_30default_config_static_selectorELNS0_4arch9wavefront6targetE0EEEvT1_,"axG",@progbits,_ZN7rocprim17ROCPRIM_400000_NS6detail17trampoline_kernelINS0_14default_configENS1_25partition_config_selectorILNS1_17partition_subalgoE8ElNS0_10empty_typeEbEEZZNS1_14partition_implILS5_8ELb0ES3_jPlPS6_PKS6_NS0_5tupleIJS9_S6_EEENSD_IJSA_SA_EEENS0_18inequality_wrapperIZN2at6native12_GLOBAL__N_124unique_dim_cuda_templateIlEESt5tupleIJNSH_6TensorESM_SM_EERKSM_lbbbEUlllE0_EEPmJS6_EEE10hipError_tPvRmT3_T4_T5_T6_T7_T9_mT8_P12ihipStream_tbDpT10_ENKUlT_T0_E_clISt17integral_constantIbLb0EES1B_IbLb1EEEEDaS17_S18_EUlS17_E_NS1_11comp_targetILNS1_3genE4ELNS1_11target_archE910ELNS1_3gpuE8ELNS1_3repE0EEENS1_30default_config_static_selectorELNS0_4arch9wavefront6targetE0EEEvT1_,comdat
.Lfunc_end589:
	.size	_ZN7rocprim17ROCPRIM_400000_NS6detail17trampoline_kernelINS0_14default_configENS1_25partition_config_selectorILNS1_17partition_subalgoE8ElNS0_10empty_typeEbEEZZNS1_14partition_implILS5_8ELb0ES3_jPlPS6_PKS6_NS0_5tupleIJS9_S6_EEENSD_IJSA_SA_EEENS0_18inequality_wrapperIZN2at6native12_GLOBAL__N_124unique_dim_cuda_templateIlEESt5tupleIJNSH_6TensorESM_SM_EERKSM_lbbbEUlllE0_EEPmJS6_EEE10hipError_tPvRmT3_T4_T5_T6_T7_T9_mT8_P12ihipStream_tbDpT10_ENKUlT_T0_E_clISt17integral_constantIbLb0EES1B_IbLb1EEEEDaS17_S18_EUlS17_E_NS1_11comp_targetILNS1_3genE4ELNS1_11target_archE910ELNS1_3gpuE8ELNS1_3repE0EEENS1_30default_config_static_selectorELNS0_4arch9wavefront6targetE0EEEvT1_, .Lfunc_end589-_ZN7rocprim17ROCPRIM_400000_NS6detail17trampoline_kernelINS0_14default_configENS1_25partition_config_selectorILNS1_17partition_subalgoE8ElNS0_10empty_typeEbEEZZNS1_14partition_implILS5_8ELb0ES3_jPlPS6_PKS6_NS0_5tupleIJS9_S6_EEENSD_IJSA_SA_EEENS0_18inequality_wrapperIZN2at6native12_GLOBAL__N_124unique_dim_cuda_templateIlEESt5tupleIJNSH_6TensorESM_SM_EERKSM_lbbbEUlllE0_EEPmJS6_EEE10hipError_tPvRmT3_T4_T5_T6_T7_T9_mT8_P12ihipStream_tbDpT10_ENKUlT_T0_E_clISt17integral_constantIbLb0EES1B_IbLb1EEEEDaS17_S18_EUlS17_E_NS1_11comp_targetILNS1_3genE4ELNS1_11target_archE910ELNS1_3gpuE8ELNS1_3repE0EEENS1_30default_config_static_selectorELNS0_4arch9wavefront6targetE0EEEvT1_
                                        ; -- End function
	.set _ZN7rocprim17ROCPRIM_400000_NS6detail17trampoline_kernelINS0_14default_configENS1_25partition_config_selectorILNS1_17partition_subalgoE8ElNS0_10empty_typeEbEEZZNS1_14partition_implILS5_8ELb0ES3_jPlPS6_PKS6_NS0_5tupleIJS9_S6_EEENSD_IJSA_SA_EEENS0_18inequality_wrapperIZN2at6native12_GLOBAL__N_124unique_dim_cuda_templateIlEESt5tupleIJNSH_6TensorESM_SM_EERKSM_lbbbEUlllE0_EEPmJS6_EEE10hipError_tPvRmT3_T4_T5_T6_T7_T9_mT8_P12ihipStream_tbDpT10_ENKUlT_T0_E_clISt17integral_constantIbLb0EES1B_IbLb1EEEEDaS17_S18_EUlS17_E_NS1_11comp_targetILNS1_3genE4ELNS1_11target_archE910ELNS1_3gpuE8ELNS1_3repE0EEENS1_30default_config_static_selectorELNS0_4arch9wavefront6targetE0EEEvT1_.num_vgpr, 0
	.set _ZN7rocprim17ROCPRIM_400000_NS6detail17trampoline_kernelINS0_14default_configENS1_25partition_config_selectorILNS1_17partition_subalgoE8ElNS0_10empty_typeEbEEZZNS1_14partition_implILS5_8ELb0ES3_jPlPS6_PKS6_NS0_5tupleIJS9_S6_EEENSD_IJSA_SA_EEENS0_18inequality_wrapperIZN2at6native12_GLOBAL__N_124unique_dim_cuda_templateIlEESt5tupleIJNSH_6TensorESM_SM_EERKSM_lbbbEUlllE0_EEPmJS6_EEE10hipError_tPvRmT3_T4_T5_T6_T7_T9_mT8_P12ihipStream_tbDpT10_ENKUlT_T0_E_clISt17integral_constantIbLb0EES1B_IbLb1EEEEDaS17_S18_EUlS17_E_NS1_11comp_targetILNS1_3genE4ELNS1_11target_archE910ELNS1_3gpuE8ELNS1_3repE0EEENS1_30default_config_static_selectorELNS0_4arch9wavefront6targetE0EEEvT1_.num_agpr, 0
	.set _ZN7rocprim17ROCPRIM_400000_NS6detail17trampoline_kernelINS0_14default_configENS1_25partition_config_selectorILNS1_17partition_subalgoE8ElNS0_10empty_typeEbEEZZNS1_14partition_implILS5_8ELb0ES3_jPlPS6_PKS6_NS0_5tupleIJS9_S6_EEENSD_IJSA_SA_EEENS0_18inequality_wrapperIZN2at6native12_GLOBAL__N_124unique_dim_cuda_templateIlEESt5tupleIJNSH_6TensorESM_SM_EERKSM_lbbbEUlllE0_EEPmJS6_EEE10hipError_tPvRmT3_T4_T5_T6_T7_T9_mT8_P12ihipStream_tbDpT10_ENKUlT_T0_E_clISt17integral_constantIbLb0EES1B_IbLb1EEEEDaS17_S18_EUlS17_E_NS1_11comp_targetILNS1_3genE4ELNS1_11target_archE910ELNS1_3gpuE8ELNS1_3repE0EEENS1_30default_config_static_selectorELNS0_4arch9wavefront6targetE0EEEvT1_.numbered_sgpr, 0
	.set _ZN7rocprim17ROCPRIM_400000_NS6detail17trampoline_kernelINS0_14default_configENS1_25partition_config_selectorILNS1_17partition_subalgoE8ElNS0_10empty_typeEbEEZZNS1_14partition_implILS5_8ELb0ES3_jPlPS6_PKS6_NS0_5tupleIJS9_S6_EEENSD_IJSA_SA_EEENS0_18inequality_wrapperIZN2at6native12_GLOBAL__N_124unique_dim_cuda_templateIlEESt5tupleIJNSH_6TensorESM_SM_EERKSM_lbbbEUlllE0_EEPmJS6_EEE10hipError_tPvRmT3_T4_T5_T6_T7_T9_mT8_P12ihipStream_tbDpT10_ENKUlT_T0_E_clISt17integral_constantIbLb0EES1B_IbLb1EEEEDaS17_S18_EUlS17_E_NS1_11comp_targetILNS1_3genE4ELNS1_11target_archE910ELNS1_3gpuE8ELNS1_3repE0EEENS1_30default_config_static_selectorELNS0_4arch9wavefront6targetE0EEEvT1_.num_named_barrier, 0
	.set _ZN7rocprim17ROCPRIM_400000_NS6detail17trampoline_kernelINS0_14default_configENS1_25partition_config_selectorILNS1_17partition_subalgoE8ElNS0_10empty_typeEbEEZZNS1_14partition_implILS5_8ELb0ES3_jPlPS6_PKS6_NS0_5tupleIJS9_S6_EEENSD_IJSA_SA_EEENS0_18inequality_wrapperIZN2at6native12_GLOBAL__N_124unique_dim_cuda_templateIlEESt5tupleIJNSH_6TensorESM_SM_EERKSM_lbbbEUlllE0_EEPmJS6_EEE10hipError_tPvRmT3_T4_T5_T6_T7_T9_mT8_P12ihipStream_tbDpT10_ENKUlT_T0_E_clISt17integral_constantIbLb0EES1B_IbLb1EEEEDaS17_S18_EUlS17_E_NS1_11comp_targetILNS1_3genE4ELNS1_11target_archE910ELNS1_3gpuE8ELNS1_3repE0EEENS1_30default_config_static_selectorELNS0_4arch9wavefront6targetE0EEEvT1_.private_seg_size, 0
	.set _ZN7rocprim17ROCPRIM_400000_NS6detail17trampoline_kernelINS0_14default_configENS1_25partition_config_selectorILNS1_17partition_subalgoE8ElNS0_10empty_typeEbEEZZNS1_14partition_implILS5_8ELb0ES3_jPlPS6_PKS6_NS0_5tupleIJS9_S6_EEENSD_IJSA_SA_EEENS0_18inequality_wrapperIZN2at6native12_GLOBAL__N_124unique_dim_cuda_templateIlEESt5tupleIJNSH_6TensorESM_SM_EERKSM_lbbbEUlllE0_EEPmJS6_EEE10hipError_tPvRmT3_T4_T5_T6_T7_T9_mT8_P12ihipStream_tbDpT10_ENKUlT_T0_E_clISt17integral_constantIbLb0EES1B_IbLb1EEEEDaS17_S18_EUlS17_E_NS1_11comp_targetILNS1_3genE4ELNS1_11target_archE910ELNS1_3gpuE8ELNS1_3repE0EEENS1_30default_config_static_selectorELNS0_4arch9wavefront6targetE0EEEvT1_.uses_vcc, 0
	.set _ZN7rocprim17ROCPRIM_400000_NS6detail17trampoline_kernelINS0_14default_configENS1_25partition_config_selectorILNS1_17partition_subalgoE8ElNS0_10empty_typeEbEEZZNS1_14partition_implILS5_8ELb0ES3_jPlPS6_PKS6_NS0_5tupleIJS9_S6_EEENSD_IJSA_SA_EEENS0_18inequality_wrapperIZN2at6native12_GLOBAL__N_124unique_dim_cuda_templateIlEESt5tupleIJNSH_6TensorESM_SM_EERKSM_lbbbEUlllE0_EEPmJS6_EEE10hipError_tPvRmT3_T4_T5_T6_T7_T9_mT8_P12ihipStream_tbDpT10_ENKUlT_T0_E_clISt17integral_constantIbLb0EES1B_IbLb1EEEEDaS17_S18_EUlS17_E_NS1_11comp_targetILNS1_3genE4ELNS1_11target_archE910ELNS1_3gpuE8ELNS1_3repE0EEENS1_30default_config_static_selectorELNS0_4arch9wavefront6targetE0EEEvT1_.uses_flat_scratch, 0
	.set _ZN7rocprim17ROCPRIM_400000_NS6detail17trampoline_kernelINS0_14default_configENS1_25partition_config_selectorILNS1_17partition_subalgoE8ElNS0_10empty_typeEbEEZZNS1_14partition_implILS5_8ELb0ES3_jPlPS6_PKS6_NS0_5tupleIJS9_S6_EEENSD_IJSA_SA_EEENS0_18inequality_wrapperIZN2at6native12_GLOBAL__N_124unique_dim_cuda_templateIlEESt5tupleIJNSH_6TensorESM_SM_EERKSM_lbbbEUlllE0_EEPmJS6_EEE10hipError_tPvRmT3_T4_T5_T6_T7_T9_mT8_P12ihipStream_tbDpT10_ENKUlT_T0_E_clISt17integral_constantIbLb0EES1B_IbLb1EEEEDaS17_S18_EUlS17_E_NS1_11comp_targetILNS1_3genE4ELNS1_11target_archE910ELNS1_3gpuE8ELNS1_3repE0EEENS1_30default_config_static_selectorELNS0_4arch9wavefront6targetE0EEEvT1_.has_dyn_sized_stack, 0
	.set _ZN7rocprim17ROCPRIM_400000_NS6detail17trampoline_kernelINS0_14default_configENS1_25partition_config_selectorILNS1_17partition_subalgoE8ElNS0_10empty_typeEbEEZZNS1_14partition_implILS5_8ELb0ES3_jPlPS6_PKS6_NS0_5tupleIJS9_S6_EEENSD_IJSA_SA_EEENS0_18inequality_wrapperIZN2at6native12_GLOBAL__N_124unique_dim_cuda_templateIlEESt5tupleIJNSH_6TensorESM_SM_EERKSM_lbbbEUlllE0_EEPmJS6_EEE10hipError_tPvRmT3_T4_T5_T6_T7_T9_mT8_P12ihipStream_tbDpT10_ENKUlT_T0_E_clISt17integral_constantIbLb0EES1B_IbLb1EEEEDaS17_S18_EUlS17_E_NS1_11comp_targetILNS1_3genE4ELNS1_11target_archE910ELNS1_3gpuE8ELNS1_3repE0EEENS1_30default_config_static_selectorELNS0_4arch9wavefront6targetE0EEEvT1_.has_recursion, 0
	.set _ZN7rocprim17ROCPRIM_400000_NS6detail17trampoline_kernelINS0_14default_configENS1_25partition_config_selectorILNS1_17partition_subalgoE8ElNS0_10empty_typeEbEEZZNS1_14partition_implILS5_8ELb0ES3_jPlPS6_PKS6_NS0_5tupleIJS9_S6_EEENSD_IJSA_SA_EEENS0_18inequality_wrapperIZN2at6native12_GLOBAL__N_124unique_dim_cuda_templateIlEESt5tupleIJNSH_6TensorESM_SM_EERKSM_lbbbEUlllE0_EEPmJS6_EEE10hipError_tPvRmT3_T4_T5_T6_T7_T9_mT8_P12ihipStream_tbDpT10_ENKUlT_T0_E_clISt17integral_constantIbLb0EES1B_IbLb1EEEEDaS17_S18_EUlS17_E_NS1_11comp_targetILNS1_3genE4ELNS1_11target_archE910ELNS1_3gpuE8ELNS1_3repE0EEENS1_30default_config_static_selectorELNS0_4arch9wavefront6targetE0EEEvT1_.has_indirect_call, 0
	.section	.AMDGPU.csdata,"",@progbits
; Kernel info:
; codeLenInByte = 0
; TotalNumSgprs: 0
; NumVgprs: 0
; ScratchSize: 0
; MemoryBound: 0
; FloatMode: 240
; IeeeMode: 1
; LDSByteSize: 0 bytes/workgroup (compile time only)
; SGPRBlocks: 0
; VGPRBlocks: 0
; NumSGPRsForWavesPerEU: 1
; NumVGPRsForWavesPerEU: 1
; NamedBarCnt: 0
; Occupancy: 16
; WaveLimiterHint : 0
; COMPUTE_PGM_RSRC2:SCRATCH_EN: 0
; COMPUTE_PGM_RSRC2:USER_SGPR: 2
; COMPUTE_PGM_RSRC2:TRAP_HANDLER: 0
; COMPUTE_PGM_RSRC2:TGID_X_EN: 1
; COMPUTE_PGM_RSRC2:TGID_Y_EN: 0
; COMPUTE_PGM_RSRC2:TGID_Z_EN: 0
; COMPUTE_PGM_RSRC2:TIDIG_COMP_CNT: 0
	.section	.text._ZN7rocprim17ROCPRIM_400000_NS6detail17trampoline_kernelINS0_14default_configENS1_25partition_config_selectorILNS1_17partition_subalgoE8ElNS0_10empty_typeEbEEZZNS1_14partition_implILS5_8ELb0ES3_jPlPS6_PKS6_NS0_5tupleIJS9_S6_EEENSD_IJSA_SA_EEENS0_18inequality_wrapperIZN2at6native12_GLOBAL__N_124unique_dim_cuda_templateIlEESt5tupleIJNSH_6TensorESM_SM_EERKSM_lbbbEUlllE0_EEPmJS6_EEE10hipError_tPvRmT3_T4_T5_T6_T7_T9_mT8_P12ihipStream_tbDpT10_ENKUlT_T0_E_clISt17integral_constantIbLb0EES1B_IbLb1EEEEDaS17_S18_EUlS17_E_NS1_11comp_targetILNS1_3genE3ELNS1_11target_archE908ELNS1_3gpuE7ELNS1_3repE0EEENS1_30default_config_static_selectorELNS0_4arch9wavefront6targetE0EEEvT1_,"axG",@progbits,_ZN7rocprim17ROCPRIM_400000_NS6detail17trampoline_kernelINS0_14default_configENS1_25partition_config_selectorILNS1_17partition_subalgoE8ElNS0_10empty_typeEbEEZZNS1_14partition_implILS5_8ELb0ES3_jPlPS6_PKS6_NS0_5tupleIJS9_S6_EEENSD_IJSA_SA_EEENS0_18inequality_wrapperIZN2at6native12_GLOBAL__N_124unique_dim_cuda_templateIlEESt5tupleIJNSH_6TensorESM_SM_EERKSM_lbbbEUlllE0_EEPmJS6_EEE10hipError_tPvRmT3_T4_T5_T6_T7_T9_mT8_P12ihipStream_tbDpT10_ENKUlT_T0_E_clISt17integral_constantIbLb0EES1B_IbLb1EEEEDaS17_S18_EUlS17_E_NS1_11comp_targetILNS1_3genE3ELNS1_11target_archE908ELNS1_3gpuE7ELNS1_3repE0EEENS1_30default_config_static_selectorELNS0_4arch9wavefront6targetE0EEEvT1_,comdat
	.globl	_ZN7rocprim17ROCPRIM_400000_NS6detail17trampoline_kernelINS0_14default_configENS1_25partition_config_selectorILNS1_17partition_subalgoE8ElNS0_10empty_typeEbEEZZNS1_14partition_implILS5_8ELb0ES3_jPlPS6_PKS6_NS0_5tupleIJS9_S6_EEENSD_IJSA_SA_EEENS0_18inequality_wrapperIZN2at6native12_GLOBAL__N_124unique_dim_cuda_templateIlEESt5tupleIJNSH_6TensorESM_SM_EERKSM_lbbbEUlllE0_EEPmJS6_EEE10hipError_tPvRmT3_T4_T5_T6_T7_T9_mT8_P12ihipStream_tbDpT10_ENKUlT_T0_E_clISt17integral_constantIbLb0EES1B_IbLb1EEEEDaS17_S18_EUlS17_E_NS1_11comp_targetILNS1_3genE3ELNS1_11target_archE908ELNS1_3gpuE7ELNS1_3repE0EEENS1_30default_config_static_selectorELNS0_4arch9wavefront6targetE0EEEvT1_ ; -- Begin function _ZN7rocprim17ROCPRIM_400000_NS6detail17trampoline_kernelINS0_14default_configENS1_25partition_config_selectorILNS1_17partition_subalgoE8ElNS0_10empty_typeEbEEZZNS1_14partition_implILS5_8ELb0ES3_jPlPS6_PKS6_NS0_5tupleIJS9_S6_EEENSD_IJSA_SA_EEENS0_18inequality_wrapperIZN2at6native12_GLOBAL__N_124unique_dim_cuda_templateIlEESt5tupleIJNSH_6TensorESM_SM_EERKSM_lbbbEUlllE0_EEPmJS6_EEE10hipError_tPvRmT3_T4_T5_T6_T7_T9_mT8_P12ihipStream_tbDpT10_ENKUlT_T0_E_clISt17integral_constantIbLb0EES1B_IbLb1EEEEDaS17_S18_EUlS17_E_NS1_11comp_targetILNS1_3genE3ELNS1_11target_archE908ELNS1_3gpuE7ELNS1_3repE0EEENS1_30default_config_static_selectorELNS0_4arch9wavefront6targetE0EEEvT1_
	.p2align	8
	.type	_ZN7rocprim17ROCPRIM_400000_NS6detail17trampoline_kernelINS0_14default_configENS1_25partition_config_selectorILNS1_17partition_subalgoE8ElNS0_10empty_typeEbEEZZNS1_14partition_implILS5_8ELb0ES3_jPlPS6_PKS6_NS0_5tupleIJS9_S6_EEENSD_IJSA_SA_EEENS0_18inequality_wrapperIZN2at6native12_GLOBAL__N_124unique_dim_cuda_templateIlEESt5tupleIJNSH_6TensorESM_SM_EERKSM_lbbbEUlllE0_EEPmJS6_EEE10hipError_tPvRmT3_T4_T5_T6_T7_T9_mT8_P12ihipStream_tbDpT10_ENKUlT_T0_E_clISt17integral_constantIbLb0EES1B_IbLb1EEEEDaS17_S18_EUlS17_E_NS1_11comp_targetILNS1_3genE3ELNS1_11target_archE908ELNS1_3gpuE7ELNS1_3repE0EEENS1_30default_config_static_selectorELNS0_4arch9wavefront6targetE0EEEvT1_,@function
_ZN7rocprim17ROCPRIM_400000_NS6detail17trampoline_kernelINS0_14default_configENS1_25partition_config_selectorILNS1_17partition_subalgoE8ElNS0_10empty_typeEbEEZZNS1_14partition_implILS5_8ELb0ES3_jPlPS6_PKS6_NS0_5tupleIJS9_S6_EEENSD_IJSA_SA_EEENS0_18inequality_wrapperIZN2at6native12_GLOBAL__N_124unique_dim_cuda_templateIlEESt5tupleIJNSH_6TensorESM_SM_EERKSM_lbbbEUlllE0_EEPmJS6_EEE10hipError_tPvRmT3_T4_T5_T6_T7_T9_mT8_P12ihipStream_tbDpT10_ENKUlT_T0_E_clISt17integral_constantIbLb0EES1B_IbLb1EEEEDaS17_S18_EUlS17_E_NS1_11comp_targetILNS1_3genE3ELNS1_11target_archE908ELNS1_3gpuE7ELNS1_3repE0EEENS1_30default_config_static_selectorELNS0_4arch9wavefront6targetE0EEEvT1_: ; @_ZN7rocprim17ROCPRIM_400000_NS6detail17trampoline_kernelINS0_14default_configENS1_25partition_config_selectorILNS1_17partition_subalgoE8ElNS0_10empty_typeEbEEZZNS1_14partition_implILS5_8ELb0ES3_jPlPS6_PKS6_NS0_5tupleIJS9_S6_EEENSD_IJSA_SA_EEENS0_18inequality_wrapperIZN2at6native12_GLOBAL__N_124unique_dim_cuda_templateIlEESt5tupleIJNSH_6TensorESM_SM_EERKSM_lbbbEUlllE0_EEPmJS6_EEE10hipError_tPvRmT3_T4_T5_T6_T7_T9_mT8_P12ihipStream_tbDpT10_ENKUlT_T0_E_clISt17integral_constantIbLb0EES1B_IbLb1EEEEDaS17_S18_EUlS17_E_NS1_11comp_targetILNS1_3genE3ELNS1_11target_archE908ELNS1_3gpuE7ELNS1_3repE0EEENS1_30default_config_static_selectorELNS0_4arch9wavefront6targetE0EEEvT1_
; %bb.0:
	.section	.rodata,"a",@progbits
	.p2align	6, 0x0
	.amdhsa_kernel _ZN7rocprim17ROCPRIM_400000_NS6detail17trampoline_kernelINS0_14default_configENS1_25partition_config_selectorILNS1_17partition_subalgoE8ElNS0_10empty_typeEbEEZZNS1_14partition_implILS5_8ELb0ES3_jPlPS6_PKS6_NS0_5tupleIJS9_S6_EEENSD_IJSA_SA_EEENS0_18inequality_wrapperIZN2at6native12_GLOBAL__N_124unique_dim_cuda_templateIlEESt5tupleIJNSH_6TensorESM_SM_EERKSM_lbbbEUlllE0_EEPmJS6_EEE10hipError_tPvRmT3_T4_T5_T6_T7_T9_mT8_P12ihipStream_tbDpT10_ENKUlT_T0_E_clISt17integral_constantIbLb0EES1B_IbLb1EEEEDaS17_S18_EUlS17_E_NS1_11comp_targetILNS1_3genE3ELNS1_11target_archE908ELNS1_3gpuE7ELNS1_3repE0EEENS1_30default_config_static_selectorELNS0_4arch9wavefront6targetE0EEEvT1_
		.amdhsa_group_segment_fixed_size 0
		.amdhsa_private_segment_fixed_size 0
		.amdhsa_kernarg_size 136
		.amdhsa_user_sgpr_count 2
		.amdhsa_user_sgpr_dispatch_ptr 0
		.amdhsa_user_sgpr_queue_ptr 0
		.amdhsa_user_sgpr_kernarg_segment_ptr 1
		.amdhsa_user_sgpr_dispatch_id 0
		.amdhsa_user_sgpr_kernarg_preload_length 0
		.amdhsa_user_sgpr_kernarg_preload_offset 0
		.amdhsa_user_sgpr_private_segment_size 0
		.amdhsa_wavefront_size32 1
		.amdhsa_uses_dynamic_stack 0
		.amdhsa_enable_private_segment 0
		.amdhsa_system_sgpr_workgroup_id_x 1
		.amdhsa_system_sgpr_workgroup_id_y 0
		.amdhsa_system_sgpr_workgroup_id_z 0
		.amdhsa_system_sgpr_workgroup_info 0
		.amdhsa_system_vgpr_workitem_id 0
		.amdhsa_next_free_vgpr 1
		.amdhsa_next_free_sgpr 1
		.amdhsa_named_barrier_count 0
		.amdhsa_reserve_vcc 0
		.amdhsa_float_round_mode_32 0
		.amdhsa_float_round_mode_16_64 0
		.amdhsa_float_denorm_mode_32 3
		.amdhsa_float_denorm_mode_16_64 3
		.amdhsa_fp16_overflow 0
		.amdhsa_memory_ordered 1
		.amdhsa_forward_progress 1
		.amdhsa_inst_pref_size 0
		.amdhsa_round_robin_scheduling 0
		.amdhsa_exception_fp_ieee_invalid_op 0
		.amdhsa_exception_fp_denorm_src 0
		.amdhsa_exception_fp_ieee_div_zero 0
		.amdhsa_exception_fp_ieee_overflow 0
		.amdhsa_exception_fp_ieee_underflow 0
		.amdhsa_exception_fp_ieee_inexact 0
		.amdhsa_exception_int_div_zero 0
	.end_amdhsa_kernel
	.section	.text._ZN7rocprim17ROCPRIM_400000_NS6detail17trampoline_kernelINS0_14default_configENS1_25partition_config_selectorILNS1_17partition_subalgoE8ElNS0_10empty_typeEbEEZZNS1_14partition_implILS5_8ELb0ES3_jPlPS6_PKS6_NS0_5tupleIJS9_S6_EEENSD_IJSA_SA_EEENS0_18inequality_wrapperIZN2at6native12_GLOBAL__N_124unique_dim_cuda_templateIlEESt5tupleIJNSH_6TensorESM_SM_EERKSM_lbbbEUlllE0_EEPmJS6_EEE10hipError_tPvRmT3_T4_T5_T6_T7_T9_mT8_P12ihipStream_tbDpT10_ENKUlT_T0_E_clISt17integral_constantIbLb0EES1B_IbLb1EEEEDaS17_S18_EUlS17_E_NS1_11comp_targetILNS1_3genE3ELNS1_11target_archE908ELNS1_3gpuE7ELNS1_3repE0EEENS1_30default_config_static_selectorELNS0_4arch9wavefront6targetE0EEEvT1_,"axG",@progbits,_ZN7rocprim17ROCPRIM_400000_NS6detail17trampoline_kernelINS0_14default_configENS1_25partition_config_selectorILNS1_17partition_subalgoE8ElNS0_10empty_typeEbEEZZNS1_14partition_implILS5_8ELb0ES3_jPlPS6_PKS6_NS0_5tupleIJS9_S6_EEENSD_IJSA_SA_EEENS0_18inequality_wrapperIZN2at6native12_GLOBAL__N_124unique_dim_cuda_templateIlEESt5tupleIJNSH_6TensorESM_SM_EERKSM_lbbbEUlllE0_EEPmJS6_EEE10hipError_tPvRmT3_T4_T5_T6_T7_T9_mT8_P12ihipStream_tbDpT10_ENKUlT_T0_E_clISt17integral_constantIbLb0EES1B_IbLb1EEEEDaS17_S18_EUlS17_E_NS1_11comp_targetILNS1_3genE3ELNS1_11target_archE908ELNS1_3gpuE7ELNS1_3repE0EEENS1_30default_config_static_selectorELNS0_4arch9wavefront6targetE0EEEvT1_,comdat
.Lfunc_end590:
	.size	_ZN7rocprim17ROCPRIM_400000_NS6detail17trampoline_kernelINS0_14default_configENS1_25partition_config_selectorILNS1_17partition_subalgoE8ElNS0_10empty_typeEbEEZZNS1_14partition_implILS5_8ELb0ES3_jPlPS6_PKS6_NS0_5tupleIJS9_S6_EEENSD_IJSA_SA_EEENS0_18inequality_wrapperIZN2at6native12_GLOBAL__N_124unique_dim_cuda_templateIlEESt5tupleIJNSH_6TensorESM_SM_EERKSM_lbbbEUlllE0_EEPmJS6_EEE10hipError_tPvRmT3_T4_T5_T6_T7_T9_mT8_P12ihipStream_tbDpT10_ENKUlT_T0_E_clISt17integral_constantIbLb0EES1B_IbLb1EEEEDaS17_S18_EUlS17_E_NS1_11comp_targetILNS1_3genE3ELNS1_11target_archE908ELNS1_3gpuE7ELNS1_3repE0EEENS1_30default_config_static_selectorELNS0_4arch9wavefront6targetE0EEEvT1_, .Lfunc_end590-_ZN7rocprim17ROCPRIM_400000_NS6detail17trampoline_kernelINS0_14default_configENS1_25partition_config_selectorILNS1_17partition_subalgoE8ElNS0_10empty_typeEbEEZZNS1_14partition_implILS5_8ELb0ES3_jPlPS6_PKS6_NS0_5tupleIJS9_S6_EEENSD_IJSA_SA_EEENS0_18inequality_wrapperIZN2at6native12_GLOBAL__N_124unique_dim_cuda_templateIlEESt5tupleIJNSH_6TensorESM_SM_EERKSM_lbbbEUlllE0_EEPmJS6_EEE10hipError_tPvRmT3_T4_T5_T6_T7_T9_mT8_P12ihipStream_tbDpT10_ENKUlT_T0_E_clISt17integral_constantIbLb0EES1B_IbLb1EEEEDaS17_S18_EUlS17_E_NS1_11comp_targetILNS1_3genE3ELNS1_11target_archE908ELNS1_3gpuE7ELNS1_3repE0EEENS1_30default_config_static_selectorELNS0_4arch9wavefront6targetE0EEEvT1_
                                        ; -- End function
	.set _ZN7rocprim17ROCPRIM_400000_NS6detail17trampoline_kernelINS0_14default_configENS1_25partition_config_selectorILNS1_17partition_subalgoE8ElNS0_10empty_typeEbEEZZNS1_14partition_implILS5_8ELb0ES3_jPlPS6_PKS6_NS0_5tupleIJS9_S6_EEENSD_IJSA_SA_EEENS0_18inequality_wrapperIZN2at6native12_GLOBAL__N_124unique_dim_cuda_templateIlEESt5tupleIJNSH_6TensorESM_SM_EERKSM_lbbbEUlllE0_EEPmJS6_EEE10hipError_tPvRmT3_T4_T5_T6_T7_T9_mT8_P12ihipStream_tbDpT10_ENKUlT_T0_E_clISt17integral_constantIbLb0EES1B_IbLb1EEEEDaS17_S18_EUlS17_E_NS1_11comp_targetILNS1_3genE3ELNS1_11target_archE908ELNS1_3gpuE7ELNS1_3repE0EEENS1_30default_config_static_selectorELNS0_4arch9wavefront6targetE0EEEvT1_.num_vgpr, 0
	.set _ZN7rocprim17ROCPRIM_400000_NS6detail17trampoline_kernelINS0_14default_configENS1_25partition_config_selectorILNS1_17partition_subalgoE8ElNS0_10empty_typeEbEEZZNS1_14partition_implILS5_8ELb0ES3_jPlPS6_PKS6_NS0_5tupleIJS9_S6_EEENSD_IJSA_SA_EEENS0_18inequality_wrapperIZN2at6native12_GLOBAL__N_124unique_dim_cuda_templateIlEESt5tupleIJNSH_6TensorESM_SM_EERKSM_lbbbEUlllE0_EEPmJS6_EEE10hipError_tPvRmT3_T4_T5_T6_T7_T9_mT8_P12ihipStream_tbDpT10_ENKUlT_T0_E_clISt17integral_constantIbLb0EES1B_IbLb1EEEEDaS17_S18_EUlS17_E_NS1_11comp_targetILNS1_3genE3ELNS1_11target_archE908ELNS1_3gpuE7ELNS1_3repE0EEENS1_30default_config_static_selectorELNS0_4arch9wavefront6targetE0EEEvT1_.num_agpr, 0
	.set _ZN7rocprim17ROCPRIM_400000_NS6detail17trampoline_kernelINS0_14default_configENS1_25partition_config_selectorILNS1_17partition_subalgoE8ElNS0_10empty_typeEbEEZZNS1_14partition_implILS5_8ELb0ES3_jPlPS6_PKS6_NS0_5tupleIJS9_S6_EEENSD_IJSA_SA_EEENS0_18inequality_wrapperIZN2at6native12_GLOBAL__N_124unique_dim_cuda_templateIlEESt5tupleIJNSH_6TensorESM_SM_EERKSM_lbbbEUlllE0_EEPmJS6_EEE10hipError_tPvRmT3_T4_T5_T6_T7_T9_mT8_P12ihipStream_tbDpT10_ENKUlT_T0_E_clISt17integral_constantIbLb0EES1B_IbLb1EEEEDaS17_S18_EUlS17_E_NS1_11comp_targetILNS1_3genE3ELNS1_11target_archE908ELNS1_3gpuE7ELNS1_3repE0EEENS1_30default_config_static_selectorELNS0_4arch9wavefront6targetE0EEEvT1_.numbered_sgpr, 0
	.set _ZN7rocprim17ROCPRIM_400000_NS6detail17trampoline_kernelINS0_14default_configENS1_25partition_config_selectorILNS1_17partition_subalgoE8ElNS0_10empty_typeEbEEZZNS1_14partition_implILS5_8ELb0ES3_jPlPS6_PKS6_NS0_5tupleIJS9_S6_EEENSD_IJSA_SA_EEENS0_18inequality_wrapperIZN2at6native12_GLOBAL__N_124unique_dim_cuda_templateIlEESt5tupleIJNSH_6TensorESM_SM_EERKSM_lbbbEUlllE0_EEPmJS6_EEE10hipError_tPvRmT3_T4_T5_T6_T7_T9_mT8_P12ihipStream_tbDpT10_ENKUlT_T0_E_clISt17integral_constantIbLb0EES1B_IbLb1EEEEDaS17_S18_EUlS17_E_NS1_11comp_targetILNS1_3genE3ELNS1_11target_archE908ELNS1_3gpuE7ELNS1_3repE0EEENS1_30default_config_static_selectorELNS0_4arch9wavefront6targetE0EEEvT1_.num_named_barrier, 0
	.set _ZN7rocprim17ROCPRIM_400000_NS6detail17trampoline_kernelINS0_14default_configENS1_25partition_config_selectorILNS1_17partition_subalgoE8ElNS0_10empty_typeEbEEZZNS1_14partition_implILS5_8ELb0ES3_jPlPS6_PKS6_NS0_5tupleIJS9_S6_EEENSD_IJSA_SA_EEENS0_18inequality_wrapperIZN2at6native12_GLOBAL__N_124unique_dim_cuda_templateIlEESt5tupleIJNSH_6TensorESM_SM_EERKSM_lbbbEUlllE0_EEPmJS6_EEE10hipError_tPvRmT3_T4_T5_T6_T7_T9_mT8_P12ihipStream_tbDpT10_ENKUlT_T0_E_clISt17integral_constantIbLb0EES1B_IbLb1EEEEDaS17_S18_EUlS17_E_NS1_11comp_targetILNS1_3genE3ELNS1_11target_archE908ELNS1_3gpuE7ELNS1_3repE0EEENS1_30default_config_static_selectorELNS0_4arch9wavefront6targetE0EEEvT1_.private_seg_size, 0
	.set _ZN7rocprim17ROCPRIM_400000_NS6detail17trampoline_kernelINS0_14default_configENS1_25partition_config_selectorILNS1_17partition_subalgoE8ElNS0_10empty_typeEbEEZZNS1_14partition_implILS5_8ELb0ES3_jPlPS6_PKS6_NS0_5tupleIJS9_S6_EEENSD_IJSA_SA_EEENS0_18inequality_wrapperIZN2at6native12_GLOBAL__N_124unique_dim_cuda_templateIlEESt5tupleIJNSH_6TensorESM_SM_EERKSM_lbbbEUlllE0_EEPmJS6_EEE10hipError_tPvRmT3_T4_T5_T6_T7_T9_mT8_P12ihipStream_tbDpT10_ENKUlT_T0_E_clISt17integral_constantIbLb0EES1B_IbLb1EEEEDaS17_S18_EUlS17_E_NS1_11comp_targetILNS1_3genE3ELNS1_11target_archE908ELNS1_3gpuE7ELNS1_3repE0EEENS1_30default_config_static_selectorELNS0_4arch9wavefront6targetE0EEEvT1_.uses_vcc, 0
	.set _ZN7rocprim17ROCPRIM_400000_NS6detail17trampoline_kernelINS0_14default_configENS1_25partition_config_selectorILNS1_17partition_subalgoE8ElNS0_10empty_typeEbEEZZNS1_14partition_implILS5_8ELb0ES3_jPlPS6_PKS6_NS0_5tupleIJS9_S6_EEENSD_IJSA_SA_EEENS0_18inequality_wrapperIZN2at6native12_GLOBAL__N_124unique_dim_cuda_templateIlEESt5tupleIJNSH_6TensorESM_SM_EERKSM_lbbbEUlllE0_EEPmJS6_EEE10hipError_tPvRmT3_T4_T5_T6_T7_T9_mT8_P12ihipStream_tbDpT10_ENKUlT_T0_E_clISt17integral_constantIbLb0EES1B_IbLb1EEEEDaS17_S18_EUlS17_E_NS1_11comp_targetILNS1_3genE3ELNS1_11target_archE908ELNS1_3gpuE7ELNS1_3repE0EEENS1_30default_config_static_selectorELNS0_4arch9wavefront6targetE0EEEvT1_.uses_flat_scratch, 0
	.set _ZN7rocprim17ROCPRIM_400000_NS6detail17trampoline_kernelINS0_14default_configENS1_25partition_config_selectorILNS1_17partition_subalgoE8ElNS0_10empty_typeEbEEZZNS1_14partition_implILS5_8ELb0ES3_jPlPS6_PKS6_NS0_5tupleIJS9_S6_EEENSD_IJSA_SA_EEENS0_18inequality_wrapperIZN2at6native12_GLOBAL__N_124unique_dim_cuda_templateIlEESt5tupleIJNSH_6TensorESM_SM_EERKSM_lbbbEUlllE0_EEPmJS6_EEE10hipError_tPvRmT3_T4_T5_T6_T7_T9_mT8_P12ihipStream_tbDpT10_ENKUlT_T0_E_clISt17integral_constantIbLb0EES1B_IbLb1EEEEDaS17_S18_EUlS17_E_NS1_11comp_targetILNS1_3genE3ELNS1_11target_archE908ELNS1_3gpuE7ELNS1_3repE0EEENS1_30default_config_static_selectorELNS0_4arch9wavefront6targetE0EEEvT1_.has_dyn_sized_stack, 0
	.set _ZN7rocprim17ROCPRIM_400000_NS6detail17trampoline_kernelINS0_14default_configENS1_25partition_config_selectorILNS1_17partition_subalgoE8ElNS0_10empty_typeEbEEZZNS1_14partition_implILS5_8ELb0ES3_jPlPS6_PKS6_NS0_5tupleIJS9_S6_EEENSD_IJSA_SA_EEENS0_18inequality_wrapperIZN2at6native12_GLOBAL__N_124unique_dim_cuda_templateIlEESt5tupleIJNSH_6TensorESM_SM_EERKSM_lbbbEUlllE0_EEPmJS6_EEE10hipError_tPvRmT3_T4_T5_T6_T7_T9_mT8_P12ihipStream_tbDpT10_ENKUlT_T0_E_clISt17integral_constantIbLb0EES1B_IbLb1EEEEDaS17_S18_EUlS17_E_NS1_11comp_targetILNS1_3genE3ELNS1_11target_archE908ELNS1_3gpuE7ELNS1_3repE0EEENS1_30default_config_static_selectorELNS0_4arch9wavefront6targetE0EEEvT1_.has_recursion, 0
	.set _ZN7rocprim17ROCPRIM_400000_NS6detail17trampoline_kernelINS0_14default_configENS1_25partition_config_selectorILNS1_17partition_subalgoE8ElNS0_10empty_typeEbEEZZNS1_14partition_implILS5_8ELb0ES3_jPlPS6_PKS6_NS0_5tupleIJS9_S6_EEENSD_IJSA_SA_EEENS0_18inequality_wrapperIZN2at6native12_GLOBAL__N_124unique_dim_cuda_templateIlEESt5tupleIJNSH_6TensorESM_SM_EERKSM_lbbbEUlllE0_EEPmJS6_EEE10hipError_tPvRmT3_T4_T5_T6_T7_T9_mT8_P12ihipStream_tbDpT10_ENKUlT_T0_E_clISt17integral_constantIbLb0EES1B_IbLb1EEEEDaS17_S18_EUlS17_E_NS1_11comp_targetILNS1_3genE3ELNS1_11target_archE908ELNS1_3gpuE7ELNS1_3repE0EEENS1_30default_config_static_selectorELNS0_4arch9wavefront6targetE0EEEvT1_.has_indirect_call, 0
	.section	.AMDGPU.csdata,"",@progbits
; Kernel info:
; codeLenInByte = 0
; TotalNumSgprs: 0
; NumVgprs: 0
; ScratchSize: 0
; MemoryBound: 0
; FloatMode: 240
; IeeeMode: 1
; LDSByteSize: 0 bytes/workgroup (compile time only)
; SGPRBlocks: 0
; VGPRBlocks: 0
; NumSGPRsForWavesPerEU: 1
; NumVGPRsForWavesPerEU: 1
; NamedBarCnt: 0
; Occupancy: 16
; WaveLimiterHint : 0
; COMPUTE_PGM_RSRC2:SCRATCH_EN: 0
; COMPUTE_PGM_RSRC2:USER_SGPR: 2
; COMPUTE_PGM_RSRC2:TRAP_HANDLER: 0
; COMPUTE_PGM_RSRC2:TGID_X_EN: 1
; COMPUTE_PGM_RSRC2:TGID_Y_EN: 0
; COMPUTE_PGM_RSRC2:TGID_Z_EN: 0
; COMPUTE_PGM_RSRC2:TIDIG_COMP_CNT: 0
	.section	.text._ZN7rocprim17ROCPRIM_400000_NS6detail17trampoline_kernelINS0_14default_configENS1_25partition_config_selectorILNS1_17partition_subalgoE8ElNS0_10empty_typeEbEEZZNS1_14partition_implILS5_8ELb0ES3_jPlPS6_PKS6_NS0_5tupleIJS9_S6_EEENSD_IJSA_SA_EEENS0_18inequality_wrapperIZN2at6native12_GLOBAL__N_124unique_dim_cuda_templateIlEESt5tupleIJNSH_6TensorESM_SM_EERKSM_lbbbEUlllE0_EEPmJS6_EEE10hipError_tPvRmT3_T4_T5_T6_T7_T9_mT8_P12ihipStream_tbDpT10_ENKUlT_T0_E_clISt17integral_constantIbLb0EES1B_IbLb1EEEEDaS17_S18_EUlS17_E_NS1_11comp_targetILNS1_3genE2ELNS1_11target_archE906ELNS1_3gpuE6ELNS1_3repE0EEENS1_30default_config_static_selectorELNS0_4arch9wavefront6targetE0EEEvT1_,"axG",@progbits,_ZN7rocprim17ROCPRIM_400000_NS6detail17trampoline_kernelINS0_14default_configENS1_25partition_config_selectorILNS1_17partition_subalgoE8ElNS0_10empty_typeEbEEZZNS1_14partition_implILS5_8ELb0ES3_jPlPS6_PKS6_NS0_5tupleIJS9_S6_EEENSD_IJSA_SA_EEENS0_18inequality_wrapperIZN2at6native12_GLOBAL__N_124unique_dim_cuda_templateIlEESt5tupleIJNSH_6TensorESM_SM_EERKSM_lbbbEUlllE0_EEPmJS6_EEE10hipError_tPvRmT3_T4_T5_T6_T7_T9_mT8_P12ihipStream_tbDpT10_ENKUlT_T0_E_clISt17integral_constantIbLb0EES1B_IbLb1EEEEDaS17_S18_EUlS17_E_NS1_11comp_targetILNS1_3genE2ELNS1_11target_archE906ELNS1_3gpuE6ELNS1_3repE0EEENS1_30default_config_static_selectorELNS0_4arch9wavefront6targetE0EEEvT1_,comdat
	.globl	_ZN7rocprim17ROCPRIM_400000_NS6detail17trampoline_kernelINS0_14default_configENS1_25partition_config_selectorILNS1_17partition_subalgoE8ElNS0_10empty_typeEbEEZZNS1_14partition_implILS5_8ELb0ES3_jPlPS6_PKS6_NS0_5tupleIJS9_S6_EEENSD_IJSA_SA_EEENS0_18inequality_wrapperIZN2at6native12_GLOBAL__N_124unique_dim_cuda_templateIlEESt5tupleIJNSH_6TensorESM_SM_EERKSM_lbbbEUlllE0_EEPmJS6_EEE10hipError_tPvRmT3_T4_T5_T6_T7_T9_mT8_P12ihipStream_tbDpT10_ENKUlT_T0_E_clISt17integral_constantIbLb0EES1B_IbLb1EEEEDaS17_S18_EUlS17_E_NS1_11comp_targetILNS1_3genE2ELNS1_11target_archE906ELNS1_3gpuE6ELNS1_3repE0EEENS1_30default_config_static_selectorELNS0_4arch9wavefront6targetE0EEEvT1_ ; -- Begin function _ZN7rocprim17ROCPRIM_400000_NS6detail17trampoline_kernelINS0_14default_configENS1_25partition_config_selectorILNS1_17partition_subalgoE8ElNS0_10empty_typeEbEEZZNS1_14partition_implILS5_8ELb0ES3_jPlPS6_PKS6_NS0_5tupleIJS9_S6_EEENSD_IJSA_SA_EEENS0_18inequality_wrapperIZN2at6native12_GLOBAL__N_124unique_dim_cuda_templateIlEESt5tupleIJNSH_6TensorESM_SM_EERKSM_lbbbEUlllE0_EEPmJS6_EEE10hipError_tPvRmT3_T4_T5_T6_T7_T9_mT8_P12ihipStream_tbDpT10_ENKUlT_T0_E_clISt17integral_constantIbLb0EES1B_IbLb1EEEEDaS17_S18_EUlS17_E_NS1_11comp_targetILNS1_3genE2ELNS1_11target_archE906ELNS1_3gpuE6ELNS1_3repE0EEENS1_30default_config_static_selectorELNS0_4arch9wavefront6targetE0EEEvT1_
	.p2align	8
	.type	_ZN7rocprim17ROCPRIM_400000_NS6detail17trampoline_kernelINS0_14default_configENS1_25partition_config_selectorILNS1_17partition_subalgoE8ElNS0_10empty_typeEbEEZZNS1_14partition_implILS5_8ELb0ES3_jPlPS6_PKS6_NS0_5tupleIJS9_S6_EEENSD_IJSA_SA_EEENS0_18inequality_wrapperIZN2at6native12_GLOBAL__N_124unique_dim_cuda_templateIlEESt5tupleIJNSH_6TensorESM_SM_EERKSM_lbbbEUlllE0_EEPmJS6_EEE10hipError_tPvRmT3_T4_T5_T6_T7_T9_mT8_P12ihipStream_tbDpT10_ENKUlT_T0_E_clISt17integral_constantIbLb0EES1B_IbLb1EEEEDaS17_S18_EUlS17_E_NS1_11comp_targetILNS1_3genE2ELNS1_11target_archE906ELNS1_3gpuE6ELNS1_3repE0EEENS1_30default_config_static_selectorELNS0_4arch9wavefront6targetE0EEEvT1_,@function
_ZN7rocprim17ROCPRIM_400000_NS6detail17trampoline_kernelINS0_14default_configENS1_25partition_config_selectorILNS1_17partition_subalgoE8ElNS0_10empty_typeEbEEZZNS1_14partition_implILS5_8ELb0ES3_jPlPS6_PKS6_NS0_5tupleIJS9_S6_EEENSD_IJSA_SA_EEENS0_18inequality_wrapperIZN2at6native12_GLOBAL__N_124unique_dim_cuda_templateIlEESt5tupleIJNSH_6TensorESM_SM_EERKSM_lbbbEUlllE0_EEPmJS6_EEE10hipError_tPvRmT3_T4_T5_T6_T7_T9_mT8_P12ihipStream_tbDpT10_ENKUlT_T0_E_clISt17integral_constantIbLb0EES1B_IbLb1EEEEDaS17_S18_EUlS17_E_NS1_11comp_targetILNS1_3genE2ELNS1_11target_archE906ELNS1_3gpuE6ELNS1_3repE0EEENS1_30default_config_static_selectorELNS0_4arch9wavefront6targetE0EEEvT1_: ; @_ZN7rocprim17ROCPRIM_400000_NS6detail17trampoline_kernelINS0_14default_configENS1_25partition_config_selectorILNS1_17partition_subalgoE8ElNS0_10empty_typeEbEEZZNS1_14partition_implILS5_8ELb0ES3_jPlPS6_PKS6_NS0_5tupleIJS9_S6_EEENSD_IJSA_SA_EEENS0_18inequality_wrapperIZN2at6native12_GLOBAL__N_124unique_dim_cuda_templateIlEESt5tupleIJNSH_6TensorESM_SM_EERKSM_lbbbEUlllE0_EEPmJS6_EEE10hipError_tPvRmT3_T4_T5_T6_T7_T9_mT8_P12ihipStream_tbDpT10_ENKUlT_T0_E_clISt17integral_constantIbLb0EES1B_IbLb1EEEEDaS17_S18_EUlS17_E_NS1_11comp_targetILNS1_3genE2ELNS1_11target_archE906ELNS1_3gpuE6ELNS1_3repE0EEENS1_30default_config_static_selectorELNS0_4arch9wavefront6targetE0EEEvT1_
; %bb.0:
	.section	.rodata,"a",@progbits
	.p2align	6, 0x0
	.amdhsa_kernel _ZN7rocprim17ROCPRIM_400000_NS6detail17trampoline_kernelINS0_14default_configENS1_25partition_config_selectorILNS1_17partition_subalgoE8ElNS0_10empty_typeEbEEZZNS1_14partition_implILS5_8ELb0ES3_jPlPS6_PKS6_NS0_5tupleIJS9_S6_EEENSD_IJSA_SA_EEENS0_18inequality_wrapperIZN2at6native12_GLOBAL__N_124unique_dim_cuda_templateIlEESt5tupleIJNSH_6TensorESM_SM_EERKSM_lbbbEUlllE0_EEPmJS6_EEE10hipError_tPvRmT3_T4_T5_T6_T7_T9_mT8_P12ihipStream_tbDpT10_ENKUlT_T0_E_clISt17integral_constantIbLb0EES1B_IbLb1EEEEDaS17_S18_EUlS17_E_NS1_11comp_targetILNS1_3genE2ELNS1_11target_archE906ELNS1_3gpuE6ELNS1_3repE0EEENS1_30default_config_static_selectorELNS0_4arch9wavefront6targetE0EEEvT1_
		.amdhsa_group_segment_fixed_size 0
		.amdhsa_private_segment_fixed_size 0
		.amdhsa_kernarg_size 136
		.amdhsa_user_sgpr_count 2
		.amdhsa_user_sgpr_dispatch_ptr 0
		.amdhsa_user_sgpr_queue_ptr 0
		.amdhsa_user_sgpr_kernarg_segment_ptr 1
		.amdhsa_user_sgpr_dispatch_id 0
		.amdhsa_user_sgpr_kernarg_preload_length 0
		.amdhsa_user_sgpr_kernarg_preload_offset 0
		.amdhsa_user_sgpr_private_segment_size 0
		.amdhsa_wavefront_size32 1
		.amdhsa_uses_dynamic_stack 0
		.amdhsa_enable_private_segment 0
		.amdhsa_system_sgpr_workgroup_id_x 1
		.amdhsa_system_sgpr_workgroup_id_y 0
		.amdhsa_system_sgpr_workgroup_id_z 0
		.amdhsa_system_sgpr_workgroup_info 0
		.amdhsa_system_vgpr_workitem_id 0
		.amdhsa_next_free_vgpr 1
		.amdhsa_next_free_sgpr 1
		.amdhsa_named_barrier_count 0
		.amdhsa_reserve_vcc 0
		.amdhsa_float_round_mode_32 0
		.amdhsa_float_round_mode_16_64 0
		.amdhsa_float_denorm_mode_32 3
		.amdhsa_float_denorm_mode_16_64 3
		.amdhsa_fp16_overflow 0
		.amdhsa_memory_ordered 1
		.amdhsa_forward_progress 1
		.amdhsa_inst_pref_size 0
		.amdhsa_round_robin_scheduling 0
		.amdhsa_exception_fp_ieee_invalid_op 0
		.amdhsa_exception_fp_denorm_src 0
		.amdhsa_exception_fp_ieee_div_zero 0
		.amdhsa_exception_fp_ieee_overflow 0
		.amdhsa_exception_fp_ieee_underflow 0
		.amdhsa_exception_fp_ieee_inexact 0
		.amdhsa_exception_int_div_zero 0
	.end_amdhsa_kernel
	.section	.text._ZN7rocprim17ROCPRIM_400000_NS6detail17trampoline_kernelINS0_14default_configENS1_25partition_config_selectorILNS1_17partition_subalgoE8ElNS0_10empty_typeEbEEZZNS1_14partition_implILS5_8ELb0ES3_jPlPS6_PKS6_NS0_5tupleIJS9_S6_EEENSD_IJSA_SA_EEENS0_18inequality_wrapperIZN2at6native12_GLOBAL__N_124unique_dim_cuda_templateIlEESt5tupleIJNSH_6TensorESM_SM_EERKSM_lbbbEUlllE0_EEPmJS6_EEE10hipError_tPvRmT3_T4_T5_T6_T7_T9_mT8_P12ihipStream_tbDpT10_ENKUlT_T0_E_clISt17integral_constantIbLb0EES1B_IbLb1EEEEDaS17_S18_EUlS17_E_NS1_11comp_targetILNS1_3genE2ELNS1_11target_archE906ELNS1_3gpuE6ELNS1_3repE0EEENS1_30default_config_static_selectorELNS0_4arch9wavefront6targetE0EEEvT1_,"axG",@progbits,_ZN7rocprim17ROCPRIM_400000_NS6detail17trampoline_kernelINS0_14default_configENS1_25partition_config_selectorILNS1_17partition_subalgoE8ElNS0_10empty_typeEbEEZZNS1_14partition_implILS5_8ELb0ES3_jPlPS6_PKS6_NS0_5tupleIJS9_S6_EEENSD_IJSA_SA_EEENS0_18inequality_wrapperIZN2at6native12_GLOBAL__N_124unique_dim_cuda_templateIlEESt5tupleIJNSH_6TensorESM_SM_EERKSM_lbbbEUlllE0_EEPmJS6_EEE10hipError_tPvRmT3_T4_T5_T6_T7_T9_mT8_P12ihipStream_tbDpT10_ENKUlT_T0_E_clISt17integral_constantIbLb0EES1B_IbLb1EEEEDaS17_S18_EUlS17_E_NS1_11comp_targetILNS1_3genE2ELNS1_11target_archE906ELNS1_3gpuE6ELNS1_3repE0EEENS1_30default_config_static_selectorELNS0_4arch9wavefront6targetE0EEEvT1_,comdat
.Lfunc_end591:
	.size	_ZN7rocprim17ROCPRIM_400000_NS6detail17trampoline_kernelINS0_14default_configENS1_25partition_config_selectorILNS1_17partition_subalgoE8ElNS0_10empty_typeEbEEZZNS1_14partition_implILS5_8ELb0ES3_jPlPS6_PKS6_NS0_5tupleIJS9_S6_EEENSD_IJSA_SA_EEENS0_18inequality_wrapperIZN2at6native12_GLOBAL__N_124unique_dim_cuda_templateIlEESt5tupleIJNSH_6TensorESM_SM_EERKSM_lbbbEUlllE0_EEPmJS6_EEE10hipError_tPvRmT3_T4_T5_T6_T7_T9_mT8_P12ihipStream_tbDpT10_ENKUlT_T0_E_clISt17integral_constantIbLb0EES1B_IbLb1EEEEDaS17_S18_EUlS17_E_NS1_11comp_targetILNS1_3genE2ELNS1_11target_archE906ELNS1_3gpuE6ELNS1_3repE0EEENS1_30default_config_static_selectorELNS0_4arch9wavefront6targetE0EEEvT1_, .Lfunc_end591-_ZN7rocprim17ROCPRIM_400000_NS6detail17trampoline_kernelINS0_14default_configENS1_25partition_config_selectorILNS1_17partition_subalgoE8ElNS0_10empty_typeEbEEZZNS1_14partition_implILS5_8ELb0ES3_jPlPS6_PKS6_NS0_5tupleIJS9_S6_EEENSD_IJSA_SA_EEENS0_18inequality_wrapperIZN2at6native12_GLOBAL__N_124unique_dim_cuda_templateIlEESt5tupleIJNSH_6TensorESM_SM_EERKSM_lbbbEUlllE0_EEPmJS6_EEE10hipError_tPvRmT3_T4_T5_T6_T7_T9_mT8_P12ihipStream_tbDpT10_ENKUlT_T0_E_clISt17integral_constantIbLb0EES1B_IbLb1EEEEDaS17_S18_EUlS17_E_NS1_11comp_targetILNS1_3genE2ELNS1_11target_archE906ELNS1_3gpuE6ELNS1_3repE0EEENS1_30default_config_static_selectorELNS0_4arch9wavefront6targetE0EEEvT1_
                                        ; -- End function
	.set _ZN7rocprim17ROCPRIM_400000_NS6detail17trampoline_kernelINS0_14default_configENS1_25partition_config_selectorILNS1_17partition_subalgoE8ElNS0_10empty_typeEbEEZZNS1_14partition_implILS5_8ELb0ES3_jPlPS6_PKS6_NS0_5tupleIJS9_S6_EEENSD_IJSA_SA_EEENS0_18inequality_wrapperIZN2at6native12_GLOBAL__N_124unique_dim_cuda_templateIlEESt5tupleIJNSH_6TensorESM_SM_EERKSM_lbbbEUlllE0_EEPmJS6_EEE10hipError_tPvRmT3_T4_T5_T6_T7_T9_mT8_P12ihipStream_tbDpT10_ENKUlT_T0_E_clISt17integral_constantIbLb0EES1B_IbLb1EEEEDaS17_S18_EUlS17_E_NS1_11comp_targetILNS1_3genE2ELNS1_11target_archE906ELNS1_3gpuE6ELNS1_3repE0EEENS1_30default_config_static_selectorELNS0_4arch9wavefront6targetE0EEEvT1_.num_vgpr, 0
	.set _ZN7rocprim17ROCPRIM_400000_NS6detail17trampoline_kernelINS0_14default_configENS1_25partition_config_selectorILNS1_17partition_subalgoE8ElNS0_10empty_typeEbEEZZNS1_14partition_implILS5_8ELb0ES3_jPlPS6_PKS6_NS0_5tupleIJS9_S6_EEENSD_IJSA_SA_EEENS0_18inequality_wrapperIZN2at6native12_GLOBAL__N_124unique_dim_cuda_templateIlEESt5tupleIJNSH_6TensorESM_SM_EERKSM_lbbbEUlllE0_EEPmJS6_EEE10hipError_tPvRmT3_T4_T5_T6_T7_T9_mT8_P12ihipStream_tbDpT10_ENKUlT_T0_E_clISt17integral_constantIbLb0EES1B_IbLb1EEEEDaS17_S18_EUlS17_E_NS1_11comp_targetILNS1_3genE2ELNS1_11target_archE906ELNS1_3gpuE6ELNS1_3repE0EEENS1_30default_config_static_selectorELNS0_4arch9wavefront6targetE0EEEvT1_.num_agpr, 0
	.set _ZN7rocprim17ROCPRIM_400000_NS6detail17trampoline_kernelINS0_14default_configENS1_25partition_config_selectorILNS1_17partition_subalgoE8ElNS0_10empty_typeEbEEZZNS1_14partition_implILS5_8ELb0ES3_jPlPS6_PKS6_NS0_5tupleIJS9_S6_EEENSD_IJSA_SA_EEENS0_18inequality_wrapperIZN2at6native12_GLOBAL__N_124unique_dim_cuda_templateIlEESt5tupleIJNSH_6TensorESM_SM_EERKSM_lbbbEUlllE0_EEPmJS6_EEE10hipError_tPvRmT3_T4_T5_T6_T7_T9_mT8_P12ihipStream_tbDpT10_ENKUlT_T0_E_clISt17integral_constantIbLb0EES1B_IbLb1EEEEDaS17_S18_EUlS17_E_NS1_11comp_targetILNS1_3genE2ELNS1_11target_archE906ELNS1_3gpuE6ELNS1_3repE0EEENS1_30default_config_static_selectorELNS0_4arch9wavefront6targetE0EEEvT1_.numbered_sgpr, 0
	.set _ZN7rocprim17ROCPRIM_400000_NS6detail17trampoline_kernelINS0_14default_configENS1_25partition_config_selectorILNS1_17partition_subalgoE8ElNS0_10empty_typeEbEEZZNS1_14partition_implILS5_8ELb0ES3_jPlPS6_PKS6_NS0_5tupleIJS9_S6_EEENSD_IJSA_SA_EEENS0_18inequality_wrapperIZN2at6native12_GLOBAL__N_124unique_dim_cuda_templateIlEESt5tupleIJNSH_6TensorESM_SM_EERKSM_lbbbEUlllE0_EEPmJS6_EEE10hipError_tPvRmT3_T4_T5_T6_T7_T9_mT8_P12ihipStream_tbDpT10_ENKUlT_T0_E_clISt17integral_constantIbLb0EES1B_IbLb1EEEEDaS17_S18_EUlS17_E_NS1_11comp_targetILNS1_3genE2ELNS1_11target_archE906ELNS1_3gpuE6ELNS1_3repE0EEENS1_30default_config_static_selectorELNS0_4arch9wavefront6targetE0EEEvT1_.num_named_barrier, 0
	.set _ZN7rocprim17ROCPRIM_400000_NS6detail17trampoline_kernelINS0_14default_configENS1_25partition_config_selectorILNS1_17partition_subalgoE8ElNS0_10empty_typeEbEEZZNS1_14partition_implILS5_8ELb0ES3_jPlPS6_PKS6_NS0_5tupleIJS9_S6_EEENSD_IJSA_SA_EEENS0_18inequality_wrapperIZN2at6native12_GLOBAL__N_124unique_dim_cuda_templateIlEESt5tupleIJNSH_6TensorESM_SM_EERKSM_lbbbEUlllE0_EEPmJS6_EEE10hipError_tPvRmT3_T4_T5_T6_T7_T9_mT8_P12ihipStream_tbDpT10_ENKUlT_T0_E_clISt17integral_constantIbLb0EES1B_IbLb1EEEEDaS17_S18_EUlS17_E_NS1_11comp_targetILNS1_3genE2ELNS1_11target_archE906ELNS1_3gpuE6ELNS1_3repE0EEENS1_30default_config_static_selectorELNS0_4arch9wavefront6targetE0EEEvT1_.private_seg_size, 0
	.set _ZN7rocprim17ROCPRIM_400000_NS6detail17trampoline_kernelINS0_14default_configENS1_25partition_config_selectorILNS1_17partition_subalgoE8ElNS0_10empty_typeEbEEZZNS1_14partition_implILS5_8ELb0ES3_jPlPS6_PKS6_NS0_5tupleIJS9_S6_EEENSD_IJSA_SA_EEENS0_18inequality_wrapperIZN2at6native12_GLOBAL__N_124unique_dim_cuda_templateIlEESt5tupleIJNSH_6TensorESM_SM_EERKSM_lbbbEUlllE0_EEPmJS6_EEE10hipError_tPvRmT3_T4_T5_T6_T7_T9_mT8_P12ihipStream_tbDpT10_ENKUlT_T0_E_clISt17integral_constantIbLb0EES1B_IbLb1EEEEDaS17_S18_EUlS17_E_NS1_11comp_targetILNS1_3genE2ELNS1_11target_archE906ELNS1_3gpuE6ELNS1_3repE0EEENS1_30default_config_static_selectorELNS0_4arch9wavefront6targetE0EEEvT1_.uses_vcc, 0
	.set _ZN7rocprim17ROCPRIM_400000_NS6detail17trampoline_kernelINS0_14default_configENS1_25partition_config_selectorILNS1_17partition_subalgoE8ElNS0_10empty_typeEbEEZZNS1_14partition_implILS5_8ELb0ES3_jPlPS6_PKS6_NS0_5tupleIJS9_S6_EEENSD_IJSA_SA_EEENS0_18inequality_wrapperIZN2at6native12_GLOBAL__N_124unique_dim_cuda_templateIlEESt5tupleIJNSH_6TensorESM_SM_EERKSM_lbbbEUlllE0_EEPmJS6_EEE10hipError_tPvRmT3_T4_T5_T6_T7_T9_mT8_P12ihipStream_tbDpT10_ENKUlT_T0_E_clISt17integral_constantIbLb0EES1B_IbLb1EEEEDaS17_S18_EUlS17_E_NS1_11comp_targetILNS1_3genE2ELNS1_11target_archE906ELNS1_3gpuE6ELNS1_3repE0EEENS1_30default_config_static_selectorELNS0_4arch9wavefront6targetE0EEEvT1_.uses_flat_scratch, 0
	.set _ZN7rocprim17ROCPRIM_400000_NS6detail17trampoline_kernelINS0_14default_configENS1_25partition_config_selectorILNS1_17partition_subalgoE8ElNS0_10empty_typeEbEEZZNS1_14partition_implILS5_8ELb0ES3_jPlPS6_PKS6_NS0_5tupleIJS9_S6_EEENSD_IJSA_SA_EEENS0_18inequality_wrapperIZN2at6native12_GLOBAL__N_124unique_dim_cuda_templateIlEESt5tupleIJNSH_6TensorESM_SM_EERKSM_lbbbEUlllE0_EEPmJS6_EEE10hipError_tPvRmT3_T4_T5_T6_T7_T9_mT8_P12ihipStream_tbDpT10_ENKUlT_T0_E_clISt17integral_constantIbLb0EES1B_IbLb1EEEEDaS17_S18_EUlS17_E_NS1_11comp_targetILNS1_3genE2ELNS1_11target_archE906ELNS1_3gpuE6ELNS1_3repE0EEENS1_30default_config_static_selectorELNS0_4arch9wavefront6targetE0EEEvT1_.has_dyn_sized_stack, 0
	.set _ZN7rocprim17ROCPRIM_400000_NS6detail17trampoline_kernelINS0_14default_configENS1_25partition_config_selectorILNS1_17partition_subalgoE8ElNS0_10empty_typeEbEEZZNS1_14partition_implILS5_8ELb0ES3_jPlPS6_PKS6_NS0_5tupleIJS9_S6_EEENSD_IJSA_SA_EEENS0_18inequality_wrapperIZN2at6native12_GLOBAL__N_124unique_dim_cuda_templateIlEESt5tupleIJNSH_6TensorESM_SM_EERKSM_lbbbEUlllE0_EEPmJS6_EEE10hipError_tPvRmT3_T4_T5_T6_T7_T9_mT8_P12ihipStream_tbDpT10_ENKUlT_T0_E_clISt17integral_constantIbLb0EES1B_IbLb1EEEEDaS17_S18_EUlS17_E_NS1_11comp_targetILNS1_3genE2ELNS1_11target_archE906ELNS1_3gpuE6ELNS1_3repE0EEENS1_30default_config_static_selectorELNS0_4arch9wavefront6targetE0EEEvT1_.has_recursion, 0
	.set _ZN7rocprim17ROCPRIM_400000_NS6detail17trampoline_kernelINS0_14default_configENS1_25partition_config_selectorILNS1_17partition_subalgoE8ElNS0_10empty_typeEbEEZZNS1_14partition_implILS5_8ELb0ES3_jPlPS6_PKS6_NS0_5tupleIJS9_S6_EEENSD_IJSA_SA_EEENS0_18inequality_wrapperIZN2at6native12_GLOBAL__N_124unique_dim_cuda_templateIlEESt5tupleIJNSH_6TensorESM_SM_EERKSM_lbbbEUlllE0_EEPmJS6_EEE10hipError_tPvRmT3_T4_T5_T6_T7_T9_mT8_P12ihipStream_tbDpT10_ENKUlT_T0_E_clISt17integral_constantIbLb0EES1B_IbLb1EEEEDaS17_S18_EUlS17_E_NS1_11comp_targetILNS1_3genE2ELNS1_11target_archE906ELNS1_3gpuE6ELNS1_3repE0EEENS1_30default_config_static_selectorELNS0_4arch9wavefront6targetE0EEEvT1_.has_indirect_call, 0
	.section	.AMDGPU.csdata,"",@progbits
; Kernel info:
; codeLenInByte = 0
; TotalNumSgprs: 0
; NumVgprs: 0
; ScratchSize: 0
; MemoryBound: 0
; FloatMode: 240
; IeeeMode: 1
; LDSByteSize: 0 bytes/workgroup (compile time only)
; SGPRBlocks: 0
; VGPRBlocks: 0
; NumSGPRsForWavesPerEU: 1
; NumVGPRsForWavesPerEU: 1
; NamedBarCnt: 0
; Occupancy: 16
; WaveLimiterHint : 0
; COMPUTE_PGM_RSRC2:SCRATCH_EN: 0
; COMPUTE_PGM_RSRC2:USER_SGPR: 2
; COMPUTE_PGM_RSRC2:TRAP_HANDLER: 0
; COMPUTE_PGM_RSRC2:TGID_X_EN: 1
; COMPUTE_PGM_RSRC2:TGID_Y_EN: 0
; COMPUTE_PGM_RSRC2:TGID_Z_EN: 0
; COMPUTE_PGM_RSRC2:TIDIG_COMP_CNT: 0
	.section	.text._ZN7rocprim17ROCPRIM_400000_NS6detail17trampoline_kernelINS0_14default_configENS1_25partition_config_selectorILNS1_17partition_subalgoE8ElNS0_10empty_typeEbEEZZNS1_14partition_implILS5_8ELb0ES3_jPlPS6_PKS6_NS0_5tupleIJS9_S6_EEENSD_IJSA_SA_EEENS0_18inequality_wrapperIZN2at6native12_GLOBAL__N_124unique_dim_cuda_templateIlEESt5tupleIJNSH_6TensorESM_SM_EERKSM_lbbbEUlllE0_EEPmJS6_EEE10hipError_tPvRmT3_T4_T5_T6_T7_T9_mT8_P12ihipStream_tbDpT10_ENKUlT_T0_E_clISt17integral_constantIbLb0EES1B_IbLb1EEEEDaS17_S18_EUlS17_E_NS1_11comp_targetILNS1_3genE10ELNS1_11target_archE1200ELNS1_3gpuE4ELNS1_3repE0EEENS1_30default_config_static_selectorELNS0_4arch9wavefront6targetE0EEEvT1_,"axG",@progbits,_ZN7rocprim17ROCPRIM_400000_NS6detail17trampoline_kernelINS0_14default_configENS1_25partition_config_selectorILNS1_17partition_subalgoE8ElNS0_10empty_typeEbEEZZNS1_14partition_implILS5_8ELb0ES3_jPlPS6_PKS6_NS0_5tupleIJS9_S6_EEENSD_IJSA_SA_EEENS0_18inequality_wrapperIZN2at6native12_GLOBAL__N_124unique_dim_cuda_templateIlEESt5tupleIJNSH_6TensorESM_SM_EERKSM_lbbbEUlllE0_EEPmJS6_EEE10hipError_tPvRmT3_T4_T5_T6_T7_T9_mT8_P12ihipStream_tbDpT10_ENKUlT_T0_E_clISt17integral_constantIbLb0EES1B_IbLb1EEEEDaS17_S18_EUlS17_E_NS1_11comp_targetILNS1_3genE10ELNS1_11target_archE1200ELNS1_3gpuE4ELNS1_3repE0EEENS1_30default_config_static_selectorELNS0_4arch9wavefront6targetE0EEEvT1_,comdat
	.globl	_ZN7rocprim17ROCPRIM_400000_NS6detail17trampoline_kernelINS0_14default_configENS1_25partition_config_selectorILNS1_17partition_subalgoE8ElNS0_10empty_typeEbEEZZNS1_14partition_implILS5_8ELb0ES3_jPlPS6_PKS6_NS0_5tupleIJS9_S6_EEENSD_IJSA_SA_EEENS0_18inequality_wrapperIZN2at6native12_GLOBAL__N_124unique_dim_cuda_templateIlEESt5tupleIJNSH_6TensorESM_SM_EERKSM_lbbbEUlllE0_EEPmJS6_EEE10hipError_tPvRmT3_T4_T5_T6_T7_T9_mT8_P12ihipStream_tbDpT10_ENKUlT_T0_E_clISt17integral_constantIbLb0EES1B_IbLb1EEEEDaS17_S18_EUlS17_E_NS1_11comp_targetILNS1_3genE10ELNS1_11target_archE1200ELNS1_3gpuE4ELNS1_3repE0EEENS1_30default_config_static_selectorELNS0_4arch9wavefront6targetE0EEEvT1_ ; -- Begin function _ZN7rocprim17ROCPRIM_400000_NS6detail17trampoline_kernelINS0_14default_configENS1_25partition_config_selectorILNS1_17partition_subalgoE8ElNS0_10empty_typeEbEEZZNS1_14partition_implILS5_8ELb0ES3_jPlPS6_PKS6_NS0_5tupleIJS9_S6_EEENSD_IJSA_SA_EEENS0_18inequality_wrapperIZN2at6native12_GLOBAL__N_124unique_dim_cuda_templateIlEESt5tupleIJNSH_6TensorESM_SM_EERKSM_lbbbEUlllE0_EEPmJS6_EEE10hipError_tPvRmT3_T4_T5_T6_T7_T9_mT8_P12ihipStream_tbDpT10_ENKUlT_T0_E_clISt17integral_constantIbLb0EES1B_IbLb1EEEEDaS17_S18_EUlS17_E_NS1_11comp_targetILNS1_3genE10ELNS1_11target_archE1200ELNS1_3gpuE4ELNS1_3repE0EEENS1_30default_config_static_selectorELNS0_4arch9wavefront6targetE0EEEvT1_
	.p2align	8
	.type	_ZN7rocprim17ROCPRIM_400000_NS6detail17trampoline_kernelINS0_14default_configENS1_25partition_config_selectorILNS1_17partition_subalgoE8ElNS0_10empty_typeEbEEZZNS1_14partition_implILS5_8ELb0ES3_jPlPS6_PKS6_NS0_5tupleIJS9_S6_EEENSD_IJSA_SA_EEENS0_18inequality_wrapperIZN2at6native12_GLOBAL__N_124unique_dim_cuda_templateIlEESt5tupleIJNSH_6TensorESM_SM_EERKSM_lbbbEUlllE0_EEPmJS6_EEE10hipError_tPvRmT3_T4_T5_T6_T7_T9_mT8_P12ihipStream_tbDpT10_ENKUlT_T0_E_clISt17integral_constantIbLb0EES1B_IbLb1EEEEDaS17_S18_EUlS17_E_NS1_11comp_targetILNS1_3genE10ELNS1_11target_archE1200ELNS1_3gpuE4ELNS1_3repE0EEENS1_30default_config_static_selectorELNS0_4arch9wavefront6targetE0EEEvT1_,@function
_ZN7rocprim17ROCPRIM_400000_NS6detail17trampoline_kernelINS0_14default_configENS1_25partition_config_selectorILNS1_17partition_subalgoE8ElNS0_10empty_typeEbEEZZNS1_14partition_implILS5_8ELb0ES3_jPlPS6_PKS6_NS0_5tupleIJS9_S6_EEENSD_IJSA_SA_EEENS0_18inequality_wrapperIZN2at6native12_GLOBAL__N_124unique_dim_cuda_templateIlEESt5tupleIJNSH_6TensorESM_SM_EERKSM_lbbbEUlllE0_EEPmJS6_EEE10hipError_tPvRmT3_T4_T5_T6_T7_T9_mT8_P12ihipStream_tbDpT10_ENKUlT_T0_E_clISt17integral_constantIbLb0EES1B_IbLb1EEEEDaS17_S18_EUlS17_E_NS1_11comp_targetILNS1_3genE10ELNS1_11target_archE1200ELNS1_3gpuE4ELNS1_3repE0EEENS1_30default_config_static_selectorELNS0_4arch9wavefront6targetE0EEEvT1_: ; @_ZN7rocprim17ROCPRIM_400000_NS6detail17trampoline_kernelINS0_14default_configENS1_25partition_config_selectorILNS1_17partition_subalgoE8ElNS0_10empty_typeEbEEZZNS1_14partition_implILS5_8ELb0ES3_jPlPS6_PKS6_NS0_5tupleIJS9_S6_EEENSD_IJSA_SA_EEENS0_18inequality_wrapperIZN2at6native12_GLOBAL__N_124unique_dim_cuda_templateIlEESt5tupleIJNSH_6TensorESM_SM_EERKSM_lbbbEUlllE0_EEPmJS6_EEE10hipError_tPvRmT3_T4_T5_T6_T7_T9_mT8_P12ihipStream_tbDpT10_ENKUlT_T0_E_clISt17integral_constantIbLb0EES1B_IbLb1EEEEDaS17_S18_EUlS17_E_NS1_11comp_targetILNS1_3genE10ELNS1_11target_archE1200ELNS1_3gpuE4ELNS1_3repE0EEENS1_30default_config_static_selectorELNS0_4arch9wavefront6targetE0EEEvT1_
; %bb.0:
	.section	.rodata,"a",@progbits
	.p2align	6, 0x0
	.amdhsa_kernel _ZN7rocprim17ROCPRIM_400000_NS6detail17trampoline_kernelINS0_14default_configENS1_25partition_config_selectorILNS1_17partition_subalgoE8ElNS0_10empty_typeEbEEZZNS1_14partition_implILS5_8ELb0ES3_jPlPS6_PKS6_NS0_5tupleIJS9_S6_EEENSD_IJSA_SA_EEENS0_18inequality_wrapperIZN2at6native12_GLOBAL__N_124unique_dim_cuda_templateIlEESt5tupleIJNSH_6TensorESM_SM_EERKSM_lbbbEUlllE0_EEPmJS6_EEE10hipError_tPvRmT3_T4_T5_T6_T7_T9_mT8_P12ihipStream_tbDpT10_ENKUlT_T0_E_clISt17integral_constantIbLb0EES1B_IbLb1EEEEDaS17_S18_EUlS17_E_NS1_11comp_targetILNS1_3genE10ELNS1_11target_archE1200ELNS1_3gpuE4ELNS1_3repE0EEENS1_30default_config_static_selectorELNS0_4arch9wavefront6targetE0EEEvT1_
		.amdhsa_group_segment_fixed_size 0
		.amdhsa_private_segment_fixed_size 0
		.amdhsa_kernarg_size 136
		.amdhsa_user_sgpr_count 2
		.amdhsa_user_sgpr_dispatch_ptr 0
		.amdhsa_user_sgpr_queue_ptr 0
		.amdhsa_user_sgpr_kernarg_segment_ptr 1
		.amdhsa_user_sgpr_dispatch_id 0
		.amdhsa_user_sgpr_kernarg_preload_length 0
		.amdhsa_user_sgpr_kernarg_preload_offset 0
		.amdhsa_user_sgpr_private_segment_size 0
		.amdhsa_wavefront_size32 1
		.amdhsa_uses_dynamic_stack 0
		.amdhsa_enable_private_segment 0
		.amdhsa_system_sgpr_workgroup_id_x 1
		.amdhsa_system_sgpr_workgroup_id_y 0
		.amdhsa_system_sgpr_workgroup_id_z 0
		.amdhsa_system_sgpr_workgroup_info 0
		.amdhsa_system_vgpr_workitem_id 0
		.amdhsa_next_free_vgpr 1
		.amdhsa_next_free_sgpr 1
		.amdhsa_named_barrier_count 0
		.amdhsa_reserve_vcc 0
		.amdhsa_float_round_mode_32 0
		.amdhsa_float_round_mode_16_64 0
		.amdhsa_float_denorm_mode_32 3
		.amdhsa_float_denorm_mode_16_64 3
		.amdhsa_fp16_overflow 0
		.amdhsa_memory_ordered 1
		.amdhsa_forward_progress 1
		.amdhsa_inst_pref_size 0
		.amdhsa_round_robin_scheduling 0
		.amdhsa_exception_fp_ieee_invalid_op 0
		.amdhsa_exception_fp_denorm_src 0
		.amdhsa_exception_fp_ieee_div_zero 0
		.amdhsa_exception_fp_ieee_overflow 0
		.amdhsa_exception_fp_ieee_underflow 0
		.amdhsa_exception_fp_ieee_inexact 0
		.amdhsa_exception_int_div_zero 0
	.end_amdhsa_kernel
	.section	.text._ZN7rocprim17ROCPRIM_400000_NS6detail17trampoline_kernelINS0_14default_configENS1_25partition_config_selectorILNS1_17partition_subalgoE8ElNS0_10empty_typeEbEEZZNS1_14partition_implILS5_8ELb0ES3_jPlPS6_PKS6_NS0_5tupleIJS9_S6_EEENSD_IJSA_SA_EEENS0_18inequality_wrapperIZN2at6native12_GLOBAL__N_124unique_dim_cuda_templateIlEESt5tupleIJNSH_6TensorESM_SM_EERKSM_lbbbEUlllE0_EEPmJS6_EEE10hipError_tPvRmT3_T4_T5_T6_T7_T9_mT8_P12ihipStream_tbDpT10_ENKUlT_T0_E_clISt17integral_constantIbLb0EES1B_IbLb1EEEEDaS17_S18_EUlS17_E_NS1_11comp_targetILNS1_3genE10ELNS1_11target_archE1200ELNS1_3gpuE4ELNS1_3repE0EEENS1_30default_config_static_selectorELNS0_4arch9wavefront6targetE0EEEvT1_,"axG",@progbits,_ZN7rocprim17ROCPRIM_400000_NS6detail17trampoline_kernelINS0_14default_configENS1_25partition_config_selectorILNS1_17partition_subalgoE8ElNS0_10empty_typeEbEEZZNS1_14partition_implILS5_8ELb0ES3_jPlPS6_PKS6_NS0_5tupleIJS9_S6_EEENSD_IJSA_SA_EEENS0_18inequality_wrapperIZN2at6native12_GLOBAL__N_124unique_dim_cuda_templateIlEESt5tupleIJNSH_6TensorESM_SM_EERKSM_lbbbEUlllE0_EEPmJS6_EEE10hipError_tPvRmT3_T4_T5_T6_T7_T9_mT8_P12ihipStream_tbDpT10_ENKUlT_T0_E_clISt17integral_constantIbLb0EES1B_IbLb1EEEEDaS17_S18_EUlS17_E_NS1_11comp_targetILNS1_3genE10ELNS1_11target_archE1200ELNS1_3gpuE4ELNS1_3repE0EEENS1_30default_config_static_selectorELNS0_4arch9wavefront6targetE0EEEvT1_,comdat
.Lfunc_end592:
	.size	_ZN7rocprim17ROCPRIM_400000_NS6detail17trampoline_kernelINS0_14default_configENS1_25partition_config_selectorILNS1_17partition_subalgoE8ElNS0_10empty_typeEbEEZZNS1_14partition_implILS5_8ELb0ES3_jPlPS6_PKS6_NS0_5tupleIJS9_S6_EEENSD_IJSA_SA_EEENS0_18inequality_wrapperIZN2at6native12_GLOBAL__N_124unique_dim_cuda_templateIlEESt5tupleIJNSH_6TensorESM_SM_EERKSM_lbbbEUlllE0_EEPmJS6_EEE10hipError_tPvRmT3_T4_T5_T6_T7_T9_mT8_P12ihipStream_tbDpT10_ENKUlT_T0_E_clISt17integral_constantIbLb0EES1B_IbLb1EEEEDaS17_S18_EUlS17_E_NS1_11comp_targetILNS1_3genE10ELNS1_11target_archE1200ELNS1_3gpuE4ELNS1_3repE0EEENS1_30default_config_static_selectorELNS0_4arch9wavefront6targetE0EEEvT1_, .Lfunc_end592-_ZN7rocprim17ROCPRIM_400000_NS6detail17trampoline_kernelINS0_14default_configENS1_25partition_config_selectorILNS1_17partition_subalgoE8ElNS0_10empty_typeEbEEZZNS1_14partition_implILS5_8ELb0ES3_jPlPS6_PKS6_NS0_5tupleIJS9_S6_EEENSD_IJSA_SA_EEENS0_18inequality_wrapperIZN2at6native12_GLOBAL__N_124unique_dim_cuda_templateIlEESt5tupleIJNSH_6TensorESM_SM_EERKSM_lbbbEUlllE0_EEPmJS6_EEE10hipError_tPvRmT3_T4_T5_T6_T7_T9_mT8_P12ihipStream_tbDpT10_ENKUlT_T0_E_clISt17integral_constantIbLb0EES1B_IbLb1EEEEDaS17_S18_EUlS17_E_NS1_11comp_targetILNS1_3genE10ELNS1_11target_archE1200ELNS1_3gpuE4ELNS1_3repE0EEENS1_30default_config_static_selectorELNS0_4arch9wavefront6targetE0EEEvT1_
                                        ; -- End function
	.set _ZN7rocprim17ROCPRIM_400000_NS6detail17trampoline_kernelINS0_14default_configENS1_25partition_config_selectorILNS1_17partition_subalgoE8ElNS0_10empty_typeEbEEZZNS1_14partition_implILS5_8ELb0ES3_jPlPS6_PKS6_NS0_5tupleIJS9_S6_EEENSD_IJSA_SA_EEENS0_18inequality_wrapperIZN2at6native12_GLOBAL__N_124unique_dim_cuda_templateIlEESt5tupleIJNSH_6TensorESM_SM_EERKSM_lbbbEUlllE0_EEPmJS6_EEE10hipError_tPvRmT3_T4_T5_T6_T7_T9_mT8_P12ihipStream_tbDpT10_ENKUlT_T0_E_clISt17integral_constantIbLb0EES1B_IbLb1EEEEDaS17_S18_EUlS17_E_NS1_11comp_targetILNS1_3genE10ELNS1_11target_archE1200ELNS1_3gpuE4ELNS1_3repE0EEENS1_30default_config_static_selectorELNS0_4arch9wavefront6targetE0EEEvT1_.num_vgpr, 0
	.set _ZN7rocprim17ROCPRIM_400000_NS6detail17trampoline_kernelINS0_14default_configENS1_25partition_config_selectorILNS1_17partition_subalgoE8ElNS0_10empty_typeEbEEZZNS1_14partition_implILS5_8ELb0ES3_jPlPS6_PKS6_NS0_5tupleIJS9_S6_EEENSD_IJSA_SA_EEENS0_18inequality_wrapperIZN2at6native12_GLOBAL__N_124unique_dim_cuda_templateIlEESt5tupleIJNSH_6TensorESM_SM_EERKSM_lbbbEUlllE0_EEPmJS6_EEE10hipError_tPvRmT3_T4_T5_T6_T7_T9_mT8_P12ihipStream_tbDpT10_ENKUlT_T0_E_clISt17integral_constantIbLb0EES1B_IbLb1EEEEDaS17_S18_EUlS17_E_NS1_11comp_targetILNS1_3genE10ELNS1_11target_archE1200ELNS1_3gpuE4ELNS1_3repE0EEENS1_30default_config_static_selectorELNS0_4arch9wavefront6targetE0EEEvT1_.num_agpr, 0
	.set _ZN7rocprim17ROCPRIM_400000_NS6detail17trampoline_kernelINS0_14default_configENS1_25partition_config_selectorILNS1_17partition_subalgoE8ElNS0_10empty_typeEbEEZZNS1_14partition_implILS5_8ELb0ES3_jPlPS6_PKS6_NS0_5tupleIJS9_S6_EEENSD_IJSA_SA_EEENS0_18inequality_wrapperIZN2at6native12_GLOBAL__N_124unique_dim_cuda_templateIlEESt5tupleIJNSH_6TensorESM_SM_EERKSM_lbbbEUlllE0_EEPmJS6_EEE10hipError_tPvRmT3_T4_T5_T6_T7_T9_mT8_P12ihipStream_tbDpT10_ENKUlT_T0_E_clISt17integral_constantIbLb0EES1B_IbLb1EEEEDaS17_S18_EUlS17_E_NS1_11comp_targetILNS1_3genE10ELNS1_11target_archE1200ELNS1_3gpuE4ELNS1_3repE0EEENS1_30default_config_static_selectorELNS0_4arch9wavefront6targetE0EEEvT1_.numbered_sgpr, 0
	.set _ZN7rocprim17ROCPRIM_400000_NS6detail17trampoline_kernelINS0_14default_configENS1_25partition_config_selectorILNS1_17partition_subalgoE8ElNS0_10empty_typeEbEEZZNS1_14partition_implILS5_8ELb0ES3_jPlPS6_PKS6_NS0_5tupleIJS9_S6_EEENSD_IJSA_SA_EEENS0_18inequality_wrapperIZN2at6native12_GLOBAL__N_124unique_dim_cuda_templateIlEESt5tupleIJNSH_6TensorESM_SM_EERKSM_lbbbEUlllE0_EEPmJS6_EEE10hipError_tPvRmT3_T4_T5_T6_T7_T9_mT8_P12ihipStream_tbDpT10_ENKUlT_T0_E_clISt17integral_constantIbLb0EES1B_IbLb1EEEEDaS17_S18_EUlS17_E_NS1_11comp_targetILNS1_3genE10ELNS1_11target_archE1200ELNS1_3gpuE4ELNS1_3repE0EEENS1_30default_config_static_selectorELNS0_4arch9wavefront6targetE0EEEvT1_.num_named_barrier, 0
	.set _ZN7rocprim17ROCPRIM_400000_NS6detail17trampoline_kernelINS0_14default_configENS1_25partition_config_selectorILNS1_17partition_subalgoE8ElNS0_10empty_typeEbEEZZNS1_14partition_implILS5_8ELb0ES3_jPlPS6_PKS6_NS0_5tupleIJS9_S6_EEENSD_IJSA_SA_EEENS0_18inequality_wrapperIZN2at6native12_GLOBAL__N_124unique_dim_cuda_templateIlEESt5tupleIJNSH_6TensorESM_SM_EERKSM_lbbbEUlllE0_EEPmJS6_EEE10hipError_tPvRmT3_T4_T5_T6_T7_T9_mT8_P12ihipStream_tbDpT10_ENKUlT_T0_E_clISt17integral_constantIbLb0EES1B_IbLb1EEEEDaS17_S18_EUlS17_E_NS1_11comp_targetILNS1_3genE10ELNS1_11target_archE1200ELNS1_3gpuE4ELNS1_3repE0EEENS1_30default_config_static_selectorELNS0_4arch9wavefront6targetE0EEEvT1_.private_seg_size, 0
	.set _ZN7rocprim17ROCPRIM_400000_NS6detail17trampoline_kernelINS0_14default_configENS1_25partition_config_selectorILNS1_17partition_subalgoE8ElNS0_10empty_typeEbEEZZNS1_14partition_implILS5_8ELb0ES3_jPlPS6_PKS6_NS0_5tupleIJS9_S6_EEENSD_IJSA_SA_EEENS0_18inequality_wrapperIZN2at6native12_GLOBAL__N_124unique_dim_cuda_templateIlEESt5tupleIJNSH_6TensorESM_SM_EERKSM_lbbbEUlllE0_EEPmJS6_EEE10hipError_tPvRmT3_T4_T5_T6_T7_T9_mT8_P12ihipStream_tbDpT10_ENKUlT_T0_E_clISt17integral_constantIbLb0EES1B_IbLb1EEEEDaS17_S18_EUlS17_E_NS1_11comp_targetILNS1_3genE10ELNS1_11target_archE1200ELNS1_3gpuE4ELNS1_3repE0EEENS1_30default_config_static_selectorELNS0_4arch9wavefront6targetE0EEEvT1_.uses_vcc, 0
	.set _ZN7rocprim17ROCPRIM_400000_NS6detail17trampoline_kernelINS0_14default_configENS1_25partition_config_selectorILNS1_17partition_subalgoE8ElNS0_10empty_typeEbEEZZNS1_14partition_implILS5_8ELb0ES3_jPlPS6_PKS6_NS0_5tupleIJS9_S6_EEENSD_IJSA_SA_EEENS0_18inequality_wrapperIZN2at6native12_GLOBAL__N_124unique_dim_cuda_templateIlEESt5tupleIJNSH_6TensorESM_SM_EERKSM_lbbbEUlllE0_EEPmJS6_EEE10hipError_tPvRmT3_T4_T5_T6_T7_T9_mT8_P12ihipStream_tbDpT10_ENKUlT_T0_E_clISt17integral_constantIbLb0EES1B_IbLb1EEEEDaS17_S18_EUlS17_E_NS1_11comp_targetILNS1_3genE10ELNS1_11target_archE1200ELNS1_3gpuE4ELNS1_3repE0EEENS1_30default_config_static_selectorELNS0_4arch9wavefront6targetE0EEEvT1_.uses_flat_scratch, 0
	.set _ZN7rocprim17ROCPRIM_400000_NS6detail17trampoline_kernelINS0_14default_configENS1_25partition_config_selectorILNS1_17partition_subalgoE8ElNS0_10empty_typeEbEEZZNS1_14partition_implILS5_8ELb0ES3_jPlPS6_PKS6_NS0_5tupleIJS9_S6_EEENSD_IJSA_SA_EEENS0_18inequality_wrapperIZN2at6native12_GLOBAL__N_124unique_dim_cuda_templateIlEESt5tupleIJNSH_6TensorESM_SM_EERKSM_lbbbEUlllE0_EEPmJS6_EEE10hipError_tPvRmT3_T4_T5_T6_T7_T9_mT8_P12ihipStream_tbDpT10_ENKUlT_T0_E_clISt17integral_constantIbLb0EES1B_IbLb1EEEEDaS17_S18_EUlS17_E_NS1_11comp_targetILNS1_3genE10ELNS1_11target_archE1200ELNS1_3gpuE4ELNS1_3repE0EEENS1_30default_config_static_selectorELNS0_4arch9wavefront6targetE0EEEvT1_.has_dyn_sized_stack, 0
	.set _ZN7rocprim17ROCPRIM_400000_NS6detail17trampoline_kernelINS0_14default_configENS1_25partition_config_selectorILNS1_17partition_subalgoE8ElNS0_10empty_typeEbEEZZNS1_14partition_implILS5_8ELb0ES3_jPlPS6_PKS6_NS0_5tupleIJS9_S6_EEENSD_IJSA_SA_EEENS0_18inequality_wrapperIZN2at6native12_GLOBAL__N_124unique_dim_cuda_templateIlEESt5tupleIJNSH_6TensorESM_SM_EERKSM_lbbbEUlllE0_EEPmJS6_EEE10hipError_tPvRmT3_T4_T5_T6_T7_T9_mT8_P12ihipStream_tbDpT10_ENKUlT_T0_E_clISt17integral_constantIbLb0EES1B_IbLb1EEEEDaS17_S18_EUlS17_E_NS1_11comp_targetILNS1_3genE10ELNS1_11target_archE1200ELNS1_3gpuE4ELNS1_3repE0EEENS1_30default_config_static_selectorELNS0_4arch9wavefront6targetE0EEEvT1_.has_recursion, 0
	.set _ZN7rocprim17ROCPRIM_400000_NS6detail17trampoline_kernelINS0_14default_configENS1_25partition_config_selectorILNS1_17partition_subalgoE8ElNS0_10empty_typeEbEEZZNS1_14partition_implILS5_8ELb0ES3_jPlPS6_PKS6_NS0_5tupleIJS9_S6_EEENSD_IJSA_SA_EEENS0_18inequality_wrapperIZN2at6native12_GLOBAL__N_124unique_dim_cuda_templateIlEESt5tupleIJNSH_6TensorESM_SM_EERKSM_lbbbEUlllE0_EEPmJS6_EEE10hipError_tPvRmT3_T4_T5_T6_T7_T9_mT8_P12ihipStream_tbDpT10_ENKUlT_T0_E_clISt17integral_constantIbLb0EES1B_IbLb1EEEEDaS17_S18_EUlS17_E_NS1_11comp_targetILNS1_3genE10ELNS1_11target_archE1200ELNS1_3gpuE4ELNS1_3repE0EEENS1_30default_config_static_selectorELNS0_4arch9wavefront6targetE0EEEvT1_.has_indirect_call, 0
	.section	.AMDGPU.csdata,"",@progbits
; Kernel info:
; codeLenInByte = 0
; TotalNumSgprs: 0
; NumVgprs: 0
; ScratchSize: 0
; MemoryBound: 0
; FloatMode: 240
; IeeeMode: 1
; LDSByteSize: 0 bytes/workgroup (compile time only)
; SGPRBlocks: 0
; VGPRBlocks: 0
; NumSGPRsForWavesPerEU: 1
; NumVGPRsForWavesPerEU: 1
; NamedBarCnt: 0
; Occupancy: 16
; WaveLimiterHint : 0
; COMPUTE_PGM_RSRC2:SCRATCH_EN: 0
; COMPUTE_PGM_RSRC2:USER_SGPR: 2
; COMPUTE_PGM_RSRC2:TRAP_HANDLER: 0
; COMPUTE_PGM_RSRC2:TGID_X_EN: 1
; COMPUTE_PGM_RSRC2:TGID_Y_EN: 0
; COMPUTE_PGM_RSRC2:TGID_Z_EN: 0
; COMPUTE_PGM_RSRC2:TIDIG_COMP_CNT: 0
	.section	.text._ZN7rocprim17ROCPRIM_400000_NS6detail17trampoline_kernelINS0_14default_configENS1_25partition_config_selectorILNS1_17partition_subalgoE8ElNS0_10empty_typeEbEEZZNS1_14partition_implILS5_8ELb0ES3_jPlPS6_PKS6_NS0_5tupleIJS9_S6_EEENSD_IJSA_SA_EEENS0_18inequality_wrapperIZN2at6native12_GLOBAL__N_124unique_dim_cuda_templateIlEESt5tupleIJNSH_6TensorESM_SM_EERKSM_lbbbEUlllE0_EEPmJS6_EEE10hipError_tPvRmT3_T4_T5_T6_T7_T9_mT8_P12ihipStream_tbDpT10_ENKUlT_T0_E_clISt17integral_constantIbLb0EES1B_IbLb1EEEEDaS17_S18_EUlS17_E_NS1_11comp_targetILNS1_3genE9ELNS1_11target_archE1100ELNS1_3gpuE3ELNS1_3repE0EEENS1_30default_config_static_selectorELNS0_4arch9wavefront6targetE0EEEvT1_,"axG",@progbits,_ZN7rocprim17ROCPRIM_400000_NS6detail17trampoline_kernelINS0_14default_configENS1_25partition_config_selectorILNS1_17partition_subalgoE8ElNS0_10empty_typeEbEEZZNS1_14partition_implILS5_8ELb0ES3_jPlPS6_PKS6_NS0_5tupleIJS9_S6_EEENSD_IJSA_SA_EEENS0_18inequality_wrapperIZN2at6native12_GLOBAL__N_124unique_dim_cuda_templateIlEESt5tupleIJNSH_6TensorESM_SM_EERKSM_lbbbEUlllE0_EEPmJS6_EEE10hipError_tPvRmT3_T4_T5_T6_T7_T9_mT8_P12ihipStream_tbDpT10_ENKUlT_T0_E_clISt17integral_constantIbLb0EES1B_IbLb1EEEEDaS17_S18_EUlS17_E_NS1_11comp_targetILNS1_3genE9ELNS1_11target_archE1100ELNS1_3gpuE3ELNS1_3repE0EEENS1_30default_config_static_selectorELNS0_4arch9wavefront6targetE0EEEvT1_,comdat
	.globl	_ZN7rocprim17ROCPRIM_400000_NS6detail17trampoline_kernelINS0_14default_configENS1_25partition_config_selectorILNS1_17partition_subalgoE8ElNS0_10empty_typeEbEEZZNS1_14partition_implILS5_8ELb0ES3_jPlPS6_PKS6_NS0_5tupleIJS9_S6_EEENSD_IJSA_SA_EEENS0_18inequality_wrapperIZN2at6native12_GLOBAL__N_124unique_dim_cuda_templateIlEESt5tupleIJNSH_6TensorESM_SM_EERKSM_lbbbEUlllE0_EEPmJS6_EEE10hipError_tPvRmT3_T4_T5_T6_T7_T9_mT8_P12ihipStream_tbDpT10_ENKUlT_T0_E_clISt17integral_constantIbLb0EES1B_IbLb1EEEEDaS17_S18_EUlS17_E_NS1_11comp_targetILNS1_3genE9ELNS1_11target_archE1100ELNS1_3gpuE3ELNS1_3repE0EEENS1_30default_config_static_selectorELNS0_4arch9wavefront6targetE0EEEvT1_ ; -- Begin function _ZN7rocprim17ROCPRIM_400000_NS6detail17trampoline_kernelINS0_14default_configENS1_25partition_config_selectorILNS1_17partition_subalgoE8ElNS0_10empty_typeEbEEZZNS1_14partition_implILS5_8ELb0ES3_jPlPS6_PKS6_NS0_5tupleIJS9_S6_EEENSD_IJSA_SA_EEENS0_18inequality_wrapperIZN2at6native12_GLOBAL__N_124unique_dim_cuda_templateIlEESt5tupleIJNSH_6TensorESM_SM_EERKSM_lbbbEUlllE0_EEPmJS6_EEE10hipError_tPvRmT3_T4_T5_T6_T7_T9_mT8_P12ihipStream_tbDpT10_ENKUlT_T0_E_clISt17integral_constantIbLb0EES1B_IbLb1EEEEDaS17_S18_EUlS17_E_NS1_11comp_targetILNS1_3genE9ELNS1_11target_archE1100ELNS1_3gpuE3ELNS1_3repE0EEENS1_30default_config_static_selectorELNS0_4arch9wavefront6targetE0EEEvT1_
	.p2align	8
	.type	_ZN7rocprim17ROCPRIM_400000_NS6detail17trampoline_kernelINS0_14default_configENS1_25partition_config_selectorILNS1_17partition_subalgoE8ElNS0_10empty_typeEbEEZZNS1_14partition_implILS5_8ELb0ES3_jPlPS6_PKS6_NS0_5tupleIJS9_S6_EEENSD_IJSA_SA_EEENS0_18inequality_wrapperIZN2at6native12_GLOBAL__N_124unique_dim_cuda_templateIlEESt5tupleIJNSH_6TensorESM_SM_EERKSM_lbbbEUlllE0_EEPmJS6_EEE10hipError_tPvRmT3_T4_T5_T6_T7_T9_mT8_P12ihipStream_tbDpT10_ENKUlT_T0_E_clISt17integral_constantIbLb0EES1B_IbLb1EEEEDaS17_S18_EUlS17_E_NS1_11comp_targetILNS1_3genE9ELNS1_11target_archE1100ELNS1_3gpuE3ELNS1_3repE0EEENS1_30default_config_static_selectorELNS0_4arch9wavefront6targetE0EEEvT1_,@function
_ZN7rocprim17ROCPRIM_400000_NS6detail17trampoline_kernelINS0_14default_configENS1_25partition_config_selectorILNS1_17partition_subalgoE8ElNS0_10empty_typeEbEEZZNS1_14partition_implILS5_8ELb0ES3_jPlPS6_PKS6_NS0_5tupleIJS9_S6_EEENSD_IJSA_SA_EEENS0_18inequality_wrapperIZN2at6native12_GLOBAL__N_124unique_dim_cuda_templateIlEESt5tupleIJNSH_6TensorESM_SM_EERKSM_lbbbEUlllE0_EEPmJS6_EEE10hipError_tPvRmT3_T4_T5_T6_T7_T9_mT8_P12ihipStream_tbDpT10_ENKUlT_T0_E_clISt17integral_constantIbLb0EES1B_IbLb1EEEEDaS17_S18_EUlS17_E_NS1_11comp_targetILNS1_3genE9ELNS1_11target_archE1100ELNS1_3gpuE3ELNS1_3repE0EEENS1_30default_config_static_selectorELNS0_4arch9wavefront6targetE0EEEvT1_: ; @_ZN7rocprim17ROCPRIM_400000_NS6detail17trampoline_kernelINS0_14default_configENS1_25partition_config_selectorILNS1_17partition_subalgoE8ElNS0_10empty_typeEbEEZZNS1_14partition_implILS5_8ELb0ES3_jPlPS6_PKS6_NS0_5tupleIJS9_S6_EEENSD_IJSA_SA_EEENS0_18inequality_wrapperIZN2at6native12_GLOBAL__N_124unique_dim_cuda_templateIlEESt5tupleIJNSH_6TensorESM_SM_EERKSM_lbbbEUlllE0_EEPmJS6_EEE10hipError_tPvRmT3_T4_T5_T6_T7_T9_mT8_P12ihipStream_tbDpT10_ENKUlT_T0_E_clISt17integral_constantIbLb0EES1B_IbLb1EEEEDaS17_S18_EUlS17_E_NS1_11comp_targetILNS1_3genE9ELNS1_11target_archE1100ELNS1_3gpuE3ELNS1_3repE0EEENS1_30default_config_static_selectorELNS0_4arch9wavefront6targetE0EEEvT1_
; %bb.0:
	.section	.rodata,"a",@progbits
	.p2align	6, 0x0
	.amdhsa_kernel _ZN7rocprim17ROCPRIM_400000_NS6detail17trampoline_kernelINS0_14default_configENS1_25partition_config_selectorILNS1_17partition_subalgoE8ElNS0_10empty_typeEbEEZZNS1_14partition_implILS5_8ELb0ES3_jPlPS6_PKS6_NS0_5tupleIJS9_S6_EEENSD_IJSA_SA_EEENS0_18inequality_wrapperIZN2at6native12_GLOBAL__N_124unique_dim_cuda_templateIlEESt5tupleIJNSH_6TensorESM_SM_EERKSM_lbbbEUlllE0_EEPmJS6_EEE10hipError_tPvRmT3_T4_T5_T6_T7_T9_mT8_P12ihipStream_tbDpT10_ENKUlT_T0_E_clISt17integral_constantIbLb0EES1B_IbLb1EEEEDaS17_S18_EUlS17_E_NS1_11comp_targetILNS1_3genE9ELNS1_11target_archE1100ELNS1_3gpuE3ELNS1_3repE0EEENS1_30default_config_static_selectorELNS0_4arch9wavefront6targetE0EEEvT1_
		.amdhsa_group_segment_fixed_size 0
		.amdhsa_private_segment_fixed_size 0
		.amdhsa_kernarg_size 136
		.amdhsa_user_sgpr_count 2
		.amdhsa_user_sgpr_dispatch_ptr 0
		.amdhsa_user_sgpr_queue_ptr 0
		.amdhsa_user_sgpr_kernarg_segment_ptr 1
		.amdhsa_user_sgpr_dispatch_id 0
		.amdhsa_user_sgpr_kernarg_preload_length 0
		.amdhsa_user_sgpr_kernarg_preload_offset 0
		.amdhsa_user_sgpr_private_segment_size 0
		.amdhsa_wavefront_size32 1
		.amdhsa_uses_dynamic_stack 0
		.amdhsa_enable_private_segment 0
		.amdhsa_system_sgpr_workgroup_id_x 1
		.amdhsa_system_sgpr_workgroup_id_y 0
		.amdhsa_system_sgpr_workgroup_id_z 0
		.amdhsa_system_sgpr_workgroup_info 0
		.amdhsa_system_vgpr_workitem_id 0
		.amdhsa_next_free_vgpr 1
		.amdhsa_next_free_sgpr 1
		.amdhsa_named_barrier_count 0
		.amdhsa_reserve_vcc 0
		.amdhsa_float_round_mode_32 0
		.amdhsa_float_round_mode_16_64 0
		.amdhsa_float_denorm_mode_32 3
		.amdhsa_float_denorm_mode_16_64 3
		.amdhsa_fp16_overflow 0
		.amdhsa_memory_ordered 1
		.amdhsa_forward_progress 1
		.amdhsa_inst_pref_size 0
		.amdhsa_round_robin_scheduling 0
		.amdhsa_exception_fp_ieee_invalid_op 0
		.amdhsa_exception_fp_denorm_src 0
		.amdhsa_exception_fp_ieee_div_zero 0
		.amdhsa_exception_fp_ieee_overflow 0
		.amdhsa_exception_fp_ieee_underflow 0
		.amdhsa_exception_fp_ieee_inexact 0
		.amdhsa_exception_int_div_zero 0
	.end_amdhsa_kernel
	.section	.text._ZN7rocprim17ROCPRIM_400000_NS6detail17trampoline_kernelINS0_14default_configENS1_25partition_config_selectorILNS1_17partition_subalgoE8ElNS0_10empty_typeEbEEZZNS1_14partition_implILS5_8ELb0ES3_jPlPS6_PKS6_NS0_5tupleIJS9_S6_EEENSD_IJSA_SA_EEENS0_18inequality_wrapperIZN2at6native12_GLOBAL__N_124unique_dim_cuda_templateIlEESt5tupleIJNSH_6TensorESM_SM_EERKSM_lbbbEUlllE0_EEPmJS6_EEE10hipError_tPvRmT3_T4_T5_T6_T7_T9_mT8_P12ihipStream_tbDpT10_ENKUlT_T0_E_clISt17integral_constantIbLb0EES1B_IbLb1EEEEDaS17_S18_EUlS17_E_NS1_11comp_targetILNS1_3genE9ELNS1_11target_archE1100ELNS1_3gpuE3ELNS1_3repE0EEENS1_30default_config_static_selectorELNS0_4arch9wavefront6targetE0EEEvT1_,"axG",@progbits,_ZN7rocprim17ROCPRIM_400000_NS6detail17trampoline_kernelINS0_14default_configENS1_25partition_config_selectorILNS1_17partition_subalgoE8ElNS0_10empty_typeEbEEZZNS1_14partition_implILS5_8ELb0ES3_jPlPS6_PKS6_NS0_5tupleIJS9_S6_EEENSD_IJSA_SA_EEENS0_18inequality_wrapperIZN2at6native12_GLOBAL__N_124unique_dim_cuda_templateIlEESt5tupleIJNSH_6TensorESM_SM_EERKSM_lbbbEUlllE0_EEPmJS6_EEE10hipError_tPvRmT3_T4_T5_T6_T7_T9_mT8_P12ihipStream_tbDpT10_ENKUlT_T0_E_clISt17integral_constantIbLb0EES1B_IbLb1EEEEDaS17_S18_EUlS17_E_NS1_11comp_targetILNS1_3genE9ELNS1_11target_archE1100ELNS1_3gpuE3ELNS1_3repE0EEENS1_30default_config_static_selectorELNS0_4arch9wavefront6targetE0EEEvT1_,comdat
.Lfunc_end593:
	.size	_ZN7rocprim17ROCPRIM_400000_NS6detail17trampoline_kernelINS0_14default_configENS1_25partition_config_selectorILNS1_17partition_subalgoE8ElNS0_10empty_typeEbEEZZNS1_14partition_implILS5_8ELb0ES3_jPlPS6_PKS6_NS0_5tupleIJS9_S6_EEENSD_IJSA_SA_EEENS0_18inequality_wrapperIZN2at6native12_GLOBAL__N_124unique_dim_cuda_templateIlEESt5tupleIJNSH_6TensorESM_SM_EERKSM_lbbbEUlllE0_EEPmJS6_EEE10hipError_tPvRmT3_T4_T5_T6_T7_T9_mT8_P12ihipStream_tbDpT10_ENKUlT_T0_E_clISt17integral_constantIbLb0EES1B_IbLb1EEEEDaS17_S18_EUlS17_E_NS1_11comp_targetILNS1_3genE9ELNS1_11target_archE1100ELNS1_3gpuE3ELNS1_3repE0EEENS1_30default_config_static_selectorELNS0_4arch9wavefront6targetE0EEEvT1_, .Lfunc_end593-_ZN7rocprim17ROCPRIM_400000_NS6detail17trampoline_kernelINS0_14default_configENS1_25partition_config_selectorILNS1_17partition_subalgoE8ElNS0_10empty_typeEbEEZZNS1_14partition_implILS5_8ELb0ES3_jPlPS6_PKS6_NS0_5tupleIJS9_S6_EEENSD_IJSA_SA_EEENS0_18inequality_wrapperIZN2at6native12_GLOBAL__N_124unique_dim_cuda_templateIlEESt5tupleIJNSH_6TensorESM_SM_EERKSM_lbbbEUlllE0_EEPmJS6_EEE10hipError_tPvRmT3_T4_T5_T6_T7_T9_mT8_P12ihipStream_tbDpT10_ENKUlT_T0_E_clISt17integral_constantIbLb0EES1B_IbLb1EEEEDaS17_S18_EUlS17_E_NS1_11comp_targetILNS1_3genE9ELNS1_11target_archE1100ELNS1_3gpuE3ELNS1_3repE0EEENS1_30default_config_static_selectorELNS0_4arch9wavefront6targetE0EEEvT1_
                                        ; -- End function
	.set _ZN7rocprim17ROCPRIM_400000_NS6detail17trampoline_kernelINS0_14default_configENS1_25partition_config_selectorILNS1_17partition_subalgoE8ElNS0_10empty_typeEbEEZZNS1_14partition_implILS5_8ELb0ES3_jPlPS6_PKS6_NS0_5tupleIJS9_S6_EEENSD_IJSA_SA_EEENS0_18inequality_wrapperIZN2at6native12_GLOBAL__N_124unique_dim_cuda_templateIlEESt5tupleIJNSH_6TensorESM_SM_EERKSM_lbbbEUlllE0_EEPmJS6_EEE10hipError_tPvRmT3_T4_T5_T6_T7_T9_mT8_P12ihipStream_tbDpT10_ENKUlT_T0_E_clISt17integral_constantIbLb0EES1B_IbLb1EEEEDaS17_S18_EUlS17_E_NS1_11comp_targetILNS1_3genE9ELNS1_11target_archE1100ELNS1_3gpuE3ELNS1_3repE0EEENS1_30default_config_static_selectorELNS0_4arch9wavefront6targetE0EEEvT1_.num_vgpr, 0
	.set _ZN7rocprim17ROCPRIM_400000_NS6detail17trampoline_kernelINS0_14default_configENS1_25partition_config_selectorILNS1_17partition_subalgoE8ElNS0_10empty_typeEbEEZZNS1_14partition_implILS5_8ELb0ES3_jPlPS6_PKS6_NS0_5tupleIJS9_S6_EEENSD_IJSA_SA_EEENS0_18inequality_wrapperIZN2at6native12_GLOBAL__N_124unique_dim_cuda_templateIlEESt5tupleIJNSH_6TensorESM_SM_EERKSM_lbbbEUlllE0_EEPmJS6_EEE10hipError_tPvRmT3_T4_T5_T6_T7_T9_mT8_P12ihipStream_tbDpT10_ENKUlT_T0_E_clISt17integral_constantIbLb0EES1B_IbLb1EEEEDaS17_S18_EUlS17_E_NS1_11comp_targetILNS1_3genE9ELNS1_11target_archE1100ELNS1_3gpuE3ELNS1_3repE0EEENS1_30default_config_static_selectorELNS0_4arch9wavefront6targetE0EEEvT1_.num_agpr, 0
	.set _ZN7rocprim17ROCPRIM_400000_NS6detail17trampoline_kernelINS0_14default_configENS1_25partition_config_selectorILNS1_17partition_subalgoE8ElNS0_10empty_typeEbEEZZNS1_14partition_implILS5_8ELb0ES3_jPlPS6_PKS6_NS0_5tupleIJS9_S6_EEENSD_IJSA_SA_EEENS0_18inequality_wrapperIZN2at6native12_GLOBAL__N_124unique_dim_cuda_templateIlEESt5tupleIJNSH_6TensorESM_SM_EERKSM_lbbbEUlllE0_EEPmJS6_EEE10hipError_tPvRmT3_T4_T5_T6_T7_T9_mT8_P12ihipStream_tbDpT10_ENKUlT_T0_E_clISt17integral_constantIbLb0EES1B_IbLb1EEEEDaS17_S18_EUlS17_E_NS1_11comp_targetILNS1_3genE9ELNS1_11target_archE1100ELNS1_3gpuE3ELNS1_3repE0EEENS1_30default_config_static_selectorELNS0_4arch9wavefront6targetE0EEEvT1_.numbered_sgpr, 0
	.set _ZN7rocprim17ROCPRIM_400000_NS6detail17trampoline_kernelINS0_14default_configENS1_25partition_config_selectorILNS1_17partition_subalgoE8ElNS0_10empty_typeEbEEZZNS1_14partition_implILS5_8ELb0ES3_jPlPS6_PKS6_NS0_5tupleIJS9_S6_EEENSD_IJSA_SA_EEENS0_18inequality_wrapperIZN2at6native12_GLOBAL__N_124unique_dim_cuda_templateIlEESt5tupleIJNSH_6TensorESM_SM_EERKSM_lbbbEUlllE0_EEPmJS6_EEE10hipError_tPvRmT3_T4_T5_T6_T7_T9_mT8_P12ihipStream_tbDpT10_ENKUlT_T0_E_clISt17integral_constantIbLb0EES1B_IbLb1EEEEDaS17_S18_EUlS17_E_NS1_11comp_targetILNS1_3genE9ELNS1_11target_archE1100ELNS1_3gpuE3ELNS1_3repE0EEENS1_30default_config_static_selectorELNS0_4arch9wavefront6targetE0EEEvT1_.num_named_barrier, 0
	.set _ZN7rocprim17ROCPRIM_400000_NS6detail17trampoline_kernelINS0_14default_configENS1_25partition_config_selectorILNS1_17partition_subalgoE8ElNS0_10empty_typeEbEEZZNS1_14partition_implILS5_8ELb0ES3_jPlPS6_PKS6_NS0_5tupleIJS9_S6_EEENSD_IJSA_SA_EEENS0_18inequality_wrapperIZN2at6native12_GLOBAL__N_124unique_dim_cuda_templateIlEESt5tupleIJNSH_6TensorESM_SM_EERKSM_lbbbEUlllE0_EEPmJS6_EEE10hipError_tPvRmT3_T4_T5_T6_T7_T9_mT8_P12ihipStream_tbDpT10_ENKUlT_T0_E_clISt17integral_constantIbLb0EES1B_IbLb1EEEEDaS17_S18_EUlS17_E_NS1_11comp_targetILNS1_3genE9ELNS1_11target_archE1100ELNS1_3gpuE3ELNS1_3repE0EEENS1_30default_config_static_selectorELNS0_4arch9wavefront6targetE0EEEvT1_.private_seg_size, 0
	.set _ZN7rocprim17ROCPRIM_400000_NS6detail17trampoline_kernelINS0_14default_configENS1_25partition_config_selectorILNS1_17partition_subalgoE8ElNS0_10empty_typeEbEEZZNS1_14partition_implILS5_8ELb0ES3_jPlPS6_PKS6_NS0_5tupleIJS9_S6_EEENSD_IJSA_SA_EEENS0_18inequality_wrapperIZN2at6native12_GLOBAL__N_124unique_dim_cuda_templateIlEESt5tupleIJNSH_6TensorESM_SM_EERKSM_lbbbEUlllE0_EEPmJS6_EEE10hipError_tPvRmT3_T4_T5_T6_T7_T9_mT8_P12ihipStream_tbDpT10_ENKUlT_T0_E_clISt17integral_constantIbLb0EES1B_IbLb1EEEEDaS17_S18_EUlS17_E_NS1_11comp_targetILNS1_3genE9ELNS1_11target_archE1100ELNS1_3gpuE3ELNS1_3repE0EEENS1_30default_config_static_selectorELNS0_4arch9wavefront6targetE0EEEvT1_.uses_vcc, 0
	.set _ZN7rocprim17ROCPRIM_400000_NS6detail17trampoline_kernelINS0_14default_configENS1_25partition_config_selectorILNS1_17partition_subalgoE8ElNS0_10empty_typeEbEEZZNS1_14partition_implILS5_8ELb0ES3_jPlPS6_PKS6_NS0_5tupleIJS9_S6_EEENSD_IJSA_SA_EEENS0_18inequality_wrapperIZN2at6native12_GLOBAL__N_124unique_dim_cuda_templateIlEESt5tupleIJNSH_6TensorESM_SM_EERKSM_lbbbEUlllE0_EEPmJS6_EEE10hipError_tPvRmT3_T4_T5_T6_T7_T9_mT8_P12ihipStream_tbDpT10_ENKUlT_T0_E_clISt17integral_constantIbLb0EES1B_IbLb1EEEEDaS17_S18_EUlS17_E_NS1_11comp_targetILNS1_3genE9ELNS1_11target_archE1100ELNS1_3gpuE3ELNS1_3repE0EEENS1_30default_config_static_selectorELNS0_4arch9wavefront6targetE0EEEvT1_.uses_flat_scratch, 0
	.set _ZN7rocprim17ROCPRIM_400000_NS6detail17trampoline_kernelINS0_14default_configENS1_25partition_config_selectorILNS1_17partition_subalgoE8ElNS0_10empty_typeEbEEZZNS1_14partition_implILS5_8ELb0ES3_jPlPS6_PKS6_NS0_5tupleIJS9_S6_EEENSD_IJSA_SA_EEENS0_18inequality_wrapperIZN2at6native12_GLOBAL__N_124unique_dim_cuda_templateIlEESt5tupleIJNSH_6TensorESM_SM_EERKSM_lbbbEUlllE0_EEPmJS6_EEE10hipError_tPvRmT3_T4_T5_T6_T7_T9_mT8_P12ihipStream_tbDpT10_ENKUlT_T0_E_clISt17integral_constantIbLb0EES1B_IbLb1EEEEDaS17_S18_EUlS17_E_NS1_11comp_targetILNS1_3genE9ELNS1_11target_archE1100ELNS1_3gpuE3ELNS1_3repE0EEENS1_30default_config_static_selectorELNS0_4arch9wavefront6targetE0EEEvT1_.has_dyn_sized_stack, 0
	.set _ZN7rocprim17ROCPRIM_400000_NS6detail17trampoline_kernelINS0_14default_configENS1_25partition_config_selectorILNS1_17partition_subalgoE8ElNS0_10empty_typeEbEEZZNS1_14partition_implILS5_8ELb0ES3_jPlPS6_PKS6_NS0_5tupleIJS9_S6_EEENSD_IJSA_SA_EEENS0_18inequality_wrapperIZN2at6native12_GLOBAL__N_124unique_dim_cuda_templateIlEESt5tupleIJNSH_6TensorESM_SM_EERKSM_lbbbEUlllE0_EEPmJS6_EEE10hipError_tPvRmT3_T4_T5_T6_T7_T9_mT8_P12ihipStream_tbDpT10_ENKUlT_T0_E_clISt17integral_constantIbLb0EES1B_IbLb1EEEEDaS17_S18_EUlS17_E_NS1_11comp_targetILNS1_3genE9ELNS1_11target_archE1100ELNS1_3gpuE3ELNS1_3repE0EEENS1_30default_config_static_selectorELNS0_4arch9wavefront6targetE0EEEvT1_.has_recursion, 0
	.set _ZN7rocprim17ROCPRIM_400000_NS6detail17trampoline_kernelINS0_14default_configENS1_25partition_config_selectorILNS1_17partition_subalgoE8ElNS0_10empty_typeEbEEZZNS1_14partition_implILS5_8ELb0ES3_jPlPS6_PKS6_NS0_5tupleIJS9_S6_EEENSD_IJSA_SA_EEENS0_18inequality_wrapperIZN2at6native12_GLOBAL__N_124unique_dim_cuda_templateIlEESt5tupleIJNSH_6TensorESM_SM_EERKSM_lbbbEUlllE0_EEPmJS6_EEE10hipError_tPvRmT3_T4_T5_T6_T7_T9_mT8_P12ihipStream_tbDpT10_ENKUlT_T0_E_clISt17integral_constantIbLb0EES1B_IbLb1EEEEDaS17_S18_EUlS17_E_NS1_11comp_targetILNS1_3genE9ELNS1_11target_archE1100ELNS1_3gpuE3ELNS1_3repE0EEENS1_30default_config_static_selectorELNS0_4arch9wavefront6targetE0EEEvT1_.has_indirect_call, 0
	.section	.AMDGPU.csdata,"",@progbits
; Kernel info:
; codeLenInByte = 0
; TotalNumSgprs: 0
; NumVgprs: 0
; ScratchSize: 0
; MemoryBound: 0
; FloatMode: 240
; IeeeMode: 1
; LDSByteSize: 0 bytes/workgroup (compile time only)
; SGPRBlocks: 0
; VGPRBlocks: 0
; NumSGPRsForWavesPerEU: 1
; NumVGPRsForWavesPerEU: 1
; NamedBarCnt: 0
; Occupancy: 16
; WaveLimiterHint : 0
; COMPUTE_PGM_RSRC2:SCRATCH_EN: 0
; COMPUTE_PGM_RSRC2:USER_SGPR: 2
; COMPUTE_PGM_RSRC2:TRAP_HANDLER: 0
; COMPUTE_PGM_RSRC2:TGID_X_EN: 1
; COMPUTE_PGM_RSRC2:TGID_Y_EN: 0
; COMPUTE_PGM_RSRC2:TGID_Z_EN: 0
; COMPUTE_PGM_RSRC2:TIDIG_COMP_CNT: 0
	.section	.text._ZN7rocprim17ROCPRIM_400000_NS6detail17trampoline_kernelINS0_14default_configENS1_25partition_config_selectorILNS1_17partition_subalgoE8ElNS0_10empty_typeEbEEZZNS1_14partition_implILS5_8ELb0ES3_jPlPS6_PKS6_NS0_5tupleIJS9_S6_EEENSD_IJSA_SA_EEENS0_18inequality_wrapperIZN2at6native12_GLOBAL__N_124unique_dim_cuda_templateIlEESt5tupleIJNSH_6TensorESM_SM_EERKSM_lbbbEUlllE0_EEPmJS6_EEE10hipError_tPvRmT3_T4_T5_T6_T7_T9_mT8_P12ihipStream_tbDpT10_ENKUlT_T0_E_clISt17integral_constantIbLb0EES1B_IbLb1EEEEDaS17_S18_EUlS17_E_NS1_11comp_targetILNS1_3genE8ELNS1_11target_archE1030ELNS1_3gpuE2ELNS1_3repE0EEENS1_30default_config_static_selectorELNS0_4arch9wavefront6targetE0EEEvT1_,"axG",@progbits,_ZN7rocprim17ROCPRIM_400000_NS6detail17trampoline_kernelINS0_14default_configENS1_25partition_config_selectorILNS1_17partition_subalgoE8ElNS0_10empty_typeEbEEZZNS1_14partition_implILS5_8ELb0ES3_jPlPS6_PKS6_NS0_5tupleIJS9_S6_EEENSD_IJSA_SA_EEENS0_18inequality_wrapperIZN2at6native12_GLOBAL__N_124unique_dim_cuda_templateIlEESt5tupleIJNSH_6TensorESM_SM_EERKSM_lbbbEUlllE0_EEPmJS6_EEE10hipError_tPvRmT3_T4_T5_T6_T7_T9_mT8_P12ihipStream_tbDpT10_ENKUlT_T0_E_clISt17integral_constantIbLb0EES1B_IbLb1EEEEDaS17_S18_EUlS17_E_NS1_11comp_targetILNS1_3genE8ELNS1_11target_archE1030ELNS1_3gpuE2ELNS1_3repE0EEENS1_30default_config_static_selectorELNS0_4arch9wavefront6targetE0EEEvT1_,comdat
	.globl	_ZN7rocprim17ROCPRIM_400000_NS6detail17trampoline_kernelINS0_14default_configENS1_25partition_config_selectorILNS1_17partition_subalgoE8ElNS0_10empty_typeEbEEZZNS1_14partition_implILS5_8ELb0ES3_jPlPS6_PKS6_NS0_5tupleIJS9_S6_EEENSD_IJSA_SA_EEENS0_18inequality_wrapperIZN2at6native12_GLOBAL__N_124unique_dim_cuda_templateIlEESt5tupleIJNSH_6TensorESM_SM_EERKSM_lbbbEUlllE0_EEPmJS6_EEE10hipError_tPvRmT3_T4_T5_T6_T7_T9_mT8_P12ihipStream_tbDpT10_ENKUlT_T0_E_clISt17integral_constantIbLb0EES1B_IbLb1EEEEDaS17_S18_EUlS17_E_NS1_11comp_targetILNS1_3genE8ELNS1_11target_archE1030ELNS1_3gpuE2ELNS1_3repE0EEENS1_30default_config_static_selectorELNS0_4arch9wavefront6targetE0EEEvT1_ ; -- Begin function _ZN7rocprim17ROCPRIM_400000_NS6detail17trampoline_kernelINS0_14default_configENS1_25partition_config_selectorILNS1_17partition_subalgoE8ElNS0_10empty_typeEbEEZZNS1_14partition_implILS5_8ELb0ES3_jPlPS6_PKS6_NS0_5tupleIJS9_S6_EEENSD_IJSA_SA_EEENS0_18inequality_wrapperIZN2at6native12_GLOBAL__N_124unique_dim_cuda_templateIlEESt5tupleIJNSH_6TensorESM_SM_EERKSM_lbbbEUlllE0_EEPmJS6_EEE10hipError_tPvRmT3_T4_T5_T6_T7_T9_mT8_P12ihipStream_tbDpT10_ENKUlT_T0_E_clISt17integral_constantIbLb0EES1B_IbLb1EEEEDaS17_S18_EUlS17_E_NS1_11comp_targetILNS1_3genE8ELNS1_11target_archE1030ELNS1_3gpuE2ELNS1_3repE0EEENS1_30default_config_static_selectorELNS0_4arch9wavefront6targetE0EEEvT1_
	.p2align	8
	.type	_ZN7rocprim17ROCPRIM_400000_NS6detail17trampoline_kernelINS0_14default_configENS1_25partition_config_selectorILNS1_17partition_subalgoE8ElNS0_10empty_typeEbEEZZNS1_14partition_implILS5_8ELb0ES3_jPlPS6_PKS6_NS0_5tupleIJS9_S6_EEENSD_IJSA_SA_EEENS0_18inequality_wrapperIZN2at6native12_GLOBAL__N_124unique_dim_cuda_templateIlEESt5tupleIJNSH_6TensorESM_SM_EERKSM_lbbbEUlllE0_EEPmJS6_EEE10hipError_tPvRmT3_T4_T5_T6_T7_T9_mT8_P12ihipStream_tbDpT10_ENKUlT_T0_E_clISt17integral_constantIbLb0EES1B_IbLb1EEEEDaS17_S18_EUlS17_E_NS1_11comp_targetILNS1_3genE8ELNS1_11target_archE1030ELNS1_3gpuE2ELNS1_3repE0EEENS1_30default_config_static_selectorELNS0_4arch9wavefront6targetE0EEEvT1_,@function
_ZN7rocprim17ROCPRIM_400000_NS6detail17trampoline_kernelINS0_14default_configENS1_25partition_config_selectorILNS1_17partition_subalgoE8ElNS0_10empty_typeEbEEZZNS1_14partition_implILS5_8ELb0ES3_jPlPS6_PKS6_NS0_5tupleIJS9_S6_EEENSD_IJSA_SA_EEENS0_18inequality_wrapperIZN2at6native12_GLOBAL__N_124unique_dim_cuda_templateIlEESt5tupleIJNSH_6TensorESM_SM_EERKSM_lbbbEUlllE0_EEPmJS6_EEE10hipError_tPvRmT3_T4_T5_T6_T7_T9_mT8_P12ihipStream_tbDpT10_ENKUlT_T0_E_clISt17integral_constantIbLb0EES1B_IbLb1EEEEDaS17_S18_EUlS17_E_NS1_11comp_targetILNS1_3genE8ELNS1_11target_archE1030ELNS1_3gpuE2ELNS1_3repE0EEENS1_30default_config_static_selectorELNS0_4arch9wavefront6targetE0EEEvT1_: ; @_ZN7rocprim17ROCPRIM_400000_NS6detail17trampoline_kernelINS0_14default_configENS1_25partition_config_selectorILNS1_17partition_subalgoE8ElNS0_10empty_typeEbEEZZNS1_14partition_implILS5_8ELb0ES3_jPlPS6_PKS6_NS0_5tupleIJS9_S6_EEENSD_IJSA_SA_EEENS0_18inequality_wrapperIZN2at6native12_GLOBAL__N_124unique_dim_cuda_templateIlEESt5tupleIJNSH_6TensorESM_SM_EERKSM_lbbbEUlllE0_EEPmJS6_EEE10hipError_tPvRmT3_T4_T5_T6_T7_T9_mT8_P12ihipStream_tbDpT10_ENKUlT_T0_E_clISt17integral_constantIbLb0EES1B_IbLb1EEEEDaS17_S18_EUlS17_E_NS1_11comp_targetILNS1_3genE8ELNS1_11target_archE1030ELNS1_3gpuE2ELNS1_3repE0EEENS1_30default_config_static_selectorELNS0_4arch9wavefront6targetE0EEEvT1_
; %bb.0:
	.section	.rodata,"a",@progbits
	.p2align	6, 0x0
	.amdhsa_kernel _ZN7rocprim17ROCPRIM_400000_NS6detail17trampoline_kernelINS0_14default_configENS1_25partition_config_selectorILNS1_17partition_subalgoE8ElNS0_10empty_typeEbEEZZNS1_14partition_implILS5_8ELb0ES3_jPlPS6_PKS6_NS0_5tupleIJS9_S6_EEENSD_IJSA_SA_EEENS0_18inequality_wrapperIZN2at6native12_GLOBAL__N_124unique_dim_cuda_templateIlEESt5tupleIJNSH_6TensorESM_SM_EERKSM_lbbbEUlllE0_EEPmJS6_EEE10hipError_tPvRmT3_T4_T5_T6_T7_T9_mT8_P12ihipStream_tbDpT10_ENKUlT_T0_E_clISt17integral_constantIbLb0EES1B_IbLb1EEEEDaS17_S18_EUlS17_E_NS1_11comp_targetILNS1_3genE8ELNS1_11target_archE1030ELNS1_3gpuE2ELNS1_3repE0EEENS1_30default_config_static_selectorELNS0_4arch9wavefront6targetE0EEEvT1_
		.amdhsa_group_segment_fixed_size 0
		.amdhsa_private_segment_fixed_size 0
		.amdhsa_kernarg_size 136
		.amdhsa_user_sgpr_count 2
		.amdhsa_user_sgpr_dispatch_ptr 0
		.amdhsa_user_sgpr_queue_ptr 0
		.amdhsa_user_sgpr_kernarg_segment_ptr 1
		.amdhsa_user_sgpr_dispatch_id 0
		.amdhsa_user_sgpr_kernarg_preload_length 0
		.amdhsa_user_sgpr_kernarg_preload_offset 0
		.amdhsa_user_sgpr_private_segment_size 0
		.amdhsa_wavefront_size32 1
		.amdhsa_uses_dynamic_stack 0
		.amdhsa_enable_private_segment 0
		.amdhsa_system_sgpr_workgroup_id_x 1
		.amdhsa_system_sgpr_workgroup_id_y 0
		.amdhsa_system_sgpr_workgroup_id_z 0
		.amdhsa_system_sgpr_workgroup_info 0
		.amdhsa_system_vgpr_workitem_id 0
		.amdhsa_next_free_vgpr 1
		.amdhsa_next_free_sgpr 1
		.amdhsa_named_barrier_count 0
		.amdhsa_reserve_vcc 0
		.amdhsa_float_round_mode_32 0
		.amdhsa_float_round_mode_16_64 0
		.amdhsa_float_denorm_mode_32 3
		.amdhsa_float_denorm_mode_16_64 3
		.amdhsa_fp16_overflow 0
		.amdhsa_memory_ordered 1
		.amdhsa_forward_progress 1
		.amdhsa_inst_pref_size 0
		.amdhsa_round_robin_scheduling 0
		.amdhsa_exception_fp_ieee_invalid_op 0
		.amdhsa_exception_fp_denorm_src 0
		.amdhsa_exception_fp_ieee_div_zero 0
		.amdhsa_exception_fp_ieee_overflow 0
		.amdhsa_exception_fp_ieee_underflow 0
		.amdhsa_exception_fp_ieee_inexact 0
		.amdhsa_exception_int_div_zero 0
	.end_amdhsa_kernel
	.section	.text._ZN7rocprim17ROCPRIM_400000_NS6detail17trampoline_kernelINS0_14default_configENS1_25partition_config_selectorILNS1_17partition_subalgoE8ElNS0_10empty_typeEbEEZZNS1_14partition_implILS5_8ELb0ES3_jPlPS6_PKS6_NS0_5tupleIJS9_S6_EEENSD_IJSA_SA_EEENS0_18inequality_wrapperIZN2at6native12_GLOBAL__N_124unique_dim_cuda_templateIlEESt5tupleIJNSH_6TensorESM_SM_EERKSM_lbbbEUlllE0_EEPmJS6_EEE10hipError_tPvRmT3_T4_T5_T6_T7_T9_mT8_P12ihipStream_tbDpT10_ENKUlT_T0_E_clISt17integral_constantIbLb0EES1B_IbLb1EEEEDaS17_S18_EUlS17_E_NS1_11comp_targetILNS1_3genE8ELNS1_11target_archE1030ELNS1_3gpuE2ELNS1_3repE0EEENS1_30default_config_static_selectorELNS0_4arch9wavefront6targetE0EEEvT1_,"axG",@progbits,_ZN7rocprim17ROCPRIM_400000_NS6detail17trampoline_kernelINS0_14default_configENS1_25partition_config_selectorILNS1_17partition_subalgoE8ElNS0_10empty_typeEbEEZZNS1_14partition_implILS5_8ELb0ES3_jPlPS6_PKS6_NS0_5tupleIJS9_S6_EEENSD_IJSA_SA_EEENS0_18inequality_wrapperIZN2at6native12_GLOBAL__N_124unique_dim_cuda_templateIlEESt5tupleIJNSH_6TensorESM_SM_EERKSM_lbbbEUlllE0_EEPmJS6_EEE10hipError_tPvRmT3_T4_T5_T6_T7_T9_mT8_P12ihipStream_tbDpT10_ENKUlT_T0_E_clISt17integral_constantIbLb0EES1B_IbLb1EEEEDaS17_S18_EUlS17_E_NS1_11comp_targetILNS1_3genE8ELNS1_11target_archE1030ELNS1_3gpuE2ELNS1_3repE0EEENS1_30default_config_static_selectorELNS0_4arch9wavefront6targetE0EEEvT1_,comdat
.Lfunc_end594:
	.size	_ZN7rocprim17ROCPRIM_400000_NS6detail17trampoline_kernelINS0_14default_configENS1_25partition_config_selectorILNS1_17partition_subalgoE8ElNS0_10empty_typeEbEEZZNS1_14partition_implILS5_8ELb0ES3_jPlPS6_PKS6_NS0_5tupleIJS9_S6_EEENSD_IJSA_SA_EEENS0_18inequality_wrapperIZN2at6native12_GLOBAL__N_124unique_dim_cuda_templateIlEESt5tupleIJNSH_6TensorESM_SM_EERKSM_lbbbEUlllE0_EEPmJS6_EEE10hipError_tPvRmT3_T4_T5_T6_T7_T9_mT8_P12ihipStream_tbDpT10_ENKUlT_T0_E_clISt17integral_constantIbLb0EES1B_IbLb1EEEEDaS17_S18_EUlS17_E_NS1_11comp_targetILNS1_3genE8ELNS1_11target_archE1030ELNS1_3gpuE2ELNS1_3repE0EEENS1_30default_config_static_selectorELNS0_4arch9wavefront6targetE0EEEvT1_, .Lfunc_end594-_ZN7rocprim17ROCPRIM_400000_NS6detail17trampoline_kernelINS0_14default_configENS1_25partition_config_selectorILNS1_17partition_subalgoE8ElNS0_10empty_typeEbEEZZNS1_14partition_implILS5_8ELb0ES3_jPlPS6_PKS6_NS0_5tupleIJS9_S6_EEENSD_IJSA_SA_EEENS0_18inequality_wrapperIZN2at6native12_GLOBAL__N_124unique_dim_cuda_templateIlEESt5tupleIJNSH_6TensorESM_SM_EERKSM_lbbbEUlllE0_EEPmJS6_EEE10hipError_tPvRmT3_T4_T5_T6_T7_T9_mT8_P12ihipStream_tbDpT10_ENKUlT_T0_E_clISt17integral_constantIbLb0EES1B_IbLb1EEEEDaS17_S18_EUlS17_E_NS1_11comp_targetILNS1_3genE8ELNS1_11target_archE1030ELNS1_3gpuE2ELNS1_3repE0EEENS1_30default_config_static_selectorELNS0_4arch9wavefront6targetE0EEEvT1_
                                        ; -- End function
	.set _ZN7rocprim17ROCPRIM_400000_NS6detail17trampoline_kernelINS0_14default_configENS1_25partition_config_selectorILNS1_17partition_subalgoE8ElNS0_10empty_typeEbEEZZNS1_14partition_implILS5_8ELb0ES3_jPlPS6_PKS6_NS0_5tupleIJS9_S6_EEENSD_IJSA_SA_EEENS0_18inequality_wrapperIZN2at6native12_GLOBAL__N_124unique_dim_cuda_templateIlEESt5tupleIJNSH_6TensorESM_SM_EERKSM_lbbbEUlllE0_EEPmJS6_EEE10hipError_tPvRmT3_T4_T5_T6_T7_T9_mT8_P12ihipStream_tbDpT10_ENKUlT_T0_E_clISt17integral_constantIbLb0EES1B_IbLb1EEEEDaS17_S18_EUlS17_E_NS1_11comp_targetILNS1_3genE8ELNS1_11target_archE1030ELNS1_3gpuE2ELNS1_3repE0EEENS1_30default_config_static_selectorELNS0_4arch9wavefront6targetE0EEEvT1_.num_vgpr, 0
	.set _ZN7rocprim17ROCPRIM_400000_NS6detail17trampoline_kernelINS0_14default_configENS1_25partition_config_selectorILNS1_17partition_subalgoE8ElNS0_10empty_typeEbEEZZNS1_14partition_implILS5_8ELb0ES3_jPlPS6_PKS6_NS0_5tupleIJS9_S6_EEENSD_IJSA_SA_EEENS0_18inequality_wrapperIZN2at6native12_GLOBAL__N_124unique_dim_cuda_templateIlEESt5tupleIJNSH_6TensorESM_SM_EERKSM_lbbbEUlllE0_EEPmJS6_EEE10hipError_tPvRmT3_T4_T5_T6_T7_T9_mT8_P12ihipStream_tbDpT10_ENKUlT_T0_E_clISt17integral_constantIbLb0EES1B_IbLb1EEEEDaS17_S18_EUlS17_E_NS1_11comp_targetILNS1_3genE8ELNS1_11target_archE1030ELNS1_3gpuE2ELNS1_3repE0EEENS1_30default_config_static_selectorELNS0_4arch9wavefront6targetE0EEEvT1_.num_agpr, 0
	.set _ZN7rocprim17ROCPRIM_400000_NS6detail17trampoline_kernelINS0_14default_configENS1_25partition_config_selectorILNS1_17partition_subalgoE8ElNS0_10empty_typeEbEEZZNS1_14partition_implILS5_8ELb0ES3_jPlPS6_PKS6_NS0_5tupleIJS9_S6_EEENSD_IJSA_SA_EEENS0_18inequality_wrapperIZN2at6native12_GLOBAL__N_124unique_dim_cuda_templateIlEESt5tupleIJNSH_6TensorESM_SM_EERKSM_lbbbEUlllE0_EEPmJS6_EEE10hipError_tPvRmT3_T4_T5_T6_T7_T9_mT8_P12ihipStream_tbDpT10_ENKUlT_T0_E_clISt17integral_constantIbLb0EES1B_IbLb1EEEEDaS17_S18_EUlS17_E_NS1_11comp_targetILNS1_3genE8ELNS1_11target_archE1030ELNS1_3gpuE2ELNS1_3repE0EEENS1_30default_config_static_selectorELNS0_4arch9wavefront6targetE0EEEvT1_.numbered_sgpr, 0
	.set _ZN7rocprim17ROCPRIM_400000_NS6detail17trampoline_kernelINS0_14default_configENS1_25partition_config_selectorILNS1_17partition_subalgoE8ElNS0_10empty_typeEbEEZZNS1_14partition_implILS5_8ELb0ES3_jPlPS6_PKS6_NS0_5tupleIJS9_S6_EEENSD_IJSA_SA_EEENS0_18inequality_wrapperIZN2at6native12_GLOBAL__N_124unique_dim_cuda_templateIlEESt5tupleIJNSH_6TensorESM_SM_EERKSM_lbbbEUlllE0_EEPmJS6_EEE10hipError_tPvRmT3_T4_T5_T6_T7_T9_mT8_P12ihipStream_tbDpT10_ENKUlT_T0_E_clISt17integral_constantIbLb0EES1B_IbLb1EEEEDaS17_S18_EUlS17_E_NS1_11comp_targetILNS1_3genE8ELNS1_11target_archE1030ELNS1_3gpuE2ELNS1_3repE0EEENS1_30default_config_static_selectorELNS0_4arch9wavefront6targetE0EEEvT1_.num_named_barrier, 0
	.set _ZN7rocprim17ROCPRIM_400000_NS6detail17trampoline_kernelINS0_14default_configENS1_25partition_config_selectorILNS1_17partition_subalgoE8ElNS0_10empty_typeEbEEZZNS1_14partition_implILS5_8ELb0ES3_jPlPS6_PKS6_NS0_5tupleIJS9_S6_EEENSD_IJSA_SA_EEENS0_18inequality_wrapperIZN2at6native12_GLOBAL__N_124unique_dim_cuda_templateIlEESt5tupleIJNSH_6TensorESM_SM_EERKSM_lbbbEUlllE0_EEPmJS6_EEE10hipError_tPvRmT3_T4_T5_T6_T7_T9_mT8_P12ihipStream_tbDpT10_ENKUlT_T0_E_clISt17integral_constantIbLb0EES1B_IbLb1EEEEDaS17_S18_EUlS17_E_NS1_11comp_targetILNS1_3genE8ELNS1_11target_archE1030ELNS1_3gpuE2ELNS1_3repE0EEENS1_30default_config_static_selectorELNS0_4arch9wavefront6targetE0EEEvT1_.private_seg_size, 0
	.set _ZN7rocprim17ROCPRIM_400000_NS6detail17trampoline_kernelINS0_14default_configENS1_25partition_config_selectorILNS1_17partition_subalgoE8ElNS0_10empty_typeEbEEZZNS1_14partition_implILS5_8ELb0ES3_jPlPS6_PKS6_NS0_5tupleIJS9_S6_EEENSD_IJSA_SA_EEENS0_18inequality_wrapperIZN2at6native12_GLOBAL__N_124unique_dim_cuda_templateIlEESt5tupleIJNSH_6TensorESM_SM_EERKSM_lbbbEUlllE0_EEPmJS6_EEE10hipError_tPvRmT3_T4_T5_T6_T7_T9_mT8_P12ihipStream_tbDpT10_ENKUlT_T0_E_clISt17integral_constantIbLb0EES1B_IbLb1EEEEDaS17_S18_EUlS17_E_NS1_11comp_targetILNS1_3genE8ELNS1_11target_archE1030ELNS1_3gpuE2ELNS1_3repE0EEENS1_30default_config_static_selectorELNS0_4arch9wavefront6targetE0EEEvT1_.uses_vcc, 0
	.set _ZN7rocprim17ROCPRIM_400000_NS6detail17trampoline_kernelINS0_14default_configENS1_25partition_config_selectorILNS1_17partition_subalgoE8ElNS0_10empty_typeEbEEZZNS1_14partition_implILS5_8ELb0ES3_jPlPS6_PKS6_NS0_5tupleIJS9_S6_EEENSD_IJSA_SA_EEENS0_18inequality_wrapperIZN2at6native12_GLOBAL__N_124unique_dim_cuda_templateIlEESt5tupleIJNSH_6TensorESM_SM_EERKSM_lbbbEUlllE0_EEPmJS6_EEE10hipError_tPvRmT3_T4_T5_T6_T7_T9_mT8_P12ihipStream_tbDpT10_ENKUlT_T0_E_clISt17integral_constantIbLb0EES1B_IbLb1EEEEDaS17_S18_EUlS17_E_NS1_11comp_targetILNS1_3genE8ELNS1_11target_archE1030ELNS1_3gpuE2ELNS1_3repE0EEENS1_30default_config_static_selectorELNS0_4arch9wavefront6targetE0EEEvT1_.uses_flat_scratch, 0
	.set _ZN7rocprim17ROCPRIM_400000_NS6detail17trampoline_kernelINS0_14default_configENS1_25partition_config_selectorILNS1_17partition_subalgoE8ElNS0_10empty_typeEbEEZZNS1_14partition_implILS5_8ELb0ES3_jPlPS6_PKS6_NS0_5tupleIJS9_S6_EEENSD_IJSA_SA_EEENS0_18inequality_wrapperIZN2at6native12_GLOBAL__N_124unique_dim_cuda_templateIlEESt5tupleIJNSH_6TensorESM_SM_EERKSM_lbbbEUlllE0_EEPmJS6_EEE10hipError_tPvRmT3_T4_T5_T6_T7_T9_mT8_P12ihipStream_tbDpT10_ENKUlT_T0_E_clISt17integral_constantIbLb0EES1B_IbLb1EEEEDaS17_S18_EUlS17_E_NS1_11comp_targetILNS1_3genE8ELNS1_11target_archE1030ELNS1_3gpuE2ELNS1_3repE0EEENS1_30default_config_static_selectorELNS0_4arch9wavefront6targetE0EEEvT1_.has_dyn_sized_stack, 0
	.set _ZN7rocprim17ROCPRIM_400000_NS6detail17trampoline_kernelINS0_14default_configENS1_25partition_config_selectorILNS1_17partition_subalgoE8ElNS0_10empty_typeEbEEZZNS1_14partition_implILS5_8ELb0ES3_jPlPS6_PKS6_NS0_5tupleIJS9_S6_EEENSD_IJSA_SA_EEENS0_18inequality_wrapperIZN2at6native12_GLOBAL__N_124unique_dim_cuda_templateIlEESt5tupleIJNSH_6TensorESM_SM_EERKSM_lbbbEUlllE0_EEPmJS6_EEE10hipError_tPvRmT3_T4_T5_T6_T7_T9_mT8_P12ihipStream_tbDpT10_ENKUlT_T0_E_clISt17integral_constantIbLb0EES1B_IbLb1EEEEDaS17_S18_EUlS17_E_NS1_11comp_targetILNS1_3genE8ELNS1_11target_archE1030ELNS1_3gpuE2ELNS1_3repE0EEENS1_30default_config_static_selectorELNS0_4arch9wavefront6targetE0EEEvT1_.has_recursion, 0
	.set _ZN7rocprim17ROCPRIM_400000_NS6detail17trampoline_kernelINS0_14default_configENS1_25partition_config_selectorILNS1_17partition_subalgoE8ElNS0_10empty_typeEbEEZZNS1_14partition_implILS5_8ELb0ES3_jPlPS6_PKS6_NS0_5tupleIJS9_S6_EEENSD_IJSA_SA_EEENS0_18inequality_wrapperIZN2at6native12_GLOBAL__N_124unique_dim_cuda_templateIlEESt5tupleIJNSH_6TensorESM_SM_EERKSM_lbbbEUlllE0_EEPmJS6_EEE10hipError_tPvRmT3_T4_T5_T6_T7_T9_mT8_P12ihipStream_tbDpT10_ENKUlT_T0_E_clISt17integral_constantIbLb0EES1B_IbLb1EEEEDaS17_S18_EUlS17_E_NS1_11comp_targetILNS1_3genE8ELNS1_11target_archE1030ELNS1_3gpuE2ELNS1_3repE0EEENS1_30default_config_static_selectorELNS0_4arch9wavefront6targetE0EEEvT1_.has_indirect_call, 0
	.section	.AMDGPU.csdata,"",@progbits
; Kernel info:
; codeLenInByte = 0
; TotalNumSgprs: 0
; NumVgprs: 0
; ScratchSize: 0
; MemoryBound: 0
; FloatMode: 240
; IeeeMode: 1
; LDSByteSize: 0 bytes/workgroup (compile time only)
; SGPRBlocks: 0
; VGPRBlocks: 0
; NumSGPRsForWavesPerEU: 1
; NumVGPRsForWavesPerEU: 1
; NamedBarCnt: 0
; Occupancy: 16
; WaveLimiterHint : 0
; COMPUTE_PGM_RSRC2:SCRATCH_EN: 0
; COMPUTE_PGM_RSRC2:USER_SGPR: 2
; COMPUTE_PGM_RSRC2:TRAP_HANDLER: 0
; COMPUTE_PGM_RSRC2:TGID_X_EN: 1
; COMPUTE_PGM_RSRC2:TGID_Y_EN: 0
; COMPUTE_PGM_RSRC2:TGID_Z_EN: 0
; COMPUTE_PGM_RSRC2:TIDIG_COMP_CNT: 0
	.section	.text._ZN7rocprim17ROCPRIM_400000_NS6detail17trampoline_kernelINS0_14default_configENS1_25partition_config_selectorILNS1_17partition_subalgoE9EllbEEZZNS1_14partition_implILS5_9ELb0ES3_jPlS8_PNS0_10empty_typeENS0_5tupleIJS8_S9_EEENSB_IJS8_SA_EEENS0_18inequality_wrapperIZN2at6native12_GLOBAL__N_124unique_dim_cuda_templateIlEESt5tupleIJNSF_6TensorESK_SK_EERKSK_lbbbEUlllE0_EEPmJS9_EEE10hipError_tPvRmT3_T4_T5_T6_T7_T9_mT8_P12ihipStream_tbDpT10_ENKUlT_T0_E_clISt17integral_constantIbLb0EES1A_EEDaS15_S16_EUlS15_E_NS1_11comp_targetILNS1_3genE0ELNS1_11target_archE4294967295ELNS1_3gpuE0ELNS1_3repE0EEENS1_30default_config_static_selectorELNS0_4arch9wavefront6targetE0EEEvT1_,"axG",@progbits,_ZN7rocprim17ROCPRIM_400000_NS6detail17trampoline_kernelINS0_14default_configENS1_25partition_config_selectorILNS1_17partition_subalgoE9EllbEEZZNS1_14partition_implILS5_9ELb0ES3_jPlS8_PNS0_10empty_typeENS0_5tupleIJS8_S9_EEENSB_IJS8_SA_EEENS0_18inequality_wrapperIZN2at6native12_GLOBAL__N_124unique_dim_cuda_templateIlEESt5tupleIJNSF_6TensorESK_SK_EERKSK_lbbbEUlllE0_EEPmJS9_EEE10hipError_tPvRmT3_T4_T5_T6_T7_T9_mT8_P12ihipStream_tbDpT10_ENKUlT_T0_E_clISt17integral_constantIbLb0EES1A_EEDaS15_S16_EUlS15_E_NS1_11comp_targetILNS1_3genE0ELNS1_11target_archE4294967295ELNS1_3gpuE0ELNS1_3repE0EEENS1_30default_config_static_selectorELNS0_4arch9wavefront6targetE0EEEvT1_,comdat
	.globl	_ZN7rocprim17ROCPRIM_400000_NS6detail17trampoline_kernelINS0_14default_configENS1_25partition_config_selectorILNS1_17partition_subalgoE9EllbEEZZNS1_14partition_implILS5_9ELb0ES3_jPlS8_PNS0_10empty_typeENS0_5tupleIJS8_S9_EEENSB_IJS8_SA_EEENS0_18inequality_wrapperIZN2at6native12_GLOBAL__N_124unique_dim_cuda_templateIlEESt5tupleIJNSF_6TensorESK_SK_EERKSK_lbbbEUlllE0_EEPmJS9_EEE10hipError_tPvRmT3_T4_T5_T6_T7_T9_mT8_P12ihipStream_tbDpT10_ENKUlT_T0_E_clISt17integral_constantIbLb0EES1A_EEDaS15_S16_EUlS15_E_NS1_11comp_targetILNS1_3genE0ELNS1_11target_archE4294967295ELNS1_3gpuE0ELNS1_3repE0EEENS1_30default_config_static_selectorELNS0_4arch9wavefront6targetE0EEEvT1_ ; -- Begin function _ZN7rocprim17ROCPRIM_400000_NS6detail17trampoline_kernelINS0_14default_configENS1_25partition_config_selectorILNS1_17partition_subalgoE9EllbEEZZNS1_14partition_implILS5_9ELb0ES3_jPlS8_PNS0_10empty_typeENS0_5tupleIJS8_S9_EEENSB_IJS8_SA_EEENS0_18inequality_wrapperIZN2at6native12_GLOBAL__N_124unique_dim_cuda_templateIlEESt5tupleIJNSF_6TensorESK_SK_EERKSK_lbbbEUlllE0_EEPmJS9_EEE10hipError_tPvRmT3_T4_T5_T6_T7_T9_mT8_P12ihipStream_tbDpT10_ENKUlT_T0_E_clISt17integral_constantIbLb0EES1A_EEDaS15_S16_EUlS15_E_NS1_11comp_targetILNS1_3genE0ELNS1_11target_archE4294967295ELNS1_3gpuE0ELNS1_3repE0EEENS1_30default_config_static_selectorELNS0_4arch9wavefront6targetE0EEEvT1_
	.p2align	8
	.type	_ZN7rocprim17ROCPRIM_400000_NS6detail17trampoline_kernelINS0_14default_configENS1_25partition_config_selectorILNS1_17partition_subalgoE9EllbEEZZNS1_14partition_implILS5_9ELb0ES3_jPlS8_PNS0_10empty_typeENS0_5tupleIJS8_S9_EEENSB_IJS8_SA_EEENS0_18inequality_wrapperIZN2at6native12_GLOBAL__N_124unique_dim_cuda_templateIlEESt5tupleIJNSF_6TensorESK_SK_EERKSK_lbbbEUlllE0_EEPmJS9_EEE10hipError_tPvRmT3_T4_T5_T6_T7_T9_mT8_P12ihipStream_tbDpT10_ENKUlT_T0_E_clISt17integral_constantIbLb0EES1A_EEDaS15_S16_EUlS15_E_NS1_11comp_targetILNS1_3genE0ELNS1_11target_archE4294967295ELNS1_3gpuE0ELNS1_3repE0EEENS1_30default_config_static_selectorELNS0_4arch9wavefront6targetE0EEEvT1_,@function
_ZN7rocprim17ROCPRIM_400000_NS6detail17trampoline_kernelINS0_14default_configENS1_25partition_config_selectorILNS1_17partition_subalgoE9EllbEEZZNS1_14partition_implILS5_9ELb0ES3_jPlS8_PNS0_10empty_typeENS0_5tupleIJS8_S9_EEENSB_IJS8_SA_EEENS0_18inequality_wrapperIZN2at6native12_GLOBAL__N_124unique_dim_cuda_templateIlEESt5tupleIJNSF_6TensorESK_SK_EERKSK_lbbbEUlllE0_EEPmJS9_EEE10hipError_tPvRmT3_T4_T5_T6_T7_T9_mT8_P12ihipStream_tbDpT10_ENKUlT_T0_E_clISt17integral_constantIbLb0EES1A_EEDaS15_S16_EUlS15_E_NS1_11comp_targetILNS1_3genE0ELNS1_11target_archE4294967295ELNS1_3gpuE0ELNS1_3repE0EEENS1_30default_config_static_selectorELNS0_4arch9wavefront6targetE0EEEvT1_: ; @_ZN7rocprim17ROCPRIM_400000_NS6detail17trampoline_kernelINS0_14default_configENS1_25partition_config_selectorILNS1_17partition_subalgoE9EllbEEZZNS1_14partition_implILS5_9ELb0ES3_jPlS8_PNS0_10empty_typeENS0_5tupleIJS8_S9_EEENSB_IJS8_SA_EEENS0_18inequality_wrapperIZN2at6native12_GLOBAL__N_124unique_dim_cuda_templateIlEESt5tupleIJNSF_6TensorESK_SK_EERKSK_lbbbEUlllE0_EEPmJS9_EEE10hipError_tPvRmT3_T4_T5_T6_T7_T9_mT8_P12ihipStream_tbDpT10_ENKUlT_T0_E_clISt17integral_constantIbLb0EES1A_EEDaS15_S16_EUlS15_E_NS1_11comp_targetILNS1_3genE0ELNS1_11target_archE4294967295ELNS1_3gpuE0ELNS1_3repE0EEENS1_30default_config_static_selectorELNS0_4arch9wavefront6targetE0EEEvT1_
; %bb.0:
	s_clause 0x2
	s_load_b128 s[4:7], s[0:1], 0x8
	s_load_b256 s[12:19], s[0:1], 0x40
	s_load_b32 s2, s[0:1], 0x70
	s_bfe_u32 s10, ttmp6, 0x4000c
	s_and_b32 s8, ttmp6, 15
	s_add_co_i32 s10, s10, 1
	s_load_b64 s[20:21], s[0:1], 0x18
	s_mul_i32 s10, ttmp9, s10
	s_getreg_b32 s24, hwreg(HW_REG_IB_STS2, 6, 4)
	s_add_co_i32 s10, s8, s10
	s_mov_b32 s9, 0
	v_dual_mov_b32 v1, v0 :: v_dual_lshlrev_b32 v34, 3, v0
	s_mov_b32 s11, s9
	s_mov_b32 s3, -1
	s_wait_kmcnt 0x0
	s_lshl_b64 s[22:23], s[6:7], 3
	s_load_b64 s[14:15], s[14:15], 0x0
	s_mul_i32 s8, s2, 0x280
	s_cmp_eq_u32 s24, 0
	s_add_nc_u64 s[24:25], s[6:7], s[8:9]
	s_cselect_b32 s26, ttmp9, s10
	s_add_co_i32 s8, s8, s6
	v_cmp_le_u64_e64 s9, s[16:17], s[24:25]
	s_sub_co_i32 s27, s16, s8
	s_add_co_i32 s2, s2, -1
	s_addk_co_i32 s27, 0x280
	s_cmp_eq_u32 s26, s2
	s_mul_i32 s10, s26, 0x280
	s_cselect_b32 s24, -1, 0
	s_add_nc_u64 s[4:5], s[4:5], s[22:23]
	s_and_b32 s28, s24, s9
	s_lshl_b64 s[16:17], s[10:11], 3
	s_xor_b32 s25, s28, -1
	s_add_nc_u64 s[4:5], s[4:5], s[16:17]
	s_and_b32 vcc_lo, exec_lo, s25
	s_cbranch_vccz .LBB595_2
; %bb.1:
	s_clause 0x4
	global_load_b64 v[2:3], v0, s[4:5] scale_offset
	global_load_b64 v[4:5], v0, s[4:5] offset:1024 scale_offset
	global_load_b64 v[6:7], v0, s[4:5] offset:2048 scale_offset
	;; [unrolled: 1-line block ×4, first 2 shown]
	v_lshlrev_b32_e32 v12, 3, v0
	s_mov_b32 s3, 0
	s_wait_loadcnt 0x3
	ds_store_2addr_stride64_b64 v12, v[2:3], v[4:5] offset1:2
	s_wait_loadcnt 0x1
	ds_store_2addr_stride64_b64 v12, v[6:7], v[8:9] offset0:4 offset1:6
	s_wait_loadcnt 0x0
	ds_store_b64 v12, v[10:11] offset:4096
	s_wait_dscnt 0x0
	s_barrier_signal -1
	s_barrier_wait -1
.LBB595_2:
	s_load_b128 s[8:11], s[0:1], 0x60
	v_cmp_gt_u32_e64 s2, s27, v0
	s_and_not1_b32 vcc_lo, exec_lo, s3
	s_cbranch_vccnz .LBB595_14
; %bb.3:
	v_mov_b32_e32 v2, 0
	s_delay_alu instid0(VALU_DEP_1)
	v_dual_mov_b32 v3, v2 :: v_dual_mov_b32 v4, v2
	v_dual_mov_b32 v5, v2 :: v_dual_mov_b32 v6, v2
	;; [unrolled: 1-line block ×4, first 2 shown]
	v_mov_b32_e32 v11, v2
	s_and_saveexec_b32 s3, s2
	s_cbranch_execz .LBB595_5
; %bb.4:
	global_load_b64 v[4:5], v0, s[4:5] scale_offset
	v_dual_mov_b32 v6, v2 :: v_dual_mov_b32 v7, v2
	v_dual_mov_b32 v8, v2 :: v_dual_mov_b32 v9, v2
	;; [unrolled: 1-line block ×4, first 2 shown]
	s_wait_loadcnt 0x0
	v_mov_b64_e32 v[2:3], v[4:5]
	v_mov_b64_e32 v[4:5], v[6:7]
	;; [unrolled: 1-line block ×8, first 2 shown]
.LBB595_5:
	s_or_b32 exec_lo, exec_lo, s3
	v_or_b32_e32 v12, 0x80, v0
	s_mov_b32 s2, exec_lo
	s_delay_alu instid0(VALU_DEP_1)
	v_cmpx_gt_u32_e64 s27, v12
	s_cbranch_execz .LBB595_7
; %bb.6:
	global_load_b64 v[4:5], v0, s[4:5] offset:1024 scale_offset
.LBB595_7:
	s_wait_xcnt 0x0
	s_or_b32 exec_lo, exec_lo, s2
	v_or_b32_e32 v12, 0x100, v0
	s_mov_b32 s2, exec_lo
	s_delay_alu instid0(VALU_DEP_1)
	v_cmpx_gt_u32_e64 s27, v12
	s_cbranch_execz .LBB595_9
; %bb.8:
	global_load_b64 v[6:7], v0, s[4:5] offset:2048 scale_offset
.LBB595_9:
	s_wait_xcnt 0x0
	s_or_b32 exec_lo, exec_lo, s2
	v_or_b32_e32 v12, 0x180, v0
	s_mov_b32 s2, exec_lo
	s_delay_alu instid0(VALU_DEP_1)
	v_cmpx_gt_u32_e64 s27, v12
	s_cbranch_execz .LBB595_11
; %bb.10:
	global_load_b64 v[8:9], v0, s[4:5] offset:3072 scale_offset
.LBB595_11:
	s_wait_xcnt 0x0
	s_or_b32 exec_lo, exec_lo, s2
	v_or_b32_e32 v12, 0x200, v0
	s_mov_b32 s2, exec_lo
	s_delay_alu instid0(VALU_DEP_1)
	v_cmpx_gt_u32_e64 s27, v12
	s_cbranch_execz .LBB595_13
; %bb.12:
	global_load_b64 v[10:11], v0, s[4:5] offset:4096 scale_offset
.LBB595_13:
	s_wait_xcnt 0x0
	s_or_b32 exec_lo, exec_lo, s2
	v_lshlrev_b32_e32 v12, 3, v0
	s_wait_loadcnt 0x0
	ds_store_2addr_stride64_b64 v12, v[2:3], v[4:5] offset1:2
	ds_store_2addr_stride64_b64 v12, v[6:7], v[8:9] offset0:4 offset1:6
	ds_store_b64 v12, v[10:11] offset:4096
	s_wait_dscnt 0x0
	s_barrier_signal -1
	s_barrier_wait -1
.LBB595_14:
	v_mul_u32_u24_e32 v30, 5, v0
	s_add_nc_u64 s[2:3], s[20:21], s[22:23]
	s_and_b32 vcc_lo, exec_lo, s25
	s_add_nc_u64 s[2:3], s[2:3], s[16:17]
	s_delay_alu instid0(VALU_DEP_1)
	v_lshlrev_b32_e32 v28, 3, v30
	s_mov_b32 s16, -1
	ds_load_2addr_b64 v[14:17], v28 offset1:1
	ds_load_2addr_b64 v[10:13], v28 offset0:2 offset1:3
	ds_load_b64 v[20:21], v28 offset:32
	s_wait_dscnt 0x0
	s_barrier_signal -1
	s_barrier_wait -1
	s_cbranch_vccz .LBB595_16
; %bb.15:
	s_clause 0x4
	global_load_b64 v[2:3], v0, s[2:3] scale_offset
	global_load_b64 v[4:5], v0, s[2:3] offset:1024 scale_offset
	global_load_b64 v[6:7], v0, s[2:3] offset:2048 scale_offset
	;; [unrolled: 1-line block ×4, first 2 shown]
	v_lshlrev_b32_e32 v22, 3, v0
	s_mov_b32 s16, 0
	s_wait_loadcnt 0x3
	ds_store_2addr_stride64_b64 v22, v[2:3], v[4:5] offset1:2
	s_wait_loadcnt 0x1
	ds_store_2addr_stride64_b64 v22, v[6:7], v[8:9] offset0:4 offset1:6
	s_wait_loadcnt 0x0
	ds_store_b64 v22, v[18:19] offset:4096
	s_wait_dscnt 0x0
	s_barrier_signal -1
	s_barrier_wait -1
.LBB595_16:
	s_and_not1_b32 vcc_lo, exec_lo, s16
	s_cbranch_vccnz .LBB595_28
; %bb.17:
	s_mov_b32 s16, exec_lo
                                        ; implicit-def: $vgpr2_vgpr3
	v_cmpx_gt_u32_e64 s27, v0
	s_cbranch_execz .LBB595_19
; %bb.18:
	global_load_b64 v[2:3], v0, s[2:3] scale_offset
.LBB595_19:
	s_wait_xcnt 0x0
	s_or_b32 exec_lo, exec_lo, s16
	v_or_b32_e32 v4, 0x80, v0
	s_delay_alu instid0(VALU_DEP_1)
	v_cmp_gt_u32_e32 vcc_lo, s27, v4
                                        ; implicit-def: $vgpr4_vgpr5
	s_and_saveexec_b32 s16, vcc_lo
	s_cbranch_execz .LBB595_21
; %bb.20:
	global_load_b64 v[4:5], v0, s[2:3] offset:1024 scale_offset
.LBB595_21:
	s_wait_xcnt 0x0
	s_or_b32 exec_lo, exec_lo, s16
	v_or_b32_e32 v6, 0x100, v0
	s_delay_alu instid0(VALU_DEP_1)
	v_cmp_gt_u32_e32 vcc_lo, s27, v6
                                        ; implicit-def: $vgpr6_vgpr7
	s_and_saveexec_b32 s16, vcc_lo
	s_cbranch_execz .LBB595_23
; %bb.22:
	global_load_b64 v[6:7], v0, s[2:3] offset:2048 scale_offset
.LBB595_23:
	s_wait_xcnt 0x0
	s_or_b32 exec_lo, exec_lo, s16
	v_or_b32_e32 v8, 0x180, v0
	s_delay_alu instid0(VALU_DEP_1)
	v_cmp_gt_u32_e32 vcc_lo, s27, v8
                                        ; implicit-def: $vgpr8_vgpr9
	s_and_saveexec_b32 s16, vcc_lo
	s_cbranch_execz .LBB595_25
; %bb.24:
	global_load_b64 v[8:9], v0, s[2:3] offset:3072 scale_offset
.LBB595_25:
	s_wait_xcnt 0x0
	s_or_b32 exec_lo, exec_lo, s16
	v_or_b32_e32 v18, 0x200, v0
	s_delay_alu instid0(VALU_DEP_1)
	v_cmp_gt_u32_e32 vcc_lo, s27, v18
                                        ; implicit-def: $vgpr18_vgpr19
	s_and_saveexec_b32 s16, vcc_lo
	s_cbranch_execz .LBB595_27
; %bb.26:
	global_load_b64 v[18:19], v0, s[2:3] offset:4096 scale_offset
.LBB595_27:
	s_wait_xcnt 0x0
	s_or_b32 exec_lo, exec_lo, s16
	v_lshlrev_b32_e32 v22, 5, v0
	s_delay_alu instid0(VALU_DEP_1)
	v_sub_nc_u32_e32 v22, v28, v22
	s_wait_loadcnt 0x0
	ds_store_2addr_stride64_b64 v22, v[2:3], v[4:5] offset1:2
	ds_store_2addr_stride64_b64 v22, v[6:7], v[8:9] offset0:4 offset1:6
	ds_store_b64 v22, v[18:19] offset:4096
	s_wait_dscnt 0x0
	s_barrier_signal -1
	s_barrier_wait -1
.LBB595_28:
	ds_load_b64 v[18:19], v28 offset:32
	ds_load_2addr_b64 v[2:5], v28 offset0:2 offset1:3
	ds_load_2addr_b64 v[6:9], v28 offset1:1
	s_cmp_lg_u32 s26, 0
	v_cmp_gt_i64_e64 s17, s[18:19], 0
	s_cselect_b32 s16, -1, 0
	s_cmp_lg_u64 s[6:7], 0
	s_mov_b32 s6, 0
	s_cselect_b32 s2, -1, 0
	s_wait_dscnt 0x0
	s_or_b32 s2, s16, s2
	s_barrier_signal -1
	s_and_b32 vcc_lo, exec_lo, s2
	s_barrier_wait -1
	s_cbranch_vccz .LBB595_40
; %bb.29:
	s_add_nc_u64 s[2:3], s[4:5], -8
	v_cndmask_b32_e64 v29, 0, 1, s17
	s_load_b64 s[4:5], s[2:3], 0x0
	v_lshlrev_b32_e32 v31, 3, v0
	s_and_b32 vcc_lo, exec_lo, s25
	s_wait_xcnt 0x0
	v_cmp_ne_u32_e64 s2, 1, v29
	ds_store_b64 v31, v[20:21]
	s_cbranch_vccz .LBB595_42
; %bb.30:
	s_and_b32 vcc_lo, exec_lo, s2
	s_cbranch_vccnz .LBB595_43
; %bb.31:
	v_mul_u64_e32 v[22:23], s[18:19], v[12:13]
	v_mul_u64_e32 v[24:25], s[18:19], v[20:21]
	s_add_nc_u64 s[6:7], s[18:19], -1
	s_mov_b32 s21, 0
	s_mov_b64 s[2:3], s[6:7]
                                        ; implicit-def: $sgpr20
	s_wait_kmcnt 0x0
	s_delay_alu instid0(VALU_DEP_2) | instskip(NEXT) | instid1(VALU_DEP_2)
	v_lshl_add_u64 v[22:23], v[22:23], 3, s[8:9]
	v_lshl_add_u64 v[24:25], v[24:25], 3, s[8:9]
	s_delay_alu instid0(VALU_DEP_2)
	v_mov_b64_e32 v[26:27], v[22:23]
.LBB595_32:                             ; =>This Inner Loop Header: Depth=1
	global_load_b64 v[32:33], v[26:27], off
	global_load_b64 v[36:37], v[24:25], off
	s_cmp_eq_u64 s[2:3], 0
	s_add_nc_u64 s[22:23], s[2:3], -1
	s_cselect_b32 s3, -1, 0
	s_wait_xcnt 0x1
	v_add_nc_u64_e32 v[26:27], 8, v[26:27]
	s_wait_xcnt 0x0
	v_add_nc_u64_e32 v[24:25], 8, v[24:25]
	s_wait_loadcnt 0x0
	v_cmp_ne_u64_e32 vcc_lo, v[32:33], v[36:37]
	v_cmp_eq_u64_e64 s2, v[32:33], v[36:37]
	s_or_b32 s3, vcc_lo, s3
	s_delay_alu instid0(SALU_CYCLE_1) | instskip(NEXT) | instid1(SALU_CYCLE_1)
	s_and_b32 s3, exec_lo, s3
	s_or_b32 s21, s3, s21
	s_and_not1_b32 s20, s20, exec_lo
	s_and_b32 s29, s2, exec_lo
	s_mov_b64 s[2:3], s[22:23]
	s_or_b32 s20, s20, s29
	s_and_not1_b32 exec_lo, exec_lo, s21
	s_cbranch_execnz .LBB595_32
; %bb.33:
	s_or_b32 exec_lo, exec_lo, s21
	v_mul_u64_e32 v[24:25], s[18:19], v[10:11]
	s_mov_b32 s22, 0
	s_mov_b64 s[2:3], s[6:7]
                                        ; implicit-def: $sgpr21
	s_delay_alu instid0(VALU_DEP_1) | instskip(NEXT) | instid1(VALU_DEP_1)
	v_lshl_add_u64 v[24:25], v[24:25], 3, s[8:9]
	v_mov_b64_e32 v[26:27], v[24:25]
.LBB595_34:                             ; =>This Inner Loop Header: Depth=1
	global_load_b64 v[32:33], v[26:27], off
	global_load_b64 v[36:37], v[22:23], off
	s_cmp_eq_u64 s[2:3], 0
	s_add_nc_u64 s[30:31], s[2:3], -1
	s_cselect_b32 s3, -1, 0
	s_wait_xcnt 0x1
	v_add_nc_u64_e32 v[26:27], 8, v[26:27]
	s_wait_xcnt 0x0
	v_add_nc_u64_e32 v[22:23], 8, v[22:23]
	s_wait_loadcnt 0x0
	v_cmp_ne_u64_e32 vcc_lo, v[32:33], v[36:37]
	v_cmp_eq_u64_e64 s2, v[32:33], v[36:37]
	s_or_b32 s3, vcc_lo, s3
	s_delay_alu instid0(SALU_CYCLE_1) | instskip(NEXT) | instid1(SALU_CYCLE_1)
	s_and_b32 s3, exec_lo, s3
	s_or_b32 s22, s3, s22
	s_and_not1_b32 s21, s21, exec_lo
	s_and_b32 s23, s2, exec_lo
	s_mov_b64 s[2:3], s[30:31]
	s_or_b32 s21, s21, s23
	s_and_not1_b32 exec_lo, exec_lo, s22
	s_cbranch_execnz .LBB595_34
; %bb.35:
	s_or_b32 exec_lo, exec_lo, s22
	v_mul_u64_e32 v[22:23], s[18:19], v[16:17]
	s_mov_b32 s23, 0
	s_mov_b64 s[2:3], s[6:7]
                                        ; implicit-def: $sgpr22
	s_delay_alu instid0(VALU_DEP_1) | instskip(NEXT) | instid1(VALU_DEP_1)
	v_lshl_add_u64 v[22:23], v[22:23], 3, s[8:9]
	v_mov_b64_e32 v[26:27], v[22:23]
.LBB595_36:                             ; =>This Inner Loop Header: Depth=1
	global_load_b64 v[32:33], v[26:27], off
	global_load_b64 v[36:37], v[24:25], off
	s_cmp_eq_u64 s[2:3], 0
	s_add_nc_u64 s[30:31], s[2:3], -1
	s_cselect_b32 s3, -1, 0
	s_wait_xcnt 0x1
	v_add_nc_u64_e32 v[26:27], 8, v[26:27]
	s_wait_xcnt 0x0
	v_add_nc_u64_e32 v[24:25], 8, v[24:25]
	s_wait_loadcnt 0x0
	v_cmp_ne_u64_e32 vcc_lo, v[32:33], v[36:37]
	v_cmp_eq_u64_e64 s2, v[32:33], v[36:37]
	s_or_b32 s3, vcc_lo, s3
	s_delay_alu instid0(SALU_CYCLE_1) | instskip(NEXT) | instid1(SALU_CYCLE_1)
	s_and_b32 s3, exec_lo, s3
	s_or_b32 s23, s3, s23
	s_and_not1_b32 s22, s22, exec_lo
	s_and_b32 s29, s2, exec_lo
	s_mov_b64 s[2:3], s[30:31]
	s_or_b32 s22, s22, s29
	s_and_not1_b32 exec_lo, exec_lo, s23
	s_cbranch_execnz .LBB595_36
; %bb.37:
	s_or_b32 exec_lo, exec_lo, s23
	v_mul_u64_e32 v[24:25], s[18:19], v[14:15]
	s_mov_b32 s23, 0
                                        ; implicit-def: $sgpr3
	s_delay_alu instid0(VALU_DEP_1)
	v_lshl_add_u64 v[24:25], v[24:25], 3, s[8:9]
.LBB595_38:                             ; =>This Inner Loop Header: Depth=1
	global_load_b64 v[26:27], v[24:25], off
	global_load_b64 v[32:33], v[22:23], off
	s_cmp_eq_u64 s[6:7], 0
	s_add_nc_u64 s[30:31], s[6:7], -1
	s_cselect_b32 s6, -1, 0
	s_wait_xcnt 0x1
	v_add_nc_u64_e32 v[24:25], 8, v[24:25]
	s_wait_xcnt 0x0
	v_add_nc_u64_e32 v[22:23], 8, v[22:23]
	s_wait_loadcnt 0x0
	v_cmp_ne_u64_e32 vcc_lo, v[26:27], v[32:33]
	v_cmp_eq_u64_e64 s2, v[26:27], v[32:33]
	s_or_b32 s6, vcc_lo, s6
	s_delay_alu instid0(SALU_CYCLE_1) | instskip(NEXT) | instid1(SALU_CYCLE_1)
	s_and_b32 s6, exec_lo, s6
	s_or_b32 s23, s6, s23
	s_and_not1_b32 s3, s3, exec_lo
	s_and_b32 s2, s2, exec_lo
	s_mov_b64 s[6:7], s[30:31]
	s_or_b32 s3, s3, s2
	s_and_not1_b32 exec_lo, exec_lo, s23
	s_cbranch_execnz .LBB595_38
; %bb.39:
	s_or_b32 exec_lo, exec_lo, s23
	s_xor_b32 s2, s21, -1
	s_xor_b32 s3, s3, -1
	v_cndmask_b32_e64 v22, 0, 1, s2
	s_xor_b32 s2, s22, -1
	s_delay_alu instid0(SALU_CYCLE_1) | instskip(SKIP_1) | instid1(VALU_DEP_2)
	v_cndmask_b32_e64 v23, 0, 1, s2
	s_xor_b32 s2, s20, -1
	v_lshlrev_b16 v22, 8, v22
	v_cndmask_b32_e64 v35, 0, 1, s2
	s_delay_alu instid0(VALU_DEP_2) | instskip(NEXT) | instid1(VALU_DEP_1)
	v_lshrrev_b32_e32 v22, 8, v22
	v_lshlrev_b16 v22, 8, v22
	s_delay_alu instid0(VALU_DEP_1) | instskip(NEXT) | instid1(VALU_DEP_1)
	v_or_b32_e32 v22, v23, v22
	v_lshlrev_b32_e32 v24, 16, v22
	s_branch .LBB595_44
.LBB595_40:
                                        ; implicit-def: $sgpr2
                                        ; implicit-def: $vgpr35
                                        ; implicit-def: $vgpr25
	s_branch .LBB595_85
.LBB595_41:
                                        ; implicit-def: $vgpr24
                                        ; implicit-def: $vgpr23
                                        ; implicit-def: $vgpr36
                                        ; implicit-def: $vgpr22
	s_branch .LBB595_138
.LBB595_42:
                                        ; implicit-def: $sgpr2
                                        ; implicit-def: $vgpr35
                                        ; implicit-def: $vgpr25
	s_cbranch_execnz .LBB595_51
	s_branch .LBB595_84
.LBB595_43:
	v_dual_mov_b32 v24, 0 :: v_dual_mov_b32 v35, 0
	s_mov_b32 s3, 0
.LBB595_44:
	s_wait_kmcnt 0x0
	v_mov_b64_e32 v[22:23], s[4:5]
	s_mov_b32 s2, 0
	s_mov_b32 s6, exec_lo
	s_wait_dscnt 0x0
	s_barrier_signal -1
	s_barrier_wait -1
	v_cmpx_ne_u32_e32 0, v0
; %bb.45:
	v_add_nc_u32_e32 v22, -8, v31
	ds_load_b64 v[22:23], v22
; %bb.46:
	s_or_b32 exec_lo, exec_lo, s6
	v_cndmask_b32_e64 v25, 0, 1, s3
	v_lshrrev_b32_e32 v26, 16, v24
	s_and_not1_b32 vcc_lo, exec_lo, s17
	s_delay_alu instid0(VALU_DEP_2) | instskip(NEXT) | instid1(VALU_DEP_2)
	v_lshlrev_b16 v25, 8, v25
	v_perm_b32 v26, v26, v24, 0xc0c0304
	s_delay_alu instid0(VALU_DEP_2) | instskip(NEXT) | instid1(VALU_DEP_1)
	v_bitop3_b16 v25, v24, v25, 0xff bitop3:0xec
	v_and_b32_e32 v27, 0xffff, v25
	s_cbranch_vccnz .LBB595_50
; %bb.47:
	s_wait_dscnt 0x0
	v_mul_u64_e32 v[22:23], s[18:19], v[22:23]
	v_mul_u64_e32 v[24:25], s[18:19], v[14:15]
	s_add_nc_u64 s[2:3], s[18:19], -1
	s_mov_b32 s6, 0
                                        ; implicit-def: $sgpr7
	s_delay_alu instid0(VALU_DEP_2) | instskip(NEXT) | instid1(VALU_DEP_2)
	v_lshl_add_u64 v[22:23], v[22:23], 3, s[8:9]
	v_lshl_add_u64 v[24:25], v[24:25], 3, s[8:9]
.LBB595_48:                             ; =>This Inner Loop Header: Depth=1
	global_load_b64 v[32:33], v[22:23], off
	global_load_b64 v[36:37], v[24:25], off
	s_cmp_eq_u64 s[2:3], 0
	s_add_nc_u64 s[20:21], s[2:3], -1
	s_cselect_b32 s3, -1, 0
	s_wait_xcnt 0x1
	v_add_nc_u64_e32 v[22:23], 8, v[22:23]
	s_wait_xcnt 0x0
	v_add_nc_u64_e32 v[24:25], 8, v[24:25]
	s_wait_loadcnt 0x0
	v_cmp_ne_u64_e32 vcc_lo, v[32:33], v[36:37]
	v_cmp_eq_u64_e64 s2, v[32:33], v[36:37]
	s_or_b32 s3, vcc_lo, s3
	s_delay_alu instid0(SALU_CYCLE_1) | instskip(NEXT) | instid1(SALU_CYCLE_1)
	s_and_b32 s3, exec_lo, s3
	s_or_b32 s6, s3, s6
	s_and_not1_b32 s7, s7, exec_lo
	s_and_b32 s22, s2, exec_lo
	s_mov_b64 s[2:3], s[20:21]
	s_or_b32 s7, s7, s22
	s_and_not1_b32 exec_lo, exec_lo, s6
	s_cbranch_execnz .LBB595_48
; %bb.49:
	s_or_b32 exec_lo, exec_lo, s6
	s_xor_b32 s2, s7, -1
.LBB595_50:
	s_delay_alu instid0(VALU_DEP_1)
	v_lshl_or_b32 v25, v26, 16, v27
	s_branch .LBB595_84
.LBB595_51:
	s_wait_dscnt 0x0
	v_add_nc_u32_e32 v22, 4, v30
	s_mov_b32 s7, 0
	s_mov_b32 s6, 0
	s_mov_b32 s20, exec_lo
	s_delay_alu instid0(VALU_DEP_1)
	v_cmpx_gt_u32_e64 s27, v22
	s_cbranch_execz .LBB595_57
; %bb.52:
	s_and_not1_b32 vcc_lo, exec_lo, s17
	s_mov_b32 s2, 0
	s_cbranch_vccnz .LBB595_56
; %bb.53:
	v_mul_u64_e32 v[22:23], s[18:19], v[12:13]
	v_mul_u64_e32 v[24:25], s[18:19], v[20:21]
	s_add_nc_u64 s[2:3], s[18:19], -1
                                        ; implicit-def: $sgpr17
	s_wait_kmcnt 0x0
	s_delay_alu instid0(VALU_DEP_2) | instskip(NEXT) | instid1(VALU_DEP_2)
	v_lshl_add_u64 v[22:23], v[22:23], 3, s[8:9]
	v_lshl_add_u64 v[24:25], v[24:25], 3, s[8:9]
.LBB595_54:                             ; =>This Inner Loop Header: Depth=1
	global_load_b64 v[26:27], v[22:23], off
	global_load_b64 v[32:33], v[24:25], off
	s_cmp_eq_u64 s[2:3], 0
	s_add_nc_u64 s[22:23], s[2:3], -1
	s_cselect_b32 s3, -1, 0
	s_wait_xcnt 0x1
	v_add_nc_u64_e32 v[22:23], 8, v[22:23]
	s_wait_xcnt 0x0
	v_add_nc_u64_e32 v[24:25], 8, v[24:25]
	s_wait_loadcnt 0x0
	v_cmp_ne_u64_e32 vcc_lo, v[26:27], v[32:33]
	v_cmp_eq_u64_e64 s2, v[26:27], v[32:33]
	s_or_b32 s3, vcc_lo, s3
	s_delay_alu instid0(SALU_CYCLE_1) | instskip(NEXT) | instid1(SALU_CYCLE_1)
	s_and_b32 s3, exec_lo, s3
	s_or_b32 s6, s3, s6
	s_and_not1_b32 s17, s17, exec_lo
	s_and_b32 s21, s2, exec_lo
	s_mov_b64 s[2:3], s[22:23]
	s_or_b32 s17, s17, s21
	s_and_not1_b32 exec_lo, exec_lo, s6
	s_cbranch_execnz .LBB595_54
; %bb.55:
	s_or_b32 exec_lo, exec_lo, s6
	s_xor_b32 s2, s17, -1
.LBB595_56:
	s_delay_alu instid0(SALU_CYCLE_1)
	s_and_b32 s6, s2, exec_lo
.LBB595_57:
	s_or_b32 exec_lo, exec_lo, s20
	v_add_nc_u32_e32 v22, 3, v30
	s_mov_b32 s17, exec_lo
	s_delay_alu instid0(VALU_DEP_1)
	v_cmpx_gt_u32_e64 s27, v22
	s_cbranch_execz .LBB595_63
; %bb.58:
	v_cmp_ne_u32_e32 vcc_lo, 1, v29
	s_mov_b32 s2, 0
	s_cbranch_vccnz .LBB595_62
; %bb.59:
	v_mul_u64_e32 v[22:23], s[18:19], v[10:11]
	v_mul_u64_e32 v[24:25], s[18:19], v[12:13]
	s_add_nc_u64 s[2:3], s[18:19], -1
	s_mov_b32 s7, 0
                                        ; implicit-def: $sgpr20
	s_wait_kmcnt 0x0
	s_delay_alu instid0(VALU_DEP_2) | instskip(NEXT) | instid1(VALU_DEP_2)
	v_lshl_add_u64 v[22:23], v[22:23], 3, s[8:9]
	v_lshl_add_u64 v[24:25], v[24:25], 3, s[8:9]
.LBB595_60:                             ; =>This Inner Loop Header: Depth=1
	global_load_b64 v[26:27], v[22:23], off
	global_load_b64 v[32:33], v[24:25], off
	s_cmp_eq_u64 s[2:3], 0
	s_add_nc_u64 s[22:23], s[2:3], -1
	s_cselect_b32 s3, -1, 0
	s_wait_xcnt 0x1
	v_add_nc_u64_e32 v[22:23], 8, v[22:23]
	s_wait_xcnt 0x0
	v_add_nc_u64_e32 v[24:25], 8, v[24:25]
	s_wait_loadcnt 0x0
	v_cmp_ne_u64_e32 vcc_lo, v[26:27], v[32:33]
	v_cmp_eq_u64_e64 s2, v[26:27], v[32:33]
	s_or_b32 s3, vcc_lo, s3
	s_delay_alu instid0(SALU_CYCLE_1) | instskip(NEXT) | instid1(SALU_CYCLE_1)
	s_and_b32 s3, exec_lo, s3
	s_or_b32 s7, s3, s7
	s_and_not1_b32 s20, s20, exec_lo
	s_and_b32 s21, s2, exec_lo
	s_mov_b64 s[2:3], s[22:23]
	s_or_b32 s20, s20, s21
	s_and_not1_b32 exec_lo, exec_lo, s7
	s_cbranch_execnz .LBB595_60
; %bb.61:
	s_or_b32 exec_lo, exec_lo, s7
	s_xor_b32 s2, s20, -1
.LBB595_62:
	s_delay_alu instid0(SALU_CYCLE_1)
	s_and_b32 s7, s2, exec_lo
.LBB595_63:
	s_or_b32 exec_lo, exec_lo, s17
	v_add_nc_u32_e32 v22, 2, v30
	s_mov_b32 s17, 0
	s_mov_b32 s20, 0
	s_mov_b32 s21, exec_lo
	s_delay_alu instid0(VALU_DEP_1)
	v_cmpx_gt_u32_e64 s27, v22
	s_cbranch_execz .LBB595_69
; %bb.64:
	v_cmp_ne_u32_e32 vcc_lo, 1, v29
	s_mov_b32 s2, 0
	s_cbranch_vccnz .LBB595_68
; %bb.65:
	v_mul_u64_e32 v[22:23], s[18:19], v[16:17]
	v_mul_u64_e32 v[24:25], s[18:19], v[10:11]
	s_add_nc_u64 s[2:3], s[18:19], -1
                                        ; implicit-def: $sgpr22
	s_wait_kmcnt 0x0
	s_delay_alu instid0(VALU_DEP_2) | instskip(NEXT) | instid1(VALU_DEP_2)
	v_lshl_add_u64 v[22:23], v[22:23], 3, s[8:9]
	v_lshl_add_u64 v[24:25], v[24:25], 3, s[8:9]
.LBB595_66:                             ; =>This Inner Loop Header: Depth=1
	global_load_b64 v[26:27], v[22:23], off
	global_load_b64 v[32:33], v[24:25], off
	s_cmp_eq_u64 s[2:3], 0
	s_add_nc_u64 s[30:31], s[2:3], -1
	s_cselect_b32 s3, -1, 0
	s_wait_xcnt 0x1
	v_add_nc_u64_e32 v[22:23], 8, v[22:23]
	s_wait_xcnt 0x0
	v_add_nc_u64_e32 v[24:25], 8, v[24:25]
	s_wait_loadcnt 0x0
	v_cmp_ne_u64_e32 vcc_lo, v[26:27], v[32:33]
	v_cmp_eq_u64_e64 s2, v[26:27], v[32:33]
	s_or_b32 s3, vcc_lo, s3
	s_delay_alu instid0(SALU_CYCLE_1) | instskip(NEXT) | instid1(SALU_CYCLE_1)
	s_and_b32 s3, exec_lo, s3
	s_or_b32 s20, s3, s20
	s_and_not1_b32 s22, s22, exec_lo
	s_and_b32 s23, s2, exec_lo
	s_mov_b64 s[2:3], s[30:31]
	s_or_b32 s22, s22, s23
	s_and_not1_b32 exec_lo, exec_lo, s20
	s_cbranch_execnz .LBB595_66
; %bb.67:
	s_or_b32 exec_lo, exec_lo, s20
	s_xor_b32 s2, s22, -1
.LBB595_68:
	s_delay_alu instid0(SALU_CYCLE_1)
	s_and_b32 s20, s2, exec_lo
.LBB595_69:
	s_or_b32 exec_lo, exec_lo, s21
	v_add_nc_u32_e32 v22, 1, v30
	s_mov_b32 s21, exec_lo
	s_delay_alu instid0(VALU_DEP_1)
	v_cmpx_gt_u32_e64 s27, v22
	s_cbranch_execz .LBB595_75
; %bb.70:
	v_cmp_ne_u32_e32 vcc_lo, 1, v29
	s_mov_b32 s2, 0
	s_cbranch_vccnz .LBB595_74
; %bb.71:
	v_mul_u64_e32 v[22:23], s[18:19], v[14:15]
	v_mul_u64_e32 v[24:25], s[18:19], v[16:17]
	s_add_nc_u64 s[2:3], s[18:19], -1
	s_mov_b32 s17, 0
                                        ; implicit-def: $sgpr22
	s_wait_kmcnt 0x0
	s_delay_alu instid0(VALU_DEP_2) | instskip(NEXT) | instid1(VALU_DEP_2)
	v_lshl_add_u64 v[22:23], v[22:23], 3, s[8:9]
	v_lshl_add_u64 v[24:25], v[24:25], 3, s[8:9]
.LBB595_72:                             ; =>This Inner Loop Header: Depth=1
	global_load_b64 v[26:27], v[22:23], off
	global_load_b64 v[32:33], v[24:25], off
	s_cmp_eq_u64 s[2:3], 0
	s_add_nc_u64 s[30:31], s[2:3], -1
	s_cselect_b32 s3, -1, 0
	s_wait_xcnt 0x1
	v_add_nc_u64_e32 v[22:23], 8, v[22:23]
	s_wait_xcnt 0x0
	v_add_nc_u64_e32 v[24:25], 8, v[24:25]
	s_wait_loadcnt 0x0
	v_cmp_ne_u64_e32 vcc_lo, v[26:27], v[32:33]
	v_cmp_eq_u64_e64 s2, v[26:27], v[32:33]
	s_or_b32 s3, vcc_lo, s3
	s_delay_alu instid0(SALU_CYCLE_1) | instskip(NEXT) | instid1(SALU_CYCLE_1)
	s_and_b32 s3, exec_lo, s3
	s_or_b32 s17, s3, s17
	s_and_not1_b32 s22, s22, exec_lo
	s_and_b32 s23, s2, exec_lo
	s_mov_b64 s[2:3], s[30:31]
	s_or_b32 s22, s22, s23
	s_and_not1_b32 exec_lo, exec_lo, s17
	s_cbranch_execnz .LBB595_72
; %bb.73:
	s_or_b32 exec_lo, exec_lo, s17
	s_xor_b32 s2, s22, -1
.LBB595_74:
	s_delay_alu instid0(SALU_CYCLE_1)
	s_and_b32 s17, s2, exec_lo
.LBB595_75:
	s_or_b32 exec_lo, exec_lo, s21
	s_wait_kmcnt 0x0
	v_mov_b64_e32 v[22:23], s[4:5]
	s_mov_b32 s2, 0
	s_mov_b32 s3, exec_lo
	s_barrier_signal -1
	s_barrier_wait -1
	v_cmpx_ne_u32_e32 0, v0
; %bb.76:
	v_add_nc_u32_e32 v22, -8, v31
	ds_load_b64 v[22:23], v22
; %bb.77:
	s_or_b32 exec_lo, exec_lo, s3
	v_cndmask_b32_e64 v24, 0, 1, s7
	v_cndmask_b32_e64 v25, 0, 1, s20
	v_cndmask_b32_e64 v26, 0, 1, s17
	s_mov_b32 s4, exec_lo
	s_delay_alu instid0(VALU_DEP_3) | instskip(NEXT) | instid1(VALU_DEP_2)
	v_lshlrev_b16 v24, 8, v24
	v_lshlrev_b16 v26, 8, v26
	s_delay_alu instid0(VALU_DEP_2) | instskip(NEXT) | instid1(VALU_DEP_2)
	v_or_b32_e32 v24, v25, v24
	v_and_b32_e32 v26, 0xffff, v26
	s_delay_alu instid0(VALU_DEP_2)
	v_lshlrev_b32_e32 v27, 16, v24
	v_cmpx_gt_u32_e64 s27, v30
	s_cbranch_execz .LBB595_83
; %bb.78:
	v_cmp_ne_u32_e32 vcc_lo, 1, v29
	s_cbranch_vccnz .LBB595_82
; %bb.79:
	s_wait_dscnt 0x0
	v_mul_u64_e32 v[22:23], s[18:19], v[22:23]
	v_mul_u64_e32 v[24:25], s[18:19], v[14:15]
	s_add_nc_u64 s[2:3], s[18:19], -1
	s_mov_b32 s5, 0
                                        ; implicit-def: $sgpr7
	s_delay_alu instid0(VALU_DEP_2) | instskip(NEXT) | instid1(VALU_DEP_2)
	v_lshl_add_u64 v[22:23], v[22:23], 3, s[8:9]
	v_lshl_add_u64 v[24:25], v[24:25], 3, s[8:9]
.LBB595_80:                             ; =>This Inner Loop Header: Depth=1
	global_load_b64 v[32:33], v[22:23], off
	global_load_b64 v[36:37], v[24:25], off
	s_cmp_eq_u64 s[2:3], 0
	s_add_nc_u64 s[20:21], s[2:3], -1
	s_cselect_b32 s3, -1, 0
	s_wait_xcnt 0x1
	v_add_nc_u64_e32 v[22:23], 8, v[22:23]
	s_wait_xcnt 0x0
	v_add_nc_u64_e32 v[24:25], 8, v[24:25]
	s_wait_loadcnt 0x0
	v_cmp_ne_u64_e32 vcc_lo, v[32:33], v[36:37]
	v_cmp_eq_u64_e64 s2, v[32:33], v[36:37]
	s_or_b32 s3, vcc_lo, s3
	s_delay_alu instid0(SALU_CYCLE_1) | instskip(NEXT) | instid1(SALU_CYCLE_1)
	s_and_b32 s3, exec_lo, s3
	s_or_b32 s5, s3, s5
	s_and_not1_b32 s7, s7, exec_lo
	s_and_b32 s17, s2, exec_lo
	s_mov_b64 s[2:3], s[20:21]
	s_or_b32 s7, s7, s17
	s_and_not1_b32 exec_lo, exec_lo, s5
	s_cbranch_execnz .LBB595_80
; %bb.81:
	s_or_b32 exec_lo, exec_lo, s5
	s_xor_b32 s2, s7, -1
.LBB595_82:
	s_delay_alu instid0(SALU_CYCLE_1)
	s_and_b32 s2, s2, exec_lo
.LBB595_83:
	s_or_b32 exec_lo, exec_lo, s4
	v_cndmask_b32_e64 v35, 0, 1, s6
	v_or_b32_e32 v25, v26, v27
.LBB595_84:
	s_mov_b32 s6, -1
	s_cbranch_execnz .LBB595_41
.LBB595_85:
	s_wait_dscnt 0x0
	v_lshlrev_b32_e32 v22, 5, v0
	v_cmp_gt_i64_e64 s7, s[18:19], 0
	s_and_b32 vcc_lo, exec_lo, s25
	v_sub_nc_u32_e32 v31, v28, v22
	ds_store_b64 v31, v[20:21]
	s_cbranch_vccz .LBB595_96
; %bb.86:
	s_and_not1_b32 vcc_lo, exec_lo, s7
	s_cbranch_vccnz .LBB595_97
; %bb.87:
	v_mul_u64_e32 v[22:23], s[18:19], v[12:13]
	v_mul_u64_e32 v[24:25], s[18:19], v[20:21]
	s_wait_kmcnt 0x0
	s_add_nc_u64 s[4:5], s[18:19], -1
	s_mov_b32 s20, 0
	s_mov_b64 s[2:3], s[4:5]
                                        ; implicit-def: $sgpr17
	s_delay_alu instid0(VALU_DEP_2) | instskip(NEXT) | instid1(VALU_DEP_2)
	v_lshl_add_u64 v[22:23], v[22:23], 3, s[8:9]
	v_lshl_add_u64 v[24:25], v[24:25], 3, s[8:9]
	s_delay_alu instid0(VALU_DEP_2)
	v_mov_b64_e32 v[26:27], v[22:23]
.LBB595_88:                             ; =>This Inner Loop Header: Depth=1
	global_load_b64 v[28:29], v[26:27], off
	global_load_b64 v[32:33], v[24:25], off
	s_cmp_eq_u64 s[2:3], 0
	s_add_nc_u64 s[22:23], s[2:3], -1
	s_cselect_b32 s3, -1, 0
	s_wait_xcnt 0x1
	v_add_nc_u64_e32 v[26:27], 8, v[26:27]
	s_wait_xcnt 0x0
	v_add_nc_u64_e32 v[24:25], 8, v[24:25]
	s_wait_loadcnt 0x0
	v_cmp_ne_u64_e32 vcc_lo, v[28:29], v[32:33]
	v_cmp_eq_u64_e64 s2, v[28:29], v[32:33]
	s_or_b32 s3, vcc_lo, s3
	s_delay_alu instid0(SALU_CYCLE_1) | instskip(NEXT) | instid1(SALU_CYCLE_1)
	s_and_b32 s3, exec_lo, s3
	s_or_b32 s20, s3, s20
	s_and_not1_b32 s17, s17, exec_lo
	s_and_b32 s21, s2, exec_lo
	s_mov_b64 s[2:3], s[22:23]
	s_or_b32 s17, s17, s21
	s_and_not1_b32 exec_lo, exec_lo, s20
	s_cbranch_execnz .LBB595_88
; %bb.89:
	s_or_b32 exec_lo, exec_lo, s20
	v_mul_u64_e32 v[24:25], s[18:19], v[10:11]
	s_mov_b32 s21, 0
	s_mov_b64 s[2:3], s[4:5]
                                        ; implicit-def: $sgpr20
	s_delay_alu instid0(VALU_DEP_1) | instskip(NEXT) | instid1(VALU_DEP_1)
	v_lshl_add_u64 v[24:25], v[24:25], 3, s[8:9]
	v_mov_b64_e32 v[26:27], v[24:25]
.LBB595_90:                             ; =>This Inner Loop Header: Depth=1
	global_load_b64 v[28:29], v[26:27], off
	global_load_b64 v[32:33], v[22:23], off
	s_cmp_eq_u64 s[2:3], 0
	s_add_nc_u64 s[22:23], s[2:3], -1
	s_cselect_b32 s3, -1, 0
	s_wait_xcnt 0x1
	v_add_nc_u64_e32 v[26:27], 8, v[26:27]
	s_wait_xcnt 0x0
	v_add_nc_u64_e32 v[22:23], 8, v[22:23]
	s_wait_loadcnt 0x0
	v_cmp_ne_u64_e32 vcc_lo, v[28:29], v[32:33]
	v_cmp_eq_u64_e64 s2, v[28:29], v[32:33]
	s_or_b32 s3, vcc_lo, s3
	s_delay_alu instid0(SALU_CYCLE_1) | instskip(NEXT) | instid1(SALU_CYCLE_1)
	s_and_b32 s3, exec_lo, s3
	s_or_b32 s21, s3, s21
	s_and_not1_b32 s20, s20, exec_lo
	s_and_b32 s29, s2, exec_lo
	s_mov_b64 s[2:3], s[22:23]
	s_or_b32 s20, s20, s29
	s_and_not1_b32 exec_lo, exec_lo, s21
	s_cbranch_execnz .LBB595_90
; %bb.91:
	s_or_b32 exec_lo, exec_lo, s21
	v_mul_u64_e32 v[22:23], s[18:19], v[16:17]
	s_mov_b32 s22, 0
	s_mov_b64 s[2:3], s[4:5]
                                        ; implicit-def: $sgpr21
	s_delay_alu instid0(VALU_DEP_1) | instskip(NEXT) | instid1(VALU_DEP_1)
	v_lshl_add_u64 v[22:23], v[22:23], 3, s[8:9]
	v_mov_b64_e32 v[26:27], v[22:23]
.LBB595_92:                             ; =>This Inner Loop Header: Depth=1
	global_load_b64 v[28:29], v[26:27], off
	global_load_b64 v[32:33], v[24:25], off
	s_cmp_eq_u64 s[2:3], 0
	s_add_nc_u64 s[30:31], s[2:3], -1
	s_cselect_b32 s3, -1, 0
	s_wait_xcnt 0x1
	v_add_nc_u64_e32 v[26:27], 8, v[26:27]
	s_wait_xcnt 0x0
	v_add_nc_u64_e32 v[24:25], 8, v[24:25]
	s_wait_loadcnt 0x0
	v_cmp_ne_u64_e32 vcc_lo, v[28:29], v[32:33]
	v_cmp_eq_u64_e64 s2, v[28:29], v[32:33]
	s_or_b32 s3, vcc_lo, s3
	s_delay_alu instid0(SALU_CYCLE_1) | instskip(NEXT) | instid1(SALU_CYCLE_1)
	s_and_b32 s3, exec_lo, s3
	s_or_b32 s22, s3, s22
	s_and_not1_b32 s21, s21, exec_lo
	s_and_b32 s23, s2, exec_lo
	s_mov_b64 s[2:3], s[30:31]
	s_or_b32 s21, s21, s23
	s_and_not1_b32 exec_lo, exec_lo, s22
	s_cbranch_execnz .LBB595_92
; %bb.93:
	s_or_b32 exec_lo, exec_lo, s22
	v_mul_u64_e32 v[24:25], s[18:19], v[14:15]
	s_mov_b32 s22, 0
                                        ; implicit-def: $sgpr3
	s_delay_alu instid0(VALU_DEP_1)
	v_lshl_add_u64 v[24:25], v[24:25], 3, s[8:9]
.LBB595_94:                             ; =>This Inner Loop Header: Depth=1
	global_load_b64 v[26:27], v[24:25], off
	global_load_b64 v[28:29], v[22:23], off
	s_cmp_eq_u64 s[4:5], 0
	s_add_nc_u64 s[30:31], s[4:5], -1
	s_cselect_b32 s4, -1, 0
	s_wait_xcnt 0x1
	v_add_nc_u64_e32 v[24:25], 8, v[24:25]
	s_wait_xcnt 0x0
	v_add_nc_u64_e32 v[22:23], 8, v[22:23]
	s_wait_loadcnt 0x0
	v_cmp_ne_u64_e32 vcc_lo, v[26:27], v[28:29]
	v_cmp_eq_u64_e64 s2, v[26:27], v[28:29]
	s_or_b32 s4, vcc_lo, s4
	s_delay_alu instid0(SALU_CYCLE_1) | instskip(NEXT) | instid1(SALU_CYCLE_1)
	s_and_b32 s4, exec_lo, s4
	s_or_b32 s22, s4, s22
	s_and_not1_b32 s3, s3, exec_lo
	s_and_b32 s2, s2, exec_lo
	s_mov_b64 s[4:5], s[30:31]
	s_or_b32 s3, s3, s2
	s_and_not1_b32 exec_lo, exec_lo, s22
	s_cbranch_execnz .LBB595_94
; %bb.95:
	s_or_b32 exec_lo, exec_lo, s22
	s_xor_b32 s2, s20, -1
	s_delay_alu instid0(SALU_CYCLE_1) | instskip(SKIP_1) | instid1(SALU_CYCLE_1)
	v_cndmask_b32_e64 v22, 0, 1, s2
	s_xor_b32 s2, s21, -1
	v_cndmask_b32_e64 v23, 0, 1, s2
	s_xor_b32 s2, s17, -1
	s_delay_alu instid0(VALU_DEP_2) | instskip(SKIP_2) | instid1(VALU_DEP_2)
	v_lshlrev_b16 v22, 8, v22
	v_cndmask_b32_e64 v35, 0, 1, s2
	s_xor_b32 s2, s3, -1
	v_lshrrev_b32_e32 v22, 8, v22
	s_delay_alu instid0(VALU_DEP_1) | instskip(NEXT) | instid1(VALU_DEP_1)
	v_lshlrev_b16 v22, 8, v22
	v_or_b32_e32 v22, v23, v22
	s_delay_alu instid0(VALU_DEP_1)
	v_lshlrev_b32_e32 v22, 16, v22
	s_branch .LBB595_98
.LBB595_96:
	s_wait_kmcnt 0x0
                                        ; implicit-def: $sgpr2
                                        ; implicit-def: $vgpr35
                                        ; implicit-def: $vgpr25
                                        ; implicit-def: $vgpr24
                                        ; implicit-def: $vgpr23
                                        ; implicit-def: $vgpr36
                                        ; implicit-def: $vgpr22
	s_cbranch_execnz .LBB595_105
	s_branch .LBB595_138
.LBB595_97:
	v_dual_mov_b32 v22, 0 :: v_dual_mov_b32 v35, 0
	s_mov_b32 s2, 0
.LBB595_98:
	s_delay_alu instid0(VALU_DEP_1)
	v_dual_lshrrev_b32 v36, 16, v22 :: v_dual_lshrrev_b32 v22, 24, v22
	v_cndmask_b32_e64 v23, 0, 1, s2
	v_mov_b32_e32 v24, 1
	s_wait_kmcnt 0x0
	s_mov_b32 s4, 0
	s_wait_dscnt 0x0
	s_barrier_signal -1
	s_barrier_wait -1
                                        ; implicit-def: $sgpr2
                                        ; implicit-def: $vgpr25
	s_mov_b32 s3, exec_lo
	v_cmpx_ne_u32_e32 0, v0
	s_xor_b32 s5, exec_lo, s3
	s_cbranch_execz .LBB595_104
; %bb.99:
	v_lshlrev_b16 v25, 8, v22
	v_lshlrev_b16 v26, 8, v23
	s_and_not1_b32 vcc_lo, exec_lo, s7
	s_mov_b32 s2, 0
	s_delay_alu instid0(VALU_DEP_2) | instskip(NEXT) | instid1(VALU_DEP_1)
	v_bitop3_b16 v25, v36, v25, 0xff bitop3:0xec
	v_dual_lshlrev_b32 v25, 16, v25 :: v_dual_bitop2_b32 v26, 1, v26 bitop3:0x54
	s_delay_alu instid0(VALU_DEP_1) | instskip(NEXT) | instid1(VALU_DEP_1)
	v_and_b32_e32 v26, 0xffff, v26
	v_or_b32_e32 v25, v26, v25
	s_cbranch_vccnz .LBB595_103
; %bb.100:
	v_add_nc_u32_e32 v26, -8, v31
	v_mul_u64_e32 v[28:29], s[18:19], v[14:15]
	s_add_nc_u64 s[2:3], s[18:19], -1
	s_mov_b32 s17, 0
                                        ; implicit-def: $sgpr20
	ds_load_b64 v[26:27], v26
	s_wait_dscnt 0x0
	v_mul_u64_e32 v[26:27], s[18:19], v[26:27]
	v_lshl_add_u64 v[28:29], v[28:29], 3, s[8:9]
	s_delay_alu instid0(VALU_DEP_2)
	v_lshl_add_u64 v[26:27], v[26:27], 3, s[8:9]
.LBB595_101:                            ; =>This Inner Loop Header: Depth=1
	global_load_b64 v[32:33], v[26:27], off
	global_load_b64 v[38:39], v[28:29], off
	s_cmp_eq_u64 s[2:3], 0
	s_add_nc_u64 s[22:23], s[2:3], -1
	s_cselect_b32 s3, -1, 0
	s_wait_xcnt 0x1
	v_add_nc_u64_e32 v[26:27], 8, v[26:27]
	s_wait_xcnt 0x0
	v_add_nc_u64_e32 v[28:29], 8, v[28:29]
	s_wait_loadcnt 0x0
	v_cmp_ne_u64_e32 vcc_lo, v[32:33], v[38:39]
	v_cmp_eq_u64_e64 s2, v[32:33], v[38:39]
	s_or_b32 s3, vcc_lo, s3
	s_delay_alu instid0(SALU_CYCLE_1) | instskip(NEXT) | instid1(SALU_CYCLE_1)
	s_and_b32 s3, exec_lo, s3
	s_or_b32 s17, s3, s17
	s_and_not1_b32 s20, s20, exec_lo
	s_and_b32 s21, s2, exec_lo
	s_mov_b64 s[2:3], s[22:23]
	s_or_b32 s20, s20, s21
	s_and_not1_b32 exec_lo, exec_lo, s17
	s_cbranch_execnz .LBB595_101
; %bb.102:
	s_or_b32 exec_lo, exec_lo, s17
	s_xor_b32 s2, s20, -1
.LBB595_103:
	s_delay_alu instid0(VALU_DEP_1)
	v_perm_b32 v25, v25, v25, 0x3020104
	s_or_b32 s6, s6, exec_lo
.LBB595_104:
	s_or_b32 exec_lo, exec_lo, s5
	s_delay_alu instid0(SALU_CYCLE_1)
	s_and_b32 vcc_lo, exec_lo, s4
	s_cbranch_vccz .LBB595_138
.LBB595_105:
	v_add_nc_u32_e32 v22, 4, v30
	s_mov_b32 s4, 0
	s_mov_b32 s5, 0
	s_mov_b32 s17, exec_lo
	s_delay_alu instid0(VALU_DEP_1)
	v_cmpx_gt_u32_e64 s27, v22
	s_cbranch_execz .LBB595_111
; %bb.106:
	s_and_not1_b32 vcc_lo, exec_lo, s7
	s_mov_b32 s2, 0
	s_cbranch_vccnz .LBB595_110
; %bb.107:
	v_mul_u64_e32 v[22:23], s[18:19], v[12:13]
	v_mul_u64_e32 v[24:25], s[18:19], v[20:21]
	s_add_nc_u64 s[2:3], s[18:19], -1
                                        ; implicit-def: $sgpr20
	s_delay_alu instid0(VALU_DEP_2) | instskip(NEXT) | instid1(VALU_DEP_2)
	v_lshl_add_u64 v[22:23], v[22:23], 3, s[8:9]
	v_lshl_add_u64 v[24:25], v[24:25], 3, s[8:9]
.LBB595_108:                            ; =>This Inner Loop Header: Depth=1
	global_load_b64 v[26:27], v[22:23], off
	global_load_b64 v[28:29], v[24:25], off
	s_cmp_eq_u64 s[2:3], 0
	s_add_nc_u64 s[22:23], s[2:3], -1
	s_cselect_b32 s3, -1, 0
	s_wait_xcnt 0x1
	v_add_nc_u64_e32 v[22:23], 8, v[22:23]
	s_wait_xcnt 0x0
	v_add_nc_u64_e32 v[24:25], 8, v[24:25]
	s_wait_loadcnt 0x0
	v_cmp_ne_u64_e32 vcc_lo, v[26:27], v[28:29]
	v_cmp_eq_u64_e64 s2, v[26:27], v[28:29]
	s_or_b32 s3, vcc_lo, s3
	s_delay_alu instid0(SALU_CYCLE_1) | instskip(NEXT) | instid1(SALU_CYCLE_1)
	s_and_b32 s3, exec_lo, s3
	s_or_b32 s5, s3, s5
	s_and_not1_b32 s20, s20, exec_lo
	s_and_b32 s21, s2, exec_lo
	s_mov_b64 s[2:3], s[22:23]
	s_or_b32 s20, s20, s21
	s_and_not1_b32 exec_lo, exec_lo, s5
	s_cbranch_execnz .LBB595_108
; %bb.109:
	s_or_b32 exec_lo, exec_lo, s5
	s_xor_b32 s2, s20, -1
.LBB595_110:
	s_delay_alu instid0(SALU_CYCLE_1)
	s_and_b32 s5, s2, exec_lo
.LBB595_111:
	s_or_b32 exec_lo, exec_lo, s17
	v_add_nc_u32_e32 v22, 3, v30
	s_mov_b32 s17, exec_lo
	s_delay_alu instid0(VALU_DEP_1)
	v_cmpx_gt_u32_e64 s27, v22
	s_cbranch_execz .LBB595_117
; %bb.112:
	s_and_not1_b32 vcc_lo, exec_lo, s7
	s_mov_b32 s2, 0
	s_cbranch_vccnz .LBB595_116
; %bb.113:
	v_mul_u64_e32 v[22:23], s[18:19], v[10:11]
	v_mul_u64_e32 v[24:25], s[18:19], v[12:13]
	s_add_nc_u64 s[2:3], s[18:19], -1
	s_mov_b32 s4, 0
                                        ; implicit-def: $sgpr20
	s_delay_alu instid0(VALU_DEP_2) | instskip(NEXT) | instid1(VALU_DEP_2)
	v_lshl_add_u64 v[22:23], v[22:23], 3, s[8:9]
	v_lshl_add_u64 v[24:25], v[24:25], 3, s[8:9]
.LBB595_114:                            ; =>This Inner Loop Header: Depth=1
	global_load_b64 v[26:27], v[22:23], off
	global_load_b64 v[28:29], v[24:25], off
	s_cmp_eq_u64 s[2:3], 0
	s_add_nc_u64 s[22:23], s[2:3], -1
	s_cselect_b32 s3, -1, 0
	s_wait_xcnt 0x1
	v_add_nc_u64_e32 v[22:23], 8, v[22:23]
	s_wait_xcnt 0x0
	v_add_nc_u64_e32 v[24:25], 8, v[24:25]
	s_wait_loadcnt 0x0
	v_cmp_ne_u64_e32 vcc_lo, v[26:27], v[28:29]
	v_cmp_eq_u64_e64 s2, v[26:27], v[28:29]
	s_or_b32 s3, vcc_lo, s3
	s_delay_alu instid0(SALU_CYCLE_1) | instskip(NEXT) | instid1(SALU_CYCLE_1)
	s_and_b32 s3, exec_lo, s3
	s_or_b32 s4, s3, s4
	s_and_not1_b32 s20, s20, exec_lo
	s_and_b32 s21, s2, exec_lo
	s_mov_b64 s[2:3], s[22:23]
	s_or_b32 s20, s20, s21
	s_and_not1_b32 exec_lo, exec_lo, s4
	s_cbranch_execnz .LBB595_114
; %bb.115:
	s_or_b32 exec_lo, exec_lo, s4
	s_xor_b32 s2, s20, -1
.LBB595_116:
	s_delay_alu instid0(SALU_CYCLE_1)
	s_and_b32 s4, s2, exec_lo
.LBB595_117:
	s_or_b32 exec_lo, exec_lo, s17
	v_add_nc_u32_e32 v22, 2, v30
	s_mov_b32 s17, 0
	s_mov_b32 s20, 0
	s_mov_b32 s21, exec_lo
	s_delay_alu instid0(VALU_DEP_1)
	v_cmpx_gt_u32_e64 s27, v22
	s_cbranch_execz .LBB595_123
; %bb.118:
	s_and_not1_b32 vcc_lo, exec_lo, s7
	s_mov_b32 s2, 0
	s_cbranch_vccnz .LBB595_122
; %bb.119:
	v_mul_u64_e32 v[22:23], s[18:19], v[16:17]
	v_mul_u64_e32 v[24:25], s[18:19], v[10:11]
	s_add_nc_u64 s[2:3], s[18:19], -1
                                        ; implicit-def: $sgpr22
	s_delay_alu instid0(VALU_DEP_2) | instskip(NEXT) | instid1(VALU_DEP_2)
	v_lshl_add_u64 v[22:23], v[22:23], 3, s[8:9]
	v_lshl_add_u64 v[24:25], v[24:25], 3, s[8:9]
.LBB595_120:                            ; =>This Inner Loop Header: Depth=1
	global_load_b64 v[26:27], v[22:23], off
	global_load_b64 v[28:29], v[24:25], off
	s_cmp_eq_u64 s[2:3], 0
	s_add_nc_u64 s[30:31], s[2:3], -1
	s_cselect_b32 s3, -1, 0
	s_wait_xcnt 0x1
	v_add_nc_u64_e32 v[22:23], 8, v[22:23]
	s_wait_xcnt 0x0
	v_add_nc_u64_e32 v[24:25], 8, v[24:25]
	s_wait_loadcnt 0x0
	v_cmp_ne_u64_e32 vcc_lo, v[26:27], v[28:29]
	v_cmp_eq_u64_e64 s2, v[26:27], v[28:29]
	s_or_b32 s3, vcc_lo, s3
	s_delay_alu instid0(SALU_CYCLE_1) | instskip(NEXT) | instid1(SALU_CYCLE_1)
	s_and_b32 s3, exec_lo, s3
	s_or_b32 s20, s3, s20
	s_and_not1_b32 s22, s22, exec_lo
	s_and_b32 s23, s2, exec_lo
	s_mov_b64 s[2:3], s[30:31]
	s_or_b32 s22, s22, s23
	s_and_not1_b32 exec_lo, exec_lo, s20
	s_cbranch_execnz .LBB595_120
; %bb.121:
	s_or_b32 exec_lo, exec_lo, s20
	s_xor_b32 s2, s22, -1
.LBB595_122:
	s_delay_alu instid0(SALU_CYCLE_1)
	s_and_b32 s20, s2, exec_lo
.LBB595_123:
	s_or_b32 exec_lo, exec_lo, s21
	v_add_nc_u32_e32 v22, 1, v30
	s_mov_b32 s21, exec_lo
	s_delay_alu instid0(VALU_DEP_1)
	v_cmpx_gt_u32_e64 s27, v22
	s_cbranch_execz .LBB595_129
; %bb.124:
	s_and_not1_b32 vcc_lo, exec_lo, s7
	s_mov_b32 s2, 0
	s_cbranch_vccnz .LBB595_128
; %bb.125:
	v_mul_u64_e32 v[22:23], s[18:19], v[14:15]
	v_mul_u64_e32 v[24:25], s[18:19], v[16:17]
	s_add_nc_u64 s[2:3], s[18:19], -1
	s_mov_b32 s17, 0
                                        ; implicit-def: $sgpr22
	s_delay_alu instid0(VALU_DEP_2) | instskip(NEXT) | instid1(VALU_DEP_2)
	v_lshl_add_u64 v[22:23], v[22:23], 3, s[8:9]
	v_lshl_add_u64 v[24:25], v[24:25], 3, s[8:9]
.LBB595_126:                            ; =>This Inner Loop Header: Depth=1
	global_load_b64 v[26:27], v[22:23], off
	global_load_b64 v[28:29], v[24:25], off
	s_cmp_eq_u64 s[2:3], 0
	s_add_nc_u64 s[30:31], s[2:3], -1
	s_cselect_b32 s3, -1, 0
	s_wait_xcnt 0x1
	v_add_nc_u64_e32 v[22:23], 8, v[22:23]
	s_wait_xcnt 0x0
	v_add_nc_u64_e32 v[24:25], 8, v[24:25]
	s_wait_loadcnt 0x0
	v_cmp_ne_u64_e32 vcc_lo, v[26:27], v[28:29]
	v_cmp_eq_u64_e64 s2, v[26:27], v[28:29]
	s_or_b32 s3, vcc_lo, s3
	s_delay_alu instid0(SALU_CYCLE_1) | instskip(NEXT) | instid1(SALU_CYCLE_1)
	s_and_b32 s3, exec_lo, s3
	s_or_b32 s17, s3, s17
	s_and_not1_b32 s22, s22, exec_lo
	s_and_b32 s23, s2, exec_lo
	s_mov_b64 s[2:3], s[30:31]
	s_or_b32 s22, s22, s23
	s_and_not1_b32 exec_lo, exec_lo, s17
	s_cbranch_execnz .LBB595_126
; %bb.127:
	s_or_b32 exec_lo, exec_lo, s17
	s_xor_b32 s2, s22, -1
.LBB595_128:
	s_delay_alu instid0(SALU_CYCLE_1)
	s_and_b32 s17, s2, exec_lo
.LBB595_129:
	s_or_b32 exec_lo, exec_lo, s21
	v_cndmask_b32_e64 v35, 0, 1, s5
	v_cndmask_b32_e64 v36, 0, 1, s20
	;; [unrolled: 1-line block ×4, first 2 shown]
	v_mov_b32_e32 v24, 1
	s_mov_b32 s2, 0
	s_mov_b32 s4, exec_lo
	s_wait_dscnt 0x0
	s_barrier_signal -1
	s_barrier_wait -1
                                        ; implicit-def: $vgpr25
	v_cmpx_ne_u32_e32 0, v0
	s_cbranch_execz .LBB595_137
; %bb.130:
	v_lshlrev_b16 v25, 8, v23
	v_lshlrev_b16 v26, 8, v22
	s_mov_b32 s5, exec_lo
	s_delay_alu instid0(VALU_DEP_1) | instskip(NEXT) | instid1(VALU_DEP_1)
	v_or_b32_e32 v26, v36, v26
	v_dual_lshlrev_b32 v26, 16, v26 :: v_dual_bitop2_b32 v25, 1, v25 bitop3:0x54
	s_delay_alu instid0(VALU_DEP_1) | instskip(NEXT) | instid1(VALU_DEP_1)
	v_and_b32_e32 v25, 0xffff, v25
	v_or_b32_e32 v25, v25, v26
	v_cmpx_gt_u32_e64 s27, v30
	s_cbranch_execz .LBB595_136
; %bb.131:
	s_and_not1_b32 vcc_lo, exec_lo, s7
	s_cbranch_vccnz .LBB595_135
; %bb.132:
	v_add_nc_u32_e32 v26, -8, v31
	v_mul_u64_e32 v[28:29], s[18:19], v[14:15]
	s_add_nc_u64 s[2:3], s[18:19], -1
	s_mov_b32 s7, 0
	ds_load_b64 v[26:27], v26
	s_wait_dscnt 0x0
	v_mul_u64_e32 v[26:27], s[18:19], v[26:27]
	v_lshl_add_u64 v[28:29], v[28:29], 3, s[8:9]
	s_delay_alu instid0(VALU_DEP_2)
	v_lshl_add_u64 v[26:27], v[26:27], 3, s[8:9]
                                        ; implicit-def: $sgpr8
.LBB595_133:                            ; =>This Inner Loop Header: Depth=1
	global_load_b64 v[32:33], v[26:27], off
	global_load_b64 v[38:39], v[28:29], off
	s_cmp_eq_u64 s[2:3], 0
	s_add_nc_u64 s[18:19], s[2:3], -1
	s_cselect_b32 s3, -1, 0
	s_wait_xcnt 0x1
	v_add_nc_u64_e32 v[26:27], 8, v[26:27]
	s_wait_xcnt 0x0
	v_add_nc_u64_e32 v[28:29], 8, v[28:29]
	s_wait_loadcnt 0x0
	v_cmp_ne_u64_e32 vcc_lo, v[32:33], v[38:39]
	v_cmp_eq_u64_e64 s2, v[32:33], v[38:39]
	s_or_b32 s3, vcc_lo, s3
	s_delay_alu instid0(SALU_CYCLE_1) | instskip(NEXT) | instid1(SALU_CYCLE_1)
	s_and_b32 s3, exec_lo, s3
	s_or_b32 s7, s3, s7
	s_and_not1_b32 s8, s8, exec_lo
	s_and_b32 s9, s2, exec_lo
	s_mov_b64 s[2:3], s[18:19]
	s_or_b32 s8, s8, s9
	s_and_not1_b32 exec_lo, exec_lo, s7
	s_cbranch_execnz .LBB595_133
; %bb.134:
	s_or_b32 exec_lo, exec_lo, s7
	s_xor_b32 s2, s8, -1
.LBB595_135:
	s_delay_alu instid0(SALU_CYCLE_1)
	s_and_b32 s2, s2, exec_lo
.LBB595_136:
	s_or_b32 exec_lo, exec_lo, s5
	s_delay_alu instid0(VALU_DEP_2)
	v_perm_b32 v25, v25, v25, 0x3020104
	s_or_b32 s6, s6, exec_lo
.LBB595_137:
	s_or_b32 exec_lo, exec_lo, s4
.LBB595_138:
	s_and_saveexec_b32 s3, s6
	s_cbranch_execz .LBB595_140
; %bb.139:
	s_wait_dscnt 0x0
	v_dual_lshrrev_b32 v22, 24, v25 :: v_dual_lshrrev_b32 v36, 16, v25
	v_lshrrev_b32_e32 v23, 8, v25
	v_cndmask_b32_e64 v24, 0, 1, s2
.LBB595_140:
	s_or_b32 exec_lo, exec_lo, s3
	s_delay_alu instid0(SALU_CYCLE_1)
	s_and_not1_b32 vcc_lo, exec_lo, s28
	s_cbranch_vccnz .LBB595_144
; %bb.141:
	s_wait_dscnt 0x0
	v_perm_b32 v23, v24, v23, 0xc0c0004
	v_perm_b32 v22, v36, v22, 0xc0c0004
	v_cmp_gt_u32_e32 vcc_lo, s27, v30
	v_dual_add_nc_u32 v24, 1, v30 :: v_dual_add_nc_u32 v26, 4, v30
	v_and_b32_e32 v35, 0xff, v35
	s_delay_alu instid0(VALU_DEP_4) | instskip(SKIP_1) | instid1(VALU_DEP_2)
	v_lshl_or_b32 v22, v22, 16, v23
	s_mov_b32 s2, exec_lo
	v_and_b32_e32 v25, 0xffff, v35
	s_delay_alu instid0(VALU_DEP_2) | instskip(SKIP_2) | instid1(VALU_DEP_3)
	v_cndmask_b32_e32 v23, 0, v22, vcc_lo
	v_cmp_gt_u32_e32 vcc_lo, s27, v24
	v_add_nc_u32_e32 v24, 2, v30
	v_and_b32_e32 v23, 0xff, v23
	s_delay_alu instid0(VALU_DEP_1) | instskip(NEXT) | instid1(VALU_DEP_3)
	v_cndmask_b32_e32 v23, v23, v22, vcc_lo
	v_cmp_gt_u32_e32 vcc_lo, s27, v24
	v_add_nc_u32_e32 v24, 3, v30
	s_delay_alu instid0(VALU_DEP_3) | instskip(NEXT) | instid1(VALU_DEP_1)
	v_and_b32_e32 v23, 0xffff, v23
	v_cndmask_b32_e32 v23, v23, v22, vcc_lo
	s_delay_alu instid0(VALU_DEP_3) | instskip(NEXT) | instid1(VALU_DEP_2)
	v_cmp_gt_u32_e32 vcc_lo, s27, v24
	v_and_b32_e32 v23, 0xffffff, v23
	s_delay_alu instid0(VALU_DEP_1) | instskip(NEXT) | instid1(VALU_DEP_1)
	v_cndmask_b32_e32 v24, v23, v22, vcc_lo
	v_lshrrev_b64 v[22:23], 24, v[24:25]
	v_dual_lshrrev_b32 v36, 16, v24 :: v_dual_lshrrev_b32 v23, 8, v24
	v_cmpx_le_u32_e64 s27, v26
; %bb.142:
	v_mov_b32_e32 v35, 0
; %bb.143:
	s_or_b32 exec_lo, exec_lo, s2
.LBB595_144:
	s_delay_alu instid0(VALU_DEP_1)
	v_and_b32_e32 v25, 0xff, v24
	s_wait_dscnt 0x0
	v_and_b32_e32 v37, 0xff, v23
	v_and_b32_e32 v38, 0xff, v36
	v_mbcnt_lo_u32_b32 v40, -1, 0
	v_and_b32_e32 v39, 0xff, v22
	v_and_b32_e32 v26, 0xff, v35
	s_wait_kmcnt 0x0
	v_readfirstlane_b32 s8, v0
	v_add3_u32 v27, v37, v25, v38
	v_and_b32_e32 v28, 15, v40
	s_and_b32 vcc_lo, exec_lo, s16
	v_lshrrev_b32_e32 v41, 5, v0
	s_mov_b32 s9, -1
	v_add3_u32 v42, v27, v39, v26
	v_and_b32_e32 v26, 16, v40
	v_or_b32_e32 v27, 31, v0
	v_cmp_eq_u32_e64 s4, 0, v28
	v_cmp_lt_u32_e64 s6, 1, v28
	v_cmp_lt_u32_e64 s7, 3, v28
	;; [unrolled: 1-line block ×3, first 2 shown]
	v_cmp_eq_u32_e64 s3, 0, v26
	v_cmp_eq_u32_e64 s2, v0, v27
	s_barrier_signal -1
	s_barrier_wait -1
                                        ; implicit-def: $vgpr28
                                        ; implicit-def: $vgpr29
                                        ; implicit-def: $vgpr30
                                        ; implicit-def: $vgpr31
                                        ; implicit-def: $vgpr32
                                        ; implicit-def: $vgpr26
	s_cbranch_vccz .LBB595_171
; %bb.145:
	v_mov_b32_dpp v26, v42 row_shr:1 row_mask:0xf bank_mask:0xf
	s_delay_alu instid0(VALU_DEP_1) | instskip(NEXT) | instid1(VALU_DEP_1)
	v_cndmask_b32_e64 v26, v26, 0, s4
	v_add_nc_u32_e32 v26, v26, v42
	s_delay_alu instid0(VALU_DEP_1) | instskip(NEXT) | instid1(VALU_DEP_1)
	v_mov_b32_dpp v27, v26 row_shr:2 row_mask:0xf bank_mask:0xf
	v_cndmask_b32_e64 v27, 0, v27, s6
	s_delay_alu instid0(VALU_DEP_1) | instskip(NEXT) | instid1(VALU_DEP_1)
	v_add_nc_u32_e32 v26, v26, v27
	v_mov_b32_dpp v27, v26 row_shr:4 row_mask:0xf bank_mask:0xf
	s_delay_alu instid0(VALU_DEP_1) | instskip(NEXT) | instid1(VALU_DEP_1)
	v_cndmask_b32_e64 v27, 0, v27, s7
	v_add_nc_u32_e32 v26, v26, v27
	s_delay_alu instid0(VALU_DEP_1) | instskip(NEXT) | instid1(VALU_DEP_1)
	v_mov_b32_dpp v27, v26 row_shr:8 row_mask:0xf bank_mask:0xf
	v_cndmask_b32_e64 v27, 0, v27, s5
	s_delay_alu instid0(VALU_DEP_1) | instskip(SKIP_3) | instid1(VALU_DEP_1)
	v_add_nc_u32_e32 v26, v26, v27
	ds_swizzle_b32 v27, v26 offset:swizzle(BROADCAST,32,15)
	s_wait_dscnt 0x0
	v_cndmask_b32_e64 v27, v27, 0, s3
	v_add_nc_u32_e32 v26, v26, v27
	s_and_saveexec_b32 s8, s2
; %bb.146:
	v_lshlrev_b32_e32 v27, 2, v41
	ds_store_b32 v27, v26
; %bb.147:
	s_or_b32 exec_lo, exec_lo, s8
	s_delay_alu instid0(SALU_CYCLE_1)
	s_mov_b32 s8, exec_lo
	s_wait_dscnt 0x0
	s_barrier_signal -1
	s_barrier_wait -1
	v_cmpx_gt_u32_e32 4, v0
	s_cbranch_execz .LBB595_149
; %bb.148:
	v_and_b32_e32 v29, 3, v40
	s_delay_alu instid0(VALU_DEP_1) | instskip(SKIP_4) | instid1(VALU_DEP_1)
	v_cmp_ne_u32_e32 vcc_lo, 0, v29
	v_lshlrev_b32_e32 v27, 2, v0
	ds_load_b32 v28, v27
	s_wait_dscnt 0x0
	v_mov_b32_dpp v30, v28 row_shr:1 row_mask:0xf bank_mask:0xf
	v_cndmask_b32_e32 v30, 0, v30, vcc_lo
	v_cmp_lt_u32_e32 vcc_lo, 1, v29
	s_delay_alu instid0(VALU_DEP_2) | instskip(NEXT) | instid1(VALU_DEP_1)
	v_add_nc_u32_e32 v28, v30, v28
	v_mov_b32_dpp v30, v28 row_shr:2 row_mask:0xf bank_mask:0xf
	s_delay_alu instid0(VALU_DEP_1) | instskip(NEXT) | instid1(VALU_DEP_1)
	v_cndmask_b32_e32 v29, 0, v30, vcc_lo
	v_add_nc_u32_e32 v28, v28, v29
	ds_store_b32 v27, v28
.LBB595_149:
	s_or_b32 exec_lo, exec_lo, s8
	s_delay_alu instid0(SALU_CYCLE_1)
	s_mov_b32 s9, exec_lo
	v_cmp_gt_u32_e32 vcc_lo, 32, v0
	s_wait_dscnt 0x0
	s_barrier_signal -1
	s_barrier_wait -1
                                        ; implicit-def: $vgpr43
	v_cmpx_lt_u32_e32 31, v0
	s_cbranch_execz .LBB595_151
; %bb.150:
	v_lshl_add_u32 v27, v41, 2, -4
	ds_load_b32 v43, v27
	s_wait_dscnt 0x0
	v_add_nc_u32_e32 v26, v43, v26
.LBB595_151:
	s_or_b32 exec_lo, exec_lo, s9
	v_sub_co_u32 v27, s8, v40, 1
	s_delay_alu instid0(VALU_DEP_1) | instskip(NEXT) | instid1(VALU_DEP_1)
	v_cmp_gt_i32_e64 s9, 0, v27
	v_cndmask_b32_e64 v27, v27, v40, s9
	s_delay_alu instid0(VALU_DEP_1)
	v_lshlrev_b32_e32 v27, 2, v27
	ds_bpermute_b32 v44, v27, v26
	s_and_saveexec_b32 s9, vcc_lo
	s_cbranch_execz .LBB595_170
; %bb.152:
	v_mov_b32_e32 v33, 0
	ds_load_b32 v26, v33 offset:12
	s_and_saveexec_b32 s16, s8
	s_cbranch_execz .LBB595_154
; %bb.153:
	s_add_co_i32 s17, s26, 32
	s_delay_alu instid0(SALU_CYCLE_1)
	v_dual_mov_b32 v27, 1 :: v_dual_mov_b32 v28, s17
	s_wait_dscnt 0x0
	global_store_b64 v28, v[26:27], s[10:11] scale_offset scope:SCOPE_DEV
.LBB595_154:
	s_wait_xcnt 0x0
	s_or_b32 exec_lo, exec_lo, s16
	v_xad_u32 v28, v40, -1, s26
	s_mov_b32 s17, 0
	s_mov_b32 s16, exec_lo
	s_delay_alu instid0(VALU_DEP_1) | instskip(SKIP_4) | instid1(VALU_DEP_1)
	v_add_nc_u32_e32 v32, 32, v28
	global_load_b64 v[30:31], v32, s[10:11] scale_offset scope:SCOPE_DEV
	s_wait_loadcnt 0x0
	v_and_b32_e32 v27, 0xff, v31
	s_wait_xcnt 0x0
	v_cmpx_eq_u16_e32 0, v27
	s_cbranch_execz .LBB595_158
; %bb.155:
	v_lshl_add_u64 v[32:33], v[32:33], 3, s[10:11]
.LBB595_156:                            ; =>This Inner Loop Header: Depth=1
	global_load_b64 v[30:31], v[32:33], off scope:SCOPE_DEV
	s_wait_loadcnt 0x0
	v_and_b32_e32 v27, 0xff, v31
	s_delay_alu instid0(VALU_DEP_1)
	v_cmp_ne_u16_e32 vcc_lo, 0, v27
	s_or_b32 s17, vcc_lo, s17
	s_wait_xcnt 0x0
	s_and_not1_b32 exec_lo, exec_lo, s17
	s_cbranch_execnz .LBB595_156
; %bb.157:
	s_or_b32 exec_lo, exec_lo, s17
.LBB595_158:
	s_delay_alu instid0(SALU_CYCLE_1)
	s_or_b32 exec_lo, exec_lo, s16
	v_cmp_ne_u32_e32 vcc_lo, 31, v40
	v_lshlrev_b32_e64 v46, v40, -1
	v_lshl_or_b32 v53, v40, 2, 64
	v_dual_add_nc_u32 v48, 2, v40 :: v_dual_add_nc_u32 v50, 4, v40
	v_add_co_ci_u32_e64 v27, null, 0, v40, vcc_lo
	v_dual_add_nc_u32 v52, 8, v40 :: v_dual_add_nc_u32 v54, 16, v40
	s_delay_alu instid0(VALU_DEP_2)
	v_lshlrev_b32_e32 v45, 2, v27
	v_and_b32_e32 v27, 0xff, v31
	ds_bpermute_b32 v29, v45, v30
	v_cmp_eq_u16_e32 vcc_lo, 2, v27
	v_and_or_b32 v27, vcc_lo, v46, 0x80000000
	v_cmp_gt_u32_e32 vcc_lo, 30, v40
	s_delay_alu instid0(VALU_DEP_2) | instskip(SKIP_1) | instid1(VALU_DEP_2)
	v_ctz_i32_b32_e32 v27, v27
	v_cndmask_b32_e64 v32, 0, 2, vcc_lo
	v_cmp_lt_u32_e32 vcc_lo, v40, v27
	s_delay_alu instid0(VALU_DEP_2) | instskip(SKIP_3) | instid1(VALU_DEP_2)
	v_add_lshl_u32 v47, v32, v40, 2
	s_wait_dscnt 0x0
	v_cndmask_b32_e32 v29, 0, v29, vcc_lo
	v_cmp_gt_u32_e32 vcc_lo, 28, v40
	v_add_nc_u32_e32 v29, v29, v30
	v_cndmask_b32_e64 v32, 0, 4, vcc_lo
	v_cmp_le_u32_e32 vcc_lo, v48, v27
	ds_bpermute_b32 v30, v47, v29
	v_add_lshl_u32 v49, v32, v40, 2
	s_wait_dscnt 0x0
	v_cndmask_b32_e32 v30, 0, v30, vcc_lo
	v_cmp_gt_u32_e32 vcc_lo, 24, v40
	v_cndmask_b32_e64 v32, 0, 8, vcc_lo
	v_cmp_le_u32_e32 vcc_lo, v50, v27
	s_delay_alu instid0(VALU_DEP_4) | instskip(NEXT) | instid1(VALU_DEP_3)
	v_add_nc_u32_e32 v29, v29, v30
	v_add_lshl_u32 v51, v32, v40, 2
	ds_bpermute_b32 v30, v49, v29
	s_wait_dscnt 0x0
	v_cndmask_b32_e32 v30, 0, v30, vcc_lo
	v_cmp_le_u32_e32 vcc_lo, v52, v27
	s_delay_alu instid0(VALU_DEP_2) | instskip(SKIP_4) | instid1(VALU_DEP_2)
	v_add_nc_u32_e32 v29, v29, v30
	ds_bpermute_b32 v30, v51, v29
	s_wait_dscnt 0x0
	v_cndmask_b32_e32 v30, 0, v30, vcc_lo
	v_cmp_le_u32_e32 vcc_lo, v54, v27
	v_add_nc_u32_e32 v29, v29, v30
	ds_bpermute_b32 v30, v53, v29
	s_wait_dscnt 0x0
	v_cndmask_b32_e32 v27, 0, v30, vcc_lo
	s_delay_alu instid0(VALU_DEP_1)
	v_dual_mov_b32 v29, 0 :: v_dual_add_nc_u32 v30, v29, v27
	s_branch .LBB595_161
.LBB595_159:                            ;   in Loop: Header=BB595_161 Depth=1
	s_or_b32 exec_lo, exec_lo, s16
	v_and_b32_e32 v32, 0xff, v31
	ds_bpermute_b32 v33, v45, v30
	v_subrev_nc_u32_e32 v28, 32, v28
	s_mov_b32 s16, 0
	v_cmp_eq_u16_e32 vcc_lo, 2, v32
	v_and_or_b32 v32, vcc_lo, v46, 0x80000000
	s_delay_alu instid0(VALU_DEP_1) | instskip(NEXT) | instid1(VALU_DEP_1)
	v_ctz_i32_b32_e32 v32, v32
	v_cmp_lt_u32_e32 vcc_lo, v40, v32
	s_wait_dscnt 0x0
	v_cndmask_b32_e32 v33, 0, v33, vcc_lo
	v_cmp_le_u32_e32 vcc_lo, v48, v32
	s_delay_alu instid0(VALU_DEP_2) | instskip(SKIP_4) | instid1(VALU_DEP_2)
	v_add_nc_u32_e32 v30, v33, v30
	ds_bpermute_b32 v33, v47, v30
	s_wait_dscnt 0x0
	v_cndmask_b32_e32 v33, 0, v33, vcc_lo
	v_cmp_le_u32_e32 vcc_lo, v50, v32
	v_add_nc_u32_e32 v30, v30, v33
	ds_bpermute_b32 v33, v49, v30
	s_wait_dscnt 0x0
	v_cndmask_b32_e32 v33, 0, v33, vcc_lo
	v_cmp_le_u32_e32 vcc_lo, v52, v32
	s_delay_alu instid0(VALU_DEP_2) | instskip(SKIP_4) | instid1(VALU_DEP_2)
	v_add_nc_u32_e32 v30, v30, v33
	ds_bpermute_b32 v33, v51, v30
	s_wait_dscnt 0x0
	v_cndmask_b32_e32 v33, 0, v33, vcc_lo
	v_cmp_le_u32_e32 vcc_lo, v54, v32
	v_add_nc_u32_e32 v30, v30, v33
	ds_bpermute_b32 v33, v53, v30
	s_wait_dscnt 0x0
	v_cndmask_b32_e32 v32, 0, v33, vcc_lo
	s_delay_alu instid0(VALU_DEP_1)
	v_add3_u32 v30, v32, v27, v30
.LBB595_160:                            ;   in Loop: Header=BB595_161 Depth=1
	s_and_b32 vcc_lo, exec_lo, s16
	s_cbranch_vccnz .LBB595_166
.LBB595_161:                            ; =>This Loop Header: Depth=1
                                        ;     Child Loop BB595_164 Depth 2
	v_and_b32_e32 v27, 0xff, v31
	s_mov_b32 s16, -1
                                        ; implicit-def: $vgpr31
	s_delay_alu instid0(VALU_DEP_1)
	v_cmp_ne_u16_e32 vcc_lo, 2, v27
	v_mov_b32_e32 v27, v30
                                        ; implicit-def: $vgpr30
	s_cmp_lg_u32 vcc_lo, exec_lo
	s_cbranch_scc1 .LBB595_160
; %bb.162:                              ;   in Loop: Header=BB595_161 Depth=1
	global_load_b64 v[30:31], v28, s[10:11] scale_offset scope:SCOPE_DEV
	s_mov_b32 s16, exec_lo
	s_wait_loadcnt 0x0
	v_and_b32_e32 v32, 0xff, v31
	s_wait_xcnt 0x0
	s_delay_alu instid0(VALU_DEP_1)
	v_cmpx_eq_u16_e32 0, v32
	s_cbranch_execz .LBB595_159
; %bb.163:                              ;   in Loop: Header=BB595_161 Depth=1
	v_lshl_add_u64 v[32:33], v[28:29], 3, s[10:11]
	s_mov_b32 s17, 0
.LBB595_164:                            ;   Parent Loop BB595_161 Depth=1
                                        ; =>  This Inner Loop Header: Depth=2
	global_load_b64 v[30:31], v[32:33], off scope:SCOPE_DEV
	s_wait_loadcnt 0x0
	v_and_b32_e32 v55, 0xff, v31
	s_delay_alu instid0(VALU_DEP_1)
	v_cmp_ne_u16_e32 vcc_lo, 0, v55
	s_or_b32 s17, vcc_lo, s17
	s_wait_xcnt 0x0
	s_and_not1_b32 exec_lo, exec_lo, s17
	s_cbranch_execnz .LBB595_164
; %bb.165:                              ;   in Loop: Header=BB595_161 Depth=1
	s_or_b32 exec_lo, exec_lo, s17
	s_branch .LBB595_159
.LBB595_166:
	s_and_saveexec_b32 s16, s8
	s_cbranch_execz .LBB595_168
; %bb.167:
	s_add_co_i32 s17, s26, 32
	v_dual_mov_b32 v29, 2 :: v_dual_add_nc_u32 v28, v27, v26
	v_dual_mov_b32 v30, s17 :: v_dual_mov_b32 v31, 0
	global_store_b64 v30, v[28:29], s[10:11] scale_offset scope:SCOPE_DEV
	ds_store_b64 v31, v[26:27] offset:5120
.LBB595_168:
	s_wait_xcnt 0x0
	s_or_b32 exec_lo, exec_lo, s16
	v_cmp_eq_u32_e32 vcc_lo, 0, v0
	s_and_b32 exec_lo, exec_lo, vcc_lo
; %bb.169:
	v_mov_b32_e32 v26, 0
	ds_store_b32 v26, v27 offset:12
.LBB595_170:
	s_or_b32 exec_lo, exec_lo, s9
	s_wait_dscnt 0x0
	v_dual_mov_b32 v26, 0 :: v_dual_cndmask_b32 v28, v44, v43, s8
	s_wait_storecnt 0x0
	s_barrier_signal -1
	s_barrier_wait -1
	ds_load_b32 v27, v26 offset:12
	v_cmp_ne_u32_e32 vcc_lo, 0, v0
	s_wait_dscnt 0x0
	s_barrier_signal -1
	s_barrier_wait -1
	v_cndmask_b32_e32 v28, 0, v28, vcc_lo
	s_mov_b32 s9, 0
	s_delay_alu instid0(VALU_DEP_1) | instskip(SKIP_2) | instid1(VALU_DEP_1)
	v_add_nc_u32_e32 v32, v27, v28
	ds_load_b64 v[26:27], v26 offset:5120
	v_add_nc_u32_e32 v31, v32, v25
	v_add_nc_u32_e32 v30, v31, v37
	s_delay_alu instid0(VALU_DEP_1) | instskip(NEXT) | instid1(VALU_DEP_1)
	v_add_nc_u32_e32 v29, v30, v38
	v_add_nc_u32_e32 v28, v29, v39
	s_wait_dscnt 0x0
	v_readfirstlane_b32 s8, v27
.LBB595_171:
	s_and_b32 vcc_lo, exec_lo, s9
	s_cbranch_vccz .LBB595_181
; %bb.172:
	v_mov_b32_dpp v26, v42 row_shr:1 row_mask:0xf bank_mask:0xf
	s_delay_alu instid0(VALU_DEP_1) | instskip(NEXT) | instid1(VALU_DEP_1)
	v_cndmask_b32_e64 v26, v26, 0, s4
	v_add_nc_u32_e32 v26, v26, v42
	s_delay_alu instid0(VALU_DEP_1) | instskip(NEXT) | instid1(VALU_DEP_1)
	v_mov_b32_dpp v27, v26 row_shr:2 row_mask:0xf bank_mask:0xf
	v_cndmask_b32_e64 v27, 0, v27, s6
	s_delay_alu instid0(VALU_DEP_1) | instskip(NEXT) | instid1(VALU_DEP_1)
	v_add_nc_u32_e32 v26, v26, v27
	v_mov_b32_dpp v27, v26 row_shr:4 row_mask:0xf bank_mask:0xf
	s_delay_alu instid0(VALU_DEP_1) | instskip(NEXT) | instid1(VALU_DEP_1)
	v_cndmask_b32_e64 v27, 0, v27, s7
	v_add_nc_u32_e32 v26, v26, v27
	s_delay_alu instid0(VALU_DEP_1) | instskip(NEXT) | instid1(VALU_DEP_1)
	v_mov_b32_dpp v27, v26 row_shr:8 row_mask:0xf bank_mask:0xf
	v_cndmask_b32_e64 v27, 0, v27, s5
	s_delay_alu instid0(VALU_DEP_1) | instskip(SKIP_3) | instid1(VALU_DEP_1)
	v_add_nc_u32_e32 v26, v26, v27
	ds_swizzle_b32 v27, v26 offset:swizzle(BROADCAST,32,15)
	s_wait_dscnt 0x0
	v_cndmask_b32_e64 v27, v27, 0, s3
	v_add_nc_u32_e32 v26, v26, v27
	s_and_saveexec_b32 s3, s2
; %bb.173:
	v_lshlrev_b32_e32 v27, 2, v41
	ds_store_b32 v27, v26
; %bb.174:
	s_or_b32 exec_lo, exec_lo, s3
	s_delay_alu instid0(SALU_CYCLE_1)
	s_mov_b32 s2, exec_lo
	s_wait_dscnt 0x0
	s_barrier_signal -1
	s_barrier_wait -1
	v_cmpx_gt_u32_e32 4, v0
	s_cbranch_execz .LBB595_176
; %bb.175:
	v_and_b32_e32 v29, 3, v40
	s_delay_alu instid0(VALU_DEP_1) | instskip(SKIP_4) | instid1(VALU_DEP_1)
	v_cmp_ne_u32_e32 vcc_lo, 0, v29
	v_lshlrev_b32_e32 v27, 2, v0
	ds_load_b32 v28, v27
	s_wait_dscnt 0x0
	v_mov_b32_dpp v30, v28 row_shr:1 row_mask:0xf bank_mask:0xf
	v_cndmask_b32_e32 v30, 0, v30, vcc_lo
	v_cmp_lt_u32_e32 vcc_lo, 1, v29
	s_delay_alu instid0(VALU_DEP_2) | instskip(NEXT) | instid1(VALU_DEP_1)
	v_add_nc_u32_e32 v28, v30, v28
	v_mov_b32_dpp v30, v28 row_shr:2 row_mask:0xf bank_mask:0xf
	s_delay_alu instid0(VALU_DEP_1) | instskip(NEXT) | instid1(VALU_DEP_1)
	v_cndmask_b32_e32 v29, 0, v30, vcc_lo
	v_add_nc_u32_e32 v28, v28, v29
	ds_store_b32 v27, v28
.LBB595_176:
	s_or_b32 exec_lo, exec_lo, s2
	v_dual_mov_b32 v27, 0 :: v_dual_mov_b32 v28, 0
	s_mov_b32 s2, exec_lo
	s_wait_dscnt 0x0
	s_barrier_signal -1
	s_barrier_wait -1
	v_cmpx_lt_u32_e32 31, v0
; %bb.177:
	v_lshl_add_u32 v28, v41, 2, -4
	ds_load_b32 v28, v28
; %bb.178:
	s_or_b32 exec_lo, exec_lo, s2
	v_sub_co_u32 v29, vcc_lo, v40, 1
	s_mov_b32 s8, 0
	s_wait_dscnt 0x0
	v_add_nc_u32_e32 v26, v28, v26
	v_cmp_gt_i32_e64 s2, 0, v29
	s_delay_alu instid0(VALU_DEP_1) | instskip(SKIP_1) | instid1(VALU_DEP_2)
	v_cndmask_b32_e64 v29, v29, v40, s2
	v_cmp_eq_u32_e64 s2, 0, v0
	v_lshlrev_b32_e32 v29, 2, v29
	ds_bpermute_b32 v29, v29, v26
	ds_load_b32 v26, v27 offset:12
	s_and_saveexec_b32 s3, s2
	s_cbranch_execz .LBB595_180
; %bb.179:
	v_dual_mov_b32 v30, 0 :: v_dual_mov_b32 v27, 2
	s_wait_dscnt 0x0
	global_store_b64 v30, v[26:27], s[10:11] offset:256 scope:SCOPE_DEV
.LBB595_180:
	s_wait_xcnt 0x0
	s_or_b32 exec_lo, exec_lo, s3
	s_wait_dscnt 0x1
	v_cndmask_b32_e32 v27, v29, v28, vcc_lo
	s_wait_storecnt_dscnt 0x0
	s_barrier_signal -1
	s_barrier_wait -1
	s_delay_alu instid0(VALU_DEP_1) | instskip(NEXT) | instid1(VALU_DEP_1)
	v_cndmask_b32_e64 v32, v27, 0, s2
	v_add_nc_u32_e32 v31, v32, v25
	s_delay_alu instid0(VALU_DEP_1) | instskip(NEXT) | instid1(VALU_DEP_1)
	v_add_nc_u32_e32 v30, v31, v37
	v_add_nc_u32_e32 v29, v30, v38
	s_delay_alu instid0(VALU_DEP_1)
	v_add_nc_u32_e32 v28, v29, v39
.LBB595_181:
	s_load_b128 s[4:7], s[0:1], 0x28
	s_delay_alu instid0(VALU_DEP_1)
	v_dual_add_nc_u32 v25, s8, v26 :: v_dual_bitop2_b32 v24, 1, v24 bitop3:0x40
	s_wait_xcnt 0x0
	v_cmp_gt_u32_e64 s0, 0x81, v26
	s_mov_b32 s3, -1
	v_cmp_lt_u32_e64 s1, v32, v25
	v_cmp_eq_u32_e64 s2, 1, v24
	s_and_b32 vcc_lo, exec_lo, s0
	s_cbranch_vccz .LBB595_193
; %bb.182:
	s_or_b32 s1, s25, s1
	s_delay_alu instid0(SALU_CYCLE_1) | instskip(NEXT) | instid1(SALU_CYCLE_1)
	s_and_b32 s2, s1, s2
	s_and_saveexec_b32 s1, s2
	s_cbranch_execz .LBB595_184
; %bb.183:
	s_lshl_b64 s[2:3], s[14:15], 3
	s_wait_kmcnt 0x0
	s_add_nc_u64 s[2:3], s[4:5], s[2:3]
	global_store_b64 v32, v[14:15], s[2:3] scale_offset
.LBB595_184:
	s_wait_xcnt 0x0
	s_or_b32 exec_lo, exec_lo, s1
	v_and_b32_e32 v27, 1, v23
	v_cmp_lt_u32_e32 vcc_lo, v31, v25
	s_delay_alu instid0(VALU_DEP_2) | instskip(SKIP_1) | instid1(SALU_CYCLE_1)
	v_cmp_eq_u32_e64 s1, 1, v27
	s_or_b32 s2, s25, vcc_lo
	s_and_b32 s2, s2, s1
	s_delay_alu instid0(SALU_CYCLE_1)
	s_and_saveexec_b32 s1, s2
	s_cbranch_execz .LBB595_186
; %bb.185:
	s_lshl_b64 s[2:3], s[14:15], 3
	s_wait_kmcnt 0x0
	s_add_nc_u64 s[2:3], s[4:5], s[2:3]
	global_store_b64 v31, v[16:17], s[2:3] scale_offset
.LBB595_186:
	s_wait_xcnt 0x0
	s_or_b32 exec_lo, exec_lo, s1
	v_and_b32_e32 v27, 1, v36
	v_cmp_lt_u32_e32 vcc_lo, v30, v25
	s_delay_alu instid0(VALU_DEP_2) | instskip(SKIP_1) | instid1(SALU_CYCLE_1)
	v_cmp_eq_u32_e64 s1, 1, v27
	s_or_b32 s2, s25, vcc_lo
	s_and_b32 s2, s2, s1
	s_delay_alu instid0(SALU_CYCLE_1)
	;; [unrolled: 17-line block ×4, first 2 shown]
	s_and_saveexec_b32 s1, s2
	s_cbranch_execz .LBB595_192
; %bb.191:
	s_lshl_b64 s[2:3], s[14:15], 3
	s_wait_kmcnt 0x0
	s_add_nc_u64 s[2:3], s[4:5], s[2:3]
	global_store_b64 v28, v[20:21], s[2:3] scale_offset
.LBB595_192:
	s_wait_xcnt 0x0
	s_or_b32 exec_lo, exec_lo, s1
	s_mov_b32 s3, 0
.LBB595_193:
	s_delay_alu instid0(SALU_CYCLE_1)
	s_and_b32 vcc_lo, exec_lo, s3
	s_cbranch_vccz .LBB595_207
; %bb.194:
	s_mov_b32 s1, exec_lo
	v_cmpx_eq_u32_e32 1, v24
; %bb.195:
	v_subrev_nc_u32_e32 v27, s8, v32
	s_delay_alu instid0(VALU_DEP_1)
	v_lshlrev_b32_e32 v27, 3, v27
	ds_store_b64 v27, v[14:15]
; %bb.196:
	s_or_b32 exec_lo, exec_lo, s1
	v_and_b32_e32 v14, 1, v23
	s_mov_b32 s1, exec_lo
	s_delay_alu instid0(VALU_DEP_1)
	v_cmpx_eq_u32_e32 1, v14
; %bb.197:
	v_subrev_nc_u32_e32 v14, s8, v31
	s_delay_alu instid0(VALU_DEP_1)
	v_lshlrev_b32_e32 v14, 3, v14
	ds_store_b64 v14, v[16:17]
; %bb.198:
	s_or_b32 exec_lo, exec_lo, s1
	v_and_b32_e32 v14, 1, v36
	s_mov_b32 s1, exec_lo
	s_delay_alu instid0(VALU_DEP_1)
	;; [unrolled: 11-line block ×4, first 2 shown]
	v_cmpx_eq_u32_e32 1, v10
; %bb.203:
	v_subrev_nc_u32_e32 v10, s8, v28
	s_delay_alu instid0(VALU_DEP_1)
	v_lshlrev_b32_e32 v10, 3, v10
	ds_store_b64 v10, v[20:21]
; %bb.204:
	s_or_b32 exec_lo, exec_lo, s1
	s_mov_b32 s9, 0
	v_dual_mov_b32 v11, v1 :: v_dual_lshlrev_b32 v10, 3, v0
	s_lshl_b64 s[2:3], s[8:9], 3
	s_wait_storecnt_dscnt 0x0
	s_wait_kmcnt 0x0
	s_add_nc_u64 s[2:3], s[4:5], s[2:3]
	s_lshl_b64 s[4:5], s[14:15], 3
	s_barrier_signal -1
	s_add_nc_u64 s[2:3], s[2:3], s[4:5]
	s_barrier_wait -1
.LBB595_205:                            ; =>This Inner Loop Header: Depth=1
	ds_load_b64 v[12:13], v10
	v_add_nc_u32_e32 v10, 0x400, v10
	s_wait_dscnt 0x0
	global_store_b64 v11, v[12:13], s[2:3] scale_offset
	s_wait_xcnt 0x0
	v_add_nc_u32_e32 v11, 0x80, v11
	s_delay_alu instid0(VALU_DEP_1) | instskip(SKIP_1) | instid1(SALU_CYCLE_1)
	v_cmp_ge_u32_e32 vcc_lo, v11, v26
	s_or_b32 s9, vcc_lo, s9
	s_and_not1_b32 exec_lo, exec_lo, s9
	s_cbranch_execnz .LBB595_205
; %bb.206:
	s_or_b32 exec_lo, exec_lo, s9
.LBB595_207:
	s_delay_alu instid0(SALU_CYCLE_1)
	s_and_b32 vcc_lo, exec_lo, s0
	s_mov_b32 s0, -1
	s_wait_storecnt 0x0
	s_barrier_signal -1
	s_barrier_wait -1
	s_cbranch_vccz .LBB595_219
; %bb.208:
	v_cmp_lt_u32_e32 vcc_lo, v32, v25
	v_cmp_eq_u32_e64 s0, 1, v24
	s_or_b32 s1, s25, vcc_lo
	s_delay_alu instid0(SALU_CYCLE_1) | instskip(NEXT) | instid1(SALU_CYCLE_1)
	s_and_b32 s1, s1, s0
	s_and_saveexec_b32 s0, s1
	s_cbranch_execz .LBB595_210
; %bb.209:
	s_lshl_b64 s[2:3], s[14:15], 3
	s_wait_kmcnt 0x0
	s_add_nc_u64 s[2:3], s[6:7], s[2:3]
	global_store_b64 v32, v[6:7], s[2:3] scale_offset
.LBB595_210:
	s_wait_xcnt 0x0
	s_or_b32 exec_lo, exec_lo, s0
	v_and_b32_e32 v10, 1, v23
	v_cmp_lt_u32_e32 vcc_lo, v31, v25
	s_delay_alu instid0(VALU_DEP_2) | instskip(SKIP_1) | instid1(SALU_CYCLE_1)
	v_cmp_eq_u32_e64 s0, 1, v10
	s_or_b32 s1, s25, vcc_lo
	s_and_b32 s1, s1, s0
	s_delay_alu instid0(SALU_CYCLE_1)
	s_and_saveexec_b32 s0, s1
	s_cbranch_execz .LBB595_212
; %bb.211:
	s_lshl_b64 s[2:3], s[14:15], 3
	s_wait_kmcnt 0x0
	s_add_nc_u64 s[2:3], s[6:7], s[2:3]
	global_store_b64 v31, v[8:9], s[2:3] scale_offset
.LBB595_212:
	s_wait_xcnt 0x0
	s_or_b32 exec_lo, exec_lo, s0
	v_and_b32_e32 v10, 1, v36
	v_cmp_lt_u32_e32 vcc_lo, v30, v25
	s_delay_alu instid0(VALU_DEP_2) | instskip(SKIP_1) | instid1(SALU_CYCLE_1)
	v_cmp_eq_u32_e64 s0, 1, v10
	s_or_b32 s1, s25, vcc_lo
	s_and_b32 s1, s1, s0
	s_delay_alu instid0(SALU_CYCLE_1)
	;; [unrolled: 17-line block ×4, first 2 shown]
	s_and_saveexec_b32 s0, s1
	s_cbranch_execz .LBB595_218
; %bb.217:
	s_lshl_b64 s[2:3], s[14:15], 3
	s_wait_kmcnt 0x0
	s_add_nc_u64 s[2:3], s[6:7], s[2:3]
	global_store_b64 v28, v[18:19], s[2:3] scale_offset
.LBB595_218:
	s_wait_xcnt 0x0
	s_or_b32 exec_lo, exec_lo, s0
	s_mov_b32 s0, 0
.LBB595_219:
	s_delay_alu instid0(SALU_CYCLE_1)
	s_and_b32 vcc_lo, exec_lo, s0
	s_cbranch_vccz .LBB595_233
; %bb.220:
	s_mov_b32 s0, exec_lo
	v_cmpx_eq_u32_e32 1, v24
; %bb.221:
	v_subrev_nc_u32_e32 v10, s8, v32
	s_delay_alu instid0(VALU_DEP_1)
	v_lshlrev_b32_e32 v10, 3, v10
	ds_store_b64 v10, v[6:7]
; %bb.222:
	s_or_b32 exec_lo, exec_lo, s0
	v_and_b32_e32 v6, 1, v23
	s_mov_b32 s0, exec_lo
	s_delay_alu instid0(VALU_DEP_1)
	v_cmpx_eq_u32_e32 1, v6
; %bb.223:
	v_subrev_nc_u32_e32 v6, s8, v31
	s_delay_alu instid0(VALU_DEP_1)
	v_lshlrev_b32_e32 v6, 3, v6
	ds_store_b64 v6, v[8:9]
; %bb.224:
	s_or_b32 exec_lo, exec_lo, s0
	v_and_b32_e32 v6, 1, v36
	s_mov_b32 s0, exec_lo
	s_delay_alu instid0(VALU_DEP_1)
	;; [unrolled: 11-line block ×4, first 2 shown]
	v_cmpx_eq_u32_e32 1, v2
; %bb.229:
	v_subrev_nc_u32_e32 v2, s8, v28
	s_delay_alu instid0(VALU_DEP_1)
	v_lshlrev_b32_e32 v2, 3, v2
	ds_store_b64 v2, v[18:19]
; %bb.230:
	s_or_b32 exec_lo, exec_lo, s0
	s_mov_b32 s9, 0
	s_lshl_b64 s[2:3], s[14:15], 3
	s_lshl_b64 s[0:1], s[8:9], 3
	s_wait_storecnt_dscnt 0x0
	s_wait_kmcnt 0x0
	s_add_nc_u64 s[0:1], s[6:7], s[0:1]
	s_barrier_signal -1
	s_add_nc_u64 s[0:1], s[0:1], s[2:3]
	s_barrier_wait -1
.LBB595_231:                            ; =>This Inner Loop Header: Depth=1
	ds_load_b64 v[2:3], v34
	v_add_nc_u32_e32 v34, 0x400, v34
	s_wait_dscnt 0x0
	global_store_b64 v1, v[2:3], s[0:1] scale_offset
	s_wait_xcnt 0x0
	v_add_nc_u32_e32 v1, 0x80, v1
	s_delay_alu instid0(VALU_DEP_1) | instskip(SKIP_1) | instid1(SALU_CYCLE_1)
	v_cmp_ge_u32_e32 vcc_lo, v1, v26
	s_or_b32 s9, vcc_lo, s9
	s_and_not1_b32 exec_lo, exec_lo, s9
	s_cbranch_execnz .LBB595_231
; %bb.232:
	s_or_b32 exec_lo, exec_lo, s9
.LBB595_233:
	v_cmp_eq_u32_e32 vcc_lo, 0, v0
	s_mov_b32 s9, 0
	s_and_b32 s0, vcc_lo, s24
	s_delay_alu instid0(SALU_CYCLE_1)
	s_and_saveexec_b32 s1, s0
	s_cbranch_execz .LBB595_235
; %bb.234:
	v_mov_b32_e32 v27, 0
	s_delay_alu instid0(VALU_DEP_1) | instskip(NEXT) | instid1(VALU_DEP_1)
	v_add_nc_u64_e32 v[0:1], s[14:15], v[26:27]
	v_add_nc_u64_e32 v[0:1], s[8:9], v[0:1]
	global_store_b64 v27, v[0:1], s[12:13]
.LBB595_235:
	s_endpgm
	.section	.rodata,"a",@progbits
	.p2align	6, 0x0
	.amdhsa_kernel _ZN7rocprim17ROCPRIM_400000_NS6detail17trampoline_kernelINS0_14default_configENS1_25partition_config_selectorILNS1_17partition_subalgoE9EllbEEZZNS1_14partition_implILS5_9ELb0ES3_jPlS8_PNS0_10empty_typeENS0_5tupleIJS8_S9_EEENSB_IJS8_SA_EEENS0_18inequality_wrapperIZN2at6native12_GLOBAL__N_124unique_dim_cuda_templateIlEESt5tupleIJNSF_6TensorESK_SK_EERKSK_lbbbEUlllE0_EEPmJS9_EEE10hipError_tPvRmT3_T4_T5_T6_T7_T9_mT8_P12ihipStream_tbDpT10_ENKUlT_T0_E_clISt17integral_constantIbLb0EES1A_EEDaS15_S16_EUlS15_E_NS1_11comp_targetILNS1_3genE0ELNS1_11target_archE4294967295ELNS1_3gpuE0ELNS1_3repE0EEENS1_30default_config_static_selectorELNS0_4arch9wavefront6targetE0EEEvT1_
		.amdhsa_group_segment_fixed_size 5128
		.amdhsa_private_segment_fixed_size 0
		.amdhsa_kernarg_size 120
		.amdhsa_user_sgpr_count 2
		.amdhsa_user_sgpr_dispatch_ptr 0
		.amdhsa_user_sgpr_queue_ptr 0
		.amdhsa_user_sgpr_kernarg_segment_ptr 1
		.amdhsa_user_sgpr_dispatch_id 0
		.amdhsa_user_sgpr_kernarg_preload_length 0
		.amdhsa_user_sgpr_kernarg_preload_offset 0
		.amdhsa_user_sgpr_private_segment_size 0
		.amdhsa_wavefront_size32 1
		.amdhsa_uses_dynamic_stack 0
		.amdhsa_enable_private_segment 0
		.amdhsa_system_sgpr_workgroup_id_x 1
		.amdhsa_system_sgpr_workgroup_id_y 0
		.amdhsa_system_sgpr_workgroup_id_z 0
		.amdhsa_system_sgpr_workgroup_info 0
		.amdhsa_system_vgpr_workitem_id 0
		.amdhsa_next_free_vgpr 56
		.amdhsa_next_free_sgpr 32
		.amdhsa_named_barrier_count 0
		.amdhsa_reserve_vcc 1
		.amdhsa_float_round_mode_32 0
		.amdhsa_float_round_mode_16_64 0
		.amdhsa_float_denorm_mode_32 3
		.amdhsa_float_denorm_mode_16_64 3
		.amdhsa_fp16_overflow 0
		.amdhsa_memory_ordered 1
		.amdhsa_forward_progress 1
		.amdhsa_inst_pref_size 74
		.amdhsa_round_robin_scheduling 0
		.amdhsa_exception_fp_ieee_invalid_op 0
		.amdhsa_exception_fp_denorm_src 0
		.amdhsa_exception_fp_ieee_div_zero 0
		.amdhsa_exception_fp_ieee_overflow 0
		.amdhsa_exception_fp_ieee_underflow 0
		.amdhsa_exception_fp_ieee_inexact 0
		.amdhsa_exception_int_div_zero 0
	.end_amdhsa_kernel
	.section	.text._ZN7rocprim17ROCPRIM_400000_NS6detail17trampoline_kernelINS0_14default_configENS1_25partition_config_selectorILNS1_17partition_subalgoE9EllbEEZZNS1_14partition_implILS5_9ELb0ES3_jPlS8_PNS0_10empty_typeENS0_5tupleIJS8_S9_EEENSB_IJS8_SA_EEENS0_18inequality_wrapperIZN2at6native12_GLOBAL__N_124unique_dim_cuda_templateIlEESt5tupleIJNSF_6TensorESK_SK_EERKSK_lbbbEUlllE0_EEPmJS9_EEE10hipError_tPvRmT3_T4_T5_T6_T7_T9_mT8_P12ihipStream_tbDpT10_ENKUlT_T0_E_clISt17integral_constantIbLb0EES1A_EEDaS15_S16_EUlS15_E_NS1_11comp_targetILNS1_3genE0ELNS1_11target_archE4294967295ELNS1_3gpuE0ELNS1_3repE0EEENS1_30default_config_static_selectorELNS0_4arch9wavefront6targetE0EEEvT1_,"axG",@progbits,_ZN7rocprim17ROCPRIM_400000_NS6detail17trampoline_kernelINS0_14default_configENS1_25partition_config_selectorILNS1_17partition_subalgoE9EllbEEZZNS1_14partition_implILS5_9ELb0ES3_jPlS8_PNS0_10empty_typeENS0_5tupleIJS8_S9_EEENSB_IJS8_SA_EEENS0_18inequality_wrapperIZN2at6native12_GLOBAL__N_124unique_dim_cuda_templateIlEESt5tupleIJNSF_6TensorESK_SK_EERKSK_lbbbEUlllE0_EEPmJS9_EEE10hipError_tPvRmT3_T4_T5_T6_T7_T9_mT8_P12ihipStream_tbDpT10_ENKUlT_T0_E_clISt17integral_constantIbLb0EES1A_EEDaS15_S16_EUlS15_E_NS1_11comp_targetILNS1_3genE0ELNS1_11target_archE4294967295ELNS1_3gpuE0ELNS1_3repE0EEENS1_30default_config_static_selectorELNS0_4arch9wavefront6targetE0EEEvT1_,comdat
.Lfunc_end595:
	.size	_ZN7rocprim17ROCPRIM_400000_NS6detail17trampoline_kernelINS0_14default_configENS1_25partition_config_selectorILNS1_17partition_subalgoE9EllbEEZZNS1_14partition_implILS5_9ELb0ES3_jPlS8_PNS0_10empty_typeENS0_5tupleIJS8_S9_EEENSB_IJS8_SA_EEENS0_18inequality_wrapperIZN2at6native12_GLOBAL__N_124unique_dim_cuda_templateIlEESt5tupleIJNSF_6TensorESK_SK_EERKSK_lbbbEUlllE0_EEPmJS9_EEE10hipError_tPvRmT3_T4_T5_T6_T7_T9_mT8_P12ihipStream_tbDpT10_ENKUlT_T0_E_clISt17integral_constantIbLb0EES1A_EEDaS15_S16_EUlS15_E_NS1_11comp_targetILNS1_3genE0ELNS1_11target_archE4294967295ELNS1_3gpuE0ELNS1_3repE0EEENS1_30default_config_static_selectorELNS0_4arch9wavefront6targetE0EEEvT1_, .Lfunc_end595-_ZN7rocprim17ROCPRIM_400000_NS6detail17trampoline_kernelINS0_14default_configENS1_25partition_config_selectorILNS1_17partition_subalgoE9EllbEEZZNS1_14partition_implILS5_9ELb0ES3_jPlS8_PNS0_10empty_typeENS0_5tupleIJS8_S9_EEENSB_IJS8_SA_EEENS0_18inequality_wrapperIZN2at6native12_GLOBAL__N_124unique_dim_cuda_templateIlEESt5tupleIJNSF_6TensorESK_SK_EERKSK_lbbbEUlllE0_EEPmJS9_EEE10hipError_tPvRmT3_T4_T5_T6_T7_T9_mT8_P12ihipStream_tbDpT10_ENKUlT_T0_E_clISt17integral_constantIbLb0EES1A_EEDaS15_S16_EUlS15_E_NS1_11comp_targetILNS1_3genE0ELNS1_11target_archE4294967295ELNS1_3gpuE0ELNS1_3repE0EEENS1_30default_config_static_selectorELNS0_4arch9wavefront6targetE0EEEvT1_
                                        ; -- End function
	.set _ZN7rocprim17ROCPRIM_400000_NS6detail17trampoline_kernelINS0_14default_configENS1_25partition_config_selectorILNS1_17partition_subalgoE9EllbEEZZNS1_14partition_implILS5_9ELb0ES3_jPlS8_PNS0_10empty_typeENS0_5tupleIJS8_S9_EEENSB_IJS8_SA_EEENS0_18inequality_wrapperIZN2at6native12_GLOBAL__N_124unique_dim_cuda_templateIlEESt5tupleIJNSF_6TensorESK_SK_EERKSK_lbbbEUlllE0_EEPmJS9_EEE10hipError_tPvRmT3_T4_T5_T6_T7_T9_mT8_P12ihipStream_tbDpT10_ENKUlT_T0_E_clISt17integral_constantIbLb0EES1A_EEDaS15_S16_EUlS15_E_NS1_11comp_targetILNS1_3genE0ELNS1_11target_archE4294967295ELNS1_3gpuE0ELNS1_3repE0EEENS1_30default_config_static_selectorELNS0_4arch9wavefront6targetE0EEEvT1_.num_vgpr, 56
	.set _ZN7rocprim17ROCPRIM_400000_NS6detail17trampoline_kernelINS0_14default_configENS1_25partition_config_selectorILNS1_17partition_subalgoE9EllbEEZZNS1_14partition_implILS5_9ELb0ES3_jPlS8_PNS0_10empty_typeENS0_5tupleIJS8_S9_EEENSB_IJS8_SA_EEENS0_18inequality_wrapperIZN2at6native12_GLOBAL__N_124unique_dim_cuda_templateIlEESt5tupleIJNSF_6TensorESK_SK_EERKSK_lbbbEUlllE0_EEPmJS9_EEE10hipError_tPvRmT3_T4_T5_T6_T7_T9_mT8_P12ihipStream_tbDpT10_ENKUlT_T0_E_clISt17integral_constantIbLb0EES1A_EEDaS15_S16_EUlS15_E_NS1_11comp_targetILNS1_3genE0ELNS1_11target_archE4294967295ELNS1_3gpuE0ELNS1_3repE0EEENS1_30default_config_static_selectorELNS0_4arch9wavefront6targetE0EEEvT1_.num_agpr, 0
	.set _ZN7rocprim17ROCPRIM_400000_NS6detail17trampoline_kernelINS0_14default_configENS1_25partition_config_selectorILNS1_17partition_subalgoE9EllbEEZZNS1_14partition_implILS5_9ELb0ES3_jPlS8_PNS0_10empty_typeENS0_5tupleIJS8_S9_EEENSB_IJS8_SA_EEENS0_18inequality_wrapperIZN2at6native12_GLOBAL__N_124unique_dim_cuda_templateIlEESt5tupleIJNSF_6TensorESK_SK_EERKSK_lbbbEUlllE0_EEPmJS9_EEE10hipError_tPvRmT3_T4_T5_T6_T7_T9_mT8_P12ihipStream_tbDpT10_ENKUlT_T0_E_clISt17integral_constantIbLb0EES1A_EEDaS15_S16_EUlS15_E_NS1_11comp_targetILNS1_3genE0ELNS1_11target_archE4294967295ELNS1_3gpuE0ELNS1_3repE0EEENS1_30default_config_static_selectorELNS0_4arch9wavefront6targetE0EEEvT1_.numbered_sgpr, 32
	.set _ZN7rocprim17ROCPRIM_400000_NS6detail17trampoline_kernelINS0_14default_configENS1_25partition_config_selectorILNS1_17partition_subalgoE9EllbEEZZNS1_14partition_implILS5_9ELb0ES3_jPlS8_PNS0_10empty_typeENS0_5tupleIJS8_S9_EEENSB_IJS8_SA_EEENS0_18inequality_wrapperIZN2at6native12_GLOBAL__N_124unique_dim_cuda_templateIlEESt5tupleIJNSF_6TensorESK_SK_EERKSK_lbbbEUlllE0_EEPmJS9_EEE10hipError_tPvRmT3_T4_T5_T6_T7_T9_mT8_P12ihipStream_tbDpT10_ENKUlT_T0_E_clISt17integral_constantIbLb0EES1A_EEDaS15_S16_EUlS15_E_NS1_11comp_targetILNS1_3genE0ELNS1_11target_archE4294967295ELNS1_3gpuE0ELNS1_3repE0EEENS1_30default_config_static_selectorELNS0_4arch9wavefront6targetE0EEEvT1_.num_named_barrier, 0
	.set _ZN7rocprim17ROCPRIM_400000_NS6detail17trampoline_kernelINS0_14default_configENS1_25partition_config_selectorILNS1_17partition_subalgoE9EllbEEZZNS1_14partition_implILS5_9ELb0ES3_jPlS8_PNS0_10empty_typeENS0_5tupleIJS8_S9_EEENSB_IJS8_SA_EEENS0_18inequality_wrapperIZN2at6native12_GLOBAL__N_124unique_dim_cuda_templateIlEESt5tupleIJNSF_6TensorESK_SK_EERKSK_lbbbEUlllE0_EEPmJS9_EEE10hipError_tPvRmT3_T4_T5_T6_T7_T9_mT8_P12ihipStream_tbDpT10_ENKUlT_T0_E_clISt17integral_constantIbLb0EES1A_EEDaS15_S16_EUlS15_E_NS1_11comp_targetILNS1_3genE0ELNS1_11target_archE4294967295ELNS1_3gpuE0ELNS1_3repE0EEENS1_30default_config_static_selectorELNS0_4arch9wavefront6targetE0EEEvT1_.private_seg_size, 0
	.set _ZN7rocprim17ROCPRIM_400000_NS6detail17trampoline_kernelINS0_14default_configENS1_25partition_config_selectorILNS1_17partition_subalgoE9EllbEEZZNS1_14partition_implILS5_9ELb0ES3_jPlS8_PNS0_10empty_typeENS0_5tupleIJS8_S9_EEENSB_IJS8_SA_EEENS0_18inequality_wrapperIZN2at6native12_GLOBAL__N_124unique_dim_cuda_templateIlEESt5tupleIJNSF_6TensorESK_SK_EERKSK_lbbbEUlllE0_EEPmJS9_EEE10hipError_tPvRmT3_T4_T5_T6_T7_T9_mT8_P12ihipStream_tbDpT10_ENKUlT_T0_E_clISt17integral_constantIbLb0EES1A_EEDaS15_S16_EUlS15_E_NS1_11comp_targetILNS1_3genE0ELNS1_11target_archE4294967295ELNS1_3gpuE0ELNS1_3repE0EEENS1_30default_config_static_selectorELNS0_4arch9wavefront6targetE0EEEvT1_.uses_vcc, 1
	.set _ZN7rocprim17ROCPRIM_400000_NS6detail17trampoline_kernelINS0_14default_configENS1_25partition_config_selectorILNS1_17partition_subalgoE9EllbEEZZNS1_14partition_implILS5_9ELb0ES3_jPlS8_PNS0_10empty_typeENS0_5tupleIJS8_S9_EEENSB_IJS8_SA_EEENS0_18inequality_wrapperIZN2at6native12_GLOBAL__N_124unique_dim_cuda_templateIlEESt5tupleIJNSF_6TensorESK_SK_EERKSK_lbbbEUlllE0_EEPmJS9_EEE10hipError_tPvRmT3_T4_T5_T6_T7_T9_mT8_P12ihipStream_tbDpT10_ENKUlT_T0_E_clISt17integral_constantIbLb0EES1A_EEDaS15_S16_EUlS15_E_NS1_11comp_targetILNS1_3genE0ELNS1_11target_archE4294967295ELNS1_3gpuE0ELNS1_3repE0EEENS1_30default_config_static_selectorELNS0_4arch9wavefront6targetE0EEEvT1_.uses_flat_scratch, 0
	.set _ZN7rocprim17ROCPRIM_400000_NS6detail17trampoline_kernelINS0_14default_configENS1_25partition_config_selectorILNS1_17partition_subalgoE9EllbEEZZNS1_14partition_implILS5_9ELb0ES3_jPlS8_PNS0_10empty_typeENS0_5tupleIJS8_S9_EEENSB_IJS8_SA_EEENS0_18inequality_wrapperIZN2at6native12_GLOBAL__N_124unique_dim_cuda_templateIlEESt5tupleIJNSF_6TensorESK_SK_EERKSK_lbbbEUlllE0_EEPmJS9_EEE10hipError_tPvRmT3_T4_T5_T6_T7_T9_mT8_P12ihipStream_tbDpT10_ENKUlT_T0_E_clISt17integral_constantIbLb0EES1A_EEDaS15_S16_EUlS15_E_NS1_11comp_targetILNS1_3genE0ELNS1_11target_archE4294967295ELNS1_3gpuE0ELNS1_3repE0EEENS1_30default_config_static_selectorELNS0_4arch9wavefront6targetE0EEEvT1_.has_dyn_sized_stack, 0
	.set _ZN7rocprim17ROCPRIM_400000_NS6detail17trampoline_kernelINS0_14default_configENS1_25partition_config_selectorILNS1_17partition_subalgoE9EllbEEZZNS1_14partition_implILS5_9ELb0ES3_jPlS8_PNS0_10empty_typeENS0_5tupleIJS8_S9_EEENSB_IJS8_SA_EEENS0_18inequality_wrapperIZN2at6native12_GLOBAL__N_124unique_dim_cuda_templateIlEESt5tupleIJNSF_6TensorESK_SK_EERKSK_lbbbEUlllE0_EEPmJS9_EEE10hipError_tPvRmT3_T4_T5_T6_T7_T9_mT8_P12ihipStream_tbDpT10_ENKUlT_T0_E_clISt17integral_constantIbLb0EES1A_EEDaS15_S16_EUlS15_E_NS1_11comp_targetILNS1_3genE0ELNS1_11target_archE4294967295ELNS1_3gpuE0ELNS1_3repE0EEENS1_30default_config_static_selectorELNS0_4arch9wavefront6targetE0EEEvT1_.has_recursion, 0
	.set _ZN7rocprim17ROCPRIM_400000_NS6detail17trampoline_kernelINS0_14default_configENS1_25partition_config_selectorILNS1_17partition_subalgoE9EllbEEZZNS1_14partition_implILS5_9ELb0ES3_jPlS8_PNS0_10empty_typeENS0_5tupleIJS8_S9_EEENSB_IJS8_SA_EEENS0_18inequality_wrapperIZN2at6native12_GLOBAL__N_124unique_dim_cuda_templateIlEESt5tupleIJNSF_6TensorESK_SK_EERKSK_lbbbEUlllE0_EEPmJS9_EEE10hipError_tPvRmT3_T4_T5_T6_T7_T9_mT8_P12ihipStream_tbDpT10_ENKUlT_T0_E_clISt17integral_constantIbLb0EES1A_EEDaS15_S16_EUlS15_E_NS1_11comp_targetILNS1_3genE0ELNS1_11target_archE4294967295ELNS1_3gpuE0ELNS1_3repE0EEENS1_30default_config_static_selectorELNS0_4arch9wavefront6targetE0EEEvT1_.has_indirect_call, 0
	.section	.AMDGPU.csdata,"",@progbits
; Kernel info:
; codeLenInByte = 9388
; TotalNumSgprs: 34
; NumVgprs: 56
; ScratchSize: 0
; MemoryBound: 0
; FloatMode: 240
; IeeeMode: 1
; LDSByteSize: 5128 bytes/workgroup (compile time only)
; SGPRBlocks: 0
; VGPRBlocks: 3
; NumSGPRsForWavesPerEU: 34
; NumVGPRsForWavesPerEU: 56
; NamedBarCnt: 0
; Occupancy: 16
; WaveLimiterHint : 1
; COMPUTE_PGM_RSRC2:SCRATCH_EN: 0
; COMPUTE_PGM_RSRC2:USER_SGPR: 2
; COMPUTE_PGM_RSRC2:TRAP_HANDLER: 0
; COMPUTE_PGM_RSRC2:TGID_X_EN: 1
; COMPUTE_PGM_RSRC2:TGID_Y_EN: 0
; COMPUTE_PGM_RSRC2:TGID_Z_EN: 0
; COMPUTE_PGM_RSRC2:TIDIG_COMP_CNT: 0
	.section	.text._ZN7rocprim17ROCPRIM_400000_NS6detail17trampoline_kernelINS0_14default_configENS1_25partition_config_selectorILNS1_17partition_subalgoE9EllbEEZZNS1_14partition_implILS5_9ELb0ES3_jPlS8_PNS0_10empty_typeENS0_5tupleIJS8_S9_EEENSB_IJS8_SA_EEENS0_18inequality_wrapperIZN2at6native12_GLOBAL__N_124unique_dim_cuda_templateIlEESt5tupleIJNSF_6TensorESK_SK_EERKSK_lbbbEUlllE0_EEPmJS9_EEE10hipError_tPvRmT3_T4_T5_T6_T7_T9_mT8_P12ihipStream_tbDpT10_ENKUlT_T0_E_clISt17integral_constantIbLb0EES1A_EEDaS15_S16_EUlS15_E_NS1_11comp_targetILNS1_3genE5ELNS1_11target_archE942ELNS1_3gpuE9ELNS1_3repE0EEENS1_30default_config_static_selectorELNS0_4arch9wavefront6targetE0EEEvT1_,"axG",@progbits,_ZN7rocprim17ROCPRIM_400000_NS6detail17trampoline_kernelINS0_14default_configENS1_25partition_config_selectorILNS1_17partition_subalgoE9EllbEEZZNS1_14partition_implILS5_9ELb0ES3_jPlS8_PNS0_10empty_typeENS0_5tupleIJS8_S9_EEENSB_IJS8_SA_EEENS0_18inequality_wrapperIZN2at6native12_GLOBAL__N_124unique_dim_cuda_templateIlEESt5tupleIJNSF_6TensorESK_SK_EERKSK_lbbbEUlllE0_EEPmJS9_EEE10hipError_tPvRmT3_T4_T5_T6_T7_T9_mT8_P12ihipStream_tbDpT10_ENKUlT_T0_E_clISt17integral_constantIbLb0EES1A_EEDaS15_S16_EUlS15_E_NS1_11comp_targetILNS1_3genE5ELNS1_11target_archE942ELNS1_3gpuE9ELNS1_3repE0EEENS1_30default_config_static_selectorELNS0_4arch9wavefront6targetE0EEEvT1_,comdat
	.globl	_ZN7rocprim17ROCPRIM_400000_NS6detail17trampoline_kernelINS0_14default_configENS1_25partition_config_selectorILNS1_17partition_subalgoE9EllbEEZZNS1_14partition_implILS5_9ELb0ES3_jPlS8_PNS0_10empty_typeENS0_5tupleIJS8_S9_EEENSB_IJS8_SA_EEENS0_18inequality_wrapperIZN2at6native12_GLOBAL__N_124unique_dim_cuda_templateIlEESt5tupleIJNSF_6TensorESK_SK_EERKSK_lbbbEUlllE0_EEPmJS9_EEE10hipError_tPvRmT3_T4_T5_T6_T7_T9_mT8_P12ihipStream_tbDpT10_ENKUlT_T0_E_clISt17integral_constantIbLb0EES1A_EEDaS15_S16_EUlS15_E_NS1_11comp_targetILNS1_3genE5ELNS1_11target_archE942ELNS1_3gpuE9ELNS1_3repE0EEENS1_30default_config_static_selectorELNS0_4arch9wavefront6targetE0EEEvT1_ ; -- Begin function _ZN7rocprim17ROCPRIM_400000_NS6detail17trampoline_kernelINS0_14default_configENS1_25partition_config_selectorILNS1_17partition_subalgoE9EllbEEZZNS1_14partition_implILS5_9ELb0ES3_jPlS8_PNS0_10empty_typeENS0_5tupleIJS8_S9_EEENSB_IJS8_SA_EEENS0_18inequality_wrapperIZN2at6native12_GLOBAL__N_124unique_dim_cuda_templateIlEESt5tupleIJNSF_6TensorESK_SK_EERKSK_lbbbEUlllE0_EEPmJS9_EEE10hipError_tPvRmT3_T4_T5_T6_T7_T9_mT8_P12ihipStream_tbDpT10_ENKUlT_T0_E_clISt17integral_constantIbLb0EES1A_EEDaS15_S16_EUlS15_E_NS1_11comp_targetILNS1_3genE5ELNS1_11target_archE942ELNS1_3gpuE9ELNS1_3repE0EEENS1_30default_config_static_selectorELNS0_4arch9wavefront6targetE0EEEvT1_
	.p2align	8
	.type	_ZN7rocprim17ROCPRIM_400000_NS6detail17trampoline_kernelINS0_14default_configENS1_25partition_config_selectorILNS1_17partition_subalgoE9EllbEEZZNS1_14partition_implILS5_9ELb0ES3_jPlS8_PNS0_10empty_typeENS0_5tupleIJS8_S9_EEENSB_IJS8_SA_EEENS0_18inequality_wrapperIZN2at6native12_GLOBAL__N_124unique_dim_cuda_templateIlEESt5tupleIJNSF_6TensorESK_SK_EERKSK_lbbbEUlllE0_EEPmJS9_EEE10hipError_tPvRmT3_T4_T5_T6_T7_T9_mT8_P12ihipStream_tbDpT10_ENKUlT_T0_E_clISt17integral_constantIbLb0EES1A_EEDaS15_S16_EUlS15_E_NS1_11comp_targetILNS1_3genE5ELNS1_11target_archE942ELNS1_3gpuE9ELNS1_3repE0EEENS1_30default_config_static_selectorELNS0_4arch9wavefront6targetE0EEEvT1_,@function
_ZN7rocprim17ROCPRIM_400000_NS6detail17trampoline_kernelINS0_14default_configENS1_25partition_config_selectorILNS1_17partition_subalgoE9EllbEEZZNS1_14partition_implILS5_9ELb0ES3_jPlS8_PNS0_10empty_typeENS0_5tupleIJS8_S9_EEENSB_IJS8_SA_EEENS0_18inequality_wrapperIZN2at6native12_GLOBAL__N_124unique_dim_cuda_templateIlEESt5tupleIJNSF_6TensorESK_SK_EERKSK_lbbbEUlllE0_EEPmJS9_EEE10hipError_tPvRmT3_T4_T5_T6_T7_T9_mT8_P12ihipStream_tbDpT10_ENKUlT_T0_E_clISt17integral_constantIbLb0EES1A_EEDaS15_S16_EUlS15_E_NS1_11comp_targetILNS1_3genE5ELNS1_11target_archE942ELNS1_3gpuE9ELNS1_3repE0EEENS1_30default_config_static_selectorELNS0_4arch9wavefront6targetE0EEEvT1_: ; @_ZN7rocprim17ROCPRIM_400000_NS6detail17trampoline_kernelINS0_14default_configENS1_25partition_config_selectorILNS1_17partition_subalgoE9EllbEEZZNS1_14partition_implILS5_9ELb0ES3_jPlS8_PNS0_10empty_typeENS0_5tupleIJS8_S9_EEENSB_IJS8_SA_EEENS0_18inequality_wrapperIZN2at6native12_GLOBAL__N_124unique_dim_cuda_templateIlEESt5tupleIJNSF_6TensorESK_SK_EERKSK_lbbbEUlllE0_EEPmJS9_EEE10hipError_tPvRmT3_T4_T5_T6_T7_T9_mT8_P12ihipStream_tbDpT10_ENKUlT_T0_E_clISt17integral_constantIbLb0EES1A_EEDaS15_S16_EUlS15_E_NS1_11comp_targetILNS1_3genE5ELNS1_11target_archE942ELNS1_3gpuE9ELNS1_3repE0EEENS1_30default_config_static_selectorELNS0_4arch9wavefront6targetE0EEEvT1_
; %bb.0:
	.section	.rodata,"a",@progbits
	.p2align	6, 0x0
	.amdhsa_kernel _ZN7rocprim17ROCPRIM_400000_NS6detail17trampoline_kernelINS0_14default_configENS1_25partition_config_selectorILNS1_17partition_subalgoE9EllbEEZZNS1_14partition_implILS5_9ELb0ES3_jPlS8_PNS0_10empty_typeENS0_5tupleIJS8_S9_EEENSB_IJS8_SA_EEENS0_18inequality_wrapperIZN2at6native12_GLOBAL__N_124unique_dim_cuda_templateIlEESt5tupleIJNSF_6TensorESK_SK_EERKSK_lbbbEUlllE0_EEPmJS9_EEE10hipError_tPvRmT3_T4_T5_T6_T7_T9_mT8_P12ihipStream_tbDpT10_ENKUlT_T0_E_clISt17integral_constantIbLb0EES1A_EEDaS15_S16_EUlS15_E_NS1_11comp_targetILNS1_3genE5ELNS1_11target_archE942ELNS1_3gpuE9ELNS1_3repE0EEENS1_30default_config_static_selectorELNS0_4arch9wavefront6targetE0EEEvT1_
		.amdhsa_group_segment_fixed_size 0
		.amdhsa_private_segment_fixed_size 0
		.amdhsa_kernarg_size 120
		.amdhsa_user_sgpr_count 2
		.amdhsa_user_sgpr_dispatch_ptr 0
		.amdhsa_user_sgpr_queue_ptr 0
		.amdhsa_user_sgpr_kernarg_segment_ptr 1
		.amdhsa_user_sgpr_dispatch_id 0
		.amdhsa_user_sgpr_kernarg_preload_length 0
		.amdhsa_user_sgpr_kernarg_preload_offset 0
		.amdhsa_user_sgpr_private_segment_size 0
		.amdhsa_wavefront_size32 1
		.amdhsa_uses_dynamic_stack 0
		.amdhsa_enable_private_segment 0
		.amdhsa_system_sgpr_workgroup_id_x 1
		.amdhsa_system_sgpr_workgroup_id_y 0
		.amdhsa_system_sgpr_workgroup_id_z 0
		.amdhsa_system_sgpr_workgroup_info 0
		.amdhsa_system_vgpr_workitem_id 0
		.amdhsa_next_free_vgpr 1
		.amdhsa_next_free_sgpr 1
		.amdhsa_named_barrier_count 0
		.amdhsa_reserve_vcc 0
		.amdhsa_float_round_mode_32 0
		.amdhsa_float_round_mode_16_64 0
		.amdhsa_float_denorm_mode_32 3
		.amdhsa_float_denorm_mode_16_64 3
		.amdhsa_fp16_overflow 0
		.amdhsa_memory_ordered 1
		.amdhsa_forward_progress 1
		.amdhsa_inst_pref_size 0
		.amdhsa_round_robin_scheduling 0
		.amdhsa_exception_fp_ieee_invalid_op 0
		.amdhsa_exception_fp_denorm_src 0
		.amdhsa_exception_fp_ieee_div_zero 0
		.amdhsa_exception_fp_ieee_overflow 0
		.amdhsa_exception_fp_ieee_underflow 0
		.amdhsa_exception_fp_ieee_inexact 0
		.amdhsa_exception_int_div_zero 0
	.end_amdhsa_kernel
	.section	.text._ZN7rocprim17ROCPRIM_400000_NS6detail17trampoline_kernelINS0_14default_configENS1_25partition_config_selectorILNS1_17partition_subalgoE9EllbEEZZNS1_14partition_implILS5_9ELb0ES3_jPlS8_PNS0_10empty_typeENS0_5tupleIJS8_S9_EEENSB_IJS8_SA_EEENS0_18inequality_wrapperIZN2at6native12_GLOBAL__N_124unique_dim_cuda_templateIlEESt5tupleIJNSF_6TensorESK_SK_EERKSK_lbbbEUlllE0_EEPmJS9_EEE10hipError_tPvRmT3_T4_T5_T6_T7_T9_mT8_P12ihipStream_tbDpT10_ENKUlT_T0_E_clISt17integral_constantIbLb0EES1A_EEDaS15_S16_EUlS15_E_NS1_11comp_targetILNS1_3genE5ELNS1_11target_archE942ELNS1_3gpuE9ELNS1_3repE0EEENS1_30default_config_static_selectorELNS0_4arch9wavefront6targetE0EEEvT1_,"axG",@progbits,_ZN7rocprim17ROCPRIM_400000_NS6detail17trampoline_kernelINS0_14default_configENS1_25partition_config_selectorILNS1_17partition_subalgoE9EllbEEZZNS1_14partition_implILS5_9ELb0ES3_jPlS8_PNS0_10empty_typeENS0_5tupleIJS8_S9_EEENSB_IJS8_SA_EEENS0_18inequality_wrapperIZN2at6native12_GLOBAL__N_124unique_dim_cuda_templateIlEESt5tupleIJNSF_6TensorESK_SK_EERKSK_lbbbEUlllE0_EEPmJS9_EEE10hipError_tPvRmT3_T4_T5_T6_T7_T9_mT8_P12ihipStream_tbDpT10_ENKUlT_T0_E_clISt17integral_constantIbLb0EES1A_EEDaS15_S16_EUlS15_E_NS1_11comp_targetILNS1_3genE5ELNS1_11target_archE942ELNS1_3gpuE9ELNS1_3repE0EEENS1_30default_config_static_selectorELNS0_4arch9wavefront6targetE0EEEvT1_,comdat
.Lfunc_end596:
	.size	_ZN7rocprim17ROCPRIM_400000_NS6detail17trampoline_kernelINS0_14default_configENS1_25partition_config_selectorILNS1_17partition_subalgoE9EllbEEZZNS1_14partition_implILS5_9ELb0ES3_jPlS8_PNS0_10empty_typeENS0_5tupleIJS8_S9_EEENSB_IJS8_SA_EEENS0_18inequality_wrapperIZN2at6native12_GLOBAL__N_124unique_dim_cuda_templateIlEESt5tupleIJNSF_6TensorESK_SK_EERKSK_lbbbEUlllE0_EEPmJS9_EEE10hipError_tPvRmT3_T4_T5_T6_T7_T9_mT8_P12ihipStream_tbDpT10_ENKUlT_T0_E_clISt17integral_constantIbLb0EES1A_EEDaS15_S16_EUlS15_E_NS1_11comp_targetILNS1_3genE5ELNS1_11target_archE942ELNS1_3gpuE9ELNS1_3repE0EEENS1_30default_config_static_selectorELNS0_4arch9wavefront6targetE0EEEvT1_, .Lfunc_end596-_ZN7rocprim17ROCPRIM_400000_NS6detail17trampoline_kernelINS0_14default_configENS1_25partition_config_selectorILNS1_17partition_subalgoE9EllbEEZZNS1_14partition_implILS5_9ELb0ES3_jPlS8_PNS0_10empty_typeENS0_5tupleIJS8_S9_EEENSB_IJS8_SA_EEENS0_18inequality_wrapperIZN2at6native12_GLOBAL__N_124unique_dim_cuda_templateIlEESt5tupleIJNSF_6TensorESK_SK_EERKSK_lbbbEUlllE0_EEPmJS9_EEE10hipError_tPvRmT3_T4_T5_T6_T7_T9_mT8_P12ihipStream_tbDpT10_ENKUlT_T0_E_clISt17integral_constantIbLb0EES1A_EEDaS15_S16_EUlS15_E_NS1_11comp_targetILNS1_3genE5ELNS1_11target_archE942ELNS1_3gpuE9ELNS1_3repE0EEENS1_30default_config_static_selectorELNS0_4arch9wavefront6targetE0EEEvT1_
                                        ; -- End function
	.set _ZN7rocprim17ROCPRIM_400000_NS6detail17trampoline_kernelINS0_14default_configENS1_25partition_config_selectorILNS1_17partition_subalgoE9EllbEEZZNS1_14partition_implILS5_9ELb0ES3_jPlS8_PNS0_10empty_typeENS0_5tupleIJS8_S9_EEENSB_IJS8_SA_EEENS0_18inequality_wrapperIZN2at6native12_GLOBAL__N_124unique_dim_cuda_templateIlEESt5tupleIJNSF_6TensorESK_SK_EERKSK_lbbbEUlllE0_EEPmJS9_EEE10hipError_tPvRmT3_T4_T5_T6_T7_T9_mT8_P12ihipStream_tbDpT10_ENKUlT_T0_E_clISt17integral_constantIbLb0EES1A_EEDaS15_S16_EUlS15_E_NS1_11comp_targetILNS1_3genE5ELNS1_11target_archE942ELNS1_3gpuE9ELNS1_3repE0EEENS1_30default_config_static_selectorELNS0_4arch9wavefront6targetE0EEEvT1_.num_vgpr, 0
	.set _ZN7rocprim17ROCPRIM_400000_NS6detail17trampoline_kernelINS0_14default_configENS1_25partition_config_selectorILNS1_17partition_subalgoE9EllbEEZZNS1_14partition_implILS5_9ELb0ES3_jPlS8_PNS0_10empty_typeENS0_5tupleIJS8_S9_EEENSB_IJS8_SA_EEENS0_18inequality_wrapperIZN2at6native12_GLOBAL__N_124unique_dim_cuda_templateIlEESt5tupleIJNSF_6TensorESK_SK_EERKSK_lbbbEUlllE0_EEPmJS9_EEE10hipError_tPvRmT3_T4_T5_T6_T7_T9_mT8_P12ihipStream_tbDpT10_ENKUlT_T0_E_clISt17integral_constantIbLb0EES1A_EEDaS15_S16_EUlS15_E_NS1_11comp_targetILNS1_3genE5ELNS1_11target_archE942ELNS1_3gpuE9ELNS1_3repE0EEENS1_30default_config_static_selectorELNS0_4arch9wavefront6targetE0EEEvT1_.num_agpr, 0
	.set _ZN7rocprim17ROCPRIM_400000_NS6detail17trampoline_kernelINS0_14default_configENS1_25partition_config_selectorILNS1_17partition_subalgoE9EllbEEZZNS1_14partition_implILS5_9ELb0ES3_jPlS8_PNS0_10empty_typeENS0_5tupleIJS8_S9_EEENSB_IJS8_SA_EEENS0_18inequality_wrapperIZN2at6native12_GLOBAL__N_124unique_dim_cuda_templateIlEESt5tupleIJNSF_6TensorESK_SK_EERKSK_lbbbEUlllE0_EEPmJS9_EEE10hipError_tPvRmT3_T4_T5_T6_T7_T9_mT8_P12ihipStream_tbDpT10_ENKUlT_T0_E_clISt17integral_constantIbLb0EES1A_EEDaS15_S16_EUlS15_E_NS1_11comp_targetILNS1_3genE5ELNS1_11target_archE942ELNS1_3gpuE9ELNS1_3repE0EEENS1_30default_config_static_selectorELNS0_4arch9wavefront6targetE0EEEvT1_.numbered_sgpr, 0
	.set _ZN7rocprim17ROCPRIM_400000_NS6detail17trampoline_kernelINS0_14default_configENS1_25partition_config_selectorILNS1_17partition_subalgoE9EllbEEZZNS1_14partition_implILS5_9ELb0ES3_jPlS8_PNS0_10empty_typeENS0_5tupleIJS8_S9_EEENSB_IJS8_SA_EEENS0_18inequality_wrapperIZN2at6native12_GLOBAL__N_124unique_dim_cuda_templateIlEESt5tupleIJNSF_6TensorESK_SK_EERKSK_lbbbEUlllE0_EEPmJS9_EEE10hipError_tPvRmT3_T4_T5_T6_T7_T9_mT8_P12ihipStream_tbDpT10_ENKUlT_T0_E_clISt17integral_constantIbLb0EES1A_EEDaS15_S16_EUlS15_E_NS1_11comp_targetILNS1_3genE5ELNS1_11target_archE942ELNS1_3gpuE9ELNS1_3repE0EEENS1_30default_config_static_selectorELNS0_4arch9wavefront6targetE0EEEvT1_.num_named_barrier, 0
	.set _ZN7rocprim17ROCPRIM_400000_NS6detail17trampoline_kernelINS0_14default_configENS1_25partition_config_selectorILNS1_17partition_subalgoE9EllbEEZZNS1_14partition_implILS5_9ELb0ES3_jPlS8_PNS0_10empty_typeENS0_5tupleIJS8_S9_EEENSB_IJS8_SA_EEENS0_18inequality_wrapperIZN2at6native12_GLOBAL__N_124unique_dim_cuda_templateIlEESt5tupleIJNSF_6TensorESK_SK_EERKSK_lbbbEUlllE0_EEPmJS9_EEE10hipError_tPvRmT3_T4_T5_T6_T7_T9_mT8_P12ihipStream_tbDpT10_ENKUlT_T0_E_clISt17integral_constantIbLb0EES1A_EEDaS15_S16_EUlS15_E_NS1_11comp_targetILNS1_3genE5ELNS1_11target_archE942ELNS1_3gpuE9ELNS1_3repE0EEENS1_30default_config_static_selectorELNS0_4arch9wavefront6targetE0EEEvT1_.private_seg_size, 0
	.set _ZN7rocprim17ROCPRIM_400000_NS6detail17trampoline_kernelINS0_14default_configENS1_25partition_config_selectorILNS1_17partition_subalgoE9EllbEEZZNS1_14partition_implILS5_9ELb0ES3_jPlS8_PNS0_10empty_typeENS0_5tupleIJS8_S9_EEENSB_IJS8_SA_EEENS0_18inequality_wrapperIZN2at6native12_GLOBAL__N_124unique_dim_cuda_templateIlEESt5tupleIJNSF_6TensorESK_SK_EERKSK_lbbbEUlllE0_EEPmJS9_EEE10hipError_tPvRmT3_T4_T5_T6_T7_T9_mT8_P12ihipStream_tbDpT10_ENKUlT_T0_E_clISt17integral_constantIbLb0EES1A_EEDaS15_S16_EUlS15_E_NS1_11comp_targetILNS1_3genE5ELNS1_11target_archE942ELNS1_3gpuE9ELNS1_3repE0EEENS1_30default_config_static_selectorELNS0_4arch9wavefront6targetE0EEEvT1_.uses_vcc, 0
	.set _ZN7rocprim17ROCPRIM_400000_NS6detail17trampoline_kernelINS0_14default_configENS1_25partition_config_selectorILNS1_17partition_subalgoE9EllbEEZZNS1_14partition_implILS5_9ELb0ES3_jPlS8_PNS0_10empty_typeENS0_5tupleIJS8_S9_EEENSB_IJS8_SA_EEENS0_18inequality_wrapperIZN2at6native12_GLOBAL__N_124unique_dim_cuda_templateIlEESt5tupleIJNSF_6TensorESK_SK_EERKSK_lbbbEUlllE0_EEPmJS9_EEE10hipError_tPvRmT3_T4_T5_T6_T7_T9_mT8_P12ihipStream_tbDpT10_ENKUlT_T0_E_clISt17integral_constantIbLb0EES1A_EEDaS15_S16_EUlS15_E_NS1_11comp_targetILNS1_3genE5ELNS1_11target_archE942ELNS1_3gpuE9ELNS1_3repE0EEENS1_30default_config_static_selectorELNS0_4arch9wavefront6targetE0EEEvT1_.uses_flat_scratch, 0
	.set _ZN7rocprim17ROCPRIM_400000_NS6detail17trampoline_kernelINS0_14default_configENS1_25partition_config_selectorILNS1_17partition_subalgoE9EllbEEZZNS1_14partition_implILS5_9ELb0ES3_jPlS8_PNS0_10empty_typeENS0_5tupleIJS8_S9_EEENSB_IJS8_SA_EEENS0_18inequality_wrapperIZN2at6native12_GLOBAL__N_124unique_dim_cuda_templateIlEESt5tupleIJNSF_6TensorESK_SK_EERKSK_lbbbEUlllE0_EEPmJS9_EEE10hipError_tPvRmT3_T4_T5_T6_T7_T9_mT8_P12ihipStream_tbDpT10_ENKUlT_T0_E_clISt17integral_constantIbLb0EES1A_EEDaS15_S16_EUlS15_E_NS1_11comp_targetILNS1_3genE5ELNS1_11target_archE942ELNS1_3gpuE9ELNS1_3repE0EEENS1_30default_config_static_selectorELNS0_4arch9wavefront6targetE0EEEvT1_.has_dyn_sized_stack, 0
	.set _ZN7rocprim17ROCPRIM_400000_NS6detail17trampoline_kernelINS0_14default_configENS1_25partition_config_selectorILNS1_17partition_subalgoE9EllbEEZZNS1_14partition_implILS5_9ELb0ES3_jPlS8_PNS0_10empty_typeENS0_5tupleIJS8_S9_EEENSB_IJS8_SA_EEENS0_18inequality_wrapperIZN2at6native12_GLOBAL__N_124unique_dim_cuda_templateIlEESt5tupleIJNSF_6TensorESK_SK_EERKSK_lbbbEUlllE0_EEPmJS9_EEE10hipError_tPvRmT3_T4_T5_T6_T7_T9_mT8_P12ihipStream_tbDpT10_ENKUlT_T0_E_clISt17integral_constantIbLb0EES1A_EEDaS15_S16_EUlS15_E_NS1_11comp_targetILNS1_3genE5ELNS1_11target_archE942ELNS1_3gpuE9ELNS1_3repE0EEENS1_30default_config_static_selectorELNS0_4arch9wavefront6targetE0EEEvT1_.has_recursion, 0
	.set _ZN7rocprim17ROCPRIM_400000_NS6detail17trampoline_kernelINS0_14default_configENS1_25partition_config_selectorILNS1_17partition_subalgoE9EllbEEZZNS1_14partition_implILS5_9ELb0ES3_jPlS8_PNS0_10empty_typeENS0_5tupleIJS8_S9_EEENSB_IJS8_SA_EEENS0_18inequality_wrapperIZN2at6native12_GLOBAL__N_124unique_dim_cuda_templateIlEESt5tupleIJNSF_6TensorESK_SK_EERKSK_lbbbEUlllE0_EEPmJS9_EEE10hipError_tPvRmT3_T4_T5_T6_T7_T9_mT8_P12ihipStream_tbDpT10_ENKUlT_T0_E_clISt17integral_constantIbLb0EES1A_EEDaS15_S16_EUlS15_E_NS1_11comp_targetILNS1_3genE5ELNS1_11target_archE942ELNS1_3gpuE9ELNS1_3repE0EEENS1_30default_config_static_selectorELNS0_4arch9wavefront6targetE0EEEvT1_.has_indirect_call, 0
	.section	.AMDGPU.csdata,"",@progbits
; Kernel info:
; codeLenInByte = 0
; TotalNumSgprs: 0
; NumVgprs: 0
; ScratchSize: 0
; MemoryBound: 0
; FloatMode: 240
; IeeeMode: 1
; LDSByteSize: 0 bytes/workgroup (compile time only)
; SGPRBlocks: 0
; VGPRBlocks: 0
; NumSGPRsForWavesPerEU: 1
; NumVGPRsForWavesPerEU: 1
; NamedBarCnt: 0
; Occupancy: 16
; WaveLimiterHint : 0
; COMPUTE_PGM_RSRC2:SCRATCH_EN: 0
; COMPUTE_PGM_RSRC2:USER_SGPR: 2
; COMPUTE_PGM_RSRC2:TRAP_HANDLER: 0
; COMPUTE_PGM_RSRC2:TGID_X_EN: 1
; COMPUTE_PGM_RSRC2:TGID_Y_EN: 0
; COMPUTE_PGM_RSRC2:TGID_Z_EN: 0
; COMPUTE_PGM_RSRC2:TIDIG_COMP_CNT: 0
	.section	.text._ZN7rocprim17ROCPRIM_400000_NS6detail17trampoline_kernelINS0_14default_configENS1_25partition_config_selectorILNS1_17partition_subalgoE9EllbEEZZNS1_14partition_implILS5_9ELb0ES3_jPlS8_PNS0_10empty_typeENS0_5tupleIJS8_S9_EEENSB_IJS8_SA_EEENS0_18inequality_wrapperIZN2at6native12_GLOBAL__N_124unique_dim_cuda_templateIlEESt5tupleIJNSF_6TensorESK_SK_EERKSK_lbbbEUlllE0_EEPmJS9_EEE10hipError_tPvRmT3_T4_T5_T6_T7_T9_mT8_P12ihipStream_tbDpT10_ENKUlT_T0_E_clISt17integral_constantIbLb0EES1A_EEDaS15_S16_EUlS15_E_NS1_11comp_targetILNS1_3genE4ELNS1_11target_archE910ELNS1_3gpuE8ELNS1_3repE0EEENS1_30default_config_static_selectorELNS0_4arch9wavefront6targetE0EEEvT1_,"axG",@progbits,_ZN7rocprim17ROCPRIM_400000_NS6detail17trampoline_kernelINS0_14default_configENS1_25partition_config_selectorILNS1_17partition_subalgoE9EllbEEZZNS1_14partition_implILS5_9ELb0ES3_jPlS8_PNS0_10empty_typeENS0_5tupleIJS8_S9_EEENSB_IJS8_SA_EEENS0_18inequality_wrapperIZN2at6native12_GLOBAL__N_124unique_dim_cuda_templateIlEESt5tupleIJNSF_6TensorESK_SK_EERKSK_lbbbEUlllE0_EEPmJS9_EEE10hipError_tPvRmT3_T4_T5_T6_T7_T9_mT8_P12ihipStream_tbDpT10_ENKUlT_T0_E_clISt17integral_constantIbLb0EES1A_EEDaS15_S16_EUlS15_E_NS1_11comp_targetILNS1_3genE4ELNS1_11target_archE910ELNS1_3gpuE8ELNS1_3repE0EEENS1_30default_config_static_selectorELNS0_4arch9wavefront6targetE0EEEvT1_,comdat
	.globl	_ZN7rocprim17ROCPRIM_400000_NS6detail17trampoline_kernelINS0_14default_configENS1_25partition_config_selectorILNS1_17partition_subalgoE9EllbEEZZNS1_14partition_implILS5_9ELb0ES3_jPlS8_PNS0_10empty_typeENS0_5tupleIJS8_S9_EEENSB_IJS8_SA_EEENS0_18inequality_wrapperIZN2at6native12_GLOBAL__N_124unique_dim_cuda_templateIlEESt5tupleIJNSF_6TensorESK_SK_EERKSK_lbbbEUlllE0_EEPmJS9_EEE10hipError_tPvRmT3_T4_T5_T6_T7_T9_mT8_P12ihipStream_tbDpT10_ENKUlT_T0_E_clISt17integral_constantIbLb0EES1A_EEDaS15_S16_EUlS15_E_NS1_11comp_targetILNS1_3genE4ELNS1_11target_archE910ELNS1_3gpuE8ELNS1_3repE0EEENS1_30default_config_static_selectorELNS0_4arch9wavefront6targetE0EEEvT1_ ; -- Begin function _ZN7rocprim17ROCPRIM_400000_NS6detail17trampoline_kernelINS0_14default_configENS1_25partition_config_selectorILNS1_17partition_subalgoE9EllbEEZZNS1_14partition_implILS5_9ELb0ES3_jPlS8_PNS0_10empty_typeENS0_5tupleIJS8_S9_EEENSB_IJS8_SA_EEENS0_18inequality_wrapperIZN2at6native12_GLOBAL__N_124unique_dim_cuda_templateIlEESt5tupleIJNSF_6TensorESK_SK_EERKSK_lbbbEUlllE0_EEPmJS9_EEE10hipError_tPvRmT3_T4_T5_T6_T7_T9_mT8_P12ihipStream_tbDpT10_ENKUlT_T0_E_clISt17integral_constantIbLb0EES1A_EEDaS15_S16_EUlS15_E_NS1_11comp_targetILNS1_3genE4ELNS1_11target_archE910ELNS1_3gpuE8ELNS1_3repE0EEENS1_30default_config_static_selectorELNS0_4arch9wavefront6targetE0EEEvT1_
	.p2align	8
	.type	_ZN7rocprim17ROCPRIM_400000_NS6detail17trampoline_kernelINS0_14default_configENS1_25partition_config_selectorILNS1_17partition_subalgoE9EllbEEZZNS1_14partition_implILS5_9ELb0ES3_jPlS8_PNS0_10empty_typeENS0_5tupleIJS8_S9_EEENSB_IJS8_SA_EEENS0_18inequality_wrapperIZN2at6native12_GLOBAL__N_124unique_dim_cuda_templateIlEESt5tupleIJNSF_6TensorESK_SK_EERKSK_lbbbEUlllE0_EEPmJS9_EEE10hipError_tPvRmT3_T4_T5_T6_T7_T9_mT8_P12ihipStream_tbDpT10_ENKUlT_T0_E_clISt17integral_constantIbLb0EES1A_EEDaS15_S16_EUlS15_E_NS1_11comp_targetILNS1_3genE4ELNS1_11target_archE910ELNS1_3gpuE8ELNS1_3repE0EEENS1_30default_config_static_selectorELNS0_4arch9wavefront6targetE0EEEvT1_,@function
_ZN7rocprim17ROCPRIM_400000_NS6detail17trampoline_kernelINS0_14default_configENS1_25partition_config_selectorILNS1_17partition_subalgoE9EllbEEZZNS1_14partition_implILS5_9ELb0ES3_jPlS8_PNS0_10empty_typeENS0_5tupleIJS8_S9_EEENSB_IJS8_SA_EEENS0_18inequality_wrapperIZN2at6native12_GLOBAL__N_124unique_dim_cuda_templateIlEESt5tupleIJNSF_6TensorESK_SK_EERKSK_lbbbEUlllE0_EEPmJS9_EEE10hipError_tPvRmT3_T4_T5_T6_T7_T9_mT8_P12ihipStream_tbDpT10_ENKUlT_T0_E_clISt17integral_constantIbLb0EES1A_EEDaS15_S16_EUlS15_E_NS1_11comp_targetILNS1_3genE4ELNS1_11target_archE910ELNS1_3gpuE8ELNS1_3repE0EEENS1_30default_config_static_selectorELNS0_4arch9wavefront6targetE0EEEvT1_: ; @_ZN7rocprim17ROCPRIM_400000_NS6detail17trampoline_kernelINS0_14default_configENS1_25partition_config_selectorILNS1_17partition_subalgoE9EllbEEZZNS1_14partition_implILS5_9ELb0ES3_jPlS8_PNS0_10empty_typeENS0_5tupleIJS8_S9_EEENSB_IJS8_SA_EEENS0_18inequality_wrapperIZN2at6native12_GLOBAL__N_124unique_dim_cuda_templateIlEESt5tupleIJNSF_6TensorESK_SK_EERKSK_lbbbEUlllE0_EEPmJS9_EEE10hipError_tPvRmT3_T4_T5_T6_T7_T9_mT8_P12ihipStream_tbDpT10_ENKUlT_T0_E_clISt17integral_constantIbLb0EES1A_EEDaS15_S16_EUlS15_E_NS1_11comp_targetILNS1_3genE4ELNS1_11target_archE910ELNS1_3gpuE8ELNS1_3repE0EEENS1_30default_config_static_selectorELNS0_4arch9wavefront6targetE0EEEvT1_
; %bb.0:
	.section	.rodata,"a",@progbits
	.p2align	6, 0x0
	.amdhsa_kernel _ZN7rocprim17ROCPRIM_400000_NS6detail17trampoline_kernelINS0_14default_configENS1_25partition_config_selectorILNS1_17partition_subalgoE9EllbEEZZNS1_14partition_implILS5_9ELb0ES3_jPlS8_PNS0_10empty_typeENS0_5tupleIJS8_S9_EEENSB_IJS8_SA_EEENS0_18inequality_wrapperIZN2at6native12_GLOBAL__N_124unique_dim_cuda_templateIlEESt5tupleIJNSF_6TensorESK_SK_EERKSK_lbbbEUlllE0_EEPmJS9_EEE10hipError_tPvRmT3_T4_T5_T6_T7_T9_mT8_P12ihipStream_tbDpT10_ENKUlT_T0_E_clISt17integral_constantIbLb0EES1A_EEDaS15_S16_EUlS15_E_NS1_11comp_targetILNS1_3genE4ELNS1_11target_archE910ELNS1_3gpuE8ELNS1_3repE0EEENS1_30default_config_static_selectorELNS0_4arch9wavefront6targetE0EEEvT1_
		.amdhsa_group_segment_fixed_size 0
		.amdhsa_private_segment_fixed_size 0
		.amdhsa_kernarg_size 120
		.amdhsa_user_sgpr_count 2
		.amdhsa_user_sgpr_dispatch_ptr 0
		.amdhsa_user_sgpr_queue_ptr 0
		.amdhsa_user_sgpr_kernarg_segment_ptr 1
		.amdhsa_user_sgpr_dispatch_id 0
		.amdhsa_user_sgpr_kernarg_preload_length 0
		.amdhsa_user_sgpr_kernarg_preload_offset 0
		.amdhsa_user_sgpr_private_segment_size 0
		.amdhsa_wavefront_size32 1
		.amdhsa_uses_dynamic_stack 0
		.amdhsa_enable_private_segment 0
		.amdhsa_system_sgpr_workgroup_id_x 1
		.amdhsa_system_sgpr_workgroup_id_y 0
		.amdhsa_system_sgpr_workgroup_id_z 0
		.amdhsa_system_sgpr_workgroup_info 0
		.amdhsa_system_vgpr_workitem_id 0
		.amdhsa_next_free_vgpr 1
		.amdhsa_next_free_sgpr 1
		.amdhsa_named_barrier_count 0
		.amdhsa_reserve_vcc 0
		.amdhsa_float_round_mode_32 0
		.amdhsa_float_round_mode_16_64 0
		.amdhsa_float_denorm_mode_32 3
		.amdhsa_float_denorm_mode_16_64 3
		.amdhsa_fp16_overflow 0
		.amdhsa_memory_ordered 1
		.amdhsa_forward_progress 1
		.amdhsa_inst_pref_size 0
		.amdhsa_round_robin_scheduling 0
		.amdhsa_exception_fp_ieee_invalid_op 0
		.amdhsa_exception_fp_denorm_src 0
		.amdhsa_exception_fp_ieee_div_zero 0
		.amdhsa_exception_fp_ieee_overflow 0
		.amdhsa_exception_fp_ieee_underflow 0
		.amdhsa_exception_fp_ieee_inexact 0
		.amdhsa_exception_int_div_zero 0
	.end_amdhsa_kernel
	.section	.text._ZN7rocprim17ROCPRIM_400000_NS6detail17trampoline_kernelINS0_14default_configENS1_25partition_config_selectorILNS1_17partition_subalgoE9EllbEEZZNS1_14partition_implILS5_9ELb0ES3_jPlS8_PNS0_10empty_typeENS0_5tupleIJS8_S9_EEENSB_IJS8_SA_EEENS0_18inequality_wrapperIZN2at6native12_GLOBAL__N_124unique_dim_cuda_templateIlEESt5tupleIJNSF_6TensorESK_SK_EERKSK_lbbbEUlllE0_EEPmJS9_EEE10hipError_tPvRmT3_T4_T5_T6_T7_T9_mT8_P12ihipStream_tbDpT10_ENKUlT_T0_E_clISt17integral_constantIbLb0EES1A_EEDaS15_S16_EUlS15_E_NS1_11comp_targetILNS1_3genE4ELNS1_11target_archE910ELNS1_3gpuE8ELNS1_3repE0EEENS1_30default_config_static_selectorELNS0_4arch9wavefront6targetE0EEEvT1_,"axG",@progbits,_ZN7rocprim17ROCPRIM_400000_NS6detail17trampoline_kernelINS0_14default_configENS1_25partition_config_selectorILNS1_17partition_subalgoE9EllbEEZZNS1_14partition_implILS5_9ELb0ES3_jPlS8_PNS0_10empty_typeENS0_5tupleIJS8_S9_EEENSB_IJS8_SA_EEENS0_18inequality_wrapperIZN2at6native12_GLOBAL__N_124unique_dim_cuda_templateIlEESt5tupleIJNSF_6TensorESK_SK_EERKSK_lbbbEUlllE0_EEPmJS9_EEE10hipError_tPvRmT3_T4_T5_T6_T7_T9_mT8_P12ihipStream_tbDpT10_ENKUlT_T0_E_clISt17integral_constantIbLb0EES1A_EEDaS15_S16_EUlS15_E_NS1_11comp_targetILNS1_3genE4ELNS1_11target_archE910ELNS1_3gpuE8ELNS1_3repE0EEENS1_30default_config_static_selectorELNS0_4arch9wavefront6targetE0EEEvT1_,comdat
.Lfunc_end597:
	.size	_ZN7rocprim17ROCPRIM_400000_NS6detail17trampoline_kernelINS0_14default_configENS1_25partition_config_selectorILNS1_17partition_subalgoE9EllbEEZZNS1_14partition_implILS5_9ELb0ES3_jPlS8_PNS0_10empty_typeENS0_5tupleIJS8_S9_EEENSB_IJS8_SA_EEENS0_18inequality_wrapperIZN2at6native12_GLOBAL__N_124unique_dim_cuda_templateIlEESt5tupleIJNSF_6TensorESK_SK_EERKSK_lbbbEUlllE0_EEPmJS9_EEE10hipError_tPvRmT3_T4_T5_T6_T7_T9_mT8_P12ihipStream_tbDpT10_ENKUlT_T0_E_clISt17integral_constantIbLb0EES1A_EEDaS15_S16_EUlS15_E_NS1_11comp_targetILNS1_3genE4ELNS1_11target_archE910ELNS1_3gpuE8ELNS1_3repE0EEENS1_30default_config_static_selectorELNS0_4arch9wavefront6targetE0EEEvT1_, .Lfunc_end597-_ZN7rocprim17ROCPRIM_400000_NS6detail17trampoline_kernelINS0_14default_configENS1_25partition_config_selectorILNS1_17partition_subalgoE9EllbEEZZNS1_14partition_implILS5_9ELb0ES3_jPlS8_PNS0_10empty_typeENS0_5tupleIJS8_S9_EEENSB_IJS8_SA_EEENS0_18inequality_wrapperIZN2at6native12_GLOBAL__N_124unique_dim_cuda_templateIlEESt5tupleIJNSF_6TensorESK_SK_EERKSK_lbbbEUlllE0_EEPmJS9_EEE10hipError_tPvRmT3_T4_T5_T6_T7_T9_mT8_P12ihipStream_tbDpT10_ENKUlT_T0_E_clISt17integral_constantIbLb0EES1A_EEDaS15_S16_EUlS15_E_NS1_11comp_targetILNS1_3genE4ELNS1_11target_archE910ELNS1_3gpuE8ELNS1_3repE0EEENS1_30default_config_static_selectorELNS0_4arch9wavefront6targetE0EEEvT1_
                                        ; -- End function
	.set _ZN7rocprim17ROCPRIM_400000_NS6detail17trampoline_kernelINS0_14default_configENS1_25partition_config_selectorILNS1_17partition_subalgoE9EllbEEZZNS1_14partition_implILS5_9ELb0ES3_jPlS8_PNS0_10empty_typeENS0_5tupleIJS8_S9_EEENSB_IJS8_SA_EEENS0_18inequality_wrapperIZN2at6native12_GLOBAL__N_124unique_dim_cuda_templateIlEESt5tupleIJNSF_6TensorESK_SK_EERKSK_lbbbEUlllE0_EEPmJS9_EEE10hipError_tPvRmT3_T4_T5_T6_T7_T9_mT8_P12ihipStream_tbDpT10_ENKUlT_T0_E_clISt17integral_constantIbLb0EES1A_EEDaS15_S16_EUlS15_E_NS1_11comp_targetILNS1_3genE4ELNS1_11target_archE910ELNS1_3gpuE8ELNS1_3repE0EEENS1_30default_config_static_selectorELNS0_4arch9wavefront6targetE0EEEvT1_.num_vgpr, 0
	.set _ZN7rocprim17ROCPRIM_400000_NS6detail17trampoline_kernelINS0_14default_configENS1_25partition_config_selectorILNS1_17partition_subalgoE9EllbEEZZNS1_14partition_implILS5_9ELb0ES3_jPlS8_PNS0_10empty_typeENS0_5tupleIJS8_S9_EEENSB_IJS8_SA_EEENS0_18inequality_wrapperIZN2at6native12_GLOBAL__N_124unique_dim_cuda_templateIlEESt5tupleIJNSF_6TensorESK_SK_EERKSK_lbbbEUlllE0_EEPmJS9_EEE10hipError_tPvRmT3_T4_T5_T6_T7_T9_mT8_P12ihipStream_tbDpT10_ENKUlT_T0_E_clISt17integral_constantIbLb0EES1A_EEDaS15_S16_EUlS15_E_NS1_11comp_targetILNS1_3genE4ELNS1_11target_archE910ELNS1_3gpuE8ELNS1_3repE0EEENS1_30default_config_static_selectorELNS0_4arch9wavefront6targetE0EEEvT1_.num_agpr, 0
	.set _ZN7rocprim17ROCPRIM_400000_NS6detail17trampoline_kernelINS0_14default_configENS1_25partition_config_selectorILNS1_17partition_subalgoE9EllbEEZZNS1_14partition_implILS5_9ELb0ES3_jPlS8_PNS0_10empty_typeENS0_5tupleIJS8_S9_EEENSB_IJS8_SA_EEENS0_18inequality_wrapperIZN2at6native12_GLOBAL__N_124unique_dim_cuda_templateIlEESt5tupleIJNSF_6TensorESK_SK_EERKSK_lbbbEUlllE0_EEPmJS9_EEE10hipError_tPvRmT3_T4_T5_T6_T7_T9_mT8_P12ihipStream_tbDpT10_ENKUlT_T0_E_clISt17integral_constantIbLb0EES1A_EEDaS15_S16_EUlS15_E_NS1_11comp_targetILNS1_3genE4ELNS1_11target_archE910ELNS1_3gpuE8ELNS1_3repE0EEENS1_30default_config_static_selectorELNS0_4arch9wavefront6targetE0EEEvT1_.numbered_sgpr, 0
	.set _ZN7rocprim17ROCPRIM_400000_NS6detail17trampoline_kernelINS0_14default_configENS1_25partition_config_selectorILNS1_17partition_subalgoE9EllbEEZZNS1_14partition_implILS5_9ELb0ES3_jPlS8_PNS0_10empty_typeENS0_5tupleIJS8_S9_EEENSB_IJS8_SA_EEENS0_18inequality_wrapperIZN2at6native12_GLOBAL__N_124unique_dim_cuda_templateIlEESt5tupleIJNSF_6TensorESK_SK_EERKSK_lbbbEUlllE0_EEPmJS9_EEE10hipError_tPvRmT3_T4_T5_T6_T7_T9_mT8_P12ihipStream_tbDpT10_ENKUlT_T0_E_clISt17integral_constantIbLb0EES1A_EEDaS15_S16_EUlS15_E_NS1_11comp_targetILNS1_3genE4ELNS1_11target_archE910ELNS1_3gpuE8ELNS1_3repE0EEENS1_30default_config_static_selectorELNS0_4arch9wavefront6targetE0EEEvT1_.num_named_barrier, 0
	.set _ZN7rocprim17ROCPRIM_400000_NS6detail17trampoline_kernelINS0_14default_configENS1_25partition_config_selectorILNS1_17partition_subalgoE9EllbEEZZNS1_14partition_implILS5_9ELb0ES3_jPlS8_PNS0_10empty_typeENS0_5tupleIJS8_S9_EEENSB_IJS8_SA_EEENS0_18inequality_wrapperIZN2at6native12_GLOBAL__N_124unique_dim_cuda_templateIlEESt5tupleIJNSF_6TensorESK_SK_EERKSK_lbbbEUlllE0_EEPmJS9_EEE10hipError_tPvRmT3_T4_T5_T6_T7_T9_mT8_P12ihipStream_tbDpT10_ENKUlT_T0_E_clISt17integral_constantIbLb0EES1A_EEDaS15_S16_EUlS15_E_NS1_11comp_targetILNS1_3genE4ELNS1_11target_archE910ELNS1_3gpuE8ELNS1_3repE0EEENS1_30default_config_static_selectorELNS0_4arch9wavefront6targetE0EEEvT1_.private_seg_size, 0
	.set _ZN7rocprim17ROCPRIM_400000_NS6detail17trampoline_kernelINS0_14default_configENS1_25partition_config_selectorILNS1_17partition_subalgoE9EllbEEZZNS1_14partition_implILS5_9ELb0ES3_jPlS8_PNS0_10empty_typeENS0_5tupleIJS8_S9_EEENSB_IJS8_SA_EEENS0_18inequality_wrapperIZN2at6native12_GLOBAL__N_124unique_dim_cuda_templateIlEESt5tupleIJNSF_6TensorESK_SK_EERKSK_lbbbEUlllE0_EEPmJS9_EEE10hipError_tPvRmT3_T4_T5_T6_T7_T9_mT8_P12ihipStream_tbDpT10_ENKUlT_T0_E_clISt17integral_constantIbLb0EES1A_EEDaS15_S16_EUlS15_E_NS1_11comp_targetILNS1_3genE4ELNS1_11target_archE910ELNS1_3gpuE8ELNS1_3repE0EEENS1_30default_config_static_selectorELNS0_4arch9wavefront6targetE0EEEvT1_.uses_vcc, 0
	.set _ZN7rocprim17ROCPRIM_400000_NS6detail17trampoline_kernelINS0_14default_configENS1_25partition_config_selectorILNS1_17partition_subalgoE9EllbEEZZNS1_14partition_implILS5_9ELb0ES3_jPlS8_PNS0_10empty_typeENS0_5tupleIJS8_S9_EEENSB_IJS8_SA_EEENS0_18inequality_wrapperIZN2at6native12_GLOBAL__N_124unique_dim_cuda_templateIlEESt5tupleIJNSF_6TensorESK_SK_EERKSK_lbbbEUlllE0_EEPmJS9_EEE10hipError_tPvRmT3_T4_T5_T6_T7_T9_mT8_P12ihipStream_tbDpT10_ENKUlT_T0_E_clISt17integral_constantIbLb0EES1A_EEDaS15_S16_EUlS15_E_NS1_11comp_targetILNS1_3genE4ELNS1_11target_archE910ELNS1_3gpuE8ELNS1_3repE0EEENS1_30default_config_static_selectorELNS0_4arch9wavefront6targetE0EEEvT1_.uses_flat_scratch, 0
	.set _ZN7rocprim17ROCPRIM_400000_NS6detail17trampoline_kernelINS0_14default_configENS1_25partition_config_selectorILNS1_17partition_subalgoE9EllbEEZZNS1_14partition_implILS5_9ELb0ES3_jPlS8_PNS0_10empty_typeENS0_5tupleIJS8_S9_EEENSB_IJS8_SA_EEENS0_18inequality_wrapperIZN2at6native12_GLOBAL__N_124unique_dim_cuda_templateIlEESt5tupleIJNSF_6TensorESK_SK_EERKSK_lbbbEUlllE0_EEPmJS9_EEE10hipError_tPvRmT3_T4_T5_T6_T7_T9_mT8_P12ihipStream_tbDpT10_ENKUlT_T0_E_clISt17integral_constantIbLb0EES1A_EEDaS15_S16_EUlS15_E_NS1_11comp_targetILNS1_3genE4ELNS1_11target_archE910ELNS1_3gpuE8ELNS1_3repE0EEENS1_30default_config_static_selectorELNS0_4arch9wavefront6targetE0EEEvT1_.has_dyn_sized_stack, 0
	.set _ZN7rocprim17ROCPRIM_400000_NS6detail17trampoline_kernelINS0_14default_configENS1_25partition_config_selectorILNS1_17partition_subalgoE9EllbEEZZNS1_14partition_implILS5_9ELb0ES3_jPlS8_PNS0_10empty_typeENS0_5tupleIJS8_S9_EEENSB_IJS8_SA_EEENS0_18inequality_wrapperIZN2at6native12_GLOBAL__N_124unique_dim_cuda_templateIlEESt5tupleIJNSF_6TensorESK_SK_EERKSK_lbbbEUlllE0_EEPmJS9_EEE10hipError_tPvRmT3_T4_T5_T6_T7_T9_mT8_P12ihipStream_tbDpT10_ENKUlT_T0_E_clISt17integral_constantIbLb0EES1A_EEDaS15_S16_EUlS15_E_NS1_11comp_targetILNS1_3genE4ELNS1_11target_archE910ELNS1_3gpuE8ELNS1_3repE0EEENS1_30default_config_static_selectorELNS0_4arch9wavefront6targetE0EEEvT1_.has_recursion, 0
	.set _ZN7rocprim17ROCPRIM_400000_NS6detail17trampoline_kernelINS0_14default_configENS1_25partition_config_selectorILNS1_17partition_subalgoE9EllbEEZZNS1_14partition_implILS5_9ELb0ES3_jPlS8_PNS0_10empty_typeENS0_5tupleIJS8_S9_EEENSB_IJS8_SA_EEENS0_18inequality_wrapperIZN2at6native12_GLOBAL__N_124unique_dim_cuda_templateIlEESt5tupleIJNSF_6TensorESK_SK_EERKSK_lbbbEUlllE0_EEPmJS9_EEE10hipError_tPvRmT3_T4_T5_T6_T7_T9_mT8_P12ihipStream_tbDpT10_ENKUlT_T0_E_clISt17integral_constantIbLb0EES1A_EEDaS15_S16_EUlS15_E_NS1_11comp_targetILNS1_3genE4ELNS1_11target_archE910ELNS1_3gpuE8ELNS1_3repE0EEENS1_30default_config_static_selectorELNS0_4arch9wavefront6targetE0EEEvT1_.has_indirect_call, 0
	.section	.AMDGPU.csdata,"",@progbits
; Kernel info:
; codeLenInByte = 0
; TotalNumSgprs: 0
; NumVgprs: 0
; ScratchSize: 0
; MemoryBound: 0
; FloatMode: 240
; IeeeMode: 1
; LDSByteSize: 0 bytes/workgroup (compile time only)
; SGPRBlocks: 0
; VGPRBlocks: 0
; NumSGPRsForWavesPerEU: 1
; NumVGPRsForWavesPerEU: 1
; NamedBarCnt: 0
; Occupancy: 16
; WaveLimiterHint : 0
; COMPUTE_PGM_RSRC2:SCRATCH_EN: 0
; COMPUTE_PGM_RSRC2:USER_SGPR: 2
; COMPUTE_PGM_RSRC2:TRAP_HANDLER: 0
; COMPUTE_PGM_RSRC2:TGID_X_EN: 1
; COMPUTE_PGM_RSRC2:TGID_Y_EN: 0
; COMPUTE_PGM_RSRC2:TGID_Z_EN: 0
; COMPUTE_PGM_RSRC2:TIDIG_COMP_CNT: 0
	.section	.text._ZN7rocprim17ROCPRIM_400000_NS6detail17trampoline_kernelINS0_14default_configENS1_25partition_config_selectorILNS1_17partition_subalgoE9EllbEEZZNS1_14partition_implILS5_9ELb0ES3_jPlS8_PNS0_10empty_typeENS0_5tupleIJS8_S9_EEENSB_IJS8_SA_EEENS0_18inequality_wrapperIZN2at6native12_GLOBAL__N_124unique_dim_cuda_templateIlEESt5tupleIJNSF_6TensorESK_SK_EERKSK_lbbbEUlllE0_EEPmJS9_EEE10hipError_tPvRmT3_T4_T5_T6_T7_T9_mT8_P12ihipStream_tbDpT10_ENKUlT_T0_E_clISt17integral_constantIbLb0EES1A_EEDaS15_S16_EUlS15_E_NS1_11comp_targetILNS1_3genE3ELNS1_11target_archE908ELNS1_3gpuE7ELNS1_3repE0EEENS1_30default_config_static_selectorELNS0_4arch9wavefront6targetE0EEEvT1_,"axG",@progbits,_ZN7rocprim17ROCPRIM_400000_NS6detail17trampoline_kernelINS0_14default_configENS1_25partition_config_selectorILNS1_17partition_subalgoE9EllbEEZZNS1_14partition_implILS5_9ELb0ES3_jPlS8_PNS0_10empty_typeENS0_5tupleIJS8_S9_EEENSB_IJS8_SA_EEENS0_18inequality_wrapperIZN2at6native12_GLOBAL__N_124unique_dim_cuda_templateIlEESt5tupleIJNSF_6TensorESK_SK_EERKSK_lbbbEUlllE0_EEPmJS9_EEE10hipError_tPvRmT3_T4_T5_T6_T7_T9_mT8_P12ihipStream_tbDpT10_ENKUlT_T0_E_clISt17integral_constantIbLb0EES1A_EEDaS15_S16_EUlS15_E_NS1_11comp_targetILNS1_3genE3ELNS1_11target_archE908ELNS1_3gpuE7ELNS1_3repE0EEENS1_30default_config_static_selectorELNS0_4arch9wavefront6targetE0EEEvT1_,comdat
	.globl	_ZN7rocprim17ROCPRIM_400000_NS6detail17trampoline_kernelINS0_14default_configENS1_25partition_config_selectorILNS1_17partition_subalgoE9EllbEEZZNS1_14partition_implILS5_9ELb0ES3_jPlS8_PNS0_10empty_typeENS0_5tupleIJS8_S9_EEENSB_IJS8_SA_EEENS0_18inequality_wrapperIZN2at6native12_GLOBAL__N_124unique_dim_cuda_templateIlEESt5tupleIJNSF_6TensorESK_SK_EERKSK_lbbbEUlllE0_EEPmJS9_EEE10hipError_tPvRmT3_T4_T5_T6_T7_T9_mT8_P12ihipStream_tbDpT10_ENKUlT_T0_E_clISt17integral_constantIbLb0EES1A_EEDaS15_S16_EUlS15_E_NS1_11comp_targetILNS1_3genE3ELNS1_11target_archE908ELNS1_3gpuE7ELNS1_3repE0EEENS1_30default_config_static_selectorELNS0_4arch9wavefront6targetE0EEEvT1_ ; -- Begin function _ZN7rocprim17ROCPRIM_400000_NS6detail17trampoline_kernelINS0_14default_configENS1_25partition_config_selectorILNS1_17partition_subalgoE9EllbEEZZNS1_14partition_implILS5_9ELb0ES3_jPlS8_PNS0_10empty_typeENS0_5tupleIJS8_S9_EEENSB_IJS8_SA_EEENS0_18inequality_wrapperIZN2at6native12_GLOBAL__N_124unique_dim_cuda_templateIlEESt5tupleIJNSF_6TensorESK_SK_EERKSK_lbbbEUlllE0_EEPmJS9_EEE10hipError_tPvRmT3_T4_T5_T6_T7_T9_mT8_P12ihipStream_tbDpT10_ENKUlT_T0_E_clISt17integral_constantIbLb0EES1A_EEDaS15_S16_EUlS15_E_NS1_11comp_targetILNS1_3genE3ELNS1_11target_archE908ELNS1_3gpuE7ELNS1_3repE0EEENS1_30default_config_static_selectorELNS0_4arch9wavefront6targetE0EEEvT1_
	.p2align	8
	.type	_ZN7rocprim17ROCPRIM_400000_NS6detail17trampoline_kernelINS0_14default_configENS1_25partition_config_selectorILNS1_17partition_subalgoE9EllbEEZZNS1_14partition_implILS5_9ELb0ES3_jPlS8_PNS0_10empty_typeENS0_5tupleIJS8_S9_EEENSB_IJS8_SA_EEENS0_18inequality_wrapperIZN2at6native12_GLOBAL__N_124unique_dim_cuda_templateIlEESt5tupleIJNSF_6TensorESK_SK_EERKSK_lbbbEUlllE0_EEPmJS9_EEE10hipError_tPvRmT3_T4_T5_T6_T7_T9_mT8_P12ihipStream_tbDpT10_ENKUlT_T0_E_clISt17integral_constantIbLb0EES1A_EEDaS15_S16_EUlS15_E_NS1_11comp_targetILNS1_3genE3ELNS1_11target_archE908ELNS1_3gpuE7ELNS1_3repE0EEENS1_30default_config_static_selectorELNS0_4arch9wavefront6targetE0EEEvT1_,@function
_ZN7rocprim17ROCPRIM_400000_NS6detail17trampoline_kernelINS0_14default_configENS1_25partition_config_selectorILNS1_17partition_subalgoE9EllbEEZZNS1_14partition_implILS5_9ELb0ES3_jPlS8_PNS0_10empty_typeENS0_5tupleIJS8_S9_EEENSB_IJS8_SA_EEENS0_18inequality_wrapperIZN2at6native12_GLOBAL__N_124unique_dim_cuda_templateIlEESt5tupleIJNSF_6TensorESK_SK_EERKSK_lbbbEUlllE0_EEPmJS9_EEE10hipError_tPvRmT3_T4_T5_T6_T7_T9_mT8_P12ihipStream_tbDpT10_ENKUlT_T0_E_clISt17integral_constantIbLb0EES1A_EEDaS15_S16_EUlS15_E_NS1_11comp_targetILNS1_3genE3ELNS1_11target_archE908ELNS1_3gpuE7ELNS1_3repE0EEENS1_30default_config_static_selectorELNS0_4arch9wavefront6targetE0EEEvT1_: ; @_ZN7rocprim17ROCPRIM_400000_NS6detail17trampoline_kernelINS0_14default_configENS1_25partition_config_selectorILNS1_17partition_subalgoE9EllbEEZZNS1_14partition_implILS5_9ELb0ES3_jPlS8_PNS0_10empty_typeENS0_5tupleIJS8_S9_EEENSB_IJS8_SA_EEENS0_18inequality_wrapperIZN2at6native12_GLOBAL__N_124unique_dim_cuda_templateIlEESt5tupleIJNSF_6TensorESK_SK_EERKSK_lbbbEUlllE0_EEPmJS9_EEE10hipError_tPvRmT3_T4_T5_T6_T7_T9_mT8_P12ihipStream_tbDpT10_ENKUlT_T0_E_clISt17integral_constantIbLb0EES1A_EEDaS15_S16_EUlS15_E_NS1_11comp_targetILNS1_3genE3ELNS1_11target_archE908ELNS1_3gpuE7ELNS1_3repE0EEENS1_30default_config_static_selectorELNS0_4arch9wavefront6targetE0EEEvT1_
; %bb.0:
	.section	.rodata,"a",@progbits
	.p2align	6, 0x0
	.amdhsa_kernel _ZN7rocprim17ROCPRIM_400000_NS6detail17trampoline_kernelINS0_14default_configENS1_25partition_config_selectorILNS1_17partition_subalgoE9EllbEEZZNS1_14partition_implILS5_9ELb0ES3_jPlS8_PNS0_10empty_typeENS0_5tupleIJS8_S9_EEENSB_IJS8_SA_EEENS0_18inequality_wrapperIZN2at6native12_GLOBAL__N_124unique_dim_cuda_templateIlEESt5tupleIJNSF_6TensorESK_SK_EERKSK_lbbbEUlllE0_EEPmJS9_EEE10hipError_tPvRmT3_T4_T5_T6_T7_T9_mT8_P12ihipStream_tbDpT10_ENKUlT_T0_E_clISt17integral_constantIbLb0EES1A_EEDaS15_S16_EUlS15_E_NS1_11comp_targetILNS1_3genE3ELNS1_11target_archE908ELNS1_3gpuE7ELNS1_3repE0EEENS1_30default_config_static_selectorELNS0_4arch9wavefront6targetE0EEEvT1_
		.amdhsa_group_segment_fixed_size 0
		.amdhsa_private_segment_fixed_size 0
		.amdhsa_kernarg_size 120
		.amdhsa_user_sgpr_count 2
		.amdhsa_user_sgpr_dispatch_ptr 0
		.amdhsa_user_sgpr_queue_ptr 0
		.amdhsa_user_sgpr_kernarg_segment_ptr 1
		.amdhsa_user_sgpr_dispatch_id 0
		.amdhsa_user_sgpr_kernarg_preload_length 0
		.amdhsa_user_sgpr_kernarg_preload_offset 0
		.amdhsa_user_sgpr_private_segment_size 0
		.amdhsa_wavefront_size32 1
		.amdhsa_uses_dynamic_stack 0
		.amdhsa_enable_private_segment 0
		.amdhsa_system_sgpr_workgroup_id_x 1
		.amdhsa_system_sgpr_workgroup_id_y 0
		.amdhsa_system_sgpr_workgroup_id_z 0
		.amdhsa_system_sgpr_workgroup_info 0
		.amdhsa_system_vgpr_workitem_id 0
		.amdhsa_next_free_vgpr 1
		.amdhsa_next_free_sgpr 1
		.amdhsa_named_barrier_count 0
		.amdhsa_reserve_vcc 0
		.amdhsa_float_round_mode_32 0
		.amdhsa_float_round_mode_16_64 0
		.amdhsa_float_denorm_mode_32 3
		.amdhsa_float_denorm_mode_16_64 3
		.amdhsa_fp16_overflow 0
		.amdhsa_memory_ordered 1
		.amdhsa_forward_progress 1
		.amdhsa_inst_pref_size 0
		.amdhsa_round_robin_scheduling 0
		.amdhsa_exception_fp_ieee_invalid_op 0
		.amdhsa_exception_fp_denorm_src 0
		.amdhsa_exception_fp_ieee_div_zero 0
		.amdhsa_exception_fp_ieee_overflow 0
		.amdhsa_exception_fp_ieee_underflow 0
		.amdhsa_exception_fp_ieee_inexact 0
		.amdhsa_exception_int_div_zero 0
	.end_amdhsa_kernel
	.section	.text._ZN7rocprim17ROCPRIM_400000_NS6detail17trampoline_kernelINS0_14default_configENS1_25partition_config_selectorILNS1_17partition_subalgoE9EllbEEZZNS1_14partition_implILS5_9ELb0ES3_jPlS8_PNS0_10empty_typeENS0_5tupleIJS8_S9_EEENSB_IJS8_SA_EEENS0_18inequality_wrapperIZN2at6native12_GLOBAL__N_124unique_dim_cuda_templateIlEESt5tupleIJNSF_6TensorESK_SK_EERKSK_lbbbEUlllE0_EEPmJS9_EEE10hipError_tPvRmT3_T4_T5_T6_T7_T9_mT8_P12ihipStream_tbDpT10_ENKUlT_T0_E_clISt17integral_constantIbLb0EES1A_EEDaS15_S16_EUlS15_E_NS1_11comp_targetILNS1_3genE3ELNS1_11target_archE908ELNS1_3gpuE7ELNS1_3repE0EEENS1_30default_config_static_selectorELNS0_4arch9wavefront6targetE0EEEvT1_,"axG",@progbits,_ZN7rocprim17ROCPRIM_400000_NS6detail17trampoline_kernelINS0_14default_configENS1_25partition_config_selectorILNS1_17partition_subalgoE9EllbEEZZNS1_14partition_implILS5_9ELb0ES3_jPlS8_PNS0_10empty_typeENS0_5tupleIJS8_S9_EEENSB_IJS8_SA_EEENS0_18inequality_wrapperIZN2at6native12_GLOBAL__N_124unique_dim_cuda_templateIlEESt5tupleIJNSF_6TensorESK_SK_EERKSK_lbbbEUlllE0_EEPmJS9_EEE10hipError_tPvRmT3_T4_T5_T6_T7_T9_mT8_P12ihipStream_tbDpT10_ENKUlT_T0_E_clISt17integral_constantIbLb0EES1A_EEDaS15_S16_EUlS15_E_NS1_11comp_targetILNS1_3genE3ELNS1_11target_archE908ELNS1_3gpuE7ELNS1_3repE0EEENS1_30default_config_static_selectorELNS0_4arch9wavefront6targetE0EEEvT1_,comdat
.Lfunc_end598:
	.size	_ZN7rocprim17ROCPRIM_400000_NS6detail17trampoline_kernelINS0_14default_configENS1_25partition_config_selectorILNS1_17partition_subalgoE9EllbEEZZNS1_14partition_implILS5_9ELb0ES3_jPlS8_PNS0_10empty_typeENS0_5tupleIJS8_S9_EEENSB_IJS8_SA_EEENS0_18inequality_wrapperIZN2at6native12_GLOBAL__N_124unique_dim_cuda_templateIlEESt5tupleIJNSF_6TensorESK_SK_EERKSK_lbbbEUlllE0_EEPmJS9_EEE10hipError_tPvRmT3_T4_T5_T6_T7_T9_mT8_P12ihipStream_tbDpT10_ENKUlT_T0_E_clISt17integral_constantIbLb0EES1A_EEDaS15_S16_EUlS15_E_NS1_11comp_targetILNS1_3genE3ELNS1_11target_archE908ELNS1_3gpuE7ELNS1_3repE0EEENS1_30default_config_static_selectorELNS0_4arch9wavefront6targetE0EEEvT1_, .Lfunc_end598-_ZN7rocprim17ROCPRIM_400000_NS6detail17trampoline_kernelINS0_14default_configENS1_25partition_config_selectorILNS1_17partition_subalgoE9EllbEEZZNS1_14partition_implILS5_9ELb0ES3_jPlS8_PNS0_10empty_typeENS0_5tupleIJS8_S9_EEENSB_IJS8_SA_EEENS0_18inequality_wrapperIZN2at6native12_GLOBAL__N_124unique_dim_cuda_templateIlEESt5tupleIJNSF_6TensorESK_SK_EERKSK_lbbbEUlllE0_EEPmJS9_EEE10hipError_tPvRmT3_T4_T5_T6_T7_T9_mT8_P12ihipStream_tbDpT10_ENKUlT_T0_E_clISt17integral_constantIbLb0EES1A_EEDaS15_S16_EUlS15_E_NS1_11comp_targetILNS1_3genE3ELNS1_11target_archE908ELNS1_3gpuE7ELNS1_3repE0EEENS1_30default_config_static_selectorELNS0_4arch9wavefront6targetE0EEEvT1_
                                        ; -- End function
	.set _ZN7rocprim17ROCPRIM_400000_NS6detail17trampoline_kernelINS0_14default_configENS1_25partition_config_selectorILNS1_17partition_subalgoE9EllbEEZZNS1_14partition_implILS5_9ELb0ES3_jPlS8_PNS0_10empty_typeENS0_5tupleIJS8_S9_EEENSB_IJS8_SA_EEENS0_18inequality_wrapperIZN2at6native12_GLOBAL__N_124unique_dim_cuda_templateIlEESt5tupleIJNSF_6TensorESK_SK_EERKSK_lbbbEUlllE0_EEPmJS9_EEE10hipError_tPvRmT3_T4_T5_T6_T7_T9_mT8_P12ihipStream_tbDpT10_ENKUlT_T0_E_clISt17integral_constantIbLb0EES1A_EEDaS15_S16_EUlS15_E_NS1_11comp_targetILNS1_3genE3ELNS1_11target_archE908ELNS1_3gpuE7ELNS1_3repE0EEENS1_30default_config_static_selectorELNS0_4arch9wavefront6targetE0EEEvT1_.num_vgpr, 0
	.set _ZN7rocprim17ROCPRIM_400000_NS6detail17trampoline_kernelINS0_14default_configENS1_25partition_config_selectorILNS1_17partition_subalgoE9EllbEEZZNS1_14partition_implILS5_9ELb0ES3_jPlS8_PNS0_10empty_typeENS0_5tupleIJS8_S9_EEENSB_IJS8_SA_EEENS0_18inequality_wrapperIZN2at6native12_GLOBAL__N_124unique_dim_cuda_templateIlEESt5tupleIJNSF_6TensorESK_SK_EERKSK_lbbbEUlllE0_EEPmJS9_EEE10hipError_tPvRmT3_T4_T5_T6_T7_T9_mT8_P12ihipStream_tbDpT10_ENKUlT_T0_E_clISt17integral_constantIbLb0EES1A_EEDaS15_S16_EUlS15_E_NS1_11comp_targetILNS1_3genE3ELNS1_11target_archE908ELNS1_3gpuE7ELNS1_3repE0EEENS1_30default_config_static_selectorELNS0_4arch9wavefront6targetE0EEEvT1_.num_agpr, 0
	.set _ZN7rocprim17ROCPRIM_400000_NS6detail17trampoline_kernelINS0_14default_configENS1_25partition_config_selectorILNS1_17partition_subalgoE9EllbEEZZNS1_14partition_implILS5_9ELb0ES3_jPlS8_PNS0_10empty_typeENS0_5tupleIJS8_S9_EEENSB_IJS8_SA_EEENS0_18inequality_wrapperIZN2at6native12_GLOBAL__N_124unique_dim_cuda_templateIlEESt5tupleIJNSF_6TensorESK_SK_EERKSK_lbbbEUlllE0_EEPmJS9_EEE10hipError_tPvRmT3_T4_T5_T6_T7_T9_mT8_P12ihipStream_tbDpT10_ENKUlT_T0_E_clISt17integral_constantIbLb0EES1A_EEDaS15_S16_EUlS15_E_NS1_11comp_targetILNS1_3genE3ELNS1_11target_archE908ELNS1_3gpuE7ELNS1_3repE0EEENS1_30default_config_static_selectorELNS0_4arch9wavefront6targetE0EEEvT1_.numbered_sgpr, 0
	.set _ZN7rocprim17ROCPRIM_400000_NS6detail17trampoline_kernelINS0_14default_configENS1_25partition_config_selectorILNS1_17partition_subalgoE9EllbEEZZNS1_14partition_implILS5_9ELb0ES3_jPlS8_PNS0_10empty_typeENS0_5tupleIJS8_S9_EEENSB_IJS8_SA_EEENS0_18inequality_wrapperIZN2at6native12_GLOBAL__N_124unique_dim_cuda_templateIlEESt5tupleIJNSF_6TensorESK_SK_EERKSK_lbbbEUlllE0_EEPmJS9_EEE10hipError_tPvRmT3_T4_T5_T6_T7_T9_mT8_P12ihipStream_tbDpT10_ENKUlT_T0_E_clISt17integral_constantIbLb0EES1A_EEDaS15_S16_EUlS15_E_NS1_11comp_targetILNS1_3genE3ELNS1_11target_archE908ELNS1_3gpuE7ELNS1_3repE0EEENS1_30default_config_static_selectorELNS0_4arch9wavefront6targetE0EEEvT1_.num_named_barrier, 0
	.set _ZN7rocprim17ROCPRIM_400000_NS6detail17trampoline_kernelINS0_14default_configENS1_25partition_config_selectorILNS1_17partition_subalgoE9EllbEEZZNS1_14partition_implILS5_9ELb0ES3_jPlS8_PNS0_10empty_typeENS0_5tupleIJS8_S9_EEENSB_IJS8_SA_EEENS0_18inequality_wrapperIZN2at6native12_GLOBAL__N_124unique_dim_cuda_templateIlEESt5tupleIJNSF_6TensorESK_SK_EERKSK_lbbbEUlllE0_EEPmJS9_EEE10hipError_tPvRmT3_T4_T5_T6_T7_T9_mT8_P12ihipStream_tbDpT10_ENKUlT_T0_E_clISt17integral_constantIbLb0EES1A_EEDaS15_S16_EUlS15_E_NS1_11comp_targetILNS1_3genE3ELNS1_11target_archE908ELNS1_3gpuE7ELNS1_3repE0EEENS1_30default_config_static_selectorELNS0_4arch9wavefront6targetE0EEEvT1_.private_seg_size, 0
	.set _ZN7rocprim17ROCPRIM_400000_NS6detail17trampoline_kernelINS0_14default_configENS1_25partition_config_selectorILNS1_17partition_subalgoE9EllbEEZZNS1_14partition_implILS5_9ELb0ES3_jPlS8_PNS0_10empty_typeENS0_5tupleIJS8_S9_EEENSB_IJS8_SA_EEENS0_18inequality_wrapperIZN2at6native12_GLOBAL__N_124unique_dim_cuda_templateIlEESt5tupleIJNSF_6TensorESK_SK_EERKSK_lbbbEUlllE0_EEPmJS9_EEE10hipError_tPvRmT3_T4_T5_T6_T7_T9_mT8_P12ihipStream_tbDpT10_ENKUlT_T0_E_clISt17integral_constantIbLb0EES1A_EEDaS15_S16_EUlS15_E_NS1_11comp_targetILNS1_3genE3ELNS1_11target_archE908ELNS1_3gpuE7ELNS1_3repE0EEENS1_30default_config_static_selectorELNS0_4arch9wavefront6targetE0EEEvT1_.uses_vcc, 0
	.set _ZN7rocprim17ROCPRIM_400000_NS6detail17trampoline_kernelINS0_14default_configENS1_25partition_config_selectorILNS1_17partition_subalgoE9EllbEEZZNS1_14partition_implILS5_9ELb0ES3_jPlS8_PNS0_10empty_typeENS0_5tupleIJS8_S9_EEENSB_IJS8_SA_EEENS0_18inequality_wrapperIZN2at6native12_GLOBAL__N_124unique_dim_cuda_templateIlEESt5tupleIJNSF_6TensorESK_SK_EERKSK_lbbbEUlllE0_EEPmJS9_EEE10hipError_tPvRmT3_T4_T5_T6_T7_T9_mT8_P12ihipStream_tbDpT10_ENKUlT_T0_E_clISt17integral_constantIbLb0EES1A_EEDaS15_S16_EUlS15_E_NS1_11comp_targetILNS1_3genE3ELNS1_11target_archE908ELNS1_3gpuE7ELNS1_3repE0EEENS1_30default_config_static_selectorELNS0_4arch9wavefront6targetE0EEEvT1_.uses_flat_scratch, 0
	.set _ZN7rocprim17ROCPRIM_400000_NS6detail17trampoline_kernelINS0_14default_configENS1_25partition_config_selectorILNS1_17partition_subalgoE9EllbEEZZNS1_14partition_implILS5_9ELb0ES3_jPlS8_PNS0_10empty_typeENS0_5tupleIJS8_S9_EEENSB_IJS8_SA_EEENS0_18inequality_wrapperIZN2at6native12_GLOBAL__N_124unique_dim_cuda_templateIlEESt5tupleIJNSF_6TensorESK_SK_EERKSK_lbbbEUlllE0_EEPmJS9_EEE10hipError_tPvRmT3_T4_T5_T6_T7_T9_mT8_P12ihipStream_tbDpT10_ENKUlT_T0_E_clISt17integral_constantIbLb0EES1A_EEDaS15_S16_EUlS15_E_NS1_11comp_targetILNS1_3genE3ELNS1_11target_archE908ELNS1_3gpuE7ELNS1_3repE0EEENS1_30default_config_static_selectorELNS0_4arch9wavefront6targetE0EEEvT1_.has_dyn_sized_stack, 0
	.set _ZN7rocprim17ROCPRIM_400000_NS6detail17trampoline_kernelINS0_14default_configENS1_25partition_config_selectorILNS1_17partition_subalgoE9EllbEEZZNS1_14partition_implILS5_9ELb0ES3_jPlS8_PNS0_10empty_typeENS0_5tupleIJS8_S9_EEENSB_IJS8_SA_EEENS0_18inequality_wrapperIZN2at6native12_GLOBAL__N_124unique_dim_cuda_templateIlEESt5tupleIJNSF_6TensorESK_SK_EERKSK_lbbbEUlllE0_EEPmJS9_EEE10hipError_tPvRmT3_T4_T5_T6_T7_T9_mT8_P12ihipStream_tbDpT10_ENKUlT_T0_E_clISt17integral_constantIbLb0EES1A_EEDaS15_S16_EUlS15_E_NS1_11comp_targetILNS1_3genE3ELNS1_11target_archE908ELNS1_3gpuE7ELNS1_3repE0EEENS1_30default_config_static_selectorELNS0_4arch9wavefront6targetE0EEEvT1_.has_recursion, 0
	.set _ZN7rocprim17ROCPRIM_400000_NS6detail17trampoline_kernelINS0_14default_configENS1_25partition_config_selectorILNS1_17partition_subalgoE9EllbEEZZNS1_14partition_implILS5_9ELb0ES3_jPlS8_PNS0_10empty_typeENS0_5tupleIJS8_S9_EEENSB_IJS8_SA_EEENS0_18inequality_wrapperIZN2at6native12_GLOBAL__N_124unique_dim_cuda_templateIlEESt5tupleIJNSF_6TensorESK_SK_EERKSK_lbbbEUlllE0_EEPmJS9_EEE10hipError_tPvRmT3_T4_T5_T6_T7_T9_mT8_P12ihipStream_tbDpT10_ENKUlT_T0_E_clISt17integral_constantIbLb0EES1A_EEDaS15_S16_EUlS15_E_NS1_11comp_targetILNS1_3genE3ELNS1_11target_archE908ELNS1_3gpuE7ELNS1_3repE0EEENS1_30default_config_static_selectorELNS0_4arch9wavefront6targetE0EEEvT1_.has_indirect_call, 0
	.section	.AMDGPU.csdata,"",@progbits
; Kernel info:
; codeLenInByte = 0
; TotalNumSgprs: 0
; NumVgprs: 0
; ScratchSize: 0
; MemoryBound: 0
; FloatMode: 240
; IeeeMode: 1
; LDSByteSize: 0 bytes/workgroup (compile time only)
; SGPRBlocks: 0
; VGPRBlocks: 0
; NumSGPRsForWavesPerEU: 1
; NumVGPRsForWavesPerEU: 1
; NamedBarCnt: 0
; Occupancy: 16
; WaveLimiterHint : 0
; COMPUTE_PGM_RSRC2:SCRATCH_EN: 0
; COMPUTE_PGM_RSRC2:USER_SGPR: 2
; COMPUTE_PGM_RSRC2:TRAP_HANDLER: 0
; COMPUTE_PGM_RSRC2:TGID_X_EN: 1
; COMPUTE_PGM_RSRC2:TGID_Y_EN: 0
; COMPUTE_PGM_RSRC2:TGID_Z_EN: 0
; COMPUTE_PGM_RSRC2:TIDIG_COMP_CNT: 0
	.section	.text._ZN7rocprim17ROCPRIM_400000_NS6detail17trampoline_kernelINS0_14default_configENS1_25partition_config_selectorILNS1_17partition_subalgoE9EllbEEZZNS1_14partition_implILS5_9ELb0ES3_jPlS8_PNS0_10empty_typeENS0_5tupleIJS8_S9_EEENSB_IJS8_SA_EEENS0_18inequality_wrapperIZN2at6native12_GLOBAL__N_124unique_dim_cuda_templateIlEESt5tupleIJNSF_6TensorESK_SK_EERKSK_lbbbEUlllE0_EEPmJS9_EEE10hipError_tPvRmT3_T4_T5_T6_T7_T9_mT8_P12ihipStream_tbDpT10_ENKUlT_T0_E_clISt17integral_constantIbLb0EES1A_EEDaS15_S16_EUlS15_E_NS1_11comp_targetILNS1_3genE2ELNS1_11target_archE906ELNS1_3gpuE6ELNS1_3repE0EEENS1_30default_config_static_selectorELNS0_4arch9wavefront6targetE0EEEvT1_,"axG",@progbits,_ZN7rocprim17ROCPRIM_400000_NS6detail17trampoline_kernelINS0_14default_configENS1_25partition_config_selectorILNS1_17partition_subalgoE9EllbEEZZNS1_14partition_implILS5_9ELb0ES3_jPlS8_PNS0_10empty_typeENS0_5tupleIJS8_S9_EEENSB_IJS8_SA_EEENS0_18inequality_wrapperIZN2at6native12_GLOBAL__N_124unique_dim_cuda_templateIlEESt5tupleIJNSF_6TensorESK_SK_EERKSK_lbbbEUlllE0_EEPmJS9_EEE10hipError_tPvRmT3_T4_T5_T6_T7_T9_mT8_P12ihipStream_tbDpT10_ENKUlT_T0_E_clISt17integral_constantIbLb0EES1A_EEDaS15_S16_EUlS15_E_NS1_11comp_targetILNS1_3genE2ELNS1_11target_archE906ELNS1_3gpuE6ELNS1_3repE0EEENS1_30default_config_static_selectorELNS0_4arch9wavefront6targetE0EEEvT1_,comdat
	.globl	_ZN7rocprim17ROCPRIM_400000_NS6detail17trampoline_kernelINS0_14default_configENS1_25partition_config_selectorILNS1_17partition_subalgoE9EllbEEZZNS1_14partition_implILS5_9ELb0ES3_jPlS8_PNS0_10empty_typeENS0_5tupleIJS8_S9_EEENSB_IJS8_SA_EEENS0_18inequality_wrapperIZN2at6native12_GLOBAL__N_124unique_dim_cuda_templateIlEESt5tupleIJNSF_6TensorESK_SK_EERKSK_lbbbEUlllE0_EEPmJS9_EEE10hipError_tPvRmT3_T4_T5_T6_T7_T9_mT8_P12ihipStream_tbDpT10_ENKUlT_T0_E_clISt17integral_constantIbLb0EES1A_EEDaS15_S16_EUlS15_E_NS1_11comp_targetILNS1_3genE2ELNS1_11target_archE906ELNS1_3gpuE6ELNS1_3repE0EEENS1_30default_config_static_selectorELNS0_4arch9wavefront6targetE0EEEvT1_ ; -- Begin function _ZN7rocprim17ROCPRIM_400000_NS6detail17trampoline_kernelINS0_14default_configENS1_25partition_config_selectorILNS1_17partition_subalgoE9EllbEEZZNS1_14partition_implILS5_9ELb0ES3_jPlS8_PNS0_10empty_typeENS0_5tupleIJS8_S9_EEENSB_IJS8_SA_EEENS0_18inequality_wrapperIZN2at6native12_GLOBAL__N_124unique_dim_cuda_templateIlEESt5tupleIJNSF_6TensorESK_SK_EERKSK_lbbbEUlllE0_EEPmJS9_EEE10hipError_tPvRmT3_T4_T5_T6_T7_T9_mT8_P12ihipStream_tbDpT10_ENKUlT_T0_E_clISt17integral_constantIbLb0EES1A_EEDaS15_S16_EUlS15_E_NS1_11comp_targetILNS1_3genE2ELNS1_11target_archE906ELNS1_3gpuE6ELNS1_3repE0EEENS1_30default_config_static_selectorELNS0_4arch9wavefront6targetE0EEEvT1_
	.p2align	8
	.type	_ZN7rocprim17ROCPRIM_400000_NS6detail17trampoline_kernelINS0_14default_configENS1_25partition_config_selectorILNS1_17partition_subalgoE9EllbEEZZNS1_14partition_implILS5_9ELb0ES3_jPlS8_PNS0_10empty_typeENS0_5tupleIJS8_S9_EEENSB_IJS8_SA_EEENS0_18inequality_wrapperIZN2at6native12_GLOBAL__N_124unique_dim_cuda_templateIlEESt5tupleIJNSF_6TensorESK_SK_EERKSK_lbbbEUlllE0_EEPmJS9_EEE10hipError_tPvRmT3_T4_T5_T6_T7_T9_mT8_P12ihipStream_tbDpT10_ENKUlT_T0_E_clISt17integral_constantIbLb0EES1A_EEDaS15_S16_EUlS15_E_NS1_11comp_targetILNS1_3genE2ELNS1_11target_archE906ELNS1_3gpuE6ELNS1_3repE0EEENS1_30default_config_static_selectorELNS0_4arch9wavefront6targetE0EEEvT1_,@function
_ZN7rocprim17ROCPRIM_400000_NS6detail17trampoline_kernelINS0_14default_configENS1_25partition_config_selectorILNS1_17partition_subalgoE9EllbEEZZNS1_14partition_implILS5_9ELb0ES3_jPlS8_PNS0_10empty_typeENS0_5tupleIJS8_S9_EEENSB_IJS8_SA_EEENS0_18inequality_wrapperIZN2at6native12_GLOBAL__N_124unique_dim_cuda_templateIlEESt5tupleIJNSF_6TensorESK_SK_EERKSK_lbbbEUlllE0_EEPmJS9_EEE10hipError_tPvRmT3_T4_T5_T6_T7_T9_mT8_P12ihipStream_tbDpT10_ENKUlT_T0_E_clISt17integral_constantIbLb0EES1A_EEDaS15_S16_EUlS15_E_NS1_11comp_targetILNS1_3genE2ELNS1_11target_archE906ELNS1_3gpuE6ELNS1_3repE0EEENS1_30default_config_static_selectorELNS0_4arch9wavefront6targetE0EEEvT1_: ; @_ZN7rocprim17ROCPRIM_400000_NS6detail17trampoline_kernelINS0_14default_configENS1_25partition_config_selectorILNS1_17partition_subalgoE9EllbEEZZNS1_14partition_implILS5_9ELb0ES3_jPlS8_PNS0_10empty_typeENS0_5tupleIJS8_S9_EEENSB_IJS8_SA_EEENS0_18inequality_wrapperIZN2at6native12_GLOBAL__N_124unique_dim_cuda_templateIlEESt5tupleIJNSF_6TensorESK_SK_EERKSK_lbbbEUlllE0_EEPmJS9_EEE10hipError_tPvRmT3_T4_T5_T6_T7_T9_mT8_P12ihipStream_tbDpT10_ENKUlT_T0_E_clISt17integral_constantIbLb0EES1A_EEDaS15_S16_EUlS15_E_NS1_11comp_targetILNS1_3genE2ELNS1_11target_archE906ELNS1_3gpuE6ELNS1_3repE0EEENS1_30default_config_static_selectorELNS0_4arch9wavefront6targetE0EEEvT1_
; %bb.0:
	.section	.rodata,"a",@progbits
	.p2align	6, 0x0
	.amdhsa_kernel _ZN7rocprim17ROCPRIM_400000_NS6detail17trampoline_kernelINS0_14default_configENS1_25partition_config_selectorILNS1_17partition_subalgoE9EllbEEZZNS1_14partition_implILS5_9ELb0ES3_jPlS8_PNS0_10empty_typeENS0_5tupleIJS8_S9_EEENSB_IJS8_SA_EEENS0_18inequality_wrapperIZN2at6native12_GLOBAL__N_124unique_dim_cuda_templateIlEESt5tupleIJNSF_6TensorESK_SK_EERKSK_lbbbEUlllE0_EEPmJS9_EEE10hipError_tPvRmT3_T4_T5_T6_T7_T9_mT8_P12ihipStream_tbDpT10_ENKUlT_T0_E_clISt17integral_constantIbLb0EES1A_EEDaS15_S16_EUlS15_E_NS1_11comp_targetILNS1_3genE2ELNS1_11target_archE906ELNS1_3gpuE6ELNS1_3repE0EEENS1_30default_config_static_selectorELNS0_4arch9wavefront6targetE0EEEvT1_
		.amdhsa_group_segment_fixed_size 0
		.amdhsa_private_segment_fixed_size 0
		.amdhsa_kernarg_size 120
		.amdhsa_user_sgpr_count 2
		.amdhsa_user_sgpr_dispatch_ptr 0
		.amdhsa_user_sgpr_queue_ptr 0
		.amdhsa_user_sgpr_kernarg_segment_ptr 1
		.amdhsa_user_sgpr_dispatch_id 0
		.amdhsa_user_sgpr_kernarg_preload_length 0
		.amdhsa_user_sgpr_kernarg_preload_offset 0
		.amdhsa_user_sgpr_private_segment_size 0
		.amdhsa_wavefront_size32 1
		.amdhsa_uses_dynamic_stack 0
		.amdhsa_enable_private_segment 0
		.amdhsa_system_sgpr_workgroup_id_x 1
		.amdhsa_system_sgpr_workgroup_id_y 0
		.amdhsa_system_sgpr_workgroup_id_z 0
		.amdhsa_system_sgpr_workgroup_info 0
		.amdhsa_system_vgpr_workitem_id 0
		.amdhsa_next_free_vgpr 1
		.amdhsa_next_free_sgpr 1
		.amdhsa_named_barrier_count 0
		.amdhsa_reserve_vcc 0
		.amdhsa_float_round_mode_32 0
		.amdhsa_float_round_mode_16_64 0
		.amdhsa_float_denorm_mode_32 3
		.amdhsa_float_denorm_mode_16_64 3
		.amdhsa_fp16_overflow 0
		.amdhsa_memory_ordered 1
		.amdhsa_forward_progress 1
		.amdhsa_inst_pref_size 0
		.amdhsa_round_robin_scheduling 0
		.amdhsa_exception_fp_ieee_invalid_op 0
		.amdhsa_exception_fp_denorm_src 0
		.amdhsa_exception_fp_ieee_div_zero 0
		.amdhsa_exception_fp_ieee_overflow 0
		.amdhsa_exception_fp_ieee_underflow 0
		.amdhsa_exception_fp_ieee_inexact 0
		.amdhsa_exception_int_div_zero 0
	.end_amdhsa_kernel
	.section	.text._ZN7rocprim17ROCPRIM_400000_NS6detail17trampoline_kernelINS0_14default_configENS1_25partition_config_selectorILNS1_17partition_subalgoE9EllbEEZZNS1_14partition_implILS5_9ELb0ES3_jPlS8_PNS0_10empty_typeENS0_5tupleIJS8_S9_EEENSB_IJS8_SA_EEENS0_18inequality_wrapperIZN2at6native12_GLOBAL__N_124unique_dim_cuda_templateIlEESt5tupleIJNSF_6TensorESK_SK_EERKSK_lbbbEUlllE0_EEPmJS9_EEE10hipError_tPvRmT3_T4_T5_T6_T7_T9_mT8_P12ihipStream_tbDpT10_ENKUlT_T0_E_clISt17integral_constantIbLb0EES1A_EEDaS15_S16_EUlS15_E_NS1_11comp_targetILNS1_3genE2ELNS1_11target_archE906ELNS1_3gpuE6ELNS1_3repE0EEENS1_30default_config_static_selectorELNS0_4arch9wavefront6targetE0EEEvT1_,"axG",@progbits,_ZN7rocprim17ROCPRIM_400000_NS6detail17trampoline_kernelINS0_14default_configENS1_25partition_config_selectorILNS1_17partition_subalgoE9EllbEEZZNS1_14partition_implILS5_9ELb0ES3_jPlS8_PNS0_10empty_typeENS0_5tupleIJS8_S9_EEENSB_IJS8_SA_EEENS0_18inequality_wrapperIZN2at6native12_GLOBAL__N_124unique_dim_cuda_templateIlEESt5tupleIJNSF_6TensorESK_SK_EERKSK_lbbbEUlllE0_EEPmJS9_EEE10hipError_tPvRmT3_T4_T5_T6_T7_T9_mT8_P12ihipStream_tbDpT10_ENKUlT_T0_E_clISt17integral_constantIbLb0EES1A_EEDaS15_S16_EUlS15_E_NS1_11comp_targetILNS1_3genE2ELNS1_11target_archE906ELNS1_3gpuE6ELNS1_3repE0EEENS1_30default_config_static_selectorELNS0_4arch9wavefront6targetE0EEEvT1_,comdat
.Lfunc_end599:
	.size	_ZN7rocprim17ROCPRIM_400000_NS6detail17trampoline_kernelINS0_14default_configENS1_25partition_config_selectorILNS1_17partition_subalgoE9EllbEEZZNS1_14partition_implILS5_9ELb0ES3_jPlS8_PNS0_10empty_typeENS0_5tupleIJS8_S9_EEENSB_IJS8_SA_EEENS0_18inequality_wrapperIZN2at6native12_GLOBAL__N_124unique_dim_cuda_templateIlEESt5tupleIJNSF_6TensorESK_SK_EERKSK_lbbbEUlllE0_EEPmJS9_EEE10hipError_tPvRmT3_T4_T5_T6_T7_T9_mT8_P12ihipStream_tbDpT10_ENKUlT_T0_E_clISt17integral_constantIbLb0EES1A_EEDaS15_S16_EUlS15_E_NS1_11comp_targetILNS1_3genE2ELNS1_11target_archE906ELNS1_3gpuE6ELNS1_3repE0EEENS1_30default_config_static_selectorELNS0_4arch9wavefront6targetE0EEEvT1_, .Lfunc_end599-_ZN7rocprim17ROCPRIM_400000_NS6detail17trampoline_kernelINS0_14default_configENS1_25partition_config_selectorILNS1_17partition_subalgoE9EllbEEZZNS1_14partition_implILS5_9ELb0ES3_jPlS8_PNS0_10empty_typeENS0_5tupleIJS8_S9_EEENSB_IJS8_SA_EEENS0_18inequality_wrapperIZN2at6native12_GLOBAL__N_124unique_dim_cuda_templateIlEESt5tupleIJNSF_6TensorESK_SK_EERKSK_lbbbEUlllE0_EEPmJS9_EEE10hipError_tPvRmT3_T4_T5_T6_T7_T9_mT8_P12ihipStream_tbDpT10_ENKUlT_T0_E_clISt17integral_constantIbLb0EES1A_EEDaS15_S16_EUlS15_E_NS1_11comp_targetILNS1_3genE2ELNS1_11target_archE906ELNS1_3gpuE6ELNS1_3repE0EEENS1_30default_config_static_selectorELNS0_4arch9wavefront6targetE0EEEvT1_
                                        ; -- End function
	.set _ZN7rocprim17ROCPRIM_400000_NS6detail17trampoline_kernelINS0_14default_configENS1_25partition_config_selectorILNS1_17partition_subalgoE9EllbEEZZNS1_14partition_implILS5_9ELb0ES3_jPlS8_PNS0_10empty_typeENS0_5tupleIJS8_S9_EEENSB_IJS8_SA_EEENS0_18inequality_wrapperIZN2at6native12_GLOBAL__N_124unique_dim_cuda_templateIlEESt5tupleIJNSF_6TensorESK_SK_EERKSK_lbbbEUlllE0_EEPmJS9_EEE10hipError_tPvRmT3_T4_T5_T6_T7_T9_mT8_P12ihipStream_tbDpT10_ENKUlT_T0_E_clISt17integral_constantIbLb0EES1A_EEDaS15_S16_EUlS15_E_NS1_11comp_targetILNS1_3genE2ELNS1_11target_archE906ELNS1_3gpuE6ELNS1_3repE0EEENS1_30default_config_static_selectorELNS0_4arch9wavefront6targetE0EEEvT1_.num_vgpr, 0
	.set _ZN7rocprim17ROCPRIM_400000_NS6detail17trampoline_kernelINS0_14default_configENS1_25partition_config_selectorILNS1_17partition_subalgoE9EllbEEZZNS1_14partition_implILS5_9ELb0ES3_jPlS8_PNS0_10empty_typeENS0_5tupleIJS8_S9_EEENSB_IJS8_SA_EEENS0_18inequality_wrapperIZN2at6native12_GLOBAL__N_124unique_dim_cuda_templateIlEESt5tupleIJNSF_6TensorESK_SK_EERKSK_lbbbEUlllE0_EEPmJS9_EEE10hipError_tPvRmT3_T4_T5_T6_T7_T9_mT8_P12ihipStream_tbDpT10_ENKUlT_T0_E_clISt17integral_constantIbLb0EES1A_EEDaS15_S16_EUlS15_E_NS1_11comp_targetILNS1_3genE2ELNS1_11target_archE906ELNS1_3gpuE6ELNS1_3repE0EEENS1_30default_config_static_selectorELNS0_4arch9wavefront6targetE0EEEvT1_.num_agpr, 0
	.set _ZN7rocprim17ROCPRIM_400000_NS6detail17trampoline_kernelINS0_14default_configENS1_25partition_config_selectorILNS1_17partition_subalgoE9EllbEEZZNS1_14partition_implILS5_9ELb0ES3_jPlS8_PNS0_10empty_typeENS0_5tupleIJS8_S9_EEENSB_IJS8_SA_EEENS0_18inequality_wrapperIZN2at6native12_GLOBAL__N_124unique_dim_cuda_templateIlEESt5tupleIJNSF_6TensorESK_SK_EERKSK_lbbbEUlllE0_EEPmJS9_EEE10hipError_tPvRmT3_T4_T5_T6_T7_T9_mT8_P12ihipStream_tbDpT10_ENKUlT_T0_E_clISt17integral_constantIbLb0EES1A_EEDaS15_S16_EUlS15_E_NS1_11comp_targetILNS1_3genE2ELNS1_11target_archE906ELNS1_3gpuE6ELNS1_3repE0EEENS1_30default_config_static_selectorELNS0_4arch9wavefront6targetE0EEEvT1_.numbered_sgpr, 0
	.set _ZN7rocprim17ROCPRIM_400000_NS6detail17trampoline_kernelINS0_14default_configENS1_25partition_config_selectorILNS1_17partition_subalgoE9EllbEEZZNS1_14partition_implILS5_9ELb0ES3_jPlS8_PNS0_10empty_typeENS0_5tupleIJS8_S9_EEENSB_IJS8_SA_EEENS0_18inequality_wrapperIZN2at6native12_GLOBAL__N_124unique_dim_cuda_templateIlEESt5tupleIJNSF_6TensorESK_SK_EERKSK_lbbbEUlllE0_EEPmJS9_EEE10hipError_tPvRmT3_T4_T5_T6_T7_T9_mT8_P12ihipStream_tbDpT10_ENKUlT_T0_E_clISt17integral_constantIbLb0EES1A_EEDaS15_S16_EUlS15_E_NS1_11comp_targetILNS1_3genE2ELNS1_11target_archE906ELNS1_3gpuE6ELNS1_3repE0EEENS1_30default_config_static_selectorELNS0_4arch9wavefront6targetE0EEEvT1_.num_named_barrier, 0
	.set _ZN7rocprim17ROCPRIM_400000_NS6detail17trampoline_kernelINS0_14default_configENS1_25partition_config_selectorILNS1_17partition_subalgoE9EllbEEZZNS1_14partition_implILS5_9ELb0ES3_jPlS8_PNS0_10empty_typeENS0_5tupleIJS8_S9_EEENSB_IJS8_SA_EEENS0_18inequality_wrapperIZN2at6native12_GLOBAL__N_124unique_dim_cuda_templateIlEESt5tupleIJNSF_6TensorESK_SK_EERKSK_lbbbEUlllE0_EEPmJS9_EEE10hipError_tPvRmT3_T4_T5_T6_T7_T9_mT8_P12ihipStream_tbDpT10_ENKUlT_T0_E_clISt17integral_constantIbLb0EES1A_EEDaS15_S16_EUlS15_E_NS1_11comp_targetILNS1_3genE2ELNS1_11target_archE906ELNS1_3gpuE6ELNS1_3repE0EEENS1_30default_config_static_selectorELNS0_4arch9wavefront6targetE0EEEvT1_.private_seg_size, 0
	.set _ZN7rocprim17ROCPRIM_400000_NS6detail17trampoline_kernelINS0_14default_configENS1_25partition_config_selectorILNS1_17partition_subalgoE9EllbEEZZNS1_14partition_implILS5_9ELb0ES3_jPlS8_PNS0_10empty_typeENS0_5tupleIJS8_S9_EEENSB_IJS8_SA_EEENS0_18inequality_wrapperIZN2at6native12_GLOBAL__N_124unique_dim_cuda_templateIlEESt5tupleIJNSF_6TensorESK_SK_EERKSK_lbbbEUlllE0_EEPmJS9_EEE10hipError_tPvRmT3_T4_T5_T6_T7_T9_mT8_P12ihipStream_tbDpT10_ENKUlT_T0_E_clISt17integral_constantIbLb0EES1A_EEDaS15_S16_EUlS15_E_NS1_11comp_targetILNS1_3genE2ELNS1_11target_archE906ELNS1_3gpuE6ELNS1_3repE0EEENS1_30default_config_static_selectorELNS0_4arch9wavefront6targetE0EEEvT1_.uses_vcc, 0
	.set _ZN7rocprim17ROCPRIM_400000_NS6detail17trampoline_kernelINS0_14default_configENS1_25partition_config_selectorILNS1_17partition_subalgoE9EllbEEZZNS1_14partition_implILS5_9ELb0ES3_jPlS8_PNS0_10empty_typeENS0_5tupleIJS8_S9_EEENSB_IJS8_SA_EEENS0_18inequality_wrapperIZN2at6native12_GLOBAL__N_124unique_dim_cuda_templateIlEESt5tupleIJNSF_6TensorESK_SK_EERKSK_lbbbEUlllE0_EEPmJS9_EEE10hipError_tPvRmT3_T4_T5_T6_T7_T9_mT8_P12ihipStream_tbDpT10_ENKUlT_T0_E_clISt17integral_constantIbLb0EES1A_EEDaS15_S16_EUlS15_E_NS1_11comp_targetILNS1_3genE2ELNS1_11target_archE906ELNS1_3gpuE6ELNS1_3repE0EEENS1_30default_config_static_selectorELNS0_4arch9wavefront6targetE0EEEvT1_.uses_flat_scratch, 0
	.set _ZN7rocprim17ROCPRIM_400000_NS6detail17trampoline_kernelINS0_14default_configENS1_25partition_config_selectorILNS1_17partition_subalgoE9EllbEEZZNS1_14partition_implILS5_9ELb0ES3_jPlS8_PNS0_10empty_typeENS0_5tupleIJS8_S9_EEENSB_IJS8_SA_EEENS0_18inequality_wrapperIZN2at6native12_GLOBAL__N_124unique_dim_cuda_templateIlEESt5tupleIJNSF_6TensorESK_SK_EERKSK_lbbbEUlllE0_EEPmJS9_EEE10hipError_tPvRmT3_T4_T5_T6_T7_T9_mT8_P12ihipStream_tbDpT10_ENKUlT_T0_E_clISt17integral_constantIbLb0EES1A_EEDaS15_S16_EUlS15_E_NS1_11comp_targetILNS1_3genE2ELNS1_11target_archE906ELNS1_3gpuE6ELNS1_3repE0EEENS1_30default_config_static_selectorELNS0_4arch9wavefront6targetE0EEEvT1_.has_dyn_sized_stack, 0
	.set _ZN7rocprim17ROCPRIM_400000_NS6detail17trampoline_kernelINS0_14default_configENS1_25partition_config_selectorILNS1_17partition_subalgoE9EllbEEZZNS1_14partition_implILS5_9ELb0ES3_jPlS8_PNS0_10empty_typeENS0_5tupleIJS8_S9_EEENSB_IJS8_SA_EEENS0_18inequality_wrapperIZN2at6native12_GLOBAL__N_124unique_dim_cuda_templateIlEESt5tupleIJNSF_6TensorESK_SK_EERKSK_lbbbEUlllE0_EEPmJS9_EEE10hipError_tPvRmT3_T4_T5_T6_T7_T9_mT8_P12ihipStream_tbDpT10_ENKUlT_T0_E_clISt17integral_constantIbLb0EES1A_EEDaS15_S16_EUlS15_E_NS1_11comp_targetILNS1_3genE2ELNS1_11target_archE906ELNS1_3gpuE6ELNS1_3repE0EEENS1_30default_config_static_selectorELNS0_4arch9wavefront6targetE0EEEvT1_.has_recursion, 0
	.set _ZN7rocprim17ROCPRIM_400000_NS6detail17trampoline_kernelINS0_14default_configENS1_25partition_config_selectorILNS1_17partition_subalgoE9EllbEEZZNS1_14partition_implILS5_9ELb0ES3_jPlS8_PNS0_10empty_typeENS0_5tupleIJS8_S9_EEENSB_IJS8_SA_EEENS0_18inequality_wrapperIZN2at6native12_GLOBAL__N_124unique_dim_cuda_templateIlEESt5tupleIJNSF_6TensorESK_SK_EERKSK_lbbbEUlllE0_EEPmJS9_EEE10hipError_tPvRmT3_T4_T5_T6_T7_T9_mT8_P12ihipStream_tbDpT10_ENKUlT_T0_E_clISt17integral_constantIbLb0EES1A_EEDaS15_S16_EUlS15_E_NS1_11comp_targetILNS1_3genE2ELNS1_11target_archE906ELNS1_3gpuE6ELNS1_3repE0EEENS1_30default_config_static_selectorELNS0_4arch9wavefront6targetE0EEEvT1_.has_indirect_call, 0
	.section	.AMDGPU.csdata,"",@progbits
; Kernel info:
; codeLenInByte = 0
; TotalNumSgprs: 0
; NumVgprs: 0
; ScratchSize: 0
; MemoryBound: 0
; FloatMode: 240
; IeeeMode: 1
; LDSByteSize: 0 bytes/workgroup (compile time only)
; SGPRBlocks: 0
; VGPRBlocks: 0
; NumSGPRsForWavesPerEU: 1
; NumVGPRsForWavesPerEU: 1
; NamedBarCnt: 0
; Occupancy: 16
; WaveLimiterHint : 0
; COMPUTE_PGM_RSRC2:SCRATCH_EN: 0
; COMPUTE_PGM_RSRC2:USER_SGPR: 2
; COMPUTE_PGM_RSRC2:TRAP_HANDLER: 0
; COMPUTE_PGM_RSRC2:TGID_X_EN: 1
; COMPUTE_PGM_RSRC2:TGID_Y_EN: 0
; COMPUTE_PGM_RSRC2:TGID_Z_EN: 0
; COMPUTE_PGM_RSRC2:TIDIG_COMP_CNT: 0
	.section	.text._ZN7rocprim17ROCPRIM_400000_NS6detail17trampoline_kernelINS0_14default_configENS1_25partition_config_selectorILNS1_17partition_subalgoE9EllbEEZZNS1_14partition_implILS5_9ELb0ES3_jPlS8_PNS0_10empty_typeENS0_5tupleIJS8_S9_EEENSB_IJS8_SA_EEENS0_18inequality_wrapperIZN2at6native12_GLOBAL__N_124unique_dim_cuda_templateIlEESt5tupleIJNSF_6TensorESK_SK_EERKSK_lbbbEUlllE0_EEPmJS9_EEE10hipError_tPvRmT3_T4_T5_T6_T7_T9_mT8_P12ihipStream_tbDpT10_ENKUlT_T0_E_clISt17integral_constantIbLb0EES1A_EEDaS15_S16_EUlS15_E_NS1_11comp_targetILNS1_3genE10ELNS1_11target_archE1200ELNS1_3gpuE4ELNS1_3repE0EEENS1_30default_config_static_selectorELNS0_4arch9wavefront6targetE0EEEvT1_,"axG",@progbits,_ZN7rocprim17ROCPRIM_400000_NS6detail17trampoline_kernelINS0_14default_configENS1_25partition_config_selectorILNS1_17partition_subalgoE9EllbEEZZNS1_14partition_implILS5_9ELb0ES3_jPlS8_PNS0_10empty_typeENS0_5tupleIJS8_S9_EEENSB_IJS8_SA_EEENS0_18inequality_wrapperIZN2at6native12_GLOBAL__N_124unique_dim_cuda_templateIlEESt5tupleIJNSF_6TensorESK_SK_EERKSK_lbbbEUlllE0_EEPmJS9_EEE10hipError_tPvRmT3_T4_T5_T6_T7_T9_mT8_P12ihipStream_tbDpT10_ENKUlT_T0_E_clISt17integral_constantIbLb0EES1A_EEDaS15_S16_EUlS15_E_NS1_11comp_targetILNS1_3genE10ELNS1_11target_archE1200ELNS1_3gpuE4ELNS1_3repE0EEENS1_30default_config_static_selectorELNS0_4arch9wavefront6targetE0EEEvT1_,comdat
	.globl	_ZN7rocprim17ROCPRIM_400000_NS6detail17trampoline_kernelINS0_14default_configENS1_25partition_config_selectorILNS1_17partition_subalgoE9EllbEEZZNS1_14partition_implILS5_9ELb0ES3_jPlS8_PNS0_10empty_typeENS0_5tupleIJS8_S9_EEENSB_IJS8_SA_EEENS0_18inequality_wrapperIZN2at6native12_GLOBAL__N_124unique_dim_cuda_templateIlEESt5tupleIJNSF_6TensorESK_SK_EERKSK_lbbbEUlllE0_EEPmJS9_EEE10hipError_tPvRmT3_T4_T5_T6_T7_T9_mT8_P12ihipStream_tbDpT10_ENKUlT_T0_E_clISt17integral_constantIbLb0EES1A_EEDaS15_S16_EUlS15_E_NS1_11comp_targetILNS1_3genE10ELNS1_11target_archE1200ELNS1_3gpuE4ELNS1_3repE0EEENS1_30default_config_static_selectorELNS0_4arch9wavefront6targetE0EEEvT1_ ; -- Begin function _ZN7rocprim17ROCPRIM_400000_NS6detail17trampoline_kernelINS0_14default_configENS1_25partition_config_selectorILNS1_17partition_subalgoE9EllbEEZZNS1_14partition_implILS5_9ELb0ES3_jPlS8_PNS0_10empty_typeENS0_5tupleIJS8_S9_EEENSB_IJS8_SA_EEENS0_18inequality_wrapperIZN2at6native12_GLOBAL__N_124unique_dim_cuda_templateIlEESt5tupleIJNSF_6TensorESK_SK_EERKSK_lbbbEUlllE0_EEPmJS9_EEE10hipError_tPvRmT3_T4_T5_T6_T7_T9_mT8_P12ihipStream_tbDpT10_ENKUlT_T0_E_clISt17integral_constantIbLb0EES1A_EEDaS15_S16_EUlS15_E_NS1_11comp_targetILNS1_3genE10ELNS1_11target_archE1200ELNS1_3gpuE4ELNS1_3repE0EEENS1_30default_config_static_selectorELNS0_4arch9wavefront6targetE0EEEvT1_
	.p2align	8
	.type	_ZN7rocprim17ROCPRIM_400000_NS6detail17trampoline_kernelINS0_14default_configENS1_25partition_config_selectorILNS1_17partition_subalgoE9EllbEEZZNS1_14partition_implILS5_9ELb0ES3_jPlS8_PNS0_10empty_typeENS0_5tupleIJS8_S9_EEENSB_IJS8_SA_EEENS0_18inequality_wrapperIZN2at6native12_GLOBAL__N_124unique_dim_cuda_templateIlEESt5tupleIJNSF_6TensorESK_SK_EERKSK_lbbbEUlllE0_EEPmJS9_EEE10hipError_tPvRmT3_T4_T5_T6_T7_T9_mT8_P12ihipStream_tbDpT10_ENKUlT_T0_E_clISt17integral_constantIbLb0EES1A_EEDaS15_S16_EUlS15_E_NS1_11comp_targetILNS1_3genE10ELNS1_11target_archE1200ELNS1_3gpuE4ELNS1_3repE0EEENS1_30default_config_static_selectorELNS0_4arch9wavefront6targetE0EEEvT1_,@function
_ZN7rocprim17ROCPRIM_400000_NS6detail17trampoline_kernelINS0_14default_configENS1_25partition_config_selectorILNS1_17partition_subalgoE9EllbEEZZNS1_14partition_implILS5_9ELb0ES3_jPlS8_PNS0_10empty_typeENS0_5tupleIJS8_S9_EEENSB_IJS8_SA_EEENS0_18inequality_wrapperIZN2at6native12_GLOBAL__N_124unique_dim_cuda_templateIlEESt5tupleIJNSF_6TensorESK_SK_EERKSK_lbbbEUlllE0_EEPmJS9_EEE10hipError_tPvRmT3_T4_T5_T6_T7_T9_mT8_P12ihipStream_tbDpT10_ENKUlT_T0_E_clISt17integral_constantIbLb0EES1A_EEDaS15_S16_EUlS15_E_NS1_11comp_targetILNS1_3genE10ELNS1_11target_archE1200ELNS1_3gpuE4ELNS1_3repE0EEENS1_30default_config_static_selectorELNS0_4arch9wavefront6targetE0EEEvT1_: ; @_ZN7rocprim17ROCPRIM_400000_NS6detail17trampoline_kernelINS0_14default_configENS1_25partition_config_selectorILNS1_17partition_subalgoE9EllbEEZZNS1_14partition_implILS5_9ELb0ES3_jPlS8_PNS0_10empty_typeENS0_5tupleIJS8_S9_EEENSB_IJS8_SA_EEENS0_18inequality_wrapperIZN2at6native12_GLOBAL__N_124unique_dim_cuda_templateIlEESt5tupleIJNSF_6TensorESK_SK_EERKSK_lbbbEUlllE0_EEPmJS9_EEE10hipError_tPvRmT3_T4_T5_T6_T7_T9_mT8_P12ihipStream_tbDpT10_ENKUlT_T0_E_clISt17integral_constantIbLb0EES1A_EEDaS15_S16_EUlS15_E_NS1_11comp_targetILNS1_3genE10ELNS1_11target_archE1200ELNS1_3gpuE4ELNS1_3repE0EEENS1_30default_config_static_selectorELNS0_4arch9wavefront6targetE0EEEvT1_
; %bb.0:
	.section	.rodata,"a",@progbits
	.p2align	6, 0x0
	.amdhsa_kernel _ZN7rocprim17ROCPRIM_400000_NS6detail17trampoline_kernelINS0_14default_configENS1_25partition_config_selectorILNS1_17partition_subalgoE9EllbEEZZNS1_14partition_implILS5_9ELb0ES3_jPlS8_PNS0_10empty_typeENS0_5tupleIJS8_S9_EEENSB_IJS8_SA_EEENS0_18inequality_wrapperIZN2at6native12_GLOBAL__N_124unique_dim_cuda_templateIlEESt5tupleIJNSF_6TensorESK_SK_EERKSK_lbbbEUlllE0_EEPmJS9_EEE10hipError_tPvRmT3_T4_T5_T6_T7_T9_mT8_P12ihipStream_tbDpT10_ENKUlT_T0_E_clISt17integral_constantIbLb0EES1A_EEDaS15_S16_EUlS15_E_NS1_11comp_targetILNS1_3genE10ELNS1_11target_archE1200ELNS1_3gpuE4ELNS1_3repE0EEENS1_30default_config_static_selectorELNS0_4arch9wavefront6targetE0EEEvT1_
		.amdhsa_group_segment_fixed_size 0
		.amdhsa_private_segment_fixed_size 0
		.amdhsa_kernarg_size 120
		.amdhsa_user_sgpr_count 2
		.amdhsa_user_sgpr_dispatch_ptr 0
		.amdhsa_user_sgpr_queue_ptr 0
		.amdhsa_user_sgpr_kernarg_segment_ptr 1
		.amdhsa_user_sgpr_dispatch_id 0
		.amdhsa_user_sgpr_kernarg_preload_length 0
		.amdhsa_user_sgpr_kernarg_preload_offset 0
		.amdhsa_user_sgpr_private_segment_size 0
		.amdhsa_wavefront_size32 1
		.amdhsa_uses_dynamic_stack 0
		.amdhsa_enable_private_segment 0
		.amdhsa_system_sgpr_workgroup_id_x 1
		.amdhsa_system_sgpr_workgroup_id_y 0
		.amdhsa_system_sgpr_workgroup_id_z 0
		.amdhsa_system_sgpr_workgroup_info 0
		.amdhsa_system_vgpr_workitem_id 0
		.amdhsa_next_free_vgpr 1
		.amdhsa_next_free_sgpr 1
		.amdhsa_named_barrier_count 0
		.amdhsa_reserve_vcc 0
		.amdhsa_float_round_mode_32 0
		.amdhsa_float_round_mode_16_64 0
		.amdhsa_float_denorm_mode_32 3
		.amdhsa_float_denorm_mode_16_64 3
		.amdhsa_fp16_overflow 0
		.amdhsa_memory_ordered 1
		.amdhsa_forward_progress 1
		.amdhsa_inst_pref_size 0
		.amdhsa_round_robin_scheduling 0
		.amdhsa_exception_fp_ieee_invalid_op 0
		.amdhsa_exception_fp_denorm_src 0
		.amdhsa_exception_fp_ieee_div_zero 0
		.amdhsa_exception_fp_ieee_overflow 0
		.amdhsa_exception_fp_ieee_underflow 0
		.amdhsa_exception_fp_ieee_inexact 0
		.amdhsa_exception_int_div_zero 0
	.end_amdhsa_kernel
	.section	.text._ZN7rocprim17ROCPRIM_400000_NS6detail17trampoline_kernelINS0_14default_configENS1_25partition_config_selectorILNS1_17partition_subalgoE9EllbEEZZNS1_14partition_implILS5_9ELb0ES3_jPlS8_PNS0_10empty_typeENS0_5tupleIJS8_S9_EEENSB_IJS8_SA_EEENS0_18inequality_wrapperIZN2at6native12_GLOBAL__N_124unique_dim_cuda_templateIlEESt5tupleIJNSF_6TensorESK_SK_EERKSK_lbbbEUlllE0_EEPmJS9_EEE10hipError_tPvRmT3_T4_T5_T6_T7_T9_mT8_P12ihipStream_tbDpT10_ENKUlT_T0_E_clISt17integral_constantIbLb0EES1A_EEDaS15_S16_EUlS15_E_NS1_11comp_targetILNS1_3genE10ELNS1_11target_archE1200ELNS1_3gpuE4ELNS1_3repE0EEENS1_30default_config_static_selectorELNS0_4arch9wavefront6targetE0EEEvT1_,"axG",@progbits,_ZN7rocprim17ROCPRIM_400000_NS6detail17trampoline_kernelINS0_14default_configENS1_25partition_config_selectorILNS1_17partition_subalgoE9EllbEEZZNS1_14partition_implILS5_9ELb0ES3_jPlS8_PNS0_10empty_typeENS0_5tupleIJS8_S9_EEENSB_IJS8_SA_EEENS0_18inequality_wrapperIZN2at6native12_GLOBAL__N_124unique_dim_cuda_templateIlEESt5tupleIJNSF_6TensorESK_SK_EERKSK_lbbbEUlllE0_EEPmJS9_EEE10hipError_tPvRmT3_T4_T5_T6_T7_T9_mT8_P12ihipStream_tbDpT10_ENKUlT_T0_E_clISt17integral_constantIbLb0EES1A_EEDaS15_S16_EUlS15_E_NS1_11comp_targetILNS1_3genE10ELNS1_11target_archE1200ELNS1_3gpuE4ELNS1_3repE0EEENS1_30default_config_static_selectorELNS0_4arch9wavefront6targetE0EEEvT1_,comdat
.Lfunc_end600:
	.size	_ZN7rocprim17ROCPRIM_400000_NS6detail17trampoline_kernelINS0_14default_configENS1_25partition_config_selectorILNS1_17partition_subalgoE9EllbEEZZNS1_14partition_implILS5_9ELb0ES3_jPlS8_PNS0_10empty_typeENS0_5tupleIJS8_S9_EEENSB_IJS8_SA_EEENS0_18inequality_wrapperIZN2at6native12_GLOBAL__N_124unique_dim_cuda_templateIlEESt5tupleIJNSF_6TensorESK_SK_EERKSK_lbbbEUlllE0_EEPmJS9_EEE10hipError_tPvRmT3_T4_T5_T6_T7_T9_mT8_P12ihipStream_tbDpT10_ENKUlT_T0_E_clISt17integral_constantIbLb0EES1A_EEDaS15_S16_EUlS15_E_NS1_11comp_targetILNS1_3genE10ELNS1_11target_archE1200ELNS1_3gpuE4ELNS1_3repE0EEENS1_30default_config_static_selectorELNS0_4arch9wavefront6targetE0EEEvT1_, .Lfunc_end600-_ZN7rocprim17ROCPRIM_400000_NS6detail17trampoline_kernelINS0_14default_configENS1_25partition_config_selectorILNS1_17partition_subalgoE9EllbEEZZNS1_14partition_implILS5_9ELb0ES3_jPlS8_PNS0_10empty_typeENS0_5tupleIJS8_S9_EEENSB_IJS8_SA_EEENS0_18inequality_wrapperIZN2at6native12_GLOBAL__N_124unique_dim_cuda_templateIlEESt5tupleIJNSF_6TensorESK_SK_EERKSK_lbbbEUlllE0_EEPmJS9_EEE10hipError_tPvRmT3_T4_T5_T6_T7_T9_mT8_P12ihipStream_tbDpT10_ENKUlT_T0_E_clISt17integral_constantIbLb0EES1A_EEDaS15_S16_EUlS15_E_NS1_11comp_targetILNS1_3genE10ELNS1_11target_archE1200ELNS1_3gpuE4ELNS1_3repE0EEENS1_30default_config_static_selectorELNS0_4arch9wavefront6targetE0EEEvT1_
                                        ; -- End function
	.set _ZN7rocprim17ROCPRIM_400000_NS6detail17trampoline_kernelINS0_14default_configENS1_25partition_config_selectorILNS1_17partition_subalgoE9EllbEEZZNS1_14partition_implILS5_9ELb0ES3_jPlS8_PNS0_10empty_typeENS0_5tupleIJS8_S9_EEENSB_IJS8_SA_EEENS0_18inequality_wrapperIZN2at6native12_GLOBAL__N_124unique_dim_cuda_templateIlEESt5tupleIJNSF_6TensorESK_SK_EERKSK_lbbbEUlllE0_EEPmJS9_EEE10hipError_tPvRmT3_T4_T5_T6_T7_T9_mT8_P12ihipStream_tbDpT10_ENKUlT_T0_E_clISt17integral_constantIbLb0EES1A_EEDaS15_S16_EUlS15_E_NS1_11comp_targetILNS1_3genE10ELNS1_11target_archE1200ELNS1_3gpuE4ELNS1_3repE0EEENS1_30default_config_static_selectorELNS0_4arch9wavefront6targetE0EEEvT1_.num_vgpr, 0
	.set _ZN7rocprim17ROCPRIM_400000_NS6detail17trampoline_kernelINS0_14default_configENS1_25partition_config_selectorILNS1_17partition_subalgoE9EllbEEZZNS1_14partition_implILS5_9ELb0ES3_jPlS8_PNS0_10empty_typeENS0_5tupleIJS8_S9_EEENSB_IJS8_SA_EEENS0_18inequality_wrapperIZN2at6native12_GLOBAL__N_124unique_dim_cuda_templateIlEESt5tupleIJNSF_6TensorESK_SK_EERKSK_lbbbEUlllE0_EEPmJS9_EEE10hipError_tPvRmT3_T4_T5_T6_T7_T9_mT8_P12ihipStream_tbDpT10_ENKUlT_T0_E_clISt17integral_constantIbLb0EES1A_EEDaS15_S16_EUlS15_E_NS1_11comp_targetILNS1_3genE10ELNS1_11target_archE1200ELNS1_3gpuE4ELNS1_3repE0EEENS1_30default_config_static_selectorELNS0_4arch9wavefront6targetE0EEEvT1_.num_agpr, 0
	.set _ZN7rocprim17ROCPRIM_400000_NS6detail17trampoline_kernelINS0_14default_configENS1_25partition_config_selectorILNS1_17partition_subalgoE9EllbEEZZNS1_14partition_implILS5_9ELb0ES3_jPlS8_PNS0_10empty_typeENS0_5tupleIJS8_S9_EEENSB_IJS8_SA_EEENS0_18inequality_wrapperIZN2at6native12_GLOBAL__N_124unique_dim_cuda_templateIlEESt5tupleIJNSF_6TensorESK_SK_EERKSK_lbbbEUlllE0_EEPmJS9_EEE10hipError_tPvRmT3_T4_T5_T6_T7_T9_mT8_P12ihipStream_tbDpT10_ENKUlT_T0_E_clISt17integral_constantIbLb0EES1A_EEDaS15_S16_EUlS15_E_NS1_11comp_targetILNS1_3genE10ELNS1_11target_archE1200ELNS1_3gpuE4ELNS1_3repE0EEENS1_30default_config_static_selectorELNS0_4arch9wavefront6targetE0EEEvT1_.numbered_sgpr, 0
	.set _ZN7rocprim17ROCPRIM_400000_NS6detail17trampoline_kernelINS0_14default_configENS1_25partition_config_selectorILNS1_17partition_subalgoE9EllbEEZZNS1_14partition_implILS5_9ELb0ES3_jPlS8_PNS0_10empty_typeENS0_5tupleIJS8_S9_EEENSB_IJS8_SA_EEENS0_18inequality_wrapperIZN2at6native12_GLOBAL__N_124unique_dim_cuda_templateIlEESt5tupleIJNSF_6TensorESK_SK_EERKSK_lbbbEUlllE0_EEPmJS9_EEE10hipError_tPvRmT3_T4_T5_T6_T7_T9_mT8_P12ihipStream_tbDpT10_ENKUlT_T0_E_clISt17integral_constantIbLb0EES1A_EEDaS15_S16_EUlS15_E_NS1_11comp_targetILNS1_3genE10ELNS1_11target_archE1200ELNS1_3gpuE4ELNS1_3repE0EEENS1_30default_config_static_selectorELNS0_4arch9wavefront6targetE0EEEvT1_.num_named_barrier, 0
	.set _ZN7rocprim17ROCPRIM_400000_NS6detail17trampoline_kernelINS0_14default_configENS1_25partition_config_selectorILNS1_17partition_subalgoE9EllbEEZZNS1_14partition_implILS5_9ELb0ES3_jPlS8_PNS0_10empty_typeENS0_5tupleIJS8_S9_EEENSB_IJS8_SA_EEENS0_18inequality_wrapperIZN2at6native12_GLOBAL__N_124unique_dim_cuda_templateIlEESt5tupleIJNSF_6TensorESK_SK_EERKSK_lbbbEUlllE0_EEPmJS9_EEE10hipError_tPvRmT3_T4_T5_T6_T7_T9_mT8_P12ihipStream_tbDpT10_ENKUlT_T0_E_clISt17integral_constantIbLb0EES1A_EEDaS15_S16_EUlS15_E_NS1_11comp_targetILNS1_3genE10ELNS1_11target_archE1200ELNS1_3gpuE4ELNS1_3repE0EEENS1_30default_config_static_selectorELNS0_4arch9wavefront6targetE0EEEvT1_.private_seg_size, 0
	.set _ZN7rocprim17ROCPRIM_400000_NS6detail17trampoline_kernelINS0_14default_configENS1_25partition_config_selectorILNS1_17partition_subalgoE9EllbEEZZNS1_14partition_implILS5_9ELb0ES3_jPlS8_PNS0_10empty_typeENS0_5tupleIJS8_S9_EEENSB_IJS8_SA_EEENS0_18inequality_wrapperIZN2at6native12_GLOBAL__N_124unique_dim_cuda_templateIlEESt5tupleIJNSF_6TensorESK_SK_EERKSK_lbbbEUlllE0_EEPmJS9_EEE10hipError_tPvRmT3_T4_T5_T6_T7_T9_mT8_P12ihipStream_tbDpT10_ENKUlT_T0_E_clISt17integral_constantIbLb0EES1A_EEDaS15_S16_EUlS15_E_NS1_11comp_targetILNS1_3genE10ELNS1_11target_archE1200ELNS1_3gpuE4ELNS1_3repE0EEENS1_30default_config_static_selectorELNS0_4arch9wavefront6targetE0EEEvT1_.uses_vcc, 0
	.set _ZN7rocprim17ROCPRIM_400000_NS6detail17trampoline_kernelINS0_14default_configENS1_25partition_config_selectorILNS1_17partition_subalgoE9EllbEEZZNS1_14partition_implILS5_9ELb0ES3_jPlS8_PNS0_10empty_typeENS0_5tupleIJS8_S9_EEENSB_IJS8_SA_EEENS0_18inequality_wrapperIZN2at6native12_GLOBAL__N_124unique_dim_cuda_templateIlEESt5tupleIJNSF_6TensorESK_SK_EERKSK_lbbbEUlllE0_EEPmJS9_EEE10hipError_tPvRmT3_T4_T5_T6_T7_T9_mT8_P12ihipStream_tbDpT10_ENKUlT_T0_E_clISt17integral_constantIbLb0EES1A_EEDaS15_S16_EUlS15_E_NS1_11comp_targetILNS1_3genE10ELNS1_11target_archE1200ELNS1_3gpuE4ELNS1_3repE0EEENS1_30default_config_static_selectorELNS0_4arch9wavefront6targetE0EEEvT1_.uses_flat_scratch, 0
	.set _ZN7rocprim17ROCPRIM_400000_NS6detail17trampoline_kernelINS0_14default_configENS1_25partition_config_selectorILNS1_17partition_subalgoE9EllbEEZZNS1_14partition_implILS5_9ELb0ES3_jPlS8_PNS0_10empty_typeENS0_5tupleIJS8_S9_EEENSB_IJS8_SA_EEENS0_18inequality_wrapperIZN2at6native12_GLOBAL__N_124unique_dim_cuda_templateIlEESt5tupleIJNSF_6TensorESK_SK_EERKSK_lbbbEUlllE0_EEPmJS9_EEE10hipError_tPvRmT3_T4_T5_T6_T7_T9_mT8_P12ihipStream_tbDpT10_ENKUlT_T0_E_clISt17integral_constantIbLb0EES1A_EEDaS15_S16_EUlS15_E_NS1_11comp_targetILNS1_3genE10ELNS1_11target_archE1200ELNS1_3gpuE4ELNS1_3repE0EEENS1_30default_config_static_selectorELNS0_4arch9wavefront6targetE0EEEvT1_.has_dyn_sized_stack, 0
	.set _ZN7rocprim17ROCPRIM_400000_NS6detail17trampoline_kernelINS0_14default_configENS1_25partition_config_selectorILNS1_17partition_subalgoE9EllbEEZZNS1_14partition_implILS5_9ELb0ES3_jPlS8_PNS0_10empty_typeENS0_5tupleIJS8_S9_EEENSB_IJS8_SA_EEENS0_18inequality_wrapperIZN2at6native12_GLOBAL__N_124unique_dim_cuda_templateIlEESt5tupleIJNSF_6TensorESK_SK_EERKSK_lbbbEUlllE0_EEPmJS9_EEE10hipError_tPvRmT3_T4_T5_T6_T7_T9_mT8_P12ihipStream_tbDpT10_ENKUlT_T0_E_clISt17integral_constantIbLb0EES1A_EEDaS15_S16_EUlS15_E_NS1_11comp_targetILNS1_3genE10ELNS1_11target_archE1200ELNS1_3gpuE4ELNS1_3repE0EEENS1_30default_config_static_selectorELNS0_4arch9wavefront6targetE0EEEvT1_.has_recursion, 0
	.set _ZN7rocprim17ROCPRIM_400000_NS6detail17trampoline_kernelINS0_14default_configENS1_25partition_config_selectorILNS1_17partition_subalgoE9EllbEEZZNS1_14partition_implILS5_9ELb0ES3_jPlS8_PNS0_10empty_typeENS0_5tupleIJS8_S9_EEENSB_IJS8_SA_EEENS0_18inequality_wrapperIZN2at6native12_GLOBAL__N_124unique_dim_cuda_templateIlEESt5tupleIJNSF_6TensorESK_SK_EERKSK_lbbbEUlllE0_EEPmJS9_EEE10hipError_tPvRmT3_T4_T5_T6_T7_T9_mT8_P12ihipStream_tbDpT10_ENKUlT_T0_E_clISt17integral_constantIbLb0EES1A_EEDaS15_S16_EUlS15_E_NS1_11comp_targetILNS1_3genE10ELNS1_11target_archE1200ELNS1_3gpuE4ELNS1_3repE0EEENS1_30default_config_static_selectorELNS0_4arch9wavefront6targetE0EEEvT1_.has_indirect_call, 0
	.section	.AMDGPU.csdata,"",@progbits
; Kernel info:
; codeLenInByte = 0
; TotalNumSgprs: 0
; NumVgprs: 0
; ScratchSize: 0
; MemoryBound: 0
; FloatMode: 240
; IeeeMode: 1
; LDSByteSize: 0 bytes/workgroup (compile time only)
; SGPRBlocks: 0
; VGPRBlocks: 0
; NumSGPRsForWavesPerEU: 1
; NumVGPRsForWavesPerEU: 1
; NamedBarCnt: 0
; Occupancy: 16
; WaveLimiterHint : 0
; COMPUTE_PGM_RSRC2:SCRATCH_EN: 0
; COMPUTE_PGM_RSRC2:USER_SGPR: 2
; COMPUTE_PGM_RSRC2:TRAP_HANDLER: 0
; COMPUTE_PGM_RSRC2:TGID_X_EN: 1
; COMPUTE_PGM_RSRC2:TGID_Y_EN: 0
; COMPUTE_PGM_RSRC2:TGID_Z_EN: 0
; COMPUTE_PGM_RSRC2:TIDIG_COMP_CNT: 0
	.section	.text._ZN7rocprim17ROCPRIM_400000_NS6detail17trampoline_kernelINS0_14default_configENS1_25partition_config_selectorILNS1_17partition_subalgoE9EllbEEZZNS1_14partition_implILS5_9ELb0ES3_jPlS8_PNS0_10empty_typeENS0_5tupleIJS8_S9_EEENSB_IJS8_SA_EEENS0_18inequality_wrapperIZN2at6native12_GLOBAL__N_124unique_dim_cuda_templateIlEESt5tupleIJNSF_6TensorESK_SK_EERKSK_lbbbEUlllE0_EEPmJS9_EEE10hipError_tPvRmT3_T4_T5_T6_T7_T9_mT8_P12ihipStream_tbDpT10_ENKUlT_T0_E_clISt17integral_constantIbLb0EES1A_EEDaS15_S16_EUlS15_E_NS1_11comp_targetILNS1_3genE9ELNS1_11target_archE1100ELNS1_3gpuE3ELNS1_3repE0EEENS1_30default_config_static_selectorELNS0_4arch9wavefront6targetE0EEEvT1_,"axG",@progbits,_ZN7rocprim17ROCPRIM_400000_NS6detail17trampoline_kernelINS0_14default_configENS1_25partition_config_selectorILNS1_17partition_subalgoE9EllbEEZZNS1_14partition_implILS5_9ELb0ES3_jPlS8_PNS0_10empty_typeENS0_5tupleIJS8_S9_EEENSB_IJS8_SA_EEENS0_18inequality_wrapperIZN2at6native12_GLOBAL__N_124unique_dim_cuda_templateIlEESt5tupleIJNSF_6TensorESK_SK_EERKSK_lbbbEUlllE0_EEPmJS9_EEE10hipError_tPvRmT3_T4_T5_T6_T7_T9_mT8_P12ihipStream_tbDpT10_ENKUlT_T0_E_clISt17integral_constantIbLb0EES1A_EEDaS15_S16_EUlS15_E_NS1_11comp_targetILNS1_3genE9ELNS1_11target_archE1100ELNS1_3gpuE3ELNS1_3repE0EEENS1_30default_config_static_selectorELNS0_4arch9wavefront6targetE0EEEvT1_,comdat
	.globl	_ZN7rocprim17ROCPRIM_400000_NS6detail17trampoline_kernelINS0_14default_configENS1_25partition_config_selectorILNS1_17partition_subalgoE9EllbEEZZNS1_14partition_implILS5_9ELb0ES3_jPlS8_PNS0_10empty_typeENS0_5tupleIJS8_S9_EEENSB_IJS8_SA_EEENS0_18inequality_wrapperIZN2at6native12_GLOBAL__N_124unique_dim_cuda_templateIlEESt5tupleIJNSF_6TensorESK_SK_EERKSK_lbbbEUlllE0_EEPmJS9_EEE10hipError_tPvRmT3_T4_T5_T6_T7_T9_mT8_P12ihipStream_tbDpT10_ENKUlT_T0_E_clISt17integral_constantIbLb0EES1A_EEDaS15_S16_EUlS15_E_NS1_11comp_targetILNS1_3genE9ELNS1_11target_archE1100ELNS1_3gpuE3ELNS1_3repE0EEENS1_30default_config_static_selectorELNS0_4arch9wavefront6targetE0EEEvT1_ ; -- Begin function _ZN7rocprim17ROCPRIM_400000_NS6detail17trampoline_kernelINS0_14default_configENS1_25partition_config_selectorILNS1_17partition_subalgoE9EllbEEZZNS1_14partition_implILS5_9ELb0ES3_jPlS8_PNS0_10empty_typeENS0_5tupleIJS8_S9_EEENSB_IJS8_SA_EEENS0_18inequality_wrapperIZN2at6native12_GLOBAL__N_124unique_dim_cuda_templateIlEESt5tupleIJNSF_6TensorESK_SK_EERKSK_lbbbEUlllE0_EEPmJS9_EEE10hipError_tPvRmT3_T4_T5_T6_T7_T9_mT8_P12ihipStream_tbDpT10_ENKUlT_T0_E_clISt17integral_constantIbLb0EES1A_EEDaS15_S16_EUlS15_E_NS1_11comp_targetILNS1_3genE9ELNS1_11target_archE1100ELNS1_3gpuE3ELNS1_3repE0EEENS1_30default_config_static_selectorELNS0_4arch9wavefront6targetE0EEEvT1_
	.p2align	8
	.type	_ZN7rocprim17ROCPRIM_400000_NS6detail17trampoline_kernelINS0_14default_configENS1_25partition_config_selectorILNS1_17partition_subalgoE9EllbEEZZNS1_14partition_implILS5_9ELb0ES3_jPlS8_PNS0_10empty_typeENS0_5tupleIJS8_S9_EEENSB_IJS8_SA_EEENS0_18inequality_wrapperIZN2at6native12_GLOBAL__N_124unique_dim_cuda_templateIlEESt5tupleIJNSF_6TensorESK_SK_EERKSK_lbbbEUlllE0_EEPmJS9_EEE10hipError_tPvRmT3_T4_T5_T6_T7_T9_mT8_P12ihipStream_tbDpT10_ENKUlT_T0_E_clISt17integral_constantIbLb0EES1A_EEDaS15_S16_EUlS15_E_NS1_11comp_targetILNS1_3genE9ELNS1_11target_archE1100ELNS1_3gpuE3ELNS1_3repE0EEENS1_30default_config_static_selectorELNS0_4arch9wavefront6targetE0EEEvT1_,@function
_ZN7rocprim17ROCPRIM_400000_NS6detail17trampoline_kernelINS0_14default_configENS1_25partition_config_selectorILNS1_17partition_subalgoE9EllbEEZZNS1_14partition_implILS5_9ELb0ES3_jPlS8_PNS0_10empty_typeENS0_5tupleIJS8_S9_EEENSB_IJS8_SA_EEENS0_18inequality_wrapperIZN2at6native12_GLOBAL__N_124unique_dim_cuda_templateIlEESt5tupleIJNSF_6TensorESK_SK_EERKSK_lbbbEUlllE0_EEPmJS9_EEE10hipError_tPvRmT3_T4_T5_T6_T7_T9_mT8_P12ihipStream_tbDpT10_ENKUlT_T0_E_clISt17integral_constantIbLb0EES1A_EEDaS15_S16_EUlS15_E_NS1_11comp_targetILNS1_3genE9ELNS1_11target_archE1100ELNS1_3gpuE3ELNS1_3repE0EEENS1_30default_config_static_selectorELNS0_4arch9wavefront6targetE0EEEvT1_: ; @_ZN7rocprim17ROCPRIM_400000_NS6detail17trampoline_kernelINS0_14default_configENS1_25partition_config_selectorILNS1_17partition_subalgoE9EllbEEZZNS1_14partition_implILS5_9ELb0ES3_jPlS8_PNS0_10empty_typeENS0_5tupleIJS8_S9_EEENSB_IJS8_SA_EEENS0_18inequality_wrapperIZN2at6native12_GLOBAL__N_124unique_dim_cuda_templateIlEESt5tupleIJNSF_6TensorESK_SK_EERKSK_lbbbEUlllE0_EEPmJS9_EEE10hipError_tPvRmT3_T4_T5_T6_T7_T9_mT8_P12ihipStream_tbDpT10_ENKUlT_T0_E_clISt17integral_constantIbLb0EES1A_EEDaS15_S16_EUlS15_E_NS1_11comp_targetILNS1_3genE9ELNS1_11target_archE1100ELNS1_3gpuE3ELNS1_3repE0EEENS1_30default_config_static_selectorELNS0_4arch9wavefront6targetE0EEEvT1_
; %bb.0:
	.section	.rodata,"a",@progbits
	.p2align	6, 0x0
	.amdhsa_kernel _ZN7rocprim17ROCPRIM_400000_NS6detail17trampoline_kernelINS0_14default_configENS1_25partition_config_selectorILNS1_17partition_subalgoE9EllbEEZZNS1_14partition_implILS5_9ELb0ES3_jPlS8_PNS0_10empty_typeENS0_5tupleIJS8_S9_EEENSB_IJS8_SA_EEENS0_18inequality_wrapperIZN2at6native12_GLOBAL__N_124unique_dim_cuda_templateIlEESt5tupleIJNSF_6TensorESK_SK_EERKSK_lbbbEUlllE0_EEPmJS9_EEE10hipError_tPvRmT3_T4_T5_T6_T7_T9_mT8_P12ihipStream_tbDpT10_ENKUlT_T0_E_clISt17integral_constantIbLb0EES1A_EEDaS15_S16_EUlS15_E_NS1_11comp_targetILNS1_3genE9ELNS1_11target_archE1100ELNS1_3gpuE3ELNS1_3repE0EEENS1_30default_config_static_selectorELNS0_4arch9wavefront6targetE0EEEvT1_
		.amdhsa_group_segment_fixed_size 0
		.amdhsa_private_segment_fixed_size 0
		.amdhsa_kernarg_size 120
		.amdhsa_user_sgpr_count 2
		.amdhsa_user_sgpr_dispatch_ptr 0
		.amdhsa_user_sgpr_queue_ptr 0
		.amdhsa_user_sgpr_kernarg_segment_ptr 1
		.amdhsa_user_sgpr_dispatch_id 0
		.amdhsa_user_sgpr_kernarg_preload_length 0
		.amdhsa_user_sgpr_kernarg_preload_offset 0
		.amdhsa_user_sgpr_private_segment_size 0
		.amdhsa_wavefront_size32 1
		.amdhsa_uses_dynamic_stack 0
		.amdhsa_enable_private_segment 0
		.amdhsa_system_sgpr_workgroup_id_x 1
		.amdhsa_system_sgpr_workgroup_id_y 0
		.amdhsa_system_sgpr_workgroup_id_z 0
		.amdhsa_system_sgpr_workgroup_info 0
		.amdhsa_system_vgpr_workitem_id 0
		.amdhsa_next_free_vgpr 1
		.amdhsa_next_free_sgpr 1
		.amdhsa_named_barrier_count 0
		.amdhsa_reserve_vcc 0
		.amdhsa_float_round_mode_32 0
		.amdhsa_float_round_mode_16_64 0
		.amdhsa_float_denorm_mode_32 3
		.amdhsa_float_denorm_mode_16_64 3
		.amdhsa_fp16_overflow 0
		.amdhsa_memory_ordered 1
		.amdhsa_forward_progress 1
		.amdhsa_inst_pref_size 0
		.amdhsa_round_robin_scheduling 0
		.amdhsa_exception_fp_ieee_invalid_op 0
		.amdhsa_exception_fp_denorm_src 0
		.amdhsa_exception_fp_ieee_div_zero 0
		.amdhsa_exception_fp_ieee_overflow 0
		.amdhsa_exception_fp_ieee_underflow 0
		.amdhsa_exception_fp_ieee_inexact 0
		.amdhsa_exception_int_div_zero 0
	.end_amdhsa_kernel
	.section	.text._ZN7rocprim17ROCPRIM_400000_NS6detail17trampoline_kernelINS0_14default_configENS1_25partition_config_selectorILNS1_17partition_subalgoE9EllbEEZZNS1_14partition_implILS5_9ELb0ES3_jPlS8_PNS0_10empty_typeENS0_5tupleIJS8_S9_EEENSB_IJS8_SA_EEENS0_18inequality_wrapperIZN2at6native12_GLOBAL__N_124unique_dim_cuda_templateIlEESt5tupleIJNSF_6TensorESK_SK_EERKSK_lbbbEUlllE0_EEPmJS9_EEE10hipError_tPvRmT3_T4_T5_T6_T7_T9_mT8_P12ihipStream_tbDpT10_ENKUlT_T0_E_clISt17integral_constantIbLb0EES1A_EEDaS15_S16_EUlS15_E_NS1_11comp_targetILNS1_3genE9ELNS1_11target_archE1100ELNS1_3gpuE3ELNS1_3repE0EEENS1_30default_config_static_selectorELNS0_4arch9wavefront6targetE0EEEvT1_,"axG",@progbits,_ZN7rocprim17ROCPRIM_400000_NS6detail17trampoline_kernelINS0_14default_configENS1_25partition_config_selectorILNS1_17partition_subalgoE9EllbEEZZNS1_14partition_implILS5_9ELb0ES3_jPlS8_PNS0_10empty_typeENS0_5tupleIJS8_S9_EEENSB_IJS8_SA_EEENS0_18inequality_wrapperIZN2at6native12_GLOBAL__N_124unique_dim_cuda_templateIlEESt5tupleIJNSF_6TensorESK_SK_EERKSK_lbbbEUlllE0_EEPmJS9_EEE10hipError_tPvRmT3_T4_T5_T6_T7_T9_mT8_P12ihipStream_tbDpT10_ENKUlT_T0_E_clISt17integral_constantIbLb0EES1A_EEDaS15_S16_EUlS15_E_NS1_11comp_targetILNS1_3genE9ELNS1_11target_archE1100ELNS1_3gpuE3ELNS1_3repE0EEENS1_30default_config_static_selectorELNS0_4arch9wavefront6targetE0EEEvT1_,comdat
.Lfunc_end601:
	.size	_ZN7rocprim17ROCPRIM_400000_NS6detail17trampoline_kernelINS0_14default_configENS1_25partition_config_selectorILNS1_17partition_subalgoE9EllbEEZZNS1_14partition_implILS5_9ELb0ES3_jPlS8_PNS0_10empty_typeENS0_5tupleIJS8_S9_EEENSB_IJS8_SA_EEENS0_18inequality_wrapperIZN2at6native12_GLOBAL__N_124unique_dim_cuda_templateIlEESt5tupleIJNSF_6TensorESK_SK_EERKSK_lbbbEUlllE0_EEPmJS9_EEE10hipError_tPvRmT3_T4_T5_T6_T7_T9_mT8_P12ihipStream_tbDpT10_ENKUlT_T0_E_clISt17integral_constantIbLb0EES1A_EEDaS15_S16_EUlS15_E_NS1_11comp_targetILNS1_3genE9ELNS1_11target_archE1100ELNS1_3gpuE3ELNS1_3repE0EEENS1_30default_config_static_selectorELNS0_4arch9wavefront6targetE0EEEvT1_, .Lfunc_end601-_ZN7rocprim17ROCPRIM_400000_NS6detail17trampoline_kernelINS0_14default_configENS1_25partition_config_selectorILNS1_17partition_subalgoE9EllbEEZZNS1_14partition_implILS5_9ELb0ES3_jPlS8_PNS0_10empty_typeENS0_5tupleIJS8_S9_EEENSB_IJS8_SA_EEENS0_18inequality_wrapperIZN2at6native12_GLOBAL__N_124unique_dim_cuda_templateIlEESt5tupleIJNSF_6TensorESK_SK_EERKSK_lbbbEUlllE0_EEPmJS9_EEE10hipError_tPvRmT3_T4_T5_T6_T7_T9_mT8_P12ihipStream_tbDpT10_ENKUlT_T0_E_clISt17integral_constantIbLb0EES1A_EEDaS15_S16_EUlS15_E_NS1_11comp_targetILNS1_3genE9ELNS1_11target_archE1100ELNS1_3gpuE3ELNS1_3repE0EEENS1_30default_config_static_selectorELNS0_4arch9wavefront6targetE0EEEvT1_
                                        ; -- End function
	.set _ZN7rocprim17ROCPRIM_400000_NS6detail17trampoline_kernelINS0_14default_configENS1_25partition_config_selectorILNS1_17partition_subalgoE9EllbEEZZNS1_14partition_implILS5_9ELb0ES3_jPlS8_PNS0_10empty_typeENS0_5tupleIJS8_S9_EEENSB_IJS8_SA_EEENS0_18inequality_wrapperIZN2at6native12_GLOBAL__N_124unique_dim_cuda_templateIlEESt5tupleIJNSF_6TensorESK_SK_EERKSK_lbbbEUlllE0_EEPmJS9_EEE10hipError_tPvRmT3_T4_T5_T6_T7_T9_mT8_P12ihipStream_tbDpT10_ENKUlT_T0_E_clISt17integral_constantIbLb0EES1A_EEDaS15_S16_EUlS15_E_NS1_11comp_targetILNS1_3genE9ELNS1_11target_archE1100ELNS1_3gpuE3ELNS1_3repE0EEENS1_30default_config_static_selectorELNS0_4arch9wavefront6targetE0EEEvT1_.num_vgpr, 0
	.set _ZN7rocprim17ROCPRIM_400000_NS6detail17trampoline_kernelINS0_14default_configENS1_25partition_config_selectorILNS1_17partition_subalgoE9EllbEEZZNS1_14partition_implILS5_9ELb0ES3_jPlS8_PNS0_10empty_typeENS0_5tupleIJS8_S9_EEENSB_IJS8_SA_EEENS0_18inequality_wrapperIZN2at6native12_GLOBAL__N_124unique_dim_cuda_templateIlEESt5tupleIJNSF_6TensorESK_SK_EERKSK_lbbbEUlllE0_EEPmJS9_EEE10hipError_tPvRmT3_T4_T5_T6_T7_T9_mT8_P12ihipStream_tbDpT10_ENKUlT_T0_E_clISt17integral_constantIbLb0EES1A_EEDaS15_S16_EUlS15_E_NS1_11comp_targetILNS1_3genE9ELNS1_11target_archE1100ELNS1_3gpuE3ELNS1_3repE0EEENS1_30default_config_static_selectorELNS0_4arch9wavefront6targetE0EEEvT1_.num_agpr, 0
	.set _ZN7rocprim17ROCPRIM_400000_NS6detail17trampoline_kernelINS0_14default_configENS1_25partition_config_selectorILNS1_17partition_subalgoE9EllbEEZZNS1_14partition_implILS5_9ELb0ES3_jPlS8_PNS0_10empty_typeENS0_5tupleIJS8_S9_EEENSB_IJS8_SA_EEENS0_18inequality_wrapperIZN2at6native12_GLOBAL__N_124unique_dim_cuda_templateIlEESt5tupleIJNSF_6TensorESK_SK_EERKSK_lbbbEUlllE0_EEPmJS9_EEE10hipError_tPvRmT3_T4_T5_T6_T7_T9_mT8_P12ihipStream_tbDpT10_ENKUlT_T0_E_clISt17integral_constantIbLb0EES1A_EEDaS15_S16_EUlS15_E_NS1_11comp_targetILNS1_3genE9ELNS1_11target_archE1100ELNS1_3gpuE3ELNS1_3repE0EEENS1_30default_config_static_selectorELNS0_4arch9wavefront6targetE0EEEvT1_.numbered_sgpr, 0
	.set _ZN7rocprim17ROCPRIM_400000_NS6detail17trampoline_kernelINS0_14default_configENS1_25partition_config_selectorILNS1_17partition_subalgoE9EllbEEZZNS1_14partition_implILS5_9ELb0ES3_jPlS8_PNS0_10empty_typeENS0_5tupleIJS8_S9_EEENSB_IJS8_SA_EEENS0_18inequality_wrapperIZN2at6native12_GLOBAL__N_124unique_dim_cuda_templateIlEESt5tupleIJNSF_6TensorESK_SK_EERKSK_lbbbEUlllE0_EEPmJS9_EEE10hipError_tPvRmT3_T4_T5_T6_T7_T9_mT8_P12ihipStream_tbDpT10_ENKUlT_T0_E_clISt17integral_constantIbLb0EES1A_EEDaS15_S16_EUlS15_E_NS1_11comp_targetILNS1_3genE9ELNS1_11target_archE1100ELNS1_3gpuE3ELNS1_3repE0EEENS1_30default_config_static_selectorELNS0_4arch9wavefront6targetE0EEEvT1_.num_named_barrier, 0
	.set _ZN7rocprim17ROCPRIM_400000_NS6detail17trampoline_kernelINS0_14default_configENS1_25partition_config_selectorILNS1_17partition_subalgoE9EllbEEZZNS1_14partition_implILS5_9ELb0ES3_jPlS8_PNS0_10empty_typeENS0_5tupleIJS8_S9_EEENSB_IJS8_SA_EEENS0_18inequality_wrapperIZN2at6native12_GLOBAL__N_124unique_dim_cuda_templateIlEESt5tupleIJNSF_6TensorESK_SK_EERKSK_lbbbEUlllE0_EEPmJS9_EEE10hipError_tPvRmT3_T4_T5_T6_T7_T9_mT8_P12ihipStream_tbDpT10_ENKUlT_T0_E_clISt17integral_constantIbLb0EES1A_EEDaS15_S16_EUlS15_E_NS1_11comp_targetILNS1_3genE9ELNS1_11target_archE1100ELNS1_3gpuE3ELNS1_3repE0EEENS1_30default_config_static_selectorELNS0_4arch9wavefront6targetE0EEEvT1_.private_seg_size, 0
	.set _ZN7rocprim17ROCPRIM_400000_NS6detail17trampoline_kernelINS0_14default_configENS1_25partition_config_selectorILNS1_17partition_subalgoE9EllbEEZZNS1_14partition_implILS5_9ELb0ES3_jPlS8_PNS0_10empty_typeENS0_5tupleIJS8_S9_EEENSB_IJS8_SA_EEENS0_18inequality_wrapperIZN2at6native12_GLOBAL__N_124unique_dim_cuda_templateIlEESt5tupleIJNSF_6TensorESK_SK_EERKSK_lbbbEUlllE0_EEPmJS9_EEE10hipError_tPvRmT3_T4_T5_T6_T7_T9_mT8_P12ihipStream_tbDpT10_ENKUlT_T0_E_clISt17integral_constantIbLb0EES1A_EEDaS15_S16_EUlS15_E_NS1_11comp_targetILNS1_3genE9ELNS1_11target_archE1100ELNS1_3gpuE3ELNS1_3repE0EEENS1_30default_config_static_selectorELNS0_4arch9wavefront6targetE0EEEvT1_.uses_vcc, 0
	.set _ZN7rocprim17ROCPRIM_400000_NS6detail17trampoline_kernelINS0_14default_configENS1_25partition_config_selectorILNS1_17partition_subalgoE9EllbEEZZNS1_14partition_implILS5_9ELb0ES3_jPlS8_PNS0_10empty_typeENS0_5tupleIJS8_S9_EEENSB_IJS8_SA_EEENS0_18inequality_wrapperIZN2at6native12_GLOBAL__N_124unique_dim_cuda_templateIlEESt5tupleIJNSF_6TensorESK_SK_EERKSK_lbbbEUlllE0_EEPmJS9_EEE10hipError_tPvRmT3_T4_T5_T6_T7_T9_mT8_P12ihipStream_tbDpT10_ENKUlT_T0_E_clISt17integral_constantIbLb0EES1A_EEDaS15_S16_EUlS15_E_NS1_11comp_targetILNS1_3genE9ELNS1_11target_archE1100ELNS1_3gpuE3ELNS1_3repE0EEENS1_30default_config_static_selectorELNS0_4arch9wavefront6targetE0EEEvT1_.uses_flat_scratch, 0
	.set _ZN7rocprim17ROCPRIM_400000_NS6detail17trampoline_kernelINS0_14default_configENS1_25partition_config_selectorILNS1_17partition_subalgoE9EllbEEZZNS1_14partition_implILS5_9ELb0ES3_jPlS8_PNS0_10empty_typeENS0_5tupleIJS8_S9_EEENSB_IJS8_SA_EEENS0_18inequality_wrapperIZN2at6native12_GLOBAL__N_124unique_dim_cuda_templateIlEESt5tupleIJNSF_6TensorESK_SK_EERKSK_lbbbEUlllE0_EEPmJS9_EEE10hipError_tPvRmT3_T4_T5_T6_T7_T9_mT8_P12ihipStream_tbDpT10_ENKUlT_T0_E_clISt17integral_constantIbLb0EES1A_EEDaS15_S16_EUlS15_E_NS1_11comp_targetILNS1_3genE9ELNS1_11target_archE1100ELNS1_3gpuE3ELNS1_3repE0EEENS1_30default_config_static_selectorELNS0_4arch9wavefront6targetE0EEEvT1_.has_dyn_sized_stack, 0
	.set _ZN7rocprim17ROCPRIM_400000_NS6detail17trampoline_kernelINS0_14default_configENS1_25partition_config_selectorILNS1_17partition_subalgoE9EllbEEZZNS1_14partition_implILS5_9ELb0ES3_jPlS8_PNS0_10empty_typeENS0_5tupleIJS8_S9_EEENSB_IJS8_SA_EEENS0_18inequality_wrapperIZN2at6native12_GLOBAL__N_124unique_dim_cuda_templateIlEESt5tupleIJNSF_6TensorESK_SK_EERKSK_lbbbEUlllE0_EEPmJS9_EEE10hipError_tPvRmT3_T4_T5_T6_T7_T9_mT8_P12ihipStream_tbDpT10_ENKUlT_T0_E_clISt17integral_constantIbLb0EES1A_EEDaS15_S16_EUlS15_E_NS1_11comp_targetILNS1_3genE9ELNS1_11target_archE1100ELNS1_3gpuE3ELNS1_3repE0EEENS1_30default_config_static_selectorELNS0_4arch9wavefront6targetE0EEEvT1_.has_recursion, 0
	.set _ZN7rocprim17ROCPRIM_400000_NS6detail17trampoline_kernelINS0_14default_configENS1_25partition_config_selectorILNS1_17partition_subalgoE9EllbEEZZNS1_14partition_implILS5_9ELb0ES3_jPlS8_PNS0_10empty_typeENS0_5tupleIJS8_S9_EEENSB_IJS8_SA_EEENS0_18inequality_wrapperIZN2at6native12_GLOBAL__N_124unique_dim_cuda_templateIlEESt5tupleIJNSF_6TensorESK_SK_EERKSK_lbbbEUlllE0_EEPmJS9_EEE10hipError_tPvRmT3_T4_T5_T6_T7_T9_mT8_P12ihipStream_tbDpT10_ENKUlT_T0_E_clISt17integral_constantIbLb0EES1A_EEDaS15_S16_EUlS15_E_NS1_11comp_targetILNS1_3genE9ELNS1_11target_archE1100ELNS1_3gpuE3ELNS1_3repE0EEENS1_30default_config_static_selectorELNS0_4arch9wavefront6targetE0EEEvT1_.has_indirect_call, 0
	.section	.AMDGPU.csdata,"",@progbits
; Kernel info:
; codeLenInByte = 0
; TotalNumSgprs: 0
; NumVgprs: 0
; ScratchSize: 0
; MemoryBound: 0
; FloatMode: 240
; IeeeMode: 1
; LDSByteSize: 0 bytes/workgroup (compile time only)
; SGPRBlocks: 0
; VGPRBlocks: 0
; NumSGPRsForWavesPerEU: 1
; NumVGPRsForWavesPerEU: 1
; NamedBarCnt: 0
; Occupancy: 16
; WaveLimiterHint : 0
; COMPUTE_PGM_RSRC2:SCRATCH_EN: 0
; COMPUTE_PGM_RSRC2:USER_SGPR: 2
; COMPUTE_PGM_RSRC2:TRAP_HANDLER: 0
; COMPUTE_PGM_RSRC2:TGID_X_EN: 1
; COMPUTE_PGM_RSRC2:TGID_Y_EN: 0
; COMPUTE_PGM_RSRC2:TGID_Z_EN: 0
; COMPUTE_PGM_RSRC2:TIDIG_COMP_CNT: 0
	.section	.text._ZN7rocprim17ROCPRIM_400000_NS6detail17trampoline_kernelINS0_14default_configENS1_25partition_config_selectorILNS1_17partition_subalgoE9EllbEEZZNS1_14partition_implILS5_9ELb0ES3_jPlS8_PNS0_10empty_typeENS0_5tupleIJS8_S9_EEENSB_IJS8_SA_EEENS0_18inequality_wrapperIZN2at6native12_GLOBAL__N_124unique_dim_cuda_templateIlEESt5tupleIJNSF_6TensorESK_SK_EERKSK_lbbbEUlllE0_EEPmJS9_EEE10hipError_tPvRmT3_T4_T5_T6_T7_T9_mT8_P12ihipStream_tbDpT10_ENKUlT_T0_E_clISt17integral_constantIbLb0EES1A_EEDaS15_S16_EUlS15_E_NS1_11comp_targetILNS1_3genE8ELNS1_11target_archE1030ELNS1_3gpuE2ELNS1_3repE0EEENS1_30default_config_static_selectorELNS0_4arch9wavefront6targetE0EEEvT1_,"axG",@progbits,_ZN7rocprim17ROCPRIM_400000_NS6detail17trampoline_kernelINS0_14default_configENS1_25partition_config_selectorILNS1_17partition_subalgoE9EllbEEZZNS1_14partition_implILS5_9ELb0ES3_jPlS8_PNS0_10empty_typeENS0_5tupleIJS8_S9_EEENSB_IJS8_SA_EEENS0_18inequality_wrapperIZN2at6native12_GLOBAL__N_124unique_dim_cuda_templateIlEESt5tupleIJNSF_6TensorESK_SK_EERKSK_lbbbEUlllE0_EEPmJS9_EEE10hipError_tPvRmT3_T4_T5_T6_T7_T9_mT8_P12ihipStream_tbDpT10_ENKUlT_T0_E_clISt17integral_constantIbLb0EES1A_EEDaS15_S16_EUlS15_E_NS1_11comp_targetILNS1_3genE8ELNS1_11target_archE1030ELNS1_3gpuE2ELNS1_3repE0EEENS1_30default_config_static_selectorELNS0_4arch9wavefront6targetE0EEEvT1_,comdat
	.globl	_ZN7rocprim17ROCPRIM_400000_NS6detail17trampoline_kernelINS0_14default_configENS1_25partition_config_selectorILNS1_17partition_subalgoE9EllbEEZZNS1_14partition_implILS5_9ELb0ES3_jPlS8_PNS0_10empty_typeENS0_5tupleIJS8_S9_EEENSB_IJS8_SA_EEENS0_18inequality_wrapperIZN2at6native12_GLOBAL__N_124unique_dim_cuda_templateIlEESt5tupleIJNSF_6TensorESK_SK_EERKSK_lbbbEUlllE0_EEPmJS9_EEE10hipError_tPvRmT3_T4_T5_T6_T7_T9_mT8_P12ihipStream_tbDpT10_ENKUlT_T0_E_clISt17integral_constantIbLb0EES1A_EEDaS15_S16_EUlS15_E_NS1_11comp_targetILNS1_3genE8ELNS1_11target_archE1030ELNS1_3gpuE2ELNS1_3repE0EEENS1_30default_config_static_selectorELNS0_4arch9wavefront6targetE0EEEvT1_ ; -- Begin function _ZN7rocprim17ROCPRIM_400000_NS6detail17trampoline_kernelINS0_14default_configENS1_25partition_config_selectorILNS1_17partition_subalgoE9EllbEEZZNS1_14partition_implILS5_9ELb0ES3_jPlS8_PNS0_10empty_typeENS0_5tupleIJS8_S9_EEENSB_IJS8_SA_EEENS0_18inequality_wrapperIZN2at6native12_GLOBAL__N_124unique_dim_cuda_templateIlEESt5tupleIJNSF_6TensorESK_SK_EERKSK_lbbbEUlllE0_EEPmJS9_EEE10hipError_tPvRmT3_T4_T5_T6_T7_T9_mT8_P12ihipStream_tbDpT10_ENKUlT_T0_E_clISt17integral_constantIbLb0EES1A_EEDaS15_S16_EUlS15_E_NS1_11comp_targetILNS1_3genE8ELNS1_11target_archE1030ELNS1_3gpuE2ELNS1_3repE0EEENS1_30default_config_static_selectorELNS0_4arch9wavefront6targetE0EEEvT1_
	.p2align	8
	.type	_ZN7rocprim17ROCPRIM_400000_NS6detail17trampoline_kernelINS0_14default_configENS1_25partition_config_selectorILNS1_17partition_subalgoE9EllbEEZZNS1_14partition_implILS5_9ELb0ES3_jPlS8_PNS0_10empty_typeENS0_5tupleIJS8_S9_EEENSB_IJS8_SA_EEENS0_18inequality_wrapperIZN2at6native12_GLOBAL__N_124unique_dim_cuda_templateIlEESt5tupleIJNSF_6TensorESK_SK_EERKSK_lbbbEUlllE0_EEPmJS9_EEE10hipError_tPvRmT3_T4_T5_T6_T7_T9_mT8_P12ihipStream_tbDpT10_ENKUlT_T0_E_clISt17integral_constantIbLb0EES1A_EEDaS15_S16_EUlS15_E_NS1_11comp_targetILNS1_3genE8ELNS1_11target_archE1030ELNS1_3gpuE2ELNS1_3repE0EEENS1_30default_config_static_selectorELNS0_4arch9wavefront6targetE0EEEvT1_,@function
_ZN7rocprim17ROCPRIM_400000_NS6detail17trampoline_kernelINS0_14default_configENS1_25partition_config_selectorILNS1_17partition_subalgoE9EllbEEZZNS1_14partition_implILS5_9ELb0ES3_jPlS8_PNS0_10empty_typeENS0_5tupleIJS8_S9_EEENSB_IJS8_SA_EEENS0_18inequality_wrapperIZN2at6native12_GLOBAL__N_124unique_dim_cuda_templateIlEESt5tupleIJNSF_6TensorESK_SK_EERKSK_lbbbEUlllE0_EEPmJS9_EEE10hipError_tPvRmT3_T4_T5_T6_T7_T9_mT8_P12ihipStream_tbDpT10_ENKUlT_T0_E_clISt17integral_constantIbLb0EES1A_EEDaS15_S16_EUlS15_E_NS1_11comp_targetILNS1_3genE8ELNS1_11target_archE1030ELNS1_3gpuE2ELNS1_3repE0EEENS1_30default_config_static_selectorELNS0_4arch9wavefront6targetE0EEEvT1_: ; @_ZN7rocprim17ROCPRIM_400000_NS6detail17trampoline_kernelINS0_14default_configENS1_25partition_config_selectorILNS1_17partition_subalgoE9EllbEEZZNS1_14partition_implILS5_9ELb0ES3_jPlS8_PNS0_10empty_typeENS0_5tupleIJS8_S9_EEENSB_IJS8_SA_EEENS0_18inequality_wrapperIZN2at6native12_GLOBAL__N_124unique_dim_cuda_templateIlEESt5tupleIJNSF_6TensorESK_SK_EERKSK_lbbbEUlllE0_EEPmJS9_EEE10hipError_tPvRmT3_T4_T5_T6_T7_T9_mT8_P12ihipStream_tbDpT10_ENKUlT_T0_E_clISt17integral_constantIbLb0EES1A_EEDaS15_S16_EUlS15_E_NS1_11comp_targetILNS1_3genE8ELNS1_11target_archE1030ELNS1_3gpuE2ELNS1_3repE0EEENS1_30default_config_static_selectorELNS0_4arch9wavefront6targetE0EEEvT1_
; %bb.0:
	.section	.rodata,"a",@progbits
	.p2align	6, 0x0
	.amdhsa_kernel _ZN7rocprim17ROCPRIM_400000_NS6detail17trampoline_kernelINS0_14default_configENS1_25partition_config_selectorILNS1_17partition_subalgoE9EllbEEZZNS1_14partition_implILS5_9ELb0ES3_jPlS8_PNS0_10empty_typeENS0_5tupleIJS8_S9_EEENSB_IJS8_SA_EEENS0_18inequality_wrapperIZN2at6native12_GLOBAL__N_124unique_dim_cuda_templateIlEESt5tupleIJNSF_6TensorESK_SK_EERKSK_lbbbEUlllE0_EEPmJS9_EEE10hipError_tPvRmT3_T4_T5_T6_T7_T9_mT8_P12ihipStream_tbDpT10_ENKUlT_T0_E_clISt17integral_constantIbLb0EES1A_EEDaS15_S16_EUlS15_E_NS1_11comp_targetILNS1_3genE8ELNS1_11target_archE1030ELNS1_3gpuE2ELNS1_3repE0EEENS1_30default_config_static_selectorELNS0_4arch9wavefront6targetE0EEEvT1_
		.amdhsa_group_segment_fixed_size 0
		.amdhsa_private_segment_fixed_size 0
		.amdhsa_kernarg_size 120
		.amdhsa_user_sgpr_count 2
		.amdhsa_user_sgpr_dispatch_ptr 0
		.amdhsa_user_sgpr_queue_ptr 0
		.amdhsa_user_sgpr_kernarg_segment_ptr 1
		.amdhsa_user_sgpr_dispatch_id 0
		.amdhsa_user_sgpr_kernarg_preload_length 0
		.amdhsa_user_sgpr_kernarg_preload_offset 0
		.amdhsa_user_sgpr_private_segment_size 0
		.amdhsa_wavefront_size32 1
		.amdhsa_uses_dynamic_stack 0
		.amdhsa_enable_private_segment 0
		.amdhsa_system_sgpr_workgroup_id_x 1
		.amdhsa_system_sgpr_workgroup_id_y 0
		.amdhsa_system_sgpr_workgroup_id_z 0
		.amdhsa_system_sgpr_workgroup_info 0
		.amdhsa_system_vgpr_workitem_id 0
		.amdhsa_next_free_vgpr 1
		.amdhsa_next_free_sgpr 1
		.amdhsa_named_barrier_count 0
		.amdhsa_reserve_vcc 0
		.amdhsa_float_round_mode_32 0
		.amdhsa_float_round_mode_16_64 0
		.amdhsa_float_denorm_mode_32 3
		.amdhsa_float_denorm_mode_16_64 3
		.amdhsa_fp16_overflow 0
		.amdhsa_memory_ordered 1
		.amdhsa_forward_progress 1
		.amdhsa_inst_pref_size 0
		.amdhsa_round_robin_scheduling 0
		.amdhsa_exception_fp_ieee_invalid_op 0
		.amdhsa_exception_fp_denorm_src 0
		.amdhsa_exception_fp_ieee_div_zero 0
		.amdhsa_exception_fp_ieee_overflow 0
		.amdhsa_exception_fp_ieee_underflow 0
		.amdhsa_exception_fp_ieee_inexact 0
		.amdhsa_exception_int_div_zero 0
	.end_amdhsa_kernel
	.section	.text._ZN7rocprim17ROCPRIM_400000_NS6detail17trampoline_kernelINS0_14default_configENS1_25partition_config_selectorILNS1_17partition_subalgoE9EllbEEZZNS1_14partition_implILS5_9ELb0ES3_jPlS8_PNS0_10empty_typeENS0_5tupleIJS8_S9_EEENSB_IJS8_SA_EEENS0_18inequality_wrapperIZN2at6native12_GLOBAL__N_124unique_dim_cuda_templateIlEESt5tupleIJNSF_6TensorESK_SK_EERKSK_lbbbEUlllE0_EEPmJS9_EEE10hipError_tPvRmT3_T4_T5_T6_T7_T9_mT8_P12ihipStream_tbDpT10_ENKUlT_T0_E_clISt17integral_constantIbLb0EES1A_EEDaS15_S16_EUlS15_E_NS1_11comp_targetILNS1_3genE8ELNS1_11target_archE1030ELNS1_3gpuE2ELNS1_3repE0EEENS1_30default_config_static_selectorELNS0_4arch9wavefront6targetE0EEEvT1_,"axG",@progbits,_ZN7rocprim17ROCPRIM_400000_NS6detail17trampoline_kernelINS0_14default_configENS1_25partition_config_selectorILNS1_17partition_subalgoE9EllbEEZZNS1_14partition_implILS5_9ELb0ES3_jPlS8_PNS0_10empty_typeENS0_5tupleIJS8_S9_EEENSB_IJS8_SA_EEENS0_18inequality_wrapperIZN2at6native12_GLOBAL__N_124unique_dim_cuda_templateIlEESt5tupleIJNSF_6TensorESK_SK_EERKSK_lbbbEUlllE0_EEPmJS9_EEE10hipError_tPvRmT3_T4_T5_T6_T7_T9_mT8_P12ihipStream_tbDpT10_ENKUlT_T0_E_clISt17integral_constantIbLb0EES1A_EEDaS15_S16_EUlS15_E_NS1_11comp_targetILNS1_3genE8ELNS1_11target_archE1030ELNS1_3gpuE2ELNS1_3repE0EEENS1_30default_config_static_selectorELNS0_4arch9wavefront6targetE0EEEvT1_,comdat
.Lfunc_end602:
	.size	_ZN7rocprim17ROCPRIM_400000_NS6detail17trampoline_kernelINS0_14default_configENS1_25partition_config_selectorILNS1_17partition_subalgoE9EllbEEZZNS1_14partition_implILS5_9ELb0ES3_jPlS8_PNS0_10empty_typeENS0_5tupleIJS8_S9_EEENSB_IJS8_SA_EEENS0_18inequality_wrapperIZN2at6native12_GLOBAL__N_124unique_dim_cuda_templateIlEESt5tupleIJNSF_6TensorESK_SK_EERKSK_lbbbEUlllE0_EEPmJS9_EEE10hipError_tPvRmT3_T4_T5_T6_T7_T9_mT8_P12ihipStream_tbDpT10_ENKUlT_T0_E_clISt17integral_constantIbLb0EES1A_EEDaS15_S16_EUlS15_E_NS1_11comp_targetILNS1_3genE8ELNS1_11target_archE1030ELNS1_3gpuE2ELNS1_3repE0EEENS1_30default_config_static_selectorELNS0_4arch9wavefront6targetE0EEEvT1_, .Lfunc_end602-_ZN7rocprim17ROCPRIM_400000_NS6detail17trampoline_kernelINS0_14default_configENS1_25partition_config_selectorILNS1_17partition_subalgoE9EllbEEZZNS1_14partition_implILS5_9ELb0ES3_jPlS8_PNS0_10empty_typeENS0_5tupleIJS8_S9_EEENSB_IJS8_SA_EEENS0_18inequality_wrapperIZN2at6native12_GLOBAL__N_124unique_dim_cuda_templateIlEESt5tupleIJNSF_6TensorESK_SK_EERKSK_lbbbEUlllE0_EEPmJS9_EEE10hipError_tPvRmT3_T4_T5_T6_T7_T9_mT8_P12ihipStream_tbDpT10_ENKUlT_T0_E_clISt17integral_constantIbLb0EES1A_EEDaS15_S16_EUlS15_E_NS1_11comp_targetILNS1_3genE8ELNS1_11target_archE1030ELNS1_3gpuE2ELNS1_3repE0EEENS1_30default_config_static_selectorELNS0_4arch9wavefront6targetE0EEEvT1_
                                        ; -- End function
	.set _ZN7rocprim17ROCPRIM_400000_NS6detail17trampoline_kernelINS0_14default_configENS1_25partition_config_selectorILNS1_17partition_subalgoE9EllbEEZZNS1_14partition_implILS5_9ELb0ES3_jPlS8_PNS0_10empty_typeENS0_5tupleIJS8_S9_EEENSB_IJS8_SA_EEENS0_18inequality_wrapperIZN2at6native12_GLOBAL__N_124unique_dim_cuda_templateIlEESt5tupleIJNSF_6TensorESK_SK_EERKSK_lbbbEUlllE0_EEPmJS9_EEE10hipError_tPvRmT3_T4_T5_T6_T7_T9_mT8_P12ihipStream_tbDpT10_ENKUlT_T0_E_clISt17integral_constantIbLb0EES1A_EEDaS15_S16_EUlS15_E_NS1_11comp_targetILNS1_3genE8ELNS1_11target_archE1030ELNS1_3gpuE2ELNS1_3repE0EEENS1_30default_config_static_selectorELNS0_4arch9wavefront6targetE0EEEvT1_.num_vgpr, 0
	.set _ZN7rocprim17ROCPRIM_400000_NS6detail17trampoline_kernelINS0_14default_configENS1_25partition_config_selectorILNS1_17partition_subalgoE9EllbEEZZNS1_14partition_implILS5_9ELb0ES3_jPlS8_PNS0_10empty_typeENS0_5tupleIJS8_S9_EEENSB_IJS8_SA_EEENS0_18inequality_wrapperIZN2at6native12_GLOBAL__N_124unique_dim_cuda_templateIlEESt5tupleIJNSF_6TensorESK_SK_EERKSK_lbbbEUlllE0_EEPmJS9_EEE10hipError_tPvRmT3_T4_T5_T6_T7_T9_mT8_P12ihipStream_tbDpT10_ENKUlT_T0_E_clISt17integral_constantIbLb0EES1A_EEDaS15_S16_EUlS15_E_NS1_11comp_targetILNS1_3genE8ELNS1_11target_archE1030ELNS1_3gpuE2ELNS1_3repE0EEENS1_30default_config_static_selectorELNS0_4arch9wavefront6targetE0EEEvT1_.num_agpr, 0
	.set _ZN7rocprim17ROCPRIM_400000_NS6detail17trampoline_kernelINS0_14default_configENS1_25partition_config_selectorILNS1_17partition_subalgoE9EllbEEZZNS1_14partition_implILS5_9ELb0ES3_jPlS8_PNS0_10empty_typeENS0_5tupleIJS8_S9_EEENSB_IJS8_SA_EEENS0_18inequality_wrapperIZN2at6native12_GLOBAL__N_124unique_dim_cuda_templateIlEESt5tupleIJNSF_6TensorESK_SK_EERKSK_lbbbEUlllE0_EEPmJS9_EEE10hipError_tPvRmT3_T4_T5_T6_T7_T9_mT8_P12ihipStream_tbDpT10_ENKUlT_T0_E_clISt17integral_constantIbLb0EES1A_EEDaS15_S16_EUlS15_E_NS1_11comp_targetILNS1_3genE8ELNS1_11target_archE1030ELNS1_3gpuE2ELNS1_3repE0EEENS1_30default_config_static_selectorELNS0_4arch9wavefront6targetE0EEEvT1_.numbered_sgpr, 0
	.set _ZN7rocprim17ROCPRIM_400000_NS6detail17trampoline_kernelINS0_14default_configENS1_25partition_config_selectorILNS1_17partition_subalgoE9EllbEEZZNS1_14partition_implILS5_9ELb0ES3_jPlS8_PNS0_10empty_typeENS0_5tupleIJS8_S9_EEENSB_IJS8_SA_EEENS0_18inequality_wrapperIZN2at6native12_GLOBAL__N_124unique_dim_cuda_templateIlEESt5tupleIJNSF_6TensorESK_SK_EERKSK_lbbbEUlllE0_EEPmJS9_EEE10hipError_tPvRmT3_T4_T5_T6_T7_T9_mT8_P12ihipStream_tbDpT10_ENKUlT_T0_E_clISt17integral_constantIbLb0EES1A_EEDaS15_S16_EUlS15_E_NS1_11comp_targetILNS1_3genE8ELNS1_11target_archE1030ELNS1_3gpuE2ELNS1_3repE0EEENS1_30default_config_static_selectorELNS0_4arch9wavefront6targetE0EEEvT1_.num_named_barrier, 0
	.set _ZN7rocprim17ROCPRIM_400000_NS6detail17trampoline_kernelINS0_14default_configENS1_25partition_config_selectorILNS1_17partition_subalgoE9EllbEEZZNS1_14partition_implILS5_9ELb0ES3_jPlS8_PNS0_10empty_typeENS0_5tupleIJS8_S9_EEENSB_IJS8_SA_EEENS0_18inequality_wrapperIZN2at6native12_GLOBAL__N_124unique_dim_cuda_templateIlEESt5tupleIJNSF_6TensorESK_SK_EERKSK_lbbbEUlllE0_EEPmJS9_EEE10hipError_tPvRmT3_T4_T5_T6_T7_T9_mT8_P12ihipStream_tbDpT10_ENKUlT_T0_E_clISt17integral_constantIbLb0EES1A_EEDaS15_S16_EUlS15_E_NS1_11comp_targetILNS1_3genE8ELNS1_11target_archE1030ELNS1_3gpuE2ELNS1_3repE0EEENS1_30default_config_static_selectorELNS0_4arch9wavefront6targetE0EEEvT1_.private_seg_size, 0
	.set _ZN7rocprim17ROCPRIM_400000_NS6detail17trampoline_kernelINS0_14default_configENS1_25partition_config_selectorILNS1_17partition_subalgoE9EllbEEZZNS1_14partition_implILS5_9ELb0ES3_jPlS8_PNS0_10empty_typeENS0_5tupleIJS8_S9_EEENSB_IJS8_SA_EEENS0_18inequality_wrapperIZN2at6native12_GLOBAL__N_124unique_dim_cuda_templateIlEESt5tupleIJNSF_6TensorESK_SK_EERKSK_lbbbEUlllE0_EEPmJS9_EEE10hipError_tPvRmT3_T4_T5_T6_T7_T9_mT8_P12ihipStream_tbDpT10_ENKUlT_T0_E_clISt17integral_constantIbLb0EES1A_EEDaS15_S16_EUlS15_E_NS1_11comp_targetILNS1_3genE8ELNS1_11target_archE1030ELNS1_3gpuE2ELNS1_3repE0EEENS1_30default_config_static_selectorELNS0_4arch9wavefront6targetE0EEEvT1_.uses_vcc, 0
	.set _ZN7rocprim17ROCPRIM_400000_NS6detail17trampoline_kernelINS0_14default_configENS1_25partition_config_selectorILNS1_17partition_subalgoE9EllbEEZZNS1_14partition_implILS5_9ELb0ES3_jPlS8_PNS0_10empty_typeENS0_5tupleIJS8_S9_EEENSB_IJS8_SA_EEENS0_18inequality_wrapperIZN2at6native12_GLOBAL__N_124unique_dim_cuda_templateIlEESt5tupleIJNSF_6TensorESK_SK_EERKSK_lbbbEUlllE0_EEPmJS9_EEE10hipError_tPvRmT3_T4_T5_T6_T7_T9_mT8_P12ihipStream_tbDpT10_ENKUlT_T0_E_clISt17integral_constantIbLb0EES1A_EEDaS15_S16_EUlS15_E_NS1_11comp_targetILNS1_3genE8ELNS1_11target_archE1030ELNS1_3gpuE2ELNS1_3repE0EEENS1_30default_config_static_selectorELNS0_4arch9wavefront6targetE0EEEvT1_.uses_flat_scratch, 0
	.set _ZN7rocprim17ROCPRIM_400000_NS6detail17trampoline_kernelINS0_14default_configENS1_25partition_config_selectorILNS1_17partition_subalgoE9EllbEEZZNS1_14partition_implILS5_9ELb0ES3_jPlS8_PNS0_10empty_typeENS0_5tupleIJS8_S9_EEENSB_IJS8_SA_EEENS0_18inequality_wrapperIZN2at6native12_GLOBAL__N_124unique_dim_cuda_templateIlEESt5tupleIJNSF_6TensorESK_SK_EERKSK_lbbbEUlllE0_EEPmJS9_EEE10hipError_tPvRmT3_T4_T5_T6_T7_T9_mT8_P12ihipStream_tbDpT10_ENKUlT_T0_E_clISt17integral_constantIbLb0EES1A_EEDaS15_S16_EUlS15_E_NS1_11comp_targetILNS1_3genE8ELNS1_11target_archE1030ELNS1_3gpuE2ELNS1_3repE0EEENS1_30default_config_static_selectorELNS0_4arch9wavefront6targetE0EEEvT1_.has_dyn_sized_stack, 0
	.set _ZN7rocprim17ROCPRIM_400000_NS6detail17trampoline_kernelINS0_14default_configENS1_25partition_config_selectorILNS1_17partition_subalgoE9EllbEEZZNS1_14partition_implILS5_9ELb0ES3_jPlS8_PNS0_10empty_typeENS0_5tupleIJS8_S9_EEENSB_IJS8_SA_EEENS0_18inequality_wrapperIZN2at6native12_GLOBAL__N_124unique_dim_cuda_templateIlEESt5tupleIJNSF_6TensorESK_SK_EERKSK_lbbbEUlllE0_EEPmJS9_EEE10hipError_tPvRmT3_T4_T5_T6_T7_T9_mT8_P12ihipStream_tbDpT10_ENKUlT_T0_E_clISt17integral_constantIbLb0EES1A_EEDaS15_S16_EUlS15_E_NS1_11comp_targetILNS1_3genE8ELNS1_11target_archE1030ELNS1_3gpuE2ELNS1_3repE0EEENS1_30default_config_static_selectorELNS0_4arch9wavefront6targetE0EEEvT1_.has_recursion, 0
	.set _ZN7rocprim17ROCPRIM_400000_NS6detail17trampoline_kernelINS0_14default_configENS1_25partition_config_selectorILNS1_17partition_subalgoE9EllbEEZZNS1_14partition_implILS5_9ELb0ES3_jPlS8_PNS0_10empty_typeENS0_5tupleIJS8_S9_EEENSB_IJS8_SA_EEENS0_18inequality_wrapperIZN2at6native12_GLOBAL__N_124unique_dim_cuda_templateIlEESt5tupleIJNSF_6TensorESK_SK_EERKSK_lbbbEUlllE0_EEPmJS9_EEE10hipError_tPvRmT3_T4_T5_T6_T7_T9_mT8_P12ihipStream_tbDpT10_ENKUlT_T0_E_clISt17integral_constantIbLb0EES1A_EEDaS15_S16_EUlS15_E_NS1_11comp_targetILNS1_3genE8ELNS1_11target_archE1030ELNS1_3gpuE2ELNS1_3repE0EEENS1_30default_config_static_selectorELNS0_4arch9wavefront6targetE0EEEvT1_.has_indirect_call, 0
	.section	.AMDGPU.csdata,"",@progbits
; Kernel info:
; codeLenInByte = 0
; TotalNumSgprs: 0
; NumVgprs: 0
; ScratchSize: 0
; MemoryBound: 0
; FloatMode: 240
; IeeeMode: 1
; LDSByteSize: 0 bytes/workgroup (compile time only)
; SGPRBlocks: 0
; VGPRBlocks: 0
; NumSGPRsForWavesPerEU: 1
; NumVGPRsForWavesPerEU: 1
; NamedBarCnt: 0
; Occupancy: 16
; WaveLimiterHint : 0
; COMPUTE_PGM_RSRC2:SCRATCH_EN: 0
; COMPUTE_PGM_RSRC2:USER_SGPR: 2
; COMPUTE_PGM_RSRC2:TRAP_HANDLER: 0
; COMPUTE_PGM_RSRC2:TGID_X_EN: 1
; COMPUTE_PGM_RSRC2:TGID_Y_EN: 0
; COMPUTE_PGM_RSRC2:TGID_Z_EN: 0
; COMPUTE_PGM_RSRC2:TIDIG_COMP_CNT: 0
	.section	.text._ZN7rocprim17ROCPRIM_400000_NS6detail17trampoline_kernelINS0_14default_configENS1_25partition_config_selectorILNS1_17partition_subalgoE9EllbEEZZNS1_14partition_implILS5_9ELb0ES3_jPlS8_PNS0_10empty_typeENS0_5tupleIJS8_S9_EEENSB_IJS8_SA_EEENS0_18inequality_wrapperIZN2at6native12_GLOBAL__N_124unique_dim_cuda_templateIlEESt5tupleIJNSF_6TensorESK_SK_EERKSK_lbbbEUlllE0_EEPmJS9_EEE10hipError_tPvRmT3_T4_T5_T6_T7_T9_mT8_P12ihipStream_tbDpT10_ENKUlT_T0_E_clISt17integral_constantIbLb1EES1A_EEDaS15_S16_EUlS15_E_NS1_11comp_targetILNS1_3genE0ELNS1_11target_archE4294967295ELNS1_3gpuE0ELNS1_3repE0EEENS1_30default_config_static_selectorELNS0_4arch9wavefront6targetE0EEEvT1_,"axG",@progbits,_ZN7rocprim17ROCPRIM_400000_NS6detail17trampoline_kernelINS0_14default_configENS1_25partition_config_selectorILNS1_17partition_subalgoE9EllbEEZZNS1_14partition_implILS5_9ELb0ES3_jPlS8_PNS0_10empty_typeENS0_5tupleIJS8_S9_EEENSB_IJS8_SA_EEENS0_18inequality_wrapperIZN2at6native12_GLOBAL__N_124unique_dim_cuda_templateIlEESt5tupleIJNSF_6TensorESK_SK_EERKSK_lbbbEUlllE0_EEPmJS9_EEE10hipError_tPvRmT3_T4_T5_T6_T7_T9_mT8_P12ihipStream_tbDpT10_ENKUlT_T0_E_clISt17integral_constantIbLb1EES1A_EEDaS15_S16_EUlS15_E_NS1_11comp_targetILNS1_3genE0ELNS1_11target_archE4294967295ELNS1_3gpuE0ELNS1_3repE0EEENS1_30default_config_static_selectorELNS0_4arch9wavefront6targetE0EEEvT1_,comdat
	.globl	_ZN7rocprim17ROCPRIM_400000_NS6detail17trampoline_kernelINS0_14default_configENS1_25partition_config_selectorILNS1_17partition_subalgoE9EllbEEZZNS1_14partition_implILS5_9ELb0ES3_jPlS8_PNS0_10empty_typeENS0_5tupleIJS8_S9_EEENSB_IJS8_SA_EEENS0_18inequality_wrapperIZN2at6native12_GLOBAL__N_124unique_dim_cuda_templateIlEESt5tupleIJNSF_6TensorESK_SK_EERKSK_lbbbEUlllE0_EEPmJS9_EEE10hipError_tPvRmT3_T4_T5_T6_T7_T9_mT8_P12ihipStream_tbDpT10_ENKUlT_T0_E_clISt17integral_constantIbLb1EES1A_EEDaS15_S16_EUlS15_E_NS1_11comp_targetILNS1_3genE0ELNS1_11target_archE4294967295ELNS1_3gpuE0ELNS1_3repE0EEENS1_30default_config_static_selectorELNS0_4arch9wavefront6targetE0EEEvT1_ ; -- Begin function _ZN7rocprim17ROCPRIM_400000_NS6detail17trampoline_kernelINS0_14default_configENS1_25partition_config_selectorILNS1_17partition_subalgoE9EllbEEZZNS1_14partition_implILS5_9ELb0ES3_jPlS8_PNS0_10empty_typeENS0_5tupleIJS8_S9_EEENSB_IJS8_SA_EEENS0_18inequality_wrapperIZN2at6native12_GLOBAL__N_124unique_dim_cuda_templateIlEESt5tupleIJNSF_6TensorESK_SK_EERKSK_lbbbEUlllE0_EEPmJS9_EEE10hipError_tPvRmT3_T4_T5_T6_T7_T9_mT8_P12ihipStream_tbDpT10_ENKUlT_T0_E_clISt17integral_constantIbLb1EES1A_EEDaS15_S16_EUlS15_E_NS1_11comp_targetILNS1_3genE0ELNS1_11target_archE4294967295ELNS1_3gpuE0ELNS1_3repE0EEENS1_30default_config_static_selectorELNS0_4arch9wavefront6targetE0EEEvT1_
	.p2align	8
	.type	_ZN7rocprim17ROCPRIM_400000_NS6detail17trampoline_kernelINS0_14default_configENS1_25partition_config_selectorILNS1_17partition_subalgoE9EllbEEZZNS1_14partition_implILS5_9ELb0ES3_jPlS8_PNS0_10empty_typeENS0_5tupleIJS8_S9_EEENSB_IJS8_SA_EEENS0_18inequality_wrapperIZN2at6native12_GLOBAL__N_124unique_dim_cuda_templateIlEESt5tupleIJNSF_6TensorESK_SK_EERKSK_lbbbEUlllE0_EEPmJS9_EEE10hipError_tPvRmT3_T4_T5_T6_T7_T9_mT8_P12ihipStream_tbDpT10_ENKUlT_T0_E_clISt17integral_constantIbLb1EES1A_EEDaS15_S16_EUlS15_E_NS1_11comp_targetILNS1_3genE0ELNS1_11target_archE4294967295ELNS1_3gpuE0ELNS1_3repE0EEENS1_30default_config_static_selectorELNS0_4arch9wavefront6targetE0EEEvT1_,@function
_ZN7rocprim17ROCPRIM_400000_NS6detail17trampoline_kernelINS0_14default_configENS1_25partition_config_selectorILNS1_17partition_subalgoE9EllbEEZZNS1_14partition_implILS5_9ELb0ES3_jPlS8_PNS0_10empty_typeENS0_5tupleIJS8_S9_EEENSB_IJS8_SA_EEENS0_18inequality_wrapperIZN2at6native12_GLOBAL__N_124unique_dim_cuda_templateIlEESt5tupleIJNSF_6TensorESK_SK_EERKSK_lbbbEUlllE0_EEPmJS9_EEE10hipError_tPvRmT3_T4_T5_T6_T7_T9_mT8_P12ihipStream_tbDpT10_ENKUlT_T0_E_clISt17integral_constantIbLb1EES1A_EEDaS15_S16_EUlS15_E_NS1_11comp_targetILNS1_3genE0ELNS1_11target_archE4294967295ELNS1_3gpuE0ELNS1_3repE0EEENS1_30default_config_static_selectorELNS0_4arch9wavefront6targetE0EEEvT1_: ; @_ZN7rocprim17ROCPRIM_400000_NS6detail17trampoline_kernelINS0_14default_configENS1_25partition_config_selectorILNS1_17partition_subalgoE9EllbEEZZNS1_14partition_implILS5_9ELb0ES3_jPlS8_PNS0_10empty_typeENS0_5tupleIJS8_S9_EEENSB_IJS8_SA_EEENS0_18inequality_wrapperIZN2at6native12_GLOBAL__N_124unique_dim_cuda_templateIlEESt5tupleIJNSF_6TensorESK_SK_EERKSK_lbbbEUlllE0_EEPmJS9_EEE10hipError_tPvRmT3_T4_T5_T6_T7_T9_mT8_P12ihipStream_tbDpT10_ENKUlT_T0_E_clISt17integral_constantIbLb1EES1A_EEDaS15_S16_EUlS15_E_NS1_11comp_targetILNS1_3genE0ELNS1_11target_archE4294967295ELNS1_3gpuE0ELNS1_3repE0EEENS1_30default_config_static_selectorELNS0_4arch9wavefront6targetE0EEEvT1_
; %bb.0:
	s_endpgm
	.section	.rodata,"a",@progbits
	.p2align	6, 0x0
	.amdhsa_kernel _ZN7rocprim17ROCPRIM_400000_NS6detail17trampoline_kernelINS0_14default_configENS1_25partition_config_selectorILNS1_17partition_subalgoE9EllbEEZZNS1_14partition_implILS5_9ELb0ES3_jPlS8_PNS0_10empty_typeENS0_5tupleIJS8_S9_EEENSB_IJS8_SA_EEENS0_18inequality_wrapperIZN2at6native12_GLOBAL__N_124unique_dim_cuda_templateIlEESt5tupleIJNSF_6TensorESK_SK_EERKSK_lbbbEUlllE0_EEPmJS9_EEE10hipError_tPvRmT3_T4_T5_T6_T7_T9_mT8_P12ihipStream_tbDpT10_ENKUlT_T0_E_clISt17integral_constantIbLb1EES1A_EEDaS15_S16_EUlS15_E_NS1_11comp_targetILNS1_3genE0ELNS1_11target_archE4294967295ELNS1_3gpuE0ELNS1_3repE0EEENS1_30default_config_static_selectorELNS0_4arch9wavefront6targetE0EEEvT1_
		.amdhsa_group_segment_fixed_size 0
		.amdhsa_private_segment_fixed_size 0
		.amdhsa_kernarg_size 136
		.amdhsa_user_sgpr_count 2
		.amdhsa_user_sgpr_dispatch_ptr 0
		.amdhsa_user_sgpr_queue_ptr 0
		.amdhsa_user_sgpr_kernarg_segment_ptr 1
		.amdhsa_user_sgpr_dispatch_id 0
		.amdhsa_user_sgpr_kernarg_preload_length 0
		.amdhsa_user_sgpr_kernarg_preload_offset 0
		.amdhsa_user_sgpr_private_segment_size 0
		.amdhsa_wavefront_size32 1
		.amdhsa_uses_dynamic_stack 0
		.amdhsa_enable_private_segment 0
		.amdhsa_system_sgpr_workgroup_id_x 1
		.amdhsa_system_sgpr_workgroup_id_y 0
		.amdhsa_system_sgpr_workgroup_id_z 0
		.amdhsa_system_sgpr_workgroup_info 0
		.amdhsa_system_vgpr_workitem_id 0
		.amdhsa_next_free_vgpr 1
		.amdhsa_next_free_sgpr 1
		.amdhsa_named_barrier_count 0
		.amdhsa_reserve_vcc 0
		.amdhsa_float_round_mode_32 0
		.amdhsa_float_round_mode_16_64 0
		.amdhsa_float_denorm_mode_32 3
		.amdhsa_float_denorm_mode_16_64 3
		.amdhsa_fp16_overflow 0
		.amdhsa_memory_ordered 1
		.amdhsa_forward_progress 1
		.amdhsa_inst_pref_size 1
		.amdhsa_round_robin_scheduling 0
		.amdhsa_exception_fp_ieee_invalid_op 0
		.amdhsa_exception_fp_denorm_src 0
		.amdhsa_exception_fp_ieee_div_zero 0
		.amdhsa_exception_fp_ieee_overflow 0
		.amdhsa_exception_fp_ieee_underflow 0
		.amdhsa_exception_fp_ieee_inexact 0
		.amdhsa_exception_int_div_zero 0
	.end_amdhsa_kernel
	.section	.text._ZN7rocprim17ROCPRIM_400000_NS6detail17trampoline_kernelINS0_14default_configENS1_25partition_config_selectorILNS1_17partition_subalgoE9EllbEEZZNS1_14partition_implILS5_9ELb0ES3_jPlS8_PNS0_10empty_typeENS0_5tupleIJS8_S9_EEENSB_IJS8_SA_EEENS0_18inequality_wrapperIZN2at6native12_GLOBAL__N_124unique_dim_cuda_templateIlEESt5tupleIJNSF_6TensorESK_SK_EERKSK_lbbbEUlllE0_EEPmJS9_EEE10hipError_tPvRmT3_T4_T5_T6_T7_T9_mT8_P12ihipStream_tbDpT10_ENKUlT_T0_E_clISt17integral_constantIbLb1EES1A_EEDaS15_S16_EUlS15_E_NS1_11comp_targetILNS1_3genE0ELNS1_11target_archE4294967295ELNS1_3gpuE0ELNS1_3repE0EEENS1_30default_config_static_selectorELNS0_4arch9wavefront6targetE0EEEvT1_,"axG",@progbits,_ZN7rocprim17ROCPRIM_400000_NS6detail17trampoline_kernelINS0_14default_configENS1_25partition_config_selectorILNS1_17partition_subalgoE9EllbEEZZNS1_14partition_implILS5_9ELb0ES3_jPlS8_PNS0_10empty_typeENS0_5tupleIJS8_S9_EEENSB_IJS8_SA_EEENS0_18inequality_wrapperIZN2at6native12_GLOBAL__N_124unique_dim_cuda_templateIlEESt5tupleIJNSF_6TensorESK_SK_EERKSK_lbbbEUlllE0_EEPmJS9_EEE10hipError_tPvRmT3_T4_T5_T6_T7_T9_mT8_P12ihipStream_tbDpT10_ENKUlT_T0_E_clISt17integral_constantIbLb1EES1A_EEDaS15_S16_EUlS15_E_NS1_11comp_targetILNS1_3genE0ELNS1_11target_archE4294967295ELNS1_3gpuE0ELNS1_3repE0EEENS1_30default_config_static_selectorELNS0_4arch9wavefront6targetE0EEEvT1_,comdat
.Lfunc_end603:
	.size	_ZN7rocprim17ROCPRIM_400000_NS6detail17trampoline_kernelINS0_14default_configENS1_25partition_config_selectorILNS1_17partition_subalgoE9EllbEEZZNS1_14partition_implILS5_9ELb0ES3_jPlS8_PNS0_10empty_typeENS0_5tupleIJS8_S9_EEENSB_IJS8_SA_EEENS0_18inequality_wrapperIZN2at6native12_GLOBAL__N_124unique_dim_cuda_templateIlEESt5tupleIJNSF_6TensorESK_SK_EERKSK_lbbbEUlllE0_EEPmJS9_EEE10hipError_tPvRmT3_T4_T5_T6_T7_T9_mT8_P12ihipStream_tbDpT10_ENKUlT_T0_E_clISt17integral_constantIbLb1EES1A_EEDaS15_S16_EUlS15_E_NS1_11comp_targetILNS1_3genE0ELNS1_11target_archE4294967295ELNS1_3gpuE0ELNS1_3repE0EEENS1_30default_config_static_selectorELNS0_4arch9wavefront6targetE0EEEvT1_, .Lfunc_end603-_ZN7rocprim17ROCPRIM_400000_NS6detail17trampoline_kernelINS0_14default_configENS1_25partition_config_selectorILNS1_17partition_subalgoE9EllbEEZZNS1_14partition_implILS5_9ELb0ES3_jPlS8_PNS0_10empty_typeENS0_5tupleIJS8_S9_EEENSB_IJS8_SA_EEENS0_18inequality_wrapperIZN2at6native12_GLOBAL__N_124unique_dim_cuda_templateIlEESt5tupleIJNSF_6TensorESK_SK_EERKSK_lbbbEUlllE0_EEPmJS9_EEE10hipError_tPvRmT3_T4_T5_T6_T7_T9_mT8_P12ihipStream_tbDpT10_ENKUlT_T0_E_clISt17integral_constantIbLb1EES1A_EEDaS15_S16_EUlS15_E_NS1_11comp_targetILNS1_3genE0ELNS1_11target_archE4294967295ELNS1_3gpuE0ELNS1_3repE0EEENS1_30default_config_static_selectorELNS0_4arch9wavefront6targetE0EEEvT1_
                                        ; -- End function
	.set _ZN7rocprim17ROCPRIM_400000_NS6detail17trampoline_kernelINS0_14default_configENS1_25partition_config_selectorILNS1_17partition_subalgoE9EllbEEZZNS1_14partition_implILS5_9ELb0ES3_jPlS8_PNS0_10empty_typeENS0_5tupleIJS8_S9_EEENSB_IJS8_SA_EEENS0_18inequality_wrapperIZN2at6native12_GLOBAL__N_124unique_dim_cuda_templateIlEESt5tupleIJNSF_6TensorESK_SK_EERKSK_lbbbEUlllE0_EEPmJS9_EEE10hipError_tPvRmT3_T4_T5_T6_T7_T9_mT8_P12ihipStream_tbDpT10_ENKUlT_T0_E_clISt17integral_constantIbLb1EES1A_EEDaS15_S16_EUlS15_E_NS1_11comp_targetILNS1_3genE0ELNS1_11target_archE4294967295ELNS1_3gpuE0ELNS1_3repE0EEENS1_30default_config_static_selectorELNS0_4arch9wavefront6targetE0EEEvT1_.num_vgpr, 0
	.set _ZN7rocprim17ROCPRIM_400000_NS6detail17trampoline_kernelINS0_14default_configENS1_25partition_config_selectorILNS1_17partition_subalgoE9EllbEEZZNS1_14partition_implILS5_9ELb0ES3_jPlS8_PNS0_10empty_typeENS0_5tupleIJS8_S9_EEENSB_IJS8_SA_EEENS0_18inequality_wrapperIZN2at6native12_GLOBAL__N_124unique_dim_cuda_templateIlEESt5tupleIJNSF_6TensorESK_SK_EERKSK_lbbbEUlllE0_EEPmJS9_EEE10hipError_tPvRmT3_T4_T5_T6_T7_T9_mT8_P12ihipStream_tbDpT10_ENKUlT_T0_E_clISt17integral_constantIbLb1EES1A_EEDaS15_S16_EUlS15_E_NS1_11comp_targetILNS1_3genE0ELNS1_11target_archE4294967295ELNS1_3gpuE0ELNS1_3repE0EEENS1_30default_config_static_selectorELNS0_4arch9wavefront6targetE0EEEvT1_.num_agpr, 0
	.set _ZN7rocprim17ROCPRIM_400000_NS6detail17trampoline_kernelINS0_14default_configENS1_25partition_config_selectorILNS1_17partition_subalgoE9EllbEEZZNS1_14partition_implILS5_9ELb0ES3_jPlS8_PNS0_10empty_typeENS0_5tupleIJS8_S9_EEENSB_IJS8_SA_EEENS0_18inequality_wrapperIZN2at6native12_GLOBAL__N_124unique_dim_cuda_templateIlEESt5tupleIJNSF_6TensorESK_SK_EERKSK_lbbbEUlllE0_EEPmJS9_EEE10hipError_tPvRmT3_T4_T5_T6_T7_T9_mT8_P12ihipStream_tbDpT10_ENKUlT_T0_E_clISt17integral_constantIbLb1EES1A_EEDaS15_S16_EUlS15_E_NS1_11comp_targetILNS1_3genE0ELNS1_11target_archE4294967295ELNS1_3gpuE0ELNS1_3repE0EEENS1_30default_config_static_selectorELNS0_4arch9wavefront6targetE0EEEvT1_.numbered_sgpr, 0
	.set _ZN7rocprim17ROCPRIM_400000_NS6detail17trampoline_kernelINS0_14default_configENS1_25partition_config_selectorILNS1_17partition_subalgoE9EllbEEZZNS1_14partition_implILS5_9ELb0ES3_jPlS8_PNS0_10empty_typeENS0_5tupleIJS8_S9_EEENSB_IJS8_SA_EEENS0_18inequality_wrapperIZN2at6native12_GLOBAL__N_124unique_dim_cuda_templateIlEESt5tupleIJNSF_6TensorESK_SK_EERKSK_lbbbEUlllE0_EEPmJS9_EEE10hipError_tPvRmT3_T4_T5_T6_T7_T9_mT8_P12ihipStream_tbDpT10_ENKUlT_T0_E_clISt17integral_constantIbLb1EES1A_EEDaS15_S16_EUlS15_E_NS1_11comp_targetILNS1_3genE0ELNS1_11target_archE4294967295ELNS1_3gpuE0ELNS1_3repE0EEENS1_30default_config_static_selectorELNS0_4arch9wavefront6targetE0EEEvT1_.num_named_barrier, 0
	.set _ZN7rocprim17ROCPRIM_400000_NS6detail17trampoline_kernelINS0_14default_configENS1_25partition_config_selectorILNS1_17partition_subalgoE9EllbEEZZNS1_14partition_implILS5_9ELb0ES3_jPlS8_PNS0_10empty_typeENS0_5tupleIJS8_S9_EEENSB_IJS8_SA_EEENS0_18inequality_wrapperIZN2at6native12_GLOBAL__N_124unique_dim_cuda_templateIlEESt5tupleIJNSF_6TensorESK_SK_EERKSK_lbbbEUlllE0_EEPmJS9_EEE10hipError_tPvRmT3_T4_T5_T6_T7_T9_mT8_P12ihipStream_tbDpT10_ENKUlT_T0_E_clISt17integral_constantIbLb1EES1A_EEDaS15_S16_EUlS15_E_NS1_11comp_targetILNS1_3genE0ELNS1_11target_archE4294967295ELNS1_3gpuE0ELNS1_3repE0EEENS1_30default_config_static_selectorELNS0_4arch9wavefront6targetE0EEEvT1_.private_seg_size, 0
	.set _ZN7rocprim17ROCPRIM_400000_NS6detail17trampoline_kernelINS0_14default_configENS1_25partition_config_selectorILNS1_17partition_subalgoE9EllbEEZZNS1_14partition_implILS5_9ELb0ES3_jPlS8_PNS0_10empty_typeENS0_5tupleIJS8_S9_EEENSB_IJS8_SA_EEENS0_18inequality_wrapperIZN2at6native12_GLOBAL__N_124unique_dim_cuda_templateIlEESt5tupleIJNSF_6TensorESK_SK_EERKSK_lbbbEUlllE0_EEPmJS9_EEE10hipError_tPvRmT3_T4_T5_T6_T7_T9_mT8_P12ihipStream_tbDpT10_ENKUlT_T0_E_clISt17integral_constantIbLb1EES1A_EEDaS15_S16_EUlS15_E_NS1_11comp_targetILNS1_3genE0ELNS1_11target_archE4294967295ELNS1_3gpuE0ELNS1_3repE0EEENS1_30default_config_static_selectorELNS0_4arch9wavefront6targetE0EEEvT1_.uses_vcc, 0
	.set _ZN7rocprim17ROCPRIM_400000_NS6detail17trampoline_kernelINS0_14default_configENS1_25partition_config_selectorILNS1_17partition_subalgoE9EllbEEZZNS1_14partition_implILS5_9ELb0ES3_jPlS8_PNS0_10empty_typeENS0_5tupleIJS8_S9_EEENSB_IJS8_SA_EEENS0_18inequality_wrapperIZN2at6native12_GLOBAL__N_124unique_dim_cuda_templateIlEESt5tupleIJNSF_6TensorESK_SK_EERKSK_lbbbEUlllE0_EEPmJS9_EEE10hipError_tPvRmT3_T4_T5_T6_T7_T9_mT8_P12ihipStream_tbDpT10_ENKUlT_T0_E_clISt17integral_constantIbLb1EES1A_EEDaS15_S16_EUlS15_E_NS1_11comp_targetILNS1_3genE0ELNS1_11target_archE4294967295ELNS1_3gpuE0ELNS1_3repE0EEENS1_30default_config_static_selectorELNS0_4arch9wavefront6targetE0EEEvT1_.uses_flat_scratch, 0
	.set _ZN7rocprim17ROCPRIM_400000_NS6detail17trampoline_kernelINS0_14default_configENS1_25partition_config_selectorILNS1_17partition_subalgoE9EllbEEZZNS1_14partition_implILS5_9ELb0ES3_jPlS8_PNS0_10empty_typeENS0_5tupleIJS8_S9_EEENSB_IJS8_SA_EEENS0_18inequality_wrapperIZN2at6native12_GLOBAL__N_124unique_dim_cuda_templateIlEESt5tupleIJNSF_6TensorESK_SK_EERKSK_lbbbEUlllE0_EEPmJS9_EEE10hipError_tPvRmT3_T4_T5_T6_T7_T9_mT8_P12ihipStream_tbDpT10_ENKUlT_T0_E_clISt17integral_constantIbLb1EES1A_EEDaS15_S16_EUlS15_E_NS1_11comp_targetILNS1_3genE0ELNS1_11target_archE4294967295ELNS1_3gpuE0ELNS1_3repE0EEENS1_30default_config_static_selectorELNS0_4arch9wavefront6targetE0EEEvT1_.has_dyn_sized_stack, 0
	.set _ZN7rocprim17ROCPRIM_400000_NS6detail17trampoline_kernelINS0_14default_configENS1_25partition_config_selectorILNS1_17partition_subalgoE9EllbEEZZNS1_14partition_implILS5_9ELb0ES3_jPlS8_PNS0_10empty_typeENS0_5tupleIJS8_S9_EEENSB_IJS8_SA_EEENS0_18inequality_wrapperIZN2at6native12_GLOBAL__N_124unique_dim_cuda_templateIlEESt5tupleIJNSF_6TensorESK_SK_EERKSK_lbbbEUlllE0_EEPmJS9_EEE10hipError_tPvRmT3_T4_T5_T6_T7_T9_mT8_P12ihipStream_tbDpT10_ENKUlT_T0_E_clISt17integral_constantIbLb1EES1A_EEDaS15_S16_EUlS15_E_NS1_11comp_targetILNS1_3genE0ELNS1_11target_archE4294967295ELNS1_3gpuE0ELNS1_3repE0EEENS1_30default_config_static_selectorELNS0_4arch9wavefront6targetE0EEEvT1_.has_recursion, 0
	.set _ZN7rocprim17ROCPRIM_400000_NS6detail17trampoline_kernelINS0_14default_configENS1_25partition_config_selectorILNS1_17partition_subalgoE9EllbEEZZNS1_14partition_implILS5_9ELb0ES3_jPlS8_PNS0_10empty_typeENS0_5tupleIJS8_S9_EEENSB_IJS8_SA_EEENS0_18inequality_wrapperIZN2at6native12_GLOBAL__N_124unique_dim_cuda_templateIlEESt5tupleIJNSF_6TensorESK_SK_EERKSK_lbbbEUlllE0_EEPmJS9_EEE10hipError_tPvRmT3_T4_T5_T6_T7_T9_mT8_P12ihipStream_tbDpT10_ENKUlT_T0_E_clISt17integral_constantIbLb1EES1A_EEDaS15_S16_EUlS15_E_NS1_11comp_targetILNS1_3genE0ELNS1_11target_archE4294967295ELNS1_3gpuE0ELNS1_3repE0EEENS1_30default_config_static_selectorELNS0_4arch9wavefront6targetE0EEEvT1_.has_indirect_call, 0
	.section	.AMDGPU.csdata,"",@progbits
; Kernel info:
; codeLenInByte = 4
; TotalNumSgprs: 0
; NumVgprs: 0
; ScratchSize: 0
; MemoryBound: 0
; FloatMode: 240
; IeeeMode: 1
; LDSByteSize: 0 bytes/workgroup (compile time only)
; SGPRBlocks: 0
; VGPRBlocks: 0
; NumSGPRsForWavesPerEU: 1
; NumVGPRsForWavesPerEU: 1
; NamedBarCnt: 0
; Occupancy: 16
; WaveLimiterHint : 0
; COMPUTE_PGM_RSRC2:SCRATCH_EN: 0
; COMPUTE_PGM_RSRC2:USER_SGPR: 2
; COMPUTE_PGM_RSRC2:TRAP_HANDLER: 0
; COMPUTE_PGM_RSRC2:TGID_X_EN: 1
; COMPUTE_PGM_RSRC2:TGID_Y_EN: 0
; COMPUTE_PGM_RSRC2:TGID_Z_EN: 0
; COMPUTE_PGM_RSRC2:TIDIG_COMP_CNT: 0
	.section	.text._ZN7rocprim17ROCPRIM_400000_NS6detail17trampoline_kernelINS0_14default_configENS1_25partition_config_selectorILNS1_17partition_subalgoE9EllbEEZZNS1_14partition_implILS5_9ELb0ES3_jPlS8_PNS0_10empty_typeENS0_5tupleIJS8_S9_EEENSB_IJS8_SA_EEENS0_18inequality_wrapperIZN2at6native12_GLOBAL__N_124unique_dim_cuda_templateIlEESt5tupleIJNSF_6TensorESK_SK_EERKSK_lbbbEUlllE0_EEPmJS9_EEE10hipError_tPvRmT3_T4_T5_T6_T7_T9_mT8_P12ihipStream_tbDpT10_ENKUlT_T0_E_clISt17integral_constantIbLb1EES1A_EEDaS15_S16_EUlS15_E_NS1_11comp_targetILNS1_3genE5ELNS1_11target_archE942ELNS1_3gpuE9ELNS1_3repE0EEENS1_30default_config_static_selectorELNS0_4arch9wavefront6targetE0EEEvT1_,"axG",@progbits,_ZN7rocprim17ROCPRIM_400000_NS6detail17trampoline_kernelINS0_14default_configENS1_25partition_config_selectorILNS1_17partition_subalgoE9EllbEEZZNS1_14partition_implILS5_9ELb0ES3_jPlS8_PNS0_10empty_typeENS0_5tupleIJS8_S9_EEENSB_IJS8_SA_EEENS0_18inequality_wrapperIZN2at6native12_GLOBAL__N_124unique_dim_cuda_templateIlEESt5tupleIJNSF_6TensorESK_SK_EERKSK_lbbbEUlllE0_EEPmJS9_EEE10hipError_tPvRmT3_T4_T5_T6_T7_T9_mT8_P12ihipStream_tbDpT10_ENKUlT_T0_E_clISt17integral_constantIbLb1EES1A_EEDaS15_S16_EUlS15_E_NS1_11comp_targetILNS1_3genE5ELNS1_11target_archE942ELNS1_3gpuE9ELNS1_3repE0EEENS1_30default_config_static_selectorELNS0_4arch9wavefront6targetE0EEEvT1_,comdat
	.globl	_ZN7rocprim17ROCPRIM_400000_NS6detail17trampoline_kernelINS0_14default_configENS1_25partition_config_selectorILNS1_17partition_subalgoE9EllbEEZZNS1_14partition_implILS5_9ELb0ES3_jPlS8_PNS0_10empty_typeENS0_5tupleIJS8_S9_EEENSB_IJS8_SA_EEENS0_18inequality_wrapperIZN2at6native12_GLOBAL__N_124unique_dim_cuda_templateIlEESt5tupleIJNSF_6TensorESK_SK_EERKSK_lbbbEUlllE0_EEPmJS9_EEE10hipError_tPvRmT3_T4_T5_T6_T7_T9_mT8_P12ihipStream_tbDpT10_ENKUlT_T0_E_clISt17integral_constantIbLb1EES1A_EEDaS15_S16_EUlS15_E_NS1_11comp_targetILNS1_3genE5ELNS1_11target_archE942ELNS1_3gpuE9ELNS1_3repE0EEENS1_30default_config_static_selectorELNS0_4arch9wavefront6targetE0EEEvT1_ ; -- Begin function _ZN7rocprim17ROCPRIM_400000_NS6detail17trampoline_kernelINS0_14default_configENS1_25partition_config_selectorILNS1_17partition_subalgoE9EllbEEZZNS1_14partition_implILS5_9ELb0ES3_jPlS8_PNS0_10empty_typeENS0_5tupleIJS8_S9_EEENSB_IJS8_SA_EEENS0_18inequality_wrapperIZN2at6native12_GLOBAL__N_124unique_dim_cuda_templateIlEESt5tupleIJNSF_6TensorESK_SK_EERKSK_lbbbEUlllE0_EEPmJS9_EEE10hipError_tPvRmT3_T4_T5_T6_T7_T9_mT8_P12ihipStream_tbDpT10_ENKUlT_T0_E_clISt17integral_constantIbLb1EES1A_EEDaS15_S16_EUlS15_E_NS1_11comp_targetILNS1_3genE5ELNS1_11target_archE942ELNS1_3gpuE9ELNS1_3repE0EEENS1_30default_config_static_selectorELNS0_4arch9wavefront6targetE0EEEvT1_
	.p2align	8
	.type	_ZN7rocprim17ROCPRIM_400000_NS6detail17trampoline_kernelINS0_14default_configENS1_25partition_config_selectorILNS1_17partition_subalgoE9EllbEEZZNS1_14partition_implILS5_9ELb0ES3_jPlS8_PNS0_10empty_typeENS0_5tupleIJS8_S9_EEENSB_IJS8_SA_EEENS0_18inequality_wrapperIZN2at6native12_GLOBAL__N_124unique_dim_cuda_templateIlEESt5tupleIJNSF_6TensorESK_SK_EERKSK_lbbbEUlllE0_EEPmJS9_EEE10hipError_tPvRmT3_T4_T5_T6_T7_T9_mT8_P12ihipStream_tbDpT10_ENKUlT_T0_E_clISt17integral_constantIbLb1EES1A_EEDaS15_S16_EUlS15_E_NS1_11comp_targetILNS1_3genE5ELNS1_11target_archE942ELNS1_3gpuE9ELNS1_3repE0EEENS1_30default_config_static_selectorELNS0_4arch9wavefront6targetE0EEEvT1_,@function
_ZN7rocprim17ROCPRIM_400000_NS6detail17trampoline_kernelINS0_14default_configENS1_25partition_config_selectorILNS1_17partition_subalgoE9EllbEEZZNS1_14partition_implILS5_9ELb0ES3_jPlS8_PNS0_10empty_typeENS0_5tupleIJS8_S9_EEENSB_IJS8_SA_EEENS0_18inequality_wrapperIZN2at6native12_GLOBAL__N_124unique_dim_cuda_templateIlEESt5tupleIJNSF_6TensorESK_SK_EERKSK_lbbbEUlllE0_EEPmJS9_EEE10hipError_tPvRmT3_T4_T5_T6_T7_T9_mT8_P12ihipStream_tbDpT10_ENKUlT_T0_E_clISt17integral_constantIbLb1EES1A_EEDaS15_S16_EUlS15_E_NS1_11comp_targetILNS1_3genE5ELNS1_11target_archE942ELNS1_3gpuE9ELNS1_3repE0EEENS1_30default_config_static_selectorELNS0_4arch9wavefront6targetE0EEEvT1_: ; @_ZN7rocprim17ROCPRIM_400000_NS6detail17trampoline_kernelINS0_14default_configENS1_25partition_config_selectorILNS1_17partition_subalgoE9EllbEEZZNS1_14partition_implILS5_9ELb0ES3_jPlS8_PNS0_10empty_typeENS0_5tupleIJS8_S9_EEENSB_IJS8_SA_EEENS0_18inequality_wrapperIZN2at6native12_GLOBAL__N_124unique_dim_cuda_templateIlEESt5tupleIJNSF_6TensorESK_SK_EERKSK_lbbbEUlllE0_EEPmJS9_EEE10hipError_tPvRmT3_T4_T5_T6_T7_T9_mT8_P12ihipStream_tbDpT10_ENKUlT_T0_E_clISt17integral_constantIbLb1EES1A_EEDaS15_S16_EUlS15_E_NS1_11comp_targetILNS1_3genE5ELNS1_11target_archE942ELNS1_3gpuE9ELNS1_3repE0EEENS1_30default_config_static_selectorELNS0_4arch9wavefront6targetE0EEEvT1_
; %bb.0:
	.section	.rodata,"a",@progbits
	.p2align	6, 0x0
	.amdhsa_kernel _ZN7rocprim17ROCPRIM_400000_NS6detail17trampoline_kernelINS0_14default_configENS1_25partition_config_selectorILNS1_17partition_subalgoE9EllbEEZZNS1_14partition_implILS5_9ELb0ES3_jPlS8_PNS0_10empty_typeENS0_5tupleIJS8_S9_EEENSB_IJS8_SA_EEENS0_18inequality_wrapperIZN2at6native12_GLOBAL__N_124unique_dim_cuda_templateIlEESt5tupleIJNSF_6TensorESK_SK_EERKSK_lbbbEUlllE0_EEPmJS9_EEE10hipError_tPvRmT3_T4_T5_T6_T7_T9_mT8_P12ihipStream_tbDpT10_ENKUlT_T0_E_clISt17integral_constantIbLb1EES1A_EEDaS15_S16_EUlS15_E_NS1_11comp_targetILNS1_3genE5ELNS1_11target_archE942ELNS1_3gpuE9ELNS1_3repE0EEENS1_30default_config_static_selectorELNS0_4arch9wavefront6targetE0EEEvT1_
		.amdhsa_group_segment_fixed_size 0
		.amdhsa_private_segment_fixed_size 0
		.amdhsa_kernarg_size 136
		.amdhsa_user_sgpr_count 2
		.amdhsa_user_sgpr_dispatch_ptr 0
		.amdhsa_user_sgpr_queue_ptr 0
		.amdhsa_user_sgpr_kernarg_segment_ptr 1
		.amdhsa_user_sgpr_dispatch_id 0
		.amdhsa_user_sgpr_kernarg_preload_length 0
		.amdhsa_user_sgpr_kernarg_preload_offset 0
		.amdhsa_user_sgpr_private_segment_size 0
		.amdhsa_wavefront_size32 1
		.amdhsa_uses_dynamic_stack 0
		.amdhsa_enable_private_segment 0
		.amdhsa_system_sgpr_workgroup_id_x 1
		.amdhsa_system_sgpr_workgroup_id_y 0
		.amdhsa_system_sgpr_workgroup_id_z 0
		.amdhsa_system_sgpr_workgroup_info 0
		.amdhsa_system_vgpr_workitem_id 0
		.amdhsa_next_free_vgpr 1
		.amdhsa_next_free_sgpr 1
		.amdhsa_named_barrier_count 0
		.amdhsa_reserve_vcc 0
		.amdhsa_float_round_mode_32 0
		.amdhsa_float_round_mode_16_64 0
		.amdhsa_float_denorm_mode_32 3
		.amdhsa_float_denorm_mode_16_64 3
		.amdhsa_fp16_overflow 0
		.amdhsa_memory_ordered 1
		.amdhsa_forward_progress 1
		.amdhsa_inst_pref_size 0
		.amdhsa_round_robin_scheduling 0
		.amdhsa_exception_fp_ieee_invalid_op 0
		.amdhsa_exception_fp_denorm_src 0
		.amdhsa_exception_fp_ieee_div_zero 0
		.amdhsa_exception_fp_ieee_overflow 0
		.amdhsa_exception_fp_ieee_underflow 0
		.amdhsa_exception_fp_ieee_inexact 0
		.amdhsa_exception_int_div_zero 0
	.end_amdhsa_kernel
	.section	.text._ZN7rocprim17ROCPRIM_400000_NS6detail17trampoline_kernelINS0_14default_configENS1_25partition_config_selectorILNS1_17partition_subalgoE9EllbEEZZNS1_14partition_implILS5_9ELb0ES3_jPlS8_PNS0_10empty_typeENS0_5tupleIJS8_S9_EEENSB_IJS8_SA_EEENS0_18inequality_wrapperIZN2at6native12_GLOBAL__N_124unique_dim_cuda_templateIlEESt5tupleIJNSF_6TensorESK_SK_EERKSK_lbbbEUlllE0_EEPmJS9_EEE10hipError_tPvRmT3_T4_T5_T6_T7_T9_mT8_P12ihipStream_tbDpT10_ENKUlT_T0_E_clISt17integral_constantIbLb1EES1A_EEDaS15_S16_EUlS15_E_NS1_11comp_targetILNS1_3genE5ELNS1_11target_archE942ELNS1_3gpuE9ELNS1_3repE0EEENS1_30default_config_static_selectorELNS0_4arch9wavefront6targetE0EEEvT1_,"axG",@progbits,_ZN7rocprim17ROCPRIM_400000_NS6detail17trampoline_kernelINS0_14default_configENS1_25partition_config_selectorILNS1_17partition_subalgoE9EllbEEZZNS1_14partition_implILS5_9ELb0ES3_jPlS8_PNS0_10empty_typeENS0_5tupleIJS8_S9_EEENSB_IJS8_SA_EEENS0_18inequality_wrapperIZN2at6native12_GLOBAL__N_124unique_dim_cuda_templateIlEESt5tupleIJNSF_6TensorESK_SK_EERKSK_lbbbEUlllE0_EEPmJS9_EEE10hipError_tPvRmT3_T4_T5_T6_T7_T9_mT8_P12ihipStream_tbDpT10_ENKUlT_T0_E_clISt17integral_constantIbLb1EES1A_EEDaS15_S16_EUlS15_E_NS1_11comp_targetILNS1_3genE5ELNS1_11target_archE942ELNS1_3gpuE9ELNS1_3repE0EEENS1_30default_config_static_selectorELNS0_4arch9wavefront6targetE0EEEvT1_,comdat
.Lfunc_end604:
	.size	_ZN7rocprim17ROCPRIM_400000_NS6detail17trampoline_kernelINS0_14default_configENS1_25partition_config_selectorILNS1_17partition_subalgoE9EllbEEZZNS1_14partition_implILS5_9ELb0ES3_jPlS8_PNS0_10empty_typeENS0_5tupleIJS8_S9_EEENSB_IJS8_SA_EEENS0_18inequality_wrapperIZN2at6native12_GLOBAL__N_124unique_dim_cuda_templateIlEESt5tupleIJNSF_6TensorESK_SK_EERKSK_lbbbEUlllE0_EEPmJS9_EEE10hipError_tPvRmT3_T4_T5_T6_T7_T9_mT8_P12ihipStream_tbDpT10_ENKUlT_T0_E_clISt17integral_constantIbLb1EES1A_EEDaS15_S16_EUlS15_E_NS1_11comp_targetILNS1_3genE5ELNS1_11target_archE942ELNS1_3gpuE9ELNS1_3repE0EEENS1_30default_config_static_selectorELNS0_4arch9wavefront6targetE0EEEvT1_, .Lfunc_end604-_ZN7rocprim17ROCPRIM_400000_NS6detail17trampoline_kernelINS0_14default_configENS1_25partition_config_selectorILNS1_17partition_subalgoE9EllbEEZZNS1_14partition_implILS5_9ELb0ES3_jPlS8_PNS0_10empty_typeENS0_5tupleIJS8_S9_EEENSB_IJS8_SA_EEENS0_18inequality_wrapperIZN2at6native12_GLOBAL__N_124unique_dim_cuda_templateIlEESt5tupleIJNSF_6TensorESK_SK_EERKSK_lbbbEUlllE0_EEPmJS9_EEE10hipError_tPvRmT3_T4_T5_T6_T7_T9_mT8_P12ihipStream_tbDpT10_ENKUlT_T0_E_clISt17integral_constantIbLb1EES1A_EEDaS15_S16_EUlS15_E_NS1_11comp_targetILNS1_3genE5ELNS1_11target_archE942ELNS1_3gpuE9ELNS1_3repE0EEENS1_30default_config_static_selectorELNS0_4arch9wavefront6targetE0EEEvT1_
                                        ; -- End function
	.set _ZN7rocprim17ROCPRIM_400000_NS6detail17trampoline_kernelINS0_14default_configENS1_25partition_config_selectorILNS1_17partition_subalgoE9EllbEEZZNS1_14partition_implILS5_9ELb0ES3_jPlS8_PNS0_10empty_typeENS0_5tupleIJS8_S9_EEENSB_IJS8_SA_EEENS0_18inequality_wrapperIZN2at6native12_GLOBAL__N_124unique_dim_cuda_templateIlEESt5tupleIJNSF_6TensorESK_SK_EERKSK_lbbbEUlllE0_EEPmJS9_EEE10hipError_tPvRmT3_T4_T5_T6_T7_T9_mT8_P12ihipStream_tbDpT10_ENKUlT_T0_E_clISt17integral_constantIbLb1EES1A_EEDaS15_S16_EUlS15_E_NS1_11comp_targetILNS1_3genE5ELNS1_11target_archE942ELNS1_3gpuE9ELNS1_3repE0EEENS1_30default_config_static_selectorELNS0_4arch9wavefront6targetE0EEEvT1_.num_vgpr, 0
	.set _ZN7rocprim17ROCPRIM_400000_NS6detail17trampoline_kernelINS0_14default_configENS1_25partition_config_selectorILNS1_17partition_subalgoE9EllbEEZZNS1_14partition_implILS5_9ELb0ES3_jPlS8_PNS0_10empty_typeENS0_5tupleIJS8_S9_EEENSB_IJS8_SA_EEENS0_18inequality_wrapperIZN2at6native12_GLOBAL__N_124unique_dim_cuda_templateIlEESt5tupleIJNSF_6TensorESK_SK_EERKSK_lbbbEUlllE0_EEPmJS9_EEE10hipError_tPvRmT3_T4_T5_T6_T7_T9_mT8_P12ihipStream_tbDpT10_ENKUlT_T0_E_clISt17integral_constantIbLb1EES1A_EEDaS15_S16_EUlS15_E_NS1_11comp_targetILNS1_3genE5ELNS1_11target_archE942ELNS1_3gpuE9ELNS1_3repE0EEENS1_30default_config_static_selectorELNS0_4arch9wavefront6targetE0EEEvT1_.num_agpr, 0
	.set _ZN7rocprim17ROCPRIM_400000_NS6detail17trampoline_kernelINS0_14default_configENS1_25partition_config_selectorILNS1_17partition_subalgoE9EllbEEZZNS1_14partition_implILS5_9ELb0ES3_jPlS8_PNS0_10empty_typeENS0_5tupleIJS8_S9_EEENSB_IJS8_SA_EEENS0_18inequality_wrapperIZN2at6native12_GLOBAL__N_124unique_dim_cuda_templateIlEESt5tupleIJNSF_6TensorESK_SK_EERKSK_lbbbEUlllE0_EEPmJS9_EEE10hipError_tPvRmT3_T4_T5_T6_T7_T9_mT8_P12ihipStream_tbDpT10_ENKUlT_T0_E_clISt17integral_constantIbLb1EES1A_EEDaS15_S16_EUlS15_E_NS1_11comp_targetILNS1_3genE5ELNS1_11target_archE942ELNS1_3gpuE9ELNS1_3repE0EEENS1_30default_config_static_selectorELNS0_4arch9wavefront6targetE0EEEvT1_.numbered_sgpr, 0
	.set _ZN7rocprim17ROCPRIM_400000_NS6detail17trampoline_kernelINS0_14default_configENS1_25partition_config_selectorILNS1_17partition_subalgoE9EllbEEZZNS1_14partition_implILS5_9ELb0ES3_jPlS8_PNS0_10empty_typeENS0_5tupleIJS8_S9_EEENSB_IJS8_SA_EEENS0_18inequality_wrapperIZN2at6native12_GLOBAL__N_124unique_dim_cuda_templateIlEESt5tupleIJNSF_6TensorESK_SK_EERKSK_lbbbEUlllE0_EEPmJS9_EEE10hipError_tPvRmT3_T4_T5_T6_T7_T9_mT8_P12ihipStream_tbDpT10_ENKUlT_T0_E_clISt17integral_constantIbLb1EES1A_EEDaS15_S16_EUlS15_E_NS1_11comp_targetILNS1_3genE5ELNS1_11target_archE942ELNS1_3gpuE9ELNS1_3repE0EEENS1_30default_config_static_selectorELNS0_4arch9wavefront6targetE0EEEvT1_.num_named_barrier, 0
	.set _ZN7rocprim17ROCPRIM_400000_NS6detail17trampoline_kernelINS0_14default_configENS1_25partition_config_selectorILNS1_17partition_subalgoE9EllbEEZZNS1_14partition_implILS5_9ELb0ES3_jPlS8_PNS0_10empty_typeENS0_5tupleIJS8_S9_EEENSB_IJS8_SA_EEENS0_18inequality_wrapperIZN2at6native12_GLOBAL__N_124unique_dim_cuda_templateIlEESt5tupleIJNSF_6TensorESK_SK_EERKSK_lbbbEUlllE0_EEPmJS9_EEE10hipError_tPvRmT3_T4_T5_T6_T7_T9_mT8_P12ihipStream_tbDpT10_ENKUlT_T0_E_clISt17integral_constantIbLb1EES1A_EEDaS15_S16_EUlS15_E_NS1_11comp_targetILNS1_3genE5ELNS1_11target_archE942ELNS1_3gpuE9ELNS1_3repE0EEENS1_30default_config_static_selectorELNS0_4arch9wavefront6targetE0EEEvT1_.private_seg_size, 0
	.set _ZN7rocprim17ROCPRIM_400000_NS6detail17trampoline_kernelINS0_14default_configENS1_25partition_config_selectorILNS1_17partition_subalgoE9EllbEEZZNS1_14partition_implILS5_9ELb0ES3_jPlS8_PNS0_10empty_typeENS0_5tupleIJS8_S9_EEENSB_IJS8_SA_EEENS0_18inequality_wrapperIZN2at6native12_GLOBAL__N_124unique_dim_cuda_templateIlEESt5tupleIJNSF_6TensorESK_SK_EERKSK_lbbbEUlllE0_EEPmJS9_EEE10hipError_tPvRmT3_T4_T5_T6_T7_T9_mT8_P12ihipStream_tbDpT10_ENKUlT_T0_E_clISt17integral_constantIbLb1EES1A_EEDaS15_S16_EUlS15_E_NS1_11comp_targetILNS1_3genE5ELNS1_11target_archE942ELNS1_3gpuE9ELNS1_3repE0EEENS1_30default_config_static_selectorELNS0_4arch9wavefront6targetE0EEEvT1_.uses_vcc, 0
	.set _ZN7rocprim17ROCPRIM_400000_NS6detail17trampoline_kernelINS0_14default_configENS1_25partition_config_selectorILNS1_17partition_subalgoE9EllbEEZZNS1_14partition_implILS5_9ELb0ES3_jPlS8_PNS0_10empty_typeENS0_5tupleIJS8_S9_EEENSB_IJS8_SA_EEENS0_18inequality_wrapperIZN2at6native12_GLOBAL__N_124unique_dim_cuda_templateIlEESt5tupleIJNSF_6TensorESK_SK_EERKSK_lbbbEUlllE0_EEPmJS9_EEE10hipError_tPvRmT3_T4_T5_T6_T7_T9_mT8_P12ihipStream_tbDpT10_ENKUlT_T0_E_clISt17integral_constantIbLb1EES1A_EEDaS15_S16_EUlS15_E_NS1_11comp_targetILNS1_3genE5ELNS1_11target_archE942ELNS1_3gpuE9ELNS1_3repE0EEENS1_30default_config_static_selectorELNS0_4arch9wavefront6targetE0EEEvT1_.uses_flat_scratch, 0
	.set _ZN7rocprim17ROCPRIM_400000_NS6detail17trampoline_kernelINS0_14default_configENS1_25partition_config_selectorILNS1_17partition_subalgoE9EllbEEZZNS1_14partition_implILS5_9ELb0ES3_jPlS8_PNS0_10empty_typeENS0_5tupleIJS8_S9_EEENSB_IJS8_SA_EEENS0_18inequality_wrapperIZN2at6native12_GLOBAL__N_124unique_dim_cuda_templateIlEESt5tupleIJNSF_6TensorESK_SK_EERKSK_lbbbEUlllE0_EEPmJS9_EEE10hipError_tPvRmT3_T4_T5_T6_T7_T9_mT8_P12ihipStream_tbDpT10_ENKUlT_T0_E_clISt17integral_constantIbLb1EES1A_EEDaS15_S16_EUlS15_E_NS1_11comp_targetILNS1_3genE5ELNS1_11target_archE942ELNS1_3gpuE9ELNS1_3repE0EEENS1_30default_config_static_selectorELNS0_4arch9wavefront6targetE0EEEvT1_.has_dyn_sized_stack, 0
	.set _ZN7rocprim17ROCPRIM_400000_NS6detail17trampoline_kernelINS0_14default_configENS1_25partition_config_selectorILNS1_17partition_subalgoE9EllbEEZZNS1_14partition_implILS5_9ELb0ES3_jPlS8_PNS0_10empty_typeENS0_5tupleIJS8_S9_EEENSB_IJS8_SA_EEENS0_18inequality_wrapperIZN2at6native12_GLOBAL__N_124unique_dim_cuda_templateIlEESt5tupleIJNSF_6TensorESK_SK_EERKSK_lbbbEUlllE0_EEPmJS9_EEE10hipError_tPvRmT3_T4_T5_T6_T7_T9_mT8_P12ihipStream_tbDpT10_ENKUlT_T0_E_clISt17integral_constantIbLb1EES1A_EEDaS15_S16_EUlS15_E_NS1_11comp_targetILNS1_3genE5ELNS1_11target_archE942ELNS1_3gpuE9ELNS1_3repE0EEENS1_30default_config_static_selectorELNS0_4arch9wavefront6targetE0EEEvT1_.has_recursion, 0
	.set _ZN7rocprim17ROCPRIM_400000_NS6detail17trampoline_kernelINS0_14default_configENS1_25partition_config_selectorILNS1_17partition_subalgoE9EllbEEZZNS1_14partition_implILS5_9ELb0ES3_jPlS8_PNS0_10empty_typeENS0_5tupleIJS8_S9_EEENSB_IJS8_SA_EEENS0_18inequality_wrapperIZN2at6native12_GLOBAL__N_124unique_dim_cuda_templateIlEESt5tupleIJNSF_6TensorESK_SK_EERKSK_lbbbEUlllE0_EEPmJS9_EEE10hipError_tPvRmT3_T4_T5_T6_T7_T9_mT8_P12ihipStream_tbDpT10_ENKUlT_T0_E_clISt17integral_constantIbLb1EES1A_EEDaS15_S16_EUlS15_E_NS1_11comp_targetILNS1_3genE5ELNS1_11target_archE942ELNS1_3gpuE9ELNS1_3repE0EEENS1_30default_config_static_selectorELNS0_4arch9wavefront6targetE0EEEvT1_.has_indirect_call, 0
	.section	.AMDGPU.csdata,"",@progbits
; Kernel info:
; codeLenInByte = 0
; TotalNumSgprs: 0
; NumVgprs: 0
; ScratchSize: 0
; MemoryBound: 0
; FloatMode: 240
; IeeeMode: 1
; LDSByteSize: 0 bytes/workgroup (compile time only)
; SGPRBlocks: 0
; VGPRBlocks: 0
; NumSGPRsForWavesPerEU: 1
; NumVGPRsForWavesPerEU: 1
; NamedBarCnt: 0
; Occupancy: 16
; WaveLimiterHint : 0
; COMPUTE_PGM_RSRC2:SCRATCH_EN: 0
; COMPUTE_PGM_RSRC2:USER_SGPR: 2
; COMPUTE_PGM_RSRC2:TRAP_HANDLER: 0
; COMPUTE_PGM_RSRC2:TGID_X_EN: 1
; COMPUTE_PGM_RSRC2:TGID_Y_EN: 0
; COMPUTE_PGM_RSRC2:TGID_Z_EN: 0
; COMPUTE_PGM_RSRC2:TIDIG_COMP_CNT: 0
	.section	.text._ZN7rocprim17ROCPRIM_400000_NS6detail17trampoline_kernelINS0_14default_configENS1_25partition_config_selectorILNS1_17partition_subalgoE9EllbEEZZNS1_14partition_implILS5_9ELb0ES3_jPlS8_PNS0_10empty_typeENS0_5tupleIJS8_S9_EEENSB_IJS8_SA_EEENS0_18inequality_wrapperIZN2at6native12_GLOBAL__N_124unique_dim_cuda_templateIlEESt5tupleIJNSF_6TensorESK_SK_EERKSK_lbbbEUlllE0_EEPmJS9_EEE10hipError_tPvRmT3_T4_T5_T6_T7_T9_mT8_P12ihipStream_tbDpT10_ENKUlT_T0_E_clISt17integral_constantIbLb1EES1A_EEDaS15_S16_EUlS15_E_NS1_11comp_targetILNS1_3genE4ELNS1_11target_archE910ELNS1_3gpuE8ELNS1_3repE0EEENS1_30default_config_static_selectorELNS0_4arch9wavefront6targetE0EEEvT1_,"axG",@progbits,_ZN7rocprim17ROCPRIM_400000_NS6detail17trampoline_kernelINS0_14default_configENS1_25partition_config_selectorILNS1_17partition_subalgoE9EllbEEZZNS1_14partition_implILS5_9ELb0ES3_jPlS8_PNS0_10empty_typeENS0_5tupleIJS8_S9_EEENSB_IJS8_SA_EEENS0_18inequality_wrapperIZN2at6native12_GLOBAL__N_124unique_dim_cuda_templateIlEESt5tupleIJNSF_6TensorESK_SK_EERKSK_lbbbEUlllE0_EEPmJS9_EEE10hipError_tPvRmT3_T4_T5_T6_T7_T9_mT8_P12ihipStream_tbDpT10_ENKUlT_T0_E_clISt17integral_constantIbLb1EES1A_EEDaS15_S16_EUlS15_E_NS1_11comp_targetILNS1_3genE4ELNS1_11target_archE910ELNS1_3gpuE8ELNS1_3repE0EEENS1_30default_config_static_selectorELNS0_4arch9wavefront6targetE0EEEvT1_,comdat
	.globl	_ZN7rocprim17ROCPRIM_400000_NS6detail17trampoline_kernelINS0_14default_configENS1_25partition_config_selectorILNS1_17partition_subalgoE9EllbEEZZNS1_14partition_implILS5_9ELb0ES3_jPlS8_PNS0_10empty_typeENS0_5tupleIJS8_S9_EEENSB_IJS8_SA_EEENS0_18inequality_wrapperIZN2at6native12_GLOBAL__N_124unique_dim_cuda_templateIlEESt5tupleIJNSF_6TensorESK_SK_EERKSK_lbbbEUlllE0_EEPmJS9_EEE10hipError_tPvRmT3_T4_T5_T6_T7_T9_mT8_P12ihipStream_tbDpT10_ENKUlT_T0_E_clISt17integral_constantIbLb1EES1A_EEDaS15_S16_EUlS15_E_NS1_11comp_targetILNS1_3genE4ELNS1_11target_archE910ELNS1_3gpuE8ELNS1_3repE0EEENS1_30default_config_static_selectorELNS0_4arch9wavefront6targetE0EEEvT1_ ; -- Begin function _ZN7rocprim17ROCPRIM_400000_NS6detail17trampoline_kernelINS0_14default_configENS1_25partition_config_selectorILNS1_17partition_subalgoE9EllbEEZZNS1_14partition_implILS5_9ELb0ES3_jPlS8_PNS0_10empty_typeENS0_5tupleIJS8_S9_EEENSB_IJS8_SA_EEENS0_18inequality_wrapperIZN2at6native12_GLOBAL__N_124unique_dim_cuda_templateIlEESt5tupleIJNSF_6TensorESK_SK_EERKSK_lbbbEUlllE0_EEPmJS9_EEE10hipError_tPvRmT3_T4_T5_T6_T7_T9_mT8_P12ihipStream_tbDpT10_ENKUlT_T0_E_clISt17integral_constantIbLb1EES1A_EEDaS15_S16_EUlS15_E_NS1_11comp_targetILNS1_3genE4ELNS1_11target_archE910ELNS1_3gpuE8ELNS1_3repE0EEENS1_30default_config_static_selectorELNS0_4arch9wavefront6targetE0EEEvT1_
	.p2align	8
	.type	_ZN7rocprim17ROCPRIM_400000_NS6detail17trampoline_kernelINS0_14default_configENS1_25partition_config_selectorILNS1_17partition_subalgoE9EllbEEZZNS1_14partition_implILS5_9ELb0ES3_jPlS8_PNS0_10empty_typeENS0_5tupleIJS8_S9_EEENSB_IJS8_SA_EEENS0_18inequality_wrapperIZN2at6native12_GLOBAL__N_124unique_dim_cuda_templateIlEESt5tupleIJNSF_6TensorESK_SK_EERKSK_lbbbEUlllE0_EEPmJS9_EEE10hipError_tPvRmT3_T4_T5_T6_T7_T9_mT8_P12ihipStream_tbDpT10_ENKUlT_T0_E_clISt17integral_constantIbLb1EES1A_EEDaS15_S16_EUlS15_E_NS1_11comp_targetILNS1_3genE4ELNS1_11target_archE910ELNS1_3gpuE8ELNS1_3repE0EEENS1_30default_config_static_selectorELNS0_4arch9wavefront6targetE0EEEvT1_,@function
_ZN7rocprim17ROCPRIM_400000_NS6detail17trampoline_kernelINS0_14default_configENS1_25partition_config_selectorILNS1_17partition_subalgoE9EllbEEZZNS1_14partition_implILS5_9ELb0ES3_jPlS8_PNS0_10empty_typeENS0_5tupleIJS8_S9_EEENSB_IJS8_SA_EEENS0_18inequality_wrapperIZN2at6native12_GLOBAL__N_124unique_dim_cuda_templateIlEESt5tupleIJNSF_6TensorESK_SK_EERKSK_lbbbEUlllE0_EEPmJS9_EEE10hipError_tPvRmT3_T4_T5_T6_T7_T9_mT8_P12ihipStream_tbDpT10_ENKUlT_T0_E_clISt17integral_constantIbLb1EES1A_EEDaS15_S16_EUlS15_E_NS1_11comp_targetILNS1_3genE4ELNS1_11target_archE910ELNS1_3gpuE8ELNS1_3repE0EEENS1_30default_config_static_selectorELNS0_4arch9wavefront6targetE0EEEvT1_: ; @_ZN7rocprim17ROCPRIM_400000_NS6detail17trampoline_kernelINS0_14default_configENS1_25partition_config_selectorILNS1_17partition_subalgoE9EllbEEZZNS1_14partition_implILS5_9ELb0ES3_jPlS8_PNS0_10empty_typeENS0_5tupleIJS8_S9_EEENSB_IJS8_SA_EEENS0_18inequality_wrapperIZN2at6native12_GLOBAL__N_124unique_dim_cuda_templateIlEESt5tupleIJNSF_6TensorESK_SK_EERKSK_lbbbEUlllE0_EEPmJS9_EEE10hipError_tPvRmT3_T4_T5_T6_T7_T9_mT8_P12ihipStream_tbDpT10_ENKUlT_T0_E_clISt17integral_constantIbLb1EES1A_EEDaS15_S16_EUlS15_E_NS1_11comp_targetILNS1_3genE4ELNS1_11target_archE910ELNS1_3gpuE8ELNS1_3repE0EEENS1_30default_config_static_selectorELNS0_4arch9wavefront6targetE0EEEvT1_
; %bb.0:
	.section	.rodata,"a",@progbits
	.p2align	6, 0x0
	.amdhsa_kernel _ZN7rocprim17ROCPRIM_400000_NS6detail17trampoline_kernelINS0_14default_configENS1_25partition_config_selectorILNS1_17partition_subalgoE9EllbEEZZNS1_14partition_implILS5_9ELb0ES3_jPlS8_PNS0_10empty_typeENS0_5tupleIJS8_S9_EEENSB_IJS8_SA_EEENS0_18inequality_wrapperIZN2at6native12_GLOBAL__N_124unique_dim_cuda_templateIlEESt5tupleIJNSF_6TensorESK_SK_EERKSK_lbbbEUlllE0_EEPmJS9_EEE10hipError_tPvRmT3_T4_T5_T6_T7_T9_mT8_P12ihipStream_tbDpT10_ENKUlT_T0_E_clISt17integral_constantIbLb1EES1A_EEDaS15_S16_EUlS15_E_NS1_11comp_targetILNS1_3genE4ELNS1_11target_archE910ELNS1_3gpuE8ELNS1_3repE0EEENS1_30default_config_static_selectorELNS0_4arch9wavefront6targetE0EEEvT1_
		.amdhsa_group_segment_fixed_size 0
		.amdhsa_private_segment_fixed_size 0
		.amdhsa_kernarg_size 136
		.amdhsa_user_sgpr_count 2
		.amdhsa_user_sgpr_dispatch_ptr 0
		.amdhsa_user_sgpr_queue_ptr 0
		.amdhsa_user_sgpr_kernarg_segment_ptr 1
		.amdhsa_user_sgpr_dispatch_id 0
		.amdhsa_user_sgpr_kernarg_preload_length 0
		.amdhsa_user_sgpr_kernarg_preload_offset 0
		.amdhsa_user_sgpr_private_segment_size 0
		.amdhsa_wavefront_size32 1
		.amdhsa_uses_dynamic_stack 0
		.amdhsa_enable_private_segment 0
		.amdhsa_system_sgpr_workgroup_id_x 1
		.amdhsa_system_sgpr_workgroup_id_y 0
		.amdhsa_system_sgpr_workgroup_id_z 0
		.amdhsa_system_sgpr_workgroup_info 0
		.amdhsa_system_vgpr_workitem_id 0
		.amdhsa_next_free_vgpr 1
		.amdhsa_next_free_sgpr 1
		.amdhsa_named_barrier_count 0
		.amdhsa_reserve_vcc 0
		.amdhsa_float_round_mode_32 0
		.amdhsa_float_round_mode_16_64 0
		.amdhsa_float_denorm_mode_32 3
		.amdhsa_float_denorm_mode_16_64 3
		.amdhsa_fp16_overflow 0
		.amdhsa_memory_ordered 1
		.amdhsa_forward_progress 1
		.amdhsa_inst_pref_size 0
		.amdhsa_round_robin_scheduling 0
		.amdhsa_exception_fp_ieee_invalid_op 0
		.amdhsa_exception_fp_denorm_src 0
		.amdhsa_exception_fp_ieee_div_zero 0
		.amdhsa_exception_fp_ieee_overflow 0
		.amdhsa_exception_fp_ieee_underflow 0
		.amdhsa_exception_fp_ieee_inexact 0
		.amdhsa_exception_int_div_zero 0
	.end_amdhsa_kernel
	.section	.text._ZN7rocprim17ROCPRIM_400000_NS6detail17trampoline_kernelINS0_14default_configENS1_25partition_config_selectorILNS1_17partition_subalgoE9EllbEEZZNS1_14partition_implILS5_9ELb0ES3_jPlS8_PNS0_10empty_typeENS0_5tupleIJS8_S9_EEENSB_IJS8_SA_EEENS0_18inequality_wrapperIZN2at6native12_GLOBAL__N_124unique_dim_cuda_templateIlEESt5tupleIJNSF_6TensorESK_SK_EERKSK_lbbbEUlllE0_EEPmJS9_EEE10hipError_tPvRmT3_T4_T5_T6_T7_T9_mT8_P12ihipStream_tbDpT10_ENKUlT_T0_E_clISt17integral_constantIbLb1EES1A_EEDaS15_S16_EUlS15_E_NS1_11comp_targetILNS1_3genE4ELNS1_11target_archE910ELNS1_3gpuE8ELNS1_3repE0EEENS1_30default_config_static_selectorELNS0_4arch9wavefront6targetE0EEEvT1_,"axG",@progbits,_ZN7rocprim17ROCPRIM_400000_NS6detail17trampoline_kernelINS0_14default_configENS1_25partition_config_selectorILNS1_17partition_subalgoE9EllbEEZZNS1_14partition_implILS5_9ELb0ES3_jPlS8_PNS0_10empty_typeENS0_5tupleIJS8_S9_EEENSB_IJS8_SA_EEENS0_18inequality_wrapperIZN2at6native12_GLOBAL__N_124unique_dim_cuda_templateIlEESt5tupleIJNSF_6TensorESK_SK_EERKSK_lbbbEUlllE0_EEPmJS9_EEE10hipError_tPvRmT3_T4_T5_T6_T7_T9_mT8_P12ihipStream_tbDpT10_ENKUlT_T0_E_clISt17integral_constantIbLb1EES1A_EEDaS15_S16_EUlS15_E_NS1_11comp_targetILNS1_3genE4ELNS1_11target_archE910ELNS1_3gpuE8ELNS1_3repE0EEENS1_30default_config_static_selectorELNS0_4arch9wavefront6targetE0EEEvT1_,comdat
.Lfunc_end605:
	.size	_ZN7rocprim17ROCPRIM_400000_NS6detail17trampoline_kernelINS0_14default_configENS1_25partition_config_selectorILNS1_17partition_subalgoE9EllbEEZZNS1_14partition_implILS5_9ELb0ES3_jPlS8_PNS0_10empty_typeENS0_5tupleIJS8_S9_EEENSB_IJS8_SA_EEENS0_18inequality_wrapperIZN2at6native12_GLOBAL__N_124unique_dim_cuda_templateIlEESt5tupleIJNSF_6TensorESK_SK_EERKSK_lbbbEUlllE0_EEPmJS9_EEE10hipError_tPvRmT3_T4_T5_T6_T7_T9_mT8_P12ihipStream_tbDpT10_ENKUlT_T0_E_clISt17integral_constantIbLb1EES1A_EEDaS15_S16_EUlS15_E_NS1_11comp_targetILNS1_3genE4ELNS1_11target_archE910ELNS1_3gpuE8ELNS1_3repE0EEENS1_30default_config_static_selectorELNS0_4arch9wavefront6targetE0EEEvT1_, .Lfunc_end605-_ZN7rocprim17ROCPRIM_400000_NS6detail17trampoline_kernelINS0_14default_configENS1_25partition_config_selectorILNS1_17partition_subalgoE9EllbEEZZNS1_14partition_implILS5_9ELb0ES3_jPlS8_PNS0_10empty_typeENS0_5tupleIJS8_S9_EEENSB_IJS8_SA_EEENS0_18inequality_wrapperIZN2at6native12_GLOBAL__N_124unique_dim_cuda_templateIlEESt5tupleIJNSF_6TensorESK_SK_EERKSK_lbbbEUlllE0_EEPmJS9_EEE10hipError_tPvRmT3_T4_T5_T6_T7_T9_mT8_P12ihipStream_tbDpT10_ENKUlT_T0_E_clISt17integral_constantIbLb1EES1A_EEDaS15_S16_EUlS15_E_NS1_11comp_targetILNS1_3genE4ELNS1_11target_archE910ELNS1_3gpuE8ELNS1_3repE0EEENS1_30default_config_static_selectorELNS0_4arch9wavefront6targetE0EEEvT1_
                                        ; -- End function
	.set _ZN7rocprim17ROCPRIM_400000_NS6detail17trampoline_kernelINS0_14default_configENS1_25partition_config_selectorILNS1_17partition_subalgoE9EllbEEZZNS1_14partition_implILS5_9ELb0ES3_jPlS8_PNS0_10empty_typeENS0_5tupleIJS8_S9_EEENSB_IJS8_SA_EEENS0_18inequality_wrapperIZN2at6native12_GLOBAL__N_124unique_dim_cuda_templateIlEESt5tupleIJNSF_6TensorESK_SK_EERKSK_lbbbEUlllE0_EEPmJS9_EEE10hipError_tPvRmT3_T4_T5_T6_T7_T9_mT8_P12ihipStream_tbDpT10_ENKUlT_T0_E_clISt17integral_constantIbLb1EES1A_EEDaS15_S16_EUlS15_E_NS1_11comp_targetILNS1_3genE4ELNS1_11target_archE910ELNS1_3gpuE8ELNS1_3repE0EEENS1_30default_config_static_selectorELNS0_4arch9wavefront6targetE0EEEvT1_.num_vgpr, 0
	.set _ZN7rocprim17ROCPRIM_400000_NS6detail17trampoline_kernelINS0_14default_configENS1_25partition_config_selectorILNS1_17partition_subalgoE9EllbEEZZNS1_14partition_implILS5_9ELb0ES3_jPlS8_PNS0_10empty_typeENS0_5tupleIJS8_S9_EEENSB_IJS8_SA_EEENS0_18inequality_wrapperIZN2at6native12_GLOBAL__N_124unique_dim_cuda_templateIlEESt5tupleIJNSF_6TensorESK_SK_EERKSK_lbbbEUlllE0_EEPmJS9_EEE10hipError_tPvRmT3_T4_T5_T6_T7_T9_mT8_P12ihipStream_tbDpT10_ENKUlT_T0_E_clISt17integral_constantIbLb1EES1A_EEDaS15_S16_EUlS15_E_NS1_11comp_targetILNS1_3genE4ELNS1_11target_archE910ELNS1_3gpuE8ELNS1_3repE0EEENS1_30default_config_static_selectorELNS0_4arch9wavefront6targetE0EEEvT1_.num_agpr, 0
	.set _ZN7rocprim17ROCPRIM_400000_NS6detail17trampoline_kernelINS0_14default_configENS1_25partition_config_selectorILNS1_17partition_subalgoE9EllbEEZZNS1_14partition_implILS5_9ELb0ES3_jPlS8_PNS0_10empty_typeENS0_5tupleIJS8_S9_EEENSB_IJS8_SA_EEENS0_18inequality_wrapperIZN2at6native12_GLOBAL__N_124unique_dim_cuda_templateIlEESt5tupleIJNSF_6TensorESK_SK_EERKSK_lbbbEUlllE0_EEPmJS9_EEE10hipError_tPvRmT3_T4_T5_T6_T7_T9_mT8_P12ihipStream_tbDpT10_ENKUlT_T0_E_clISt17integral_constantIbLb1EES1A_EEDaS15_S16_EUlS15_E_NS1_11comp_targetILNS1_3genE4ELNS1_11target_archE910ELNS1_3gpuE8ELNS1_3repE0EEENS1_30default_config_static_selectorELNS0_4arch9wavefront6targetE0EEEvT1_.numbered_sgpr, 0
	.set _ZN7rocprim17ROCPRIM_400000_NS6detail17trampoline_kernelINS0_14default_configENS1_25partition_config_selectorILNS1_17partition_subalgoE9EllbEEZZNS1_14partition_implILS5_9ELb0ES3_jPlS8_PNS0_10empty_typeENS0_5tupleIJS8_S9_EEENSB_IJS8_SA_EEENS0_18inequality_wrapperIZN2at6native12_GLOBAL__N_124unique_dim_cuda_templateIlEESt5tupleIJNSF_6TensorESK_SK_EERKSK_lbbbEUlllE0_EEPmJS9_EEE10hipError_tPvRmT3_T4_T5_T6_T7_T9_mT8_P12ihipStream_tbDpT10_ENKUlT_T0_E_clISt17integral_constantIbLb1EES1A_EEDaS15_S16_EUlS15_E_NS1_11comp_targetILNS1_3genE4ELNS1_11target_archE910ELNS1_3gpuE8ELNS1_3repE0EEENS1_30default_config_static_selectorELNS0_4arch9wavefront6targetE0EEEvT1_.num_named_barrier, 0
	.set _ZN7rocprim17ROCPRIM_400000_NS6detail17trampoline_kernelINS0_14default_configENS1_25partition_config_selectorILNS1_17partition_subalgoE9EllbEEZZNS1_14partition_implILS5_9ELb0ES3_jPlS8_PNS0_10empty_typeENS0_5tupleIJS8_S9_EEENSB_IJS8_SA_EEENS0_18inequality_wrapperIZN2at6native12_GLOBAL__N_124unique_dim_cuda_templateIlEESt5tupleIJNSF_6TensorESK_SK_EERKSK_lbbbEUlllE0_EEPmJS9_EEE10hipError_tPvRmT3_T4_T5_T6_T7_T9_mT8_P12ihipStream_tbDpT10_ENKUlT_T0_E_clISt17integral_constantIbLb1EES1A_EEDaS15_S16_EUlS15_E_NS1_11comp_targetILNS1_3genE4ELNS1_11target_archE910ELNS1_3gpuE8ELNS1_3repE0EEENS1_30default_config_static_selectorELNS0_4arch9wavefront6targetE0EEEvT1_.private_seg_size, 0
	.set _ZN7rocprim17ROCPRIM_400000_NS6detail17trampoline_kernelINS0_14default_configENS1_25partition_config_selectorILNS1_17partition_subalgoE9EllbEEZZNS1_14partition_implILS5_9ELb0ES3_jPlS8_PNS0_10empty_typeENS0_5tupleIJS8_S9_EEENSB_IJS8_SA_EEENS0_18inequality_wrapperIZN2at6native12_GLOBAL__N_124unique_dim_cuda_templateIlEESt5tupleIJNSF_6TensorESK_SK_EERKSK_lbbbEUlllE0_EEPmJS9_EEE10hipError_tPvRmT3_T4_T5_T6_T7_T9_mT8_P12ihipStream_tbDpT10_ENKUlT_T0_E_clISt17integral_constantIbLb1EES1A_EEDaS15_S16_EUlS15_E_NS1_11comp_targetILNS1_3genE4ELNS1_11target_archE910ELNS1_3gpuE8ELNS1_3repE0EEENS1_30default_config_static_selectorELNS0_4arch9wavefront6targetE0EEEvT1_.uses_vcc, 0
	.set _ZN7rocprim17ROCPRIM_400000_NS6detail17trampoline_kernelINS0_14default_configENS1_25partition_config_selectorILNS1_17partition_subalgoE9EllbEEZZNS1_14partition_implILS5_9ELb0ES3_jPlS8_PNS0_10empty_typeENS0_5tupleIJS8_S9_EEENSB_IJS8_SA_EEENS0_18inequality_wrapperIZN2at6native12_GLOBAL__N_124unique_dim_cuda_templateIlEESt5tupleIJNSF_6TensorESK_SK_EERKSK_lbbbEUlllE0_EEPmJS9_EEE10hipError_tPvRmT3_T4_T5_T6_T7_T9_mT8_P12ihipStream_tbDpT10_ENKUlT_T0_E_clISt17integral_constantIbLb1EES1A_EEDaS15_S16_EUlS15_E_NS1_11comp_targetILNS1_3genE4ELNS1_11target_archE910ELNS1_3gpuE8ELNS1_3repE0EEENS1_30default_config_static_selectorELNS0_4arch9wavefront6targetE0EEEvT1_.uses_flat_scratch, 0
	.set _ZN7rocprim17ROCPRIM_400000_NS6detail17trampoline_kernelINS0_14default_configENS1_25partition_config_selectorILNS1_17partition_subalgoE9EllbEEZZNS1_14partition_implILS5_9ELb0ES3_jPlS8_PNS0_10empty_typeENS0_5tupleIJS8_S9_EEENSB_IJS8_SA_EEENS0_18inequality_wrapperIZN2at6native12_GLOBAL__N_124unique_dim_cuda_templateIlEESt5tupleIJNSF_6TensorESK_SK_EERKSK_lbbbEUlllE0_EEPmJS9_EEE10hipError_tPvRmT3_T4_T5_T6_T7_T9_mT8_P12ihipStream_tbDpT10_ENKUlT_T0_E_clISt17integral_constantIbLb1EES1A_EEDaS15_S16_EUlS15_E_NS1_11comp_targetILNS1_3genE4ELNS1_11target_archE910ELNS1_3gpuE8ELNS1_3repE0EEENS1_30default_config_static_selectorELNS0_4arch9wavefront6targetE0EEEvT1_.has_dyn_sized_stack, 0
	.set _ZN7rocprim17ROCPRIM_400000_NS6detail17trampoline_kernelINS0_14default_configENS1_25partition_config_selectorILNS1_17partition_subalgoE9EllbEEZZNS1_14partition_implILS5_9ELb0ES3_jPlS8_PNS0_10empty_typeENS0_5tupleIJS8_S9_EEENSB_IJS8_SA_EEENS0_18inequality_wrapperIZN2at6native12_GLOBAL__N_124unique_dim_cuda_templateIlEESt5tupleIJNSF_6TensorESK_SK_EERKSK_lbbbEUlllE0_EEPmJS9_EEE10hipError_tPvRmT3_T4_T5_T6_T7_T9_mT8_P12ihipStream_tbDpT10_ENKUlT_T0_E_clISt17integral_constantIbLb1EES1A_EEDaS15_S16_EUlS15_E_NS1_11comp_targetILNS1_3genE4ELNS1_11target_archE910ELNS1_3gpuE8ELNS1_3repE0EEENS1_30default_config_static_selectorELNS0_4arch9wavefront6targetE0EEEvT1_.has_recursion, 0
	.set _ZN7rocprim17ROCPRIM_400000_NS6detail17trampoline_kernelINS0_14default_configENS1_25partition_config_selectorILNS1_17partition_subalgoE9EllbEEZZNS1_14partition_implILS5_9ELb0ES3_jPlS8_PNS0_10empty_typeENS0_5tupleIJS8_S9_EEENSB_IJS8_SA_EEENS0_18inequality_wrapperIZN2at6native12_GLOBAL__N_124unique_dim_cuda_templateIlEESt5tupleIJNSF_6TensorESK_SK_EERKSK_lbbbEUlllE0_EEPmJS9_EEE10hipError_tPvRmT3_T4_T5_T6_T7_T9_mT8_P12ihipStream_tbDpT10_ENKUlT_T0_E_clISt17integral_constantIbLb1EES1A_EEDaS15_S16_EUlS15_E_NS1_11comp_targetILNS1_3genE4ELNS1_11target_archE910ELNS1_3gpuE8ELNS1_3repE0EEENS1_30default_config_static_selectorELNS0_4arch9wavefront6targetE0EEEvT1_.has_indirect_call, 0
	.section	.AMDGPU.csdata,"",@progbits
; Kernel info:
; codeLenInByte = 0
; TotalNumSgprs: 0
; NumVgprs: 0
; ScratchSize: 0
; MemoryBound: 0
; FloatMode: 240
; IeeeMode: 1
; LDSByteSize: 0 bytes/workgroup (compile time only)
; SGPRBlocks: 0
; VGPRBlocks: 0
; NumSGPRsForWavesPerEU: 1
; NumVGPRsForWavesPerEU: 1
; NamedBarCnt: 0
; Occupancy: 16
; WaveLimiterHint : 0
; COMPUTE_PGM_RSRC2:SCRATCH_EN: 0
; COMPUTE_PGM_RSRC2:USER_SGPR: 2
; COMPUTE_PGM_RSRC2:TRAP_HANDLER: 0
; COMPUTE_PGM_RSRC2:TGID_X_EN: 1
; COMPUTE_PGM_RSRC2:TGID_Y_EN: 0
; COMPUTE_PGM_RSRC2:TGID_Z_EN: 0
; COMPUTE_PGM_RSRC2:TIDIG_COMP_CNT: 0
	.section	.text._ZN7rocprim17ROCPRIM_400000_NS6detail17trampoline_kernelINS0_14default_configENS1_25partition_config_selectorILNS1_17partition_subalgoE9EllbEEZZNS1_14partition_implILS5_9ELb0ES3_jPlS8_PNS0_10empty_typeENS0_5tupleIJS8_S9_EEENSB_IJS8_SA_EEENS0_18inequality_wrapperIZN2at6native12_GLOBAL__N_124unique_dim_cuda_templateIlEESt5tupleIJNSF_6TensorESK_SK_EERKSK_lbbbEUlllE0_EEPmJS9_EEE10hipError_tPvRmT3_T4_T5_T6_T7_T9_mT8_P12ihipStream_tbDpT10_ENKUlT_T0_E_clISt17integral_constantIbLb1EES1A_EEDaS15_S16_EUlS15_E_NS1_11comp_targetILNS1_3genE3ELNS1_11target_archE908ELNS1_3gpuE7ELNS1_3repE0EEENS1_30default_config_static_selectorELNS0_4arch9wavefront6targetE0EEEvT1_,"axG",@progbits,_ZN7rocprim17ROCPRIM_400000_NS6detail17trampoline_kernelINS0_14default_configENS1_25partition_config_selectorILNS1_17partition_subalgoE9EllbEEZZNS1_14partition_implILS5_9ELb0ES3_jPlS8_PNS0_10empty_typeENS0_5tupleIJS8_S9_EEENSB_IJS8_SA_EEENS0_18inequality_wrapperIZN2at6native12_GLOBAL__N_124unique_dim_cuda_templateIlEESt5tupleIJNSF_6TensorESK_SK_EERKSK_lbbbEUlllE0_EEPmJS9_EEE10hipError_tPvRmT3_T4_T5_T6_T7_T9_mT8_P12ihipStream_tbDpT10_ENKUlT_T0_E_clISt17integral_constantIbLb1EES1A_EEDaS15_S16_EUlS15_E_NS1_11comp_targetILNS1_3genE3ELNS1_11target_archE908ELNS1_3gpuE7ELNS1_3repE0EEENS1_30default_config_static_selectorELNS0_4arch9wavefront6targetE0EEEvT1_,comdat
	.globl	_ZN7rocprim17ROCPRIM_400000_NS6detail17trampoline_kernelINS0_14default_configENS1_25partition_config_selectorILNS1_17partition_subalgoE9EllbEEZZNS1_14partition_implILS5_9ELb0ES3_jPlS8_PNS0_10empty_typeENS0_5tupleIJS8_S9_EEENSB_IJS8_SA_EEENS0_18inequality_wrapperIZN2at6native12_GLOBAL__N_124unique_dim_cuda_templateIlEESt5tupleIJNSF_6TensorESK_SK_EERKSK_lbbbEUlllE0_EEPmJS9_EEE10hipError_tPvRmT3_T4_T5_T6_T7_T9_mT8_P12ihipStream_tbDpT10_ENKUlT_T0_E_clISt17integral_constantIbLb1EES1A_EEDaS15_S16_EUlS15_E_NS1_11comp_targetILNS1_3genE3ELNS1_11target_archE908ELNS1_3gpuE7ELNS1_3repE0EEENS1_30default_config_static_selectorELNS0_4arch9wavefront6targetE0EEEvT1_ ; -- Begin function _ZN7rocprim17ROCPRIM_400000_NS6detail17trampoline_kernelINS0_14default_configENS1_25partition_config_selectorILNS1_17partition_subalgoE9EllbEEZZNS1_14partition_implILS5_9ELb0ES3_jPlS8_PNS0_10empty_typeENS0_5tupleIJS8_S9_EEENSB_IJS8_SA_EEENS0_18inequality_wrapperIZN2at6native12_GLOBAL__N_124unique_dim_cuda_templateIlEESt5tupleIJNSF_6TensorESK_SK_EERKSK_lbbbEUlllE0_EEPmJS9_EEE10hipError_tPvRmT3_T4_T5_T6_T7_T9_mT8_P12ihipStream_tbDpT10_ENKUlT_T0_E_clISt17integral_constantIbLb1EES1A_EEDaS15_S16_EUlS15_E_NS1_11comp_targetILNS1_3genE3ELNS1_11target_archE908ELNS1_3gpuE7ELNS1_3repE0EEENS1_30default_config_static_selectorELNS0_4arch9wavefront6targetE0EEEvT1_
	.p2align	8
	.type	_ZN7rocprim17ROCPRIM_400000_NS6detail17trampoline_kernelINS0_14default_configENS1_25partition_config_selectorILNS1_17partition_subalgoE9EllbEEZZNS1_14partition_implILS5_9ELb0ES3_jPlS8_PNS0_10empty_typeENS0_5tupleIJS8_S9_EEENSB_IJS8_SA_EEENS0_18inequality_wrapperIZN2at6native12_GLOBAL__N_124unique_dim_cuda_templateIlEESt5tupleIJNSF_6TensorESK_SK_EERKSK_lbbbEUlllE0_EEPmJS9_EEE10hipError_tPvRmT3_T4_T5_T6_T7_T9_mT8_P12ihipStream_tbDpT10_ENKUlT_T0_E_clISt17integral_constantIbLb1EES1A_EEDaS15_S16_EUlS15_E_NS1_11comp_targetILNS1_3genE3ELNS1_11target_archE908ELNS1_3gpuE7ELNS1_3repE0EEENS1_30default_config_static_selectorELNS0_4arch9wavefront6targetE0EEEvT1_,@function
_ZN7rocprim17ROCPRIM_400000_NS6detail17trampoline_kernelINS0_14default_configENS1_25partition_config_selectorILNS1_17partition_subalgoE9EllbEEZZNS1_14partition_implILS5_9ELb0ES3_jPlS8_PNS0_10empty_typeENS0_5tupleIJS8_S9_EEENSB_IJS8_SA_EEENS0_18inequality_wrapperIZN2at6native12_GLOBAL__N_124unique_dim_cuda_templateIlEESt5tupleIJNSF_6TensorESK_SK_EERKSK_lbbbEUlllE0_EEPmJS9_EEE10hipError_tPvRmT3_T4_T5_T6_T7_T9_mT8_P12ihipStream_tbDpT10_ENKUlT_T0_E_clISt17integral_constantIbLb1EES1A_EEDaS15_S16_EUlS15_E_NS1_11comp_targetILNS1_3genE3ELNS1_11target_archE908ELNS1_3gpuE7ELNS1_3repE0EEENS1_30default_config_static_selectorELNS0_4arch9wavefront6targetE0EEEvT1_: ; @_ZN7rocprim17ROCPRIM_400000_NS6detail17trampoline_kernelINS0_14default_configENS1_25partition_config_selectorILNS1_17partition_subalgoE9EllbEEZZNS1_14partition_implILS5_9ELb0ES3_jPlS8_PNS0_10empty_typeENS0_5tupleIJS8_S9_EEENSB_IJS8_SA_EEENS0_18inequality_wrapperIZN2at6native12_GLOBAL__N_124unique_dim_cuda_templateIlEESt5tupleIJNSF_6TensorESK_SK_EERKSK_lbbbEUlllE0_EEPmJS9_EEE10hipError_tPvRmT3_T4_T5_T6_T7_T9_mT8_P12ihipStream_tbDpT10_ENKUlT_T0_E_clISt17integral_constantIbLb1EES1A_EEDaS15_S16_EUlS15_E_NS1_11comp_targetILNS1_3genE3ELNS1_11target_archE908ELNS1_3gpuE7ELNS1_3repE0EEENS1_30default_config_static_selectorELNS0_4arch9wavefront6targetE0EEEvT1_
; %bb.0:
	.section	.rodata,"a",@progbits
	.p2align	6, 0x0
	.amdhsa_kernel _ZN7rocprim17ROCPRIM_400000_NS6detail17trampoline_kernelINS0_14default_configENS1_25partition_config_selectorILNS1_17partition_subalgoE9EllbEEZZNS1_14partition_implILS5_9ELb0ES3_jPlS8_PNS0_10empty_typeENS0_5tupleIJS8_S9_EEENSB_IJS8_SA_EEENS0_18inequality_wrapperIZN2at6native12_GLOBAL__N_124unique_dim_cuda_templateIlEESt5tupleIJNSF_6TensorESK_SK_EERKSK_lbbbEUlllE0_EEPmJS9_EEE10hipError_tPvRmT3_T4_T5_T6_T7_T9_mT8_P12ihipStream_tbDpT10_ENKUlT_T0_E_clISt17integral_constantIbLb1EES1A_EEDaS15_S16_EUlS15_E_NS1_11comp_targetILNS1_3genE3ELNS1_11target_archE908ELNS1_3gpuE7ELNS1_3repE0EEENS1_30default_config_static_selectorELNS0_4arch9wavefront6targetE0EEEvT1_
		.amdhsa_group_segment_fixed_size 0
		.amdhsa_private_segment_fixed_size 0
		.amdhsa_kernarg_size 136
		.amdhsa_user_sgpr_count 2
		.amdhsa_user_sgpr_dispatch_ptr 0
		.amdhsa_user_sgpr_queue_ptr 0
		.amdhsa_user_sgpr_kernarg_segment_ptr 1
		.amdhsa_user_sgpr_dispatch_id 0
		.amdhsa_user_sgpr_kernarg_preload_length 0
		.amdhsa_user_sgpr_kernarg_preload_offset 0
		.amdhsa_user_sgpr_private_segment_size 0
		.amdhsa_wavefront_size32 1
		.amdhsa_uses_dynamic_stack 0
		.amdhsa_enable_private_segment 0
		.amdhsa_system_sgpr_workgroup_id_x 1
		.amdhsa_system_sgpr_workgroup_id_y 0
		.amdhsa_system_sgpr_workgroup_id_z 0
		.amdhsa_system_sgpr_workgroup_info 0
		.amdhsa_system_vgpr_workitem_id 0
		.amdhsa_next_free_vgpr 1
		.amdhsa_next_free_sgpr 1
		.amdhsa_named_barrier_count 0
		.amdhsa_reserve_vcc 0
		.amdhsa_float_round_mode_32 0
		.amdhsa_float_round_mode_16_64 0
		.amdhsa_float_denorm_mode_32 3
		.amdhsa_float_denorm_mode_16_64 3
		.amdhsa_fp16_overflow 0
		.amdhsa_memory_ordered 1
		.amdhsa_forward_progress 1
		.amdhsa_inst_pref_size 0
		.amdhsa_round_robin_scheduling 0
		.amdhsa_exception_fp_ieee_invalid_op 0
		.amdhsa_exception_fp_denorm_src 0
		.amdhsa_exception_fp_ieee_div_zero 0
		.amdhsa_exception_fp_ieee_overflow 0
		.amdhsa_exception_fp_ieee_underflow 0
		.amdhsa_exception_fp_ieee_inexact 0
		.amdhsa_exception_int_div_zero 0
	.end_amdhsa_kernel
	.section	.text._ZN7rocprim17ROCPRIM_400000_NS6detail17trampoline_kernelINS0_14default_configENS1_25partition_config_selectorILNS1_17partition_subalgoE9EllbEEZZNS1_14partition_implILS5_9ELb0ES3_jPlS8_PNS0_10empty_typeENS0_5tupleIJS8_S9_EEENSB_IJS8_SA_EEENS0_18inequality_wrapperIZN2at6native12_GLOBAL__N_124unique_dim_cuda_templateIlEESt5tupleIJNSF_6TensorESK_SK_EERKSK_lbbbEUlllE0_EEPmJS9_EEE10hipError_tPvRmT3_T4_T5_T6_T7_T9_mT8_P12ihipStream_tbDpT10_ENKUlT_T0_E_clISt17integral_constantIbLb1EES1A_EEDaS15_S16_EUlS15_E_NS1_11comp_targetILNS1_3genE3ELNS1_11target_archE908ELNS1_3gpuE7ELNS1_3repE0EEENS1_30default_config_static_selectorELNS0_4arch9wavefront6targetE0EEEvT1_,"axG",@progbits,_ZN7rocprim17ROCPRIM_400000_NS6detail17trampoline_kernelINS0_14default_configENS1_25partition_config_selectorILNS1_17partition_subalgoE9EllbEEZZNS1_14partition_implILS5_9ELb0ES3_jPlS8_PNS0_10empty_typeENS0_5tupleIJS8_S9_EEENSB_IJS8_SA_EEENS0_18inequality_wrapperIZN2at6native12_GLOBAL__N_124unique_dim_cuda_templateIlEESt5tupleIJNSF_6TensorESK_SK_EERKSK_lbbbEUlllE0_EEPmJS9_EEE10hipError_tPvRmT3_T4_T5_T6_T7_T9_mT8_P12ihipStream_tbDpT10_ENKUlT_T0_E_clISt17integral_constantIbLb1EES1A_EEDaS15_S16_EUlS15_E_NS1_11comp_targetILNS1_3genE3ELNS1_11target_archE908ELNS1_3gpuE7ELNS1_3repE0EEENS1_30default_config_static_selectorELNS0_4arch9wavefront6targetE0EEEvT1_,comdat
.Lfunc_end606:
	.size	_ZN7rocprim17ROCPRIM_400000_NS6detail17trampoline_kernelINS0_14default_configENS1_25partition_config_selectorILNS1_17partition_subalgoE9EllbEEZZNS1_14partition_implILS5_9ELb0ES3_jPlS8_PNS0_10empty_typeENS0_5tupleIJS8_S9_EEENSB_IJS8_SA_EEENS0_18inequality_wrapperIZN2at6native12_GLOBAL__N_124unique_dim_cuda_templateIlEESt5tupleIJNSF_6TensorESK_SK_EERKSK_lbbbEUlllE0_EEPmJS9_EEE10hipError_tPvRmT3_T4_T5_T6_T7_T9_mT8_P12ihipStream_tbDpT10_ENKUlT_T0_E_clISt17integral_constantIbLb1EES1A_EEDaS15_S16_EUlS15_E_NS1_11comp_targetILNS1_3genE3ELNS1_11target_archE908ELNS1_3gpuE7ELNS1_3repE0EEENS1_30default_config_static_selectorELNS0_4arch9wavefront6targetE0EEEvT1_, .Lfunc_end606-_ZN7rocprim17ROCPRIM_400000_NS6detail17trampoline_kernelINS0_14default_configENS1_25partition_config_selectorILNS1_17partition_subalgoE9EllbEEZZNS1_14partition_implILS5_9ELb0ES3_jPlS8_PNS0_10empty_typeENS0_5tupleIJS8_S9_EEENSB_IJS8_SA_EEENS0_18inequality_wrapperIZN2at6native12_GLOBAL__N_124unique_dim_cuda_templateIlEESt5tupleIJNSF_6TensorESK_SK_EERKSK_lbbbEUlllE0_EEPmJS9_EEE10hipError_tPvRmT3_T4_T5_T6_T7_T9_mT8_P12ihipStream_tbDpT10_ENKUlT_T0_E_clISt17integral_constantIbLb1EES1A_EEDaS15_S16_EUlS15_E_NS1_11comp_targetILNS1_3genE3ELNS1_11target_archE908ELNS1_3gpuE7ELNS1_3repE0EEENS1_30default_config_static_selectorELNS0_4arch9wavefront6targetE0EEEvT1_
                                        ; -- End function
	.set _ZN7rocprim17ROCPRIM_400000_NS6detail17trampoline_kernelINS0_14default_configENS1_25partition_config_selectorILNS1_17partition_subalgoE9EllbEEZZNS1_14partition_implILS5_9ELb0ES3_jPlS8_PNS0_10empty_typeENS0_5tupleIJS8_S9_EEENSB_IJS8_SA_EEENS0_18inequality_wrapperIZN2at6native12_GLOBAL__N_124unique_dim_cuda_templateIlEESt5tupleIJNSF_6TensorESK_SK_EERKSK_lbbbEUlllE0_EEPmJS9_EEE10hipError_tPvRmT3_T4_T5_T6_T7_T9_mT8_P12ihipStream_tbDpT10_ENKUlT_T0_E_clISt17integral_constantIbLb1EES1A_EEDaS15_S16_EUlS15_E_NS1_11comp_targetILNS1_3genE3ELNS1_11target_archE908ELNS1_3gpuE7ELNS1_3repE0EEENS1_30default_config_static_selectorELNS0_4arch9wavefront6targetE0EEEvT1_.num_vgpr, 0
	.set _ZN7rocprim17ROCPRIM_400000_NS6detail17trampoline_kernelINS0_14default_configENS1_25partition_config_selectorILNS1_17partition_subalgoE9EllbEEZZNS1_14partition_implILS5_9ELb0ES3_jPlS8_PNS0_10empty_typeENS0_5tupleIJS8_S9_EEENSB_IJS8_SA_EEENS0_18inequality_wrapperIZN2at6native12_GLOBAL__N_124unique_dim_cuda_templateIlEESt5tupleIJNSF_6TensorESK_SK_EERKSK_lbbbEUlllE0_EEPmJS9_EEE10hipError_tPvRmT3_T4_T5_T6_T7_T9_mT8_P12ihipStream_tbDpT10_ENKUlT_T0_E_clISt17integral_constantIbLb1EES1A_EEDaS15_S16_EUlS15_E_NS1_11comp_targetILNS1_3genE3ELNS1_11target_archE908ELNS1_3gpuE7ELNS1_3repE0EEENS1_30default_config_static_selectorELNS0_4arch9wavefront6targetE0EEEvT1_.num_agpr, 0
	.set _ZN7rocprim17ROCPRIM_400000_NS6detail17trampoline_kernelINS0_14default_configENS1_25partition_config_selectorILNS1_17partition_subalgoE9EllbEEZZNS1_14partition_implILS5_9ELb0ES3_jPlS8_PNS0_10empty_typeENS0_5tupleIJS8_S9_EEENSB_IJS8_SA_EEENS0_18inequality_wrapperIZN2at6native12_GLOBAL__N_124unique_dim_cuda_templateIlEESt5tupleIJNSF_6TensorESK_SK_EERKSK_lbbbEUlllE0_EEPmJS9_EEE10hipError_tPvRmT3_T4_T5_T6_T7_T9_mT8_P12ihipStream_tbDpT10_ENKUlT_T0_E_clISt17integral_constantIbLb1EES1A_EEDaS15_S16_EUlS15_E_NS1_11comp_targetILNS1_3genE3ELNS1_11target_archE908ELNS1_3gpuE7ELNS1_3repE0EEENS1_30default_config_static_selectorELNS0_4arch9wavefront6targetE0EEEvT1_.numbered_sgpr, 0
	.set _ZN7rocprim17ROCPRIM_400000_NS6detail17trampoline_kernelINS0_14default_configENS1_25partition_config_selectorILNS1_17partition_subalgoE9EllbEEZZNS1_14partition_implILS5_9ELb0ES3_jPlS8_PNS0_10empty_typeENS0_5tupleIJS8_S9_EEENSB_IJS8_SA_EEENS0_18inequality_wrapperIZN2at6native12_GLOBAL__N_124unique_dim_cuda_templateIlEESt5tupleIJNSF_6TensorESK_SK_EERKSK_lbbbEUlllE0_EEPmJS9_EEE10hipError_tPvRmT3_T4_T5_T6_T7_T9_mT8_P12ihipStream_tbDpT10_ENKUlT_T0_E_clISt17integral_constantIbLb1EES1A_EEDaS15_S16_EUlS15_E_NS1_11comp_targetILNS1_3genE3ELNS1_11target_archE908ELNS1_3gpuE7ELNS1_3repE0EEENS1_30default_config_static_selectorELNS0_4arch9wavefront6targetE0EEEvT1_.num_named_barrier, 0
	.set _ZN7rocprim17ROCPRIM_400000_NS6detail17trampoline_kernelINS0_14default_configENS1_25partition_config_selectorILNS1_17partition_subalgoE9EllbEEZZNS1_14partition_implILS5_9ELb0ES3_jPlS8_PNS0_10empty_typeENS0_5tupleIJS8_S9_EEENSB_IJS8_SA_EEENS0_18inequality_wrapperIZN2at6native12_GLOBAL__N_124unique_dim_cuda_templateIlEESt5tupleIJNSF_6TensorESK_SK_EERKSK_lbbbEUlllE0_EEPmJS9_EEE10hipError_tPvRmT3_T4_T5_T6_T7_T9_mT8_P12ihipStream_tbDpT10_ENKUlT_T0_E_clISt17integral_constantIbLb1EES1A_EEDaS15_S16_EUlS15_E_NS1_11comp_targetILNS1_3genE3ELNS1_11target_archE908ELNS1_3gpuE7ELNS1_3repE0EEENS1_30default_config_static_selectorELNS0_4arch9wavefront6targetE0EEEvT1_.private_seg_size, 0
	.set _ZN7rocprim17ROCPRIM_400000_NS6detail17trampoline_kernelINS0_14default_configENS1_25partition_config_selectorILNS1_17partition_subalgoE9EllbEEZZNS1_14partition_implILS5_9ELb0ES3_jPlS8_PNS0_10empty_typeENS0_5tupleIJS8_S9_EEENSB_IJS8_SA_EEENS0_18inequality_wrapperIZN2at6native12_GLOBAL__N_124unique_dim_cuda_templateIlEESt5tupleIJNSF_6TensorESK_SK_EERKSK_lbbbEUlllE0_EEPmJS9_EEE10hipError_tPvRmT3_T4_T5_T6_T7_T9_mT8_P12ihipStream_tbDpT10_ENKUlT_T0_E_clISt17integral_constantIbLb1EES1A_EEDaS15_S16_EUlS15_E_NS1_11comp_targetILNS1_3genE3ELNS1_11target_archE908ELNS1_3gpuE7ELNS1_3repE0EEENS1_30default_config_static_selectorELNS0_4arch9wavefront6targetE0EEEvT1_.uses_vcc, 0
	.set _ZN7rocprim17ROCPRIM_400000_NS6detail17trampoline_kernelINS0_14default_configENS1_25partition_config_selectorILNS1_17partition_subalgoE9EllbEEZZNS1_14partition_implILS5_9ELb0ES3_jPlS8_PNS0_10empty_typeENS0_5tupleIJS8_S9_EEENSB_IJS8_SA_EEENS0_18inequality_wrapperIZN2at6native12_GLOBAL__N_124unique_dim_cuda_templateIlEESt5tupleIJNSF_6TensorESK_SK_EERKSK_lbbbEUlllE0_EEPmJS9_EEE10hipError_tPvRmT3_T4_T5_T6_T7_T9_mT8_P12ihipStream_tbDpT10_ENKUlT_T0_E_clISt17integral_constantIbLb1EES1A_EEDaS15_S16_EUlS15_E_NS1_11comp_targetILNS1_3genE3ELNS1_11target_archE908ELNS1_3gpuE7ELNS1_3repE0EEENS1_30default_config_static_selectorELNS0_4arch9wavefront6targetE0EEEvT1_.uses_flat_scratch, 0
	.set _ZN7rocprim17ROCPRIM_400000_NS6detail17trampoline_kernelINS0_14default_configENS1_25partition_config_selectorILNS1_17partition_subalgoE9EllbEEZZNS1_14partition_implILS5_9ELb0ES3_jPlS8_PNS0_10empty_typeENS0_5tupleIJS8_S9_EEENSB_IJS8_SA_EEENS0_18inequality_wrapperIZN2at6native12_GLOBAL__N_124unique_dim_cuda_templateIlEESt5tupleIJNSF_6TensorESK_SK_EERKSK_lbbbEUlllE0_EEPmJS9_EEE10hipError_tPvRmT3_T4_T5_T6_T7_T9_mT8_P12ihipStream_tbDpT10_ENKUlT_T0_E_clISt17integral_constantIbLb1EES1A_EEDaS15_S16_EUlS15_E_NS1_11comp_targetILNS1_3genE3ELNS1_11target_archE908ELNS1_3gpuE7ELNS1_3repE0EEENS1_30default_config_static_selectorELNS0_4arch9wavefront6targetE0EEEvT1_.has_dyn_sized_stack, 0
	.set _ZN7rocprim17ROCPRIM_400000_NS6detail17trampoline_kernelINS0_14default_configENS1_25partition_config_selectorILNS1_17partition_subalgoE9EllbEEZZNS1_14partition_implILS5_9ELb0ES3_jPlS8_PNS0_10empty_typeENS0_5tupleIJS8_S9_EEENSB_IJS8_SA_EEENS0_18inequality_wrapperIZN2at6native12_GLOBAL__N_124unique_dim_cuda_templateIlEESt5tupleIJNSF_6TensorESK_SK_EERKSK_lbbbEUlllE0_EEPmJS9_EEE10hipError_tPvRmT3_T4_T5_T6_T7_T9_mT8_P12ihipStream_tbDpT10_ENKUlT_T0_E_clISt17integral_constantIbLb1EES1A_EEDaS15_S16_EUlS15_E_NS1_11comp_targetILNS1_3genE3ELNS1_11target_archE908ELNS1_3gpuE7ELNS1_3repE0EEENS1_30default_config_static_selectorELNS0_4arch9wavefront6targetE0EEEvT1_.has_recursion, 0
	.set _ZN7rocprim17ROCPRIM_400000_NS6detail17trampoline_kernelINS0_14default_configENS1_25partition_config_selectorILNS1_17partition_subalgoE9EllbEEZZNS1_14partition_implILS5_9ELb0ES3_jPlS8_PNS0_10empty_typeENS0_5tupleIJS8_S9_EEENSB_IJS8_SA_EEENS0_18inequality_wrapperIZN2at6native12_GLOBAL__N_124unique_dim_cuda_templateIlEESt5tupleIJNSF_6TensorESK_SK_EERKSK_lbbbEUlllE0_EEPmJS9_EEE10hipError_tPvRmT3_T4_T5_T6_T7_T9_mT8_P12ihipStream_tbDpT10_ENKUlT_T0_E_clISt17integral_constantIbLb1EES1A_EEDaS15_S16_EUlS15_E_NS1_11comp_targetILNS1_3genE3ELNS1_11target_archE908ELNS1_3gpuE7ELNS1_3repE0EEENS1_30default_config_static_selectorELNS0_4arch9wavefront6targetE0EEEvT1_.has_indirect_call, 0
	.section	.AMDGPU.csdata,"",@progbits
; Kernel info:
; codeLenInByte = 0
; TotalNumSgprs: 0
; NumVgprs: 0
; ScratchSize: 0
; MemoryBound: 0
; FloatMode: 240
; IeeeMode: 1
; LDSByteSize: 0 bytes/workgroup (compile time only)
; SGPRBlocks: 0
; VGPRBlocks: 0
; NumSGPRsForWavesPerEU: 1
; NumVGPRsForWavesPerEU: 1
; NamedBarCnt: 0
; Occupancy: 16
; WaveLimiterHint : 0
; COMPUTE_PGM_RSRC2:SCRATCH_EN: 0
; COMPUTE_PGM_RSRC2:USER_SGPR: 2
; COMPUTE_PGM_RSRC2:TRAP_HANDLER: 0
; COMPUTE_PGM_RSRC2:TGID_X_EN: 1
; COMPUTE_PGM_RSRC2:TGID_Y_EN: 0
; COMPUTE_PGM_RSRC2:TGID_Z_EN: 0
; COMPUTE_PGM_RSRC2:TIDIG_COMP_CNT: 0
	.section	.text._ZN7rocprim17ROCPRIM_400000_NS6detail17trampoline_kernelINS0_14default_configENS1_25partition_config_selectorILNS1_17partition_subalgoE9EllbEEZZNS1_14partition_implILS5_9ELb0ES3_jPlS8_PNS0_10empty_typeENS0_5tupleIJS8_S9_EEENSB_IJS8_SA_EEENS0_18inequality_wrapperIZN2at6native12_GLOBAL__N_124unique_dim_cuda_templateIlEESt5tupleIJNSF_6TensorESK_SK_EERKSK_lbbbEUlllE0_EEPmJS9_EEE10hipError_tPvRmT3_T4_T5_T6_T7_T9_mT8_P12ihipStream_tbDpT10_ENKUlT_T0_E_clISt17integral_constantIbLb1EES1A_EEDaS15_S16_EUlS15_E_NS1_11comp_targetILNS1_3genE2ELNS1_11target_archE906ELNS1_3gpuE6ELNS1_3repE0EEENS1_30default_config_static_selectorELNS0_4arch9wavefront6targetE0EEEvT1_,"axG",@progbits,_ZN7rocprim17ROCPRIM_400000_NS6detail17trampoline_kernelINS0_14default_configENS1_25partition_config_selectorILNS1_17partition_subalgoE9EllbEEZZNS1_14partition_implILS5_9ELb0ES3_jPlS8_PNS0_10empty_typeENS0_5tupleIJS8_S9_EEENSB_IJS8_SA_EEENS0_18inequality_wrapperIZN2at6native12_GLOBAL__N_124unique_dim_cuda_templateIlEESt5tupleIJNSF_6TensorESK_SK_EERKSK_lbbbEUlllE0_EEPmJS9_EEE10hipError_tPvRmT3_T4_T5_T6_T7_T9_mT8_P12ihipStream_tbDpT10_ENKUlT_T0_E_clISt17integral_constantIbLb1EES1A_EEDaS15_S16_EUlS15_E_NS1_11comp_targetILNS1_3genE2ELNS1_11target_archE906ELNS1_3gpuE6ELNS1_3repE0EEENS1_30default_config_static_selectorELNS0_4arch9wavefront6targetE0EEEvT1_,comdat
	.globl	_ZN7rocprim17ROCPRIM_400000_NS6detail17trampoline_kernelINS0_14default_configENS1_25partition_config_selectorILNS1_17partition_subalgoE9EllbEEZZNS1_14partition_implILS5_9ELb0ES3_jPlS8_PNS0_10empty_typeENS0_5tupleIJS8_S9_EEENSB_IJS8_SA_EEENS0_18inequality_wrapperIZN2at6native12_GLOBAL__N_124unique_dim_cuda_templateIlEESt5tupleIJNSF_6TensorESK_SK_EERKSK_lbbbEUlllE0_EEPmJS9_EEE10hipError_tPvRmT3_T4_T5_T6_T7_T9_mT8_P12ihipStream_tbDpT10_ENKUlT_T0_E_clISt17integral_constantIbLb1EES1A_EEDaS15_S16_EUlS15_E_NS1_11comp_targetILNS1_3genE2ELNS1_11target_archE906ELNS1_3gpuE6ELNS1_3repE0EEENS1_30default_config_static_selectorELNS0_4arch9wavefront6targetE0EEEvT1_ ; -- Begin function _ZN7rocprim17ROCPRIM_400000_NS6detail17trampoline_kernelINS0_14default_configENS1_25partition_config_selectorILNS1_17partition_subalgoE9EllbEEZZNS1_14partition_implILS5_9ELb0ES3_jPlS8_PNS0_10empty_typeENS0_5tupleIJS8_S9_EEENSB_IJS8_SA_EEENS0_18inequality_wrapperIZN2at6native12_GLOBAL__N_124unique_dim_cuda_templateIlEESt5tupleIJNSF_6TensorESK_SK_EERKSK_lbbbEUlllE0_EEPmJS9_EEE10hipError_tPvRmT3_T4_T5_T6_T7_T9_mT8_P12ihipStream_tbDpT10_ENKUlT_T0_E_clISt17integral_constantIbLb1EES1A_EEDaS15_S16_EUlS15_E_NS1_11comp_targetILNS1_3genE2ELNS1_11target_archE906ELNS1_3gpuE6ELNS1_3repE0EEENS1_30default_config_static_selectorELNS0_4arch9wavefront6targetE0EEEvT1_
	.p2align	8
	.type	_ZN7rocprim17ROCPRIM_400000_NS6detail17trampoline_kernelINS0_14default_configENS1_25partition_config_selectorILNS1_17partition_subalgoE9EllbEEZZNS1_14partition_implILS5_9ELb0ES3_jPlS8_PNS0_10empty_typeENS0_5tupleIJS8_S9_EEENSB_IJS8_SA_EEENS0_18inequality_wrapperIZN2at6native12_GLOBAL__N_124unique_dim_cuda_templateIlEESt5tupleIJNSF_6TensorESK_SK_EERKSK_lbbbEUlllE0_EEPmJS9_EEE10hipError_tPvRmT3_T4_T5_T6_T7_T9_mT8_P12ihipStream_tbDpT10_ENKUlT_T0_E_clISt17integral_constantIbLb1EES1A_EEDaS15_S16_EUlS15_E_NS1_11comp_targetILNS1_3genE2ELNS1_11target_archE906ELNS1_3gpuE6ELNS1_3repE0EEENS1_30default_config_static_selectorELNS0_4arch9wavefront6targetE0EEEvT1_,@function
_ZN7rocprim17ROCPRIM_400000_NS6detail17trampoline_kernelINS0_14default_configENS1_25partition_config_selectorILNS1_17partition_subalgoE9EllbEEZZNS1_14partition_implILS5_9ELb0ES3_jPlS8_PNS0_10empty_typeENS0_5tupleIJS8_S9_EEENSB_IJS8_SA_EEENS0_18inequality_wrapperIZN2at6native12_GLOBAL__N_124unique_dim_cuda_templateIlEESt5tupleIJNSF_6TensorESK_SK_EERKSK_lbbbEUlllE0_EEPmJS9_EEE10hipError_tPvRmT3_T4_T5_T6_T7_T9_mT8_P12ihipStream_tbDpT10_ENKUlT_T0_E_clISt17integral_constantIbLb1EES1A_EEDaS15_S16_EUlS15_E_NS1_11comp_targetILNS1_3genE2ELNS1_11target_archE906ELNS1_3gpuE6ELNS1_3repE0EEENS1_30default_config_static_selectorELNS0_4arch9wavefront6targetE0EEEvT1_: ; @_ZN7rocprim17ROCPRIM_400000_NS6detail17trampoline_kernelINS0_14default_configENS1_25partition_config_selectorILNS1_17partition_subalgoE9EllbEEZZNS1_14partition_implILS5_9ELb0ES3_jPlS8_PNS0_10empty_typeENS0_5tupleIJS8_S9_EEENSB_IJS8_SA_EEENS0_18inequality_wrapperIZN2at6native12_GLOBAL__N_124unique_dim_cuda_templateIlEESt5tupleIJNSF_6TensorESK_SK_EERKSK_lbbbEUlllE0_EEPmJS9_EEE10hipError_tPvRmT3_T4_T5_T6_T7_T9_mT8_P12ihipStream_tbDpT10_ENKUlT_T0_E_clISt17integral_constantIbLb1EES1A_EEDaS15_S16_EUlS15_E_NS1_11comp_targetILNS1_3genE2ELNS1_11target_archE906ELNS1_3gpuE6ELNS1_3repE0EEENS1_30default_config_static_selectorELNS0_4arch9wavefront6targetE0EEEvT1_
; %bb.0:
	.section	.rodata,"a",@progbits
	.p2align	6, 0x0
	.amdhsa_kernel _ZN7rocprim17ROCPRIM_400000_NS6detail17trampoline_kernelINS0_14default_configENS1_25partition_config_selectorILNS1_17partition_subalgoE9EllbEEZZNS1_14partition_implILS5_9ELb0ES3_jPlS8_PNS0_10empty_typeENS0_5tupleIJS8_S9_EEENSB_IJS8_SA_EEENS0_18inequality_wrapperIZN2at6native12_GLOBAL__N_124unique_dim_cuda_templateIlEESt5tupleIJNSF_6TensorESK_SK_EERKSK_lbbbEUlllE0_EEPmJS9_EEE10hipError_tPvRmT3_T4_T5_T6_T7_T9_mT8_P12ihipStream_tbDpT10_ENKUlT_T0_E_clISt17integral_constantIbLb1EES1A_EEDaS15_S16_EUlS15_E_NS1_11comp_targetILNS1_3genE2ELNS1_11target_archE906ELNS1_3gpuE6ELNS1_3repE0EEENS1_30default_config_static_selectorELNS0_4arch9wavefront6targetE0EEEvT1_
		.amdhsa_group_segment_fixed_size 0
		.amdhsa_private_segment_fixed_size 0
		.amdhsa_kernarg_size 136
		.amdhsa_user_sgpr_count 2
		.amdhsa_user_sgpr_dispatch_ptr 0
		.amdhsa_user_sgpr_queue_ptr 0
		.amdhsa_user_sgpr_kernarg_segment_ptr 1
		.amdhsa_user_sgpr_dispatch_id 0
		.amdhsa_user_sgpr_kernarg_preload_length 0
		.amdhsa_user_sgpr_kernarg_preload_offset 0
		.amdhsa_user_sgpr_private_segment_size 0
		.amdhsa_wavefront_size32 1
		.amdhsa_uses_dynamic_stack 0
		.amdhsa_enable_private_segment 0
		.amdhsa_system_sgpr_workgroup_id_x 1
		.amdhsa_system_sgpr_workgroup_id_y 0
		.amdhsa_system_sgpr_workgroup_id_z 0
		.amdhsa_system_sgpr_workgroup_info 0
		.amdhsa_system_vgpr_workitem_id 0
		.amdhsa_next_free_vgpr 1
		.amdhsa_next_free_sgpr 1
		.amdhsa_named_barrier_count 0
		.amdhsa_reserve_vcc 0
		.amdhsa_float_round_mode_32 0
		.amdhsa_float_round_mode_16_64 0
		.amdhsa_float_denorm_mode_32 3
		.amdhsa_float_denorm_mode_16_64 3
		.amdhsa_fp16_overflow 0
		.amdhsa_memory_ordered 1
		.amdhsa_forward_progress 1
		.amdhsa_inst_pref_size 0
		.amdhsa_round_robin_scheduling 0
		.amdhsa_exception_fp_ieee_invalid_op 0
		.amdhsa_exception_fp_denorm_src 0
		.amdhsa_exception_fp_ieee_div_zero 0
		.amdhsa_exception_fp_ieee_overflow 0
		.amdhsa_exception_fp_ieee_underflow 0
		.amdhsa_exception_fp_ieee_inexact 0
		.amdhsa_exception_int_div_zero 0
	.end_amdhsa_kernel
	.section	.text._ZN7rocprim17ROCPRIM_400000_NS6detail17trampoline_kernelINS0_14default_configENS1_25partition_config_selectorILNS1_17partition_subalgoE9EllbEEZZNS1_14partition_implILS5_9ELb0ES3_jPlS8_PNS0_10empty_typeENS0_5tupleIJS8_S9_EEENSB_IJS8_SA_EEENS0_18inequality_wrapperIZN2at6native12_GLOBAL__N_124unique_dim_cuda_templateIlEESt5tupleIJNSF_6TensorESK_SK_EERKSK_lbbbEUlllE0_EEPmJS9_EEE10hipError_tPvRmT3_T4_T5_T6_T7_T9_mT8_P12ihipStream_tbDpT10_ENKUlT_T0_E_clISt17integral_constantIbLb1EES1A_EEDaS15_S16_EUlS15_E_NS1_11comp_targetILNS1_3genE2ELNS1_11target_archE906ELNS1_3gpuE6ELNS1_3repE0EEENS1_30default_config_static_selectorELNS0_4arch9wavefront6targetE0EEEvT1_,"axG",@progbits,_ZN7rocprim17ROCPRIM_400000_NS6detail17trampoline_kernelINS0_14default_configENS1_25partition_config_selectorILNS1_17partition_subalgoE9EllbEEZZNS1_14partition_implILS5_9ELb0ES3_jPlS8_PNS0_10empty_typeENS0_5tupleIJS8_S9_EEENSB_IJS8_SA_EEENS0_18inequality_wrapperIZN2at6native12_GLOBAL__N_124unique_dim_cuda_templateIlEESt5tupleIJNSF_6TensorESK_SK_EERKSK_lbbbEUlllE0_EEPmJS9_EEE10hipError_tPvRmT3_T4_T5_T6_T7_T9_mT8_P12ihipStream_tbDpT10_ENKUlT_T0_E_clISt17integral_constantIbLb1EES1A_EEDaS15_S16_EUlS15_E_NS1_11comp_targetILNS1_3genE2ELNS1_11target_archE906ELNS1_3gpuE6ELNS1_3repE0EEENS1_30default_config_static_selectorELNS0_4arch9wavefront6targetE0EEEvT1_,comdat
.Lfunc_end607:
	.size	_ZN7rocprim17ROCPRIM_400000_NS6detail17trampoline_kernelINS0_14default_configENS1_25partition_config_selectorILNS1_17partition_subalgoE9EllbEEZZNS1_14partition_implILS5_9ELb0ES3_jPlS8_PNS0_10empty_typeENS0_5tupleIJS8_S9_EEENSB_IJS8_SA_EEENS0_18inequality_wrapperIZN2at6native12_GLOBAL__N_124unique_dim_cuda_templateIlEESt5tupleIJNSF_6TensorESK_SK_EERKSK_lbbbEUlllE0_EEPmJS9_EEE10hipError_tPvRmT3_T4_T5_T6_T7_T9_mT8_P12ihipStream_tbDpT10_ENKUlT_T0_E_clISt17integral_constantIbLb1EES1A_EEDaS15_S16_EUlS15_E_NS1_11comp_targetILNS1_3genE2ELNS1_11target_archE906ELNS1_3gpuE6ELNS1_3repE0EEENS1_30default_config_static_selectorELNS0_4arch9wavefront6targetE0EEEvT1_, .Lfunc_end607-_ZN7rocprim17ROCPRIM_400000_NS6detail17trampoline_kernelINS0_14default_configENS1_25partition_config_selectorILNS1_17partition_subalgoE9EllbEEZZNS1_14partition_implILS5_9ELb0ES3_jPlS8_PNS0_10empty_typeENS0_5tupleIJS8_S9_EEENSB_IJS8_SA_EEENS0_18inequality_wrapperIZN2at6native12_GLOBAL__N_124unique_dim_cuda_templateIlEESt5tupleIJNSF_6TensorESK_SK_EERKSK_lbbbEUlllE0_EEPmJS9_EEE10hipError_tPvRmT3_T4_T5_T6_T7_T9_mT8_P12ihipStream_tbDpT10_ENKUlT_T0_E_clISt17integral_constantIbLb1EES1A_EEDaS15_S16_EUlS15_E_NS1_11comp_targetILNS1_3genE2ELNS1_11target_archE906ELNS1_3gpuE6ELNS1_3repE0EEENS1_30default_config_static_selectorELNS0_4arch9wavefront6targetE0EEEvT1_
                                        ; -- End function
	.set _ZN7rocprim17ROCPRIM_400000_NS6detail17trampoline_kernelINS0_14default_configENS1_25partition_config_selectorILNS1_17partition_subalgoE9EllbEEZZNS1_14partition_implILS5_9ELb0ES3_jPlS8_PNS0_10empty_typeENS0_5tupleIJS8_S9_EEENSB_IJS8_SA_EEENS0_18inequality_wrapperIZN2at6native12_GLOBAL__N_124unique_dim_cuda_templateIlEESt5tupleIJNSF_6TensorESK_SK_EERKSK_lbbbEUlllE0_EEPmJS9_EEE10hipError_tPvRmT3_T4_T5_T6_T7_T9_mT8_P12ihipStream_tbDpT10_ENKUlT_T0_E_clISt17integral_constantIbLb1EES1A_EEDaS15_S16_EUlS15_E_NS1_11comp_targetILNS1_3genE2ELNS1_11target_archE906ELNS1_3gpuE6ELNS1_3repE0EEENS1_30default_config_static_selectorELNS0_4arch9wavefront6targetE0EEEvT1_.num_vgpr, 0
	.set _ZN7rocprim17ROCPRIM_400000_NS6detail17trampoline_kernelINS0_14default_configENS1_25partition_config_selectorILNS1_17partition_subalgoE9EllbEEZZNS1_14partition_implILS5_9ELb0ES3_jPlS8_PNS0_10empty_typeENS0_5tupleIJS8_S9_EEENSB_IJS8_SA_EEENS0_18inequality_wrapperIZN2at6native12_GLOBAL__N_124unique_dim_cuda_templateIlEESt5tupleIJNSF_6TensorESK_SK_EERKSK_lbbbEUlllE0_EEPmJS9_EEE10hipError_tPvRmT3_T4_T5_T6_T7_T9_mT8_P12ihipStream_tbDpT10_ENKUlT_T0_E_clISt17integral_constantIbLb1EES1A_EEDaS15_S16_EUlS15_E_NS1_11comp_targetILNS1_3genE2ELNS1_11target_archE906ELNS1_3gpuE6ELNS1_3repE0EEENS1_30default_config_static_selectorELNS0_4arch9wavefront6targetE0EEEvT1_.num_agpr, 0
	.set _ZN7rocprim17ROCPRIM_400000_NS6detail17trampoline_kernelINS0_14default_configENS1_25partition_config_selectorILNS1_17partition_subalgoE9EllbEEZZNS1_14partition_implILS5_9ELb0ES3_jPlS8_PNS0_10empty_typeENS0_5tupleIJS8_S9_EEENSB_IJS8_SA_EEENS0_18inequality_wrapperIZN2at6native12_GLOBAL__N_124unique_dim_cuda_templateIlEESt5tupleIJNSF_6TensorESK_SK_EERKSK_lbbbEUlllE0_EEPmJS9_EEE10hipError_tPvRmT3_T4_T5_T6_T7_T9_mT8_P12ihipStream_tbDpT10_ENKUlT_T0_E_clISt17integral_constantIbLb1EES1A_EEDaS15_S16_EUlS15_E_NS1_11comp_targetILNS1_3genE2ELNS1_11target_archE906ELNS1_3gpuE6ELNS1_3repE0EEENS1_30default_config_static_selectorELNS0_4arch9wavefront6targetE0EEEvT1_.numbered_sgpr, 0
	.set _ZN7rocprim17ROCPRIM_400000_NS6detail17trampoline_kernelINS0_14default_configENS1_25partition_config_selectorILNS1_17partition_subalgoE9EllbEEZZNS1_14partition_implILS5_9ELb0ES3_jPlS8_PNS0_10empty_typeENS0_5tupleIJS8_S9_EEENSB_IJS8_SA_EEENS0_18inequality_wrapperIZN2at6native12_GLOBAL__N_124unique_dim_cuda_templateIlEESt5tupleIJNSF_6TensorESK_SK_EERKSK_lbbbEUlllE0_EEPmJS9_EEE10hipError_tPvRmT3_T4_T5_T6_T7_T9_mT8_P12ihipStream_tbDpT10_ENKUlT_T0_E_clISt17integral_constantIbLb1EES1A_EEDaS15_S16_EUlS15_E_NS1_11comp_targetILNS1_3genE2ELNS1_11target_archE906ELNS1_3gpuE6ELNS1_3repE0EEENS1_30default_config_static_selectorELNS0_4arch9wavefront6targetE0EEEvT1_.num_named_barrier, 0
	.set _ZN7rocprim17ROCPRIM_400000_NS6detail17trampoline_kernelINS0_14default_configENS1_25partition_config_selectorILNS1_17partition_subalgoE9EllbEEZZNS1_14partition_implILS5_9ELb0ES3_jPlS8_PNS0_10empty_typeENS0_5tupleIJS8_S9_EEENSB_IJS8_SA_EEENS0_18inequality_wrapperIZN2at6native12_GLOBAL__N_124unique_dim_cuda_templateIlEESt5tupleIJNSF_6TensorESK_SK_EERKSK_lbbbEUlllE0_EEPmJS9_EEE10hipError_tPvRmT3_T4_T5_T6_T7_T9_mT8_P12ihipStream_tbDpT10_ENKUlT_T0_E_clISt17integral_constantIbLb1EES1A_EEDaS15_S16_EUlS15_E_NS1_11comp_targetILNS1_3genE2ELNS1_11target_archE906ELNS1_3gpuE6ELNS1_3repE0EEENS1_30default_config_static_selectorELNS0_4arch9wavefront6targetE0EEEvT1_.private_seg_size, 0
	.set _ZN7rocprim17ROCPRIM_400000_NS6detail17trampoline_kernelINS0_14default_configENS1_25partition_config_selectorILNS1_17partition_subalgoE9EllbEEZZNS1_14partition_implILS5_9ELb0ES3_jPlS8_PNS0_10empty_typeENS0_5tupleIJS8_S9_EEENSB_IJS8_SA_EEENS0_18inequality_wrapperIZN2at6native12_GLOBAL__N_124unique_dim_cuda_templateIlEESt5tupleIJNSF_6TensorESK_SK_EERKSK_lbbbEUlllE0_EEPmJS9_EEE10hipError_tPvRmT3_T4_T5_T6_T7_T9_mT8_P12ihipStream_tbDpT10_ENKUlT_T0_E_clISt17integral_constantIbLb1EES1A_EEDaS15_S16_EUlS15_E_NS1_11comp_targetILNS1_3genE2ELNS1_11target_archE906ELNS1_3gpuE6ELNS1_3repE0EEENS1_30default_config_static_selectorELNS0_4arch9wavefront6targetE0EEEvT1_.uses_vcc, 0
	.set _ZN7rocprim17ROCPRIM_400000_NS6detail17trampoline_kernelINS0_14default_configENS1_25partition_config_selectorILNS1_17partition_subalgoE9EllbEEZZNS1_14partition_implILS5_9ELb0ES3_jPlS8_PNS0_10empty_typeENS0_5tupleIJS8_S9_EEENSB_IJS8_SA_EEENS0_18inequality_wrapperIZN2at6native12_GLOBAL__N_124unique_dim_cuda_templateIlEESt5tupleIJNSF_6TensorESK_SK_EERKSK_lbbbEUlllE0_EEPmJS9_EEE10hipError_tPvRmT3_T4_T5_T6_T7_T9_mT8_P12ihipStream_tbDpT10_ENKUlT_T0_E_clISt17integral_constantIbLb1EES1A_EEDaS15_S16_EUlS15_E_NS1_11comp_targetILNS1_3genE2ELNS1_11target_archE906ELNS1_3gpuE6ELNS1_3repE0EEENS1_30default_config_static_selectorELNS0_4arch9wavefront6targetE0EEEvT1_.uses_flat_scratch, 0
	.set _ZN7rocprim17ROCPRIM_400000_NS6detail17trampoline_kernelINS0_14default_configENS1_25partition_config_selectorILNS1_17partition_subalgoE9EllbEEZZNS1_14partition_implILS5_9ELb0ES3_jPlS8_PNS0_10empty_typeENS0_5tupleIJS8_S9_EEENSB_IJS8_SA_EEENS0_18inequality_wrapperIZN2at6native12_GLOBAL__N_124unique_dim_cuda_templateIlEESt5tupleIJNSF_6TensorESK_SK_EERKSK_lbbbEUlllE0_EEPmJS9_EEE10hipError_tPvRmT3_T4_T5_T6_T7_T9_mT8_P12ihipStream_tbDpT10_ENKUlT_T0_E_clISt17integral_constantIbLb1EES1A_EEDaS15_S16_EUlS15_E_NS1_11comp_targetILNS1_3genE2ELNS1_11target_archE906ELNS1_3gpuE6ELNS1_3repE0EEENS1_30default_config_static_selectorELNS0_4arch9wavefront6targetE0EEEvT1_.has_dyn_sized_stack, 0
	.set _ZN7rocprim17ROCPRIM_400000_NS6detail17trampoline_kernelINS0_14default_configENS1_25partition_config_selectorILNS1_17partition_subalgoE9EllbEEZZNS1_14partition_implILS5_9ELb0ES3_jPlS8_PNS0_10empty_typeENS0_5tupleIJS8_S9_EEENSB_IJS8_SA_EEENS0_18inequality_wrapperIZN2at6native12_GLOBAL__N_124unique_dim_cuda_templateIlEESt5tupleIJNSF_6TensorESK_SK_EERKSK_lbbbEUlllE0_EEPmJS9_EEE10hipError_tPvRmT3_T4_T5_T6_T7_T9_mT8_P12ihipStream_tbDpT10_ENKUlT_T0_E_clISt17integral_constantIbLb1EES1A_EEDaS15_S16_EUlS15_E_NS1_11comp_targetILNS1_3genE2ELNS1_11target_archE906ELNS1_3gpuE6ELNS1_3repE0EEENS1_30default_config_static_selectorELNS0_4arch9wavefront6targetE0EEEvT1_.has_recursion, 0
	.set _ZN7rocprim17ROCPRIM_400000_NS6detail17trampoline_kernelINS0_14default_configENS1_25partition_config_selectorILNS1_17partition_subalgoE9EllbEEZZNS1_14partition_implILS5_9ELb0ES3_jPlS8_PNS0_10empty_typeENS0_5tupleIJS8_S9_EEENSB_IJS8_SA_EEENS0_18inequality_wrapperIZN2at6native12_GLOBAL__N_124unique_dim_cuda_templateIlEESt5tupleIJNSF_6TensorESK_SK_EERKSK_lbbbEUlllE0_EEPmJS9_EEE10hipError_tPvRmT3_T4_T5_T6_T7_T9_mT8_P12ihipStream_tbDpT10_ENKUlT_T0_E_clISt17integral_constantIbLb1EES1A_EEDaS15_S16_EUlS15_E_NS1_11comp_targetILNS1_3genE2ELNS1_11target_archE906ELNS1_3gpuE6ELNS1_3repE0EEENS1_30default_config_static_selectorELNS0_4arch9wavefront6targetE0EEEvT1_.has_indirect_call, 0
	.section	.AMDGPU.csdata,"",@progbits
; Kernel info:
; codeLenInByte = 0
; TotalNumSgprs: 0
; NumVgprs: 0
; ScratchSize: 0
; MemoryBound: 0
; FloatMode: 240
; IeeeMode: 1
; LDSByteSize: 0 bytes/workgroup (compile time only)
; SGPRBlocks: 0
; VGPRBlocks: 0
; NumSGPRsForWavesPerEU: 1
; NumVGPRsForWavesPerEU: 1
; NamedBarCnt: 0
; Occupancy: 16
; WaveLimiterHint : 0
; COMPUTE_PGM_RSRC2:SCRATCH_EN: 0
; COMPUTE_PGM_RSRC2:USER_SGPR: 2
; COMPUTE_PGM_RSRC2:TRAP_HANDLER: 0
; COMPUTE_PGM_RSRC2:TGID_X_EN: 1
; COMPUTE_PGM_RSRC2:TGID_Y_EN: 0
; COMPUTE_PGM_RSRC2:TGID_Z_EN: 0
; COMPUTE_PGM_RSRC2:TIDIG_COMP_CNT: 0
	.section	.text._ZN7rocprim17ROCPRIM_400000_NS6detail17trampoline_kernelINS0_14default_configENS1_25partition_config_selectorILNS1_17partition_subalgoE9EllbEEZZNS1_14partition_implILS5_9ELb0ES3_jPlS8_PNS0_10empty_typeENS0_5tupleIJS8_S9_EEENSB_IJS8_SA_EEENS0_18inequality_wrapperIZN2at6native12_GLOBAL__N_124unique_dim_cuda_templateIlEESt5tupleIJNSF_6TensorESK_SK_EERKSK_lbbbEUlllE0_EEPmJS9_EEE10hipError_tPvRmT3_T4_T5_T6_T7_T9_mT8_P12ihipStream_tbDpT10_ENKUlT_T0_E_clISt17integral_constantIbLb1EES1A_EEDaS15_S16_EUlS15_E_NS1_11comp_targetILNS1_3genE10ELNS1_11target_archE1200ELNS1_3gpuE4ELNS1_3repE0EEENS1_30default_config_static_selectorELNS0_4arch9wavefront6targetE0EEEvT1_,"axG",@progbits,_ZN7rocprim17ROCPRIM_400000_NS6detail17trampoline_kernelINS0_14default_configENS1_25partition_config_selectorILNS1_17partition_subalgoE9EllbEEZZNS1_14partition_implILS5_9ELb0ES3_jPlS8_PNS0_10empty_typeENS0_5tupleIJS8_S9_EEENSB_IJS8_SA_EEENS0_18inequality_wrapperIZN2at6native12_GLOBAL__N_124unique_dim_cuda_templateIlEESt5tupleIJNSF_6TensorESK_SK_EERKSK_lbbbEUlllE0_EEPmJS9_EEE10hipError_tPvRmT3_T4_T5_T6_T7_T9_mT8_P12ihipStream_tbDpT10_ENKUlT_T0_E_clISt17integral_constantIbLb1EES1A_EEDaS15_S16_EUlS15_E_NS1_11comp_targetILNS1_3genE10ELNS1_11target_archE1200ELNS1_3gpuE4ELNS1_3repE0EEENS1_30default_config_static_selectorELNS0_4arch9wavefront6targetE0EEEvT1_,comdat
	.globl	_ZN7rocprim17ROCPRIM_400000_NS6detail17trampoline_kernelINS0_14default_configENS1_25partition_config_selectorILNS1_17partition_subalgoE9EllbEEZZNS1_14partition_implILS5_9ELb0ES3_jPlS8_PNS0_10empty_typeENS0_5tupleIJS8_S9_EEENSB_IJS8_SA_EEENS0_18inequality_wrapperIZN2at6native12_GLOBAL__N_124unique_dim_cuda_templateIlEESt5tupleIJNSF_6TensorESK_SK_EERKSK_lbbbEUlllE0_EEPmJS9_EEE10hipError_tPvRmT3_T4_T5_T6_T7_T9_mT8_P12ihipStream_tbDpT10_ENKUlT_T0_E_clISt17integral_constantIbLb1EES1A_EEDaS15_S16_EUlS15_E_NS1_11comp_targetILNS1_3genE10ELNS1_11target_archE1200ELNS1_3gpuE4ELNS1_3repE0EEENS1_30default_config_static_selectorELNS0_4arch9wavefront6targetE0EEEvT1_ ; -- Begin function _ZN7rocprim17ROCPRIM_400000_NS6detail17trampoline_kernelINS0_14default_configENS1_25partition_config_selectorILNS1_17partition_subalgoE9EllbEEZZNS1_14partition_implILS5_9ELb0ES3_jPlS8_PNS0_10empty_typeENS0_5tupleIJS8_S9_EEENSB_IJS8_SA_EEENS0_18inequality_wrapperIZN2at6native12_GLOBAL__N_124unique_dim_cuda_templateIlEESt5tupleIJNSF_6TensorESK_SK_EERKSK_lbbbEUlllE0_EEPmJS9_EEE10hipError_tPvRmT3_T4_T5_T6_T7_T9_mT8_P12ihipStream_tbDpT10_ENKUlT_T0_E_clISt17integral_constantIbLb1EES1A_EEDaS15_S16_EUlS15_E_NS1_11comp_targetILNS1_3genE10ELNS1_11target_archE1200ELNS1_3gpuE4ELNS1_3repE0EEENS1_30default_config_static_selectorELNS0_4arch9wavefront6targetE0EEEvT1_
	.p2align	8
	.type	_ZN7rocprim17ROCPRIM_400000_NS6detail17trampoline_kernelINS0_14default_configENS1_25partition_config_selectorILNS1_17partition_subalgoE9EllbEEZZNS1_14partition_implILS5_9ELb0ES3_jPlS8_PNS0_10empty_typeENS0_5tupleIJS8_S9_EEENSB_IJS8_SA_EEENS0_18inequality_wrapperIZN2at6native12_GLOBAL__N_124unique_dim_cuda_templateIlEESt5tupleIJNSF_6TensorESK_SK_EERKSK_lbbbEUlllE0_EEPmJS9_EEE10hipError_tPvRmT3_T4_T5_T6_T7_T9_mT8_P12ihipStream_tbDpT10_ENKUlT_T0_E_clISt17integral_constantIbLb1EES1A_EEDaS15_S16_EUlS15_E_NS1_11comp_targetILNS1_3genE10ELNS1_11target_archE1200ELNS1_3gpuE4ELNS1_3repE0EEENS1_30default_config_static_selectorELNS0_4arch9wavefront6targetE0EEEvT1_,@function
_ZN7rocprim17ROCPRIM_400000_NS6detail17trampoline_kernelINS0_14default_configENS1_25partition_config_selectorILNS1_17partition_subalgoE9EllbEEZZNS1_14partition_implILS5_9ELb0ES3_jPlS8_PNS0_10empty_typeENS0_5tupleIJS8_S9_EEENSB_IJS8_SA_EEENS0_18inequality_wrapperIZN2at6native12_GLOBAL__N_124unique_dim_cuda_templateIlEESt5tupleIJNSF_6TensorESK_SK_EERKSK_lbbbEUlllE0_EEPmJS9_EEE10hipError_tPvRmT3_T4_T5_T6_T7_T9_mT8_P12ihipStream_tbDpT10_ENKUlT_T0_E_clISt17integral_constantIbLb1EES1A_EEDaS15_S16_EUlS15_E_NS1_11comp_targetILNS1_3genE10ELNS1_11target_archE1200ELNS1_3gpuE4ELNS1_3repE0EEENS1_30default_config_static_selectorELNS0_4arch9wavefront6targetE0EEEvT1_: ; @_ZN7rocprim17ROCPRIM_400000_NS6detail17trampoline_kernelINS0_14default_configENS1_25partition_config_selectorILNS1_17partition_subalgoE9EllbEEZZNS1_14partition_implILS5_9ELb0ES3_jPlS8_PNS0_10empty_typeENS0_5tupleIJS8_S9_EEENSB_IJS8_SA_EEENS0_18inequality_wrapperIZN2at6native12_GLOBAL__N_124unique_dim_cuda_templateIlEESt5tupleIJNSF_6TensorESK_SK_EERKSK_lbbbEUlllE0_EEPmJS9_EEE10hipError_tPvRmT3_T4_T5_T6_T7_T9_mT8_P12ihipStream_tbDpT10_ENKUlT_T0_E_clISt17integral_constantIbLb1EES1A_EEDaS15_S16_EUlS15_E_NS1_11comp_targetILNS1_3genE10ELNS1_11target_archE1200ELNS1_3gpuE4ELNS1_3repE0EEENS1_30default_config_static_selectorELNS0_4arch9wavefront6targetE0EEEvT1_
; %bb.0:
	.section	.rodata,"a",@progbits
	.p2align	6, 0x0
	.amdhsa_kernel _ZN7rocprim17ROCPRIM_400000_NS6detail17trampoline_kernelINS0_14default_configENS1_25partition_config_selectorILNS1_17partition_subalgoE9EllbEEZZNS1_14partition_implILS5_9ELb0ES3_jPlS8_PNS0_10empty_typeENS0_5tupleIJS8_S9_EEENSB_IJS8_SA_EEENS0_18inequality_wrapperIZN2at6native12_GLOBAL__N_124unique_dim_cuda_templateIlEESt5tupleIJNSF_6TensorESK_SK_EERKSK_lbbbEUlllE0_EEPmJS9_EEE10hipError_tPvRmT3_T4_T5_T6_T7_T9_mT8_P12ihipStream_tbDpT10_ENKUlT_T0_E_clISt17integral_constantIbLb1EES1A_EEDaS15_S16_EUlS15_E_NS1_11comp_targetILNS1_3genE10ELNS1_11target_archE1200ELNS1_3gpuE4ELNS1_3repE0EEENS1_30default_config_static_selectorELNS0_4arch9wavefront6targetE0EEEvT1_
		.amdhsa_group_segment_fixed_size 0
		.amdhsa_private_segment_fixed_size 0
		.amdhsa_kernarg_size 136
		.amdhsa_user_sgpr_count 2
		.amdhsa_user_sgpr_dispatch_ptr 0
		.amdhsa_user_sgpr_queue_ptr 0
		.amdhsa_user_sgpr_kernarg_segment_ptr 1
		.amdhsa_user_sgpr_dispatch_id 0
		.amdhsa_user_sgpr_kernarg_preload_length 0
		.amdhsa_user_sgpr_kernarg_preload_offset 0
		.amdhsa_user_sgpr_private_segment_size 0
		.amdhsa_wavefront_size32 1
		.amdhsa_uses_dynamic_stack 0
		.amdhsa_enable_private_segment 0
		.amdhsa_system_sgpr_workgroup_id_x 1
		.amdhsa_system_sgpr_workgroup_id_y 0
		.amdhsa_system_sgpr_workgroup_id_z 0
		.amdhsa_system_sgpr_workgroup_info 0
		.amdhsa_system_vgpr_workitem_id 0
		.amdhsa_next_free_vgpr 1
		.amdhsa_next_free_sgpr 1
		.amdhsa_named_barrier_count 0
		.amdhsa_reserve_vcc 0
		.amdhsa_float_round_mode_32 0
		.amdhsa_float_round_mode_16_64 0
		.amdhsa_float_denorm_mode_32 3
		.amdhsa_float_denorm_mode_16_64 3
		.amdhsa_fp16_overflow 0
		.amdhsa_memory_ordered 1
		.amdhsa_forward_progress 1
		.amdhsa_inst_pref_size 0
		.amdhsa_round_robin_scheduling 0
		.amdhsa_exception_fp_ieee_invalid_op 0
		.amdhsa_exception_fp_denorm_src 0
		.amdhsa_exception_fp_ieee_div_zero 0
		.amdhsa_exception_fp_ieee_overflow 0
		.amdhsa_exception_fp_ieee_underflow 0
		.amdhsa_exception_fp_ieee_inexact 0
		.amdhsa_exception_int_div_zero 0
	.end_amdhsa_kernel
	.section	.text._ZN7rocprim17ROCPRIM_400000_NS6detail17trampoline_kernelINS0_14default_configENS1_25partition_config_selectorILNS1_17partition_subalgoE9EllbEEZZNS1_14partition_implILS5_9ELb0ES3_jPlS8_PNS0_10empty_typeENS0_5tupleIJS8_S9_EEENSB_IJS8_SA_EEENS0_18inequality_wrapperIZN2at6native12_GLOBAL__N_124unique_dim_cuda_templateIlEESt5tupleIJNSF_6TensorESK_SK_EERKSK_lbbbEUlllE0_EEPmJS9_EEE10hipError_tPvRmT3_T4_T5_T6_T7_T9_mT8_P12ihipStream_tbDpT10_ENKUlT_T0_E_clISt17integral_constantIbLb1EES1A_EEDaS15_S16_EUlS15_E_NS1_11comp_targetILNS1_3genE10ELNS1_11target_archE1200ELNS1_3gpuE4ELNS1_3repE0EEENS1_30default_config_static_selectorELNS0_4arch9wavefront6targetE0EEEvT1_,"axG",@progbits,_ZN7rocprim17ROCPRIM_400000_NS6detail17trampoline_kernelINS0_14default_configENS1_25partition_config_selectorILNS1_17partition_subalgoE9EllbEEZZNS1_14partition_implILS5_9ELb0ES3_jPlS8_PNS0_10empty_typeENS0_5tupleIJS8_S9_EEENSB_IJS8_SA_EEENS0_18inequality_wrapperIZN2at6native12_GLOBAL__N_124unique_dim_cuda_templateIlEESt5tupleIJNSF_6TensorESK_SK_EERKSK_lbbbEUlllE0_EEPmJS9_EEE10hipError_tPvRmT3_T4_T5_T6_T7_T9_mT8_P12ihipStream_tbDpT10_ENKUlT_T0_E_clISt17integral_constantIbLb1EES1A_EEDaS15_S16_EUlS15_E_NS1_11comp_targetILNS1_3genE10ELNS1_11target_archE1200ELNS1_3gpuE4ELNS1_3repE0EEENS1_30default_config_static_selectorELNS0_4arch9wavefront6targetE0EEEvT1_,comdat
.Lfunc_end608:
	.size	_ZN7rocprim17ROCPRIM_400000_NS6detail17trampoline_kernelINS0_14default_configENS1_25partition_config_selectorILNS1_17partition_subalgoE9EllbEEZZNS1_14partition_implILS5_9ELb0ES3_jPlS8_PNS0_10empty_typeENS0_5tupleIJS8_S9_EEENSB_IJS8_SA_EEENS0_18inequality_wrapperIZN2at6native12_GLOBAL__N_124unique_dim_cuda_templateIlEESt5tupleIJNSF_6TensorESK_SK_EERKSK_lbbbEUlllE0_EEPmJS9_EEE10hipError_tPvRmT3_T4_T5_T6_T7_T9_mT8_P12ihipStream_tbDpT10_ENKUlT_T0_E_clISt17integral_constantIbLb1EES1A_EEDaS15_S16_EUlS15_E_NS1_11comp_targetILNS1_3genE10ELNS1_11target_archE1200ELNS1_3gpuE4ELNS1_3repE0EEENS1_30default_config_static_selectorELNS0_4arch9wavefront6targetE0EEEvT1_, .Lfunc_end608-_ZN7rocprim17ROCPRIM_400000_NS6detail17trampoline_kernelINS0_14default_configENS1_25partition_config_selectorILNS1_17partition_subalgoE9EllbEEZZNS1_14partition_implILS5_9ELb0ES3_jPlS8_PNS0_10empty_typeENS0_5tupleIJS8_S9_EEENSB_IJS8_SA_EEENS0_18inequality_wrapperIZN2at6native12_GLOBAL__N_124unique_dim_cuda_templateIlEESt5tupleIJNSF_6TensorESK_SK_EERKSK_lbbbEUlllE0_EEPmJS9_EEE10hipError_tPvRmT3_T4_T5_T6_T7_T9_mT8_P12ihipStream_tbDpT10_ENKUlT_T0_E_clISt17integral_constantIbLb1EES1A_EEDaS15_S16_EUlS15_E_NS1_11comp_targetILNS1_3genE10ELNS1_11target_archE1200ELNS1_3gpuE4ELNS1_3repE0EEENS1_30default_config_static_selectorELNS0_4arch9wavefront6targetE0EEEvT1_
                                        ; -- End function
	.set _ZN7rocprim17ROCPRIM_400000_NS6detail17trampoline_kernelINS0_14default_configENS1_25partition_config_selectorILNS1_17partition_subalgoE9EllbEEZZNS1_14partition_implILS5_9ELb0ES3_jPlS8_PNS0_10empty_typeENS0_5tupleIJS8_S9_EEENSB_IJS8_SA_EEENS0_18inequality_wrapperIZN2at6native12_GLOBAL__N_124unique_dim_cuda_templateIlEESt5tupleIJNSF_6TensorESK_SK_EERKSK_lbbbEUlllE0_EEPmJS9_EEE10hipError_tPvRmT3_T4_T5_T6_T7_T9_mT8_P12ihipStream_tbDpT10_ENKUlT_T0_E_clISt17integral_constantIbLb1EES1A_EEDaS15_S16_EUlS15_E_NS1_11comp_targetILNS1_3genE10ELNS1_11target_archE1200ELNS1_3gpuE4ELNS1_3repE0EEENS1_30default_config_static_selectorELNS0_4arch9wavefront6targetE0EEEvT1_.num_vgpr, 0
	.set _ZN7rocprim17ROCPRIM_400000_NS6detail17trampoline_kernelINS0_14default_configENS1_25partition_config_selectorILNS1_17partition_subalgoE9EllbEEZZNS1_14partition_implILS5_9ELb0ES3_jPlS8_PNS0_10empty_typeENS0_5tupleIJS8_S9_EEENSB_IJS8_SA_EEENS0_18inequality_wrapperIZN2at6native12_GLOBAL__N_124unique_dim_cuda_templateIlEESt5tupleIJNSF_6TensorESK_SK_EERKSK_lbbbEUlllE0_EEPmJS9_EEE10hipError_tPvRmT3_T4_T5_T6_T7_T9_mT8_P12ihipStream_tbDpT10_ENKUlT_T0_E_clISt17integral_constantIbLb1EES1A_EEDaS15_S16_EUlS15_E_NS1_11comp_targetILNS1_3genE10ELNS1_11target_archE1200ELNS1_3gpuE4ELNS1_3repE0EEENS1_30default_config_static_selectorELNS0_4arch9wavefront6targetE0EEEvT1_.num_agpr, 0
	.set _ZN7rocprim17ROCPRIM_400000_NS6detail17trampoline_kernelINS0_14default_configENS1_25partition_config_selectorILNS1_17partition_subalgoE9EllbEEZZNS1_14partition_implILS5_9ELb0ES3_jPlS8_PNS0_10empty_typeENS0_5tupleIJS8_S9_EEENSB_IJS8_SA_EEENS0_18inequality_wrapperIZN2at6native12_GLOBAL__N_124unique_dim_cuda_templateIlEESt5tupleIJNSF_6TensorESK_SK_EERKSK_lbbbEUlllE0_EEPmJS9_EEE10hipError_tPvRmT3_T4_T5_T6_T7_T9_mT8_P12ihipStream_tbDpT10_ENKUlT_T0_E_clISt17integral_constantIbLb1EES1A_EEDaS15_S16_EUlS15_E_NS1_11comp_targetILNS1_3genE10ELNS1_11target_archE1200ELNS1_3gpuE4ELNS1_3repE0EEENS1_30default_config_static_selectorELNS0_4arch9wavefront6targetE0EEEvT1_.numbered_sgpr, 0
	.set _ZN7rocprim17ROCPRIM_400000_NS6detail17trampoline_kernelINS0_14default_configENS1_25partition_config_selectorILNS1_17partition_subalgoE9EllbEEZZNS1_14partition_implILS5_9ELb0ES3_jPlS8_PNS0_10empty_typeENS0_5tupleIJS8_S9_EEENSB_IJS8_SA_EEENS0_18inequality_wrapperIZN2at6native12_GLOBAL__N_124unique_dim_cuda_templateIlEESt5tupleIJNSF_6TensorESK_SK_EERKSK_lbbbEUlllE0_EEPmJS9_EEE10hipError_tPvRmT3_T4_T5_T6_T7_T9_mT8_P12ihipStream_tbDpT10_ENKUlT_T0_E_clISt17integral_constantIbLb1EES1A_EEDaS15_S16_EUlS15_E_NS1_11comp_targetILNS1_3genE10ELNS1_11target_archE1200ELNS1_3gpuE4ELNS1_3repE0EEENS1_30default_config_static_selectorELNS0_4arch9wavefront6targetE0EEEvT1_.num_named_barrier, 0
	.set _ZN7rocprim17ROCPRIM_400000_NS6detail17trampoline_kernelINS0_14default_configENS1_25partition_config_selectorILNS1_17partition_subalgoE9EllbEEZZNS1_14partition_implILS5_9ELb0ES3_jPlS8_PNS0_10empty_typeENS0_5tupleIJS8_S9_EEENSB_IJS8_SA_EEENS0_18inequality_wrapperIZN2at6native12_GLOBAL__N_124unique_dim_cuda_templateIlEESt5tupleIJNSF_6TensorESK_SK_EERKSK_lbbbEUlllE0_EEPmJS9_EEE10hipError_tPvRmT3_T4_T5_T6_T7_T9_mT8_P12ihipStream_tbDpT10_ENKUlT_T0_E_clISt17integral_constantIbLb1EES1A_EEDaS15_S16_EUlS15_E_NS1_11comp_targetILNS1_3genE10ELNS1_11target_archE1200ELNS1_3gpuE4ELNS1_3repE0EEENS1_30default_config_static_selectorELNS0_4arch9wavefront6targetE0EEEvT1_.private_seg_size, 0
	.set _ZN7rocprim17ROCPRIM_400000_NS6detail17trampoline_kernelINS0_14default_configENS1_25partition_config_selectorILNS1_17partition_subalgoE9EllbEEZZNS1_14partition_implILS5_9ELb0ES3_jPlS8_PNS0_10empty_typeENS0_5tupleIJS8_S9_EEENSB_IJS8_SA_EEENS0_18inequality_wrapperIZN2at6native12_GLOBAL__N_124unique_dim_cuda_templateIlEESt5tupleIJNSF_6TensorESK_SK_EERKSK_lbbbEUlllE0_EEPmJS9_EEE10hipError_tPvRmT3_T4_T5_T6_T7_T9_mT8_P12ihipStream_tbDpT10_ENKUlT_T0_E_clISt17integral_constantIbLb1EES1A_EEDaS15_S16_EUlS15_E_NS1_11comp_targetILNS1_3genE10ELNS1_11target_archE1200ELNS1_3gpuE4ELNS1_3repE0EEENS1_30default_config_static_selectorELNS0_4arch9wavefront6targetE0EEEvT1_.uses_vcc, 0
	.set _ZN7rocprim17ROCPRIM_400000_NS6detail17trampoline_kernelINS0_14default_configENS1_25partition_config_selectorILNS1_17partition_subalgoE9EllbEEZZNS1_14partition_implILS5_9ELb0ES3_jPlS8_PNS0_10empty_typeENS0_5tupleIJS8_S9_EEENSB_IJS8_SA_EEENS0_18inequality_wrapperIZN2at6native12_GLOBAL__N_124unique_dim_cuda_templateIlEESt5tupleIJNSF_6TensorESK_SK_EERKSK_lbbbEUlllE0_EEPmJS9_EEE10hipError_tPvRmT3_T4_T5_T6_T7_T9_mT8_P12ihipStream_tbDpT10_ENKUlT_T0_E_clISt17integral_constantIbLb1EES1A_EEDaS15_S16_EUlS15_E_NS1_11comp_targetILNS1_3genE10ELNS1_11target_archE1200ELNS1_3gpuE4ELNS1_3repE0EEENS1_30default_config_static_selectorELNS0_4arch9wavefront6targetE0EEEvT1_.uses_flat_scratch, 0
	.set _ZN7rocprim17ROCPRIM_400000_NS6detail17trampoline_kernelINS0_14default_configENS1_25partition_config_selectorILNS1_17partition_subalgoE9EllbEEZZNS1_14partition_implILS5_9ELb0ES3_jPlS8_PNS0_10empty_typeENS0_5tupleIJS8_S9_EEENSB_IJS8_SA_EEENS0_18inequality_wrapperIZN2at6native12_GLOBAL__N_124unique_dim_cuda_templateIlEESt5tupleIJNSF_6TensorESK_SK_EERKSK_lbbbEUlllE0_EEPmJS9_EEE10hipError_tPvRmT3_T4_T5_T6_T7_T9_mT8_P12ihipStream_tbDpT10_ENKUlT_T0_E_clISt17integral_constantIbLb1EES1A_EEDaS15_S16_EUlS15_E_NS1_11comp_targetILNS1_3genE10ELNS1_11target_archE1200ELNS1_3gpuE4ELNS1_3repE0EEENS1_30default_config_static_selectorELNS0_4arch9wavefront6targetE0EEEvT1_.has_dyn_sized_stack, 0
	.set _ZN7rocprim17ROCPRIM_400000_NS6detail17trampoline_kernelINS0_14default_configENS1_25partition_config_selectorILNS1_17partition_subalgoE9EllbEEZZNS1_14partition_implILS5_9ELb0ES3_jPlS8_PNS0_10empty_typeENS0_5tupleIJS8_S9_EEENSB_IJS8_SA_EEENS0_18inequality_wrapperIZN2at6native12_GLOBAL__N_124unique_dim_cuda_templateIlEESt5tupleIJNSF_6TensorESK_SK_EERKSK_lbbbEUlllE0_EEPmJS9_EEE10hipError_tPvRmT3_T4_T5_T6_T7_T9_mT8_P12ihipStream_tbDpT10_ENKUlT_T0_E_clISt17integral_constantIbLb1EES1A_EEDaS15_S16_EUlS15_E_NS1_11comp_targetILNS1_3genE10ELNS1_11target_archE1200ELNS1_3gpuE4ELNS1_3repE0EEENS1_30default_config_static_selectorELNS0_4arch9wavefront6targetE0EEEvT1_.has_recursion, 0
	.set _ZN7rocprim17ROCPRIM_400000_NS6detail17trampoline_kernelINS0_14default_configENS1_25partition_config_selectorILNS1_17partition_subalgoE9EllbEEZZNS1_14partition_implILS5_9ELb0ES3_jPlS8_PNS0_10empty_typeENS0_5tupleIJS8_S9_EEENSB_IJS8_SA_EEENS0_18inequality_wrapperIZN2at6native12_GLOBAL__N_124unique_dim_cuda_templateIlEESt5tupleIJNSF_6TensorESK_SK_EERKSK_lbbbEUlllE0_EEPmJS9_EEE10hipError_tPvRmT3_T4_T5_T6_T7_T9_mT8_P12ihipStream_tbDpT10_ENKUlT_T0_E_clISt17integral_constantIbLb1EES1A_EEDaS15_S16_EUlS15_E_NS1_11comp_targetILNS1_3genE10ELNS1_11target_archE1200ELNS1_3gpuE4ELNS1_3repE0EEENS1_30default_config_static_selectorELNS0_4arch9wavefront6targetE0EEEvT1_.has_indirect_call, 0
	.section	.AMDGPU.csdata,"",@progbits
; Kernel info:
; codeLenInByte = 0
; TotalNumSgprs: 0
; NumVgprs: 0
; ScratchSize: 0
; MemoryBound: 0
; FloatMode: 240
; IeeeMode: 1
; LDSByteSize: 0 bytes/workgroup (compile time only)
; SGPRBlocks: 0
; VGPRBlocks: 0
; NumSGPRsForWavesPerEU: 1
; NumVGPRsForWavesPerEU: 1
; NamedBarCnt: 0
; Occupancy: 16
; WaveLimiterHint : 0
; COMPUTE_PGM_RSRC2:SCRATCH_EN: 0
; COMPUTE_PGM_RSRC2:USER_SGPR: 2
; COMPUTE_PGM_RSRC2:TRAP_HANDLER: 0
; COMPUTE_PGM_RSRC2:TGID_X_EN: 1
; COMPUTE_PGM_RSRC2:TGID_Y_EN: 0
; COMPUTE_PGM_RSRC2:TGID_Z_EN: 0
; COMPUTE_PGM_RSRC2:TIDIG_COMP_CNT: 0
	.section	.text._ZN7rocprim17ROCPRIM_400000_NS6detail17trampoline_kernelINS0_14default_configENS1_25partition_config_selectorILNS1_17partition_subalgoE9EllbEEZZNS1_14partition_implILS5_9ELb0ES3_jPlS8_PNS0_10empty_typeENS0_5tupleIJS8_S9_EEENSB_IJS8_SA_EEENS0_18inequality_wrapperIZN2at6native12_GLOBAL__N_124unique_dim_cuda_templateIlEESt5tupleIJNSF_6TensorESK_SK_EERKSK_lbbbEUlllE0_EEPmJS9_EEE10hipError_tPvRmT3_T4_T5_T6_T7_T9_mT8_P12ihipStream_tbDpT10_ENKUlT_T0_E_clISt17integral_constantIbLb1EES1A_EEDaS15_S16_EUlS15_E_NS1_11comp_targetILNS1_3genE9ELNS1_11target_archE1100ELNS1_3gpuE3ELNS1_3repE0EEENS1_30default_config_static_selectorELNS0_4arch9wavefront6targetE0EEEvT1_,"axG",@progbits,_ZN7rocprim17ROCPRIM_400000_NS6detail17trampoline_kernelINS0_14default_configENS1_25partition_config_selectorILNS1_17partition_subalgoE9EllbEEZZNS1_14partition_implILS5_9ELb0ES3_jPlS8_PNS0_10empty_typeENS0_5tupleIJS8_S9_EEENSB_IJS8_SA_EEENS0_18inequality_wrapperIZN2at6native12_GLOBAL__N_124unique_dim_cuda_templateIlEESt5tupleIJNSF_6TensorESK_SK_EERKSK_lbbbEUlllE0_EEPmJS9_EEE10hipError_tPvRmT3_T4_T5_T6_T7_T9_mT8_P12ihipStream_tbDpT10_ENKUlT_T0_E_clISt17integral_constantIbLb1EES1A_EEDaS15_S16_EUlS15_E_NS1_11comp_targetILNS1_3genE9ELNS1_11target_archE1100ELNS1_3gpuE3ELNS1_3repE0EEENS1_30default_config_static_selectorELNS0_4arch9wavefront6targetE0EEEvT1_,comdat
	.globl	_ZN7rocprim17ROCPRIM_400000_NS6detail17trampoline_kernelINS0_14default_configENS1_25partition_config_selectorILNS1_17partition_subalgoE9EllbEEZZNS1_14partition_implILS5_9ELb0ES3_jPlS8_PNS0_10empty_typeENS0_5tupleIJS8_S9_EEENSB_IJS8_SA_EEENS0_18inequality_wrapperIZN2at6native12_GLOBAL__N_124unique_dim_cuda_templateIlEESt5tupleIJNSF_6TensorESK_SK_EERKSK_lbbbEUlllE0_EEPmJS9_EEE10hipError_tPvRmT3_T4_T5_T6_T7_T9_mT8_P12ihipStream_tbDpT10_ENKUlT_T0_E_clISt17integral_constantIbLb1EES1A_EEDaS15_S16_EUlS15_E_NS1_11comp_targetILNS1_3genE9ELNS1_11target_archE1100ELNS1_3gpuE3ELNS1_3repE0EEENS1_30default_config_static_selectorELNS0_4arch9wavefront6targetE0EEEvT1_ ; -- Begin function _ZN7rocprim17ROCPRIM_400000_NS6detail17trampoline_kernelINS0_14default_configENS1_25partition_config_selectorILNS1_17partition_subalgoE9EllbEEZZNS1_14partition_implILS5_9ELb0ES3_jPlS8_PNS0_10empty_typeENS0_5tupleIJS8_S9_EEENSB_IJS8_SA_EEENS0_18inequality_wrapperIZN2at6native12_GLOBAL__N_124unique_dim_cuda_templateIlEESt5tupleIJNSF_6TensorESK_SK_EERKSK_lbbbEUlllE0_EEPmJS9_EEE10hipError_tPvRmT3_T4_T5_T6_T7_T9_mT8_P12ihipStream_tbDpT10_ENKUlT_T0_E_clISt17integral_constantIbLb1EES1A_EEDaS15_S16_EUlS15_E_NS1_11comp_targetILNS1_3genE9ELNS1_11target_archE1100ELNS1_3gpuE3ELNS1_3repE0EEENS1_30default_config_static_selectorELNS0_4arch9wavefront6targetE0EEEvT1_
	.p2align	8
	.type	_ZN7rocprim17ROCPRIM_400000_NS6detail17trampoline_kernelINS0_14default_configENS1_25partition_config_selectorILNS1_17partition_subalgoE9EllbEEZZNS1_14partition_implILS5_9ELb0ES3_jPlS8_PNS0_10empty_typeENS0_5tupleIJS8_S9_EEENSB_IJS8_SA_EEENS0_18inequality_wrapperIZN2at6native12_GLOBAL__N_124unique_dim_cuda_templateIlEESt5tupleIJNSF_6TensorESK_SK_EERKSK_lbbbEUlllE0_EEPmJS9_EEE10hipError_tPvRmT3_T4_T5_T6_T7_T9_mT8_P12ihipStream_tbDpT10_ENKUlT_T0_E_clISt17integral_constantIbLb1EES1A_EEDaS15_S16_EUlS15_E_NS1_11comp_targetILNS1_3genE9ELNS1_11target_archE1100ELNS1_3gpuE3ELNS1_3repE0EEENS1_30default_config_static_selectorELNS0_4arch9wavefront6targetE0EEEvT1_,@function
_ZN7rocprim17ROCPRIM_400000_NS6detail17trampoline_kernelINS0_14default_configENS1_25partition_config_selectorILNS1_17partition_subalgoE9EllbEEZZNS1_14partition_implILS5_9ELb0ES3_jPlS8_PNS0_10empty_typeENS0_5tupleIJS8_S9_EEENSB_IJS8_SA_EEENS0_18inequality_wrapperIZN2at6native12_GLOBAL__N_124unique_dim_cuda_templateIlEESt5tupleIJNSF_6TensorESK_SK_EERKSK_lbbbEUlllE0_EEPmJS9_EEE10hipError_tPvRmT3_T4_T5_T6_T7_T9_mT8_P12ihipStream_tbDpT10_ENKUlT_T0_E_clISt17integral_constantIbLb1EES1A_EEDaS15_S16_EUlS15_E_NS1_11comp_targetILNS1_3genE9ELNS1_11target_archE1100ELNS1_3gpuE3ELNS1_3repE0EEENS1_30default_config_static_selectorELNS0_4arch9wavefront6targetE0EEEvT1_: ; @_ZN7rocprim17ROCPRIM_400000_NS6detail17trampoline_kernelINS0_14default_configENS1_25partition_config_selectorILNS1_17partition_subalgoE9EllbEEZZNS1_14partition_implILS5_9ELb0ES3_jPlS8_PNS0_10empty_typeENS0_5tupleIJS8_S9_EEENSB_IJS8_SA_EEENS0_18inequality_wrapperIZN2at6native12_GLOBAL__N_124unique_dim_cuda_templateIlEESt5tupleIJNSF_6TensorESK_SK_EERKSK_lbbbEUlllE0_EEPmJS9_EEE10hipError_tPvRmT3_T4_T5_T6_T7_T9_mT8_P12ihipStream_tbDpT10_ENKUlT_T0_E_clISt17integral_constantIbLb1EES1A_EEDaS15_S16_EUlS15_E_NS1_11comp_targetILNS1_3genE9ELNS1_11target_archE1100ELNS1_3gpuE3ELNS1_3repE0EEENS1_30default_config_static_selectorELNS0_4arch9wavefront6targetE0EEEvT1_
; %bb.0:
	.section	.rodata,"a",@progbits
	.p2align	6, 0x0
	.amdhsa_kernel _ZN7rocprim17ROCPRIM_400000_NS6detail17trampoline_kernelINS0_14default_configENS1_25partition_config_selectorILNS1_17partition_subalgoE9EllbEEZZNS1_14partition_implILS5_9ELb0ES3_jPlS8_PNS0_10empty_typeENS0_5tupleIJS8_S9_EEENSB_IJS8_SA_EEENS0_18inequality_wrapperIZN2at6native12_GLOBAL__N_124unique_dim_cuda_templateIlEESt5tupleIJNSF_6TensorESK_SK_EERKSK_lbbbEUlllE0_EEPmJS9_EEE10hipError_tPvRmT3_T4_T5_T6_T7_T9_mT8_P12ihipStream_tbDpT10_ENKUlT_T0_E_clISt17integral_constantIbLb1EES1A_EEDaS15_S16_EUlS15_E_NS1_11comp_targetILNS1_3genE9ELNS1_11target_archE1100ELNS1_3gpuE3ELNS1_3repE0EEENS1_30default_config_static_selectorELNS0_4arch9wavefront6targetE0EEEvT1_
		.amdhsa_group_segment_fixed_size 0
		.amdhsa_private_segment_fixed_size 0
		.amdhsa_kernarg_size 136
		.amdhsa_user_sgpr_count 2
		.amdhsa_user_sgpr_dispatch_ptr 0
		.amdhsa_user_sgpr_queue_ptr 0
		.amdhsa_user_sgpr_kernarg_segment_ptr 1
		.amdhsa_user_sgpr_dispatch_id 0
		.amdhsa_user_sgpr_kernarg_preload_length 0
		.amdhsa_user_sgpr_kernarg_preload_offset 0
		.amdhsa_user_sgpr_private_segment_size 0
		.amdhsa_wavefront_size32 1
		.amdhsa_uses_dynamic_stack 0
		.amdhsa_enable_private_segment 0
		.amdhsa_system_sgpr_workgroup_id_x 1
		.amdhsa_system_sgpr_workgroup_id_y 0
		.amdhsa_system_sgpr_workgroup_id_z 0
		.amdhsa_system_sgpr_workgroup_info 0
		.amdhsa_system_vgpr_workitem_id 0
		.amdhsa_next_free_vgpr 1
		.amdhsa_next_free_sgpr 1
		.amdhsa_named_barrier_count 0
		.amdhsa_reserve_vcc 0
		.amdhsa_float_round_mode_32 0
		.amdhsa_float_round_mode_16_64 0
		.amdhsa_float_denorm_mode_32 3
		.amdhsa_float_denorm_mode_16_64 3
		.amdhsa_fp16_overflow 0
		.amdhsa_memory_ordered 1
		.amdhsa_forward_progress 1
		.amdhsa_inst_pref_size 0
		.amdhsa_round_robin_scheduling 0
		.amdhsa_exception_fp_ieee_invalid_op 0
		.amdhsa_exception_fp_denorm_src 0
		.amdhsa_exception_fp_ieee_div_zero 0
		.amdhsa_exception_fp_ieee_overflow 0
		.amdhsa_exception_fp_ieee_underflow 0
		.amdhsa_exception_fp_ieee_inexact 0
		.amdhsa_exception_int_div_zero 0
	.end_amdhsa_kernel
	.section	.text._ZN7rocprim17ROCPRIM_400000_NS6detail17trampoline_kernelINS0_14default_configENS1_25partition_config_selectorILNS1_17partition_subalgoE9EllbEEZZNS1_14partition_implILS5_9ELb0ES3_jPlS8_PNS0_10empty_typeENS0_5tupleIJS8_S9_EEENSB_IJS8_SA_EEENS0_18inequality_wrapperIZN2at6native12_GLOBAL__N_124unique_dim_cuda_templateIlEESt5tupleIJNSF_6TensorESK_SK_EERKSK_lbbbEUlllE0_EEPmJS9_EEE10hipError_tPvRmT3_T4_T5_T6_T7_T9_mT8_P12ihipStream_tbDpT10_ENKUlT_T0_E_clISt17integral_constantIbLb1EES1A_EEDaS15_S16_EUlS15_E_NS1_11comp_targetILNS1_3genE9ELNS1_11target_archE1100ELNS1_3gpuE3ELNS1_3repE0EEENS1_30default_config_static_selectorELNS0_4arch9wavefront6targetE0EEEvT1_,"axG",@progbits,_ZN7rocprim17ROCPRIM_400000_NS6detail17trampoline_kernelINS0_14default_configENS1_25partition_config_selectorILNS1_17partition_subalgoE9EllbEEZZNS1_14partition_implILS5_9ELb0ES3_jPlS8_PNS0_10empty_typeENS0_5tupleIJS8_S9_EEENSB_IJS8_SA_EEENS0_18inequality_wrapperIZN2at6native12_GLOBAL__N_124unique_dim_cuda_templateIlEESt5tupleIJNSF_6TensorESK_SK_EERKSK_lbbbEUlllE0_EEPmJS9_EEE10hipError_tPvRmT3_T4_T5_T6_T7_T9_mT8_P12ihipStream_tbDpT10_ENKUlT_T0_E_clISt17integral_constantIbLb1EES1A_EEDaS15_S16_EUlS15_E_NS1_11comp_targetILNS1_3genE9ELNS1_11target_archE1100ELNS1_3gpuE3ELNS1_3repE0EEENS1_30default_config_static_selectorELNS0_4arch9wavefront6targetE0EEEvT1_,comdat
.Lfunc_end609:
	.size	_ZN7rocprim17ROCPRIM_400000_NS6detail17trampoline_kernelINS0_14default_configENS1_25partition_config_selectorILNS1_17partition_subalgoE9EllbEEZZNS1_14partition_implILS5_9ELb0ES3_jPlS8_PNS0_10empty_typeENS0_5tupleIJS8_S9_EEENSB_IJS8_SA_EEENS0_18inequality_wrapperIZN2at6native12_GLOBAL__N_124unique_dim_cuda_templateIlEESt5tupleIJNSF_6TensorESK_SK_EERKSK_lbbbEUlllE0_EEPmJS9_EEE10hipError_tPvRmT3_T4_T5_T6_T7_T9_mT8_P12ihipStream_tbDpT10_ENKUlT_T0_E_clISt17integral_constantIbLb1EES1A_EEDaS15_S16_EUlS15_E_NS1_11comp_targetILNS1_3genE9ELNS1_11target_archE1100ELNS1_3gpuE3ELNS1_3repE0EEENS1_30default_config_static_selectorELNS0_4arch9wavefront6targetE0EEEvT1_, .Lfunc_end609-_ZN7rocprim17ROCPRIM_400000_NS6detail17trampoline_kernelINS0_14default_configENS1_25partition_config_selectorILNS1_17partition_subalgoE9EllbEEZZNS1_14partition_implILS5_9ELb0ES3_jPlS8_PNS0_10empty_typeENS0_5tupleIJS8_S9_EEENSB_IJS8_SA_EEENS0_18inequality_wrapperIZN2at6native12_GLOBAL__N_124unique_dim_cuda_templateIlEESt5tupleIJNSF_6TensorESK_SK_EERKSK_lbbbEUlllE0_EEPmJS9_EEE10hipError_tPvRmT3_T4_T5_T6_T7_T9_mT8_P12ihipStream_tbDpT10_ENKUlT_T0_E_clISt17integral_constantIbLb1EES1A_EEDaS15_S16_EUlS15_E_NS1_11comp_targetILNS1_3genE9ELNS1_11target_archE1100ELNS1_3gpuE3ELNS1_3repE0EEENS1_30default_config_static_selectorELNS0_4arch9wavefront6targetE0EEEvT1_
                                        ; -- End function
	.set _ZN7rocprim17ROCPRIM_400000_NS6detail17trampoline_kernelINS0_14default_configENS1_25partition_config_selectorILNS1_17partition_subalgoE9EllbEEZZNS1_14partition_implILS5_9ELb0ES3_jPlS8_PNS0_10empty_typeENS0_5tupleIJS8_S9_EEENSB_IJS8_SA_EEENS0_18inequality_wrapperIZN2at6native12_GLOBAL__N_124unique_dim_cuda_templateIlEESt5tupleIJNSF_6TensorESK_SK_EERKSK_lbbbEUlllE0_EEPmJS9_EEE10hipError_tPvRmT3_T4_T5_T6_T7_T9_mT8_P12ihipStream_tbDpT10_ENKUlT_T0_E_clISt17integral_constantIbLb1EES1A_EEDaS15_S16_EUlS15_E_NS1_11comp_targetILNS1_3genE9ELNS1_11target_archE1100ELNS1_3gpuE3ELNS1_3repE0EEENS1_30default_config_static_selectorELNS0_4arch9wavefront6targetE0EEEvT1_.num_vgpr, 0
	.set _ZN7rocprim17ROCPRIM_400000_NS6detail17trampoline_kernelINS0_14default_configENS1_25partition_config_selectorILNS1_17partition_subalgoE9EllbEEZZNS1_14partition_implILS5_9ELb0ES3_jPlS8_PNS0_10empty_typeENS0_5tupleIJS8_S9_EEENSB_IJS8_SA_EEENS0_18inequality_wrapperIZN2at6native12_GLOBAL__N_124unique_dim_cuda_templateIlEESt5tupleIJNSF_6TensorESK_SK_EERKSK_lbbbEUlllE0_EEPmJS9_EEE10hipError_tPvRmT3_T4_T5_T6_T7_T9_mT8_P12ihipStream_tbDpT10_ENKUlT_T0_E_clISt17integral_constantIbLb1EES1A_EEDaS15_S16_EUlS15_E_NS1_11comp_targetILNS1_3genE9ELNS1_11target_archE1100ELNS1_3gpuE3ELNS1_3repE0EEENS1_30default_config_static_selectorELNS0_4arch9wavefront6targetE0EEEvT1_.num_agpr, 0
	.set _ZN7rocprim17ROCPRIM_400000_NS6detail17trampoline_kernelINS0_14default_configENS1_25partition_config_selectorILNS1_17partition_subalgoE9EllbEEZZNS1_14partition_implILS5_9ELb0ES3_jPlS8_PNS0_10empty_typeENS0_5tupleIJS8_S9_EEENSB_IJS8_SA_EEENS0_18inequality_wrapperIZN2at6native12_GLOBAL__N_124unique_dim_cuda_templateIlEESt5tupleIJNSF_6TensorESK_SK_EERKSK_lbbbEUlllE0_EEPmJS9_EEE10hipError_tPvRmT3_T4_T5_T6_T7_T9_mT8_P12ihipStream_tbDpT10_ENKUlT_T0_E_clISt17integral_constantIbLb1EES1A_EEDaS15_S16_EUlS15_E_NS1_11comp_targetILNS1_3genE9ELNS1_11target_archE1100ELNS1_3gpuE3ELNS1_3repE0EEENS1_30default_config_static_selectorELNS0_4arch9wavefront6targetE0EEEvT1_.numbered_sgpr, 0
	.set _ZN7rocprim17ROCPRIM_400000_NS6detail17trampoline_kernelINS0_14default_configENS1_25partition_config_selectorILNS1_17partition_subalgoE9EllbEEZZNS1_14partition_implILS5_9ELb0ES3_jPlS8_PNS0_10empty_typeENS0_5tupleIJS8_S9_EEENSB_IJS8_SA_EEENS0_18inequality_wrapperIZN2at6native12_GLOBAL__N_124unique_dim_cuda_templateIlEESt5tupleIJNSF_6TensorESK_SK_EERKSK_lbbbEUlllE0_EEPmJS9_EEE10hipError_tPvRmT3_T4_T5_T6_T7_T9_mT8_P12ihipStream_tbDpT10_ENKUlT_T0_E_clISt17integral_constantIbLb1EES1A_EEDaS15_S16_EUlS15_E_NS1_11comp_targetILNS1_3genE9ELNS1_11target_archE1100ELNS1_3gpuE3ELNS1_3repE0EEENS1_30default_config_static_selectorELNS0_4arch9wavefront6targetE0EEEvT1_.num_named_barrier, 0
	.set _ZN7rocprim17ROCPRIM_400000_NS6detail17trampoline_kernelINS0_14default_configENS1_25partition_config_selectorILNS1_17partition_subalgoE9EllbEEZZNS1_14partition_implILS5_9ELb0ES3_jPlS8_PNS0_10empty_typeENS0_5tupleIJS8_S9_EEENSB_IJS8_SA_EEENS0_18inequality_wrapperIZN2at6native12_GLOBAL__N_124unique_dim_cuda_templateIlEESt5tupleIJNSF_6TensorESK_SK_EERKSK_lbbbEUlllE0_EEPmJS9_EEE10hipError_tPvRmT3_T4_T5_T6_T7_T9_mT8_P12ihipStream_tbDpT10_ENKUlT_T0_E_clISt17integral_constantIbLb1EES1A_EEDaS15_S16_EUlS15_E_NS1_11comp_targetILNS1_3genE9ELNS1_11target_archE1100ELNS1_3gpuE3ELNS1_3repE0EEENS1_30default_config_static_selectorELNS0_4arch9wavefront6targetE0EEEvT1_.private_seg_size, 0
	.set _ZN7rocprim17ROCPRIM_400000_NS6detail17trampoline_kernelINS0_14default_configENS1_25partition_config_selectorILNS1_17partition_subalgoE9EllbEEZZNS1_14partition_implILS5_9ELb0ES3_jPlS8_PNS0_10empty_typeENS0_5tupleIJS8_S9_EEENSB_IJS8_SA_EEENS0_18inequality_wrapperIZN2at6native12_GLOBAL__N_124unique_dim_cuda_templateIlEESt5tupleIJNSF_6TensorESK_SK_EERKSK_lbbbEUlllE0_EEPmJS9_EEE10hipError_tPvRmT3_T4_T5_T6_T7_T9_mT8_P12ihipStream_tbDpT10_ENKUlT_T0_E_clISt17integral_constantIbLb1EES1A_EEDaS15_S16_EUlS15_E_NS1_11comp_targetILNS1_3genE9ELNS1_11target_archE1100ELNS1_3gpuE3ELNS1_3repE0EEENS1_30default_config_static_selectorELNS0_4arch9wavefront6targetE0EEEvT1_.uses_vcc, 0
	.set _ZN7rocprim17ROCPRIM_400000_NS6detail17trampoline_kernelINS0_14default_configENS1_25partition_config_selectorILNS1_17partition_subalgoE9EllbEEZZNS1_14partition_implILS5_9ELb0ES3_jPlS8_PNS0_10empty_typeENS0_5tupleIJS8_S9_EEENSB_IJS8_SA_EEENS0_18inequality_wrapperIZN2at6native12_GLOBAL__N_124unique_dim_cuda_templateIlEESt5tupleIJNSF_6TensorESK_SK_EERKSK_lbbbEUlllE0_EEPmJS9_EEE10hipError_tPvRmT3_T4_T5_T6_T7_T9_mT8_P12ihipStream_tbDpT10_ENKUlT_T0_E_clISt17integral_constantIbLb1EES1A_EEDaS15_S16_EUlS15_E_NS1_11comp_targetILNS1_3genE9ELNS1_11target_archE1100ELNS1_3gpuE3ELNS1_3repE0EEENS1_30default_config_static_selectorELNS0_4arch9wavefront6targetE0EEEvT1_.uses_flat_scratch, 0
	.set _ZN7rocprim17ROCPRIM_400000_NS6detail17trampoline_kernelINS0_14default_configENS1_25partition_config_selectorILNS1_17partition_subalgoE9EllbEEZZNS1_14partition_implILS5_9ELb0ES3_jPlS8_PNS0_10empty_typeENS0_5tupleIJS8_S9_EEENSB_IJS8_SA_EEENS0_18inequality_wrapperIZN2at6native12_GLOBAL__N_124unique_dim_cuda_templateIlEESt5tupleIJNSF_6TensorESK_SK_EERKSK_lbbbEUlllE0_EEPmJS9_EEE10hipError_tPvRmT3_T4_T5_T6_T7_T9_mT8_P12ihipStream_tbDpT10_ENKUlT_T0_E_clISt17integral_constantIbLb1EES1A_EEDaS15_S16_EUlS15_E_NS1_11comp_targetILNS1_3genE9ELNS1_11target_archE1100ELNS1_3gpuE3ELNS1_3repE0EEENS1_30default_config_static_selectorELNS0_4arch9wavefront6targetE0EEEvT1_.has_dyn_sized_stack, 0
	.set _ZN7rocprim17ROCPRIM_400000_NS6detail17trampoline_kernelINS0_14default_configENS1_25partition_config_selectorILNS1_17partition_subalgoE9EllbEEZZNS1_14partition_implILS5_9ELb0ES3_jPlS8_PNS0_10empty_typeENS0_5tupleIJS8_S9_EEENSB_IJS8_SA_EEENS0_18inequality_wrapperIZN2at6native12_GLOBAL__N_124unique_dim_cuda_templateIlEESt5tupleIJNSF_6TensorESK_SK_EERKSK_lbbbEUlllE0_EEPmJS9_EEE10hipError_tPvRmT3_T4_T5_T6_T7_T9_mT8_P12ihipStream_tbDpT10_ENKUlT_T0_E_clISt17integral_constantIbLb1EES1A_EEDaS15_S16_EUlS15_E_NS1_11comp_targetILNS1_3genE9ELNS1_11target_archE1100ELNS1_3gpuE3ELNS1_3repE0EEENS1_30default_config_static_selectorELNS0_4arch9wavefront6targetE0EEEvT1_.has_recursion, 0
	.set _ZN7rocprim17ROCPRIM_400000_NS6detail17trampoline_kernelINS0_14default_configENS1_25partition_config_selectorILNS1_17partition_subalgoE9EllbEEZZNS1_14partition_implILS5_9ELb0ES3_jPlS8_PNS0_10empty_typeENS0_5tupleIJS8_S9_EEENSB_IJS8_SA_EEENS0_18inequality_wrapperIZN2at6native12_GLOBAL__N_124unique_dim_cuda_templateIlEESt5tupleIJNSF_6TensorESK_SK_EERKSK_lbbbEUlllE0_EEPmJS9_EEE10hipError_tPvRmT3_T4_T5_T6_T7_T9_mT8_P12ihipStream_tbDpT10_ENKUlT_T0_E_clISt17integral_constantIbLb1EES1A_EEDaS15_S16_EUlS15_E_NS1_11comp_targetILNS1_3genE9ELNS1_11target_archE1100ELNS1_3gpuE3ELNS1_3repE0EEENS1_30default_config_static_selectorELNS0_4arch9wavefront6targetE0EEEvT1_.has_indirect_call, 0
	.section	.AMDGPU.csdata,"",@progbits
; Kernel info:
; codeLenInByte = 0
; TotalNumSgprs: 0
; NumVgprs: 0
; ScratchSize: 0
; MemoryBound: 0
; FloatMode: 240
; IeeeMode: 1
; LDSByteSize: 0 bytes/workgroup (compile time only)
; SGPRBlocks: 0
; VGPRBlocks: 0
; NumSGPRsForWavesPerEU: 1
; NumVGPRsForWavesPerEU: 1
; NamedBarCnt: 0
; Occupancy: 16
; WaveLimiterHint : 0
; COMPUTE_PGM_RSRC2:SCRATCH_EN: 0
; COMPUTE_PGM_RSRC2:USER_SGPR: 2
; COMPUTE_PGM_RSRC2:TRAP_HANDLER: 0
; COMPUTE_PGM_RSRC2:TGID_X_EN: 1
; COMPUTE_PGM_RSRC2:TGID_Y_EN: 0
; COMPUTE_PGM_RSRC2:TGID_Z_EN: 0
; COMPUTE_PGM_RSRC2:TIDIG_COMP_CNT: 0
	.section	.text._ZN7rocprim17ROCPRIM_400000_NS6detail17trampoline_kernelINS0_14default_configENS1_25partition_config_selectorILNS1_17partition_subalgoE9EllbEEZZNS1_14partition_implILS5_9ELb0ES3_jPlS8_PNS0_10empty_typeENS0_5tupleIJS8_S9_EEENSB_IJS8_SA_EEENS0_18inequality_wrapperIZN2at6native12_GLOBAL__N_124unique_dim_cuda_templateIlEESt5tupleIJNSF_6TensorESK_SK_EERKSK_lbbbEUlllE0_EEPmJS9_EEE10hipError_tPvRmT3_T4_T5_T6_T7_T9_mT8_P12ihipStream_tbDpT10_ENKUlT_T0_E_clISt17integral_constantIbLb1EES1A_EEDaS15_S16_EUlS15_E_NS1_11comp_targetILNS1_3genE8ELNS1_11target_archE1030ELNS1_3gpuE2ELNS1_3repE0EEENS1_30default_config_static_selectorELNS0_4arch9wavefront6targetE0EEEvT1_,"axG",@progbits,_ZN7rocprim17ROCPRIM_400000_NS6detail17trampoline_kernelINS0_14default_configENS1_25partition_config_selectorILNS1_17partition_subalgoE9EllbEEZZNS1_14partition_implILS5_9ELb0ES3_jPlS8_PNS0_10empty_typeENS0_5tupleIJS8_S9_EEENSB_IJS8_SA_EEENS0_18inequality_wrapperIZN2at6native12_GLOBAL__N_124unique_dim_cuda_templateIlEESt5tupleIJNSF_6TensorESK_SK_EERKSK_lbbbEUlllE0_EEPmJS9_EEE10hipError_tPvRmT3_T4_T5_T6_T7_T9_mT8_P12ihipStream_tbDpT10_ENKUlT_T0_E_clISt17integral_constantIbLb1EES1A_EEDaS15_S16_EUlS15_E_NS1_11comp_targetILNS1_3genE8ELNS1_11target_archE1030ELNS1_3gpuE2ELNS1_3repE0EEENS1_30default_config_static_selectorELNS0_4arch9wavefront6targetE0EEEvT1_,comdat
	.globl	_ZN7rocprim17ROCPRIM_400000_NS6detail17trampoline_kernelINS0_14default_configENS1_25partition_config_selectorILNS1_17partition_subalgoE9EllbEEZZNS1_14partition_implILS5_9ELb0ES3_jPlS8_PNS0_10empty_typeENS0_5tupleIJS8_S9_EEENSB_IJS8_SA_EEENS0_18inequality_wrapperIZN2at6native12_GLOBAL__N_124unique_dim_cuda_templateIlEESt5tupleIJNSF_6TensorESK_SK_EERKSK_lbbbEUlllE0_EEPmJS9_EEE10hipError_tPvRmT3_T4_T5_T6_T7_T9_mT8_P12ihipStream_tbDpT10_ENKUlT_T0_E_clISt17integral_constantIbLb1EES1A_EEDaS15_S16_EUlS15_E_NS1_11comp_targetILNS1_3genE8ELNS1_11target_archE1030ELNS1_3gpuE2ELNS1_3repE0EEENS1_30default_config_static_selectorELNS0_4arch9wavefront6targetE0EEEvT1_ ; -- Begin function _ZN7rocprim17ROCPRIM_400000_NS6detail17trampoline_kernelINS0_14default_configENS1_25partition_config_selectorILNS1_17partition_subalgoE9EllbEEZZNS1_14partition_implILS5_9ELb0ES3_jPlS8_PNS0_10empty_typeENS0_5tupleIJS8_S9_EEENSB_IJS8_SA_EEENS0_18inequality_wrapperIZN2at6native12_GLOBAL__N_124unique_dim_cuda_templateIlEESt5tupleIJNSF_6TensorESK_SK_EERKSK_lbbbEUlllE0_EEPmJS9_EEE10hipError_tPvRmT3_T4_T5_T6_T7_T9_mT8_P12ihipStream_tbDpT10_ENKUlT_T0_E_clISt17integral_constantIbLb1EES1A_EEDaS15_S16_EUlS15_E_NS1_11comp_targetILNS1_3genE8ELNS1_11target_archE1030ELNS1_3gpuE2ELNS1_3repE0EEENS1_30default_config_static_selectorELNS0_4arch9wavefront6targetE0EEEvT1_
	.p2align	8
	.type	_ZN7rocprim17ROCPRIM_400000_NS6detail17trampoline_kernelINS0_14default_configENS1_25partition_config_selectorILNS1_17partition_subalgoE9EllbEEZZNS1_14partition_implILS5_9ELb0ES3_jPlS8_PNS0_10empty_typeENS0_5tupleIJS8_S9_EEENSB_IJS8_SA_EEENS0_18inequality_wrapperIZN2at6native12_GLOBAL__N_124unique_dim_cuda_templateIlEESt5tupleIJNSF_6TensorESK_SK_EERKSK_lbbbEUlllE0_EEPmJS9_EEE10hipError_tPvRmT3_T4_T5_T6_T7_T9_mT8_P12ihipStream_tbDpT10_ENKUlT_T0_E_clISt17integral_constantIbLb1EES1A_EEDaS15_S16_EUlS15_E_NS1_11comp_targetILNS1_3genE8ELNS1_11target_archE1030ELNS1_3gpuE2ELNS1_3repE0EEENS1_30default_config_static_selectorELNS0_4arch9wavefront6targetE0EEEvT1_,@function
_ZN7rocprim17ROCPRIM_400000_NS6detail17trampoline_kernelINS0_14default_configENS1_25partition_config_selectorILNS1_17partition_subalgoE9EllbEEZZNS1_14partition_implILS5_9ELb0ES3_jPlS8_PNS0_10empty_typeENS0_5tupleIJS8_S9_EEENSB_IJS8_SA_EEENS0_18inequality_wrapperIZN2at6native12_GLOBAL__N_124unique_dim_cuda_templateIlEESt5tupleIJNSF_6TensorESK_SK_EERKSK_lbbbEUlllE0_EEPmJS9_EEE10hipError_tPvRmT3_T4_T5_T6_T7_T9_mT8_P12ihipStream_tbDpT10_ENKUlT_T0_E_clISt17integral_constantIbLb1EES1A_EEDaS15_S16_EUlS15_E_NS1_11comp_targetILNS1_3genE8ELNS1_11target_archE1030ELNS1_3gpuE2ELNS1_3repE0EEENS1_30default_config_static_selectorELNS0_4arch9wavefront6targetE0EEEvT1_: ; @_ZN7rocprim17ROCPRIM_400000_NS6detail17trampoline_kernelINS0_14default_configENS1_25partition_config_selectorILNS1_17partition_subalgoE9EllbEEZZNS1_14partition_implILS5_9ELb0ES3_jPlS8_PNS0_10empty_typeENS0_5tupleIJS8_S9_EEENSB_IJS8_SA_EEENS0_18inequality_wrapperIZN2at6native12_GLOBAL__N_124unique_dim_cuda_templateIlEESt5tupleIJNSF_6TensorESK_SK_EERKSK_lbbbEUlllE0_EEPmJS9_EEE10hipError_tPvRmT3_T4_T5_T6_T7_T9_mT8_P12ihipStream_tbDpT10_ENKUlT_T0_E_clISt17integral_constantIbLb1EES1A_EEDaS15_S16_EUlS15_E_NS1_11comp_targetILNS1_3genE8ELNS1_11target_archE1030ELNS1_3gpuE2ELNS1_3repE0EEENS1_30default_config_static_selectorELNS0_4arch9wavefront6targetE0EEEvT1_
; %bb.0:
	.section	.rodata,"a",@progbits
	.p2align	6, 0x0
	.amdhsa_kernel _ZN7rocprim17ROCPRIM_400000_NS6detail17trampoline_kernelINS0_14default_configENS1_25partition_config_selectorILNS1_17partition_subalgoE9EllbEEZZNS1_14partition_implILS5_9ELb0ES3_jPlS8_PNS0_10empty_typeENS0_5tupleIJS8_S9_EEENSB_IJS8_SA_EEENS0_18inequality_wrapperIZN2at6native12_GLOBAL__N_124unique_dim_cuda_templateIlEESt5tupleIJNSF_6TensorESK_SK_EERKSK_lbbbEUlllE0_EEPmJS9_EEE10hipError_tPvRmT3_T4_T5_T6_T7_T9_mT8_P12ihipStream_tbDpT10_ENKUlT_T0_E_clISt17integral_constantIbLb1EES1A_EEDaS15_S16_EUlS15_E_NS1_11comp_targetILNS1_3genE8ELNS1_11target_archE1030ELNS1_3gpuE2ELNS1_3repE0EEENS1_30default_config_static_selectorELNS0_4arch9wavefront6targetE0EEEvT1_
		.amdhsa_group_segment_fixed_size 0
		.amdhsa_private_segment_fixed_size 0
		.amdhsa_kernarg_size 136
		.amdhsa_user_sgpr_count 2
		.amdhsa_user_sgpr_dispatch_ptr 0
		.amdhsa_user_sgpr_queue_ptr 0
		.amdhsa_user_sgpr_kernarg_segment_ptr 1
		.amdhsa_user_sgpr_dispatch_id 0
		.amdhsa_user_sgpr_kernarg_preload_length 0
		.amdhsa_user_sgpr_kernarg_preload_offset 0
		.amdhsa_user_sgpr_private_segment_size 0
		.amdhsa_wavefront_size32 1
		.amdhsa_uses_dynamic_stack 0
		.amdhsa_enable_private_segment 0
		.amdhsa_system_sgpr_workgroup_id_x 1
		.amdhsa_system_sgpr_workgroup_id_y 0
		.amdhsa_system_sgpr_workgroup_id_z 0
		.amdhsa_system_sgpr_workgroup_info 0
		.amdhsa_system_vgpr_workitem_id 0
		.amdhsa_next_free_vgpr 1
		.amdhsa_next_free_sgpr 1
		.amdhsa_named_barrier_count 0
		.amdhsa_reserve_vcc 0
		.amdhsa_float_round_mode_32 0
		.amdhsa_float_round_mode_16_64 0
		.amdhsa_float_denorm_mode_32 3
		.amdhsa_float_denorm_mode_16_64 3
		.amdhsa_fp16_overflow 0
		.amdhsa_memory_ordered 1
		.amdhsa_forward_progress 1
		.amdhsa_inst_pref_size 0
		.amdhsa_round_robin_scheduling 0
		.amdhsa_exception_fp_ieee_invalid_op 0
		.amdhsa_exception_fp_denorm_src 0
		.amdhsa_exception_fp_ieee_div_zero 0
		.amdhsa_exception_fp_ieee_overflow 0
		.amdhsa_exception_fp_ieee_underflow 0
		.amdhsa_exception_fp_ieee_inexact 0
		.amdhsa_exception_int_div_zero 0
	.end_amdhsa_kernel
	.section	.text._ZN7rocprim17ROCPRIM_400000_NS6detail17trampoline_kernelINS0_14default_configENS1_25partition_config_selectorILNS1_17partition_subalgoE9EllbEEZZNS1_14partition_implILS5_9ELb0ES3_jPlS8_PNS0_10empty_typeENS0_5tupleIJS8_S9_EEENSB_IJS8_SA_EEENS0_18inequality_wrapperIZN2at6native12_GLOBAL__N_124unique_dim_cuda_templateIlEESt5tupleIJNSF_6TensorESK_SK_EERKSK_lbbbEUlllE0_EEPmJS9_EEE10hipError_tPvRmT3_T4_T5_T6_T7_T9_mT8_P12ihipStream_tbDpT10_ENKUlT_T0_E_clISt17integral_constantIbLb1EES1A_EEDaS15_S16_EUlS15_E_NS1_11comp_targetILNS1_3genE8ELNS1_11target_archE1030ELNS1_3gpuE2ELNS1_3repE0EEENS1_30default_config_static_selectorELNS0_4arch9wavefront6targetE0EEEvT1_,"axG",@progbits,_ZN7rocprim17ROCPRIM_400000_NS6detail17trampoline_kernelINS0_14default_configENS1_25partition_config_selectorILNS1_17partition_subalgoE9EllbEEZZNS1_14partition_implILS5_9ELb0ES3_jPlS8_PNS0_10empty_typeENS0_5tupleIJS8_S9_EEENSB_IJS8_SA_EEENS0_18inequality_wrapperIZN2at6native12_GLOBAL__N_124unique_dim_cuda_templateIlEESt5tupleIJNSF_6TensorESK_SK_EERKSK_lbbbEUlllE0_EEPmJS9_EEE10hipError_tPvRmT3_T4_T5_T6_T7_T9_mT8_P12ihipStream_tbDpT10_ENKUlT_T0_E_clISt17integral_constantIbLb1EES1A_EEDaS15_S16_EUlS15_E_NS1_11comp_targetILNS1_3genE8ELNS1_11target_archE1030ELNS1_3gpuE2ELNS1_3repE0EEENS1_30default_config_static_selectorELNS0_4arch9wavefront6targetE0EEEvT1_,comdat
.Lfunc_end610:
	.size	_ZN7rocprim17ROCPRIM_400000_NS6detail17trampoline_kernelINS0_14default_configENS1_25partition_config_selectorILNS1_17partition_subalgoE9EllbEEZZNS1_14partition_implILS5_9ELb0ES3_jPlS8_PNS0_10empty_typeENS0_5tupleIJS8_S9_EEENSB_IJS8_SA_EEENS0_18inequality_wrapperIZN2at6native12_GLOBAL__N_124unique_dim_cuda_templateIlEESt5tupleIJNSF_6TensorESK_SK_EERKSK_lbbbEUlllE0_EEPmJS9_EEE10hipError_tPvRmT3_T4_T5_T6_T7_T9_mT8_P12ihipStream_tbDpT10_ENKUlT_T0_E_clISt17integral_constantIbLb1EES1A_EEDaS15_S16_EUlS15_E_NS1_11comp_targetILNS1_3genE8ELNS1_11target_archE1030ELNS1_3gpuE2ELNS1_3repE0EEENS1_30default_config_static_selectorELNS0_4arch9wavefront6targetE0EEEvT1_, .Lfunc_end610-_ZN7rocprim17ROCPRIM_400000_NS6detail17trampoline_kernelINS0_14default_configENS1_25partition_config_selectorILNS1_17partition_subalgoE9EllbEEZZNS1_14partition_implILS5_9ELb0ES3_jPlS8_PNS0_10empty_typeENS0_5tupleIJS8_S9_EEENSB_IJS8_SA_EEENS0_18inequality_wrapperIZN2at6native12_GLOBAL__N_124unique_dim_cuda_templateIlEESt5tupleIJNSF_6TensorESK_SK_EERKSK_lbbbEUlllE0_EEPmJS9_EEE10hipError_tPvRmT3_T4_T5_T6_T7_T9_mT8_P12ihipStream_tbDpT10_ENKUlT_T0_E_clISt17integral_constantIbLb1EES1A_EEDaS15_S16_EUlS15_E_NS1_11comp_targetILNS1_3genE8ELNS1_11target_archE1030ELNS1_3gpuE2ELNS1_3repE0EEENS1_30default_config_static_selectorELNS0_4arch9wavefront6targetE0EEEvT1_
                                        ; -- End function
	.set _ZN7rocprim17ROCPRIM_400000_NS6detail17trampoline_kernelINS0_14default_configENS1_25partition_config_selectorILNS1_17partition_subalgoE9EllbEEZZNS1_14partition_implILS5_9ELb0ES3_jPlS8_PNS0_10empty_typeENS0_5tupleIJS8_S9_EEENSB_IJS8_SA_EEENS0_18inequality_wrapperIZN2at6native12_GLOBAL__N_124unique_dim_cuda_templateIlEESt5tupleIJNSF_6TensorESK_SK_EERKSK_lbbbEUlllE0_EEPmJS9_EEE10hipError_tPvRmT3_T4_T5_T6_T7_T9_mT8_P12ihipStream_tbDpT10_ENKUlT_T0_E_clISt17integral_constantIbLb1EES1A_EEDaS15_S16_EUlS15_E_NS1_11comp_targetILNS1_3genE8ELNS1_11target_archE1030ELNS1_3gpuE2ELNS1_3repE0EEENS1_30default_config_static_selectorELNS0_4arch9wavefront6targetE0EEEvT1_.num_vgpr, 0
	.set _ZN7rocprim17ROCPRIM_400000_NS6detail17trampoline_kernelINS0_14default_configENS1_25partition_config_selectorILNS1_17partition_subalgoE9EllbEEZZNS1_14partition_implILS5_9ELb0ES3_jPlS8_PNS0_10empty_typeENS0_5tupleIJS8_S9_EEENSB_IJS8_SA_EEENS0_18inequality_wrapperIZN2at6native12_GLOBAL__N_124unique_dim_cuda_templateIlEESt5tupleIJNSF_6TensorESK_SK_EERKSK_lbbbEUlllE0_EEPmJS9_EEE10hipError_tPvRmT3_T4_T5_T6_T7_T9_mT8_P12ihipStream_tbDpT10_ENKUlT_T0_E_clISt17integral_constantIbLb1EES1A_EEDaS15_S16_EUlS15_E_NS1_11comp_targetILNS1_3genE8ELNS1_11target_archE1030ELNS1_3gpuE2ELNS1_3repE0EEENS1_30default_config_static_selectorELNS0_4arch9wavefront6targetE0EEEvT1_.num_agpr, 0
	.set _ZN7rocprim17ROCPRIM_400000_NS6detail17trampoline_kernelINS0_14default_configENS1_25partition_config_selectorILNS1_17partition_subalgoE9EllbEEZZNS1_14partition_implILS5_9ELb0ES3_jPlS8_PNS0_10empty_typeENS0_5tupleIJS8_S9_EEENSB_IJS8_SA_EEENS0_18inequality_wrapperIZN2at6native12_GLOBAL__N_124unique_dim_cuda_templateIlEESt5tupleIJNSF_6TensorESK_SK_EERKSK_lbbbEUlllE0_EEPmJS9_EEE10hipError_tPvRmT3_T4_T5_T6_T7_T9_mT8_P12ihipStream_tbDpT10_ENKUlT_T0_E_clISt17integral_constantIbLb1EES1A_EEDaS15_S16_EUlS15_E_NS1_11comp_targetILNS1_3genE8ELNS1_11target_archE1030ELNS1_3gpuE2ELNS1_3repE0EEENS1_30default_config_static_selectorELNS0_4arch9wavefront6targetE0EEEvT1_.numbered_sgpr, 0
	.set _ZN7rocprim17ROCPRIM_400000_NS6detail17trampoline_kernelINS0_14default_configENS1_25partition_config_selectorILNS1_17partition_subalgoE9EllbEEZZNS1_14partition_implILS5_9ELb0ES3_jPlS8_PNS0_10empty_typeENS0_5tupleIJS8_S9_EEENSB_IJS8_SA_EEENS0_18inequality_wrapperIZN2at6native12_GLOBAL__N_124unique_dim_cuda_templateIlEESt5tupleIJNSF_6TensorESK_SK_EERKSK_lbbbEUlllE0_EEPmJS9_EEE10hipError_tPvRmT3_T4_T5_T6_T7_T9_mT8_P12ihipStream_tbDpT10_ENKUlT_T0_E_clISt17integral_constantIbLb1EES1A_EEDaS15_S16_EUlS15_E_NS1_11comp_targetILNS1_3genE8ELNS1_11target_archE1030ELNS1_3gpuE2ELNS1_3repE0EEENS1_30default_config_static_selectorELNS0_4arch9wavefront6targetE0EEEvT1_.num_named_barrier, 0
	.set _ZN7rocprim17ROCPRIM_400000_NS6detail17trampoline_kernelINS0_14default_configENS1_25partition_config_selectorILNS1_17partition_subalgoE9EllbEEZZNS1_14partition_implILS5_9ELb0ES3_jPlS8_PNS0_10empty_typeENS0_5tupleIJS8_S9_EEENSB_IJS8_SA_EEENS0_18inequality_wrapperIZN2at6native12_GLOBAL__N_124unique_dim_cuda_templateIlEESt5tupleIJNSF_6TensorESK_SK_EERKSK_lbbbEUlllE0_EEPmJS9_EEE10hipError_tPvRmT3_T4_T5_T6_T7_T9_mT8_P12ihipStream_tbDpT10_ENKUlT_T0_E_clISt17integral_constantIbLb1EES1A_EEDaS15_S16_EUlS15_E_NS1_11comp_targetILNS1_3genE8ELNS1_11target_archE1030ELNS1_3gpuE2ELNS1_3repE0EEENS1_30default_config_static_selectorELNS0_4arch9wavefront6targetE0EEEvT1_.private_seg_size, 0
	.set _ZN7rocprim17ROCPRIM_400000_NS6detail17trampoline_kernelINS0_14default_configENS1_25partition_config_selectorILNS1_17partition_subalgoE9EllbEEZZNS1_14partition_implILS5_9ELb0ES3_jPlS8_PNS0_10empty_typeENS0_5tupleIJS8_S9_EEENSB_IJS8_SA_EEENS0_18inequality_wrapperIZN2at6native12_GLOBAL__N_124unique_dim_cuda_templateIlEESt5tupleIJNSF_6TensorESK_SK_EERKSK_lbbbEUlllE0_EEPmJS9_EEE10hipError_tPvRmT3_T4_T5_T6_T7_T9_mT8_P12ihipStream_tbDpT10_ENKUlT_T0_E_clISt17integral_constantIbLb1EES1A_EEDaS15_S16_EUlS15_E_NS1_11comp_targetILNS1_3genE8ELNS1_11target_archE1030ELNS1_3gpuE2ELNS1_3repE0EEENS1_30default_config_static_selectorELNS0_4arch9wavefront6targetE0EEEvT1_.uses_vcc, 0
	.set _ZN7rocprim17ROCPRIM_400000_NS6detail17trampoline_kernelINS0_14default_configENS1_25partition_config_selectorILNS1_17partition_subalgoE9EllbEEZZNS1_14partition_implILS5_9ELb0ES3_jPlS8_PNS0_10empty_typeENS0_5tupleIJS8_S9_EEENSB_IJS8_SA_EEENS0_18inequality_wrapperIZN2at6native12_GLOBAL__N_124unique_dim_cuda_templateIlEESt5tupleIJNSF_6TensorESK_SK_EERKSK_lbbbEUlllE0_EEPmJS9_EEE10hipError_tPvRmT3_T4_T5_T6_T7_T9_mT8_P12ihipStream_tbDpT10_ENKUlT_T0_E_clISt17integral_constantIbLb1EES1A_EEDaS15_S16_EUlS15_E_NS1_11comp_targetILNS1_3genE8ELNS1_11target_archE1030ELNS1_3gpuE2ELNS1_3repE0EEENS1_30default_config_static_selectorELNS0_4arch9wavefront6targetE0EEEvT1_.uses_flat_scratch, 0
	.set _ZN7rocprim17ROCPRIM_400000_NS6detail17trampoline_kernelINS0_14default_configENS1_25partition_config_selectorILNS1_17partition_subalgoE9EllbEEZZNS1_14partition_implILS5_9ELb0ES3_jPlS8_PNS0_10empty_typeENS0_5tupleIJS8_S9_EEENSB_IJS8_SA_EEENS0_18inequality_wrapperIZN2at6native12_GLOBAL__N_124unique_dim_cuda_templateIlEESt5tupleIJNSF_6TensorESK_SK_EERKSK_lbbbEUlllE0_EEPmJS9_EEE10hipError_tPvRmT3_T4_T5_T6_T7_T9_mT8_P12ihipStream_tbDpT10_ENKUlT_T0_E_clISt17integral_constantIbLb1EES1A_EEDaS15_S16_EUlS15_E_NS1_11comp_targetILNS1_3genE8ELNS1_11target_archE1030ELNS1_3gpuE2ELNS1_3repE0EEENS1_30default_config_static_selectorELNS0_4arch9wavefront6targetE0EEEvT1_.has_dyn_sized_stack, 0
	.set _ZN7rocprim17ROCPRIM_400000_NS6detail17trampoline_kernelINS0_14default_configENS1_25partition_config_selectorILNS1_17partition_subalgoE9EllbEEZZNS1_14partition_implILS5_9ELb0ES3_jPlS8_PNS0_10empty_typeENS0_5tupleIJS8_S9_EEENSB_IJS8_SA_EEENS0_18inequality_wrapperIZN2at6native12_GLOBAL__N_124unique_dim_cuda_templateIlEESt5tupleIJNSF_6TensorESK_SK_EERKSK_lbbbEUlllE0_EEPmJS9_EEE10hipError_tPvRmT3_T4_T5_T6_T7_T9_mT8_P12ihipStream_tbDpT10_ENKUlT_T0_E_clISt17integral_constantIbLb1EES1A_EEDaS15_S16_EUlS15_E_NS1_11comp_targetILNS1_3genE8ELNS1_11target_archE1030ELNS1_3gpuE2ELNS1_3repE0EEENS1_30default_config_static_selectorELNS0_4arch9wavefront6targetE0EEEvT1_.has_recursion, 0
	.set _ZN7rocprim17ROCPRIM_400000_NS6detail17trampoline_kernelINS0_14default_configENS1_25partition_config_selectorILNS1_17partition_subalgoE9EllbEEZZNS1_14partition_implILS5_9ELb0ES3_jPlS8_PNS0_10empty_typeENS0_5tupleIJS8_S9_EEENSB_IJS8_SA_EEENS0_18inequality_wrapperIZN2at6native12_GLOBAL__N_124unique_dim_cuda_templateIlEESt5tupleIJNSF_6TensorESK_SK_EERKSK_lbbbEUlllE0_EEPmJS9_EEE10hipError_tPvRmT3_T4_T5_T6_T7_T9_mT8_P12ihipStream_tbDpT10_ENKUlT_T0_E_clISt17integral_constantIbLb1EES1A_EEDaS15_S16_EUlS15_E_NS1_11comp_targetILNS1_3genE8ELNS1_11target_archE1030ELNS1_3gpuE2ELNS1_3repE0EEENS1_30default_config_static_selectorELNS0_4arch9wavefront6targetE0EEEvT1_.has_indirect_call, 0
	.section	.AMDGPU.csdata,"",@progbits
; Kernel info:
; codeLenInByte = 0
; TotalNumSgprs: 0
; NumVgprs: 0
; ScratchSize: 0
; MemoryBound: 0
; FloatMode: 240
; IeeeMode: 1
; LDSByteSize: 0 bytes/workgroup (compile time only)
; SGPRBlocks: 0
; VGPRBlocks: 0
; NumSGPRsForWavesPerEU: 1
; NumVGPRsForWavesPerEU: 1
; NamedBarCnt: 0
; Occupancy: 16
; WaveLimiterHint : 0
; COMPUTE_PGM_RSRC2:SCRATCH_EN: 0
; COMPUTE_PGM_RSRC2:USER_SGPR: 2
; COMPUTE_PGM_RSRC2:TRAP_HANDLER: 0
; COMPUTE_PGM_RSRC2:TGID_X_EN: 1
; COMPUTE_PGM_RSRC2:TGID_Y_EN: 0
; COMPUTE_PGM_RSRC2:TGID_Z_EN: 0
; COMPUTE_PGM_RSRC2:TIDIG_COMP_CNT: 0
	.section	.text._ZN7rocprim17ROCPRIM_400000_NS6detail17trampoline_kernelINS0_14default_configENS1_25partition_config_selectorILNS1_17partition_subalgoE9EllbEEZZNS1_14partition_implILS5_9ELb0ES3_jPlS8_PNS0_10empty_typeENS0_5tupleIJS8_S9_EEENSB_IJS8_SA_EEENS0_18inequality_wrapperIZN2at6native12_GLOBAL__N_124unique_dim_cuda_templateIlEESt5tupleIJNSF_6TensorESK_SK_EERKSK_lbbbEUlllE0_EEPmJS9_EEE10hipError_tPvRmT3_T4_T5_T6_T7_T9_mT8_P12ihipStream_tbDpT10_ENKUlT_T0_E_clISt17integral_constantIbLb1EES19_IbLb0EEEEDaS15_S16_EUlS15_E_NS1_11comp_targetILNS1_3genE0ELNS1_11target_archE4294967295ELNS1_3gpuE0ELNS1_3repE0EEENS1_30default_config_static_selectorELNS0_4arch9wavefront6targetE0EEEvT1_,"axG",@progbits,_ZN7rocprim17ROCPRIM_400000_NS6detail17trampoline_kernelINS0_14default_configENS1_25partition_config_selectorILNS1_17partition_subalgoE9EllbEEZZNS1_14partition_implILS5_9ELb0ES3_jPlS8_PNS0_10empty_typeENS0_5tupleIJS8_S9_EEENSB_IJS8_SA_EEENS0_18inequality_wrapperIZN2at6native12_GLOBAL__N_124unique_dim_cuda_templateIlEESt5tupleIJNSF_6TensorESK_SK_EERKSK_lbbbEUlllE0_EEPmJS9_EEE10hipError_tPvRmT3_T4_T5_T6_T7_T9_mT8_P12ihipStream_tbDpT10_ENKUlT_T0_E_clISt17integral_constantIbLb1EES19_IbLb0EEEEDaS15_S16_EUlS15_E_NS1_11comp_targetILNS1_3genE0ELNS1_11target_archE4294967295ELNS1_3gpuE0ELNS1_3repE0EEENS1_30default_config_static_selectorELNS0_4arch9wavefront6targetE0EEEvT1_,comdat
	.globl	_ZN7rocprim17ROCPRIM_400000_NS6detail17trampoline_kernelINS0_14default_configENS1_25partition_config_selectorILNS1_17partition_subalgoE9EllbEEZZNS1_14partition_implILS5_9ELb0ES3_jPlS8_PNS0_10empty_typeENS0_5tupleIJS8_S9_EEENSB_IJS8_SA_EEENS0_18inequality_wrapperIZN2at6native12_GLOBAL__N_124unique_dim_cuda_templateIlEESt5tupleIJNSF_6TensorESK_SK_EERKSK_lbbbEUlllE0_EEPmJS9_EEE10hipError_tPvRmT3_T4_T5_T6_T7_T9_mT8_P12ihipStream_tbDpT10_ENKUlT_T0_E_clISt17integral_constantIbLb1EES19_IbLb0EEEEDaS15_S16_EUlS15_E_NS1_11comp_targetILNS1_3genE0ELNS1_11target_archE4294967295ELNS1_3gpuE0ELNS1_3repE0EEENS1_30default_config_static_selectorELNS0_4arch9wavefront6targetE0EEEvT1_ ; -- Begin function _ZN7rocprim17ROCPRIM_400000_NS6detail17trampoline_kernelINS0_14default_configENS1_25partition_config_selectorILNS1_17partition_subalgoE9EllbEEZZNS1_14partition_implILS5_9ELb0ES3_jPlS8_PNS0_10empty_typeENS0_5tupleIJS8_S9_EEENSB_IJS8_SA_EEENS0_18inequality_wrapperIZN2at6native12_GLOBAL__N_124unique_dim_cuda_templateIlEESt5tupleIJNSF_6TensorESK_SK_EERKSK_lbbbEUlllE0_EEPmJS9_EEE10hipError_tPvRmT3_T4_T5_T6_T7_T9_mT8_P12ihipStream_tbDpT10_ENKUlT_T0_E_clISt17integral_constantIbLb1EES19_IbLb0EEEEDaS15_S16_EUlS15_E_NS1_11comp_targetILNS1_3genE0ELNS1_11target_archE4294967295ELNS1_3gpuE0ELNS1_3repE0EEENS1_30default_config_static_selectorELNS0_4arch9wavefront6targetE0EEEvT1_
	.p2align	8
	.type	_ZN7rocprim17ROCPRIM_400000_NS6detail17trampoline_kernelINS0_14default_configENS1_25partition_config_selectorILNS1_17partition_subalgoE9EllbEEZZNS1_14partition_implILS5_9ELb0ES3_jPlS8_PNS0_10empty_typeENS0_5tupleIJS8_S9_EEENSB_IJS8_SA_EEENS0_18inequality_wrapperIZN2at6native12_GLOBAL__N_124unique_dim_cuda_templateIlEESt5tupleIJNSF_6TensorESK_SK_EERKSK_lbbbEUlllE0_EEPmJS9_EEE10hipError_tPvRmT3_T4_T5_T6_T7_T9_mT8_P12ihipStream_tbDpT10_ENKUlT_T0_E_clISt17integral_constantIbLb1EES19_IbLb0EEEEDaS15_S16_EUlS15_E_NS1_11comp_targetILNS1_3genE0ELNS1_11target_archE4294967295ELNS1_3gpuE0ELNS1_3repE0EEENS1_30default_config_static_selectorELNS0_4arch9wavefront6targetE0EEEvT1_,@function
_ZN7rocprim17ROCPRIM_400000_NS6detail17trampoline_kernelINS0_14default_configENS1_25partition_config_selectorILNS1_17partition_subalgoE9EllbEEZZNS1_14partition_implILS5_9ELb0ES3_jPlS8_PNS0_10empty_typeENS0_5tupleIJS8_S9_EEENSB_IJS8_SA_EEENS0_18inequality_wrapperIZN2at6native12_GLOBAL__N_124unique_dim_cuda_templateIlEESt5tupleIJNSF_6TensorESK_SK_EERKSK_lbbbEUlllE0_EEPmJS9_EEE10hipError_tPvRmT3_T4_T5_T6_T7_T9_mT8_P12ihipStream_tbDpT10_ENKUlT_T0_E_clISt17integral_constantIbLb1EES19_IbLb0EEEEDaS15_S16_EUlS15_E_NS1_11comp_targetILNS1_3genE0ELNS1_11target_archE4294967295ELNS1_3gpuE0ELNS1_3repE0EEENS1_30default_config_static_selectorELNS0_4arch9wavefront6targetE0EEEvT1_: ; @_ZN7rocprim17ROCPRIM_400000_NS6detail17trampoline_kernelINS0_14default_configENS1_25partition_config_selectorILNS1_17partition_subalgoE9EllbEEZZNS1_14partition_implILS5_9ELb0ES3_jPlS8_PNS0_10empty_typeENS0_5tupleIJS8_S9_EEENSB_IJS8_SA_EEENS0_18inequality_wrapperIZN2at6native12_GLOBAL__N_124unique_dim_cuda_templateIlEESt5tupleIJNSF_6TensorESK_SK_EERKSK_lbbbEUlllE0_EEPmJS9_EEE10hipError_tPvRmT3_T4_T5_T6_T7_T9_mT8_P12ihipStream_tbDpT10_ENKUlT_T0_E_clISt17integral_constantIbLb1EES19_IbLb0EEEEDaS15_S16_EUlS15_E_NS1_11comp_targetILNS1_3genE0ELNS1_11target_archE4294967295ELNS1_3gpuE0ELNS1_3repE0EEENS1_30default_config_static_selectorELNS0_4arch9wavefront6targetE0EEEvT1_
; %bb.0:
	s_endpgm
	.section	.rodata,"a",@progbits
	.p2align	6, 0x0
	.amdhsa_kernel _ZN7rocprim17ROCPRIM_400000_NS6detail17trampoline_kernelINS0_14default_configENS1_25partition_config_selectorILNS1_17partition_subalgoE9EllbEEZZNS1_14partition_implILS5_9ELb0ES3_jPlS8_PNS0_10empty_typeENS0_5tupleIJS8_S9_EEENSB_IJS8_SA_EEENS0_18inequality_wrapperIZN2at6native12_GLOBAL__N_124unique_dim_cuda_templateIlEESt5tupleIJNSF_6TensorESK_SK_EERKSK_lbbbEUlllE0_EEPmJS9_EEE10hipError_tPvRmT3_T4_T5_T6_T7_T9_mT8_P12ihipStream_tbDpT10_ENKUlT_T0_E_clISt17integral_constantIbLb1EES19_IbLb0EEEEDaS15_S16_EUlS15_E_NS1_11comp_targetILNS1_3genE0ELNS1_11target_archE4294967295ELNS1_3gpuE0ELNS1_3repE0EEENS1_30default_config_static_selectorELNS0_4arch9wavefront6targetE0EEEvT1_
		.amdhsa_group_segment_fixed_size 0
		.amdhsa_private_segment_fixed_size 0
		.amdhsa_kernarg_size 120
		.amdhsa_user_sgpr_count 2
		.amdhsa_user_sgpr_dispatch_ptr 0
		.amdhsa_user_sgpr_queue_ptr 0
		.amdhsa_user_sgpr_kernarg_segment_ptr 1
		.amdhsa_user_sgpr_dispatch_id 0
		.amdhsa_user_sgpr_kernarg_preload_length 0
		.amdhsa_user_sgpr_kernarg_preload_offset 0
		.amdhsa_user_sgpr_private_segment_size 0
		.amdhsa_wavefront_size32 1
		.amdhsa_uses_dynamic_stack 0
		.amdhsa_enable_private_segment 0
		.amdhsa_system_sgpr_workgroup_id_x 1
		.amdhsa_system_sgpr_workgroup_id_y 0
		.amdhsa_system_sgpr_workgroup_id_z 0
		.amdhsa_system_sgpr_workgroup_info 0
		.amdhsa_system_vgpr_workitem_id 0
		.amdhsa_next_free_vgpr 1
		.amdhsa_next_free_sgpr 1
		.amdhsa_named_barrier_count 0
		.amdhsa_reserve_vcc 0
		.amdhsa_float_round_mode_32 0
		.amdhsa_float_round_mode_16_64 0
		.amdhsa_float_denorm_mode_32 3
		.amdhsa_float_denorm_mode_16_64 3
		.amdhsa_fp16_overflow 0
		.amdhsa_memory_ordered 1
		.amdhsa_forward_progress 1
		.amdhsa_inst_pref_size 1
		.amdhsa_round_robin_scheduling 0
		.amdhsa_exception_fp_ieee_invalid_op 0
		.amdhsa_exception_fp_denorm_src 0
		.amdhsa_exception_fp_ieee_div_zero 0
		.amdhsa_exception_fp_ieee_overflow 0
		.amdhsa_exception_fp_ieee_underflow 0
		.amdhsa_exception_fp_ieee_inexact 0
		.amdhsa_exception_int_div_zero 0
	.end_amdhsa_kernel
	.section	.text._ZN7rocprim17ROCPRIM_400000_NS6detail17trampoline_kernelINS0_14default_configENS1_25partition_config_selectorILNS1_17partition_subalgoE9EllbEEZZNS1_14partition_implILS5_9ELb0ES3_jPlS8_PNS0_10empty_typeENS0_5tupleIJS8_S9_EEENSB_IJS8_SA_EEENS0_18inequality_wrapperIZN2at6native12_GLOBAL__N_124unique_dim_cuda_templateIlEESt5tupleIJNSF_6TensorESK_SK_EERKSK_lbbbEUlllE0_EEPmJS9_EEE10hipError_tPvRmT3_T4_T5_T6_T7_T9_mT8_P12ihipStream_tbDpT10_ENKUlT_T0_E_clISt17integral_constantIbLb1EES19_IbLb0EEEEDaS15_S16_EUlS15_E_NS1_11comp_targetILNS1_3genE0ELNS1_11target_archE4294967295ELNS1_3gpuE0ELNS1_3repE0EEENS1_30default_config_static_selectorELNS0_4arch9wavefront6targetE0EEEvT1_,"axG",@progbits,_ZN7rocprim17ROCPRIM_400000_NS6detail17trampoline_kernelINS0_14default_configENS1_25partition_config_selectorILNS1_17partition_subalgoE9EllbEEZZNS1_14partition_implILS5_9ELb0ES3_jPlS8_PNS0_10empty_typeENS0_5tupleIJS8_S9_EEENSB_IJS8_SA_EEENS0_18inequality_wrapperIZN2at6native12_GLOBAL__N_124unique_dim_cuda_templateIlEESt5tupleIJNSF_6TensorESK_SK_EERKSK_lbbbEUlllE0_EEPmJS9_EEE10hipError_tPvRmT3_T4_T5_T6_T7_T9_mT8_P12ihipStream_tbDpT10_ENKUlT_T0_E_clISt17integral_constantIbLb1EES19_IbLb0EEEEDaS15_S16_EUlS15_E_NS1_11comp_targetILNS1_3genE0ELNS1_11target_archE4294967295ELNS1_3gpuE0ELNS1_3repE0EEENS1_30default_config_static_selectorELNS0_4arch9wavefront6targetE0EEEvT1_,comdat
.Lfunc_end611:
	.size	_ZN7rocprim17ROCPRIM_400000_NS6detail17trampoline_kernelINS0_14default_configENS1_25partition_config_selectorILNS1_17partition_subalgoE9EllbEEZZNS1_14partition_implILS5_9ELb0ES3_jPlS8_PNS0_10empty_typeENS0_5tupleIJS8_S9_EEENSB_IJS8_SA_EEENS0_18inequality_wrapperIZN2at6native12_GLOBAL__N_124unique_dim_cuda_templateIlEESt5tupleIJNSF_6TensorESK_SK_EERKSK_lbbbEUlllE0_EEPmJS9_EEE10hipError_tPvRmT3_T4_T5_T6_T7_T9_mT8_P12ihipStream_tbDpT10_ENKUlT_T0_E_clISt17integral_constantIbLb1EES19_IbLb0EEEEDaS15_S16_EUlS15_E_NS1_11comp_targetILNS1_3genE0ELNS1_11target_archE4294967295ELNS1_3gpuE0ELNS1_3repE0EEENS1_30default_config_static_selectorELNS0_4arch9wavefront6targetE0EEEvT1_, .Lfunc_end611-_ZN7rocprim17ROCPRIM_400000_NS6detail17trampoline_kernelINS0_14default_configENS1_25partition_config_selectorILNS1_17partition_subalgoE9EllbEEZZNS1_14partition_implILS5_9ELb0ES3_jPlS8_PNS0_10empty_typeENS0_5tupleIJS8_S9_EEENSB_IJS8_SA_EEENS0_18inequality_wrapperIZN2at6native12_GLOBAL__N_124unique_dim_cuda_templateIlEESt5tupleIJNSF_6TensorESK_SK_EERKSK_lbbbEUlllE0_EEPmJS9_EEE10hipError_tPvRmT3_T4_T5_T6_T7_T9_mT8_P12ihipStream_tbDpT10_ENKUlT_T0_E_clISt17integral_constantIbLb1EES19_IbLb0EEEEDaS15_S16_EUlS15_E_NS1_11comp_targetILNS1_3genE0ELNS1_11target_archE4294967295ELNS1_3gpuE0ELNS1_3repE0EEENS1_30default_config_static_selectorELNS0_4arch9wavefront6targetE0EEEvT1_
                                        ; -- End function
	.set _ZN7rocprim17ROCPRIM_400000_NS6detail17trampoline_kernelINS0_14default_configENS1_25partition_config_selectorILNS1_17partition_subalgoE9EllbEEZZNS1_14partition_implILS5_9ELb0ES3_jPlS8_PNS0_10empty_typeENS0_5tupleIJS8_S9_EEENSB_IJS8_SA_EEENS0_18inequality_wrapperIZN2at6native12_GLOBAL__N_124unique_dim_cuda_templateIlEESt5tupleIJNSF_6TensorESK_SK_EERKSK_lbbbEUlllE0_EEPmJS9_EEE10hipError_tPvRmT3_T4_T5_T6_T7_T9_mT8_P12ihipStream_tbDpT10_ENKUlT_T0_E_clISt17integral_constantIbLb1EES19_IbLb0EEEEDaS15_S16_EUlS15_E_NS1_11comp_targetILNS1_3genE0ELNS1_11target_archE4294967295ELNS1_3gpuE0ELNS1_3repE0EEENS1_30default_config_static_selectorELNS0_4arch9wavefront6targetE0EEEvT1_.num_vgpr, 0
	.set _ZN7rocprim17ROCPRIM_400000_NS6detail17trampoline_kernelINS0_14default_configENS1_25partition_config_selectorILNS1_17partition_subalgoE9EllbEEZZNS1_14partition_implILS5_9ELb0ES3_jPlS8_PNS0_10empty_typeENS0_5tupleIJS8_S9_EEENSB_IJS8_SA_EEENS0_18inequality_wrapperIZN2at6native12_GLOBAL__N_124unique_dim_cuda_templateIlEESt5tupleIJNSF_6TensorESK_SK_EERKSK_lbbbEUlllE0_EEPmJS9_EEE10hipError_tPvRmT3_T4_T5_T6_T7_T9_mT8_P12ihipStream_tbDpT10_ENKUlT_T0_E_clISt17integral_constantIbLb1EES19_IbLb0EEEEDaS15_S16_EUlS15_E_NS1_11comp_targetILNS1_3genE0ELNS1_11target_archE4294967295ELNS1_3gpuE0ELNS1_3repE0EEENS1_30default_config_static_selectorELNS0_4arch9wavefront6targetE0EEEvT1_.num_agpr, 0
	.set _ZN7rocprim17ROCPRIM_400000_NS6detail17trampoline_kernelINS0_14default_configENS1_25partition_config_selectorILNS1_17partition_subalgoE9EllbEEZZNS1_14partition_implILS5_9ELb0ES3_jPlS8_PNS0_10empty_typeENS0_5tupleIJS8_S9_EEENSB_IJS8_SA_EEENS0_18inequality_wrapperIZN2at6native12_GLOBAL__N_124unique_dim_cuda_templateIlEESt5tupleIJNSF_6TensorESK_SK_EERKSK_lbbbEUlllE0_EEPmJS9_EEE10hipError_tPvRmT3_T4_T5_T6_T7_T9_mT8_P12ihipStream_tbDpT10_ENKUlT_T0_E_clISt17integral_constantIbLb1EES19_IbLb0EEEEDaS15_S16_EUlS15_E_NS1_11comp_targetILNS1_3genE0ELNS1_11target_archE4294967295ELNS1_3gpuE0ELNS1_3repE0EEENS1_30default_config_static_selectorELNS0_4arch9wavefront6targetE0EEEvT1_.numbered_sgpr, 0
	.set _ZN7rocprim17ROCPRIM_400000_NS6detail17trampoline_kernelINS0_14default_configENS1_25partition_config_selectorILNS1_17partition_subalgoE9EllbEEZZNS1_14partition_implILS5_9ELb0ES3_jPlS8_PNS0_10empty_typeENS0_5tupleIJS8_S9_EEENSB_IJS8_SA_EEENS0_18inequality_wrapperIZN2at6native12_GLOBAL__N_124unique_dim_cuda_templateIlEESt5tupleIJNSF_6TensorESK_SK_EERKSK_lbbbEUlllE0_EEPmJS9_EEE10hipError_tPvRmT3_T4_T5_T6_T7_T9_mT8_P12ihipStream_tbDpT10_ENKUlT_T0_E_clISt17integral_constantIbLb1EES19_IbLb0EEEEDaS15_S16_EUlS15_E_NS1_11comp_targetILNS1_3genE0ELNS1_11target_archE4294967295ELNS1_3gpuE0ELNS1_3repE0EEENS1_30default_config_static_selectorELNS0_4arch9wavefront6targetE0EEEvT1_.num_named_barrier, 0
	.set _ZN7rocprim17ROCPRIM_400000_NS6detail17trampoline_kernelINS0_14default_configENS1_25partition_config_selectorILNS1_17partition_subalgoE9EllbEEZZNS1_14partition_implILS5_9ELb0ES3_jPlS8_PNS0_10empty_typeENS0_5tupleIJS8_S9_EEENSB_IJS8_SA_EEENS0_18inequality_wrapperIZN2at6native12_GLOBAL__N_124unique_dim_cuda_templateIlEESt5tupleIJNSF_6TensorESK_SK_EERKSK_lbbbEUlllE0_EEPmJS9_EEE10hipError_tPvRmT3_T4_T5_T6_T7_T9_mT8_P12ihipStream_tbDpT10_ENKUlT_T0_E_clISt17integral_constantIbLb1EES19_IbLb0EEEEDaS15_S16_EUlS15_E_NS1_11comp_targetILNS1_3genE0ELNS1_11target_archE4294967295ELNS1_3gpuE0ELNS1_3repE0EEENS1_30default_config_static_selectorELNS0_4arch9wavefront6targetE0EEEvT1_.private_seg_size, 0
	.set _ZN7rocprim17ROCPRIM_400000_NS6detail17trampoline_kernelINS0_14default_configENS1_25partition_config_selectorILNS1_17partition_subalgoE9EllbEEZZNS1_14partition_implILS5_9ELb0ES3_jPlS8_PNS0_10empty_typeENS0_5tupleIJS8_S9_EEENSB_IJS8_SA_EEENS0_18inequality_wrapperIZN2at6native12_GLOBAL__N_124unique_dim_cuda_templateIlEESt5tupleIJNSF_6TensorESK_SK_EERKSK_lbbbEUlllE0_EEPmJS9_EEE10hipError_tPvRmT3_T4_T5_T6_T7_T9_mT8_P12ihipStream_tbDpT10_ENKUlT_T0_E_clISt17integral_constantIbLb1EES19_IbLb0EEEEDaS15_S16_EUlS15_E_NS1_11comp_targetILNS1_3genE0ELNS1_11target_archE4294967295ELNS1_3gpuE0ELNS1_3repE0EEENS1_30default_config_static_selectorELNS0_4arch9wavefront6targetE0EEEvT1_.uses_vcc, 0
	.set _ZN7rocprim17ROCPRIM_400000_NS6detail17trampoline_kernelINS0_14default_configENS1_25partition_config_selectorILNS1_17partition_subalgoE9EllbEEZZNS1_14partition_implILS5_9ELb0ES3_jPlS8_PNS0_10empty_typeENS0_5tupleIJS8_S9_EEENSB_IJS8_SA_EEENS0_18inequality_wrapperIZN2at6native12_GLOBAL__N_124unique_dim_cuda_templateIlEESt5tupleIJNSF_6TensorESK_SK_EERKSK_lbbbEUlllE0_EEPmJS9_EEE10hipError_tPvRmT3_T4_T5_T6_T7_T9_mT8_P12ihipStream_tbDpT10_ENKUlT_T0_E_clISt17integral_constantIbLb1EES19_IbLb0EEEEDaS15_S16_EUlS15_E_NS1_11comp_targetILNS1_3genE0ELNS1_11target_archE4294967295ELNS1_3gpuE0ELNS1_3repE0EEENS1_30default_config_static_selectorELNS0_4arch9wavefront6targetE0EEEvT1_.uses_flat_scratch, 0
	.set _ZN7rocprim17ROCPRIM_400000_NS6detail17trampoline_kernelINS0_14default_configENS1_25partition_config_selectorILNS1_17partition_subalgoE9EllbEEZZNS1_14partition_implILS5_9ELb0ES3_jPlS8_PNS0_10empty_typeENS0_5tupleIJS8_S9_EEENSB_IJS8_SA_EEENS0_18inequality_wrapperIZN2at6native12_GLOBAL__N_124unique_dim_cuda_templateIlEESt5tupleIJNSF_6TensorESK_SK_EERKSK_lbbbEUlllE0_EEPmJS9_EEE10hipError_tPvRmT3_T4_T5_T6_T7_T9_mT8_P12ihipStream_tbDpT10_ENKUlT_T0_E_clISt17integral_constantIbLb1EES19_IbLb0EEEEDaS15_S16_EUlS15_E_NS1_11comp_targetILNS1_3genE0ELNS1_11target_archE4294967295ELNS1_3gpuE0ELNS1_3repE0EEENS1_30default_config_static_selectorELNS0_4arch9wavefront6targetE0EEEvT1_.has_dyn_sized_stack, 0
	.set _ZN7rocprim17ROCPRIM_400000_NS6detail17trampoline_kernelINS0_14default_configENS1_25partition_config_selectorILNS1_17partition_subalgoE9EllbEEZZNS1_14partition_implILS5_9ELb0ES3_jPlS8_PNS0_10empty_typeENS0_5tupleIJS8_S9_EEENSB_IJS8_SA_EEENS0_18inequality_wrapperIZN2at6native12_GLOBAL__N_124unique_dim_cuda_templateIlEESt5tupleIJNSF_6TensorESK_SK_EERKSK_lbbbEUlllE0_EEPmJS9_EEE10hipError_tPvRmT3_T4_T5_T6_T7_T9_mT8_P12ihipStream_tbDpT10_ENKUlT_T0_E_clISt17integral_constantIbLb1EES19_IbLb0EEEEDaS15_S16_EUlS15_E_NS1_11comp_targetILNS1_3genE0ELNS1_11target_archE4294967295ELNS1_3gpuE0ELNS1_3repE0EEENS1_30default_config_static_selectorELNS0_4arch9wavefront6targetE0EEEvT1_.has_recursion, 0
	.set _ZN7rocprim17ROCPRIM_400000_NS6detail17trampoline_kernelINS0_14default_configENS1_25partition_config_selectorILNS1_17partition_subalgoE9EllbEEZZNS1_14partition_implILS5_9ELb0ES3_jPlS8_PNS0_10empty_typeENS0_5tupleIJS8_S9_EEENSB_IJS8_SA_EEENS0_18inequality_wrapperIZN2at6native12_GLOBAL__N_124unique_dim_cuda_templateIlEESt5tupleIJNSF_6TensorESK_SK_EERKSK_lbbbEUlllE0_EEPmJS9_EEE10hipError_tPvRmT3_T4_T5_T6_T7_T9_mT8_P12ihipStream_tbDpT10_ENKUlT_T0_E_clISt17integral_constantIbLb1EES19_IbLb0EEEEDaS15_S16_EUlS15_E_NS1_11comp_targetILNS1_3genE0ELNS1_11target_archE4294967295ELNS1_3gpuE0ELNS1_3repE0EEENS1_30default_config_static_selectorELNS0_4arch9wavefront6targetE0EEEvT1_.has_indirect_call, 0
	.section	.AMDGPU.csdata,"",@progbits
; Kernel info:
; codeLenInByte = 4
; TotalNumSgprs: 0
; NumVgprs: 0
; ScratchSize: 0
; MemoryBound: 0
; FloatMode: 240
; IeeeMode: 1
; LDSByteSize: 0 bytes/workgroup (compile time only)
; SGPRBlocks: 0
; VGPRBlocks: 0
; NumSGPRsForWavesPerEU: 1
; NumVGPRsForWavesPerEU: 1
; NamedBarCnt: 0
; Occupancy: 16
; WaveLimiterHint : 0
; COMPUTE_PGM_RSRC2:SCRATCH_EN: 0
; COMPUTE_PGM_RSRC2:USER_SGPR: 2
; COMPUTE_PGM_RSRC2:TRAP_HANDLER: 0
; COMPUTE_PGM_RSRC2:TGID_X_EN: 1
; COMPUTE_PGM_RSRC2:TGID_Y_EN: 0
; COMPUTE_PGM_RSRC2:TGID_Z_EN: 0
; COMPUTE_PGM_RSRC2:TIDIG_COMP_CNT: 0
	.section	.text._ZN7rocprim17ROCPRIM_400000_NS6detail17trampoline_kernelINS0_14default_configENS1_25partition_config_selectorILNS1_17partition_subalgoE9EllbEEZZNS1_14partition_implILS5_9ELb0ES3_jPlS8_PNS0_10empty_typeENS0_5tupleIJS8_S9_EEENSB_IJS8_SA_EEENS0_18inequality_wrapperIZN2at6native12_GLOBAL__N_124unique_dim_cuda_templateIlEESt5tupleIJNSF_6TensorESK_SK_EERKSK_lbbbEUlllE0_EEPmJS9_EEE10hipError_tPvRmT3_T4_T5_T6_T7_T9_mT8_P12ihipStream_tbDpT10_ENKUlT_T0_E_clISt17integral_constantIbLb1EES19_IbLb0EEEEDaS15_S16_EUlS15_E_NS1_11comp_targetILNS1_3genE5ELNS1_11target_archE942ELNS1_3gpuE9ELNS1_3repE0EEENS1_30default_config_static_selectorELNS0_4arch9wavefront6targetE0EEEvT1_,"axG",@progbits,_ZN7rocprim17ROCPRIM_400000_NS6detail17trampoline_kernelINS0_14default_configENS1_25partition_config_selectorILNS1_17partition_subalgoE9EllbEEZZNS1_14partition_implILS5_9ELb0ES3_jPlS8_PNS0_10empty_typeENS0_5tupleIJS8_S9_EEENSB_IJS8_SA_EEENS0_18inequality_wrapperIZN2at6native12_GLOBAL__N_124unique_dim_cuda_templateIlEESt5tupleIJNSF_6TensorESK_SK_EERKSK_lbbbEUlllE0_EEPmJS9_EEE10hipError_tPvRmT3_T4_T5_T6_T7_T9_mT8_P12ihipStream_tbDpT10_ENKUlT_T0_E_clISt17integral_constantIbLb1EES19_IbLb0EEEEDaS15_S16_EUlS15_E_NS1_11comp_targetILNS1_3genE5ELNS1_11target_archE942ELNS1_3gpuE9ELNS1_3repE0EEENS1_30default_config_static_selectorELNS0_4arch9wavefront6targetE0EEEvT1_,comdat
	.globl	_ZN7rocprim17ROCPRIM_400000_NS6detail17trampoline_kernelINS0_14default_configENS1_25partition_config_selectorILNS1_17partition_subalgoE9EllbEEZZNS1_14partition_implILS5_9ELb0ES3_jPlS8_PNS0_10empty_typeENS0_5tupleIJS8_S9_EEENSB_IJS8_SA_EEENS0_18inequality_wrapperIZN2at6native12_GLOBAL__N_124unique_dim_cuda_templateIlEESt5tupleIJNSF_6TensorESK_SK_EERKSK_lbbbEUlllE0_EEPmJS9_EEE10hipError_tPvRmT3_T4_T5_T6_T7_T9_mT8_P12ihipStream_tbDpT10_ENKUlT_T0_E_clISt17integral_constantIbLb1EES19_IbLb0EEEEDaS15_S16_EUlS15_E_NS1_11comp_targetILNS1_3genE5ELNS1_11target_archE942ELNS1_3gpuE9ELNS1_3repE0EEENS1_30default_config_static_selectorELNS0_4arch9wavefront6targetE0EEEvT1_ ; -- Begin function _ZN7rocprim17ROCPRIM_400000_NS6detail17trampoline_kernelINS0_14default_configENS1_25partition_config_selectorILNS1_17partition_subalgoE9EllbEEZZNS1_14partition_implILS5_9ELb0ES3_jPlS8_PNS0_10empty_typeENS0_5tupleIJS8_S9_EEENSB_IJS8_SA_EEENS0_18inequality_wrapperIZN2at6native12_GLOBAL__N_124unique_dim_cuda_templateIlEESt5tupleIJNSF_6TensorESK_SK_EERKSK_lbbbEUlllE0_EEPmJS9_EEE10hipError_tPvRmT3_T4_T5_T6_T7_T9_mT8_P12ihipStream_tbDpT10_ENKUlT_T0_E_clISt17integral_constantIbLb1EES19_IbLb0EEEEDaS15_S16_EUlS15_E_NS1_11comp_targetILNS1_3genE5ELNS1_11target_archE942ELNS1_3gpuE9ELNS1_3repE0EEENS1_30default_config_static_selectorELNS0_4arch9wavefront6targetE0EEEvT1_
	.p2align	8
	.type	_ZN7rocprim17ROCPRIM_400000_NS6detail17trampoline_kernelINS0_14default_configENS1_25partition_config_selectorILNS1_17partition_subalgoE9EllbEEZZNS1_14partition_implILS5_9ELb0ES3_jPlS8_PNS0_10empty_typeENS0_5tupleIJS8_S9_EEENSB_IJS8_SA_EEENS0_18inequality_wrapperIZN2at6native12_GLOBAL__N_124unique_dim_cuda_templateIlEESt5tupleIJNSF_6TensorESK_SK_EERKSK_lbbbEUlllE0_EEPmJS9_EEE10hipError_tPvRmT3_T4_T5_T6_T7_T9_mT8_P12ihipStream_tbDpT10_ENKUlT_T0_E_clISt17integral_constantIbLb1EES19_IbLb0EEEEDaS15_S16_EUlS15_E_NS1_11comp_targetILNS1_3genE5ELNS1_11target_archE942ELNS1_3gpuE9ELNS1_3repE0EEENS1_30default_config_static_selectorELNS0_4arch9wavefront6targetE0EEEvT1_,@function
_ZN7rocprim17ROCPRIM_400000_NS6detail17trampoline_kernelINS0_14default_configENS1_25partition_config_selectorILNS1_17partition_subalgoE9EllbEEZZNS1_14partition_implILS5_9ELb0ES3_jPlS8_PNS0_10empty_typeENS0_5tupleIJS8_S9_EEENSB_IJS8_SA_EEENS0_18inequality_wrapperIZN2at6native12_GLOBAL__N_124unique_dim_cuda_templateIlEESt5tupleIJNSF_6TensorESK_SK_EERKSK_lbbbEUlllE0_EEPmJS9_EEE10hipError_tPvRmT3_T4_T5_T6_T7_T9_mT8_P12ihipStream_tbDpT10_ENKUlT_T0_E_clISt17integral_constantIbLb1EES19_IbLb0EEEEDaS15_S16_EUlS15_E_NS1_11comp_targetILNS1_3genE5ELNS1_11target_archE942ELNS1_3gpuE9ELNS1_3repE0EEENS1_30default_config_static_selectorELNS0_4arch9wavefront6targetE0EEEvT1_: ; @_ZN7rocprim17ROCPRIM_400000_NS6detail17trampoline_kernelINS0_14default_configENS1_25partition_config_selectorILNS1_17partition_subalgoE9EllbEEZZNS1_14partition_implILS5_9ELb0ES3_jPlS8_PNS0_10empty_typeENS0_5tupleIJS8_S9_EEENSB_IJS8_SA_EEENS0_18inequality_wrapperIZN2at6native12_GLOBAL__N_124unique_dim_cuda_templateIlEESt5tupleIJNSF_6TensorESK_SK_EERKSK_lbbbEUlllE0_EEPmJS9_EEE10hipError_tPvRmT3_T4_T5_T6_T7_T9_mT8_P12ihipStream_tbDpT10_ENKUlT_T0_E_clISt17integral_constantIbLb1EES19_IbLb0EEEEDaS15_S16_EUlS15_E_NS1_11comp_targetILNS1_3genE5ELNS1_11target_archE942ELNS1_3gpuE9ELNS1_3repE0EEENS1_30default_config_static_selectorELNS0_4arch9wavefront6targetE0EEEvT1_
; %bb.0:
	.section	.rodata,"a",@progbits
	.p2align	6, 0x0
	.amdhsa_kernel _ZN7rocprim17ROCPRIM_400000_NS6detail17trampoline_kernelINS0_14default_configENS1_25partition_config_selectorILNS1_17partition_subalgoE9EllbEEZZNS1_14partition_implILS5_9ELb0ES3_jPlS8_PNS0_10empty_typeENS0_5tupleIJS8_S9_EEENSB_IJS8_SA_EEENS0_18inequality_wrapperIZN2at6native12_GLOBAL__N_124unique_dim_cuda_templateIlEESt5tupleIJNSF_6TensorESK_SK_EERKSK_lbbbEUlllE0_EEPmJS9_EEE10hipError_tPvRmT3_T4_T5_T6_T7_T9_mT8_P12ihipStream_tbDpT10_ENKUlT_T0_E_clISt17integral_constantIbLb1EES19_IbLb0EEEEDaS15_S16_EUlS15_E_NS1_11comp_targetILNS1_3genE5ELNS1_11target_archE942ELNS1_3gpuE9ELNS1_3repE0EEENS1_30default_config_static_selectorELNS0_4arch9wavefront6targetE0EEEvT1_
		.amdhsa_group_segment_fixed_size 0
		.amdhsa_private_segment_fixed_size 0
		.amdhsa_kernarg_size 120
		.amdhsa_user_sgpr_count 2
		.amdhsa_user_sgpr_dispatch_ptr 0
		.amdhsa_user_sgpr_queue_ptr 0
		.amdhsa_user_sgpr_kernarg_segment_ptr 1
		.amdhsa_user_sgpr_dispatch_id 0
		.amdhsa_user_sgpr_kernarg_preload_length 0
		.amdhsa_user_sgpr_kernarg_preload_offset 0
		.amdhsa_user_sgpr_private_segment_size 0
		.amdhsa_wavefront_size32 1
		.amdhsa_uses_dynamic_stack 0
		.amdhsa_enable_private_segment 0
		.amdhsa_system_sgpr_workgroup_id_x 1
		.amdhsa_system_sgpr_workgroup_id_y 0
		.amdhsa_system_sgpr_workgroup_id_z 0
		.amdhsa_system_sgpr_workgroup_info 0
		.amdhsa_system_vgpr_workitem_id 0
		.amdhsa_next_free_vgpr 1
		.amdhsa_next_free_sgpr 1
		.amdhsa_named_barrier_count 0
		.amdhsa_reserve_vcc 0
		.amdhsa_float_round_mode_32 0
		.amdhsa_float_round_mode_16_64 0
		.amdhsa_float_denorm_mode_32 3
		.amdhsa_float_denorm_mode_16_64 3
		.amdhsa_fp16_overflow 0
		.amdhsa_memory_ordered 1
		.amdhsa_forward_progress 1
		.amdhsa_inst_pref_size 0
		.amdhsa_round_robin_scheduling 0
		.amdhsa_exception_fp_ieee_invalid_op 0
		.amdhsa_exception_fp_denorm_src 0
		.amdhsa_exception_fp_ieee_div_zero 0
		.amdhsa_exception_fp_ieee_overflow 0
		.amdhsa_exception_fp_ieee_underflow 0
		.amdhsa_exception_fp_ieee_inexact 0
		.amdhsa_exception_int_div_zero 0
	.end_amdhsa_kernel
	.section	.text._ZN7rocprim17ROCPRIM_400000_NS6detail17trampoline_kernelINS0_14default_configENS1_25partition_config_selectorILNS1_17partition_subalgoE9EllbEEZZNS1_14partition_implILS5_9ELb0ES3_jPlS8_PNS0_10empty_typeENS0_5tupleIJS8_S9_EEENSB_IJS8_SA_EEENS0_18inequality_wrapperIZN2at6native12_GLOBAL__N_124unique_dim_cuda_templateIlEESt5tupleIJNSF_6TensorESK_SK_EERKSK_lbbbEUlllE0_EEPmJS9_EEE10hipError_tPvRmT3_T4_T5_T6_T7_T9_mT8_P12ihipStream_tbDpT10_ENKUlT_T0_E_clISt17integral_constantIbLb1EES19_IbLb0EEEEDaS15_S16_EUlS15_E_NS1_11comp_targetILNS1_3genE5ELNS1_11target_archE942ELNS1_3gpuE9ELNS1_3repE0EEENS1_30default_config_static_selectorELNS0_4arch9wavefront6targetE0EEEvT1_,"axG",@progbits,_ZN7rocprim17ROCPRIM_400000_NS6detail17trampoline_kernelINS0_14default_configENS1_25partition_config_selectorILNS1_17partition_subalgoE9EllbEEZZNS1_14partition_implILS5_9ELb0ES3_jPlS8_PNS0_10empty_typeENS0_5tupleIJS8_S9_EEENSB_IJS8_SA_EEENS0_18inequality_wrapperIZN2at6native12_GLOBAL__N_124unique_dim_cuda_templateIlEESt5tupleIJNSF_6TensorESK_SK_EERKSK_lbbbEUlllE0_EEPmJS9_EEE10hipError_tPvRmT3_T4_T5_T6_T7_T9_mT8_P12ihipStream_tbDpT10_ENKUlT_T0_E_clISt17integral_constantIbLb1EES19_IbLb0EEEEDaS15_S16_EUlS15_E_NS1_11comp_targetILNS1_3genE5ELNS1_11target_archE942ELNS1_3gpuE9ELNS1_3repE0EEENS1_30default_config_static_selectorELNS0_4arch9wavefront6targetE0EEEvT1_,comdat
.Lfunc_end612:
	.size	_ZN7rocprim17ROCPRIM_400000_NS6detail17trampoline_kernelINS0_14default_configENS1_25partition_config_selectorILNS1_17partition_subalgoE9EllbEEZZNS1_14partition_implILS5_9ELb0ES3_jPlS8_PNS0_10empty_typeENS0_5tupleIJS8_S9_EEENSB_IJS8_SA_EEENS0_18inequality_wrapperIZN2at6native12_GLOBAL__N_124unique_dim_cuda_templateIlEESt5tupleIJNSF_6TensorESK_SK_EERKSK_lbbbEUlllE0_EEPmJS9_EEE10hipError_tPvRmT3_T4_T5_T6_T7_T9_mT8_P12ihipStream_tbDpT10_ENKUlT_T0_E_clISt17integral_constantIbLb1EES19_IbLb0EEEEDaS15_S16_EUlS15_E_NS1_11comp_targetILNS1_3genE5ELNS1_11target_archE942ELNS1_3gpuE9ELNS1_3repE0EEENS1_30default_config_static_selectorELNS0_4arch9wavefront6targetE0EEEvT1_, .Lfunc_end612-_ZN7rocprim17ROCPRIM_400000_NS6detail17trampoline_kernelINS0_14default_configENS1_25partition_config_selectorILNS1_17partition_subalgoE9EllbEEZZNS1_14partition_implILS5_9ELb0ES3_jPlS8_PNS0_10empty_typeENS0_5tupleIJS8_S9_EEENSB_IJS8_SA_EEENS0_18inequality_wrapperIZN2at6native12_GLOBAL__N_124unique_dim_cuda_templateIlEESt5tupleIJNSF_6TensorESK_SK_EERKSK_lbbbEUlllE0_EEPmJS9_EEE10hipError_tPvRmT3_T4_T5_T6_T7_T9_mT8_P12ihipStream_tbDpT10_ENKUlT_T0_E_clISt17integral_constantIbLb1EES19_IbLb0EEEEDaS15_S16_EUlS15_E_NS1_11comp_targetILNS1_3genE5ELNS1_11target_archE942ELNS1_3gpuE9ELNS1_3repE0EEENS1_30default_config_static_selectorELNS0_4arch9wavefront6targetE0EEEvT1_
                                        ; -- End function
	.set _ZN7rocprim17ROCPRIM_400000_NS6detail17trampoline_kernelINS0_14default_configENS1_25partition_config_selectorILNS1_17partition_subalgoE9EllbEEZZNS1_14partition_implILS5_9ELb0ES3_jPlS8_PNS0_10empty_typeENS0_5tupleIJS8_S9_EEENSB_IJS8_SA_EEENS0_18inequality_wrapperIZN2at6native12_GLOBAL__N_124unique_dim_cuda_templateIlEESt5tupleIJNSF_6TensorESK_SK_EERKSK_lbbbEUlllE0_EEPmJS9_EEE10hipError_tPvRmT3_T4_T5_T6_T7_T9_mT8_P12ihipStream_tbDpT10_ENKUlT_T0_E_clISt17integral_constantIbLb1EES19_IbLb0EEEEDaS15_S16_EUlS15_E_NS1_11comp_targetILNS1_3genE5ELNS1_11target_archE942ELNS1_3gpuE9ELNS1_3repE0EEENS1_30default_config_static_selectorELNS0_4arch9wavefront6targetE0EEEvT1_.num_vgpr, 0
	.set _ZN7rocprim17ROCPRIM_400000_NS6detail17trampoline_kernelINS0_14default_configENS1_25partition_config_selectorILNS1_17partition_subalgoE9EllbEEZZNS1_14partition_implILS5_9ELb0ES3_jPlS8_PNS0_10empty_typeENS0_5tupleIJS8_S9_EEENSB_IJS8_SA_EEENS0_18inequality_wrapperIZN2at6native12_GLOBAL__N_124unique_dim_cuda_templateIlEESt5tupleIJNSF_6TensorESK_SK_EERKSK_lbbbEUlllE0_EEPmJS9_EEE10hipError_tPvRmT3_T4_T5_T6_T7_T9_mT8_P12ihipStream_tbDpT10_ENKUlT_T0_E_clISt17integral_constantIbLb1EES19_IbLb0EEEEDaS15_S16_EUlS15_E_NS1_11comp_targetILNS1_3genE5ELNS1_11target_archE942ELNS1_3gpuE9ELNS1_3repE0EEENS1_30default_config_static_selectorELNS0_4arch9wavefront6targetE0EEEvT1_.num_agpr, 0
	.set _ZN7rocprim17ROCPRIM_400000_NS6detail17trampoline_kernelINS0_14default_configENS1_25partition_config_selectorILNS1_17partition_subalgoE9EllbEEZZNS1_14partition_implILS5_9ELb0ES3_jPlS8_PNS0_10empty_typeENS0_5tupleIJS8_S9_EEENSB_IJS8_SA_EEENS0_18inequality_wrapperIZN2at6native12_GLOBAL__N_124unique_dim_cuda_templateIlEESt5tupleIJNSF_6TensorESK_SK_EERKSK_lbbbEUlllE0_EEPmJS9_EEE10hipError_tPvRmT3_T4_T5_T6_T7_T9_mT8_P12ihipStream_tbDpT10_ENKUlT_T0_E_clISt17integral_constantIbLb1EES19_IbLb0EEEEDaS15_S16_EUlS15_E_NS1_11comp_targetILNS1_3genE5ELNS1_11target_archE942ELNS1_3gpuE9ELNS1_3repE0EEENS1_30default_config_static_selectorELNS0_4arch9wavefront6targetE0EEEvT1_.numbered_sgpr, 0
	.set _ZN7rocprim17ROCPRIM_400000_NS6detail17trampoline_kernelINS0_14default_configENS1_25partition_config_selectorILNS1_17partition_subalgoE9EllbEEZZNS1_14partition_implILS5_9ELb0ES3_jPlS8_PNS0_10empty_typeENS0_5tupleIJS8_S9_EEENSB_IJS8_SA_EEENS0_18inequality_wrapperIZN2at6native12_GLOBAL__N_124unique_dim_cuda_templateIlEESt5tupleIJNSF_6TensorESK_SK_EERKSK_lbbbEUlllE0_EEPmJS9_EEE10hipError_tPvRmT3_T4_T5_T6_T7_T9_mT8_P12ihipStream_tbDpT10_ENKUlT_T0_E_clISt17integral_constantIbLb1EES19_IbLb0EEEEDaS15_S16_EUlS15_E_NS1_11comp_targetILNS1_3genE5ELNS1_11target_archE942ELNS1_3gpuE9ELNS1_3repE0EEENS1_30default_config_static_selectorELNS0_4arch9wavefront6targetE0EEEvT1_.num_named_barrier, 0
	.set _ZN7rocprim17ROCPRIM_400000_NS6detail17trampoline_kernelINS0_14default_configENS1_25partition_config_selectorILNS1_17partition_subalgoE9EllbEEZZNS1_14partition_implILS5_9ELb0ES3_jPlS8_PNS0_10empty_typeENS0_5tupleIJS8_S9_EEENSB_IJS8_SA_EEENS0_18inequality_wrapperIZN2at6native12_GLOBAL__N_124unique_dim_cuda_templateIlEESt5tupleIJNSF_6TensorESK_SK_EERKSK_lbbbEUlllE0_EEPmJS9_EEE10hipError_tPvRmT3_T4_T5_T6_T7_T9_mT8_P12ihipStream_tbDpT10_ENKUlT_T0_E_clISt17integral_constantIbLb1EES19_IbLb0EEEEDaS15_S16_EUlS15_E_NS1_11comp_targetILNS1_3genE5ELNS1_11target_archE942ELNS1_3gpuE9ELNS1_3repE0EEENS1_30default_config_static_selectorELNS0_4arch9wavefront6targetE0EEEvT1_.private_seg_size, 0
	.set _ZN7rocprim17ROCPRIM_400000_NS6detail17trampoline_kernelINS0_14default_configENS1_25partition_config_selectorILNS1_17partition_subalgoE9EllbEEZZNS1_14partition_implILS5_9ELb0ES3_jPlS8_PNS0_10empty_typeENS0_5tupleIJS8_S9_EEENSB_IJS8_SA_EEENS0_18inequality_wrapperIZN2at6native12_GLOBAL__N_124unique_dim_cuda_templateIlEESt5tupleIJNSF_6TensorESK_SK_EERKSK_lbbbEUlllE0_EEPmJS9_EEE10hipError_tPvRmT3_T4_T5_T6_T7_T9_mT8_P12ihipStream_tbDpT10_ENKUlT_T0_E_clISt17integral_constantIbLb1EES19_IbLb0EEEEDaS15_S16_EUlS15_E_NS1_11comp_targetILNS1_3genE5ELNS1_11target_archE942ELNS1_3gpuE9ELNS1_3repE0EEENS1_30default_config_static_selectorELNS0_4arch9wavefront6targetE0EEEvT1_.uses_vcc, 0
	.set _ZN7rocprim17ROCPRIM_400000_NS6detail17trampoline_kernelINS0_14default_configENS1_25partition_config_selectorILNS1_17partition_subalgoE9EllbEEZZNS1_14partition_implILS5_9ELb0ES3_jPlS8_PNS0_10empty_typeENS0_5tupleIJS8_S9_EEENSB_IJS8_SA_EEENS0_18inequality_wrapperIZN2at6native12_GLOBAL__N_124unique_dim_cuda_templateIlEESt5tupleIJNSF_6TensorESK_SK_EERKSK_lbbbEUlllE0_EEPmJS9_EEE10hipError_tPvRmT3_T4_T5_T6_T7_T9_mT8_P12ihipStream_tbDpT10_ENKUlT_T0_E_clISt17integral_constantIbLb1EES19_IbLb0EEEEDaS15_S16_EUlS15_E_NS1_11comp_targetILNS1_3genE5ELNS1_11target_archE942ELNS1_3gpuE9ELNS1_3repE0EEENS1_30default_config_static_selectorELNS0_4arch9wavefront6targetE0EEEvT1_.uses_flat_scratch, 0
	.set _ZN7rocprim17ROCPRIM_400000_NS6detail17trampoline_kernelINS0_14default_configENS1_25partition_config_selectorILNS1_17partition_subalgoE9EllbEEZZNS1_14partition_implILS5_9ELb0ES3_jPlS8_PNS0_10empty_typeENS0_5tupleIJS8_S9_EEENSB_IJS8_SA_EEENS0_18inequality_wrapperIZN2at6native12_GLOBAL__N_124unique_dim_cuda_templateIlEESt5tupleIJNSF_6TensorESK_SK_EERKSK_lbbbEUlllE0_EEPmJS9_EEE10hipError_tPvRmT3_T4_T5_T6_T7_T9_mT8_P12ihipStream_tbDpT10_ENKUlT_T0_E_clISt17integral_constantIbLb1EES19_IbLb0EEEEDaS15_S16_EUlS15_E_NS1_11comp_targetILNS1_3genE5ELNS1_11target_archE942ELNS1_3gpuE9ELNS1_3repE0EEENS1_30default_config_static_selectorELNS0_4arch9wavefront6targetE0EEEvT1_.has_dyn_sized_stack, 0
	.set _ZN7rocprim17ROCPRIM_400000_NS6detail17trampoline_kernelINS0_14default_configENS1_25partition_config_selectorILNS1_17partition_subalgoE9EllbEEZZNS1_14partition_implILS5_9ELb0ES3_jPlS8_PNS0_10empty_typeENS0_5tupleIJS8_S9_EEENSB_IJS8_SA_EEENS0_18inequality_wrapperIZN2at6native12_GLOBAL__N_124unique_dim_cuda_templateIlEESt5tupleIJNSF_6TensorESK_SK_EERKSK_lbbbEUlllE0_EEPmJS9_EEE10hipError_tPvRmT3_T4_T5_T6_T7_T9_mT8_P12ihipStream_tbDpT10_ENKUlT_T0_E_clISt17integral_constantIbLb1EES19_IbLb0EEEEDaS15_S16_EUlS15_E_NS1_11comp_targetILNS1_3genE5ELNS1_11target_archE942ELNS1_3gpuE9ELNS1_3repE0EEENS1_30default_config_static_selectorELNS0_4arch9wavefront6targetE0EEEvT1_.has_recursion, 0
	.set _ZN7rocprim17ROCPRIM_400000_NS6detail17trampoline_kernelINS0_14default_configENS1_25partition_config_selectorILNS1_17partition_subalgoE9EllbEEZZNS1_14partition_implILS5_9ELb0ES3_jPlS8_PNS0_10empty_typeENS0_5tupleIJS8_S9_EEENSB_IJS8_SA_EEENS0_18inequality_wrapperIZN2at6native12_GLOBAL__N_124unique_dim_cuda_templateIlEESt5tupleIJNSF_6TensorESK_SK_EERKSK_lbbbEUlllE0_EEPmJS9_EEE10hipError_tPvRmT3_T4_T5_T6_T7_T9_mT8_P12ihipStream_tbDpT10_ENKUlT_T0_E_clISt17integral_constantIbLb1EES19_IbLb0EEEEDaS15_S16_EUlS15_E_NS1_11comp_targetILNS1_3genE5ELNS1_11target_archE942ELNS1_3gpuE9ELNS1_3repE0EEENS1_30default_config_static_selectorELNS0_4arch9wavefront6targetE0EEEvT1_.has_indirect_call, 0
	.section	.AMDGPU.csdata,"",@progbits
; Kernel info:
; codeLenInByte = 0
; TotalNumSgprs: 0
; NumVgprs: 0
; ScratchSize: 0
; MemoryBound: 0
; FloatMode: 240
; IeeeMode: 1
; LDSByteSize: 0 bytes/workgroup (compile time only)
; SGPRBlocks: 0
; VGPRBlocks: 0
; NumSGPRsForWavesPerEU: 1
; NumVGPRsForWavesPerEU: 1
; NamedBarCnt: 0
; Occupancy: 16
; WaveLimiterHint : 0
; COMPUTE_PGM_RSRC2:SCRATCH_EN: 0
; COMPUTE_PGM_RSRC2:USER_SGPR: 2
; COMPUTE_PGM_RSRC2:TRAP_HANDLER: 0
; COMPUTE_PGM_RSRC2:TGID_X_EN: 1
; COMPUTE_PGM_RSRC2:TGID_Y_EN: 0
; COMPUTE_PGM_RSRC2:TGID_Z_EN: 0
; COMPUTE_PGM_RSRC2:TIDIG_COMP_CNT: 0
	.section	.text._ZN7rocprim17ROCPRIM_400000_NS6detail17trampoline_kernelINS0_14default_configENS1_25partition_config_selectorILNS1_17partition_subalgoE9EllbEEZZNS1_14partition_implILS5_9ELb0ES3_jPlS8_PNS0_10empty_typeENS0_5tupleIJS8_S9_EEENSB_IJS8_SA_EEENS0_18inequality_wrapperIZN2at6native12_GLOBAL__N_124unique_dim_cuda_templateIlEESt5tupleIJNSF_6TensorESK_SK_EERKSK_lbbbEUlllE0_EEPmJS9_EEE10hipError_tPvRmT3_T4_T5_T6_T7_T9_mT8_P12ihipStream_tbDpT10_ENKUlT_T0_E_clISt17integral_constantIbLb1EES19_IbLb0EEEEDaS15_S16_EUlS15_E_NS1_11comp_targetILNS1_3genE4ELNS1_11target_archE910ELNS1_3gpuE8ELNS1_3repE0EEENS1_30default_config_static_selectorELNS0_4arch9wavefront6targetE0EEEvT1_,"axG",@progbits,_ZN7rocprim17ROCPRIM_400000_NS6detail17trampoline_kernelINS0_14default_configENS1_25partition_config_selectorILNS1_17partition_subalgoE9EllbEEZZNS1_14partition_implILS5_9ELb0ES3_jPlS8_PNS0_10empty_typeENS0_5tupleIJS8_S9_EEENSB_IJS8_SA_EEENS0_18inequality_wrapperIZN2at6native12_GLOBAL__N_124unique_dim_cuda_templateIlEESt5tupleIJNSF_6TensorESK_SK_EERKSK_lbbbEUlllE0_EEPmJS9_EEE10hipError_tPvRmT3_T4_T5_T6_T7_T9_mT8_P12ihipStream_tbDpT10_ENKUlT_T0_E_clISt17integral_constantIbLb1EES19_IbLb0EEEEDaS15_S16_EUlS15_E_NS1_11comp_targetILNS1_3genE4ELNS1_11target_archE910ELNS1_3gpuE8ELNS1_3repE0EEENS1_30default_config_static_selectorELNS0_4arch9wavefront6targetE0EEEvT1_,comdat
	.globl	_ZN7rocprim17ROCPRIM_400000_NS6detail17trampoline_kernelINS0_14default_configENS1_25partition_config_selectorILNS1_17partition_subalgoE9EllbEEZZNS1_14partition_implILS5_9ELb0ES3_jPlS8_PNS0_10empty_typeENS0_5tupleIJS8_S9_EEENSB_IJS8_SA_EEENS0_18inequality_wrapperIZN2at6native12_GLOBAL__N_124unique_dim_cuda_templateIlEESt5tupleIJNSF_6TensorESK_SK_EERKSK_lbbbEUlllE0_EEPmJS9_EEE10hipError_tPvRmT3_T4_T5_T6_T7_T9_mT8_P12ihipStream_tbDpT10_ENKUlT_T0_E_clISt17integral_constantIbLb1EES19_IbLb0EEEEDaS15_S16_EUlS15_E_NS1_11comp_targetILNS1_3genE4ELNS1_11target_archE910ELNS1_3gpuE8ELNS1_3repE0EEENS1_30default_config_static_selectorELNS0_4arch9wavefront6targetE0EEEvT1_ ; -- Begin function _ZN7rocprim17ROCPRIM_400000_NS6detail17trampoline_kernelINS0_14default_configENS1_25partition_config_selectorILNS1_17partition_subalgoE9EllbEEZZNS1_14partition_implILS5_9ELb0ES3_jPlS8_PNS0_10empty_typeENS0_5tupleIJS8_S9_EEENSB_IJS8_SA_EEENS0_18inequality_wrapperIZN2at6native12_GLOBAL__N_124unique_dim_cuda_templateIlEESt5tupleIJNSF_6TensorESK_SK_EERKSK_lbbbEUlllE0_EEPmJS9_EEE10hipError_tPvRmT3_T4_T5_T6_T7_T9_mT8_P12ihipStream_tbDpT10_ENKUlT_T0_E_clISt17integral_constantIbLb1EES19_IbLb0EEEEDaS15_S16_EUlS15_E_NS1_11comp_targetILNS1_3genE4ELNS1_11target_archE910ELNS1_3gpuE8ELNS1_3repE0EEENS1_30default_config_static_selectorELNS0_4arch9wavefront6targetE0EEEvT1_
	.p2align	8
	.type	_ZN7rocprim17ROCPRIM_400000_NS6detail17trampoline_kernelINS0_14default_configENS1_25partition_config_selectorILNS1_17partition_subalgoE9EllbEEZZNS1_14partition_implILS5_9ELb0ES3_jPlS8_PNS0_10empty_typeENS0_5tupleIJS8_S9_EEENSB_IJS8_SA_EEENS0_18inequality_wrapperIZN2at6native12_GLOBAL__N_124unique_dim_cuda_templateIlEESt5tupleIJNSF_6TensorESK_SK_EERKSK_lbbbEUlllE0_EEPmJS9_EEE10hipError_tPvRmT3_T4_T5_T6_T7_T9_mT8_P12ihipStream_tbDpT10_ENKUlT_T0_E_clISt17integral_constantIbLb1EES19_IbLb0EEEEDaS15_S16_EUlS15_E_NS1_11comp_targetILNS1_3genE4ELNS1_11target_archE910ELNS1_3gpuE8ELNS1_3repE0EEENS1_30default_config_static_selectorELNS0_4arch9wavefront6targetE0EEEvT1_,@function
_ZN7rocprim17ROCPRIM_400000_NS6detail17trampoline_kernelINS0_14default_configENS1_25partition_config_selectorILNS1_17partition_subalgoE9EllbEEZZNS1_14partition_implILS5_9ELb0ES3_jPlS8_PNS0_10empty_typeENS0_5tupleIJS8_S9_EEENSB_IJS8_SA_EEENS0_18inequality_wrapperIZN2at6native12_GLOBAL__N_124unique_dim_cuda_templateIlEESt5tupleIJNSF_6TensorESK_SK_EERKSK_lbbbEUlllE0_EEPmJS9_EEE10hipError_tPvRmT3_T4_T5_T6_T7_T9_mT8_P12ihipStream_tbDpT10_ENKUlT_T0_E_clISt17integral_constantIbLb1EES19_IbLb0EEEEDaS15_S16_EUlS15_E_NS1_11comp_targetILNS1_3genE4ELNS1_11target_archE910ELNS1_3gpuE8ELNS1_3repE0EEENS1_30default_config_static_selectorELNS0_4arch9wavefront6targetE0EEEvT1_: ; @_ZN7rocprim17ROCPRIM_400000_NS6detail17trampoline_kernelINS0_14default_configENS1_25partition_config_selectorILNS1_17partition_subalgoE9EllbEEZZNS1_14partition_implILS5_9ELb0ES3_jPlS8_PNS0_10empty_typeENS0_5tupleIJS8_S9_EEENSB_IJS8_SA_EEENS0_18inequality_wrapperIZN2at6native12_GLOBAL__N_124unique_dim_cuda_templateIlEESt5tupleIJNSF_6TensorESK_SK_EERKSK_lbbbEUlllE0_EEPmJS9_EEE10hipError_tPvRmT3_T4_T5_T6_T7_T9_mT8_P12ihipStream_tbDpT10_ENKUlT_T0_E_clISt17integral_constantIbLb1EES19_IbLb0EEEEDaS15_S16_EUlS15_E_NS1_11comp_targetILNS1_3genE4ELNS1_11target_archE910ELNS1_3gpuE8ELNS1_3repE0EEENS1_30default_config_static_selectorELNS0_4arch9wavefront6targetE0EEEvT1_
; %bb.0:
	.section	.rodata,"a",@progbits
	.p2align	6, 0x0
	.amdhsa_kernel _ZN7rocprim17ROCPRIM_400000_NS6detail17trampoline_kernelINS0_14default_configENS1_25partition_config_selectorILNS1_17partition_subalgoE9EllbEEZZNS1_14partition_implILS5_9ELb0ES3_jPlS8_PNS0_10empty_typeENS0_5tupleIJS8_S9_EEENSB_IJS8_SA_EEENS0_18inequality_wrapperIZN2at6native12_GLOBAL__N_124unique_dim_cuda_templateIlEESt5tupleIJNSF_6TensorESK_SK_EERKSK_lbbbEUlllE0_EEPmJS9_EEE10hipError_tPvRmT3_T4_T5_T6_T7_T9_mT8_P12ihipStream_tbDpT10_ENKUlT_T0_E_clISt17integral_constantIbLb1EES19_IbLb0EEEEDaS15_S16_EUlS15_E_NS1_11comp_targetILNS1_3genE4ELNS1_11target_archE910ELNS1_3gpuE8ELNS1_3repE0EEENS1_30default_config_static_selectorELNS0_4arch9wavefront6targetE0EEEvT1_
		.amdhsa_group_segment_fixed_size 0
		.amdhsa_private_segment_fixed_size 0
		.amdhsa_kernarg_size 120
		.amdhsa_user_sgpr_count 2
		.amdhsa_user_sgpr_dispatch_ptr 0
		.amdhsa_user_sgpr_queue_ptr 0
		.amdhsa_user_sgpr_kernarg_segment_ptr 1
		.amdhsa_user_sgpr_dispatch_id 0
		.amdhsa_user_sgpr_kernarg_preload_length 0
		.amdhsa_user_sgpr_kernarg_preload_offset 0
		.amdhsa_user_sgpr_private_segment_size 0
		.amdhsa_wavefront_size32 1
		.amdhsa_uses_dynamic_stack 0
		.amdhsa_enable_private_segment 0
		.amdhsa_system_sgpr_workgroup_id_x 1
		.amdhsa_system_sgpr_workgroup_id_y 0
		.amdhsa_system_sgpr_workgroup_id_z 0
		.amdhsa_system_sgpr_workgroup_info 0
		.amdhsa_system_vgpr_workitem_id 0
		.amdhsa_next_free_vgpr 1
		.amdhsa_next_free_sgpr 1
		.amdhsa_named_barrier_count 0
		.amdhsa_reserve_vcc 0
		.amdhsa_float_round_mode_32 0
		.amdhsa_float_round_mode_16_64 0
		.amdhsa_float_denorm_mode_32 3
		.amdhsa_float_denorm_mode_16_64 3
		.amdhsa_fp16_overflow 0
		.amdhsa_memory_ordered 1
		.amdhsa_forward_progress 1
		.amdhsa_inst_pref_size 0
		.amdhsa_round_robin_scheduling 0
		.amdhsa_exception_fp_ieee_invalid_op 0
		.amdhsa_exception_fp_denorm_src 0
		.amdhsa_exception_fp_ieee_div_zero 0
		.amdhsa_exception_fp_ieee_overflow 0
		.amdhsa_exception_fp_ieee_underflow 0
		.amdhsa_exception_fp_ieee_inexact 0
		.amdhsa_exception_int_div_zero 0
	.end_amdhsa_kernel
	.section	.text._ZN7rocprim17ROCPRIM_400000_NS6detail17trampoline_kernelINS0_14default_configENS1_25partition_config_selectorILNS1_17partition_subalgoE9EllbEEZZNS1_14partition_implILS5_9ELb0ES3_jPlS8_PNS0_10empty_typeENS0_5tupleIJS8_S9_EEENSB_IJS8_SA_EEENS0_18inequality_wrapperIZN2at6native12_GLOBAL__N_124unique_dim_cuda_templateIlEESt5tupleIJNSF_6TensorESK_SK_EERKSK_lbbbEUlllE0_EEPmJS9_EEE10hipError_tPvRmT3_T4_T5_T6_T7_T9_mT8_P12ihipStream_tbDpT10_ENKUlT_T0_E_clISt17integral_constantIbLb1EES19_IbLb0EEEEDaS15_S16_EUlS15_E_NS1_11comp_targetILNS1_3genE4ELNS1_11target_archE910ELNS1_3gpuE8ELNS1_3repE0EEENS1_30default_config_static_selectorELNS0_4arch9wavefront6targetE0EEEvT1_,"axG",@progbits,_ZN7rocprim17ROCPRIM_400000_NS6detail17trampoline_kernelINS0_14default_configENS1_25partition_config_selectorILNS1_17partition_subalgoE9EllbEEZZNS1_14partition_implILS5_9ELb0ES3_jPlS8_PNS0_10empty_typeENS0_5tupleIJS8_S9_EEENSB_IJS8_SA_EEENS0_18inequality_wrapperIZN2at6native12_GLOBAL__N_124unique_dim_cuda_templateIlEESt5tupleIJNSF_6TensorESK_SK_EERKSK_lbbbEUlllE0_EEPmJS9_EEE10hipError_tPvRmT3_T4_T5_T6_T7_T9_mT8_P12ihipStream_tbDpT10_ENKUlT_T0_E_clISt17integral_constantIbLb1EES19_IbLb0EEEEDaS15_S16_EUlS15_E_NS1_11comp_targetILNS1_3genE4ELNS1_11target_archE910ELNS1_3gpuE8ELNS1_3repE0EEENS1_30default_config_static_selectorELNS0_4arch9wavefront6targetE0EEEvT1_,comdat
.Lfunc_end613:
	.size	_ZN7rocprim17ROCPRIM_400000_NS6detail17trampoline_kernelINS0_14default_configENS1_25partition_config_selectorILNS1_17partition_subalgoE9EllbEEZZNS1_14partition_implILS5_9ELb0ES3_jPlS8_PNS0_10empty_typeENS0_5tupleIJS8_S9_EEENSB_IJS8_SA_EEENS0_18inequality_wrapperIZN2at6native12_GLOBAL__N_124unique_dim_cuda_templateIlEESt5tupleIJNSF_6TensorESK_SK_EERKSK_lbbbEUlllE0_EEPmJS9_EEE10hipError_tPvRmT3_T4_T5_T6_T7_T9_mT8_P12ihipStream_tbDpT10_ENKUlT_T0_E_clISt17integral_constantIbLb1EES19_IbLb0EEEEDaS15_S16_EUlS15_E_NS1_11comp_targetILNS1_3genE4ELNS1_11target_archE910ELNS1_3gpuE8ELNS1_3repE0EEENS1_30default_config_static_selectorELNS0_4arch9wavefront6targetE0EEEvT1_, .Lfunc_end613-_ZN7rocprim17ROCPRIM_400000_NS6detail17trampoline_kernelINS0_14default_configENS1_25partition_config_selectorILNS1_17partition_subalgoE9EllbEEZZNS1_14partition_implILS5_9ELb0ES3_jPlS8_PNS0_10empty_typeENS0_5tupleIJS8_S9_EEENSB_IJS8_SA_EEENS0_18inequality_wrapperIZN2at6native12_GLOBAL__N_124unique_dim_cuda_templateIlEESt5tupleIJNSF_6TensorESK_SK_EERKSK_lbbbEUlllE0_EEPmJS9_EEE10hipError_tPvRmT3_T4_T5_T6_T7_T9_mT8_P12ihipStream_tbDpT10_ENKUlT_T0_E_clISt17integral_constantIbLb1EES19_IbLb0EEEEDaS15_S16_EUlS15_E_NS1_11comp_targetILNS1_3genE4ELNS1_11target_archE910ELNS1_3gpuE8ELNS1_3repE0EEENS1_30default_config_static_selectorELNS0_4arch9wavefront6targetE0EEEvT1_
                                        ; -- End function
	.set _ZN7rocprim17ROCPRIM_400000_NS6detail17trampoline_kernelINS0_14default_configENS1_25partition_config_selectorILNS1_17partition_subalgoE9EllbEEZZNS1_14partition_implILS5_9ELb0ES3_jPlS8_PNS0_10empty_typeENS0_5tupleIJS8_S9_EEENSB_IJS8_SA_EEENS0_18inequality_wrapperIZN2at6native12_GLOBAL__N_124unique_dim_cuda_templateIlEESt5tupleIJNSF_6TensorESK_SK_EERKSK_lbbbEUlllE0_EEPmJS9_EEE10hipError_tPvRmT3_T4_T5_T6_T7_T9_mT8_P12ihipStream_tbDpT10_ENKUlT_T0_E_clISt17integral_constantIbLb1EES19_IbLb0EEEEDaS15_S16_EUlS15_E_NS1_11comp_targetILNS1_3genE4ELNS1_11target_archE910ELNS1_3gpuE8ELNS1_3repE0EEENS1_30default_config_static_selectorELNS0_4arch9wavefront6targetE0EEEvT1_.num_vgpr, 0
	.set _ZN7rocprim17ROCPRIM_400000_NS6detail17trampoline_kernelINS0_14default_configENS1_25partition_config_selectorILNS1_17partition_subalgoE9EllbEEZZNS1_14partition_implILS5_9ELb0ES3_jPlS8_PNS0_10empty_typeENS0_5tupleIJS8_S9_EEENSB_IJS8_SA_EEENS0_18inequality_wrapperIZN2at6native12_GLOBAL__N_124unique_dim_cuda_templateIlEESt5tupleIJNSF_6TensorESK_SK_EERKSK_lbbbEUlllE0_EEPmJS9_EEE10hipError_tPvRmT3_T4_T5_T6_T7_T9_mT8_P12ihipStream_tbDpT10_ENKUlT_T0_E_clISt17integral_constantIbLb1EES19_IbLb0EEEEDaS15_S16_EUlS15_E_NS1_11comp_targetILNS1_3genE4ELNS1_11target_archE910ELNS1_3gpuE8ELNS1_3repE0EEENS1_30default_config_static_selectorELNS0_4arch9wavefront6targetE0EEEvT1_.num_agpr, 0
	.set _ZN7rocprim17ROCPRIM_400000_NS6detail17trampoline_kernelINS0_14default_configENS1_25partition_config_selectorILNS1_17partition_subalgoE9EllbEEZZNS1_14partition_implILS5_9ELb0ES3_jPlS8_PNS0_10empty_typeENS0_5tupleIJS8_S9_EEENSB_IJS8_SA_EEENS0_18inequality_wrapperIZN2at6native12_GLOBAL__N_124unique_dim_cuda_templateIlEESt5tupleIJNSF_6TensorESK_SK_EERKSK_lbbbEUlllE0_EEPmJS9_EEE10hipError_tPvRmT3_T4_T5_T6_T7_T9_mT8_P12ihipStream_tbDpT10_ENKUlT_T0_E_clISt17integral_constantIbLb1EES19_IbLb0EEEEDaS15_S16_EUlS15_E_NS1_11comp_targetILNS1_3genE4ELNS1_11target_archE910ELNS1_3gpuE8ELNS1_3repE0EEENS1_30default_config_static_selectorELNS0_4arch9wavefront6targetE0EEEvT1_.numbered_sgpr, 0
	.set _ZN7rocprim17ROCPRIM_400000_NS6detail17trampoline_kernelINS0_14default_configENS1_25partition_config_selectorILNS1_17partition_subalgoE9EllbEEZZNS1_14partition_implILS5_9ELb0ES3_jPlS8_PNS0_10empty_typeENS0_5tupleIJS8_S9_EEENSB_IJS8_SA_EEENS0_18inequality_wrapperIZN2at6native12_GLOBAL__N_124unique_dim_cuda_templateIlEESt5tupleIJNSF_6TensorESK_SK_EERKSK_lbbbEUlllE0_EEPmJS9_EEE10hipError_tPvRmT3_T4_T5_T6_T7_T9_mT8_P12ihipStream_tbDpT10_ENKUlT_T0_E_clISt17integral_constantIbLb1EES19_IbLb0EEEEDaS15_S16_EUlS15_E_NS1_11comp_targetILNS1_3genE4ELNS1_11target_archE910ELNS1_3gpuE8ELNS1_3repE0EEENS1_30default_config_static_selectorELNS0_4arch9wavefront6targetE0EEEvT1_.num_named_barrier, 0
	.set _ZN7rocprim17ROCPRIM_400000_NS6detail17trampoline_kernelINS0_14default_configENS1_25partition_config_selectorILNS1_17partition_subalgoE9EllbEEZZNS1_14partition_implILS5_9ELb0ES3_jPlS8_PNS0_10empty_typeENS0_5tupleIJS8_S9_EEENSB_IJS8_SA_EEENS0_18inequality_wrapperIZN2at6native12_GLOBAL__N_124unique_dim_cuda_templateIlEESt5tupleIJNSF_6TensorESK_SK_EERKSK_lbbbEUlllE0_EEPmJS9_EEE10hipError_tPvRmT3_T4_T5_T6_T7_T9_mT8_P12ihipStream_tbDpT10_ENKUlT_T0_E_clISt17integral_constantIbLb1EES19_IbLb0EEEEDaS15_S16_EUlS15_E_NS1_11comp_targetILNS1_3genE4ELNS1_11target_archE910ELNS1_3gpuE8ELNS1_3repE0EEENS1_30default_config_static_selectorELNS0_4arch9wavefront6targetE0EEEvT1_.private_seg_size, 0
	.set _ZN7rocprim17ROCPRIM_400000_NS6detail17trampoline_kernelINS0_14default_configENS1_25partition_config_selectorILNS1_17partition_subalgoE9EllbEEZZNS1_14partition_implILS5_9ELb0ES3_jPlS8_PNS0_10empty_typeENS0_5tupleIJS8_S9_EEENSB_IJS8_SA_EEENS0_18inequality_wrapperIZN2at6native12_GLOBAL__N_124unique_dim_cuda_templateIlEESt5tupleIJNSF_6TensorESK_SK_EERKSK_lbbbEUlllE0_EEPmJS9_EEE10hipError_tPvRmT3_T4_T5_T6_T7_T9_mT8_P12ihipStream_tbDpT10_ENKUlT_T0_E_clISt17integral_constantIbLb1EES19_IbLb0EEEEDaS15_S16_EUlS15_E_NS1_11comp_targetILNS1_3genE4ELNS1_11target_archE910ELNS1_3gpuE8ELNS1_3repE0EEENS1_30default_config_static_selectorELNS0_4arch9wavefront6targetE0EEEvT1_.uses_vcc, 0
	.set _ZN7rocprim17ROCPRIM_400000_NS6detail17trampoline_kernelINS0_14default_configENS1_25partition_config_selectorILNS1_17partition_subalgoE9EllbEEZZNS1_14partition_implILS5_9ELb0ES3_jPlS8_PNS0_10empty_typeENS0_5tupleIJS8_S9_EEENSB_IJS8_SA_EEENS0_18inequality_wrapperIZN2at6native12_GLOBAL__N_124unique_dim_cuda_templateIlEESt5tupleIJNSF_6TensorESK_SK_EERKSK_lbbbEUlllE0_EEPmJS9_EEE10hipError_tPvRmT3_T4_T5_T6_T7_T9_mT8_P12ihipStream_tbDpT10_ENKUlT_T0_E_clISt17integral_constantIbLb1EES19_IbLb0EEEEDaS15_S16_EUlS15_E_NS1_11comp_targetILNS1_3genE4ELNS1_11target_archE910ELNS1_3gpuE8ELNS1_3repE0EEENS1_30default_config_static_selectorELNS0_4arch9wavefront6targetE0EEEvT1_.uses_flat_scratch, 0
	.set _ZN7rocprim17ROCPRIM_400000_NS6detail17trampoline_kernelINS0_14default_configENS1_25partition_config_selectorILNS1_17partition_subalgoE9EllbEEZZNS1_14partition_implILS5_9ELb0ES3_jPlS8_PNS0_10empty_typeENS0_5tupleIJS8_S9_EEENSB_IJS8_SA_EEENS0_18inequality_wrapperIZN2at6native12_GLOBAL__N_124unique_dim_cuda_templateIlEESt5tupleIJNSF_6TensorESK_SK_EERKSK_lbbbEUlllE0_EEPmJS9_EEE10hipError_tPvRmT3_T4_T5_T6_T7_T9_mT8_P12ihipStream_tbDpT10_ENKUlT_T0_E_clISt17integral_constantIbLb1EES19_IbLb0EEEEDaS15_S16_EUlS15_E_NS1_11comp_targetILNS1_3genE4ELNS1_11target_archE910ELNS1_3gpuE8ELNS1_3repE0EEENS1_30default_config_static_selectorELNS0_4arch9wavefront6targetE0EEEvT1_.has_dyn_sized_stack, 0
	.set _ZN7rocprim17ROCPRIM_400000_NS6detail17trampoline_kernelINS0_14default_configENS1_25partition_config_selectorILNS1_17partition_subalgoE9EllbEEZZNS1_14partition_implILS5_9ELb0ES3_jPlS8_PNS0_10empty_typeENS0_5tupleIJS8_S9_EEENSB_IJS8_SA_EEENS0_18inequality_wrapperIZN2at6native12_GLOBAL__N_124unique_dim_cuda_templateIlEESt5tupleIJNSF_6TensorESK_SK_EERKSK_lbbbEUlllE0_EEPmJS9_EEE10hipError_tPvRmT3_T4_T5_T6_T7_T9_mT8_P12ihipStream_tbDpT10_ENKUlT_T0_E_clISt17integral_constantIbLb1EES19_IbLb0EEEEDaS15_S16_EUlS15_E_NS1_11comp_targetILNS1_3genE4ELNS1_11target_archE910ELNS1_3gpuE8ELNS1_3repE0EEENS1_30default_config_static_selectorELNS0_4arch9wavefront6targetE0EEEvT1_.has_recursion, 0
	.set _ZN7rocprim17ROCPRIM_400000_NS6detail17trampoline_kernelINS0_14default_configENS1_25partition_config_selectorILNS1_17partition_subalgoE9EllbEEZZNS1_14partition_implILS5_9ELb0ES3_jPlS8_PNS0_10empty_typeENS0_5tupleIJS8_S9_EEENSB_IJS8_SA_EEENS0_18inequality_wrapperIZN2at6native12_GLOBAL__N_124unique_dim_cuda_templateIlEESt5tupleIJNSF_6TensorESK_SK_EERKSK_lbbbEUlllE0_EEPmJS9_EEE10hipError_tPvRmT3_T4_T5_T6_T7_T9_mT8_P12ihipStream_tbDpT10_ENKUlT_T0_E_clISt17integral_constantIbLb1EES19_IbLb0EEEEDaS15_S16_EUlS15_E_NS1_11comp_targetILNS1_3genE4ELNS1_11target_archE910ELNS1_3gpuE8ELNS1_3repE0EEENS1_30default_config_static_selectorELNS0_4arch9wavefront6targetE0EEEvT1_.has_indirect_call, 0
	.section	.AMDGPU.csdata,"",@progbits
; Kernel info:
; codeLenInByte = 0
; TotalNumSgprs: 0
; NumVgprs: 0
; ScratchSize: 0
; MemoryBound: 0
; FloatMode: 240
; IeeeMode: 1
; LDSByteSize: 0 bytes/workgroup (compile time only)
; SGPRBlocks: 0
; VGPRBlocks: 0
; NumSGPRsForWavesPerEU: 1
; NumVGPRsForWavesPerEU: 1
; NamedBarCnt: 0
; Occupancy: 16
; WaveLimiterHint : 0
; COMPUTE_PGM_RSRC2:SCRATCH_EN: 0
; COMPUTE_PGM_RSRC2:USER_SGPR: 2
; COMPUTE_PGM_RSRC2:TRAP_HANDLER: 0
; COMPUTE_PGM_RSRC2:TGID_X_EN: 1
; COMPUTE_PGM_RSRC2:TGID_Y_EN: 0
; COMPUTE_PGM_RSRC2:TGID_Z_EN: 0
; COMPUTE_PGM_RSRC2:TIDIG_COMP_CNT: 0
	.section	.text._ZN7rocprim17ROCPRIM_400000_NS6detail17trampoline_kernelINS0_14default_configENS1_25partition_config_selectorILNS1_17partition_subalgoE9EllbEEZZNS1_14partition_implILS5_9ELb0ES3_jPlS8_PNS0_10empty_typeENS0_5tupleIJS8_S9_EEENSB_IJS8_SA_EEENS0_18inequality_wrapperIZN2at6native12_GLOBAL__N_124unique_dim_cuda_templateIlEESt5tupleIJNSF_6TensorESK_SK_EERKSK_lbbbEUlllE0_EEPmJS9_EEE10hipError_tPvRmT3_T4_T5_T6_T7_T9_mT8_P12ihipStream_tbDpT10_ENKUlT_T0_E_clISt17integral_constantIbLb1EES19_IbLb0EEEEDaS15_S16_EUlS15_E_NS1_11comp_targetILNS1_3genE3ELNS1_11target_archE908ELNS1_3gpuE7ELNS1_3repE0EEENS1_30default_config_static_selectorELNS0_4arch9wavefront6targetE0EEEvT1_,"axG",@progbits,_ZN7rocprim17ROCPRIM_400000_NS6detail17trampoline_kernelINS0_14default_configENS1_25partition_config_selectorILNS1_17partition_subalgoE9EllbEEZZNS1_14partition_implILS5_9ELb0ES3_jPlS8_PNS0_10empty_typeENS0_5tupleIJS8_S9_EEENSB_IJS8_SA_EEENS0_18inequality_wrapperIZN2at6native12_GLOBAL__N_124unique_dim_cuda_templateIlEESt5tupleIJNSF_6TensorESK_SK_EERKSK_lbbbEUlllE0_EEPmJS9_EEE10hipError_tPvRmT3_T4_T5_T6_T7_T9_mT8_P12ihipStream_tbDpT10_ENKUlT_T0_E_clISt17integral_constantIbLb1EES19_IbLb0EEEEDaS15_S16_EUlS15_E_NS1_11comp_targetILNS1_3genE3ELNS1_11target_archE908ELNS1_3gpuE7ELNS1_3repE0EEENS1_30default_config_static_selectorELNS0_4arch9wavefront6targetE0EEEvT1_,comdat
	.globl	_ZN7rocprim17ROCPRIM_400000_NS6detail17trampoline_kernelINS0_14default_configENS1_25partition_config_selectorILNS1_17partition_subalgoE9EllbEEZZNS1_14partition_implILS5_9ELb0ES3_jPlS8_PNS0_10empty_typeENS0_5tupleIJS8_S9_EEENSB_IJS8_SA_EEENS0_18inequality_wrapperIZN2at6native12_GLOBAL__N_124unique_dim_cuda_templateIlEESt5tupleIJNSF_6TensorESK_SK_EERKSK_lbbbEUlllE0_EEPmJS9_EEE10hipError_tPvRmT3_T4_T5_T6_T7_T9_mT8_P12ihipStream_tbDpT10_ENKUlT_T0_E_clISt17integral_constantIbLb1EES19_IbLb0EEEEDaS15_S16_EUlS15_E_NS1_11comp_targetILNS1_3genE3ELNS1_11target_archE908ELNS1_3gpuE7ELNS1_3repE0EEENS1_30default_config_static_selectorELNS0_4arch9wavefront6targetE0EEEvT1_ ; -- Begin function _ZN7rocprim17ROCPRIM_400000_NS6detail17trampoline_kernelINS0_14default_configENS1_25partition_config_selectorILNS1_17partition_subalgoE9EllbEEZZNS1_14partition_implILS5_9ELb0ES3_jPlS8_PNS0_10empty_typeENS0_5tupleIJS8_S9_EEENSB_IJS8_SA_EEENS0_18inequality_wrapperIZN2at6native12_GLOBAL__N_124unique_dim_cuda_templateIlEESt5tupleIJNSF_6TensorESK_SK_EERKSK_lbbbEUlllE0_EEPmJS9_EEE10hipError_tPvRmT3_T4_T5_T6_T7_T9_mT8_P12ihipStream_tbDpT10_ENKUlT_T0_E_clISt17integral_constantIbLb1EES19_IbLb0EEEEDaS15_S16_EUlS15_E_NS1_11comp_targetILNS1_3genE3ELNS1_11target_archE908ELNS1_3gpuE7ELNS1_3repE0EEENS1_30default_config_static_selectorELNS0_4arch9wavefront6targetE0EEEvT1_
	.p2align	8
	.type	_ZN7rocprim17ROCPRIM_400000_NS6detail17trampoline_kernelINS0_14default_configENS1_25partition_config_selectorILNS1_17partition_subalgoE9EllbEEZZNS1_14partition_implILS5_9ELb0ES3_jPlS8_PNS0_10empty_typeENS0_5tupleIJS8_S9_EEENSB_IJS8_SA_EEENS0_18inequality_wrapperIZN2at6native12_GLOBAL__N_124unique_dim_cuda_templateIlEESt5tupleIJNSF_6TensorESK_SK_EERKSK_lbbbEUlllE0_EEPmJS9_EEE10hipError_tPvRmT3_T4_T5_T6_T7_T9_mT8_P12ihipStream_tbDpT10_ENKUlT_T0_E_clISt17integral_constantIbLb1EES19_IbLb0EEEEDaS15_S16_EUlS15_E_NS1_11comp_targetILNS1_3genE3ELNS1_11target_archE908ELNS1_3gpuE7ELNS1_3repE0EEENS1_30default_config_static_selectorELNS0_4arch9wavefront6targetE0EEEvT1_,@function
_ZN7rocprim17ROCPRIM_400000_NS6detail17trampoline_kernelINS0_14default_configENS1_25partition_config_selectorILNS1_17partition_subalgoE9EllbEEZZNS1_14partition_implILS5_9ELb0ES3_jPlS8_PNS0_10empty_typeENS0_5tupleIJS8_S9_EEENSB_IJS8_SA_EEENS0_18inequality_wrapperIZN2at6native12_GLOBAL__N_124unique_dim_cuda_templateIlEESt5tupleIJNSF_6TensorESK_SK_EERKSK_lbbbEUlllE0_EEPmJS9_EEE10hipError_tPvRmT3_T4_T5_T6_T7_T9_mT8_P12ihipStream_tbDpT10_ENKUlT_T0_E_clISt17integral_constantIbLb1EES19_IbLb0EEEEDaS15_S16_EUlS15_E_NS1_11comp_targetILNS1_3genE3ELNS1_11target_archE908ELNS1_3gpuE7ELNS1_3repE0EEENS1_30default_config_static_selectorELNS0_4arch9wavefront6targetE0EEEvT1_: ; @_ZN7rocprim17ROCPRIM_400000_NS6detail17trampoline_kernelINS0_14default_configENS1_25partition_config_selectorILNS1_17partition_subalgoE9EllbEEZZNS1_14partition_implILS5_9ELb0ES3_jPlS8_PNS0_10empty_typeENS0_5tupleIJS8_S9_EEENSB_IJS8_SA_EEENS0_18inequality_wrapperIZN2at6native12_GLOBAL__N_124unique_dim_cuda_templateIlEESt5tupleIJNSF_6TensorESK_SK_EERKSK_lbbbEUlllE0_EEPmJS9_EEE10hipError_tPvRmT3_T4_T5_T6_T7_T9_mT8_P12ihipStream_tbDpT10_ENKUlT_T0_E_clISt17integral_constantIbLb1EES19_IbLb0EEEEDaS15_S16_EUlS15_E_NS1_11comp_targetILNS1_3genE3ELNS1_11target_archE908ELNS1_3gpuE7ELNS1_3repE0EEENS1_30default_config_static_selectorELNS0_4arch9wavefront6targetE0EEEvT1_
; %bb.0:
	.section	.rodata,"a",@progbits
	.p2align	6, 0x0
	.amdhsa_kernel _ZN7rocprim17ROCPRIM_400000_NS6detail17trampoline_kernelINS0_14default_configENS1_25partition_config_selectorILNS1_17partition_subalgoE9EllbEEZZNS1_14partition_implILS5_9ELb0ES3_jPlS8_PNS0_10empty_typeENS0_5tupleIJS8_S9_EEENSB_IJS8_SA_EEENS0_18inequality_wrapperIZN2at6native12_GLOBAL__N_124unique_dim_cuda_templateIlEESt5tupleIJNSF_6TensorESK_SK_EERKSK_lbbbEUlllE0_EEPmJS9_EEE10hipError_tPvRmT3_T4_T5_T6_T7_T9_mT8_P12ihipStream_tbDpT10_ENKUlT_T0_E_clISt17integral_constantIbLb1EES19_IbLb0EEEEDaS15_S16_EUlS15_E_NS1_11comp_targetILNS1_3genE3ELNS1_11target_archE908ELNS1_3gpuE7ELNS1_3repE0EEENS1_30default_config_static_selectorELNS0_4arch9wavefront6targetE0EEEvT1_
		.amdhsa_group_segment_fixed_size 0
		.amdhsa_private_segment_fixed_size 0
		.amdhsa_kernarg_size 120
		.amdhsa_user_sgpr_count 2
		.amdhsa_user_sgpr_dispatch_ptr 0
		.amdhsa_user_sgpr_queue_ptr 0
		.amdhsa_user_sgpr_kernarg_segment_ptr 1
		.amdhsa_user_sgpr_dispatch_id 0
		.amdhsa_user_sgpr_kernarg_preload_length 0
		.amdhsa_user_sgpr_kernarg_preload_offset 0
		.amdhsa_user_sgpr_private_segment_size 0
		.amdhsa_wavefront_size32 1
		.amdhsa_uses_dynamic_stack 0
		.amdhsa_enable_private_segment 0
		.amdhsa_system_sgpr_workgroup_id_x 1
		.amdhsa_system_sgpr_workgroup_id_y 0
		.amdhsa_system_sgpr_workgroup_id_z 0
		.amdhsa_system_sgpr_workgroup_info 0
		.amdhsa_system_vgpr_workitem_id 0
		.amdhsa_next_free_vgpr 1
		.amdhsa_next_free_sgpr 1
		.amdhsa_named_barrier_count 0
		.amdhsa_reserve_vcc 0
		.amdhsa_float_round_mode_32 0
		.amdhsa_float_round_mode_16_64 0
		.amdhsa_float_denorm_mode_32 3
		.amdhsa_float_denorm_mode_16_64 3
		.amdhsa_fp16_overflow 0
		.amdhsa_memory_ordered 1
		.amdhsa_forward_progress 1
		.amdhsa_inst_pref_size 0
		.amdhsa_round_robin_scheduling 0
		.amdhsa_exception_fp_ieee_invalid_op 0
		.amdhsa_exception_fp_denorm_src 0
		.amdhsa_exception_fp_ieee_div_zero 0
		.amdhsa_exception_fp_ieee_overflow 0
		.amdhsa_exception_fp_ieee_underflow 0
		.amdhsa_exception_fp_ieee_inexact 0
		.amdhsa_exception_int_div_zero 0
	.end_amdhsa_kernel
	.section	.text._ZN7rocprim17ROCPRIM_400000_NS6detail17trampoline_kernelINS0_14default_configENS1_25partition_config_selectorILNS1_17partition_subalgoE9EllbEEZZNS1_14partition_implILS5_9ELb0ES3_jPlS8_PNS0_10empty_typeENS0_5tupleIJS8_S9_EEENSB_IJS8_SA_EEENS0_18inequality_wrapperIZN2at6native12_GLOBAL__N_124unique_dim_cuda_templateIlEESt5tupleIJNSF_6TensorESK_SK_EERKSK_lbbbEUlllE0_EEPmJS9_EEE10hipError_tPvRmT3_T4_T5_T6_T7_T9_mT8_P12ihipStream_tbDpT10_ENKUlT_T0_E_clISt17integral_constantIbLb1EES19_IbLb0EEEEDaS15_S16_EUlS15_E_NS1_11comp_targetILNS1_3genE3ELNS1_11target_archE908ELNS1_3gpuE7ELNS1_3repE0EEENS1_30default_config_static_selectorELNS0_4arch9wavefront6targetE0EEEvT1_,"axG",@progbits,_ZN7rocprim17ROCPRIM_400000_NS6detail17trampoline_kernelINS0_14default_configENS1_25partition_config_selectorILNS1_17partition_subalgoE9EllbEEZZNS1_14partition_implILS5_9ELb0ES3_jPlS8_PNS0_10empty_typeENS0_5tupleIJS8_S9_EEENSB_IJS8_SA_EEENS0_18inequality_wrapperIZN2at6native12_GLOBAL__N_124unique_dim_cuda_templateIlEESt5tupleIJNSF_6TensorESK_SK_EERKSK_lbbbEUlllE0_EEPmJS9_EEE10hipError_tPvRmT3_T4_T5_T6_T7_T9_mT8_P12ihipStream_tbDpT10_ENKUlT_T0_E_clISt17integral_constantIbLb1EES19_IbLb0EEEEDaS15_S16_EUlS15_E_NS1_11comp_targetILNS1_3genE3ELNS1_11target_archE908ELNS1_3gpuE7ELNS1_3repE0EEENS1_30default_config_static_selectorELNS0_4arch9wavefront6targetE0EEEvT1_,comdat
.Lfunc_end614:
	.size	_ZN7rocprim17ROCPRIM_400000_NS6detail17trampoline_kernelINS0_14default_configENS1_25partition_config_selectorILNS1_17partition_subalgoE9EllbEEZZNS1_14partition_implILS5_9ELb0ES3_jPlS8_PNS0_10empty_typeENS0_5tupleIJS8_S9_EEENSB_IJS8_SA_EEENS0_18inequality_wrapperIZN2at6native12_GLOBAL__N_124unique_dim_cuda_templateIlEESt5tupleIJNSF_6TensorESK_SK_EERKSK_lbbbEUlllE0_EEPmJS9_EEE10hipError_tPvRmT3_T4_T5_T6_T7_T9_mT8_P12ihipStream_tbDpT10_ENKUlT_T0_E_clISt17integral_constantIbLb1EES19_IbLb0EEEEDaS15_S16_EUlS15_E_NS1_11comp_targetILNS1_3genE3ELNS1_11target_archE908ELNS1_3gpuE7ELNS1_3repE0EEENS1_30default_config_static_selectorELNS0_4arch9wavefront6targetE0EEEvT1_, .Lfunc_end614-_ZN7rocprim17ROCPRIM_400000_NS6detail17trampoline_kernelINS0_14default_configENS1_25partition_config_selectorILNS1_17partition_subalgoE9EllbEEZZNS1_14partition_implILS5_9ELb0ES3_jPlS8_PNS0_10empty_typeENS0_5tupleIJS8_S9_EEENSB_IJS8_SA_EEENS0_18inequality_wrapperIZN2at6native12_GLOBAL__N_124unique_dim_cuda_templateIlEESt5tupleIJNSF_6TensorESK_SK_EERKSK_lbbbEUlllE0_EEPmJS9_EEE10hipError_tPvRmT3_T4_T5_T6_T7_T9_mT8_P12ihipStream_tbDpT10_ENKUlT_T0_E_clISt17integral_constantIbLb1EES19_IbLb0EEEEDaS15_S16_EUlS15_E_NS1_11comp_targetILNS1_3genE3ELNS1_11target_archE908ELNS1_3gpuE7ELNS1_3repE0EEENS1_30default_config_static_selectorELNS0_4arch9wavefront6targetE0EEEvT1_
                                        ; -- End function
	.set _ZN7rocprim17ROCPRIM_400000_NS6detail17trampoline_kernelINS0_14default_configENS1_25partition_config_selectorILNS1_17partition_subalgoE9EllbEEZZNS1_14partition_implILS5_9ELb0ES3_jPlS8_PNS0_10empty_typeENS0_5tupleIJS8_S9_EEENSB_IJS8_SA_EEENS0_18inequality_wrapperIZN2at6native12_GLOBAL__N_124unique_dim_cuda_templateIlEESt5tupleIJNSF_6TensorESK_SK_EERKSK_lbbbEUlllE0_EEPmJS9_EEE10hipError_tPvRmT3_T4_T5_T6_T7_T9_mT8_P12ihipStream_tbDpT10_ENKUlT_T0_E_clISt17integral_constantIbLb1EES19_IbLb0EEEEDaS15_S16_EUlS15_E_NS1_11comp_targetILNS1_3genE3ELNS1_11target_archE908ELNS1_3gpuE7ELNS1_3repE0EEENS1_30default_config_static_selectorELNS0_4arch9wavefront6targetE0EEEvT1_.num_vgpr, 0
	.set _ZN7rocprim17ROCPRIM_400000_NS6detail17trampoline_kernelINS0_14default_configENS1_25partition_config_selectorILNS1_17partition_subalgoE9EllbEEZZNS1_14partition_implILS5_9ELb0ES3_jPlS8_PNS0_10empty_typeENS0_5tupleIJS8_S9_EEENSB_IJS8_SA_EEENS0_18inequality_wrapperIZN2at6native12_GLOBAL__N_124unique_dim_cuda_templateIlEESt5tupleIJNSF_6TensorESK_SK_EERKSK_lbbbEUlllE0_EEPmJS9_EEE10hipError_tPvRmT3_T4_T5_T6_T7_T9_mT8_P12ihipStream_tbDpT10_ENKUlT_T0_E_clISt17integral_constantIbLb1EES19_IbLb0EEEEDaS15_S16_EUlS15_E_NS1_11comp_targetILNS1_3genE3ELNS1_11target_archE908ELNS1_3gpuE7ELNS1_3repE0EEENS1_30default_config_static_selectorELNS0_4arch9wavefront6targetE0EEEvT1_.num_agpr, 0
	.set _ZN7rocprim17ROCPRIM_400000_NS6detail17trampoline_kernelINS0_14default_configENS1_25partition_config_selectorILNS1_17partition_subalgoE9EllbEEZZNS1_14partition_implILS5_9ELb0ES3_jPlS8_PNS0_10empty_typeENS0_5tupleIJS8_S9_EEENSB_IJS8_SA_EEENS0_18inequality_wrapperIZN2at6native12_GLOBAL__N_124unique_dim_cuda_templateIlEESt5tupleIJNSF_6TensorESK_SK_EERKSK_lbbbEUlllE0_EEPmJS9_EEE10hipError_tPvRmT3_T4_T5_T6_T7_T9_mT8_P12ihipStream_tbDpT10_ENKUlT_T0_E_clISt17integral_constantIbLb1EES19_IbLb0EEEEDaS15_S16_EUlS15_E_NS1_11comp_targetILNS1_3genE3ELNS1_11target_archE908ELNS1_3gpuE7ELNS1_3repE0EEENS1_30default_config_static_selectorELNS0_4arch9wavefront6targetE0EEEvT1_.numbered_sgpr, 0
	.set _ZN7rocprim17ROCPRIM_400000_NS6detail17trampoline_kernelINS0_14default_configENS1_25partition_config_selectorILNS1_17partition_subalgoE9EllbEEZZNS1_14partition_implILS5_9ELb0ES3_jPlS8_PNS0_10empty_typeENS0_5tupleIJS8_S9_EEENSB_IJS8_SA_EEENS0_18inequality_wrapperIZN2at6native12_GLOBAL__N_124unique_dim_cuda_templateIlEESt5tupleIJNSF_6TensorESK_SK_EERKSK_lbbbEUlllE0_EEPmJS9_EEE10hipError_tPvRmT3_T4_T5_T6_T7_T9_mT8_P12ihipStream_tbDpT10_ENKUlT_T0_E_clISt17integral_constantIbLb1EES19_IbLb0EEEEDaS15_S16_EUlS15_E_NS1_11comp_targetILNS1_3genE3ELNS1_11target_archE908ELNS1_3gpuE7ELNS1_3repE0EEENS1_30default_config_static_selectorELNS0_4arch9wavefront6targetE0EEEvT1_.num_named_barrier, 0
	.set _ZN7rocprim17ROCPRIM_400000_NS6detail17trampoline_kernelINS0_14default_configENS1_25partition_config_selectorILNS1_17partition_subalgoE9EllbEEZZNS1_14partition_implILS5_9ELb0ES3_jPlS8_PNS0_10empty_typeENS0_5tupleIJS8_S9_EEENSB_IJS8_SA_EEENS0_18inequality_wrapperIZN2at6native12_GLOBAL__N_124unique_dim_cuda_templateIlEESt5tupleIJNSF_6TensorESK_SK_EERKSK_lbbbEUlllE0_EEPmJS9_EEE10hipError_tPvRmT3_T4_T5_T6_T7_T9_mT8_P12ihipStream_tbDpT10_ENKUlT_T0_E_clISt17integral_constantIbLb1EES19_IbLb0EEEEDaS15_S16_EUlS15_E_NS1_11comp_targetILNS1_3genE3ELNS1_11target_archE908ELNS1_3gpuE7ELNS1_3repE0EEENS1_30default_config_static_selectorELNS0_4arch9wavefront6targetE0EEEvT1_.private_seg_size, 0
	.set _ZN7rocprim17ROCPRIM_400000_NS6detail17trampoline_kernelINS0_14default_configENS1_25partition_config_selectorILNS1_17partition_subalgoE9EllbEEZZNS1_14partition_implILS5_9ELb0ES3_jPlS8_PNS0_10empty_typeENS0_5tupleIJS8_S9_EEENSB_IJS8_SA_EEENS0_18inequality_wrapperIZN2at6native12_GLOBAL__N_124unique_dim_cuda_templateIlEESt5tupleIJNSF_6TensorESK_SK_EERKSK_lbbbEUlllE0_EEPmJS9_EEE10hipError_tPvRmT3_T4_T5_T6_T7_T9_mT8_P12ihipStream_tbDpT10_ENKUlT_T0_E_clISt17integral_constantIbLb1EES19_IbLb0EEEEDaS15_S16_EUlS15_E_NS1_11comp_targetILNS1_3genE3ELNS1_11target_archE908ELNS1_3gpuE7ELNS1_3repE0EEENS1_30default_config_static_selectorELNS0_4arch9wavefront6targetE0EEEvT1_.uses_vcc, 0
	.set _ZN7rocprim17ROCPRIM_400000_NS6detail17trampoline_kernelINS0_14default_configENS1_25partition_config_selectorILNS1_17partition_subalgoE9EllbEEZZNS1_14partition_implILS5_9ELb0ES3_jPlS8_PNS0_10empty_typeENS0_5tupleIJS8_S9_EEENSB_IJS8_SA_EEENS0_18inequality_wrapperIZN2at6native12_GLOBAL__N_124unique_dim_cuda_templateIlEESt5tupleIJNSF_6TensorESK_SK_EERKSK_lbbbEUlllE0_EEPmJS9_EEE10hipError_tPvRmT3_T4_T5_T6_T7_T9_mT8_P12ihipStream_tbDpT10_ENKUlT_T0_E_clISt17integral_constantIbLb1EES19_IbLb0EEEEDaS15_S16_EUlS15_E_NS1_11comp_targetILNS1_3genE3ELNS1_11target_archE908ELNS1_3gpuE7ELNS1_3repE0EEENS1_30default_config_static_selectorELNS0_4arch9wavefront6targetE0EEEvT1_.uses_flat_scratch, 0
	.set _ZN7rocprim17ROCPRIM_400000_NS6detail17trampoline_kernelINS0_14default_configENS1_25partition_config_selectorILNS1_17partition_subalgoE9EllbEEZZNS1_14partition_implILS5_9ELb0ES3_jPlS8_PNS0_10empty_typeENS0_5tupleIJS8_S9_EEENSB_IJS8_SA_EEENS0_18inequality_wrapperIZN2at6native12_GLOBAL__N_124unique_dim_cuda_templateIlEESt5tupleIJNSF_6TensorESK_SK_EERKSK_lbbbEUlllE0_EEPmJS9_EEE10hipError_tPvRmT3_T4_T5_T6_T7_T9_mT8_P12ihipStream_tbDpT10_ENKUlT_T0_E_clISt17integral_constantIbLb1EES19_IbLb0EEEEDaS15_S16_EUlS15_E_NS1_11comp_targetILNS1_3genE3ELNS1_11target_archE908ELNS1_3gpuE7ELNS1_3repE0EEENS1_30default_config_static_selectorELNS0_4arch9wavefront6targetE0EEEvT1_.has_dyn_sized_stack, 0
	.set _ZN7rocprim17ROCPRIM_400000_NS6detail17trampoline_kernelINS0_14default_configENS1_25partition_config_selectorILNS1_17partition_subalgoE9EllbEEZZNS1_14partition_implILS5_9ELb0ES3_jPlS8_PNS0_10empty_typeENS0_5tupleIJS8_S9_EEENSB_IJS8_SA_EEENS0_18inequality_wrapperIZN2at6native12_GLOBAL__N_124unique_dim_cuda_templateIlEESt5tupleIJNSF_6TensorESK_SK_EERKSK_lbbbEUlllE0_EEPmJS9_EEE10hipError_tPvRmT3_T4_T5_T6_T7_T9_mT8_P12ihipStream_tbDpT10_ENKUlT_T0_E_clISt17integral_constantIbLb1EES19_IbLb0EEEEDaS15_S16_EUlS15_E_NS1_11comp_targetILNS1_3genE3ELNS1_11target_archE908ELNS1_3gpuE7ELNS1_3repE0EEENS1_30default_config_static_selectorELNS0_4arch9wavefront6targetE0EEEvT1_.has_recursion, 0
	.set _ZN7rocprim17ROCPRIM_400000_NS6detail17trampoline_kernelINS0_14default_configENS1_25partition_config_selectorILNS1_17partition_subalgoE9EllbEEZZNS1_14partition_implILS5_9ELb0ES3_jPlS8_PNS0_10empty_typeENS0_5tupleIJS8_S9_EEENSB_IJS8_SA_EEENS0_18inequality_wrapperIZN2at6native12_GLOBAL__N_124unique_dim_cuda_templateIlEESt5tupleIJNSF_6TensorESK_SK_EERKSK_lbbbEUlllE0_EEPmJS9_EEE10hipError_tPvRmT3_T4_T5_T6_T7_T9_mT8_P12ihipStream_tbDpT10_ENKUlT_T0_E_clISt17integral_constantIbLb1EES19_IbLb0EEEEDaS15_S16_EUlS15_E_NS1_11comp_targetILNS1_3genE3ELNS1_11target_archE908ELNS1_3gpuE7ELNS1_3repE0EEENS1_30default_config_static_selectorELNS0_4arch9wavefront6targetE0EEEvT1_.has_indirect_call, 0
	.section	.AMDGPU.csdata,"",@progbits
; Kernel info:
; codeLenInByte = 0
; TotalNumSgprs: 0
; NumVgprs: 0
; ScratchSize: 0
; MemoryBound: 0
; FloatMode: 240
; IeeeMode: 1
; LDSByteSize: 0 bytes/workgroup (compile time only)
; SGPRBlocks: 0
; VGPRBlocks: 0
; NumSGPRsForWavesPerEU: 1
; NumVGPRsForWavesPerEU: 1
; NamedBarCnt: 0
; Occupancy: 16
; WaveLimiterHint : 0
; COMPUTE_PGM_RSRC2:SCRATCH_EN: 0
; COMPUTE_PGM_RSRC2:USER_SGPR: 2
; COMPUTE_PGM_RSRC2:TRAP_HANDLER: 0
; COMPUTE_PGM_RSRC2:TGID_X_EN: 1
; COMPUTE_PGM_RSRC2:TGID_Y_EN: 0
; COMPUTE_PGM_RSRC2:TGID_Z_EN: 0
; COMPUTE_PGM_RSRC2:TIDIG_COMP_CNT: 0
	.section	.text._ZN7rocprim17ROCPRIM_400000_NS6detail17trampoline_kernelINS0_14default_configENS1_25partition_config_selectorILNS1_17partition_subalgoE9EllbEEZZNS1_14partition_implILS5_9ELb0ES3_jPlS8_PNS0_10empty_typeENS0_5tupleIJS8_S9_EEENSB_IJS8_SA_EEENS0_18inequality_wrapperIZN2at6native12_GLOBAL__N_124unique_dim_cuda_templateIlEESt5tupleIJNSF_6TensorESK_SK_EERKSK_lbbbEUlllE0_EEPmJS9_EEE10hipError_tPvRmT3_T4_T5_T6_T7_T9_mT8_P12ihipStream_tbDpT10_ENKUlT_T0_E_clISt17integral_constantIbLb1EES19_IbLb0EEEEDaS15_S16_EUlS15_E_NS1_11comp_targetILNS1_3genE2ELNS1_11target_archE906ELNS1_3gpuE6ELNS1_3repE0EEENS1_30default_config_static_selectorELNS0_4arch9wavefront6targetE0EEEvT1_,"axG",@progbits,_ZN7rocprim17ROCPRIM_400000_NS6detail17trampoline_kernelINS0_14default_configENS1_25partition_config_selectorILNS1_17partition_subalgoE9EllbEEZZNS1_14partition_implILS5_9ELb0ES3_jPlS8_PNS0_10empty_typeENS0_5tupleIJS8_S9_EEENSB_IJS8_SA_EEENS0_18inequality_wrapperIZN2at6native12_GLOBAL__N_124unique_dim_cuda_templateIlEESt5tupleIJNSF_6TensorESK_SK_EERKSK_lbbbEUlllE0_EEPmJS9_EEE10hipError_tPvRmT3_T4_T5_T6_T7_T9_mT8_P12ihipStream_tbDpT10_ENKUlT_T0_E_clISt17integral_constantIbLb1EES19_IbLb0EEEEDaS15_S16_EUlS15_E_NS1_11comp_targetILNS1_3genE2ELNS1_11target_archE906ELNS1_3gpuE6ELNS1_3repE0EEENS1_30default_config_static_selectorELNS0_4arch9wavefront6targetE0EEEvT1_,comdat
	.globl	_ZN7rocprim17ROCPRIM_400000_NS6detail17trampoline_kernelINS0_14default_configENS1_25partition_config_selectorILNS1_17partition_subalgoE9EllbEEZZNS1_14partition_implILS5_9ELb0ES3_jPlS8_PNS0_10empty_typeENS0_5tupleIJS8_S9_EEENSB_IJS8_SA_EEENS0_18inequality_wrapperIZN2at6native12_GLOBAL__N_124unique_dim_cuda_templateIlEESt5tupleIJNSF_6TensorESK_SK_EERKSK_lbbbEUlllE0_EEPmJS9_EEE10hipError_tPvRmT3_T4_T5_T6_T7_T9_mT8_P12ihipStream_tbDpT10_ENKUlT_T0_E_clISt17integral_constantIbLb1EES19_IbLb0EEEEDaS15_S16_EUlS15_E_NS1_11comp_targetILNS1_3genE2ELNS1_11target_archE906ELNS1_3gpuE6ELNS1_3repE0EEENS1_30default_config_static_selectorELNS0_4arch9wavefront6targetE0EEEvT1_ ; -- Begin function _ZN7rocprim17ROCPRIM_400000_NS6detail17trampoline_kernelINS0_14default_configENS1_25partition_config_selectorILNS1_17partition_subalgoE9EllbEEZZNS1_14partition_implILS5_9ELb0ES3_jPlS8_PNS0_10empty_typeENS0_5tupleIJS8_S9_EEENSB_IJS8_SA_EEENS0_18inequality_wrapperIZN2at6native12_GLOBAL__N_124unique_dim_cuda_templateIlEESt5tupleIJNSF_6TensorESK_SK_EERKSK_lbbbEUlllE0_EEPmJS9_EEE10hipError_tPvRmT3_T4_T5_T6_T7_T9_mT8_P12ihipStream_tbDpT10_ENKUlT_T0_E_clISt17integral_constantIbLb1EES19_IbLb0EEEEDaS15_S16_EUlS15_E_NS1_11comp_targetILNS1_3genE2ELNS1_11target_archE906ELNS1_3gpuE6ELNS1_3repE0EEENS1_30default_config_static_selectorELNS0_4arch9wavefront6targetE0EEEvT1_
	.p2align	8
	.type	_ZN7rocprim17ROCPRIM_400000_NS6detail17trampoline_kernelINS0_14default_configENS1_25partition_config_selectorILNS1_17partition_subalgoE9EllbEEZZNS1_14partition_implILS5_9ELb0ES3_jPlS8_PNS0_10empty_typeENS0_5tupleIJS8_S9_EEENSB_IJS8_SA_EEENS0_18inequality_wrapperIZN2at6native12_GLOBAL__N_124unique_dim_cuda_templateIlEESt5tupleIJNSF_6TensorESK_SK_EERKSK_lbbbEUlllE0_EEPmJS9_EEE10hipError_tPvRmT3_T4_T5_T6_T7_T9_mT8_P12ihipStream_tbDpT10_ENKUlT_T0_E_clISt17integral_constantIbLb1EES19_IbLb0EEEEDaS15_S16_EUlS15_E_NS1_11comp_targetILNS1_3genE2ELNS1_11target_archE906ELNS1_3gpuE6ELNS1_3repE0EEENS1_30default_config_static_selectorELNS0_4arch9wavefront6targetE0EEEvT1_,@function
_ZN7rocprim17ROCPRIM_400000_NS6detail17trampoline_kernelINS0_14default_configENS1_25partition_config_selectorILNS1_17partition_subalgoE9EllbEEZZNS1_14partition_implILS5_9ELb0ES3_jPlS8_PNS0_10empty_typeENS0_5tupleIJS8_S9_EEENSB_IJS8_SA_EEENS0_18inequality_wrapperIZN2at6native12_GLOBAL__N_124unique_dim_cuda_templateIlEESt5tupleIJNSF_6TensorESK_SK_EERKSK_lbbbEUlllE0_EEPmJS9_EEE10hipError_tPvRmT3_T4_T5_T6_T7_T9_mT8_P12ihipStream_tbDpT10_ENKUlT_T0_E_clISt17integral_constantIbLb1EES19_IbLb0EEEEDaS15_S16_EUlS15_E_NS1_11comp_targetILNS1_3genE2ELNS1_11target_archE906ELNS1_3gpuE6ELNS1_3repE0EEENS1_30default_config_static_selectorELNS0_4arch9wavefront6targetE0EEEvT1_: ; @_ZN7rocprim17ROCPRIM_400000_NS6detail17trampoline_kernelINS0_14default_configENS1_25partition_config_selectorILNS1_17partition_subalgoE9EllbEEZZNS1_14partition_implILS5_9ELb0ES3_jPlS8_PNS0_10empty_typeENS0_5tupleIJS8_S9_EEENSB_IJS8_SA_EEENS0_18inequality_wrapperIZN2at6native12_GLOBAL__N_124unique_dim_cuda_templateIlEESt5tupleIJNSF_6TensorESK_SK_EERKSK_lbbbEUlllE0_EEPmJS9_EEE10hipError_tPvRmT3_T4_T5_T6_T7_T9_mT8_P12ihipStream_tbDpT10_ENKUlT_T0_E_clISt17integral_constantIbLb1EES19_IbLb0EEEEDaS15_S16_EUlS15_E_NS1_11comp_targetILNS1_3genE2ELNS1_11target_archE906ELNS1_3gpuE6ELNS1_3repE0EEENS1_30default_config_static_selectorELNS0_4arch9wavefront6targetE0EEEvT1_
; %bb.0:
	.section	.rodata,"a",@progbits
	.p2align	6, 0x0
	.amdhsa_kernel _ZN7rocprim17ROCPRIM_400000_NS6detail17trampoline_kernelINS0_14default_configENS1_25partition_config_selectorILNS1_17partition_subalgoE9EllbEEZZNS1_14partition_implILS5_9ELb0ES3_jPlS8_PNS0_10empty_typeENS0_5tupleIJS8_S9_EEENSB_IJS8_SA_EEENS0_18inequality_wrapperIZN2at6native12_GLOBAL__N_124unique_dim_cuda_templateIlEESt5tupleIJNSF_6TensorESK_SK_EERKSK_lbbbEUlllE0_EEPmJS9_EEE10hipError_tPvRmT3_T4_T5_T6_T7_T9_mT8_P12ihipStream_tbDpT10_ENKUlT_T0_E_clISt17integral_constantIbLb1EES19_IbLb0EEEEDaS15_S16_EUlS15_E_NS1_11comp_targetILNS1_3genE2ELNS1_11target_archE906ELNS1_3gpuE6ELNS1_3repE0EEENS1_30default_config_static_selectorELNS0_4arch9wavefront6targetE0EEEvT1_
		.amdhsa_group_segment_fixed_size 0
		.amdhsa_private_segment_fixed_size 0
		.amdhsa_kernarg_size 120
		.amdhsa_user_sgpr_count 2
		.amdhsa_user_sgpr_dispatch_ptr 0
		.amdhsa_user_sgpr_queue_ptr 0
		.amdhsa_user_sgpr_kernarg_segment_ptr 1
		.amdhsa_user_sgpr_dispatch_id 0
		.amdhsa_user_sgpr_kernarg_preload_length 0
		.amdhsa_user_sgpr_kernarg_preload_offset 0
		.amdhsa_user_sgpr_private_segment_size 0
		.amdhsa_wavefront_size32 1
		.amdhsa_uses_dynamic_stack 0
		.amdhsa_enable_private_segment 0
		.amdhsa_system_sgpr_workgroup_id_x 1
		.amdhsa_system_sgpr_workgroup_id_y 0
		.amdhsa_system_sgpr_workgroup_id_z 0
		.amdhsa_system_sgpr_workgroup_info 0
		.amdhsa_system_vgpr_workitem_id 0
		.amdhsa_next_free_vgpr 1
		.amdhsa_next_free_sgpr 1
		.amdhsa_named_barrier_count 0
		.amdhsa_reserve_vcc 0
		.amdhsa_float_round_mode_32 0
		.amdhsa_float_round_mode_16_64 0
		.amdhsa_float_denorm_mode_32 3
		.amdhsa_float_denorm_mode_16_64 3
		.amdhsa_fp16_overflow 0
		.amdhsa_memory_ordered 1
		.amdhsa_forward_progress 1
		.amdhsa_inst_pref_size 0
		.amdhsa_round_robin_scheduling 0
		.amdhsa_exception_fp_ieee_invalid_op 0
		.amdhsa_exception_fp_denorm_src 0
		.amdhsa_exception_fp_ieee_div_zero 0
		.amdhsa_exception_fp_ieee_overflow 0
		.amdhsa_exception_fp_ieee_underflow 0
		.amdhsa_exception_fp_ieee_inexact 0
		.amdhsa_exception_int_div_zero 0
	.end_amdhsa_kernel
	.section	.text._ZN7rocprim17ROCPRIM_400000_NS6detail17trampoline_kernelINS0_14default_configENS1_25partition_config_selectorILNS1_17partition_subalgoE9EllbEEZZNS1_14partition_implILS5_9ELb0ES3_jPlS8_PNS0_10empty_typeENS0_5tupleIJS8_S9_EEENSB_IJS8_SA_EEENS0_18inequality_wrapperIZN2at6native12_GLOBAL__N_124unique_dim_cuda_templateIlEESt5tupleIJNSF_6TensorESK_SK_EERKSK_lbbbEUlllE0_EEPmJS9_EEE10hipError_tPvRmT3_T4_T5_T6_T7_T9_mT8_P12ihipStream_tbDpT10_ENKUlT_T0_E_clISt17integral_constantIbLb1EES19_IbLb0EEEEDaS15_S16_EUlS15_E_NS1_11comp_targetILNS1_3genE2ELNS1_11target_archE906ELNS1_3gpuE6ELNS1_3repE0EEENS1_30default_config_static_selectorELNS0_4arch9wavefront6targetE0EEEvT1_,"axG",@progbits,_ZN7rocprim17ROCPRIM_400000_NS6detail17trampoline_kernelINS0_14default_configENS1_25partition_config_selectorILNS1_17partition_subalgoE9EllbEEZZNS1_14partition_implILS5_9ELb0ES3_jPlS8_PNS0_10empty_typeENS0_5tupleIJS8_S9_EEENSB_IJS8_SA_EEENS0_18inequality_wrapperIZN2at6native12_GLOBAL__N_124unique_dim_cuda_templateIlEESt5tupleIJNSF_6TensorESK_SK_EERKSK_lbbbEUlllE0_EEPmJS9_EEE10hipError_tPvRmT3_T4_T5_T6_T7_T9_mT8_P12ihipStream_tbDpT10_ENKUlT_T0_E_clISt17integral_constantIbLb1EES19_IbLb0EEEEDaS15_S16_EUlS15_E_NS1_11comp_targetILNS1_3genE2ELNS1_11target_archE906ELNS1_3gpuE6ELNS1_3repE0EEENS1_30default_config_static_selectorELNS0_4arch9wavefront6targetE0EEEvT1_,comdat
.Lfunc_end615:
	.size	_ZN7rocprim17ROCPRIM_400000_NS6detail17trampoline_kernelINS0_14default_configENS1_25partition_config_selectorILNS1_17partition_subalgoE9EllbEEZZNS1_14partition_implILS5_9ELb0ES3_jPlS8_PNS0_10empty_typeENS0_5tupleIJS8_S9_EEENSB_IJS8_SA_EEENS0_18inequality_wrapperIZN2at6native12_GLOBAL__N_124unique_dim_cuda_templateIlEESt5tupleIJNSF_6TensorESK_SK_EERKSK_lbbbEUlllE0_EEPmJS9_EEE10hipError_tPvRmT3_T4_T5_T6_T7_T9_mT8_P12ihipStream_tbDpT10_ENKUlT_T0_E_clISt17integral_constantIbLb1EES19_IbLb0EEEEDaS15_S16_EUlS15_E_NS1_11comp_targetILNS1_3genE2ELNS1_11target_archE906ELNS1_3gpuE6ELNS1_3repE0EEENS1_30default_config_static_selectorELNS0_4arch9wavefront6targetE0EEEvT1_, .Lfunc_end615-_ZN7rocprim17ROCPRIM_400000_NS6detail17trampoline_kernelINS0_14default_configENS1_25partition_config_selectorILNS1_17partition_subalgoE9EllbEEZZNS1_14partition_implILS5_9ELb0ES3_jPlS8_PNS0_10empty_typeENS0_5tupleIJS8_S9_EEENSB_IJS8_SA_EEENS0_18inequality_wrapperIZN2at6native12_GLOBAL__N_124unique_dim_cuda_templateIlEESt5tupleIJNSF_6TensorESK_SK_EERKSK_lbbbEUlllE0_EEPmJS9_EEE10hipError_tPvRmT3_T4_T5_T6_T7_T9_mT8_P12ihipStream_tbDpT10_ENKUlT_T0_E_clISt17integral_constantIbLb1EES19_IbLb0EEEEDaS15_S16_EUlS15_E_NS1_11comp_targetILNS1_3genE2ELNS1_11target_archE906ELNS1_3gpuE6ELNS1_3repE0EEENS1_30default_config_static_selectorELNS0_4arch9wavefront6targetE0EEEvT1_
                                        ; -- End function
	.set _ZN7rocprim17ROCPRIM_400000_NS6detail17trampoline_kernelINS0_14default_configENS1_25partition_config_selectorILNS1_17partition_subalgoE9EllbEEZZNS1_14partition_implILS5_9ELb0ES3_jPlS8_PNS0_10empty_typeENS0_5tupleIJS8_S9_EEENSB_IJS8_SA_EEENS0_18inequality_wrapperIZN2at6native12_GLOBAL__N_124unique_dim_cuda_templateIlEESt5tupleIJNSF_6TensorESK_SK_EERKSK_lbbbEUlllE0_EEPmJS9_EEE10hipError_tPvRmT3_T4_T5_T6_T7_T9_mT8_P12ihipStream_tbDpT10_ENKUlT_T0_E_clISt17integral_constantIbLb1EES19_IbLb0EEEEDaS15_S16_EUlS15_E_NS1_11comp_targetILNS1_3genE2ELNS1_11target_archE906ELNS1_3gpuE6ELNS1_3repE0EEENS1_30default_config_static_selectorELNS0_4arch9wavefront6targetE0EEEvT1_.num_vgpr, 0
	.set _ZN7rocprim17ROCPRIM_400000_NS6detail17trampoline_kernelINS0_14default_configENS1_25partition_config_selectorILNS1_17partition_subalgoE9EllbEEZZNS1_14partition_implILS5_9ELb0ES3_jPlS8_PNS0_10empty_typeENS0_5tupleIJS8_S9_EEENSB_IJS8_SA_EEENS0_18inequality_wrapperIZN2at6native12_GLOBAL__N_124unique_dim_cuda_templateIlEESt5tupleIJNSF_6TensorESK_SK_EERKSK_lbbbEUlllE0_EEPmJS9_EEE10hipError_tPvRmT3_T4_T5_T6_T7_T9_mT8_P12ihipStream_tbDpT10_ENKUlT_T0_E_clISt17integral_constantIbLb1EES19_IbLb0EEEEDaS15_S16_EUlS15_E_NS1_11comp_targetILNS1_3genE2ELNS1_11target_archE906ELNS1_3gpuE6ELNS1_3repE0EEENS1_30default_config_static_selectorELNS0_4arch9wavefront6targetE0EEEvT1_.num_agpr, 0
	.set _ZN7rocprim17ROCPRIM_400000_NS6detail17trampoline_kernelINS0_14default_configENS1_25partition_config_selectorILNS1_17partition_subalgoE9EllbEEZZNS1_14partition_implILS5_9ELb0ES3_jPlS8_PNS0_10empty_typeENS0_5tupleIJS8_S9_EEENSB_IJS8_SA_EEENS0_18inequality_wrapperIZN2at6native12_GLOBAL__N_124unique_dim_cuda_templateIlEESt5tupleIJNSF_6TensorESK_SK_EERKSK_lbbbEUlllE0_EEPmJS9_EEE10hipError_tPvRmT3_T4_T5_T6_T7_T9_mT8_P12ihipStream_tbDpT10_ENKUlT_T0_E_clISt17integral_constantIbLb1EES19_IbLb0EEEEDaS15_S16_EUlS15_E_NS1_11comp_targetILNS1_3genE2ELNS1_11target_archE906ELNS1_3gpuE6ELNS1_3repE0EEENS1_30default_config_static_selectorELNS0_4arch9wavefront6targetE0EEEvT1_.numbered_sgpr, 0
	.set _ZN7rocprim17ROCPRIM_400000_NS6detail17trampoline_kernelINS0_14default_configENS1_25partition_config_selectorILNS1_17partition_subalgoE9EllbEEZZNS1_14partition_implILS5_9ELb0ES3_jPlS8_PNS0_10empty_typeENS0_5tupleIJS8_S9_EEENSB_IJS8_SA_EEENS0_18inequality_wrapperIZN2at6native12_GLOBAL__N_124unique_dim_cuda_templateIlEESt5tupleIJNSF_6TensorESK_SK_EERKSK_lbbbEUlllE0_EEPmJS9_EEE10hipError_tPvRmT3_T4_T5_T6_T7_T9_mT8_P12ihipStream_tbDpT10_ENKUlT_T0_E_clISt17integral_constantIbLb1EES19_IbLb0EEEEDaS15_S16_EUlS15_E_NS1_11comp_targetILNS1_3genE2ELNS1_11target_archE906ELNS1_3gpuE6ELNS1_3repE0EEENS1_30default_config_static_selectorELNS0_4arch9wavefront6targetE0EEEvT1_.num_named_barrier, 0
	.set _ZN7rocprim17ROCPRIM_400000_NS6detail17trampoline_kernelINS0_14default_configENS1_25partition_config_selectorILNS1_17partition_subalgoE9EllbEEZZNS1_14partition_implILS5_9ELb0ES3_jPlS8_PNS0_10empty_typeENS0_5tupleIJS8_S9_EEENSB_IJS8_SA_EEENS0_18inequality_wrapperIZN2at6native12_GLOBAL__N_124unique_dim_cuda_templateIlEESt5tupleIJNSF_6TensorESK_SK_EERKSK_lbbbEUlllE0_EEPmJS9_EEE10hipError_tPvRmT3_T4_T5_T6_T7_T9_mT8_P12ihipStream_tbDpT10_ENKUlT_T0_E_clISt17integral_constantIbLb1EES19_IbLb0EEEEDaS15_S16_EUlS15_E_NS1_11comp_targetILNS1_3genE2ELNS1_11target_archE906ELNS1_3gpuE6ELNS1_3repE0EEENS1_30default_config_static_selectorELNS0_4arch9wavefront6targetE0EEEvT1_.private_seg_size, 0
	.set _ZN7rocprim17ROCPRIM_400000_NS6detail17trampoline_kernelINS0_14default_configENS1_25partition_config_selectorILNS1_17partition_subalgoE9EllbEEZZNS1_14partition_implILS5_9ELb0ES3_jPlS8_PNS0_10empty_typeENS0_5tupleIJS8_S9_EEENSB_IJS8_SA_EEENS0_18inequality_wrapperIZN2at6native12_GLOBAL__N_124unique_dim_cuda_templateIlEESt5tupleIJNSF_6TensorESK_SK_EERKSK_lbbbEUlllE0_EEPmJS9_EEE10hipError_tPvRmT3_T4_T5_T6_T7_T9_mT8_P12ihipStream_tbDpT10_ENKUlT_T0_E_clISt17integral_constantIbLb1EES19_IbLb0EEEEDaS15_S16_EUlS15_E_NS1_11comp_targetILNS1_3genE2ELNS1_11target_archE906ELNS1_3gpuE6ELNS1_3repE0EEENS1_30default_config_static_selectorELNS0_4arch9wavefront6targetE0EEEvT1_.uses_vcc, 0
	.set _ZN7rocprim17ROCPRIM_400000_NS6detail17trampoline_kernelINS0_14default_configENS1_25partition_config_selectorILNS1_17partition_subalgoE9EllbEEZZNS1_14partition_implILS5_9ELb0ES3_jPlS8_PNS0_10empty_typeENS0_5tupleIJS8_S9_EEENSB_IJS8_SA_EEENS0_18inequality_wrapperIZN2at6native12_GLOBAL__N_124unique_dim_cuda_templateIlEESt5tupleIJNSF_6TensorESK_SK_EERKSK_lbbbEUlllE0_EEPmJS9_EEE10hipError_tPvRmT3_T4_T5_T6_T7_T9_mT8_P12ihipStream_tbDpT10_ENKUlT_T0_E_clISt17integral_constantIbLb1EES19_IbLb0EEEEDaS15_S16_EUlS15_E_NS1_11comp_targetILNS1_3genE2ELNS1_11target_archE906ELNS1_3gpuE6ELNS1_3repE0EEENS1_30default_config_static_selectorELNS0_4arch9wavefront6targetE0EEEvT1_.uses_flat_scratch, 0
	.set _ZN7rocprim17ROCPRIM_400000_NS6detail17trampoline_kernelINS0_14default_configENS1_25partition_config_selectorILNS1_17partition_subalgoE9EllbEEZZNS1_14partition_implILS5_9ELb0ES3_jPlS8_PNS0_10empty_typeENS0_5tupleIJS8_S9_EEENSB_IJS8_SA_EEENS0_18inequality_wrapperIZN2at6native12_GLOBAL__N_124unique_dim_cuda_templateIlEESt5tupleIJNSF_6TensorESK_SK_EERKSK_lbbbEUlllE0_EEPmJS9_EEE10hipError_tPvRmT3_T4_T5_T6_T7_T9_mT8_P12ihipStream_tbDpT10_ENKUlT_T0_E_clISt17integral_constantIbLb1EES19_IbLb0EEEEDaS15_S16_EUlS15_E_NS1_11comp_targetILNS1_3genE2ELNS1_11target_archE906ELNS1_3gpuE6ELNS1_3repE0EEENS1_30default_config_static_selectorELNS0_4arch9wavefront6targetE0EEEvT1_.has_dyn_sized_stack, 0
	.set _ZN7rocprim17ROCPRIM_400000_NS6detail17trampoline_kernelINS0_14default_configENS1_25partition_config_selectorILNS1_17partition_subalgoE9EllbEEZZNS1_14partition_implILS5_9ELb0ES3_jPlS8_PNS0_10empty_typeENS0_5tupleIJS8_S9_EEENSB_IJS8_SA_EEENS0_18inequality_wrapperIZN2at6native12_GLOBAL__N_124unique_dim_cuda_templateIlEESt5tupleIJNSF_6TensorESK_SK_EERKSK_lbbbEUlllE0_EEPmJS9_EEE10hipError_tPvRmT3_T4_T5_T6_T7_T9_mT8_P12ihipStream_tbDpT10_ENKUlT_T0_E_clISt17integral_constantIbLb1EES19_IbLb0EEEEDaS15_S16_EUlS15_E_NS1_11comp_targetILNS1_3genE2ELNS1_11target_archE906ELNS1_3gpuE6ELNS1_3repE0EEENS1_30default_config_static_selectorELNS0_4arch9wavefront6targetE0EEEvT1_.has_recursion, 0
	.set _ZN7rocprim17ROCPRIM_400000_NS6detail17trampoline_kernelINS0_14default_configENS1_25partition_config_selectorILNS1_17partition_subalgoE9EllbEEZZNS1_14partition_implILS5_9ELb0ES3_jPlS8_PNS0_10empty_typeENS0_5tupleIJS8_S9_EEENSB_IJS8_SA_EEENS0_18inequality_wrapperIZN2at6native12_GLOBAL__N_124unique_dim_cuda_templateIlEESt5tupleIJNSF_6TensorESK_SK_EERKSK_lbbbEUlllE0_EEPmJS9_EEE10hipError_tPvRmT3_T4_T5_T6_T7_T9_mT8_P12ihipStream_tbDpT10_ENKUlT_T0_E_clISt17integral_constantIbLb1EES19_IbLb0EEEEDaS15_S16_EUlS15_E_NS1_11comp_targetILNS1_3genE2ELNS1_11target_archE906ELNS1_3gpuE6ELNS1_3repE0EEENS1_30default_config_static_selectorELNS0_4arch9wavefront6targetE0EEEvT1_.has_indirect_call, 0
	.section	.AMDGPU.csdata,"",@progbits
; Kernel info:
; codeLenInByte = 0
; TotalNumSgprs: 0
; NumVgprs: 0
; ScratchSize: 0
; MemoryBound: 0
; FloatMode: 240
; IeeeMode: 1
; LDSByteSize: 0 bytes/workgroup (compile time only)
; SGPRBlocks: 0
; VGPRBlocks: 0
; NumSGPRsForWavesPerEU: 1
; NumVGPRsForWavesPerEU: 1
; NamedBarCnt: 0
; Occupancy: 16
; WaveLimiterHint : 0
; COMPUTE_PGM_RSRC2:SCRATCH_EN: 0
; COMPUTE_PGM_RSRC2:USER_SGPR: 2
; COMPUTE_PGM_RSRC2:TRAP_HANDLER: 0
; COMPUTE_PGM_RSRC2:TGID_X_EN: 1
; COMPUTE_PGM_RSRC2:TGID_Y_EN: 0
; COMPUTE_PGM_RSRC2:TGID_Z_EN: 0
; COMPUTE_PGM_RSRC2:TIDIG_COMP_CNT: 0
	.section	.text._ZN7rocprim17ROCPRIM_400000_NS6detail17trampoline_kernelINS0_14default_configENS1_25partition_config_selectorILNS1_17partition_subalgoE9EllbEEZZNS1_14partition_implILS5_9ELb0ES3_jPlS8_PNS0_10empty_typeENS0_5tupleIJS8_S9_EEENSB_IJS8_SA_EEENS0_18inequality_wrapperIZN2at6native12_GLOBAL__N_124unique_dim_cuda_templateIlEESt5tupleIJNSF_6TensorESK_SK_EERKSK_lbbbEUlllE0_EEPmJS9_EEE10hipError_tPvRmT3_T4_T5_T6_T7_T9_mT8_P12ihipStream_tbDpT10_ENKUlT_T0_E_clISt17integral_constantIbLb1EES19_IbLb0EEEEDaS15_S16_EUlS15_E_NS1_11comp_targetILNS1_3genE10ELNS1_11target_archE1200ELNS1_3gpuE4ELNS1_3repE0EEENS1_30default_config_static_selectorELNS0_4arch9wavefront6targetE0EEEvT1_,"axG",@progbits,_ZN7rocprim17ROCPRIM_400000_NS6detail17trampoline_kernelINS0_14default_configENS1_25partition_config_selectorILNS1_17partition_subalgoE9EllbEEZZNS1_14partition_implILS5_9ELb0ES3_jPlS8_PNS0_10empty_typeENS0_5tupleIJS8_S9_EEENSB_IJS8_SA_EEENS0_18inequality_wrapperIZN2at6native12_GLOBAL__N_124unique_dim_cuda_templateIlEESt5tupleIJNSF_6TensorESK_SK_EERKSK_lbbbEUlllE0_EEPmJS9_EEE10hipError_tPvRmT3_T4_T5_T6_T7_T9_mT8_P12ihipStream_tbDpT10_ENKUlT_T0_E_clISt17integral_constantIbLb1EES19_IbLb0EEEEDaS15_S16_EUlS15_E_NS1_11comp_targetILNS1_3genE10ELNS1_11target_archE1200ELNS1_3gpuE4ELNS1_3repE0EEENS1_30default_config_static_selectorELNS0_4arch9wavefront6targetE0EEEvT1_,comdat
	.globl	_ZN7rocprim17ROCPRIM_400000_NS6detail17trampoline_kernelINS0_14default_configENS1_25partition_config_selectorILNS1_17partition_subalgoE9EllbEEZZNS1_14partition_implILS5_9ELb0ES3_jPlS8_PNS0_10empty_typeENS0_5tupleIJS8_S9_EEENSB_IJS8_SA_EEENS0_18inequality_wrapperIZN2at6native12_GLOBAL__N_124unique_dim_cuda_templateIlEESt5tupleIJNSF_6TensorESK_SK_EERKSK_lbbbEUlllE0_EEPmJS9_EEE10hipError_tPvRmT3_T4_T5_T6_T7_T9_mT8_P12ihipStream_tbDpT10_ENKUlT_T0_E_clISt17integral_constantIbLb1EES19_IbLb0EEEEDaS15_S16_EUlS15_E_NS1_11comp_targetILNS1_3genE10ELNS1_11target_archE1200ELNS1_3gpuE4ELNS1_3repE0EEENS1_30default_config_static_selectorELNS0_4arch9wavefront6targetE0EEEvT1_ ; -- Begin function _ZN7rocprim17ROCPRIM_400000_NS6detail17trampoline_kernelINS0_14default_configENS1_25partition_config_selectorILNS1_17partition_subalgoE9EllbEEZZNS1_14partition_implILS5_9ELb0ES3_jPlS8_PNS0_10empty_typeENS0_5tupleIJS8_S9_EEENSB_IJS8_SA_EEENS0_18inequality_wrapperIZN2at6native12_GLOBAL__N_124unique_dim_cuda_templateIlEESt5tupleIJNSF_6TensorESK_SK_EERKSK_lbbbEUlllE0_EEPmJS9_EEE10hipError_tPvRmT3_T4_T5_T6_T7_T9_mT8_P12ihipStream_tbDpT10_ENKUlT_T0_E_clISt17integral_constantIbLb1EES19_IbLb0EEEEDaS15_S16_EUlS15_E_NS1_11comp_targetILNS1_3genE10ELNS1_11target_archE1200ELNS1_3gpuE4ELNS1_3repE0EEENS1_30default_config_static_selectorELNS0_4arch9wavefront6targetE0EEEvT1_
	.p2align	8
	.type	_ZN7rocprim17ROCPRIM_400000_NS6detail17trampoline_kernelINS0_14default_configENS1_25partition_config_selectorILNS1_17partition_subalgoE9EllbEEZZNS1_14partition_implILS5_9ELb0ES3_jPlS8_PNS0_10empty_typeENS0_5tupleIJS8_S9_EEENSB_IJS8_SA_EEENS0_18inequality_wrapperIZN2at6native12_GLOBAL__N_124unique_dim_cuda_templateIlEESt5tupleIJNSF_6TensorESK_SK_EERKSK_lbbbEUlllE0_EEPmJS9_EEE10hipError_tPvRmT3_T4_T5_T6_T7_T9_mT8_P12ihipStream_tbDpT10_ENKUlT_T0_E_clISt17integral_constantIbLb1EES19_IbLb0EEEEDaS15_S16_EUlS15_E_NS1_11comp_targetILNS1_3genE10ELNS1_11target_archE1200ELNS1_3gpuE4ELNS1_3repE0EEENS1_30default_config_static_selectorELNS0_4arch9wavefront6targetE0EEEvT1_,@function
_ZN7rocprim17ROCPRIM_400000_NS6detail17trampoline_kernelINS0_14default_configENS1_25partition_config_selectorILNS1_17partition_subalgoE9EllbEEZZNS1_14partition_implILS5_9ELb0ES3_jPlS8_PNS0_10empty_typeENS0_5tupleIJS8_S9_EEENSB_IJS8_SA_EEENS0_18inequality_wrapperIZN2at6native12_GLOBAL__N_124unique_dim_cuda_templateIlEESt5tupleIJNSF_6TensorESK_SK_EERKSK_lbbbEUlllE0_EEPmJS9_EEE10hipError_tPvRmT3_T4_T5_T6_T7_T9_mT8_P12ihipStream_tbDpT10_ENKUlT_T0_E_clISt17integral_constantIbLb1EES19_IbLb0EEEEDaS15_S16_EUlS15_E_NS1_11comp_targetILNS1_3genE10ELNS1_11target_archE1200ELNS1_3gpuE4ELNS1_3repE0EEENS1_30default_config_static_selectorELNS0_4arch9wavefront6targetE0EEEvT1_: ; @_ZN7rocprim17ROCPRIM_400000_NS6detail17trampoline_kernelINS0_14default_configENS1_25partition_config_selectorILNS1_17partition_subalgoE9EllbEEZZNS1_14partition_implILS5_9ELb0ES3_jPlS8_PNS0_10empty_typeENS0_5tupleIJS8_S9_EEENSB_IJS8_SA_EEENS0_18inequality_wrapperIZN2at6native12_GLOBAL__N_124unique_dim_cuda_templateIlEESt5tupleIJNSF_6TensorESK_SK_EERKSK_lbbbEUlllE0_EEPmJS9_EEE10hipError_tPvRmT3_T4_T5_T6_T7_T9_mT8_P12ihipStream_tbDpT10_ENKUlT_T0_E_clISt17integral_constantIbLb1EES19_IbLb0EEEEDaS15_S16_EUlS15_E_NS1_11comp_targetILNS1_3genE10ELNS1_11target_archE1200ELNS1_3gpuE4ELNS1_3repE0EEENS1_30default_config_static_selectorELNS0_4arch9wavefront6targetE0EEEvT1_
; %bb.0:
	.section	.rodata,"a",@progbits
	.p2align	6, 0x0
	.amdhsa_kernel _ZN7rocprim17ROCPRIM_400000_NS6detail17trampoline_kernelINS0_14default_configENS1_25partition_config_selectorILNS1_17partition_subalgoE9EllbEEZZNS1_14partition_implILS5_9ELb0ES3_jPlS8_PNS0_10empty_typeENS0_5tupleIJS8_S9_EEENSB_IJS8_SA_EEENS0_18inequality_wrapperIZN2at6native12_GLOBAL__N_124unique_dim_cuda_templateIlEESt5tupleIJNSF_6TensorESK_SK_EERKSK_lbbbEUlllE0_EEPmJS9_EEE10hipError_tPvRmT3_T4_T5_T6_T7_T9_mT8_P12ihipStream_tbDpT10_ENKUlT_T0_E_clISt17integral_constantIbLb1EES19_IbLb0EEEEDaS15_S16_EUlS15_E_NS1_11comp_targetILNS1_3genE10ELNS1_11target_archE1200ELNS1_3gpuE4ELNS1_3repE0EEENS1_30default_config_static_selectorELNS0_4arch9wavefront6targetE0EEEvT1_
		.amdhsa_group_segment_fixed_size 0
		.amdhsa_private_segment_fixed_size 0
		.amdhsa_kernarg_size 120
		.amdhsa_user_sgpr_count 2
		.amdhsa_user_sgpr_dispatch_ptr 0
		.amdhsa_user_sgpr_queue_ptr 0
		.amdhsa_user_sgpr_kernarg_segment_ptr 1
		.amdhsa_user_sgpr_dispatch_id 0
		.amdhsa_user_sgpr_kernarg_preload_length 0
		.amdhsa_user_sgpr_kernarg_preload_offset 0
		.amdhsa_user_sgpr_private_segment_size 0
		.amdhsa_wavefront_size32 1
		.amdhsa_uses_dynamic_stack 0
		.amdhsa_enable_private_segment 0
		.amdhsa_system_sgpr_workgroup_id_x 1
		.amdhsa_system_sgpr_workgroup_id_y 0
		.amdhsa_system_sgpr_workgroup_id_z 0
		.amdhsa_system_sgpr_workgroup_info 0
		.amdhsa_system_vgpr_workitem_id 0
		.amdhsa_next_free_vgpr 1
		.amdhsa_next_free_sgpr 1
		.amdhsa_named_barrier_count 0
		.amdhsa_reserve_vcc 0
		.amdhsa_float_round_mode_32 0
		.amdhsa_float_round_mode_16_64 0
		.amdhsa_float_denorm_mode_32 3
		.amdhsa_float_denorm_mode_16_64 3
		.amdhsa_fp16_overflow 0
		.amdhsa_memory_ordered 1
		.amdhsa_forward_progress 1
		.amdhsa_inst_pref_size 0
		.amdhsa_round_robin_scheduling 0
		.amdhsa_exception_fp_ieee_invalid_op 0
		.amdhsa_exception_fp_denorm_src 0
		.amdhsa_exception_fp_ieee_div_zero 0
		.amdhsa_exception_fp_ieee_overflow 0
		.amdhsa_exception_fp_ieee_underflow 0
		.amdhsa_exception_fp_ieee_inexact 0
		.amdhsa_exception_int_div_zero 0
	.end_amdhsa_kernel
	.section	.text._ZN7rocprim17ROCPRIM_400000_NS6detail17trampoline_kernelINS0_14default_configENS1_25partition_config_selectorILNS1_17partition_subalgoE9EllbEEZZNS1_14partition_implILS5_9ELb0ES3_jPlS8_PNS0_10empty_typeENS0_5tupleIJS8_S9_EEENSB_IJS8_SA_EEENS0_18inequality_wrapperIZN2at6native12_GLOBAL__N_124unique_dim_cuda_templateIlEESt5tupleIJNSF_6TensorESK_SK_EERKSK_lbbbEUlllE0_EEPmJS9_EEE10hipError_tPvRmT3_T4_T5_T6_T7_T9_mT8_P12ihipStream_tbDpT10_ENKUlT_T0_E_clISt17integral_constantIbLb1EES19_IbLb0EEEEDaS15_S16_EUlS15_E_NS1_11comp_targetILNS1_3genE10ELNS1_11target_archE1200ELNS1_3gpuE4ELNS1_3repE0EEENS1_30default_config_static_selectorELNS0_4arch9wavefront6targetE0EEEvT1_,"axG",@progbits,_ZN7rocprim17ROCPRIM_400000_NS6detail17trampoline_kernelINS0_14default_configENS1_25partition_config_selectorILNS1_17partition_subalgoE9EllbEEZZNS1_14partition_implILS5_9ELb0ES3_jPlS8_PNS0_10empty_typeENS0_5tupleIJS8_S9_EEENSB_IJS8_SA_EEENS0_18inequality_wrapperIZN2at6native12_GLOBAL__N_124unique_dim_cuda_templateIlEESt5tupleIJNSF_6TensorESK_SK_EERKSK_lbbbEUlllE0_EEPmJS9_EEE10hipError_tPvRmT3_T4_T5_T6_T7_T9_mT8_P12ihipStream_tbDpT10_ENKUlT_T0_E_clISt17integral_constantIbLb1EES19_IbLb0EEEEDaS15_S16_EUlS15_E_NS1_11comp_targetILNS1_3genE10ELNS1_11target_archE1200ELNS1_3gpuE4ELNS1_3repE0EEENS1_30default_config_static_selectorELNS0_4arch9wavefront6targetE0EEEvT1_,comdat
.Lfunc_end616:
	.size	_ZN7rocprim17ROCPRIM_400000_NS6detail17trampoline_kernelINS0_14default_configENS1_25partition_config_selectorILNS1_17partition_subalgoE9EllbEEZZNS1_14partition_implILS5_9ELb0ES3_jPlS8_PNS0_10empty_typeENS0_5tupleIJS8_S9_EEENSB_IJS8_SA_EEENS0_18inequality_wrapperIZN2at6native12_GLOBAL__N_124unique_dim_cuda_templateIlEESt5tupleIJNSF_6TensorESK_SK_EERKSK_lbbbEUlllE0_EEPmJS9_EEE10hipError_tPvRmT3_T4_T5_T6_T7_T9_mT8_P12ihipStream_tbDpT10_ENKUlT_T0_E_clISt17integral_constantIbLb1EES19_IbLb0EEEEDaS15_S16_EUlS15_E_NS1_11comp_targetILNS1_3genE10ELNS1_11target_archE1200ELNS1_3gpuE4ELNS1_3repE0EEENS1_30default_config_static_selectorELNS0_4arch9wavefront6targetE0EEEvT1_, .Lfunc_end616-_ZN7rocprim17ROCPRIM_400000_NS6detail17trampoline_kernelINS0_14default_configENS1_25partition_config_selectorILNS1_17partition_subalgoE9EllbEEZZNS1_14partition_implILS5_9ELb0ES3_jPlS8_PNS0_10empty_typeENS0_5tupleIJS8_S9_EEENSB_IJS8_SA_EEENS0_18inequality_wrapperIZN2at6native12_GLOBAL__N_124unique_dim_cuda_templateIlEESt5tupleIJNSF_6TensorESK_SK_EERKSK_lbbbEUlllE0_EEPmJS9_EEE10hipError_tPvRmT3_T4_T5_T6_T7_T9_mT8_P12ihipStream_tbDpT10_ENKUlT_T0_E_clISt17integral_constantIbLb1EES19_IbLb0EEEEDaS15_S16_EUlS15_E_NS1_11comp_targetILNS1_3genE10ELNS1_11target_archE1200ELNS1_3gpuE4ELNS1_3repE0EEENS1_30default_config_static_selectorELNS0_4arch9wavefront6targetE0EEEvT1_
                                        ; -- End function
	.set _ZN7rocprim17ROCPRIM_400000_NS6detail17trampoline_kernelINS0_14default_configENS1_25partition_config_selectorILNS1_17partition_subalgoE9EllbEEZZNS1_14partition_implILS5_9ELb0ES3_jPlS8_PNS0_10empty_typeENS0_5tupleIJS8_S9_EEENSB_IJS8_SA_EEENS0_18inequality_wrapperIZN2at6native12_GLOBAL__N_124unique_dim_cuda_templateIlEESt5tupleIJNSF_6TensorESK_SK_EERKSK_lbbbEUlllE0_EEPmJS9_EEE10hipError_tPvRmT3_T4_T5_T6_T7_T9_mT8_P12ihipStream_tbDpT10_ENKUlT_T0_E_clISt17integral_constantIbLb1EES19_IbLb0EEEEDaS15_S16_EUlS15_E_NS1_11comp_targetILNS1_3genE10ELNS1_11target_archE1200ELNS1_3gpuE4ELNS1_3repE0EEENS1_30default_config_static_selectorELNS0_4arch9wavefront6targetE0EEEvT1_.num_vgpr, 0
	.set _ZN7rocprim17ROCPRIM_400000_NS6detail17trampoline_kernelINS0_14default_configENS1_25partition_config_selectorILNS1_17partition_subalgoE9EllbEEZZNS1_14partition_implILS5_9ELb0ES3_jPlS8_PNS0_10empty_typeENS0_5tupleIJS8_S9_EEENSB_IJS8_SA_EEENS0_18inequality_wrapperIZN2at6native12_GLOBAL__N_124unique_dim_cuda_templateIlEESt5tupleIJNSF_6TensorESK_SK_EERKSK_lbbbEUlllE0_EEPmJS9_EEE10hipError_tPvRmT3_T4_T5_T6_T7_T9_mT8_P12ihipStream_tbDpT10_ENKUlT_T0_E_clISt17integral_constantIbLb1EES19_IbLb0EEEEDaS15_S16_EUlS15_E_NS1_11comp_targetILNS1_3genE10ELNS1_11target_archE1200ELNS1_3gpuE4ELNS1_3repE0EEENS1_30default_config_static_selectorELNS0_4arch9wavefront6targetE0EEEvT1_.num_agpr, 0
	.set _ZN7rocprim17ROCPRIM_400000_NS6detail17trampoline_kernelINS0_14default_configENS1_25partition_config_selectorILNS1_17partition_subalgoE9EllbEEZZNS1_14partition_implILS5_9ELb0ES3_jPlS8_PNS0_10empty_typeENS0_5tupleIJS8_S9_EEENSB_IJS8_SA_EEENS0_18inequality_wrapperIZN2at6native12_GLOBAL__N_124unique_dim_cuda_templateIlEESt5tupleIJNSF_6TensorESK_SK_EERKSK_lbbbEUlllE0_EEPmJS9_EEE10hipError_tPvRmT3_T4_T5_T6_T7_T9_mT8_P12ihipStream_tbDpT10_ENKUlT_T0_E_clISt17integral_constantIbLb1EES19_IbLb0EEEEDaS15_S16_EUlS15_E_NS1_11comp_targetILNS1_3genE10ELNS1_11target_archE1200ELNS1_3gpuE4ELNS1_3repE0EEENS1_30default_config_static_selectorELNS0_4arch9wavefront6targetE0EEEvT1_.numbered_sgpr, 0
	.set _ZN7rocprim17ROCPRIM_400000_NS6detail17trampoline_kernelINS0_14default_configENS1_25partition_config_selectorILNS1_17partition_subalgoE9EllbEEZZNS1_14partition_implILS5_9ELb0ES3_jPlS8_PNS0_10empty_typeENS0_5tupleIJS8_S9_EEENSB_IJS8_SA_EEENS0_18inequality_wrapperIZN2at6native12_GLOBAL__N_124unique_dim_cuda_templateIlEESt5tupleIJNSF_6TensorESK_SK_EERKSK_lbbbEUlllE0_EEPmJS9_EEE10hipError_tPvRmT3_T4_T5_T6_T7_T9_mT8_P12ihipStream_tbDpT10_ENKUlT_T0_E_clISt17integral_constantIbLb1EES19_IbLb0EEEEDaS15_S16_EUlS15_E_NS1_11comp_targetILNS1_3genE10ELNS1_11target_archE1200ELNS1_3gpuE4ELNS1_3repE0EEENS1_30default_config_static_selectorELNS0_4arch9wavefront6targetE0EEEvT1_.num_named_barrier, 0
	.set _ZN7rocprim17ROCPRIM_400000_NS6detail17trampoline_kernelINS0_14default_configENS1_25partition_config_selectorILNS1_17partition_subalgoE9EllbEEZZNS1_14partition_implILS5_9ELb0ES3_jPlS8_PNS0_10empty_typeENS0_5tupleIJS8_S9_EEENSB_IJS8_SA_EEENS0_18inequality_wrapperIZN2at6native12_GLOBAL__N_124unique_dim_cuda_templateIlEESt5tupleIJNSF_6TensorESK_SK_EERKSK_lbbbEUlllE0_EEPmJS9_EEE10hipError_tPvRmT3_T4_T5_T6_T7_T9_mT8_P12ihipStream_tbDpT10_ENKUlT_T0_E_clISt17integral_constantIbLb1EES19_IbLb0EEEEDaS15_S16_EUlS15_E_NS1_11comp_targetILNS1_3genE10ELNS1_11target_archE1200ELNS1_3gpuE4ELNS1_3repE0EEENS1_30default_config_static_selectorELNS0_4arch9wavefront6targetE0EEEvT1_.private_seg_size, 0
	.set _ZN7rocprim17ROCPRIM_400000_NS6detail17trampoline_kernelINS0_14default_configENS1_25partition_config_selectorILNS1_17partition_subalgoE9EllbEEZZNS1_14partition_implILS5_9ELb0ES3_jPlS8_PNS0_10empty_typeENS0_5tupleIJS8_S9_EEENSB_IJS8_SA_EEENS0_18inequality_wrapperIZN2at6native12_GLOBAL__N_124unique_dim_cuda_templateIlEESt5tupleIJNSF_6TensorESK_SK_EERKSK_lbbbEUlllE0_EEPmJS9_EEE10hipError_tPvRmT3_T4_T5_T6_T7_T9_mT8_P12ihipStream_tbDpT10_ENKUlT_T0_E_clISt17integral_constantIbLb1EES19_IbLb0EEEEDaS15_S16_EUlS15_E_NS1_11comp_targetILNS1_3genE10ELNS1_11target_archE1200ELNS1_3gpuE4ELNS1_3repE0EEENS1_30default_config_static_selectorELNS0_4arch9wavefront6targetE0EEEvT1_.uses_vcc, 0
	.set _ZN7rocprim17ROCPRIM_400000_NS6detail17trampoline_kernelINS0_14default_configENS1_25partition_config_selectorILNS1_17partition_subalgoE9EllbEEZZNS1_14partition_implILS5_9ELb0ES3_jPlS8_PNS0_10empty_typeENS0_5tupleIJS8_S9_EEENSB_IJS8_SA_EEENS0_18inequality_wrapperIZN2at6native12_GLOBAL__N_124unique_dim_cuda_templateIlEESt5tupleIJNSF_6TensorESK_SK_EERKSK_lbbbEUlllE0_EEPmJS9_EEE10hipError_tPvRmT3_T4_T5_T6_T7_T9_mT8_P12ihipStream_tbDpT10_ENKUlT_T0_E_clISt17integral_constantIbLb1EES19_IbLb0EEEEDaS15_S16_EUlS15_E_NS1_11comp_targetILNS1_3genE10ELNS1_11target_archE1200ELNS1_3gpuE4ELNS1_3repE0EEENS1_30default_config_static_selectorELNS0_4arch9wavefront6targetE0EEEvT1_.uses_flat_scratch, 0
	.set _ZN7rocprim17ROCPRIM_400000_NS6detail17trampoline_kernelINS0_14default_configENS1_25partition_config_selectorILNS1_17partition_subalgoE9EllbEEZZNS1_14partition_implILS5_9ELb0ES3_jPlS8_PNS0_10empty_typeENS0_5tupleIJS8_S9_EEENSB_IJS8_SA_EEENS0_18inequality_wrapperIZN2at6native12_GLOBAL__N_124unique_dim_cuda_templateIlEESt5tupleIJNSF_6TensorESK_SK_EERKSK_lbbbEUlllE0_EEPmJS9_EEE10hipError_tPvRmT3_T4_T5_T6_T7_T9_mT8_P12ihipStream_tbDpT10_ENKUlT_T0_E_clISt17integral_constantIbLb1EES19_IbLb0EEEEDaS15_S16_EUlS15_E_NS1_11comp_targetILNS1_3genE10ELNS1_11target_archE1200ELNS1_3gpuE4ELNS1_3repE0EEENS1_30default_config_static_selectorELNS0_4arch9wavefront6targetE0EEEvT1_.has_dyn_sized_stack, 0
	.set _ZN7rocprim17ROCPRIM_400000_NS6detail17trampoline_kernelINS0_14default_configENS1_25partition_config_selectorILNS1_17partition_subalgoE9EllbEEZZNS1_14partition_implILS5_9ELb0ES3_jPlS8_PNS0_10empty_typeENS0_5tupleIJS8_S9_EEENSB_IJS8_SA_EEENS0_18inequality_wrapperIZN2at6native12_GLOBAL__N_124unique_dim_cuda_templateIlEESt5tupleIJNSF_6TensorESK_SK_EERKSK_lbbbEUlllE0_EEPmJS9_EEE10hipError_tPvRmT3_T4_T5_T6_T7_T9_mT8_P12ihipStream_tbDpT10_ENKUlT_T0_E_clISt17integral_constantIbLb1EES19_IbLb0EEEEDaS15_S16_EUlS15_E_NS1_11comp_targetILNS1_3genE10ELNS1_11target_archE1200ELNS1_3gpuE4ELNS1_3repE0EEENS1_30default_config_static_selectorELNS0_4arch9wavefront6targetE0EEEvT1_.has_recursion, 0
	.set _ZN7rocprim17ROCPRIM_400000_NS6detail17trampoline_kernelINS0_14default_configENS1_25partition_config_selectorILNS1_17partition_subalgoE9EllbEEZZNS1_14partition_implILS5_9ELb0ES3_jPlS8_PNS0_10empty_typeENS0_5tupleIJS8_S9_EEENSB_IJS8_SA_EEENS0_18inequality_wrapperIZN2at6native12_GLOBAL__N_124unique_dim_cuda_templateIlEESt5tupleIJNSF_6TensorESK_SK_EERKSK_lbbbEUlllE0_EEPmJS9_EEE10hipError_tPvRmT3_T4_T5_T6_T7_T9_mT8_P12ihipStream_tbDpT10_ENKUlT_T0_E_clISt17integral_constantIbLb1EES19_IbLb0EEEEDaS15_S16_EUlS15_E_NS1_11comp_targetILNS1_3genE10ELNS1_11target_archE1200ELNS1_3gpuE4ELNS1_3repE0EEENS1_30default_config_static_selectorELNS0_4arch9wavefront6targetE0EEEvT1_.has_indirect_call, 0
	.section	.AMDGPU.csdata,"",@progbits
; Kernel info:
; codeLenInByte = 0
; TotalNumSgprs: 0
; NumVgprs: 0
; ScratchSize: 0
; MemoryBound: 0
; FloatMode: 240
; IeeeMode: 1
; LDSByteSize: 0 bytes/workgroup (compile time only)
; SGPRBlocks: 0
; VGPRBlocks: 0
; NumSGPRsForWavesPerEU: 1
; NumVGPRsForWavesPerEU: 1
; NamedBarCnt: 0
; Occupancy: 16
; WaveLimiterHint : 0
; COMPUTE_PGM_RSRC2:SCRATCH_EN: 0
; COMPUTE_PGM_RSRC2:USER_SGPR: 2
; COMPUTE_PGM_RSRC2:TRAP_HANDLER: 0
; COMPUTE_PGM_RSRC2:TGID_X_EN: 1
; COMPUTE_PGM_RSRC2:TGID_Y_EN: 0
; COMPUTE_PGM_RSRC2:TGID_Z_EN: 0
; COMPUTE_PGM_RSRC2:TIDIG_COMP_CNT: 0
	.section	.text._ZN7rocprim17ROCPRIM_400000_NS6detail17trampoline_kernelINS0_14default_configENS1_25partition_config_selectorILNS1_17partition_subalgoE9EllbEEZZNS1_14partition_implILS5_9ELb0ES3_jPlS8_PNS0_10empty_typeENS0_5tupleIJS8_S9_EEENSB_IJS8_SA_EEENS0_18inequality_wrapperIZN2at6native12_GLOBAL__N_124unique_dim_cuda_templateIlEESt5tupleIJNSF_6TensorESK_SK_EERKSK_lbbbEUlllE0_EEPmJS9_EEE10hipError_tPvRmT3_T4_T5_T6_T7_T9_mT8_P12ihipStream_tbDpT10_ENKUlT_T0_E_clISt17integral_constantIbLb1EES19_IbLb0EEEEDaS15_S16_EUlS15_E_NS1_11comp_targetILNS1_3genE9ELNS1_11target_archE1100ELNS1_3gpuE3ELNS1_3repE0EEENS1_30default_config_static_selectorELNS0_4arch9wavefront6targetE0EEEvT1_,"axG",@progbits,_ZN7rocprim17ROCPRIM_400000_NS6detail17trampoline_kernelINS0_14default_configENS1_25partition_config_selectorILNS1_17partition_subalgoE9EllbEEZZNS1_14partition_implILS5_9ELb0ES3_jPlS8_PNS0_10empty_typeENS0_5tupleIJS8_S9_EEENSB_IJS8_SA_EEENS0_18inequality_wrapperIZN2at6native12_GLOBAL__N_124unique_dim_cuda_templateIlEESt5tupleIJNSF_6TensorESK_SK_EERKSK_lbbbEUlllE0_EEPmJS9_EEE10hipError_tPvRmT3_T4_T5_T6_T7_T9_mT8_P12ihipStream_tbDpT10_ENKUlT_T0_E_clISt17integral_constantIbLb1EES19_IbLb0EEEEDaS15_S16_EUlS15_E_NS1_11comp_targetILNS1_3genE9ELNS1_11target_archE1100ELNS1_3gpuE3ELNS1_3repE0EEENS1_30default_config_static_selectorELNS0_4arch9wavefront6targetE0EEEvT1_,comdat
	.globl	_ZN7rocprim17ROCPRIM_400000_NS6detail17trampoline_kernelINS0_14default_configENS1_25partition_config_selectorILNS1_17partition_subalgoE9EllbEEZZNS1_14partition_implILS5_9ELb0ES3_jPlS8_PNS0_10empty_typeENS0_5tupleIJS8_S9_EEENSB_IJS8_SA_EEENS0_18inequality_wrapperIZN2at6native12_GLOBAL__N_124unique_dim_cuda_templateIlEESt5tupleIJNSF_6TensorESK_SK_EERKSK_lbbbEUlllE0_EEPmJS9_EEE10hipError_tPvRmT3_T4_T5_T6_T7_T9_mT8_P12ihipStream_tbDpT10_ENKUlT_T0_E_clISt17integral_constantIbLb1EES19_IbLb0EEEEDaS15_S16_EUlS15_E_NS1_11comp_targetILNS1_3genE9ELNS1_11target_archE1100ELNS1_3gpuE3ELNS1_3repE0EEENS1_30default_config_static_selectorELNS0_4arch9wavefront6targetE0EEEvT1_ ; -- Begin function _ZN7rocprim17ROCPRIM_400000_NS6detail17trampoline_kernelINS0_14default_configENS1_25partition_config_selectorILNS1_17partition_subalgoE9EllbEEZZNS1_14partition_implILS5_9ELb0ES3_jPlS8_PNS0_10empty_typeENS0_5tupleIJS8_S9_EEENSB_IJS8_SA_EEENS0_18inequality_wrapperIZN2at6native12_GLOBAL__N_124unique_dim_cuda_templateIlEESt5tupleIJNSF_6TensorESK_SK_EERKSK_lbbbEUlllE0_EEPmJS9_EEE10hipError_tPvRmT3_T4_T5_T6_T7_T9_mT8_P12ihipStream_tbDpT10_ENKUlT_T0_E_clISt17integral_constantIbLb1EES19_IbLb0EEEEDaS15_S16_EUlS15_E_NS1_11comp_targetILNS1_3genE9ELNS1_11target_archE1100ELNS1_3gpuE3ELNS1_3repE0EEENS1_30default_config_static_selectorELNS0_4arch9wavefront6targetE0EEEvT1_
	.p2align	8
	.type	_ZN7rocprim17ROCPRIM_400000_NS6detail17trampoline_kernelINS0_14default_configENS1_25partition_config_selectorILNS1_17partition_subalgoE9EllbEEZZNS1_14partition_implILS5_9ELb0ES3_jPlS8_PNS0_10empty_typeENS0_5tupleIJS8_S9_EEENSB_IJS8_SA_EEENS0_18inequality_wrapperIZN2at6native12_GLOBAL__N_124unique_dim_cuda_templateIlEESt5tupleIJNSF_6TensorESK_SK_EERKSK_lbbbEUlllE0_EEPmJS9_EEE10hipError_tPvRmT3_T4_T5_T6_T7_T9_mT8_P12ihipStream_tbDpT10_ENKUlT_T0_E_clISt17integral_constantIbLb1EES19_IbLb0EEEEDaS15_S16_EUlS15_E_NS1_11comp_targetILNS1_3genE9ELNS1_11target_archE1100ELNS1_3gpuE3ELNS1_3repE0EEENS1_30default_config_static_selectorELNS0_4arch9wavefront6targetE0EEEvT1_,@function
_ZN7rocprim17ROCPRIM_400000_NS6detail17trampoline_kernelINS0_14default_configENS1_25partition_config_selectorILNS1_17partition_subalgoE9EllbEEZZNS1_14partition_implILS5_9ELb0ES3_jPlS8_PNS0_10empty_typeENS0_5tupleIJS8_S9_EEENSB_IJS8_SA_EEENS0_18inequality_wrapperIZN2at6native12_GLOBAL__N_124unique_dim_cuda_templateIlEESt5tupleIJNSF_6TensorESK_SK_EERKSK_lbbbEUlllE0_EEPmJS9_EEE10hipError_tPvRmT3_T4_T5_T6_T7_T9_mT8_P12ihipStream_tbDpT10_ENKUlT_T0_E_clISt17integral_constantIbLb1EES19_IbLb0EEEEDaS15_S16_EUlS15_E_NS1_11comp_targetILNS1_3genE9ELNS1_11target_archE1100ELNS1_3gpuE3ELNS1_3repE0EEENS1_30default_config_static_selectorELNS0_4arch9wavefront6targetE0EEEvT1_: ; @_ZN7rocprim17ROCPRIM_400000_NS6detail17trampoline_kernelINS0_14default_configENS1_25partition_config_selectorILNS1_17partition_subalgoE9EllbEEZZNS1_14partition_implILS5_9ELb0ES3_jPlS8_PNS0_10empty_typeENS0_5tupleIJS8_S9_EEENSB_IJS8_SA_EEENS0_18inequality_wrapperIZN2at6native12_GLOBAL__N_124unique_dim_cuda_templateIlEESt5tupleIJNSF_6TensorESK_SK_EERKSK_lbbbEUlllE0_EEPmJS9_EEE10hipError_tPvRmT3_T4_T5_T6_T7_T9_mT8_P12ihipStream_tbDpT10_ENKUlT_T0_E_clISt17integral_constantIbLb1EES19_IbLb0EEEEDaS15_S16_EUlS15_E_NS1_11comp_targetILNS1_3genE9ELNS1_11target_archE1100ELNS1_3gpuE3ELNS1_3repE0EEENS1_30default_config_static_selectorELNS0_4arch9wavefront6targetE0EEEvT1_
; %bb.0:
	.section	.rodata,"a",@progbits
	.p2align	6, 0x0
	.amdhsa_kernel _ZN7rocprim17ROCPRIM_400000_NS6detail17trampoline_kernelINS0_14default_configENS1_25partition_config_selectorILNS1_17partition_subalgoE9EllbEEZZNS1_14partition_implILS5_9ELb0ES3_jPlS8_PNS0_10empty_typeENS0_5tupleIJS8_S9_EEENSB_IJS8_SA_EEENS0_18inequality_wrapperIZN2at6native12_GLOBAL__N_124unique_dim_cuda_templateIlEESt5tupleIJNSF_6TensorESK_SK_EERKSK_lbbbEUlllE0_EEPmJS9_EEE10hipError_tPvRmT3_T4_T5_T6_T7_T9_mT8_P12ihipStream_tbDpT10_ENKUlT_T0_E_clISt17integral_constantIbLb1EES19_IbLb0EEEEDaS15_S16_EUlS15_E_NS1_11comp_targetILNS1_3genE9ELNS1_11target_archE1100ELNS1_3gpuE3ELNS1_3repE0EEENS1_30default_config_static_selectorELNS0_4arch9wavefront6targetE0EEEvT1_
		.amdhsa_group_segment_fixed_size 0
		.amdhsa_private_segment_fixed_size 0
		.amdhsa_kernarg_size 120
		.amdhsa_user_sgpr_count 2
		.amdhsa_user_sgpr_dispatch_ptr 0
		.amdhsa_user_sgpr_queue_ptr 0
		.amdhsa_user_sgpr_kernarg_segment_ptr 1
		.amdhsa_user_sgpr_dispatch_id 0
		.amdhsa_user_sgpr_kernarg_preload_length 0
		.amdhsa_user_sgpr_kernarg_preload_offset 0
		.amdhsa_user_sgpr_private_segment_size 0
		.amdhsa_wavefront_size32 1
		.amdhsa_uses_dynamic_stack 0
		.amdhsa_enable_private_segment 0
		.amdhsa_system_sgpr_workgroup_id_x 1
		.amdhsa_system_sgpr_workgroup_id_y 0
		.amdhsa_system_sgpr_workgroup_id_z 0
		.amdhsa_system_sgpr_workgroup_info 0
		.amdhsa_system_vgpr_workitem_id 0
		.amdhsa_next_free_vgpr 1
		.amdhsa_next_free_sgpr 1
		.amdhsa_named_barrier_count 0
		.amdhsa_reserve_vcc 0
		.amdhsa_float_round_mode_32 0
		.amdhsa_float_round_mode_16_64 0
		.amdhsa_float_denorm_mode_32 3
		.amdhsa_float_denorm_mode_16_64 3
		.amdhsa_fp16_overflow 0
		.amdhsa_memory_ordered 1
		.amdhsa_forward_progress 1
		.amdhsa_inst_pref_size 0
		.amdhsa_round_robin_scheduling 0
		.amdhsa_exception_fp_ieee_invalid_op 0
		.amdhsa_exception_fp_denorm_src 0
		.amdhsa_exception_fp_ieee_div_zero 0
		.amdhsa_exception_fp_ieee_overflow 0
		.amdhsa_exception_fp_ieee_underflow 0
		.amdhsa_exception_fp_ieee_inexact 0
		.amdhsa_exception_int_div_zero 0
	.end_amdhsa_kernel
	.section	.text._ZN7rocprim17ROCPRIM_400000_NS6detail17trampoline_kernelINS0_14default_configENS1_25partition_config_selectorILNS1_17partition_subalgoE9EllbEEZZNS1_14partition_implILS5_9ELb0ES3_jPlS8_PNS0_10empty_typeENS0_5tupleIJS8_S9_EEENSB_IJS8_SA_EEENS0_18inequality_wrapperIZN2at6native12_GLOBAL__N_124unique_dim_cuda_templateIlEESt5tupleIJNSF_6TensorESK_SK_EERKSK_lbbbEUlllE0_EEPmJS9_EEE10hipError_tPvRmT3_T4_T5_T6_T7_T9_mT8_P12ihipStream_tbDpT10_ENKUlT_T0_E_clISt17integral_constantIbLb1EES19_IbLb0EEEEDaS15_S16_EUlS15_E_NS1_11comp_targetILNS1_3genE9ELNS1_11target_archE1100ELNS1_3gpuE3ELNS1_3repE0EEENS1_30default_config_static_selectorELNS0_4arch9wavefront6targetE0EEEvT1_,"axG",@progbits,_ZN7rocprim17ROCPRIM_400000_NS6detail17trampoline_kernelINS0_14default_configENS1_25partition_config_selectorILNS1_17partition_subalgoE9EllbEEZZNS1_14partition_implILS5_9ELb0ES3_jPlS8_PNS0_10empty_typeENS0_5tupleIJS8_S9_EEENSB_IJS8_SA_EEENS0_18inequality_wrapperIZN2at6native12_GLOBAL__N_124unique_dim_cuda_templateIlEESt5tupleIJNSF_6TensorESK_SK_EERKSK_lbbbEUlllE0_EEPmJS9_EEE10hipError_tPvRmT3_T4_T5_T6_T7_T9_mT8_P12ihipStream_tbDpT10_ENKUlT_T0_E_clISt17integral_constantIbLb1EES19_IbLb0EEEEDaS15_S16_EUlS15_E_NS1_11comp_targetILNS1_3genE9ELNS1_11target_archE1100ELNS1_3gpuE3ELNS1_3repE0EEENS1_30default_config_static_selectorELNS0_4arch9wavefront6targetE0EEEvT1_,comdat
.Lfunc_end617:
	.size	_ZN7rocprim17ROCPRIM_400000_NS6detail17trampoline_kernelINS0_14default_configENS1_25partition_config_selectorILNS1_17partition_subalgoE9EllbEEZZNS1_14partition_implILS5_9ELb0ES3_jPlS8_PNS0_10empty_typeENS0_5tupleIJS8_S9_EEENSB_IJS8_SA_EEENS0_18inequality_wrapperIZN2at6native12_GLOBAL__N_124unique_dim_cuda_templateIlEESt5tupleIJNSF_6TensorESK_SK_EERKSK_lbbbEUlllE0_EEPmJS9_EEE10hipError_tPvRmT3_T4_T5_T6_T7_T9_mT8_P12ihipStream_tbDpT10_ENKUlT_T0_E_clISt17integral_constantIbLb1EES19_IbLb0EEEEDaS15_S16_EUlS15_E_NS1_11comp_targetILNS1_3genE9ELNS1_11target_archE1100ELNS1_3gpuE3ELNS1_3repE0EEENS1_30default_config_static_selectorELNS0_4arch9wavefront6targetE0EEEvT1_, .Lfunc_end617-_ZN7rocprim17ROCPRIM_400000_NS6detail17trampoline_kernelINS0_14default_configENS1_25partition_config_selectorILNS1_17partition_subalgoE9EllbEEZZNS1_14partition_implILS5_9ELb0ES3_jPlS8_PNS0_10empty_typeENS0_5tupleIJS8_S9_EEENSB_IJS8_SA_EEENS0_18inequality_wrapperIZN2at6native12_GLOBAL__N_124unique_dim_cuda_templateIlEESt5tupleIJNSF_6TensorESK_SK_EERKSK_lbbbEUlllE0_EEPmJS9_EEE10hipError_tPvRmT3_T4_T5_T6_T7_T9_mT8_P12ihipStream_tbDpT10_ENKUlT_T0_E_clISt17integral_constantIbLb1EES19_IbLb0EEEEDaS15_S16_EUlS15_E_NS1_11comp_targetILNS1_3genE9ELNS1_11target_archE1100ELNS1_3gpuE3ELNS1_3repE0EEENS1_30default_config_static_selectorELNS0_4arch9wavefront6targetE0EEEvT1_
                                        ; -- End function
	.set _ZN7rocprim17ROCPRIM_400000_NS6detail17trampoline_kernelINS0_14default_configENS1_25partition_config_selectorILNS1_17partition_subalgoE9EllbEEZZNS1_14partition_implILS5_9ELb0ES3_jPlS8_PNS0_10empty_typeENS0_5tupleIJS8_S9_EEENSB_IJS8_SA_EEENS0_18inequality_wrapperIZN2at6native12_GLOBAL__N_124unique_dim_cuda_templateIlEESt5tupleIJNSF_6TensorESK_SK_EERKSK_lbbbEUlllE0_EEPmJS9_EEE10hipError_tPvRmT3_T4_T5_T6_T7_T9_mT8_P12ihipStream_tbDpT10_ENKUlT_T0_E_clISt17integral_constantIbLb1EES19_IbLb0EEEEDaS15_S16_EUlS15_E_NS1_11comp_targetILNS1_3genE9ELNS1_11target_archE1100ELNS1_3gpuE3ELNS1_3repE0EEENS1_30default_config_static_selectorELNS0_4arch9wavefront6targetE0EEEvT1_.num_vgpr, 0
	.set _ZN7rocprim17ROCPRIM_400000_NS6detail17trampoline_kernelINS0_14default_configENS1_25partition_config_selectorILNS1_17partition_subalgoE9EllbEEZZNS1_14partition_implILS5_9ELb0ES3_jPlS8_PNS0_10empty_typeENS0_5tupleIJS8_S9_EEENSB_IJS8_SA_EEENS0_18inequality_wrapperIZN2at6native12_GLOBAL__N_124unique_dim_cuda_templateIlEESt5tupleIJNSF_6TensorESK_SK_EERKSK_lbbbEUlllE0_EEPmJS9_EEE10hipError_tPvRmT3_T4_T5_T6_T7_T9_mT8_P12ihipStream_tbDpT10_ENKUlT_T0_E_clISt17integral_constantIbLb1EES19_IbLb0EEEEDaS15_S16_EUlS15_E_NS1_11comp_targetILNS1_3genE9ELNS1_11target_archE1100ELNS1_3gpuE3ELNS1_3repE0EEENS1_30default_config_static_selectorELNS0_4arch9wavefront6targetE0EEEvT1_.num_agpr, 0
	.set _ZN7rocprim17ROCPRIM_400000_NS6detail17trampoline_kernelINS0_14default_configENS1_25partition_config_selectorILNS1_17partition_subalgoE9EllbEEZZNS1_14partition_implILS5_9ELb0ES3_jPlS8_PNS0_10empty_typeENS0_5tupleIJS8_S9_EEENSB_IJS8_SA_EEENS0_18inequality_wrapperIZN2at6native12_GLOBAL__N_124unique_dim_cuda_templateIlEESt5tupleIJNSF_6TensorESK_SK_EERKSK_lbbbEUlllE0_EEPmJS9_EEE10hipError_tPvRmT3_T4_T5_T6_T7_T9_mT8_P12ihipStream_tbDpT10_ENKUlT_T0_E_clISt17integral_constantIbLb1EES19_IbLb0EEEEDaS15_S16_EUlS15_E_NS1_11comp_targetILNS1_3genE9ELNS1_11target_archE1100ELNS1_3gpuE3ELNS1_3repE0EEENS1_30default_config_static_selectorELNS0_4arch9wavefront6targetE0EEEvT1_.numbered_sgpr, 0
	.set _ZN7rocprim17ROCPRIM_400000_NS6detail17trampoline_kernelINS0_14default_configENS1_25partition_config_selectorILNS1_17partition_subalgoE9EllbEEZZNS1_14partition_implILS5_9ELb0ES3_jPlS8_PNS0_10empty_typeENS0_5tupleIJS8_S9_EEENSB_IJS8_SA_EEENS0_18inequality_wrapperIZN2at6native12_GLOBAL__N_124unique_dim_cuda_templateIlEESt5tupleIJNSF_6TensorESK_SK_EERKSK_lbbbEUlllE0_EEPmJS9_EEE10hipError_tPvRmT3_T4_T5_T6_T7_T9_mT8_P12ihipStream_tbDpT10_ENKUlT_T0_E_clISt17integral_constantIbLb1EES19_IbLb0EEEEDaS15_S16_EUlS15_E_NS1_11comp_targetILNS1_3genE9ELNS1_11target_archE1100ELNS1_3gpuE3ELNS1_3repE0EEENS1_30default_config_static_selectorELNS0_4arch9wavefront6targetE0EEEvT1_.num_named_barrier, 0
	.set _ZN7rocprim17ROCPRIM_400000_NS6detail17trampoline_kernelINS0_14default_configENS1_25partition_config_selectorILNS1_17partition_subalgoE9EllbEEZZNS1_14partition_implILS5_9ELb0ES3_jPlS8_PNS0_10empty_typeENS0_5tupleIJS8_S9_EEENSB_IJS8_SA_EEENS0_18inequality_wrapperIZN2at6native12_GLOBAL__N_124unique_dim_cuda_templateIlEESt5tupleIJNSF_6TensorESK_SK_EERKSK_lbbbEUlllE0_EEPmJS9_EEE10hipError_tPvRmT3_T4_T5_T6_T7_T9_mT8_P12ihipStream_tbDpT10_ENKUlT_T0_E_clISt17integral_constantIbLb1EES19_IbLb0EEEEDaS15_S16_EUlS15_E_NS1_11comp_targetILNS1_3genE9ELNS1_11target_archE1100ELNS1_3gpuE3ELNS1_3repE0EEENS1_30default_config_static_selectorELNS0_4arch9wavefront6targetE0EEEvT1_.private_seg_size, 0
	.set _ZN7rocprim17ROCPRIM_400000_NS6detail17trampoline_kernelINS0_14default_configENS1_25partition_config_selectorILNS1_17partition_subalgoE9EllbEEZZNS1_14partition_implILS5_9ELb0ES3_jPlS8_PNS0_10empty_typeENS0_5tupleIJS8_S9_EEENSB_IJS8_SA_EEENS0_18inequality_wrapperIZN2at6native12_GLOBAL__N_124unique_dim_cuda_templateIlEESt5tupleIJNSF_6TensorESK_SK_EERKSK_lbbbEUlllE0_EEPmJS9_EEE10hipError_tPvRmT3_T4_T5_T6_T7_T9_mT8_P12ihipStream_tbDpT10_ENKUlT_T0_E_clISt17integral_constantIbLb1EES19_IbLb0EEEEDaS15_S16_EUlS15_E_NS1_11comp_targetILNS1_3genE9ELNS1_11target_archE1100ELNS1_3gpuE3ELNS1_3repE0EEENS1_30default_config_static_selectorELNS0_4arch9wavefront6targetE0EEEvT1_.uses_vcc, 0
	.set _ZN7rocprim17ROCPRIM_400000_NS6detail17trampoline_kernelINS0_14default_configENS1_25partition_config_selectorILNS1_17partition_subalgoE9EllbEEZZNS1_14partition_implILS5_9ELb0ES3_jPlS8_PNS0_10empty_typeENS0_5tupleIJS8_S9_EEENSB_IJS8_SA_EEENS0_18inequality_wrapperIZN2at6native12_GLOBAL__N_124unique_dim_cuda_templateIlEESt5tupleIJNSF_6TensorESK_SK_EERKSK_lbbbEUlllE0_EEPmJS9_EEE10hipError_tPvRmT3_T4_T5_T6_T7_T9_mT8_P12ihipStream_tbDpT10_ENKUlT_T0_E_clISt17integral_constantIbLb1EES19_IbLb0EEEEDaS15_S16_EUlS15_E_NS1_11comp_targetILNS1_3genE9ELNS1_11target_archE1100ELNS1_3gpuE3ELNS1_3repE0EEENS1_30default_config_static_selectorELNS0_4arch9wavefront6targetE0EEEvT1_.uses_flat_scratch, 0
	.set _ZN7rocprim17ROCPRIM_400000_NS6detail17trampoline_kernelINS0_14default_configENS1_25partition_config_selectorILNS1_17partition_subalgoE9EllbEEZZNS1_14partition_implILS5_9ELb0ES3_jPlS8_PNS0_10empty_typeENS0_5tupleIJS8_S9_EEENSB_IJS8_SA_EEENS0_18inequality_wrapperIZN2at6native12_GLOBAL__N_124unique_dim_cuda_templateIlEESt5tupleIJNSF_6TensorESK_SK_EERKSK_lbbbEUlllE0_EEPmJS9_EEE10hipError_tPvRmT3_T4_T5_T6_T7_T9_mT8_P12ihipStream_tbDpT10_ENKUlT_T0_E_clISt17integral_constantIbLb1EES19_IbLb0EEEEDaS15_S16_EUlS15_E_NS1_11comp_targetILNS1_3genE9ELNS1_11target_archE1100ELNS1_3gpuE3ELNS1_3repE0EEENS1_30default_config_static_selectorELNS0_4arch9wavefront6targetE0EEEvT1_.has_dyn_sized_stack, 0
	.set _ZN7rocprim17ROCPRIM_400000_NS6detail17trampoline_kernelINS0_14default_configENS1_25partition_config_selectorILNS1_17partition_subalgoE9EllbEEZZNS1_14partition_implILS5_9ELb0ES3_jPlS8_PNS0_10empty_typeENS0_5tupleIJS8_S9_EEENSB_IJS8_SA_EEENS0_18inequality_wrapperIZN2at6native12_GLOBAL__N_124unique_dim_cuda_templateIlEESt5tupleIJNSF_6TensorESK_SK_EERKSK_lbbbEUlllE0_EEPmJS9_EEE10hipError_tPvRmT3_T4_T5_T6_T7_T9_mT8_P12ihipStream_tbDpT10_ENKUlT_T0_E_clISt17integral_constantIbLb1EES19_IbLb0EEEEDaS15_S16_EUlS15_E_NS1_11comp_targetILNS1_3genE9ELNS1_11target_archE1100ELNS1_3gpuE3ELNS1_3repE0EEENS1_30default_config_static_selectorELNS0_4arch9wavefront6targetE0EEEvT1_.has_recursion, 0
	.set _ZN7rocprim17ROCPRIM_400000_NS6detail17trampoline_kernelINS0_14default_configENS1_25partition_config_selectorILNS1_17partition_subalgoE9EllbEEZZNS1_14partition_implILS5_9ELb0ES3_jPlS8_PNS0_10empty_typeENS0_5tupleIJS8_S9_EEENSB_IJS8_SA_EEENS0_18inequality_wrapperIZN2at6native12_GLOBAL__N_124unique_dim_cuda_templateIlEESt5tupleIJNSF_6TensorESK_SK_EERKSK_lbbbEUlllE0_EEPmJS9_EEE10hipError_tPvRmT3_T4_T5_T6_T7_T9_mT8_P12ihipStream_tbDpT10_ENKUlT_T0_E_clISt17integral_constantIbLb1EES19_IbLb0EEEEDaS15_S16_EUlS15_E_NS1_11comp_targetILNS1_3genE9ELNS1_11target_archE1100ELNS1_3gpuE3ELNS1_3repE0EEENS1_30default_config_static_selectorELNS0_4arch9wavefront6targetE0EEEvT1_.has_indirect_call, 0
	.section	.AMDGPU.csdata,"",@progbits
; Kernel info:
; codeLenInByte = 0
; TotalNumSgprs: 0
; NumVgprs: 0
; ScratchSize: 0
; MemoryBound: 0
; FloatMode: 240
; IeeeMode: 1
; LDSByteSize: 0 bytes/workgroup (compile time only)
; SGPRBlocks: 0
; VGPRBlocks: 0
; NumSGPRsForWavesPerEU: 1
; NumVGPRsForWavesPerEU: 1
; NamedBarCnt: 0
; Occupancy: 16
; WaveLimiterHint : 0
; COMPUTE_PGM_RSRC2:SCRATCH_EN: 0
; COMPUTE_PGM_RSRC2:USER_SGPR: 2
; COMPUTE_PGM_RSRC2:TRAP_HANDLER: 0
; COMPUTE_PGM_RSRC2:TGID_X_EN: 1
; COMPUTE_PGM_RSRC2:TGID_Y_EN: 0
; COMPUTE_PGM_RSRC2:TGID_Z_EN: 0
; COMPUTE_PGM_RSRC2:TIDIG_COMP_CNT: 0
	.section	.text._ZN7rocprim17ROCPRIM_400000_NS6detail17trampoline_kernelINS0_14default_configENS1_25partition_config_selectorILNS1_17partition_subalgoE9EllbEEZZNS1_14partition_implILS5_9ELb0ES3_jPlS8_PNS0_10empty_typeENS0_5tupleIJS8_S9_EEENSB_IJS8_SA_EEENS0_18inequality_wrapperIZN2at6native12_GLOBAL__N_124unique_dim_cuda_templateIlEESt5tupleIJNSF_6TensorESK_SK_EERKSK_lbbbEUlllE0_EEPmJS9_EEE10hipError_tPvRmT3_T4_T5_T6_T7_T9_mT8_P12ihipStream_tbDpT10_ENKUlT_T0_E_clISt17integral_constantIbLb1EES19_IbLb0EEEEDaS15_S16_EUlS15_E_NS1_11comp_targetILNS1_3genE8ELNS1_11target_archE1030ELNS1_3gpuE2ELNS1_3repE0EEENS1_30default_config_static_selectorELNS0_4arch9wavefront6targetE0EEEvT1_,"axG",@progbits,_ZN7rocprim17ROCPRIM_400000_NS6detail17trampoline_kernelINS0_14default_configENS1_25partition_config_selectorILNS1_17partition_subalgoE9EllbEEZZNS1_14partition_implILS5_9ELb0ES3_jPlS8_PNS0_10empty_typeENS0_5tupleIJS8_S9_EEENSB_IJS8_SA_EEENS0_18inequality_wrapperIZN2at6native12_GLOBAL__N_124unique_dim_cuda_templateIlEESt5tupleIJNSF_6TensorESK_SK_EERKSK_lbbbEUlllE0_EEPmJS9_EEE10hipError_tPvRmT3_T4_T5_T6_T7_T9_mT8_P12ihipStream_tbDpT10_ENKUlT_T0_E_clISt17integral_constantIbLb1EES19_IbLb0EEEEDaS15_S16_EUlS15_E_NS1_11comp_targetILNS1_3genE8ELNS1_11target_archE1030ELNS1_3gpuE2ELNS1_3repE0EEENS1_30default_config_static_selectorELNS0_4arch9wavefront6targetE0EEEvT1_,comdat
	.globl	_ZN7rocprim17ROCPRIM_400000_NS6detail17trampoline_kernelINS0_14default_configENS1_25partition_config_selectorILNS1_17partition_subalgoE9EllbEEZZNS1_14partition_implILS5_9ELb0ES3_jPlS8_PNS0_10empty_typeENS0_5tupleIJS8_S9_EEENSB_IJS8_SA_EEENS0_18inequality_wrapperIZN2at6native12_GLOBAL__N_124unique_dim_cuda_templateIlEESt5tupleIJNSF_6TensorESK_SK_EERKSK_lbbbEUlllE0_EEPmJS9_EEE10hipError_tPvRmT3_T4_T5_T6_T7_T9_mT8_P12ihipStream_tbDpT10_ENKUlT_T0_E_clISt17integral_constantIbLb1EES19_IbLb0EEEEDaS15_S16_EUlS15_E_NS1_11comp_targetILNS1_3genE8ELNS1_11target_archE1030ELNS1_3gpuE2ELNS1_3repE0EEENS1_30default_config_static_selectorELNS0_4arch9wavefront6targetE0EEEvT1_ ; -- Begin function _ZN7rocprim17ROCPRIM_400000_NS6detail17trampoline_kernelINS0_14default_configENS1_25partition_config_selectorILNS1_17partition_subalgoE9EllbEEZZNS1_14partition_implILS5_9ELb0ES3_jPlS8_PNS0_10empty_typeENS0_5tupleIJS8_S9_EEENSB_IJS8_SA_EEENS0_18inequality_wrapperIZN2at6native12_GLOBAL__N_124unique_dim_cuda_templateIlEESt5tupleIJNSF_6TensorESK_SK_EERKSK_lbbbEUlllE0_EEPmJS9_EEE10hipError_tPvRmT3_T4_T5_T6_T7_T9_mT8_P12ihipStream_tbDpT10_ENKUlT_T0_E_clISt17integral_constantIbLb1EES19_IbLb0EEEEDaS15_S16_EUlS15_E_NS1_11comp_targetILNS1_3genE8ELNS1_11target_archE1030ELNS1_3gpuE2ELNS1_3repE0EEENS1_30default_config_static_selectorELNS0_4arch9wavefront6targetE0EEEvT1_
	.p2align	8
	.type	_ZN7rocprim17ROCPRIM_400000_NS6detail17trampoline_kernelINS0_14default_configENS1_25partition_config_selectorILNS1_17partition_subalgoE9EllbEEZZNS1_14partition_implILS5_9ELb0ES3_jPlS8_PNS0_10empty_typeENS0_5tupleIJS8_S9_EEENSB_IJS8_SA_EEENS0_18inequality_wrapperIZN2at6native12_GLOBAL__N_124unique_dim_cuda_templateIlEESt5tupleIJNSF_6TensorESK_SK_EERKSK_lbbbEUlllE0_EEPmJS9_EEE10hipError_tPvRmT3_T4_T5_T6_T7_T9_mT8_P12ihipStream_tbDpT10_ENKUlT_T0_E_clISt17integral_constantIbLb1EES19_IbLb0EEEEDaS15_S16_EUlS15_E_NS1_11comp_targetILNS1_3genE8ELNS1_11target_archE1030ELNS1_3gpuE2ELNS1_3repE0EEENS1_30default_config_static_selectorELNS0_4arch9wavefront6targetE0EEEvT1_,@function
_ZN7rocprim17ROCPRIM_400000_NS6detail17trampoline_kernelINS0_14default_configENS1_25partition_config_selectorILNS1_17partition_subalgoE9EllbEEZZNS1_14partition_implILS5_9ELb0ES3_jPlS8_PNS0_10empty_typeENS0_5tupleIJS8_S9_EEENSB_IJS8_SA_EEENS0_18inequality_wrapperIZN2at6native12_GLOBAL__N_124unique_dim_cuda_templateIlEESt5tupleIJNSF_6TensorESK_SK_EERKSK_lbbbEUlllE0_EEPmJS9_EEE10hipError_tPvRmT3_T4_T5_T6_T7_T9_mT8_P12ihipStream_tbDpT10_ENKUlT_T0_E_clISt17integral_constantIbLb1EES19_IbLb0EEEEDaS15_S16_EUlS15_E_NS1_11comp_targetILNS1_3genE8ELNS1_11target_archE1030ELNS1_3gpuE2ELNS1_3repE0EEENS1_30default_config_static_selectorELNS0_4arch9wavefront6targetE0EEEvT1_: ; @_ZN7rocprim17ROCPRIM_400000_NS6detail17trampoline_kernelINS0_14default_configENS1_25partition_config_selectorILNS1_17partition_subalgoE9EllbEEZZNS1_14partition_implILS5_9ELb0ES3_jPlS8_PNS0_10empty_typeENS0_5tupleIJS8_S9_EEENSB_IJS8_SA_EEENS0_18inequality_wrapperIZN2at6native12_GLOBAL__N_124unique_dim_cuda_templateIlEESt5tupleIJNSF_6TensorESK_SK_EERKSK_lbbbEUlllE0_EEPmJS9_EEE10hipError_tPvRmT3_T4_T5_T6_T7_T9_mT8_P12ihipStream_tbDpT10_ENKUlT_T0_E_clISt17integral_constantIbLb1EES19_IbLb0EEEEDaS15_S16_EUlS15_E_NS1_11comp_targetILNS1_3genE8ELNS1_11target_archE1030ELNS1_3gpuE2ELNS1_3repE0EEENS1_30default_config_static_selectorELNS0_4arch9wavefront6targetE0EEEvT1_
; %bb.0:
	.section	.rodata,"a",@progbits
	.p2align	6, 0x0
	.amdhsa_kernel _ZN7rocprim17ROCPRIM_400000_NS6detail17trampoline_kernelINS0_14default_configENS1_25partition_config_selectorILNS1_17partition_subalgoE9EllbEEZZNS1_14partition_implILS5_9ELb0ES3_jPlS8_PNS0_10empty_typeENS0_5tupleIJS8_S9_EEENSB_IJS8_SA_EEENS0_18inequality_wrapperIZN2at6native12_GLOBAL__N_124unique_dim_cuda_templateIlEESt5tupleIJNSF_6TensorESK_SK_EERKSK_lbbbEUlllE0_EEPmJS9_EEE10hipError_tPvRmT3_T4_T5_T6_T7_T9_mT8_P12ihipStream_tbDpT10_ENKUlT_T0_E_clISt17integral_constantIbLb1EES19_IbLb0EEEEDaS15_S16_EUlS15_E_NS1_11comp_targetILNS1_3genE8ELNS1_11target_archE1030ELNS1_3gpuE2ELNS1_3repE0EEENS1_30default_config_static_selectorELNS0_4arch9wavefront6targetE0EEEvT1_
		.amdhsa_group_segment_fixed_size 0
		.amdhsa_private_segment_fixed_size 0
		.amdhsa_kernarg_size 120
		.amdhsa_user_sgpr_count 2
		.amdhsa_user_sgpr_dispatch_ptr 0
		.amdhsa_user_sgpr_queue_ptr 0
		.amdhsa_user_sgpr_kernarg_segment_ptr 1
		.amdhsa_user_sgpr_dispatch_id 0
		.amdhsa_user_sgpr_kernarg_preload_length 0
		.amdhsa_user_sgpr_kernarg_preload_offset 0
		.amdhsa_user_sgpr_private_segment_size 0
		.amdhsa_wavefront_size32 1
		.amdhsa_uses_dynamic_stack 0
		.amdhsa_enable_private_segment 0
		.amdhsa_system_sgpr_workgroup_id_x 1
		.amdhsa_system_sgpr_workgroup_id_y 0
		.amdhsa_system_sgpr_workgroup_id_z 0
		.amdhsa_system_sgpr_workgroup_info 0
		.amdhsa_system_vgpr_workitem_id 0
		.amdhsa_next_free_vgpr 1
		.amdhsa_next_free_sgpr 1
		.amdhsa_named_barrier_count 0
		.amdhsa_reserve_vcc 0
		.amdhsa_float_round_mode_32 0
		.amdhsa_float_round_mode_16_64 0
		.amdhsa_float_denorm_mode_32 3
		.amdhsa_float_denorm_mode_16_64 3
		.amdhsa_fp16_overflow 0
		.amdhsa_memory_ordered 1
		.amdhsa_forward_progress 1
		.amdhsa_inst_pref_size 0
		.amdhsa_round_robin_scheduling 0
		.amdhsa_exception_fp_ieee_invalid_op 0
		.amdhsa_exception_fp_denorm_src 0
		.amdhsa_exception_fp_ieee_div_zero 0
		.amdhsa_exception_fp_ieee_overflow 0
		.amdhsa_exception_fp_ieee_underflow 0
		.amdhsa_exception_fp_ieee_inexact 0
		.amdhsa_exception_int_div_zero 0
	.end_amdhsa_kernel
	.section	.text._ZN7rocprim17ROCPRIM_400000_NS6detail17trampoline_kernelINS0_14default_configENS1_25partition_config_selectorILNS1_17partition_subalgoE9EllbEEZZNS1_14partition_implILS5_9ELb0ES3_jPlS8_PNS0_10empty_typeENS0_5tupleIJS8_S9_EEENSB_IJS8_SA_EEENS0_18inequality_wrapperIZN2at6native12_GLOBAL__N_124unique_dim_cuda_templateIlEESt5tupleIJNSF_6TensorESK_SK_EERKSK_lbbbEUlllE0_EEPmJS9_EEE10hipError_tPvRmT3_T4_T5_T6_T7_T9_mT8_P12ihipStream_tbDpT10_ENKUlT_T0_E_clISt17integral_constantIbLb1EES19_IbLb0EEEEDaS15_S16_EUlS15_E_NS1_11comp_targetILNS1_3genE8ELNS1_11target_archE1030ELNS1_3gpuE2ELNS1_3repE0EEENS1_30default_config_static_selectorELNS0_4arch9wavefront6targetE0EEEvT1_,"axG",@progbits,_ZN7rocprim17ROCPRIM_400000_NS6detail17trampoline_kernelINS0_14default_configENS1_25partition_config_selectorILNS1_17partition_subalgoE9EllbEEZZNS1_14partition_implILS5_9ELb0ES3_jPlS8_PNS0_10empty_typeENS0_5tupleIJS8_S9_EEENSB_IJS8_SA_EEENS0_18inequality_wrapperIZN2at6native12_GLOBAL__N_124unique_dim_cuda_templateIlEESt5tupleIJNSF_6TensorESK_SK_EERKSK_lbbbEUlllE0_EEPmJS9_EEE10hipError_tPvRmT3_T4_T5_T6_T7_T9_mT8_P12ihipStream_tbDpT10_ENKUlT_T0_E_clISt17integral_constantIbLb1EES19_IbLb0EEEEDaS15_S16_EUlS15_E_NS1_11comp_targetILNS1_3genE8ELNS1_11target_archE1030ELNS1_3gpuE2ELNS1_3repE0EEENS1_30default_config_static_selectorELNS0_4arch9wavefront6targetE0EEEvT1_,comdat
.Lfunc_end618:
	.size	_ZN7rocprim17ROCPRIM_400000_NS6detail17trampoline_kernelINS0_14default_configENS1_25partition_config_selectorILNS1_17partition_subalgoE9EllbEEZZNS1_14partition_implILS5_9ELb0ES3_jPlS8_PNS0_10empty_typeENS0_5tupleIJS8_S9_EEENSB_IJS8_SA_EEENS0_18inequality_wrapperIZN2at6native12_GLOBAL__N_124unique_dim_cuda_templateIlEESt5tupleIJNSF_6TensorESK_SK_EERKSK_lbbbEUlllE0_EEPmJS9_EEE10hipError_tPvRmT3_T4_T5_T6_T7_T9_mT8_P12ihipStream_tbDpT10_ENKUlT_T0_E_clISt17integral_constantIbLb1EES19_IbLb0EEEEDaS15_S16_EUlS15_E_NS1_11comp_targetILNS1_3genE8ELNS1_11target_archE1030ELNS1_3gpuE2ELNS1_3repE0EEENS1_30default_config_static_selectorELNS0_4arch9wavefront6targetE0EEEvT1_, .Lfunc_end618-_ZN7rocprim17ROCPRIM_400000_NS6detail17trampoline_kernelINS0_14default_configENS1_25partition_config_selectorILNS1_17partition_subalgoE9EllbEEZZNS1_14partition_implILS5_9ELb0ES3_jPlS8_PNS0_10empty_typeENS0_5tupleIJS8_S9_EEENSB_IJS8_SA_EEENS0_18inequality_wrapperIZN2at6native12_GLOBAL__N_124unique_dim_cuda_templateIlEESt5tupleIJNSF_6TensorESK_SK_EERKSK_lbbbEUlllE0_EEPmJS9_EEE10hipError_tPvRmT3_T4_T5_T6_T7_T9_mT8_P12ihipStream_tbDpT10_ENKUlT_T0_E_clISt17integral_constantIbLb1EES19_IbLb0EEEEDaS15_S16_EUlS15_E_NS1_11comp_targetILNS1_3genE8ELNS1_11target_archE1030ELNS1_3gpuE2ELNS1_3repE0EEENS1_30default_config_static_selectorELNS0_4arch9wavefront6targetE0EEEvT1_
                                        ; -- End function
	.set _ZN7rocprim17ROCPRIM_400000_NS6detail17trampoline_kernelINS0_14default_configENS1_25partition_config_selectorILNS1_17partition_subalgoE9EllbEEZZNS1_14partition_implILS5_9ELb0ES3_jPlS8_PNS0_10empty_typeENS0_5tupleIJS8_S9_EEENSB_IJS8_SA_EEENS0_18inequality_wrapperIZN2at6native12_GLOBAL__N_124unique_dim_cuda_templateIlEESt5tupleIJNSF_6TensorESK_SK_EERKSK_lbbbEUlllE0_EEPmJS9_EEE10hipError_tPvRmT3_T4_T5_T6_T7_T9_mT8_P12ihipStream_tbDpT10_ENKUlT_T0_E_clISt17integral_constantIbLb1EES19_IbLb0EEEEDaS15_S16_EUlS15_E_NS1_11comp_targetILNS1_3genE8ELNS1_11target_archE1030ELNS1_3gpuE2ELNS1_3repE0EEENS1_30default_config_static_selectorELNS0_4arch9wavefront6targetE0EEEvT1_.num_vgpr, 0
	.set _ZN7rocprim17ROCPRIM_400000_NS6detail17trampoline_kernelINS0_14default_configENS1_25partition_config_selectorILNS1_17partition_subalgoE9EllbEEZZNS1_14partition_implILS5_9ELb0ES3_jPlS8_PNS0_10empty_typeENS0_5tupleIJS8_S9_EEENSB_IJS8_SA_EEENS0_18inequality_wrapperIZN2at6native12_GLOBAL__N_124unique_dim_cuda_templateIlEESt5tupleIJNSF_6TensorESK_SK_EERKSK_lbbbEUlllE0_EEPmJS9_EEE10hipError_tPvRmT3_T4_T5_T6_T7_T9_mT8_P12ihipStream_tbDpT10_ENKUlT_T0_E_clISt17integral_constantIbLb1EES19_IbLb0EEEEDaS15_S16_EUlS15_E_NS1_11comp_targetILNS1_3genE8ELNS1_11target_archE1030ELNS1_3gpuE2ELNS1_3repE0EEENS1_30default_config_static_selectorELNS0_4arch9wavefront6targetE0EEEvT1_.num_agpr, 0
	.set _ZN7rocprim17ROCPRIM_400000_NS6detail17trampoline_kernelINS0_14default_configENS1_25partition_config_selectorILNS1_17partition_subalgoE9EllbEEZZNS1_14partition_implILS5_9ELb0ES3_jPlS8_PNS0_10empty_typeENS0_5tupleIJS8_S9_EEENSB_IJS8_SA_EEENS0_18inequality_wrapperIZN2at6native12_GLOBAL__N_124unique_dim_cuda_templateIlEESt5tupleIJNSF_6TensorESK_SK_EERKSK_lbbbEUlllE0_EEPmJS9_EEE10hipError_tPvRmT3_T4_T5_T6_T7_T9_mT8_P12ihipStream_tbDpT10_ENKUlT_T0_E_clISt17integral_constantIbLb1EES19_IbLb0EEEEDaS15_S16_EUlS15_E_NS1_11comp_targetILNS1_3genE8ELNS1_11target_archE1030ELNS1_3gpuE2ELNS1_3repE0EEENS1_30default_config_static_selectorELNS0_4arch9wavefront6targetE0EEEvT1_.numbered_sgpr, 0
	.set _ZN7rocprim17ROCPRIM_400000_NS6detail17trampoline_kernelINS0_14default_configENS1_25partition_config_selectorILNS1_17partition_subalgoE9EllbEEZZNS1_14partition_implILS5_9ELb0ES3_jPlS8_PNS0_10empty_typeENS0_5tupleIJS8_S9_EEENSB_IJS8_SA_EEENS0_18inequality_wrapperIZN2at6native12_GLOBAL__N_124unique_dim_cuda_templateIlEESt5tupleIJNSF_6TensorESK_SK_EERKSK_lbbbEUlllE0_EEPmJS9_EEE10hipError_tPvRmT3_T4_T5_T6_T7_T9_mT8_P12ihipStream_tbDpT10_ENKUlT_T0_E_clISt17integral_constantIbLb1EES19_IbLb0EEEEDaS15_S16_EUlS15_E_NS1_11comp_targetILNS1_3genE8ELNS1_11target_archE1030ELNS1_3gpuE2ELNS1_3repE0EEENS1_30default_config_static_selectorELNS0_4arch9wavefront6targetE0EEEvT1_.num_named_barrier, 0
	.set _ZN7rocprim17ROCPRIM_400000_NS6detail17trampoline_kernelINS0_14default_configENS1_25partition_config_selectorILNS1_17partition_subalgoE9EllbEEZZNS1_14partition_implILS5_9ELb0ES3_jPlS8_PNS0_10empty_typeENS0_5tupleIJS8_S9_EEENSB_IJS8_SA_EEENS0_18inequality_wrapperIZN2at6native12_GLOBAL__N_124unique_dim_cuda_templateIlEESt5tupleIJNSF_6TensorESK_SK_EERKSK_lbbbEUlllE0_EEPmJS9_EEE10hipError_tPvRmT3_T4_T5_T6_T7_T9_mT8_P12ihipStream_tbDpT10_ENKUlT_T0_E_clISt17integral_constantIbLb1EES19_IbLb0EEEEDaS15_S16_EUlS15_E_NS1_11comp_targetILNS1_3genE8ELNS1_11target_archE1030ELNS1_3gpuE2ELNS1_3repE0EEENS1_30default_config_static_selectorELNS0_4arch9wavefront6targetE0EEEvT1_.private_seg_size, 0
	.set _ZN7rocprim17ROCPRIM_400000_NS6detail17trampoline_kernelINS0_14default_configENS1_25partition_config_selectorILNS1_17partition_subalgoE9EllbEEZZNS1_14partition_implILS5_9ELb0ES3_jPlS8_PNS0_10empty_typeENS0_5tupleIJS8_S9_EEENSB_IJS8_SA_EEENS0_18inequality_wrapperIZN2at6native12_GLOBAL__N_124unique_dim_cuda_templateIlEESt5tupleIJNSF_6TensorESK_SK_EERKSK_lbbbEUlllE0_EEPmJS9_EEE10hipError_tPvRmT3_T4_T5_T6_T7_T9_mT8_P12ihipStream_tbDpT10_ENKUlT_T0_E_clISt17integral_constantIbLb1EES19_IbLb0EEEEDaS15_S16_EUlS15_E_NS1_11comp_targetILNS1_3genE8ELNS1_11target_archE1030ELNS1_3gpuE2ELNS1_3repE0EEENS1_30default_config_static_selectorELNS0_4arch9wavefront6targetE0EEEvT1_.uses_vcc, 0
	.set _ZN7rocprim17ROCPRIM_400000_NS6detail17trampoline_kernelINS0_14default_configENS1_25partition_config_selectorILNS1_17partition_subalgoE9EllbEEZZNS1_14partition_implILS5_9ELb0ES3_jPlS8_PNS0_10empty_typeENS0_5tupleIJS8_S9_EEENSB_IJS8_SA_EEENS0_18inequality_wrapperIZN2at6native12_GLOBAL__N_124unique_dim_cuda_templateIlEESt5tupleIJNSF_6TensorESK_SK_EERKSK_lbbbEUlllE0_EEPmJS9_EEE10hipError_tPvRmT3_T4_T5_T6_T7_T9_mT8_P12ihipStream_tbDpT10_ENKUlT_T0_E_clISt17integral_constantIbLb1EES19_IbLb0EEEEDaS15_S16_EUlS15_E_NS1_11comp_targetILNS1_3genE8ELNS1_11target_archE1030ELNS1_3gpuE2ELNS1_3repE0EEENS1_30default_config_static_selectorELNS0_4arch9wavefront6targetE0EEEvT1_.uses_flat_scratch, 0
	.set _ZN7rocprim17ROCPRIM_400000_NS6detail17trampoline_kernelINS0_14default_configENS1_25partition_config_selectorILNS1_17partition_subalgoE9EllbEEZZNS1_14partition_implILS5_9ELb0ES3_jPlS8_PNS0_10empty_typeENS0_5tupleIJS8_S9_EEENSB_IJS8_SA_EEENS0_18inequality_wrapperIZN2at6native12_GLOBAL__N_124unique_dim_cuda_templateIlEESt5tupleIJNSF_6TensorESK_SK_EERKSK_lbbbEUlllE0_EEPmJS9_EEE10hipError_tPvRmT3_T4_T5_T6_T7_T9_mT8_P12ihipStream_tbDpT10_ENKUlT_T0_E_clISt17integral_constantIbLb1EES19_IbLb0EEEEDaS15_S16_EUlS15_E_NS1_11comp_targetILNS1_3genE8ELNS1_11target_archE1030ELNS1_3gpuE2ELNS1_3repE0EEENS1_30default_config_static_selectorELNS0_4arch9wavefront6targetE0EEEvT1_.has_dyn_sized_stack, 0
	.set _ZN7rocprim17ROCPRIM_400000_NS6detail17trampoline_kernelINS0_14default_configENS1_25partition_config_selectorILNS1_17partition_subalgoE9EllbEEZZNS1_14partition_implILS5_9ELb0ES3_jPlS8_PNS0_10empty_typeENS0_5tupleIJS8_S9_EEENSB_IJS8_SA_EEENS0_18inequality_wrapperIZN2at6native12_GLOBAL__N_124unique_dim_cuda_templateIlEESt5tupleIJNSF_6TensorESK_SK_EERKSK_lbbbEUlllE0_EEPmJS9_EEE10hipError_tPvRmT3_T4_T5_T6_T7_T9_mT8_P12ihipStream_tbDpT10_ENKUlT_T0_E_clISt17integral_constantIbLb1EES19_IbLb0EEEEDaS15_S16_EUlS15_E_NS1_11comp_targetILNS1_3genE8ELNS1_11target_archE1030ELNS1_3gpuE2ELNS1_3repE0EEENS1_30default_config_static_selectorELNS0_4arch9wavefront6targetE0EEEvT1_.has_recursion, 0
	.set _ZN7rocprim17ROCPRIM_400000_NS6detail17trampoline_kernelINS0_14default_configENS1_25partition_config_selectorILNS1_17partition_subalgoE9EllbEEZZNS1_14partition_implILS5_9ELb0ES3_jPlS8_PNS0_10empty_typeENS0_5tupleIJS8_S9_EEENSB_IJS8_SA_EEENS0_18inequality_wrapperIZN2at6native12_GLOBAL__N_124unique_dim_cuda_templateIlEESt5tupleIJNSF_6TensorESK_SK_EERKSK_lbbbEUlllE0_EEPmJS9_EEE10hipError_tPvRmT3_T4_T5_T6_T7_T9_mT8_P12ihipStream_tbDpT10_ENKUlT_T0_E_clISt17integral_constantIbLb1EES19_IbLb0EEEEDaS15_S16_EUlS15_E_NS1_11comp_targetILNS1_3genE8ELNS1_11target_archE1030ELNS1_3gpuE2ELNS1_3repE0EEENS1_30default_config_static_selectorELNS0_4arch9wavefront6targetE0EEEvT1_.has_indirect_call, 0
	.section	.AMDGPU.csdata,"",@progbits
; Kernel info:
; codeLenInByte = 0
; TotalNumSgprs: 0
; NumVgprs: 0
; ScratchSize: 0
; MemoryBound: 0
; FloatMode: 240
; IeeeMode: 1
; LDSByteSize: 0 bytes/workgroup (compile time only)
; SGPRBlocks: 0
; VGPRBlocks: 0
; NumSGPRsForWavesPerEU: 1
; NumVGPRsForWavesPerEU: 1
; NamedBarCnt: 0
; Occupancy: 16
; WaveLimiterHint : 0
; COMPUTE_PGM_RSRC2:SCRATCH_EN: 0
; COMPUTE_PGM_RSRC2:USER_SGPR: 2
; COMPUTE_PGM_RSRC2:TRAP_HANDLER: 0
; COMPUTE_PGM_RSRC2:TGID_X_EN: 1
; COMPUTE_PGM_RSRC2:TGID_Y_EN: 0
; COMPUTE_PGM_RSRC2:TGID_Z_EN: 0
; COMPUTE_PGM_RSRC2:TIDIG_COMP_CNT: 0
	.section	.text._ZN7rocprim17ROCPRIM_400000_NS6detail17trampoline_kernelINS0_14default_configENS1_25partition_config_selectorILNS1_17partition_subalgoE9EllbEEZZNS1_14partition_implILS5_9ELb0ES3_jPlS8_PNS0_10empty_typeENS0_5tupleIJS8_S9_EEENSB_IJS8_SA_EEENS0_18inequality_wrapperIZN2at6native12_GLOBAL__N_124unique_dim_cuda_templateIlEESt5tupleIJNSF_6TensorESK_SK_EERKSK_lbbbEUlllE0_EEPmJS9_EEE10hipError_tPvRmT3_T4_T5_T6_T7_T9_mT8_P12ihipStream_tbDpT10_ENKUlT_T0_E_clISt17integral_constantIbLb0EES19_IbLb1EEEEDaS15_S16_EUlS15_E_NS1_11comp_targetILNS1_3genE0ELNS1_11target_archE4294967295ELNS1_3gpuE0ELNS1_3repE0EEENS1_30default_config_static_selectorELNS0_4arch9wavefront6targetE0EEEvT1_,"axG",@progbits,_ZN7rocprim17ROCPRIM_400000_NS6detail17trampoline_kernelINS0_14default_configENS1_25partition_config_selectorILNS1_17partition_subalgoE9EllbEEZZNS1_14partition_implILS5_9ELb0ES3_jPlS8_PNS0_10empty_typeENS0_5tupleIJS8_S9_EEENSB_IJS8_SA_EEENS0_18inequality_wrapperIZN2at6native12_GLOBAL__N_124unique_dim_cuda_templateIlEESt5tupleIJNSF_6TensorESK_SK_EERKSK_lbbbEUlllE0_EEPmJS9_EEE10hipError_tPvRmT3_T4_T5_T6_T7_T9_mT8_P12ihipStream_tbDpT10_ENKUlT_T0_E_clISt17integral_constantIbLb0EES19_IbLb1EEEEDaS15_S16_EUlS15_E_NS1_11comp_targetILNS1_3genE0ELNS1_11target_archE4294967295ELNS1_3gpuE0ELNS1_3repE0EEENS1_30default_config_static_selectorELNS0_4arch9wavefront6targetE0EEEvT1_,comdat
	.globl	_ZN7rocprim17ROCPRIM_400000_NS6detail17trampoline_kernelINS0_14default_configENS1_25partition_config_selectorILNS1_17partition_subalgoE9EllbEEZZNS1_14partition_implILS5_9ELb0ES3_jPlS8_PNS0_10empty_typeENS0_5tupleIJS8_S9_EEENSB_IJS8_SA_EEENS0_18inequality_wrapperIZN2at6native12_GLOBAL__N_124unique_dim_cuda_templateIlEESt5tupleIJNSF_6TensorESK_SK_EERKSK_lbbbEUlllE0_EEPmJS9_EEE10hipError_tPvRmT3_T4_T5_T6_T7_T9_mT8_P12ihipStream_tbDpT10_ENKUlT_T0_E_clISt17integral_constantIbLb0EES19_IbLb1EEEEDaS15_S16_EUlS15_E_NS1_11comp_targetILNS1_3genE0ELNS1_11target_archE4294967295ELNS1_3gpuE0ELNS1_3repE0EEENS1_30default_config_static_selectorELNS0_4arch9wavefront6targetE0EEEvT1_ ; -- Begin function _ZN7rocprim17ROCPRIM_400000_NS6detail17trampoline_kernelINS0_14default_configENS1_25partition_config_selectorILNS1_17partition_subalgoE9EllbEEZZNS1_14partition_implILS5_9ELb0ES3_jPlS8_PNS0_10empty_typeENS0_5tupleIJS8_S9_EEENSB_IJS8_SA_EEENS0_18inequality_wrapperIZN2at6native12_GLOBAL__N_124unique_dim_cuda_templateIlEESt5tupleIJNSF_6TensorESK_SK_EERKSK_lbbbEUlllE0_EEPmJS9_EEE10hipError_tPvRmT3_T4_T5_T6_T7_T9_mT8_P12ihipStream_tbDpT10_ENKUlT_T0_E_clISt17integral_constantIbLb0EES19_IbLb1EEEEDaS15_S16_EUlS15_E_NS1_11comp_targetILNS1_3genE0ELNS1_11target_archE4294967295ELNS1_3gpuE0ELNS1_3repE0EEENS1_30default_config_static_selectorELNS0_4arch9wavefront6targetE0EEEvT1_
	.p2align	8
	.type	_ZN7rocprim17ROCPRIM_400000_NS6detail17trampoline_kernelINS0_14default_configENS1_25partition_config_selectorILNS1_17partition_subalgoE9EllbEEZZNS1_14partition_implILS5_9ELb0ES3_jPlS8_PNS0_10empty_typeENS0_5tupleIJS8_S9_EEENSB_IJS8_SA_EEENS0_18inequality_wrapperIZN2at6native12_GLOBAL__N_124unique_dim_cuda_templateIlEESt5tupleIJNSF_6TensorESK_SK_EERKSK_lbbbEUlllE0_EEPmJS9_EEE10hipError_tPvRmT3_T4_T5_T6_T7_T9_mT8_P12ihipStream_tbDpT10_ENKUlT_T0_E_clISt17integral_constantIbLb0EES19_IbLb1EEEEDaS15_S16_EUlS15_E_NS1_11comp_targetILNS1_3genE0ELNS1_11target_archE4294967295ELNS1_3gpuE0ELNS1_3repE0EEENS1_30default_config_static_selectorELNS0_4arch9wavefront6targetE0EEEvT1_,@function
_ZN7rocprim17ROCPRIM_400000_NS6detail17trampoline_kernelINS0_14default_configENS1_25partition_config_selectorILNS1_17partition_subalgoE9EllbEEZZNS1_14partition_implILS5_9ELb0ES3_jPlS8_PNS0_10empty_typeENS0_5tupleIJS8_S9_EEENSB_IJS8_SA_EEENS0_18inequality_wrapperIZN2at6native12_GLOBAL__N_124unique_dim_cuda_templateIlEESt5tupleIJNSF_6TensorESK_SK_EERKSK_lbbbEUlllE0_EEPmJS9_EEE10hipError_tPvRmT3_T4_T5_T6_T7_T9_mT8_P12ihipStream_tbDpT10_ENKUlT_T0_E_clISt17integral_constantIbLb0EES19_IbLb1EEEEDaS15_S16_EUlS15_E_NS1_11comp_targetILNS1_3genE0ELNS1_11target_archE4294967295ELNS1_3gpuE0ELNS1_3repE0EEENS1_30default_config_static_selectorELNS0_4arch9wavefront6targetE0EEEvT1_: ; @_ZN7rocprim17ROCPRIM_400000_NS6detail17trampoline_kernelINS0_14default_configENS1_25partition_config_selectorILNS1_17partition_subalgoE9EllbEEZZNS1_14partition_implILS5_9ELb0ES3_jPlS8_PNS0_10empty_typeENS0_5tupleIJS8_S9_EEENSB_IJS8_SA_EEENS0_18inequality_wrapperIZN2at6native12_GLOBAL__N_124unique_dim_cuda_templateIlEESt5tupleIJNSF_6TensorESK_SK_EERKSK_lbbbEUlllE0_EEPmJS9_EEE10hipError_tPvRmT3_T4_T5_T6_T7_T9_mT8_P12ihipStream_tbDpT10_ENKUlT_T0_E_clISt17integral_constantIbLb0EES19_IbLb1EEEEDaS15_S16_EUlS15_E_NS1_11comp_targetILNS1_3genE0ELNS1_11target_archE4294967295ELNS1_3gpuE0ELNS1_3repE0EEENS1_30default_config_static_selectorELNS0_4arch9wavefront6targetE0EEEvT1_
; %bb.0:
	s_clause 0x3
	s_load_b128 s[4:7], s[0:1], 0x8
	s_load_b64 s[24:25], s[0:1], 0x18
	s_load_b256 s[12:19], s[0:1], 0x40
	s_load_b128 s[8:11], s[0:1], 0x60
	v_cmp_ne_u32_e64 s3, 0, v0
	v_cmp_eq_u32_e64 s2, 0, v0
	s_and_saveexec_b32 s20, s2
	s_cbranch_execz .LBB619_4
; %bb.1:
	s_mov_b32 s22, exec_lo
	s_mov_b32 s21, exec_lo
	v_mbcnt_lo_u32_b32 v1, s22, 0
                                        ; implicit-def: $vgpr2
	s_delay_alu instid0(VALU_DEP_1)
	v_cmpx_eq_u32_e32 0, v1
	s_cbranch_execz .LBB619_3
; %bb.2:
	s_load_b64 s[26:27], s[0:1], 0x78
	s_bcnt1_i32_b32 s22, s22
	s_delay_alu instid0(SALU_CYCLE_1)
	v_dual_mov_b32 v2, 0 :: v_dual_mov_b32 v3, s22
	s_wait_xcnt 0x0
	s_wait_kmcnt 0x0
	global_atomic_add_u32 v2, v2, v3, s[26:27] th:TH_ATOMIC_RETURN scope:SCOPE_DEV
.LBB619_3:
	s_wait_xcnt 0x0
	s_or_b32 exec_lo, exec_lo, s21
	s_wait_loadcnt 0x0
	v_readfirstlane_b32 s21, v2
	s_delay_alu instid0(VALU_DEP_1)
	v_dual_mov_b32 v2, 0 :: v_dual_add_nc_u32 v1, s21, v1
	ds_store_b32 v2, v1
.LBB619_4:
	s_or_b32 exec_lo, exec_lo, s20
	v_mov_b32_e32 v1, 0
	s_clause 0x1
	s_load_b128 s[20:23], s[0:1], 0x28
	s_load_b32 s28, s[0:1], 0x70
	s_wait_dscnt 0x0
	s_barrier_signal -1
	s_barrier_wait -1
	ds_load_b32 v4, v1
	s_wait_dscnt 0x0
	s_barrier_signal -1
	s_barrier_wait -1
	s_wait_kmcnt 0x0
	global_load_b64 v[2:3], v1, s[14:15]
	s_wait_xcnt 0x0
	s_mov_b32 s15, 0
	s_lshl_b64 s[26:27], s[6:7], 3
	v_lshlrev_b32_e32 v1, 3, v0
	s_add_nc_u64 s[4:5], s[4:5], s[26:27]
	s_mov_b32 s1, -1
	s_mul_i32 s14, s28, 0x280
	s_add_co_i32 s28, s28, -1
	s_add_co_i32 s0, s14, s6
	s_add_nc_u64 s[34:35], s[6:7], s[14:15]
	s_sub_co_i32 s31, s16, s0
	v_readfirstlane_b32 s30, v4
	v_cmp_le_u64_e64 s0, s[16:17], s[34:35]
	s_addk_co_i32 s31, 0x280
	s_cmp_eq_u32 s30, s28
	s_mul_i32 s14, s30, 0x280
	s_cselect_b32 s28, -1, 0
	s_lshl_b64 s[16:17], s[14:15], 3
	s_and_b32 s33, s0, s28
	s_add_nc_u64 s[4:5], s[4:5], s[16:17]
	s_xor_b32 s29, s33, -1
	s_delay_alu instid0(SALU_CYCLE_1)
	s_and_b32 vcc_lo, exec_lo, s29
	s_wait_loadcnt 0x0
	v_readfirstlane_b32 s14, v2
	v_readfirstlane_b32 s15, v3
	s_cbranch_vccz .LBB619_6
; %bb.5:
	s_clause 0x4
	global_load_b64 v[2:3], v0, s[4:5] scale_offset
	global_load_b64 v[4:5], v0, s[4:5] offset:1024 scale_offset
	global_load_b64 v[6:7], v0, s[4:5] offset:2048 scale_offset
	;; [unrolled: 1-line block ×4, first 2 shown]
	v_lshlrev_b32_e32 v12, 3, v0
	s_mov_b32 s1, 0
	s_wait_loadcnt 0x3
	ds_store_2addr_stride64_b64 v12, v[2:3], v[4:5] offset1:2
	s_wait_loadcnt 0x1
	ds_store_2addr_stride64_b64 v12, v[6:7], v[8:9] offset0:4 offset1:6
	s_wait_loadcnt 0x0
	ds_store_b64 v12, v[10:11] offset:4096
	s_wait_dscnt 0x0
	s_barrier_signal -1
	s_barrier_wait -1
.LBB619_6:
	v_cmp_gt_u32_e64 s0, s31, v0
	s_and_not1_b32 vcc_lo, exec_lo, s1
	s_cbranch_vccnz .LBB619_18
; %bb.7:
	v_mov_b32_e32 v2, 0
	s_delay_alu instid0(VALU_DEP_1)
	v_dual_mov_b32 v3, v2 :: v_dual_mov_b32 v4, v2
	v_dual_mov_b32 v5, v2 :: v_dual_mov_b32 v6, v2
	;; [unrolled: 1-line block ×4, first 2 shown]
	v_mov_b32_e32 v11, v2
	s_and_saveexec_b32 s1, s0
	s_cbranch_execz .LBB619_9
; %bb.8:
	global_load_b64 v[4:5], v0, s[4:5] scale_offset
	v_dual_mov_b32 v6, v2 :: v_dual_mov_b32 v7, v2
	v_dual_mov_b32 v8, v2 :: v_dual_mov_b32 v9, v2
	;; [unrolled: 1-line block ×4, first 2 shown]
	s_wait_loadcnt 0x0
	v_mov_b64_e32 v[2:3], v[4:5]
	v_mov_b64_e32 v[4:5], v[6:7]
	;; [unrolled: 1-line block ×8, first 2 shown]
.LBB619_9:
	s_or_b32 exec_lo, exec_lo, s1
	v_or_b32_e32 v12, 0x80, v0
	s_mov_b32 s0, exec_lo
	s_delay_alu instid0(VALU_DEP_1)
	v_cmpx_gt_u32_e64 s31, v12
	s_cbranch_execz .LBB619_11
; %bb.10:
	global_load_b64 v[4:5], v0, s[4:5] offset:1024 scale_offset
.LBB619_11:
	s_wait_xcnt 0x0
	s_or_b32 exec_lo, exec_lo, s0
	v_or_b32_e32 v12, 0x100, v0
	s_mov_b32 s0, exec_lo
	s_delay_alu instid0(VALU_DEP_1)
	v_cmpx_gt_u32_e64 s31, v12
	s_cbranch_execz .LBB619_13
; %bb.12:
	global_load_b64 v[6:7], v0, s[4:5] offset:2048 scale_offset
.LBB619_13:
	s_wait_xcnt 0x0
	;; [unrolled: 10-line block ×4, first 2 shown]
	s_or_b32 exec_lo, exec_lo, s0
	v_lshlrev_b32_e32 v12, 3, v0
	s_wait_loadcnt 0x0
	ds_store_2addr_stride64_b64 v12, v[2:3], v[4:5] offset1:2
	ds_store_2addr_stride64_b64 v12, v[6:7], v[8:9] offset0:4 offset1:6
	ds_store_b64 v12, v[10:11] offset:4096
	s_wait_dscnt 0x0
	s_barrier_signal -1
	s_barrier_wait -1
.LBB619_18:
	v_mul_u32_u24_e32 v30, 5, v0
	s_add_nc_u64 s[0:1], s[24:25], s[26:27]
	s_and_b32 vcc_lo, exec_lo, s29
	s_add_nc_u64 s[0:1], s[0:1], s[16:17]
	s_delay_alu instid0(VALU_DEP_1)
	v_lshlrev_b32_e32 v31, 3, v30
	s_mov_b32 s16, -1
	ds_load_2addr_b64 v[14:17], v31 offset1:1
	ds_load_2addr_b64 v[10:13], v31 offset0:2 offset1:3
	ds_load_b64 v[20:21], v31 offset:32
	s_wait_dscnt 0x0
	s_barrier_signal -1
	s_barrier_wait -1
	s_cbranch_vccz .LBB619_20
; %bb.19:
	s_clause 0x4
	global_load_b64 v[2:3], v0, s[0:1] scale_offset
	global_load_b64 v[4:5], v0, s[0:1] offset:1024 scale_offset
	global_load_b64 v[6:7], v0, s[0:1] offset:2048 scale_offset
	;; [unrolled: 1-line block ×4, first 2 shown]
	v_lshlrev_b32_e32 v22, 3, v0
	s_mov_b32 s16, 0
	s_wait_loadcnt 0x3
	ds_store_2addr_stride64_b64 v22, v[2:3], v[4:5] offset1:2
	s_wait_loadcnt 0x1
	ds_store_2addr_stride64_b64 v22, v[6:7], v[8:9] offset0:4 offset1:6
	s_wait_loadcnt 0x0
	ds_store_b64 v22, v[18:19] offset:4096
	s_wait_dscnt 0x0
	s_barrier_signal -1
	s_barrier_wait -1
.LBB619_20:
	s_and_not1_b32 vcc_lo, exec_lo, s16
	s_cbranch_vccnz .LBB619_32
; %bb.21:
	s_mov_b32 s16, exec_lo
                                        ; implicit-def: $vgpr2_vgpr3
	v_cmpx_gt_u32_e64 s31, v0
	s_cbranch_execz .LBB619_23
; %bb.22:
	global_load_b64 v[2:3], v0, s[0:1] scale_offset
.LBB619_23:
	s_wait_xcnt 0x0
	s_or_b32 exec_lo, exec_lo, s16
	v_or_b32_e32 v4, 0x80, v0
	s_delay_alu instid0(VALU_DEP_1)
	v_cmp_gt_u32_e32 vcc_lo, s31, v4
                                        ; implicit-def: $vgpr4_vgpr5
	s_and_saveexec_b32 s16, vcc_lo
	s_cbranch_execz .LBB619_25
; %bb.24:
	global_load_b64 v[4:5], v0, s[0:1] offset:1024 scale_offset
.LBB619_25:
	s_wait_xcnt 0x0
	s_or_b32 exec_lo, exec_lo, s16
	v_or_b32_e32 v6, 0x100, v0
	s_delay_alu instid0(VALU_DEP_1)
	v_cmp_gt_u32_e32 vcc_lo, s31, v6
                                        ; implicit-def: $vgpr6_vgpr7
	s_and_saveexec_b32 s16, vcc_lo
	s_cbranch_execz .LBB619_27
; %bb.26:
	global_load_b64 v[6:7], v0, s[0:1] offset:2048 scale_offset
.LBB619_27:
	s_wait_xcnt 0x0
	s_or_b32 exec_lo, exec_lo, s16
	v_or_b32_e32 v8, 0x180, v0
	s_delay_alu instid0(VALU_DEP_1)
	v_cmp_gt_u32_e32 vcc_lo, s31, v8
                                        ; implicit-def: $vgpr8_vgpr9
	s_and_saveexec_b32 s16, vcc_lo
	s_cbranch_execz .LBB619_29
; %bb.28:
	global_load_b64 v[8:9], v0, s[0:1] offset:3072 scale_offset
.LBB619_29:
	s_wait_xcnt 0x0
	s_or_b32 exec_lo, exec_lo, s16
	v_or_b32_e32 v18, 0x200, v0
	s_delay_alu instid0(VALU_DEP_1)
	v_cmp_gt_u32_e32 vcc_lo, s31, v18
                                        ; implicit-def: $vgpr18_vgpr19
	s_and_saveexec_b32 s16, vcc_lo
	s_cbranch_execz .LBB619_31
; %bb.30:
	global_load_b64 v[18:19], v0, s[0:1] offset:4096 scale_offset
.LBB619_31:
	s_wait_xcnt 0x0
	s_or_b32 exec_lo, exec_lo, s16
	v_lshlrev_b32_e32 v22, 5, v0
	s_delay_alu instid0(VALU_DEP_1)
	v_sub_nc_u32_e32 v22, v31, v22
	s_wait_loadcnt 0x0
	ds_store_2addr_stride64_b64 v22, v[2:3], v[4:5] offset1:2
	ds_store_2addr_stride64_b64 v22, v[6:7], v[8:9] offset0:4 offset1:6
	ds_store_b64 v22, v[18:19] offset:4096
	s_wait_dscnt 0x0
	s_barrier_signal -1
	s_barrier_wait -1
.LBB619_32:
	ds_load_b64 v[18:19], v31 offset:32
	ds_load_2addr_b64 v[2:5], v31 offset0:2 offset1:3
	ds_load_2addr_b64 v[6:9], v31 offset1:1
	s_cmp_lg_u32 s30, 0
	s_wait_dscnt 0x0
	s_cselect_b32 s16, -1, 0
	s_cmp_lg_u64 s[6:7], 0
	v_cmp_gt_i64_e64 s7, s[18:19], 0
	s_cselect_b32 s0, -1, 0
	s_mov_b32 s6, 0
	s_or_b32 s0, s0, s16
	s_barrier_signal -1
	s_and_b32 vcc_lo, exec_lo, s0
	s_barrier_wait -1
	s_cbranch_vccz .LBB619_44
; %bb.33:
	v_dual_mov_b32 v26, 0 :: v_dual_lshlrev_b32 v33, 3, v0
	v_cndmask_b32_e64 v32, 0, 1, s7
	s_and_b32 vcc_lo, exec_lo, s29
	global_load_b64 v[22:23], v26, s[4:5] offset:-8
	ds_store_b64 v33, v[20:21]
	v_cmp_ne_u32_e64 s0, 1, v32
	s_cbranch_vccz .LBB619_46
; %bb.34:
	s_and_b32 vcc_lo, exec_lo, s0
	s_cbranch_vccnz .LBB619_47
; %bb.35:
	v_mul_u64_e32 v[24:25], s[18:19], v[12:13]
	s_wait_xcnt 0x0
	v_mul_u64_e32 v[26:27], s[18:19], v[20:21]
	s_add_nc_u64 s[4:5], s[18:19], -1
	s_mov_b32 s17, 0
	s_mov_b64 s[0:1], s[4:5]
                                        ; implicit-def: $sgpr6
	s_delay_alu instid0(VALU_DEP_2) | instskip(NEXT) | instid1(VALU_DEP_2)
	v_lshl_add_u64 v[24:25], v[24:25], 3, s[8:9]
	v_lshl_add_u64 v[26:27], v[26:27], 3, s[8:9]
	s_delay_alu instid0(VALU_DEP_2)
	v_mov_b64_e32 v[28:29], v[24:25]
.LBB619_36:                             ; =>This Inner Loop Header: Depth=1
	global_load_b64 v[34:35], v[28:29], off
	global_load_b64 v[36:37], v[26:27], off
	s_cmp_eq_u64 s[0:1], 0
	s_add_nc_u64 s[24:25], s[0:1], -1
	s_cselect_b32 s1, -1, 0
	s_wait_xcnt 0x1
	v_add_nc_u64_e32 v[28:29], 8, v[28:29]
	s_wait_xcnt 0x0
	v_add_nc_u64_e32 v[26:27], 8, v[26:27]
	s_wait_loadcnt 0x0
	v_cmp_ne_u64_e32 vcc_lo, v[34:35], v[36:37]
	v_cmp_eq_u64_e64 s0, v[34:35], v[36:37]
	s_or_b32 s1, vcc_lo, s1
	s_delay_alu instid0(SALU_CYCLE_1) | instskip(NEXT) | instid1(SALU_CYCLE_1)
	s_and_b32 s1, exec_lo, s1
	s_or_b32 s17, s1, s17
	s_and_not1_b32 s6, s6, exec_lo
	s_and_b32 s26, s0, exec_lo
	s_mov_b64 s[0:1], s[24:25]
	s_or_b32 s6, s6, s26
	s_and_not1_b32 exec_lo, exec_lo, s17
	s_cbranch_execnz .LBB619_36
; %bb.37:
	s_or_b32 exec_lo, exec_lo, s17
	v_mul_u64_e32 v[26:27], s[18:19], v[10:11]
	s_mov_b32 s24, 0
	s_mov_b64 s[0:1], s[4:5]
                                        ; implicit-def: $sgpr17
	s_delay_alu instid0(VALU_DEP_1) | instskip(NEXT) | instid1(VALU_DEP_1)
	v_lshl_add_u64 v[26:27], v[26:27], 3, s[8:9]
	v_mov_b64_e32 v[28:29], v[26:27]
.LBB619_38:                             ; =>This Inner Loop Header: Depth=1
	global_load_b64 v[34:35], v[28:29], off
	global_load_b64 v[36:37], v[24:25], off
	s_cmp_eq_u64 s[0:1], 0
	s_add_nc_u64 s[26:27], s[0:1], -1
	s_cselect_b32 s1, -1, 0
	s_wait_xcnt 0x1
	v_add_nc_u64_e32 v[28:29], 8, v[28:29]
	s_wait_xcnt 0x0
	v_add_nc_u64_e32 v[24:25], 8, v[24:25]
	s_wait_loadcnt 0x0
	v_cmp_ne_u64_e32 vcc_lo, v[34:35], v[36:37]
	v_cmp_eq_u64_e64 s0, v[34:35], v[36:37]
	s_or_b32 s1, vcc_lo, s1
	s_delay_alu instid0(SALU_CYCLE_1) | instskip(NEXT) | instid1(SALU_CYCLE_1)
	s_and_b32 s1, exec_lo, s1
	s_or_b32 s24, s1, s24
	s_and_not1_b32 s17, s17, exec_lo
	s_and_b32 s25, s0, exec_lo
	s_mov_b64 s[0:1], s[26:27]
	s_or_b32 s17, s17, s25
	s_and_not1_b32 exec_lo, exec_lo, s24
	s_cbranch_execnz .LBB619_38
; %bb.39:
	s_or_b32 exec_lo, exec_lo, s24
	v_mul_u64_e32 v[24:25], s[18:19], v[16:17]
	s_mov_b32 s25, 0
	s_mov_b64 s[0:1], s[4:5]
                                        ; implicit-def: $sgpr24
	s_delay_alu instid0(VALU_DEP_1) | instskip(NEXT) | instid1(VALU_DEP_1)
	v_lshl_add_u64 v[24:25], v[24:25], 3, s[8:9]
	v_mov_b64_e32 v[28:29], v[24:25]
.LBB619_40:                             ; =>This Inner Loop Header: Depth=1
	global_load_b64 v[34:35], v[28:29], off
	global_load_b64 v[36:37], v[26:27], off
	s_cmp_eq_u64 s[0:1], 0
	s_add_nc_u64 s[26:27], s[0:1], -1
	s_cselect_b32 s1, -1, 0
	s_wait_xcnt 0x1
	v_add_nc_u64_e32 v[28:29], 8, v[28:29]
	s_wait_xcnt 0x0
	v_add_nc_u64_e32 v[26:27], 8, v[26:27]
	s_wait_loadcnt 0x0
	v_cmp_ne_u64_e32 vcc_lo, v[34:35], v[36:37]
	v_cmp_eq_u64_e64 s0, v[34:35], v[36:37]
	s_or_b32 s1, vcc_lo, s1
	s_delay_alu instid0(SALU_CYCLE_1) | instskip(NEXT) | instid1(SALU_CYCLE_1)
	s_and_b32 s1, exec_lo, s1
	s_or_b32 s25, s1, s25
	s_and_not1_b32 s24, s24, exec_lo
	s_and_b32 s34, s0, exec_lo
	s_mov_b64 s[0:1], s[26:27]
	s_or_b32 s24, s24, s34
	s_and_not1_b32 exec_lo, exec_lo, s25
	s_cbranch_execnz .LBB619_40
; %bb.41:
	s_or_b32 exec_lo, exec_lo, s25
	v_mul_u64_e32 v[26:27], s[18:19], v[14:15]
	s_mov_b32 s25, 0
                                        ; implicit-def: $sgpr1
	s_delay_alu instid0(VALU_DEP_1)
	v_lshl_add_u64 v[26:27], v[26:27], 3, s[8:9]
.LBB619_42:                             ; =>This Inner Loop Header: Depth=1
	global_load_b64 v[28:29], v[26:27], off
	global_load_b64 v[34:35], v[24:25], off
	s_cmp_eq_u64 s[4:5], 0
	s_add_nc_u64 s[26:27], s[4:5], -1
	s_cselect_b32 s4, -1, 0
	s_wait_xcnt 0x1
	v_add_nc_u64_e32 v[26:27], 8, v[26:27]
	s_wait_xcnt 0x0
	v_add_nc_u64_e32 v[24:25], 8, v[24:25]
	s_wait_loadcnt 0x0
	v_cmp_ne_u64_e32 vcc_lo, v[28:29], v[34:35]
	v_cmp_eq_u64_e64 s0, v[28:29], v[34:35]
	s_or_b32 s4, vcc_lo, s4
	s_delay_alu instid0(SALU_CYCLE_1) | instskip(NEXT) | instid1(SALU_CYCLE_1)
	s_and_b32 s4, exec_lo, s4
	s_or_b32 s25, s4, s25
	s_and_not1_b32 s1, s1, exec_lo
	s_and_b32 s0, s0, exec_lo
	s_mov_b64 s[4:5], s[26:27]
	s_or_b32 s1, s1, s0
	s_and_not1_b32 exec_lo, exec_lo, s25
	s_cbranch_execnz .LBB619_42
; %bb.43:
	s_or_b32 exec_lo, exec_lo, s25
	s_xor_b32 s0, s17, -1
	s_delay_alu instid0(SALU_CYCLE_1) | instskip(SKIP_1) | instid1(SALU_CYCLE_1)
	v_cndmask_b32_e64 v24, 0, 1, s0
	s_xor_b32 s0, s24, -1
	v_cndmask_b32_e64 v25, 0, 1, s0
	s_xor_b32 s0, s6, -1
	s_delay_alu instid0(VALU_DEP_2) | instskip(SKIP_2) | instid1(VALU_DEP_2)
	v_lshlrev_b16 v24, 8, v24
	v_cndmask_b32_e64 v34, 0, 1, s0
	s_xor_b32 s0, s1, -1
	v_lshrrev_b32_e32 v24, 8, v24
	s_delay_alu instid0(VALU_DEP_1) | instskip(NEXT) | instid1(VALU_DEP_1)
	v_lshlrev_b16 v24, 8, v24
	v_or_b32_e32 v24, v25, v24
	s_delay_alu instid0(VALU_DEP_1)
	v_lshlrev_b32_e32 v26, 16, v24
	s_branch .LBB619_48
.LBB619_44:
                                        ; implicit-def: $sgpr0
                                        ; implicit-def: $vgpr34
                                        ; implicit-def: $vgpr25
	s_branch .LBB619_89
.LBB619_45:
                                        ; implicit-def: $vgpr24
                                        ; implicit-def: $vgpr23
                                        ; implicit-def: $vgpr35
                                        ; implicit-def: $vgpr22
	s_branch .LBB619_142
.LBB619_46:
	s_wait_xcnt 0x0
                                        ; implicit-def: $sgpr0
                                        ; implicit-def: $vgpr34
                                        ; implicit-def: $vgpr25
	s_cbranch_execnz .LBB619_55
	s_branch .LBB619_88
.LBB619_47:
	v_mov_b32_e32 v34, 0
	s_mov_b32 s0, 0
.LBB619_48:
	s_wait_loadcnt 0x0
	v_mov_b64_e32 v[24:25], v[22:23]
	s_wait_dscnt 0x0
	s_barrier_signal -1
	s_barrier_wait -1
	s_and_saveexec_b32 s1, s3
; %bb.49:
	v_add_nc_u32_e32 v24, -8, v33
	ds_load_b64 v[24:25], v24
; %bb.50:
	s_or_b32 exec_lo, exec_lo, s1
	v_cndmask_b32_e64 v27, 0, 1, s0
	v_lshrrev_b32_e32 v28, 16, v26
	s_mov_b32 s4, 0
	s_and_not1_b32 vcc_lo, exec_lo, s7
	s_mov_b32 s0, 0
	v_lshlrev_b16 v27, 8, v27
	v_perm_b32 v28, v28, v26, 0xc0c0304
	s_delay_alu instid0(VALU_DEP_2) | instskip(NEXT) | instid1(VALU_DEP_1)
	v_bitop3_b16 v27, v26, v27, 0xff bitop3:0xec
	v_and_b32_e32 v29, 0xffff, v27
	s_cbranch_vccnz .LBB619_54
; %bb.51:
	s_wait_dscnt 0x0
	v_mul_u64_e32 v[24:25], s[18:19], v[24:25]
	v_mul_u64_e32 v[26:27], s[18:19], v[14:15]
	s_add_nc_u64 s[0:1], s[18:19], -1
	s_mov_b32 s5, 0
                                        ; implicit-def: $sgpr6
	s_delay_alu instid0(VALU_DEP_2) | instskip(NEXT) | instid1(VALU_DEP_2)
	v_lshl_add_u64 v[24:25], v[24:25], 3, s[8:9]
	v_lshl_add_u64 v[26:27], v[26:27], 3, s[8:9]
.LBB619_52:                             ; =>This Inner Loop Header: Depth=1
	global_load_b64 v[36:37], v[24:25], off
	global_load_b64 v[38:39], v[26:27], off
	s_cmp_eq_u64 s[0:1], 0
	s_add_nc_u64 s[24:25], s[0:1], -1
	s_cselect_b32 s1, -1, 0
	s_wait_xcnt 0x1
	v_add_nc_u64_e32 v[24:25], 8, v[24:25]
	s_wait_xcnt 0x0
	v_add_nc_u64_e32 v[26:27], 8, v[26:27]
	s_wait_loadcnt 0x0
	v_cmp_ne_u64_e32 vcc_lo, v[36:37], v[38:39]
	v_cmp_eq_u64_e64 s0, v[36:37], v[38:39]
	s_or_b32 s1, vcc_lo, s1
	s_delay_alu instid0(SALU_CYCLE_1) | instskip(NEXT) | instid1(SALU_CYCLE_1)
	s_and_b32 s1, exec_lo, s1
	s_or_b32 s5, s1, s5
	s_and_not1_b32 s6, s6, exec_lo
	s_and_b32 s17, s0, exec_lo
	s_mov_b64 s[0:1], s[24:25]
	s_or_b32 s6, s6, s17
	s_and_not1_b32 exec_lo, exec_lo, s5
	s_cbranch_execnz .LBB619_52
; %bb.53:
	s_or_b32 exec_lo, exec_lo, s5
	s_xor_b32 s0, s6, -1
.LBB619_54:
	s_wait_dscnt 0x0
	s_delay_alu instid0(VALU_DEP_1)
	v_lshl_or_b32 v25, v28, 16, v29
	s_and_b32 vcc_lo, exec_lo, s4
	s_cbranch_vccz .LBB619_88
.LBB619_55:
	v_add_nc_u32_e32 v24, 4, v30
	s_mov_b32 s5, 0
	s_mov_b32 s4, 0
	s_mov_b32 s6, exec_lo
	s_delay_alu instid0(VALU_DEP_1)
	v_cmpx_gt_u32_e64 s31, v24
	s_cbranch_execz .LBB619_61
; %bb.56:
	s_and_not1_b32 vcc_lo, exec_lo, s7
	s_mov_b32 s0, 0
	s_cbranch_vccnz .LBB619_60
; %bb.57:
	v_mul_u64_e32 v[24:25], s[18:19], v[12:13]
	v_mul_u64_e32 v[26:27], s[18:19], v[20:21]
	s_add_nc_u64 s[0:1], s[18:19], -1
                                        ; implicit-def: $sgpr7
	s_delay_alu instid0(VALU_DEP_2) | instskip(NEXT) | instid1(VALU_DEP_2)
	v_lshl_add_u64 v[24:25], v[24:25], 3, s[8:9]
	v_lshl_add_u64 v[26:27], v[26:27], 3, s[8:9]
.LBB619_58:                             ; =>This Inner Loop Header: Depth=1
	global_load_b64 v[28:29], v[24:25], off
	global_load_b64 v[34:35], v[26:27], off
	s_cmp_eq_u64 s[0:1], 0
	s_add_nc_u64 s[24:25], s[0:1], -1
	s_cselect_b32 s1, -1, 0
	s_wait_xcnt 0x1
	v_add_nc_u64_e32 v[24:25], 8, v[24:25]
	s_wait_xcnt 0x0
	v_add_nc_u64_e32 v[26:27], 8, v[26:27]
	s_wait_loadcnt 0x0
	v_cmp_ne_u64_e32 vcc_lo, v[28:29], v[34:35]
	v_cmp_eq_u64_e64 s0, v[28:29], v[34:35]
	s_or_b32 s1, vcc_lo, s1
	s_delay_alu instid0(SALU_CYCLE_1) | instskip(NEXT) | instid1(SALU_CYCLE_1)
	s_and_b32 s1, exec_lo, s1
	s_or_b32 s4, s1, s4
	s_and_not1_b32 s7, s7, exec_lo
	s_and_b32 s17, s0, exec_lo
	s_mov_b64 s[0:1], s[24:25]
	s_or_b32 s7, s7, s17
	s_and_not1_b32 exec_lo, exec_lo, s4
	s_cbranch_execnz .LBB619_58
; %bb.59:
	s_or_b32 exec_lo, exec_lo, s4
	s_xor_b32 s0, s7, -1
.LBB619_60:
	s_delay_alu instid0(SALU_CYCLE_1)
	s_and_b32 s4, s0, exec_lo
.LBB619_61:
	s_or_b32 exec_lo, exec_lo, s6
	v_add_nc_u32_e32 v24, 3, v30
	s_mov_b32 s6, exec_lo
	s_delay_alu instid0(VALU_DEP_1)
	v_cmpx_gt_u32_e64 s31, v24
	s_cbranch_execz .LBB619_67
; %bb.62:
	v_cmp_ne_u32_e32 vcc_lo, 1, v32
	s_mov_b32 s0, 0
	s_cbranch_vccnz .LBB619_66
; %bb.63:
	v_mul_u64_e32 v[24:25], s[18:19], v[10:11]
	v_mul_u64_e32 v[26:27], s[18:19], v[12:13]
	s_add_nc_u64 s[0:1], s[18:19], -1
	s_mov_b32 s5, 0
                                        ; implicit-def: $sgpr7
	s_delay_alu instid0(VALU_DEP_2) | instskip(NEXT) | instid1(VALU_DEP_2)
	v_lshl_add_u64 v[24:25], v[24:25], 3, s[8:9]
	v_lshl_add_u64 v[26:27], v[26:27], 3, s[8:9]
.LBB619_64:                             ; =>This Inner Loop Header: Depth=1
	global_load_b64 v[28:29], v[24:25], off
	global_load_b64 v[34:35], v[26:27], off
	s_cmp_eq_u64 s[0:1], 0
	s_add_nc_u64 s[24:25], s[0:1], -1
	s_cselect_b32 s1, -1, 0
	s_wait_xcnt 0x1
	v_add_nc_u64_e32 v[24:25], 8, v[24:25]
	s_wait_xcnt 0x0
	v_add_nc_u64_e32 v[26:27], 8, v[26:27]
	s_wait_loadcnt 0x0
	v_cmp_ne_u64_e32 vcc_lo, v[28:29], v[34:35]
	v_cmp_eq_u64_e64 s0, v[28:29], v[34:35]
	s_or_b32 s1, vcc_lo, s1
	s_delay_alu instid0(SALU_CYCLE_1) | instskip(NEXT) | instid1(SALU_CYCLE_1)
	s_and_b32 s1, exec_lo, s1
	s_or_b32 s5, s1, s5
	s_and_not1_b32 s7, s7, exec_lo
	s_and_b32 s17, s0, exec_lo
	s_mov_b64 s[0:1], s[24:25]
	s_or_b32 s7, s7, s17
	s_and_not1_b32 exec_lo, exec_lo, s5
	s_cbranch_execnz .LBB619_64
; %bb.65:
	s_or_b32 exec_lo, exec_lo, s5
	s_xor_b32 s0, s7, -1
.LBB619_66:
	s_delay_alu instid0(SALU_CYCLE_1)
	s_and_b32 s5, s0, exec_lo
.LBB619_67:
	s_or_b32 exec_lo, exec_lo, s6
	v_add_nc_u32_e32 v24, 2, v30
	s_mov_b32 s6, 0
	s_mov_b32 s7, 0
	s_mov_b32 s17, exec_lo
	s_delay_alu instid0(VALU_DEP_1)
	v_cmpx_gt_u32_e64 s31, v24
	s_cbranch_execz .LBB619_73
; %bb.68:
	v_cmp_ne_u32_e32 vcc_lo, 1, v32
	s_mov_b32 s0, 0
	s_cbranch_vccnz .LBB619_72
; %bb.69:
	v_mul_u64_e32 v[24:25], s[18:19], v[16:17]
	v_mul_u64_e32 v[26:27], s[18:19], v[10:11]
	s_add_nc_u64 s[0:1], s[18:19], -1
                                        ; implicit-def: $sgpr24
	s_delay_alu instid0(VALU_DEP_2) | instskip(NEXT) | instid1(VALU_DEP_2)
	v_lshl_add_u64 v[24:25], v[24:25], 3, s[8:9]
	v_lshl_add_u64 v[26:27], v[26:27], 3, s[8:9]
.LBB619_70:                             ; =>This Inner Loop Header: Depth=1
	global_load_b64 v[28:29], v[24:25], off
	global_load_b64 v[34:35], v[26:27], off
	s_cmp_eq_u64 s[0:1], 0
	s_add_nc_u64 s[26:27], s[0:1], -1
	s_cselect_b32 s1, -1, 0
	s_wait_xcnt 0x1
	v_add_nc_u64_e32 v[24:25], 8, v[24:25]
	s_wait_xcnt 0x0
	v_add_nc_u64_e32 v[26:27], 8, v[26:27]
	s_wait_loadcnt 0x0
	v_cmp_ne_u64_e32 vcc_lo, v[28:29], v[34:35]
	v_cmp_eq_u64_e64 s0, v[28:29], v[34:35]
	s_or_b32 s1, vcc_lo, s1
	s_delay_alu instid0(SALU_CYCLE_1) | instskip(NEXT) | instid1(SALU_CYCLE_1)
	s_and_b32 s1, exec_lo, s1
	s_or_b32 s7, s1, s7
	s_and_not1_b32 s24, s24, exec_lo
	s_and_b32 s25, s0, exec_lo
	s_mov_b64 s[0:1], s[26:27]
	s_or_b32 s24, s24, s25
	s_and_not1_b32 exec_lo, exec_lo, s7
	s_cbranch_execnz .LBB619_70
; %bb.71:
	s_or_b32 exec_lo, exec_lo, s7
	s_xor_b32 s0, s24, -1
.LBB619_72:
	s_delay_alu instid0(SALU_CYCLE_1)
	s_and_b32 s7, s0, exec_lo
.LBB619_73:
	s_or_b32 exec_lo, exec_lo, s17
	v_add_nc_u32_e32 v24, 1, v30
	s_mov_b32 s17, exec_lo
	s_delay_alu instid0(VALU_DEP_1)
	v_cmpx_gt_u32_e64 s31, v24
	s_cbranch_execz .LBB619_79
; %bb.74:
	v_cmp_ne_u32_e32 vcc_lo, 1, v32
	s_mov_b32 s0, 0
	s_cbranch_vccnz .LBB619_78
; %bb.75:
	v_mul_u64_e32 v[24:25], s[18:19], v[14:15]
	v_mul_u64_e32 v[26:27], s[18:19], v[16:17]
	s_add_nc_u64 s[0:1], s[18:19], -1
	s_mov_b32 s6, 0
                                        ; implicit-def: $sgpr24
	s_delay_alu instid0(VALU_DEP_2) | instskip(NEXT) | instid1(VALU_DEP_2)
	v_lshl_add_u64 v[24:25], v[24:25], 3, s[8:9]
	v_lshl_add_u64 v[26:27], v[26:27], 3, s[8:9]
.LBB619_76:                             ; =>This Inner Loop Header: Depth=1
	global_load_b64 v[28:29], v[24:25], off
	global_load_b64 v[34:35], v[26:27], off
	s_cmp_eq_u64 s[0:1], 0
	s_add_nc_u64 s[26:27], s[0:1], -1
	s_cselect_b32 s1, -1, 0
	s_wait_xcnt 0x1
	v_add_nc_u64_e32 v[24:25], 8, v[24:25]
	s_wait_xcnt 0x0
	v_add_nc_u64_e32 v[26:27], 8, v[26:27]
	s_wait_loadcnt 0x0
	v_cmp_ne_u64_e32 vcc_lo, v[28:29], v[34:35]
	v_cmp_eq_u64_e64 s0, v[28:29], v[34:35]
	s_or_b32 s1, vcc_lo, s1
	s_delay_alu instid0(SALU_CYCLE_1) | instskip(NEXT) | instid1(SALU_CYCLE_1)
	s_and_b32 s1, exec_lo, s1
	s_or_b32 s6, s1, s6
	s_and_not1_b32 s24, s24, exec_lo
	s_and_b32 s25, s0, exec_lo
	s_mov_b64 s[0:1], s[26:27]
	s_or_b32 s24, s24, s25
	s_and_not1_b32 exec_lo, exec_lo, s6
	s_cbranch_execnz .LBB619_76
; %bb.77:
	s_or_b32 exec_lo, exec_lo, s6
	s_xor_b32 s0, s24, -1
.LBB619_78:
	s_delay_alu instid0(SALU_CYCLE_1)
	s_and_b32 s6, s0, exec_lo
.LBB619_79:
	s_or_b32 exec_lo, exec_lo, s17
	s_wait_loadcnt_dscnt 0x0
	s_barrier_signal -1
	s_barrier_wait -1
	s_and_saveexec_b32 s0, s3
; %bb.80:
	v_add_nc_u32_e32 v22, -8, v33
	ds_load_b64 v[22:23], v22
; %bb.81:
	s_or_b32 exec_lo, exec_lo, s0
	v_cndmask_b32_e64 v24, 0, 1, s5
	v_cndmask_b32_e64 v25, 0, 1, s7
	;; [unrolled: 1-line block ×3, first 2 shown]
	s_mov_b32 s0, 0
	s_mov_b32 s5, exec_lo
	v_lshlrev_b16 v24, 8, v24
	s_delay_alu instid0(VALU_DEP_2) | instskip(NEXT) | instid1(VALU_DEP_2)
	v_lshlrev_b16 v26, 8, v26
	v_or_b32_e32 v24, v25, v24
	s_delay_alu instid0(VALU_DEP_2) | instskip(NEXT) | instid1(VALU_DEP_2)
	v_and_b32_e32 v26, 0xffff, v26
	v_lshlrev_b32_e32 v27, 16, v24
	v_cmpx_gt_u32_e64 s31, v30
	s_cbranch_execz .LBB619_87
; %bb.82:
	v_cmp_ne_u32_e32 vcc_lo, 1, v32
	s_cbranch_vccnz .LBB619_86
; %bb.83:
	s_wait_dscnt 0x0
	v_mul_u64_e32 v[22:23], s[18:19], v[22:23]
	v_mul_u64_e32 v[24:25], s[18:19], v[14:15]
	s_add_nc_u64 s[0:1], s[18:19], -1
	s_mov_b32 s6, 0
                                        ; implicit-def: $sgpr7
	s_delay_alu instid0(VALU_DEP_2) | instskip(NEXT) | instid1(VALU_DEP_2)
	v_lshl_add_u64 v[22:23], v[22:23], 3, s[8:9]
	v_lshl_add_u64 v[24:25], v[24:25], 3, s[8:9]
.LBB619_84:                             ; =>This Inner Loop Header: Depth=1
	global_load_b64 v[28:29], v[22:23], off
	global_load_b64 v[32:33], v[24:25], off
	s_cmp_eq_u64 s[0:1], 0
	s_add_nc_u64 s[24:25], s[0:1], -1
	s_cselect_b32 s1, -1, 0
	s_wait_xcnt 0x1
	v_add_nc_u64_e32 v[22:23], 8, v[22:23]
	s_wait_xcnt 0x0
	v_add_nc_u64_e32 v[24:25], 8, v[24:25]
	s_wait_loadcnt 0x0
	v_cmp_ne_u64_e32 vcc_lo, v[28:29], v[32:33]
	v_cmp_eq_u64_e64 s0, v[28:29], v[32:33]
	s_or_b32 s1, vcc_lo, s1
	s_delay_alu instid0(SALU_CYCLE_1) | instskip(NEXT) | instid1(SALU_CYCLE_1)
	s_and_b32 s1, exec_lo, s1
	s_or_b32 s6, s1, s6
	s_and_not1_b32 s7, s7, exec_lo
	s_and_b32 s17, s0, exec_lo
	s_mov_b64 s[0:1], s[24:25]
	s_or_b32 s7, s7, s17
	s_and_not1_b32 exec_lo, exec_lo, s6
	s_cbranch_execnz .LBB619_84
; %bb.85:
	s_or_b32 exec_lo, exec_lo, s6
	s_xor_b32 s0, s7, -1
.LBB619_86:
	s_delay_alu instid0(SALU_CYCLE_1)
	s_and_b32 s0, s0, exec_lo
.LBB619_87:
	s_or_b32 exec_lo, exec_lo, s5
	v_cndmask_b32_e64 v34, 0, 1, s4
	v_or_b32_e32 v25, v26, v27
.LBB619_88:
	s_mov_b32 s6, -1
	s_cbranch_execnz .LBB619_45
.LBB619_89:
	s_wait_loadcnt_dscnt 0x0
	v_lshlrev_b32_e32 v22, 5, v0
	v_cmp_gt_i64_e64 s7, s[18:19], 0
	s_and_b32 vcc_lo, exec_lo, s29
	v_sub_nc_u32_e32 v31, v31, v22
	ds_store_b64 v31, v[20:21]
	s_cbranch_vccz .LBB619_100
; %bb.90:
	s_and_not1_b32 vcc_lo, exec_lo, s7
	s_cbranch_vccnz .LBB619_101
; %bb.91:
	v_mul_u64_e32 v[22:23], s[18:19], v[12:13]
	v_mul_u64_e32 v[24:25], s[18:19], v[20:21]
	s_add_nc_u64 s[4:5], s[18:19], -1
	s_mov_b32 s24, 0
	s_mov_b64 s[0:1], s[4:5]
                                        ; implicit-def: $sgpr17
	s_delay_alu instid0(VALU_DEP_2) | instskip(NEXT) | instid1(VALU_DEP_2)
	v_lshl_add_u64 v[22:23], v[22:23], 3, s[8:9]
	v_lshl_add_u64 v[24:25], v[24:25], 3, s[8:9]
	s_delay_alu instid0(VALU_DEP_2)
	v_mov_b64_e32 v[26:27], v[22:23]
.LBB619_92:                             ; =>This Inner Loop Header: Depth=1
	global_load_b64 v[28:29], v[26:27], off
	global_load_b64 v[32:33], v[24:25], off
	s_cmp_eq_u64 s[0:1], 0
	s_add_nc_u64 s[26:27], s[0:1], -1
	s_cselect_b32 s1, -1, 0
	s_wait_xcnt 0x1
	v_add_nc_u64_e32 v[26:27], 8, v[26:27]
	s_wait_xcnt 0x0
	v_add_nc_u64_e32 v[24:25], 8, v[24:25]
	s_wait_loadcnt 0x0
	v_cmp_ne_u64_e32 vcc_lo, v[28:29], v[32:33]
	v_cmp_eq_u64_e64 s0, v[28:29], v[32:33]
	s_or_b32 s1, vcc_lo, s1
	s_delay_alu instid0(SALU_CYCLE_1) | instskip(NEXT) | instid1(SALU_CYCLE_1)
	s_and_b32 s1, exec_lo, s1
	s_or_b32 s24, s1, s24
	s_and_not1_b32 s17, s17, exec_lo
	s_and_b32 s25, s0, exec_lo
	s_mov_b64 s[0:1], s[26:27]
	s_or_b32 s17, s17, s25
	s_and_not1_b32 exec_lo, exec_lo, s24
	s_cbranch_execnz .LBB619_92
; %bb.93:
	s_or_b32 exec_lo, exec_lo, s24
	v_mul_u64_e32 v[24:25], s[18:19], v[10:11]
	s_mov_b32 s25, 0
	s_mov_b64 s[0:1], s[4:5]
                                        ; implicit-def: $sgpr24
	s_delay_alu instid0(VALU_DEP_1) | instskip(NEXT) | instid1(VALU_DEP_1)
	v_lshl_add_u64 v[24:25], v[24:25], 3, s[8:9]
	v_mov_b64_e32 v[26:27], v[24:25]
.LBB619_94:                             ; =>This Inner Loop Header: Depth=1
	global_load_b64 v[28:29], v[26:27], off
	global_load_b64 v[32:33], v[22:23], off
	s_cmp_eq_u64 s[0:1], 0
	s_add_nc_u64 s[26:27], s[0:1], -1
	s_cselect_b32 s1, -1, 0
	s_wait_xcnt 0x1
	v_add_nc_u64_e32 v[26:27], 8, v[26:27]
	s_wait_xcnt 0x0
	v_add_nc_u64_e32 v[22:23], 8, v[22:23]
	s_wait_loadcnt 0x0
	v_cmp_ne_u64_e32 vcc_lo, v[28:29], v[32:33]
	v_cmp_eq_u64_e64 s0, v[28:29], v[32:33]
	s_or_b32 s1, vcc_lo, s1
	s_delay_alu instid0(SALU_CYCLE_1) | instskip(NEXT) | instid1(SALU_CYCLE_1)
	s_and_b32 s1, exec_lo, s1
	s_or_b32 s25, s1, s25
	s_and_not1_b32 s24, s24, exec_lo
	s_and_b32 s34, s0, exec_lo
	s_mov_b64 s[0:1], s[26:27]
	s_or_b32 s24, s24, s34
	s_and_not1_b32 exec_lo, exec_lo, s25
	s_cbranch_execnz .LBB619_94
; %bb.95:
	s_or_b32 exec_lo, exec_lo, s25
	v_mul_u64_e32 v[22:23], s[18:19], v[16:17]
	s_mov_b32 s26, 0
	s_mov_b64 s[0:1], s[4:5]
                                        ; implicit-def: $sgpr25
	s_delay_alu instid0(VALU_DEP_1) | instskip(NEXT) | instid1(VALU_DEP_1)
	v_lshl_add_u64 v[22:23], v[22:23], 3, s[8:9]
	v_mov_b64_e32 v[26:27], v[22:23]
.LBB619_96:                             ; =>This Inner Loop Header: Depth=1
	global_load_b64 v[28:29], v[26:27], off
	global_load_b64 v[32:33], v[24:25], off
	s_cmp_eq_u64 s[0:1], 0
	s_add_nc_u64 s[34:35], s[0:1], -1
	s_cselect_b32 s1, -1, 0
	s_wait_xcnt 0x1
	v_add_nc_u64_e32 v[26:27], 8, v[26:27]
	s_wait_xcnt 0x0
	v_add_nc_u64_e32 v[24:25], 8, v[24:25]
	s_wait_loadcnt 0x0
	v_cmp_ne_u64_e32 vcc_lo, v[28:29], v[32:33]
	v_cmp_eq_u64_e64 s0, v[28:29], v[32:33]
	s_or_b32 s1, vcc_lo, s1
	s_delay_alu instid0(SALU_CYCLE_1) | instskip(NEXT) | instid1(SALU_CYCLE_1)
	s_and_b32 s1, exec_lo, s1
	s_or_b32 s26, s1, s26
	s_and_not1_b32 s25, s25, exec_lo
	s_and_b32 s27, s0, exec_lo
	s_mov_b64 s[0:1], s[34:35]
	s_or_b32 s25, s25, s27
	s_and_not1_b32 exec_lo, exec_lo, s26
	s_cbranch_execnz .LBB619_96
; %bb.97:
	s_or_b32 exec_lo, exec_lo, s26
	v_mul_u64_e32 v[24:25], s[18:19], v[14:15]
	s_mov_b32 s26, 0
                                        ; implicit-def: $sgpr1
	s_delay_alu instid0(VALU_DEP_1)
	v_lshl_add_u64 v[24:25], v[24:25], 3, s[8:9]
.LBB619_98:                             ; =>This Inner Loop Header: Depth=1
	global_load_b64 v[26:27], v[24:25], off
	global_load_b64 v[28:29], v[22:23], off
	s_cmp_eq_u64 s[4:5], 0
	s_add_nc_u64 s[34:35], s[4:5], -1
	s_cselect_b32 s4, -1, 0
	s_wait_xcnt 0x1
	v_add_nc_u64_e32 v[24:25], 8, v[24:25]
	s_wait_xcnt 0x0
	v_add_nc_u64_e32 v[22:23], 8, v[22:23]
	s_wait_loadcnt 0x0
	v_cmp_ne_u64_e32 vcc_lo, v[26:27], v[28:29]
	v_cmp_eq_u64_e64 s0, v[26:27], v[28:29]
	s_or_b32 s4, vcc_lo, s4
	s_delay_alu instid0(SALU_CYCLE_1) | instskip(NEXT) | instid1(SALU_CYCLE_1)
	s_and_b32 s4, exec_lo, s4
	s_or_b32 s26, s4, s26
	s_and_not1_b32 s1, s1, exec_lo
	s_and_b32 s0, s0, exec_lo
	s_mov_b64 s[4:5], s[34:35]
	s_or_b32 s1, s1, s0
	s_and_not1_b32 exec_lo, exec_lo, s26
	s_cbranch_execnz .LBB619_98
; %bb.99:
	s_or_b32 exec_lo, exec_lo, s26
	s_xor_b32 s0, s24, -1
	s_delay_alu instid0(SALU_CYCLE_1) | instskip(SKIP_1) | instid1(SALU_CYCLE_1)
	v_cndmask_b32_e64 v22, 0, 1, s0
	s_xor_b32 s0, s25, -1
	v_cndmask_b32_e64 v23, 0, 1, s0
	s_xor_b32 s0, s17, -1
	s_delay_alu instid0(VALU_DEP_2) | instskip(SKIP_2) | instid1(VALU_DEP_2)
	v_lshlrev_b16 v22, 8, v22
	v_cndmask_b32_e64 v34, 0, 1, s0
	s_xor_b32 s0, s1, -1
	v_lshrrev_b32_e32 v22, 8, v22
	s_delay_alu instid0(VALU_DEP_1) | instskip(NEXT) | instid1(VALU_DEP_1)
	v_lshlrev_b16 v22, 8, v22
	v_or_b32_e32 v22, v23, v22
	s_delay_alu instid0(VALU_DEP_1)
	v_lshlrev_b32_e32 v22, 16, v22
	s_branch .LBB619_102
.LBB619_100:
                                        ; implicit-def: $sgpr0
                                        ; implicit-def: $vgpr34
                                        ; implicit-def: $vgpr25
                                        ; implicit-def: $vgpr24
                                        ; implicit-def: $vgpr23
                                        ; implicit-def: $vgpr35
                                        ; implicit-def: $vgpr22
	s_cbranch_execnz .LBB619_109
	s_branch .LBB619_142
.LBB619_101:
	v_dual_mov_b32 v22, 0 :: v_dual_mov_b32 v34, 0
	s_mov_b32 s0, 0
.LBB619_102:
	s_delay_alu instid0(VALU_DEP_1)
	v_dual_lshrrev_b32 v35, 16, v22 :: v_dual_lshrrev_b32 v22, 24, v22
	v_cndmask_b32_e64 v23, 0, 1, s0
	v_mov_b32_e32 v24, 1
	s_wait_dscnt 0x0
	s_barrier_signal -1
	s_barrier_wait -1
                                        ; implicit-def: $sgpr0
                                        ; implicit-def: $vgpr25
	s_and_saveexec_b32 s1, s3
	s_delay_alu instid0(SALU_CYCLE_1)
	s_xor_b32 s4, exec_lo, s1
	s_cbranch_execz .LBB619_108
; %bb.103:
	v_lshlrev_b16 v25, 8, v22
	v_lshlrev_b16 v26, 8, v23
	s_and_not1_b32 vcc_lo, exec_lo, s7
	s_mov_b32 s0, 0
	s_delay_alu instid0(VALU_DEP_2) | instskip(NEXT) | instid1(VALU_DEP_1)
	v_bitop3_b16 v25, v35, v25, 0xff bitop3:0xec
	v_dual_lshlrev_b32 v25, 16, v25 :: v_dual_bitop2_b32 v26, 1, v26 bitop3:0x54
	s_delay_alu instid0(VALU_DEP_1) | instskip(NEXT) | instid1(VALU_DEP_1)
	v_and_b32_e32 v26, 0xffff, v26
	v_or_b32_e32 v25, v26, v25
	s_cbranch_vccnz .LBB619_107
; %bb.104:
	v_add_nc_u32_e32 v26, -8, v31
	v_mul_u64_e32 v[28:29], s[18:19], v[14:15]
	s_add_nc_u64 s[0:1], s[18:19], -1
	s_mov_b32 s5, 0
                                        ; implicit-def: $sgpr17
	ds_load_b64 v[26:27], v26
	s_wait_dscnt 0x0
	v_mul_u64_e32 v[26:27], s[18:19], v[26:27]
	v_lshl_add_u64 v[28:29], v[28:29], 3, s[8:9]
	s_delay_alu instid0(VALU_DEP_2)
	v_lshl_add_u64 v[26:27], v[26:27], 3, s[8:9]
.LBB619_105:                            ; =>This Inner Loop Header: Depth=1
	global_load_b64 v[32:33], v[26:27], off
	global_load_b64 v[36:37], v[28:29], off
	s_cmp_eq_u64 s[0:1], 0
	s_add_nc_u64 s[24:25], s[0:1], -1
	s_cselect_b32 s1, -1, 0
	s_wait_xcnt 0x1
	v_add_nc_u64_e32 v[26:27], 8, v[26:27]
	s_wait_xcnt 0x0
	v_add_nc_u64_e32 v[28:29], 8, v[28:29]
	s_wait_loadcnt 0x0
	v_cmp_ne_u64_e32 vcc_lo, v[32:33], v[36:37]
	v_cmp_eq_u64_e64 s0, v[32:33], v[36:37]
	s_or_b32 s1, vcc_lo, s1
	s_delay_alu instid0(SALU_CYCLE_1) | instskip(NEXT) | instid1(SALU_CYCLE_1)
	s_and_b32 s1, exec_lo, s1
	s_or_b32 s5, s1, s5
	s_and_not1_b32 s17, s17, exec_lo
	s_and_b32 s26, s0, exec_lo
	s_mov_b64 s[0:1], s[24:25]
	s_or_b32 s17, s17, s26
	s_and_not1_b32 exec_lo, exec_lo, s5
	s_cbranch_execnz .LBB619_105
; %bb.106:
	s_or_b32 exec_lo, exec_lo, s5
	s_xor_b32 s0, s17, -1
.LBB619_107:
	s_delay_alu instid0(VALU_DEP_1)
	v_perm_b32 v25, v25, v25, 0x3020104
	s_or_b32 s6, s6, exec_lo
.LBB619_108:
	s_or_b32 exec_lo, exec_lo, s4
	s_branch .LBB619_142
.LBB619_109:
	v_add_nc_u32_e32 v22, 4, v30
	s_mov_b32 s4, 0
	s_mov_b32 s5, 0
	s_mov_b32 s17, exec_lo
	s_delay_alu instid0(VALU_DEP_1)
	v_cmpx_gt_u32_e64 s31, v22
	s_cbranch_execz .LBB619_115
; %bb.110:
	s_and_not1_b32 vcc_lo, exec_lo, s7
	s_mov_b32 s0, 0
	s_cbranch_vccnz .LBB619_114
; %bb.111:
	v_mul_u64_e32 v[22:23], s[18:19], v[12:13]
	v_mul_u64_e32 v[24:25], s[18:19], v[20:21]
	s_add_nc_u64 s[0:1], s[18:19], -1
                                        ; implicit-def: $sgpr24
	s_delay_alu instid0(VALU_DEP_2) | instskip(NEXT) | instid1(VALU_DEP_2)
	v_lshl_add_u64 v[22:23], v[22:23], 3, s[8:9]
	v_lshl_add_u64 v[24:25], v[24:25], 3, s[8:9]
.LBB619_112:                            ; =>This Inner Loop Header: Depth=1
	global_load_b64 v[26:27], v[22:23], off
	global_load_b64 v[28:29], v[24:25], off
	s_cmp_eq_u64 s[0:1], 0
	s_add_nc_u64 s[26:27], s[0:1], -1
	s_cselect_b32 s1, -1, 0
	s_wait_xcnt 0x1
	v_add_nc_u64_e32 v[22:23], 8, v[22:23]
	s_wait_xcnt 0x0
	v_add_nc_u64_e32 v[24:25], 8, v[24:25]
	s_wait_loadcnt 0x0
	v_cmp_ne_u64_e32 vcc_lo, v[26:27], v[28:29]
	v_cmp_eq_u64_e64 s0, v[26:27], v[28:29]
	s_or_b32 s1, vcc_lo, s1
	s_delay_alu instid0(SALU_CYCLE_1) | instskip(NEXT) | instid1(SALU_CYCLE_1)
	s_and_b32 s1, exec_lo, s1
	s_or_b32 s5, s1, s5
	s_and_not1_b32 s24, s24, exec_lo
	s_and_b32 s25, s0, exec_lo
	s_mov_b64 s[0:1], s[26:27]
	s_or_b32 s24, s24, s25
	s_and_not1_b32 exec_lo, exec_lo, s5
	s_cbranch_execnz .LBB619_112
; %bb.113:
	s_or_b32 exec_lo, exec_lo, s5
	s_xor_b32 s0, s24, -1
.LBB619_114:
	s_delay_alu instid0(SALU_CYCLE_1)
	s_and_b32 s5, s0, exec_lo
.LBB619_115:
	s_or_b32 exec_lo, exec_lo, s17
	v_add_nc_u32_e32 v22, 3, v30
	s_mov_b32 s17, exec_lo
	s_delay_alu instid0(VALU_DEP_1)
	v_cmpx_gt_u32_e64 s31, v22
	s_cbranch_execz .LBB619_121
; %bb.116:
	s_and_not1_b32 vcc_lo, exec_lo, s7
	s_mov_b32 s0, 0
	s_cbranch_vccnz .LBB619_120
; %bb.117:
	v_mul_u64_e32 v[22:23], s[18:19], v[10:11]
	v_mul_u64_e32 v[24:25], s[18:19], v[12:13]
	s_add_nc_u64 s[0:1], s[18:19], -1
	s_mov_b32 s4, 0
                                        ; implicit-def: $sgpr24
	s_delay_alu instid0(VALU_DEP_2) | instskip(NEXT) | instid1(VALU_DEP_2)
	v_lshl_add_u64 v[22:23], v[22:23], 3, s[8:9]
	v_lshl_add_u64 v[24:25], v[24:25], 3, s[8:9]
.LBB619_118:                            ; =>This Inner Loop Header: Depth=1
	global_load_b64 v[26:27], v[22:23], off
	global_load_b64 v[28:29], v[24:25], off
	s_cmp_eq_u64 s[0:1], 0
	s_add_nc_u64 s[26:27], s[0:1], -1
	s_cselect_b32 s1, -1, 0
	s_wait_xcnt 0x1
	v_add_nc_u64_e32 v[22:23], 8, v[22:23]
	s_wait_xcnt 0x0
	v_add_nc_u64_e32 v[24:25], 8, v[24:25]
	s_wait_loadcnt 0x0
	v_cmp_ne_u64_e32 vcc_lo, v[26:27], v[28:29]
	v_cmp_eq_u64_e64 s0, v[26:27], v[28:29]
	s_or_b32 s1, vcc_lo, s1
	s_delay_alu instid0(SALU_CYCLE_1) | instskip(NEXT) | instid1(SALU_CYCLE_1)
	s_and_b32 s1, exec_lo, s1
	s_or_b32 s4, s1, s4
	s_and_not1_b32 s24, s24, exec_lo
	s_and_b32 s25, s0, exec_lo
	s_mov_b64 s[0:1], s[26:27]
	s_or_b32 s24, s24, s25
	s_and_not1_b32 exec_lo, exec_lo, s4
	s_cbranch_execnz .LBB619_118
; %bb.119:
	s_or_b32 exec_lo, exec_lo, s4
	s_xor_b32 s0, s24, -1
.LBB619_120:
	s_delay_alu instid0(SALU_CYCLE_1)
	s_and_b32 s4, s0, exec_lo
.LBB619_121:
	s_or_b32 exec_lo, exec_lo, s17
	v_add_nc_u32_e32 v22, 2, v30
	s_mov_b32 s17, 0
	s_mov_b32 s24, 0
	s_mov_b32 s25, exec_lo
	s_delay_alu instid0(VALU_DEP_1)
	v_cmpx_gt_u32_e64 s31, v22
	s_cbranch_execz .LBB619_127
; %bb.122:
	s_and_not1_b32 vcc_lo, exec_lo, s7
	s_mov_b32 s0, 0
	s_cbranch_vccnz .LBB619_126
; %bb.123:
	v_mul_u64_e32 v[22:23], s[18:19], v[16:17]
	v_mul_u64_e32 v[24:25], s[18:19], v[10:11]
	s_add_nc_u64 s[0:1], s[18:19], -1
                                        ; implicit-def: $sgpr26
	s_delay_alu instid0(VALU_DEP_2) | instskip(NEXT) | instid1(VALU_DEP_2)
	v_lshl_add_u64 v[22:23], v[22:23], 3, s[8:9]
	v_lshl_add_u64 v[24:25], v[24:25], 3, s[8:9]
.LBB619_124:                            ; =>This Inner Loop Header: Depth=1
	global_load_b64 v[26:27], v[22:23], off
	global_load_b64 v[28:29], v[24:25], off
	s_cmp_eq_u64 s[0:1], 0
	s_add_nc_u64 s[34:35], s[0:1], -1
	s_cselect_b32 s1, -1, 0
	s_wait_xcnt 0x1
	v_add_nc_u64_e32 v[22:23], 8, v[22:23]
	s_wait_xcnt 0x0
	v_add_nc_u64_e32 v[24:25], 8, v[24:25]
	s_wait_loadcnt 0x0
	v_cmp_ne_u64_e32 vcc_lo, v[26:27], v[28:29]
	v_cmp_eq_u64_e64 s0, v[26:27], v[28:29]
	s_or_b32 s1, vcc_lo, s1
	s_delay_alu instid0(SALU_CYCLE_1) | instskip(NEXT) | instid1(SALU_CYCLE_1)
	s_and_b32 s1, exec_lo, s1
	s_or_b32 s24, s1, s24
	s_and_not1_b32 s26, s26, exec_lo
	s_and_b32 s27, s0, exec_lo
	s_mov_b64 s[0:1], s[34:35]
	s_or_b32 s26, s26, s27
	s_and_not1_b32 exec_lo, exec_lo, s24
	s_cbranch_execnz .LBB619_124
; %bb.125:
	s_or_b32 exec_lo, exec_lo, s24
	s_xor_b32 s0, s26, -1
.LBB619_126:
	s_delay_alu instid0(SALU_CYCLE_1)
	s_and_b32 s24, s0, exec_lo
.LBB619_127:
	s_or_b32 exec_lo, exec_lo, s25
	v_add_nc_u32_e32 v22, 1, v30
	s_mov_b32 s25, exec_lo
	s_delay_alu instid0(VALU_DEP_1)
	v_cmpx_gt_u32_e64 s31, v22
	s_cbranch_execz .LBB619_133
; %bb.128:
	s_and_not1_b32 vcc_lo, exec_lo, s7
	s_mov_b32 s0, 0
	s_cbranch_vccnz .LBB619_132
; %bb.129:
	v_mul_u64_e32 v[22:23], s[18:19], v[14:15]
	v_mul_u64_e32 v[24:25], s[18:19], v[16:17]
	s_add_nc_u64 s[0:1], s[18:19], -1
	s_mov_b32 s17, 0
                                        ; implicit-def: $sgpr26
	s_delay_alu instid0(VALU_DEP_2) | instskip(NEXT) | instid1(VALU_DEP_2)
	v_lshl_add_u64 v[22:23], v[22:23], 3, s[8:9]
	v_lshl_add_u64 v[24:25], v[24:25], 3, s[8:9]
.LBB619_130:                            ; =>This Inner Loop Header: Depth=1
	global_load_b64 v[26:27], v[22:23], off
	global_load_b64 v[28:29], v[24:25], off
	s_cmp_eq_u64 s[0:1], 0
	s_add_nc_u64 s[34:35], s[0:1], -1
	s_cselect_b32 s1, -1, 0
	s_wait_xcnt 0x1
	v_add_nc_u64_e32 v[22:23], 8, v[22:23]
	s_wait_xcnt 0x0
	v_add_nc_u64_e32 v[24:25], 8, v[24:25]
	s_wait_loadcnt 0x0
	v_cmp_ne_u64_e32 vcc_lo, v[26:27], v[28:29]
	v_cmp_eq_u64_e64 s0, v[26:27], v[28:29]
	s_or_b32 s1, vcc_lo, s1
	s_delay_alu instid0(SALU_CYCLE_1) | instskip(NEXT) | instid1(SALU_CYCLE_1)
	s_and_b32 s1, exec_lo, s1
	s_or_b32 s17, s1, s17
	s_and_not1_b32 s26, s26, exec_lo
	s_and_b32 s27, s0, exec_lo
	s_mov_b64 s[0:1], s[34:35]
	s_or_b32 s26, s26, s27
	s_and_not1_b32 exec_lo, exec_lo, s17
	s_cbranch_execnz .LBB619_130
; %bb.131:
	s_or_b32 exec_lo, exec_lo, s17
	s_xor_b32 s0, s26, -1
.LBB619_132:
	s_delay_alu instid0(SALU_CYCLE_1)
	s_and_b32 s17, s0, exec_lo
.LBB619_133:
	s_or_b32 exec_lo, exec_lo, s25
	v_cndmask_b32_e64 v34, 0, 1, s5
	v_cndmask_b32_e64 v35, 0, 1, s24
	;; [unrolled: 1-line block ×4, first 2 shown]
	v_mov_b32_e32 v24, 1
	s_wait_dscnt 0x0
	s_barrier_signal -1
	s_barrier_wait -1
                                        ; implicit-def: $sgpr0
                                        ; implicit-def: $vgpr25
	s_and_saveexec_b32 s4, s3
	s_cbranch_execz .LBB619_141
; %bb.134:
	v_lshlrev_b16 v25, 8, v23
	v_lshlrev_b16 v26, 8, v22
	s_mov_b32 s0, 0
	s_mov_b32 s3, exec_lo
	s_delay_alu instid0(VALU_DEP_1) | instskip(NEXT) | instid1(VALU_DEP_1)
	v_or_b32_e32 v26, v35, v26
	v_dual_lshlrev_b32 v26, 16, v26 :: v_dual_bitop2_b32 v25, 1, v25 bitop3:0x54
	s_delay_alu instid0(VALU_DEP_1) | instskip(NEXT) | instid1(VALU_DEP_1)
	v_and_b32_e32 v25, 0xffff, v25
	v_or_b32_e32 v25, v25, v26
	v_cmpx_gt_u32_e64 s31, v30
	s_cbranch_execz .LBB619_140
; %bb.135:
	s_and_not1_b32 vcc_lo, exec_lo, s7
	s_cbranch_vccnz .LBB619_139
; %bb.136:
	v_add_nc_u32_e32 v26, -8, v31
	v_mul_u64_e32 v[28:29], s[18:19], v[14:15]
	s_add_nc_u64 s[0:1], s[18:19], -1
	s_mov_b32 s5, 0
                                        ; implicit-def: $sgpr7
	ds_load_b64 v[26:27], v26
	s_wait_dscnt 0x0
	v_mul_u64_e32 v[26:27], s[18:19], v[26:27]
	v_lshl_add_u64 v[28:29], v[28:29], 3, s[8:9]
	s_delay_alu instid0(VALU_DEP_2)
	v_lshl_add_u64 v[26:27], v[26:27], 3, s[8:9]
.LBB619_137:                            ; =>This Inner Loop Header: Depth=1
	global_load_b64 v[32:33], v[26:27], off
	global_load_b64 v[36:37], v[28:29], off
	s_cmp_eq_u64 s[0:1], 0
	s_add_nc_u64 s[8:9], s[0:1], -1
	s_cselect_b32 s1, -1, 0
	s_wait_xcnt 0x1
	v_add_nc_u64_e32 v[26:27], 8, v[26:27]
	s_wait_xcnt 0x0
	v_add_nc_u64_e32 v[28:29], 8, v[28:29]
	s_wait_loadcnt 0x0
	v_cmp_ne_u64_e32 vcc_lo, v[32:33], v[36:37]
	v_cmp_eq_u64_e64 s0, v[32:33], v[36:37]
	s_or_b32 s1, vcc_lo, s1
	s_delay_alu instid0(SALU_CYCLE_1) | instskip(NEXT) | instid1(SALU_CYCLE_1)
	s_and_b32 s1, exec_lo, s1
	s_or_b32 s5, s1, s5
	s_and_not1_b32 s7, s7, exec_lo
	s_and_b32 s17, s0, exec_lo
	s_mov_b64 s[0:1], s[8:9]
	s_or_b32 s7, s7, s17
	s_and_not1_b32 exec_lo, exec_lo, s5
	s_cbranch_execnz .LBB619_137
; %bb.138:
	s_or_b32 exec_lo, exec_lo, s5
	s_xor_b32 s0, s7, -1
.LBB619_139:
	s_delay_alu instid0(SALU_CYCLE_1)
	s_and_b32 s0, s0, exec_lo
.LBB619_140:
	s_or_b32 exec_lo, exec_lo, s3
	s_delay_alu instid0(VALU_DEP_2)
	v_perm_b32 v25, v25, v25, 0x3020104
	s_or_b32 s6, s6, exec_lo
.LBB619_141:
	s_or_b32 exec_lo, exec_lo, s4
.LBB619_142:
	s_and_saveexec_b32 s1, s6
	s_cbranch_execz .LBB619_144
; %bb.143:
	s_wait_loadcnt_dscnt 0x0
	v_dual_lshrrev_b32 v22, 24, v25 :: v_dual_lshrrev_b32 v35, 16, v25
	v_lshrrev_b32_e32 v23, 8, v25
	v_cndmask_b32_e64 v24, 0, 1, s0
.LBB619_144:
	s_or_b32 exec_lo, exec_lo, s1
	s_delay_alu instid0(SALU_CYCLE_1)
	s_and_not1_b32 vcc_lo, exec_lo, s33
	s_cbranch_vccnz .LBB619_148
; %bb.145:
	s_wait_loadcnt_dscnt 0x0
	v_perm_b32 v23, v24, v23, 0xc0c0004
	v_perm_b32 v22, v35, v22, 0xc0c0004
	v_cmp_gt_u32_e32 vcc_lo, s31, v30
	v_dual_add_nc_u32 v24, 1, v30 :: v_dual_add_nc_u32 v26, 4, v30
	v_and_b32_e32 v34, 0xff, v34
	s_delay_alu instid0(VALU_DEP_4) | instskip(SKIP_1) | instid1(VALU_DEP_2)
	v_lshl_or_b32 v22, v22, 16, v23
	s_mov_b32 s0, exec_lo
	v_and_b32_e32 v25, 0xffff, v34
	s_delay_alu instid0(VALU_DEP_2) | instskip(SKIP_2) | instid1(VALU_DEP_3)
	v_cndmask_b32_e32 v23, 0, v22, vcc_lo
	v_cmp_gt_u32_e32 vcc_lo, s31, v24
	v_add_nc_u32_e32 v24, 2, v30
	v_and_b32_e32 v23, 0xff, v23
	s_delay_alu instid0(VALU_DEP_1) | instskip(NEXT) | instid1(VALU_DEP_3)
	v_cndmask_b32_e32 v23, v23, v22, vcc_lo
	v_cmp_gt_u32_e32 vcc_lo, s31, v24
	v_add_nc_u32_e32 v24, 3, v30
	s_delay_alu instid0(VALU_DEP_3) | instskip(NEXT) | instid1(VALU_DEP_1)
	v_and_b32_e32 v23, 0xffff, v23
	v_cndmask_b32_e32 v23, v23, v22, vcc_lo
	s_delay_alu instid0(VALU_DEP_3) | instskip(NEXT) | instid1(VALU_DEP_2)
	v_cmp_gt_u32_e32 vcc_lo, s31, v24
	v_and_b32_e32 v23, 0xffffff, v23
	s_delay_alu instid0(VALU_DEP_1) | instskip(NEXT) | instid1(VALU_DEP_1)
	v_cndmask_b32_e32 v24, v23, v22, vcc_lo
	v_lshrrev_b64 v[22:23], 24, v[24:25]
	v_dual_lshrrev_b32 v35, 16, v24 :: v_dual_lshrrev_b32 v23, 8, v24
	v_cmpx_le_u32_e64 s31, v26
; %bb.146:
	v_mov_b32_e32 v34, 0
; %bb.147:
	s_or_b32 exec_lo, exec_lo, s0
.LBB619_148:
	s_delay_alu instid0(VALU_DEP_1)
	v_and_b32_e32 v25, 0xff, v24
	s_wait_loadcnt_dscnt 0x0
	v_and_b32_e32 v36, 0xff, v23
	v_and_b32_e32 v37, 0xff, v35
	v_mbcnt_lo_u32_b32 v39, -1, 0
	v_and_b32_e32 v38, 0xff, v22
	v_and_b32_e32 v26, 0xff, v34
	v_lshrrev_b32_e32 v40, 5, v0
	v_add3_u32 v27, v36, v25, v37
	v_and_b32_e32 v28, 15, v39
	s_and_b32 vcc_lo, exec_lo, s16
	s_mov_b32 s7, -1
	s_delay_alu instid0(VALU_DEP_2)
	v_add3_u32 v41, v27, v38, v26
	v_and_b32_e32 v26, 16, v39
	v_or_b32_e32 v27, 31, v0
	v_cmp_eq_u32_e64 s3, 0, v28
	v_cmp_lt_u32_e64 s5, 1, v28
	v_cmp_lt_u32_e64 s6, 3, v28
	;; [unrolled: 1-line block ×3, first 2 shown]
	v_cmp_eq_u32_e64 s1, 0, v26
	v_cmp_eq_u32_e64 s0, v0, v27
	s_barrier_signal -1
	s_barrier_wait -1
                                        ; implicit-def: $vgpr30
                                        ; implicit-def: $vgpr31
                                        ; implicit-def: $vgpr32
                                        ; implicit-def: $vgpr33
                                        ; implicit-def: $vgpr42
                                        ; implicit-def: $vgpr28
                                        ; implicit-def: $vgpr26
	s_cbranch_vccz .LBB619_175
; %bb.149:
	v_mov_b32_dpp v26, v41 row_shr:1 row_mask:0xf bank_mask:0xf
	s_delay_alu instid0(VALU_DEP_1) | instskip(NEXT) | instid1(VALU_DEP_1)
	v_cndmask_b32_e64 v26, v26, 0, s3
	v_add_nc_u32_e32 v26, v26, v41
	s_delay_alu instid0(VALU_DEP_1) | instskip(NEXT) | instid1(VALU_DEP_1)
	v_mov_b32_dpp v27, v26 row_shr:2 row_mask:0xf bank_mask:0xf
	v_cndmask_b32_e64 v27, 0, v27, s5
	s_delay_alu instid0(VALU_DEP_1) | instskip(NEXT) | instid1(VALU_DEP_1)
	v_add_nc_u32_e32 v26, v26, v27
	v_mov_b32_dpp v27, v26 row_shr:4 row_mask:0xf bank_mask:0xf
	s_delay_alu instid0(VALU_DEP_1) | instskip(NEXT) | instid1(VALU_DEP_1)
	v_cndmask_b32_e64 v27, 0, v27, s6
	v_add_nc_u32_e32 v26, v26, v27
	s_delay_alu instid0(VALU_DEP_1) | instskip(NEXT) | instid1(VALU_DEP_1)
	v_mov_b32_dpp v27, v26 row_shr:8 row_mask:0xf bank_mask:0xf
	v_cndmask_b32_e64 v27, 0, v27, s4
	s_delay_alu instid0(VALU_DEP_1) | instskip(SKIP_3) | instid1(VALU_DEP_1)
	v_add_nc_u32_e32 v26, v26, v27
	ds_swizzle_b32 v27, v26 offset:swizzle(BROADCAST,32,15)
	s_wait_dscnt 0x0
	v_cndmask_b32_e64 v27, v27, 0, s1
	v_add_nc_u32_e32 v26, v26, v27
	s_and_saveexec_b32 s7, s0
; %bb.150:
	v_lshlrev_b32_e32 v27, 2, v40
	ds_store_b32 v27, v26
; %bb.151:
	s_or_b32 exec_lo, exec_lo, s7
	s_delay_alu instid0(SALU_CYCLE_1)
	s_mov_b32 s7, exec_lo
	s_wait_dscnt 0x0
	s_barrier_signal -1
	s_barrier_wait -1
	v_cmpx_gt_u32_e32 4, v0
	s_cbranch_execz .LBB619_153
; %bb.152:
	v_dual_lshlrev_b32 v27, 2, v0 :: v_dual_bitop2_b32 v29, 3, v39 bitop3:0x40
	ds_load_b32 v28, v27
	v_cmp_ne_u32_e32 vcc_lo, 0, v29
	s_wait_dscnt 0x0
	v_mov_b32_dpp v30, v28 row_shr:1 row_mask:0xf bank_mask:0xf
	s_delay_alu instid0(VALU_DEP_1) | instskip(SKIP_1) | instid1(VALU_DEP_2)
	v_cndmask_b32_e32 v30, 0, v30, vcc_lo
	v_cmp_lt_u32_e32 vcc_lo, 1, v29
	v_add_nc_u32_e32 v28, v30, v28
	s_delay_alu instid0(VALU_DEP_1) | instskip(NEXT) | instid1(VALU_DEP_1)
	v_mov_b32_dpp v30, v28 row_shr:2 row_mask:0xf bank_mask:0xf
	v_cndmask_b32_e32 v29, 0, v30, vcc_lo
	s_delay_alu instid0(VALU_DEP_1)
	v_add_nc_u32_e32 v28, v28, v29
	ds_store_b32 v27, v28
.LBB619_153:
	s_or_b32 exec_lo, exec_lo, s7
	s_delay_alu instid0(SALU_CYCLE_1)
	s_mov_b32 s8, exec_lo
	v_cmp_gt_u32_e32 vcc_lo, 32, v0
	s_wait_dscnt 0x0
	s_barrier_signal -1
	s_barrier_wait -1
                                        ; implicit-def: $vgpr42
	v_cmpx_lt_u32_e32 31, v0
	s_cbranch_execz .LBB619_155
; %bb.154:
	v_lshl_add_u32 v27, v40, 2, -4
	ds_load_b32 v42, v27
	s_wait_dscnt 0x0
	v_add_nc_u32_e32 v26, v42, v26
.LBB619_155:
	s_or_b32 exec_lo, exec_lo, s8
	v_sub_co_u32 v27, s7, v39, 1
	s_delay_alu instid0(VALU_DEP_1) | instskip(NEXT) | instid1(VALU_DEP_1)
	v_cmp_gt_i32_e64 s8, 0, v27
	v_cndmask_b32_e64 v27, v27, v39, s8
	s_delay_alu instid0(VALU_DEP_1)
	v_lshlrev_b32_e32 v27, 2, v27
	ds_bpermute_b32 v43, v27, v26
	s_and_saveexec_b32 s8, vcc_lo
	s_cbranch_execz .LBB619_174
; %bb.156:
	v_mov_b32_e32 v33, 0
	ds_load_b32 v26, v33 offset:12
	s_and_saveexec_b32 s9, s7
	s_cbranch_execz .LBB619_158
; %bb.157:
	s_add_co_i32 s16, s30, 32
	s_delay_alu instid0(SALU_CYCLE_1)
	v_dual_mov_b32 v27, 1 :: v_dual_mov_b32 v28, s16
	s_wait_dscnt 0x0
	global_store_b64 v28, v[26:27], s[10:11] scale_offset scope:SCOPE_DEV
.LBB619_158:
	s_wait_xcnt 0x0
	s_or_b32 exec_lo, exec_lo, s9
	v_xad_u32 v28, v39, -1, s30
	s_mov_b32 s16, 0
	s_mov_b32 s9, exec_lo
	s_delay_alu instid0(VALU_DEP_1) | instskip(SKIP_4) | instid1(VALU_DEP_1)
	v_add_nc_u32_e32 v32, 32, v28
	global_load_b64 v[30:31], v32, s[10:11] scale_offset scope:SCOPE_DEV
	s_wait_loadcnt 0x0
	v_and_b32_e32 v27, 0xff, v31
	s_wait_xcnt 0x0
	v_cmpx_eq_u16_e32 0, v27
	s_cbranch_execz .LBB619_162
; %bb.159:
	v_lshl_add_u64 v[32:33], v[32:33], 3, s[10:11]
.LBB619_160:                            ; =>This Inner Loop Header: Depth=1
	global_load_b64 v[30:31], v[32:33], off scope:SCOPE_DEV
	s_wait_loadcnt 0x0
	v_and_b32_e32 v27, 0xff, v31
	s_delay_alu instid0(VALU_DEP_1)
	v_cmp_ne_u16_e32 vcc_lo, 0, v27
	s_or_b32 s16, vcc_lo, s16
	s_wait_xcnt 0x0
	s_and_not1_b32 exec_lo, exec_lo, s16
	s_cbranch_execnz .LBB619_160
; %bb.161:
	s_or_b32 exec_lo, exec_lo, s16
.LBB619_162:
	s_delay_alu instid0(SALU_CYCLE_1)
	s_or_b32 exec_lo, exec_lo, s9
	v_cmp_ne_u32_e32 vcc_lo, 31, v39
	v_lshlrev_b32_e64 v45, v39, -1
	v_lshl_or_b32 v52, v39, 2, 64
	v_dual_add_nc_u32 v47, 2, v39 :: v_dual_add_nc_u32 v49, 4, v39
	v_add_co_ci_u32_e64 v27, null, 0, v39, vcc_lo
	v_dual_add_nc_u32 v51, 8, v39 :: v_dual_add_nc_u32 v53, 16, v39
	s_delay_alu instid0(VALU_DEP_2)
	v_lshlrev_b32_e32 v44, 2, v27
	v_and_b32_e32 v27, 0xff, v31
	ds_bpermute_b32 v29, v44, v30
	v_cmp_eq_u16_e32 vcc_lo, 2, v27
	v_and_or_b32 v27, vcc_lo, v45, 0x80000000
	v_cmp_gt_u32_e32 vcc_lo, 30, v39
	s_delay_alu instid0(VALU_DEP_2) | instskip(SKIP_1) | instid1(VALU_DEP_2)
	v_ctz_i32_b32_e32 v27, v27
	v_cndmask_b32_e64 v32, 0, 2, vcc_lo
	v_cmp_lt_u32_e32 vcc_lo, v39, v27
	s_delay_alu instid0(VALU_DEP_2) | instskip(SKIP_3) | instid1(VALU_DEP_2)
	v_add_lshl_u32 v46, v32, v39, 2
	s_wait_dscnt 0x0
	v_cndmask_b32_e32 v29, 0, v29, vcc_lo
	v_cmp_gt_u32_e32 vcc_lo, 28, v39
	v_add_nc_u32_e32 v29, v29, v30
	v_cndmask_b32_e64 v32, 0, 4, vcc_lo
	v_cmp_le_u32_e32 vcc_lo, v47, v27
	ds_bpermute_b32 v30, v46, v29
	v_add_lshl_u32 v48, v32, v39, 2
	s_wait_dscnt 0x0
	v_cndmask_b32_e32 v30, 0, v30, vcc_lo
	v_cmp_gt_u32_e32 vcc_lo, 24, v39
	v_cndmask_b32_e64 v32, 0, 8, vcc_lo
	v_cmp_le_u32_e32 vcc_lo, v49, v27
	s_delay_alu instid0(VALU_DEP_4) | instskip(NEXT) | instid1(VALU_DEP_3)
	v_add_nc_u32_e32 v29, v29, v30
	v_add_lshl_u32 v50, v32, v39, 2
	ds_bpermute_b32 v30, v48, v29
	s_wait_dscnt 0x0
	v_cndmask_b32_e32 v30, 0, v30, vcc_lo
	v_cmp_le_u32_e32 vcc_lo, v51, v27
	s_delay_alu instid0(VALU_DEP_2) | instskip(SKIP_4) | instid1(VALU_DEP_2)
	v_add_nc_u32_e32 v29, v29, v30
	ds_bpermute_b32 v30, v50, v29
	s_wait_dscnt 0x0
	v_cndmask_b32_e32 v30, 0, v30, vcc_lo
	v_cmp_le_u32_e32 vcc_lo, v53, v27
	v_add_nc_u32_e32 v29, v29, v30
	ds_bpermute_b32 v30, v52, v29
	s_wait_dscnt 0x0
	v_cndmask_b32_e32 v27, 0, v30, vcc_lo
	s_delay_alu instid0(VALU_DEP_1)
	v_dual_mov_b32 v29, 0 :: v_dual_add_nc_u32 v30, v29, v27
	s_branch .LBB619_165
.LBB619_163:                            ;   in Loop: Header=BB619_165 Depth=1
	s_or_b32 exec_lo, exec_lo, s9
	v_and_b32_e32 v32, 0xff, v31
	ds_bpermute_b32 v33, v44, v30
	v_subrev_nc_u32_e32 v28, 32, v28
	s_mov_b32 s9, 0
	v_cmp_eq_u16_e32 vcc_lo, 2, v32
	v_and_or_b32 v32, vcc_lo, v45, 0x80000000
	s_delay_alu instid0(VALU_DEP_1) | instskip(NEXT) | instid1(VALU_DEP_1)
	v_ctz_i32_b32_e32 v32, v32
	v_cmp_lt_u32_e32 vcc_lo, v39, v32
	s_wait_dscnt 0x0
	v_cndmask_b32_e32 v33, 0, v33, vcc_lo
	v_cmp_le_u32_e32 vcc_lo, v47, v32
	s_delay_alu instid0(VALU_DEP_2) | instskip(SKIP_4) | instid1(VALU_DEP_2)
	v_add_nc_u32_e32 v30, v33, v30
	ds_bpermute_b32 v33, v46, v30
	s_wait_dscnt 0x0
	v_cndmask_b32_e32 v33, 0, v33, vcc_lo
	v_cmp_le_u32_e32 vcc_lo, v49, v32
	v_add_nc_u32_e32 v30, v30, v33
	ds_bpermute_b32 v33, v48, v30
	s_wait_dscnt 0x0
	v_cndmask_b32_e32 v33, 0, v33, vcc_lo
	v_cmp_le_u32_e32 vcc_lo, v51, v32
	s_delay_alu instid0(VALU_DEP_2) | instskip(SKIP_4) | instid1(VALU_DEP_2)
	v_add_nc_u32_e32 v30, v30, v33
	ds_bpermute_b32 v33, v50, v30
	s_wait_dscnt 0x0
	v_cndmask_b32_e32 v33, 0, v33, vcc_lo
	v_cmp_le_u32_e32 vcc_lo, v53, v32
	v_add_nc_u32_e32 v30, v30, v33
	ds_bpermute_b32 v33, v52, v30
	s_wait_dscnt 0x0
	v_cndmask_b32_e32 v32, 0, v33, vcc_lo
	s_delay_alu instid0(VALU_DEP_1)
	v_add3_u32 v30, v32, v27, v30
.LBB619_164:                            ;   in Loop: Header=BB619_165 Depth=1
	s_and_b32 vcc_lo, exec_lo, s9
	s_cbranch_vccnz .LBB619_170
.LBB619_165:                            ; =>This Loop Header: Depth=1
                                        ;     Child Loop BB619_168 Depth 2
	v_and_b32_e32 v27, 0xff, v31
	s_mov_b32 s9, -1
                                        ; implicit-def: $vgpr31
	s_delay_alu instid0(VALU_DEP_1)
	v_cmp_ne_u16_e32 vcc_lo, 2, v27
	v_mov_b32_e32 v27, v30
                                        ; implicit-def: $vgpr30
	s_cmp_lg_u32 vcc_lo, exec_lo
	s_cbranch_scc1 .LBB619_164
; %bb.166:                              ;   in Loop: Header=BB619_165 Depth=1
	global_load_b64 v[30:31], v28, s[10:11] scale_offset scope:SCOPE_DEV
	s_mov_b32 s9, exec_lo
	s_wait_loadcnt 0x0
	v_and_b32_e32 v32, 0xff, v31
	s_wait_xcnt 0x0
	s_delay_alu instid0(VALU_DEP_1)
	v_cmpx_eq_u16_e32 0, v32
	s_cbranch_execz .LBB619_163
; %bb.167:                              ;   in Loop: Header=BB619_165 Depth=1
	v_lshl_add_u64 v[32:33], v[28:29], 3, s[10:11]
	s_mov_b32 s16, 0
.LBB619_168:                            ;   Parent Loop BB619_165 Depth=1
                                        ; =>  This Inner Loop Header: Depth=2
	global_load_b64 v[30:31], v[32:33], off scope:SCOPE_DEV
	s_wait_loadcnt 0x0
	v_and_b32_e32 v54, 0xff, v31
	s_delay_alu instid0(VALU_DEP_1)
	v_cmp_ne_u16_e32 vcc_lo, 0, v54
	s_or_b32 s16, vcc_lo, s16
	s_wait_xcnt 0x0
	s_and_not1_b32 exec_lo, exec_lo, s16
	s_cbranch_execnz .LBB619_168
; %bb.169:                              ;   in Loop: Header=BB619_165 Depth=1
	s_or_b32 exec_lo, exec_lo, s16
	s_branch .LBB619_163
.LBB619_170:
	s_and_saveexec_b32 s9, s7
	s_cbranch_execz .LBB619_172
; %bb.171:
	s_add_co_i32 s16, s30, 32
	v_dual_mov_b32 v29, 2 :: v_dual_add_nc_u32 v28, v27, v26
	v_dual_mov_b32 v30, s16 :: v_dual_mov_b32 v31, 0
	global_store_b64 v30, v[28:29], s[10:11] scale_offset scope:SCOPE_DEV
	ds_store_b64 v31, v[26:27] offset:5120
.LBB619_172:
	s_wait_xcnt 0x0
	s_or_b32 exec_lo, exec_lo, s9
	s_delay_alu instid0(SALU_CYCLE_1)
	s_and_b32 exec_lo, exec_lo, s2
; %bb.173:
	v_mov_b32_e32 v26, 0
	ds_store_b32 v26, v27 offset:12
.LBB619_174:
	s_or_b32 exec_lo, exec_lo, s8
	s_wait_dscnt 0x0
	v_dual_mov_b32 v26, 0 :: v_dual_cndmask_b32 v28, v43, v42, s7
	s_wait_storecnt 0x0
	s_barrier_signal -1
	s_barrier_wait -1
	ds_load_b32 v27, v26 offset:12
	v_cndmask_b32_e64 v28, v28, 0, s2
	s_wait_dscnt 0x0
	s_barrier_signal -1
	s_barrier_wait -1
	s_mov_b32 s7, 0
	v_add_nc_u32_e32 v42, v27, v28
	ds_load_b64 v[26:27], v26 offset:5120
	v_add_nc_u32_e32 v33, v42, v25
	s_wait_dscnt 0x0
	s_delay_alu instid0(VALU_DEP_1) | instskip(NEXT) | instid1(VALU_DEP_1)
	v_dual_add_nc_u32 v32, v33, v36 :: v_dual_mov_b32 v28, v27
	v_add_nc_u32_e32 v31, v32, v37
	s_delay_alu instid0(VALU_DEP_1)
	v_add_nc_u32_e32 v30, v31, v38
.LBB619_175:
	s_and_b32 vcc_lo, exec_lo, s7
	s_cbranch_vccz .LBB619_185
; %bb.176:
	v_mov_b32_dpp v26, v41 row_shr:1 row_mask:0xf bank_mask:0xf
	s_delay_alu instid0(VALU_DEP_1) | instskip(NEXT) | instid1(VALU_DEP_1)
	v_cndmask_b32_e64 v26, v26, 0, s3
	v_add_nc_u32_e32 v26, v26, v41
	s_delay_alu instid0(VALU_DEP_1) | instskip(NEXT) | instid1(VALU_DEP_1)
	v_mov_b32_dpp v27, v26 row_shr:2 row_mask:0xf bank_mask:0xf
	v_cndmask_b32_e64 v27, 0, v27, s5
	s_delay_alu instid0(VALU_DEP_1) | instskip(NEXT) | instid1(VALU_DEP_1)
	v_add_nc_u32_e32 v26, v26, v27
	v_mov_b32_dpp v27, v26 row_shr:4 row_mask:0xf bank_mask:0xf
	s_delay_alu instid0(VALU_DEP_1) | instskip(NEXT) | instid1(VALU_DEP_1)
	v_cndmask_b32_e64 v27, 0, v27, s6
	v_add_nc_u32_e32 v26, v26, v27
	s_delay_alu instid0(VALU_DEP_1) | instskip(NEXT) | instid1(VALU_DEP_1)
	v_mov_b32_dpp v27, v26 row_shr:8 row_mask:0xf bank_mask:0xf
	v_cndmask_b32_e64 v27, 0, v27, s4
	s_delay_alu instid0(VALU_DEP_1) | instskip(SKIP_3) | instid1(VALU_DEP_1)
	v_add_nc_u32_e32 v26, v26, v27
	ds_swizzle_b32 v27, v26 offset:swizzle(BROADCAST,32,15)
	s_wait_dscnt 0x0
	v_cndmask_b32_e64 v27, v27, 0, s1
	v_add_nc_u32_e32 v26, v26, v27
	s_and_saveexec_b32 s1, s0
; %bb.177:
	v_lshlrev_b32_e32 v27, 2, v40
	ds_store_b32 v27, v26
; %bb.178:
	s_or_b32 exec_lo, exec_lo, s1
	s_delay_alu instid0(SALU_CYCLE_1)
	s_mov_b32 s0, exec_lo
	s_wait_dscnt 0x0
	s_barrier_signal -1
	s_barrier_wait -1
	v_cmpx_gt_u32_e32 4, v0
	s_cbranch_execz .LBB619_180
; %bb.179:
	v_dual_lshlrev_b32 v27, 2, v0 :: v_dual_bitop2_b32 v29, 3, v39 bitop3:0x40
	ds_load_b32 v28, v27
	v_cmp_ne_u32_e32 vcc_lo, 0, v29
	s_wait_dscnt 0x0
	v_mov_b32_dpp v30, v28 row_shr:1 row_mask:0xf bank_mask:0xf
	s_delay_alu instid0(VALU_DEP_1) | instskip(SKIP_1) | instid1(VALU_DEP_2)
	v_cndmask_b32_e32 v30, 0, v30, vcc_lo
	v_cmp_lt_u32_e32 vcc_lo, 1, v29
	v_add_nc_u32_e32 v28, v30, v28
	s_delay_alu instid0(VALU_DEP_1) | instskip(NEXT) | instid1(VALU_DEP_1)
	v_mov_b32_dpp v30, v28 row_shr:2 row_mask:0xf bank_mask:0xf
	v_cndmask_b32_e32 v29, 0, v30, vcc_lo
	s_delay_alu instid0(VALU_DEP_1)
	v_add_nc_u32_e32 v28, v28, v29
	ds_store_b32 v27, v28
.LBB619_180:
	s_or_b32 exec_lo, exec_lo, s0
	v_dual_mov_b32 v27, 0 :: v_dual_mov_b32 v28, 0
	s_mov_b32 s0, exec_lo
	s_wait_dscnt 0x0
	s_barrier_signal -1
	s_barrier_wait -1
	v_cmpx_lt_u32_e32 31, v0
; %bb.181:
	v_lshl_add_u32 v28, v40, 2, -4
	ds_load_b32 v28, v28
; %bb.182:
	s_or_b32 exec_lo, exec_lo, s0
	v_sub_co_u32 v29, vcc_lo, v39, 1
	s_wait_dscnt 0x0
	v_add_nc_u32_e32 v26, v28, v26
	s_delay_alu instid0(VALU_DEP_2) | instskip(NEXT) | instid1(VALU_DEP_1)
	v_cmp_gt_i32_e64 s0, 0, v29
	v_cndmask_b32_e64 v29, v29, v39, s0
	s_delay_alu instid0(VALU_DEP_1)
	v_lshlrev_b32_e32 v29, 2, v29
	ds_bpermute_b32 v29, v29, v26
	ds_load_b32 v26, v27 offset:12
	s_and_saveexec_b32 s0, s2
	s_cbranch_execz .LBB619_184
; %bb.183:
	v_dual_mov_b32 v30, 0 :: v_dual_mov_b32 v27, 2
	s_wait_dscnt 0x0
	global_store_b64 v30, v[26:27], s[10:11] offset:256 scope:SCOPE_DEV
.LBB619_184:
	s_wait_xcnt 0x0
	s_or_b32 exec_lo, exec_lo, s0
	s_wait_dscnt 0x1
	v_cndmask_b32_e32 v27, v29, v28, vcc_lo
	s_wait_storecnt_dscnt 0x0
	s_barrier_signal -1
	s_barrier_wait -1
	s_delay_alu instid0(VALU_DEP_1) | instskip(NEXT) | instid1(VALU_DEP_1)
	v_cndmask_b32_e64 v42, v27, 0, s2
	v_dual_mov_b32 v28, 0 :: v_dual_add_nc_u32 v33, v42, v25
	s_delay_alu instid0(VALU_DEP_1) | instskip(NEXT) | instid1(VALU_DEP_1)
	v_add_nc_u32_e32 v32, v33, v36
	v_add_nc_u32_e32 v31, v32, v37
	s_delay_alu instid0(VALU_DEP_1)
	v_add_nc_u32_e32 v30, v31, v38
.LBB619_185:
	s_delay_alu instid0(VALU_DEP_4)
	v_dual_add_nc_u32 v25, v28, v26 :: v_dual_bitop2_b32 v24, 1, v24 bitop3:0x40
	v_cmp_gt_u32_e64 s0, 0x81, v26
	s_mov_b32 s4, -1
	v_cmp_lt_u32_e64 s1, v42, v25
	v_cmp_eq_u32_e64 s3, 1, v24
	s_and_b32 vcc_lo, exec_lo, s0
	s_cbranch_vccz .LBB619_197
; %bb.186:
	s_or_b32 s1, s29, s1
	s_delay_alu instid0(SALU_CYCLE_1) | instskip(NEXT) | instid1(SALU_CYCLE_1)
	s_and_b32 s3, s1, s3
	s_and_saveexec_b32 s1, s3
	s_cbranch_execz .LBB619_188
; %bb.187:
	s_lshl_b64 s[4:5], s[14:15], 3
	s_delay_alu instid0(SALU_CYCLE_1)
	s_add_nc_u64 s[4:5], s[20:21], s[4:5]
	global_store_b64 v42, v[14:15], s[4:5] scale_offset
.LBB619_188:
	s_wait_xcnt 0x0
	s_or_b32 exec_lo, exec_lo, s1
	v_and_b32_e32 v27, 1, v23
	v_cmp_lt_u32_e32 vcc_lo, v33, v25
	s_delay_alu instid0(VALU_DEP_2) | instskip(SKIP_1) | instid1(SALU_CYCLE_1)
	v_cmp_eq_u32_e64 s1, 1, v27
	s_or_b32 s3, s29, vcc_lo
	s_and_b32 s3, s3, s1
	s_delay_alu instid0(SALU_CYCLE_1)
	s_and_saveexec_b32 s1, s3
	s_cbranch_execz .LBB619_190
; %bb.189:
	s_lshl_b64 s[4:5], s[14:15], 3
	s_delay_alu instid0(SALU_CYCLE_1)
	s_add_nc_u64 s[4:5], s[20:21], s[4:5]
	global_store_b64 v33, v[16:17], s[4:5] scale_offset
.LBB619_190:
	s_wait_xcnt 0x0
	s_or_b32 exec_lo, exec_lo, s1
	v_and_b32_e32 v27, 1, v35
	v_cmp_lt_u32_e32 vcc_lo, v32, v25
	s_delay_alu instid0(VALU_DEP_2) | instskip(SKIP_1) | instid1(SALU_CYCLE_1)
	v_cmp_eq_u32_e64 s1, 1, v27
	s_or_b32 s3, s29, vcc_lo
	s_and_b32 s3, s3, s1
	s_delay_alu instid0(SALU_CYCLE_1)
	;; [unrolled: 17-line block ×4, first 2 shown]
	s_and_saveexec_b32 s1, s3
	s_cbranch_execz .LBB619_196
; %bb.195:
	s_lshl_b64 s[4:5], s[14:15], 3
	s_delay_alu instid0(SALU_CYCLE_1)
	s_add_nc_u64 s[4:5], s[20:21], s[4:5]
	global_store_b64 v30, v[20:21], s[4:5] scale_offset
.LBB619_196:
	s_wait_xcnt 0x0
	s_or_b32 exec_lo, exec_lo, s1
	s_mov_b32 s4, 0
.LBB619_197:
	s_delay_alu instid0(SALU_CYCLE_1)
	s_and_b32 vcc_lo, exec_lo, s4
	s_cbranch_vccz .LBB619_211
; %bb.198:
	s_mov_b32 s1, exec_lo
	v_cmpx_eq_u32_e32 1, v24
; %bb.199:
	v_sub_nc_u32_e32 v27, v42, v28
	s_delay_alu instid0(VALU_DEP_1)
	v_lshlrev_b32_e32 v27, 3, v27
	ds_store_b64 v27, v[14:15]
; %bb.200:
	s_or_b32 exec_lo, exec_lo, s1
	v_and_b32_e32 v14, 1, v23
	s_mov_b32 s1, exec_lo
	s_delay_alu instid0(VALU_DEP_1)
	v_cmpx_eq_u32_e32 1, v14
; %bb.201:
	v_sub_nc_u32_e32 v14, v33, v28
	s_delay_alu instid0(VALU_DEP_1)
	v_lshlrev_b32_e32 v14, 3, v14
	ds_store_b64 v14, v[16:17]
; %bb.202:
	s_or_b32 exec_lo, exec_lo, s1
	v_and_b32_e32 v14, 1, v35
	s_mov_b32 s1, exec_lo
	s_delay_alu instid0(VALU_DEP_1)
	;; [unrolled: 11-line block ×4, first 2 shown]
	v_cmpx_eq_u32_e32 1, v10
; %bb.207:
	v_sub_nc_u32_e32 v10, v30, v28
	s_delay_alu instid0(VALU_DEP_1)
	v_lshlrev_b32_e32 v10, 3, v10
	ds_store_b64 v10, v[20:21]
; %bb.208:
	s_or_b32 exec_lo, exec_lo, s1
	v_dual_mov_b32 v29, 0 :: v_dual_lshlrev_b32 v12, 3, v0
	s_lshl_b64 s[4:5], s[14:15], 3
	v_mov_b32_e32 v13, v0
	s_mov_b32 s1, 0
	s_delay_alu instid0(VALU_DEP_2) | instskip(SKIP_3) | instid1(VALU_DEP_1)
	v_lshlrev_b64_e32 v[10:11], 3, v[28:29]
	s_wait_storecnt_dscnt 0x0
	s_barrier_signal -1
	s_barrier_wait -1
	v_add_nc_u64_e32 v[10:11], s[20:21], v[10:11]
	s_delay_alu instid0(VALU_DEP_1)
	v_add_nc_u64_e32 v[10:11], s[4:5], v[10:11]
.LBB619_209:                            ; =>This Inner Loop Header: Depth=1
	ds_load_b64 v[14:15], v12
	v_readfirstlane_b32 s4, v10
	v_readfirstlane_b32 s5, v11
	v_add_nc_u32_e32 v12, 0x400, v12
	s_wait_dscnt 0x0
	global_store_b64 v13, v[14:15], s[4:5] scale_offset
	s_wait_xcnt 0x0
	v_add_nc_u32_e32 v13, 0x80, v13
	s_delay_alu instid0(VALU_DEP_1) | instskip(SKIP_1) | instid1(SALU_CYCLE_1)
	v_cmp_ge_u32_e32 vcc_lo, v13, v26
	s_or_b32 s1, vcc_lo, s1
	s_and_not1_b32 exec_lo, exec_lo, s1
	s_cbranch_execnz .LBB619_209
; %bb.210:
	s_or_b32 exec_lo, exec_lo, s1
.LBB619_211:
	s_delay_alu instid0(SALU_CYCLE_1)
	s_and_b32 vcc_lo, exec_lo, s0
	s_mov_b32 s0, -1
	s_wait_storecnt 0x0
	s_barrier_signal -1
	s_barrier_wait -1
	s_cbranch_vccnz .LBB619_215
; %bb.212:
	s_and_b32 vcc_lo, exec_lo, s0
	s_cbranch_vccnz .LBB619_226
.LBB619_213:
	s_and_b32 s0, s2, s28
	s_delay_alu instid0(SALU_CYCLE_1)
	s_and_saveexec_b32 s1, s0
	s_cbranch_execnz .LBB619_239
.LBB619_214:
	s_endpgm
.LBB619_215:
	v_cmp_lt_u32_e32 vcc_lo, v42, v25
	v_cmp_eq_u32_e64 s0, 1, v24
	s_or_b32 s1, s29, vcc_lo
	s_delay_alu instid0(SALU_CYCLE_1) | instskip(NEXT) | instid1(SALU_CYCLE_1)
	s_and_b32 s1, s1, s0
	s_and_saveexec_b32 s0, s1
	s_cbranch_execz .LBB619_217
; %bb.216:
	s_lshl_b64 s[4:5], s[14:15], 3
	s_delay_alu instid0(SALU_CYCLE_1)
	s_add_nc_u64 s[4:5], s[22:23], s[4:5]
	global_store_b64 v42, v[6:7], s[4:5] scale_offset
.LBB619_217:
	s_wait_xcnt 0x0
	s_or_b32 exec_lo, exec_lo, s0
	v_and_b32_e32 v10, 1, v23
	v_cmp_lt_u32_e32 vcc_lo, v33, v25
	s_delay_alu instid0(VALU_DEP_2) | instskip(SKIP_1) | instid1(SALU_CYCLE_1)
	v_cmp_eq_u32_e64 s0, 1, v10
	s_or_b32 s1, s29, vcc_lo
	s_and_b32 s1, s1, s0
	s_delay_alu instid0(SALU_CYCLE_1)
	s_and_saveexec_b32 s0, s1
	s_cbranch_execz .LBB619_219
; %bb.218:
	s_lshl_b64 s[4:5], s[14:15], 3
	s_delay_alu instid0(SALU_CYCLE_1)
	s_add_nc_u64 s[4:5], s[22:23], s[4:5]
	global_store_b64 v33, v[8:9], s[4:5] scale_offset
.LBB619_219:
	s_wait_xcnt 0x0
	s_or_b32 exec_lo, exec_lo, s0
	v_and_b32_e32 v10, 1, v35
	v_cmp_lt_u32_e32 vcc_lo, v32, v25
	s_delay_alu instid0(VALU_DEP_2) | instskip(SKIP_1) | instid1(SALU_CYCLE_1)
	v_cmp_eq_u32_e64 s0, 1, v10
	s_or_b32 s1, s29, vcc_lo
	s_and_b32 s1, s1, s0
	s_delay_alu instid0(SALU_CYCLE_1)
	;; [unrolled: 17-line block ×4, first 2 shown]
	s_and_saveexec_b32 s0, s1
	s_cbranch_execz .LBB619_225
; %bb.224:
	s_lshl_b64 s[4:5], s[14:15], 3
	s_delay_alu instid0(SALU_CYCLE_1)
	s_add_nc_u64 s[4:5], s[22:23], s[4:5]
	global_store_b64 v30, v[18:19], s[4:5] scale_offset
.LBB619_225:
	s_wait_xcnt 0x0
	s_or_b32 exec_lo, exec_lo, s0
	s_branch .LBB619_213
.LBB619_226:
	s_mov_b32 s0, exec_lo
	v_cmpx_eq_u32_e32 1, v24
; %bb.227:
	v_sub_nc_u32_e32 v10, v42, v28
	s_delay_alu instid0(VALU_DEP_1)
	v_lshlrev_b32_e32 v10, 3, v10
	ds_store_b64 v10, v[6:7]
; %bb.228:
	s_or_b32 exec_lo, exec_lo, s0
	v_and_b32_e32 v6, 1, v23
	s_mov_b32 s0, exec_lo
	s_delay_alu instid0(VALU_DEP_1)
	v_cmpx_eq_u32_e32 1, v6
; %bb.229:
	v_sub_nc_u32_e32 v6, v33, v28
	s_delay_alu instid0(VALU_DEP_1)
	v_lshlrev_b32_e32 v6, 3, v6
	ds_store_b64 v6, v[8:9]
; %bb.230:
	s_or_b32 exec_lo, exec_lo, s0
	v_and_b32_e32 v6, 1, v35
	s_mov_b32 s0, exec_lo
	s_delay_alu instid0(VALU_DEP_1)
	;; [unrolled: 11-line block ×4, first 2 shown]
	v_cmpx_eq_u32_e32 1, v2
; %bb.235:
	v_sub_nc_u32_e32 v2, v30, v28
	s_delay_alu instid0(VALU_DEP_1)
	v_lshlrev_b32_e32 v2, 3, v2
	ds_store_b64 v2, v[18:19]
; %bb.236:
	s_or_b32 exec_lo, exec_lo, s0
	v_mov_b32_e32 v29, 0
	s_lshl_b64 s[0:1], s[14:15], 3
	s_wait_storecnt_dscnt 0x0
	s_barrier_signal -1
	s_barrier_wait -1
	v_lshlrev_b64_e32 v[2:3], 3, v[28:29]
	s_delay_alu instid0(VALU_DEP_1) | instskip(NEXT) | instid1(VALU_DEP_1)
	v_add_nc_u64_e32 v[2:3], s[22:23], v[2:3]
	v_add_nc_u64_e32 v[2:3], s[0:1], v[2:3]
	s_mov_b32 s0, 0
.LBB619_237:                            ; =>This Inner Loop Header: Depth=1
	ds_load_b64 v[4:5], v1
	v_readfirstlane_b32 s4, v2
	v_readfirstlane_b32 s5, v3
	v_add_nc_u32_e32 v1, 0x400, v1
	s_wait_dscnt 0x0
	global_store_b64 v0, v[4:5], s[4:5] scale_offset
	s_wait_xcnt 0x0
	v_add_nc_u32_e32 v0, 0x80, v0
	s_delay_alu instid0(VALU_DEP_1) | instskip(SKIP_1) | instid1(SALU_CYCLE_1)
	v_cmp_ge_u32_e32 vcc_lo, v0, v26
	s_or_b32 s0, vcc_lo, s0
	s_and_not1_b32 exec_lo, exec_lo, s0
	s_cbranch_execnz .LBB619_237
; %bb.238:
	s_or_b32 exec_lo, exec_lo, s0
	s_and_b32 s0, s2, s28
	s_delay_alu instid0(SALU_CYCLE_1)
	s_and_saveexec_b32 s1, s0
	s_cbranch_execz .LBB619_214
.LBB619_239:
	v_mov_b32_e32 v27, 0
	s_delay_alu instid0(VALU_DEP_1) | instskip(SKIP_1) | instid1(VALU_DEP_1)
	v_add_nc_u64_e32 v[0:1], s[14:15], v[26:27]
	v_mov_b32_e32 v29, v27
	v_add_nc_u64_e32 v[0:1], v[0:1], v[28:29]
	global_store_b64 v27, v[0:1], s[12:13]
	s_endpgm
	.section	.rodata,"a",@progbits
	.p2align	6, 0x0
	.amdhsa_kernel _ZN7rocprim17ROCPRIM_400000_NS6detail17trampoline_kernelINS0_14default_configENS1_25partition_config_selectorILNS1_17partition_subalgoE9EllbEEZZNS1_14partition_implILS5_9ELb0ES3_jPlS8_PNS0_10empty_typeENS0_5tupleIJS8_S9_EEENSB_IJS8_SA_EEENS0_18inequality_wrapperIZN2at6native12_GLOBAL__N_124unique_dim_cuda_templateIlEESt5tupleIJNSF_6TensorESK_SK_EERKSK_lbbbEUlllE0_EEPmJS9_EEE10hipError_tPvRmT3_T4_T5_T6_T7_T9_mT8_P12ihipStream_tbDpT10_ENKUlT_T0_E_clISt17integral_constantIbLb0EES19_IbLb1EEEEDaS15_S16_EUlS15_E_NS1_11comp_targetILNS1_3genE0ELNS1_11target_archE4294967295ELNS1_3gpuE0ELNS1_3repE0EEENS1_30default_config_static_selectorELNS0_4arch9wavefront6targetE0EEEvT1_
		.amdhsa_group_segment_fixed_size 5128
		.amdhsa_private_segment_fixed_size 0
		.amdhsa_kernarg_size 136
		.amdhsa_user_sgpr_count 2
		.amdhsa_user_sgpr_dispatch_ptr 0
		.amdhsa_user_sgpr_queue_ptr 0
		.amdhsa_user_sgpr_kernarg_segment_ptr 1
		.amdhsa_user_sgpr_dispatch_id 0
		.amdhsa_user_sgpr_kernarg_preload_length 0
		.amdhsa_user_sgpr_kernarg_preload_offset 0
		.amdhsa_user_sgpr_private_segment_size 0
		.amdhsa_wavefront_size32 1
		.amdhsa_uses_dynamic_stack 0
		.amdhsa_enable_private_segment 0
		.amdhsa_system_sgpr_workgroup_id_x 1
		.amdhsa_system_sgpr_workgroup_id_y 0
		.amdhsa_system_sgpr_workgroup_id_z 0
		.amdhsa_system_sgpr_workgroup_info 0
		.amdhsa_system_vgpr_workitem_id 0
		.amdhsa_next_free_vgpr 55
		.amdhsa_next_free_sgpr 36
		.amdhsa_named_barrier_count 0
		.amdhsa_reserve_vcc 1
		.amdhsa_float_round_mode_32 0
		.amdhsa_float_round_mode_16_64 0
		.amdhsa_float_denorm_mode_32 3
		.amdhsa_float_denorm_mode_16_64 3
		.amdhsa_fp16_overflow 0
		.amdhsa_memory_ordered 1
		.amdhsa_forward_progress 1
		.amdhsa_inst_pref_size 75
		.amdhsa_round_robin_scheduling 0
		.amdhsa_exception_fp_ieee_invalid_op 0
		.amdhsa_exception_fp_denorm_src 0
		.amdhsa_exception_fp_ieee_div_zero 0
		.amdhsa_exception_fp_ieee_overflow 0
		.amdhsa_exception_fp_ieee_underflow 0
		.amdhsa_exception_fp_ieee_inexact 0
		.amdhsa_exception_int_div_zero 0
	.end_amdhsa_kernel
	.section	.text._ZN7rocprim17ROCPRIM_400000_NS6detail17trampoline_kernelINS0_14default_configENS1_25partition_config_selectorILNS1_17partition_subalgoE9EllbEEZZNS1_14partition_implILS5_9ELb0ES3_jPlS8_PNS0_10empty_typeENS0_5tupleIJS8_S9_EEENSB_IJS8_SA_EEENS0_18inequality_wrapperIZN2at6native12_GLOBAL__N_124unique_dim_cuda_templateIlEESt5tupleIJNSF_6TensorESK_SK_EERKSK_lbbbEUlllE0_EEPmJS9_EEE10hipError_tPvRmT3_T4_T5_T6_T7_T9_mT8_P12ihipStream_tbDpT10_ENKUlT_T0_E_clISt17integral_constantIbLb0EES19_IbLb1EEEEDaS15_S16_EUlS15_E_NS1_11comp_targetILNS1_3genE0ELNS1_11target_archE4294967295ELNS1_3gpuE0ELNS1_3repE0EEENS1_30default_config_static_selectorELNS0_4arch9wavefront6targetE0EEEvT1_,"axG",@progbits,_ZN7rocprim17ROCPRIM_400000_NS6detail17trampoline_kernelINS0_14default_configENS1_25partition_config_selectorILNS1_17partition_subalgoE9EllbEEZZNS1_14partition_implILS5_9ELb0ES3_jPlS8_PNS0_10empty_typeENS0_5tupleIJS8_S9_EEENSB_IJS8_SA_EEENS0_18inequality_wrapperIZN2at6native12_GLOBAL__N_124unique_dim_cuda_templateIlEESt5tupleIJNSF_6TensorESK_SK_EERKSK_lbbbEUlllE0_EEPmJS9_EEE10hipError_tPvRmT3_T4_T5_T6_T7_T9_mT8_P12ihipStream_tbDpT10_ENKUlT_T0_E_clISt17integral_constantIbLb0EES19_IbLb1EEEEDaS15_S16_EUlS15_E_NS1_11comp_targetILNS1_3genE0ELNS1_11target_archE4294967295ELNS1_3gpuE0ELNS1_3repE0EEENS1_30default_config_static_selectorELNS0_4arch9wavefront6targetE0EEEvT1_,comdat
.Lfunc_end619:
	.size	_ZN7rocprim17ROCPRIM_400000_NS6detail17trampoline_kernelINS0_14default_configENS1_25partition_config_selectorILNS1_17partition_subalgoE9EllbEEZZNS1_14partition_implILS5_9ELb0ES3_jPlS8_PNS0_10empty_typeENS0_5tupleIJS8_S9_EEENSB_IJS8_SA_EEENS0_18inequality_wrapperIZN2at6native12_GLOBAL__N_124unique_dim_cuda_templateIlEESt5tupleIJNSF_6TensorESK_SK_EERKSK_lbbbEUlllE0_EEPmJS9_EEE10hipError_tPvRmT3_T4_T5_T6_T7_T9_mT8_P12ihipStream_tbDpT10_ENKUlT_T0_E_clISt17integral_constantIbLb0EES19_IbLb1EEEEDaS15_S16_EUlS15_E_NS1_11comp_targetILNS1_3genE0ELNS1_11target_archE4294967295ELNS1_3gpuE0ELNS1_3repE0EEENS1_30default_config_static_selectorELNS0_4arch9wavefront6targetE0EEEvT1_, .Lfunc_end619-_ZN7rocprim17ROCPRIM_400000_NS6detail17trampoline_kernelINS0_14default_configENS1_25partition_config_selectorILNS1_17partition_subalgoE9EllbEEZZNS1_14partition_implILS5_9ELb0ES3_jPlS8_PNS0_10empty_typeENS0_5tupleIJS8_S9_EEENSB_IJS8_SA_EEENS0_18inequality_wrapperIZN2at6native12_GLOBAL__N_124unique_dim_cuda_templateIlEESt5tupleIJNSF_6TensorESK_SK_EERKSK_lbbbEUlllE0_EEPmJS9_EEE10hipError_tPvRmT3_T4_T5_T6_T7_T9_mT8_P12ihipStream_tbDpT10_ENKUlT_T0_E_clISt17integral_constantIbLb0EES19_IbLb1EEEEDaS15_S16_EUlS15_E_NS1_11comp_targetILNS1_3genE0ELNS1_11target_archE4294967295ELNS1_3gpuE0ELNS1_3repE0EEENS1_30default_config_static_selectorELNS0_4arch9wavefront6targetE0EEEvT1_
                                        ; -- End function
	.set _ZN7rocprim17ROCPRIM_400000_NS6detail17trampoline_kernelINS0_14default_configENS1_25partition_config_selectorILNS1_17partition_subalgoE9EllbEEZZNS1_14partition_implILS5_9ELb0ES3_jPlS8_PNS0_10empty_typeENS0_5tupleIJS8_S9_EEENSB_IJS8_SA_EEENS0_18inequality_wrapperIZN2at6native12_GLOBAL__N_124unique_dim_cuda_templateIlEESt5tupleIJNSF_6TensorESK_SK_EERKSK_lbbbEUlllE0_EEPmJS9_EEE10hipError_tPvRmT3_T4_T5_T6_T7_T9_mT8_P12ihipStream_tbDpT10_ENKUlT_T0_E_clISt17integral_constantIbLb0EES19_IbLb1EEEEDaS15_S16_EUlS15_E_NS1_11comp_targetILNS1_3genE0ELNS1_11target_archE4294967295ELNS1_3gpuE0ELNS1_3repE0EEENS1_30default_config_static_selectorELNS0_4arch9wavefront6targetE0EEEvT1_.num_vgpr, 55
	.set _ZN7rocprim17ROCPRIM_400000_NS6detail17trampoline_kernelINS0_14default_configENS1_25partition_config_selectorILNS1_17partition_subalgoE9EllbEEZZNS1_14partition_implILS5_9ELb0ES3_jPlS8_PNS0_10empty_typeENS0_5tupleIJS8_S9_EEENSB_IJS8_SA_EEENS0_18inequality_wrapperIZN2at6native12_GLOBAL__N_124unique_dim_cuda_templateIlEESt5tupleIJNSF_6TensorESK_SK_EERKSK_lbbbEUlllE0_EEPmJS9_EEE10hipError_tPvRmT3_T4_T5_T6_T7_T9_mT8_P12ihipStream_tbDpT10_ENKUlT_T0_E_clISt17integral_constantIbLb0EES19_IbLb1EEEEDaS15_S16_EUlS15_E_NS1_11comp_targetILNS1_3genE0ELNS1_11target_archE4294967295ELNS1_3gpuE0ELNS1_3repE0EEENS1_30default_config_static_selectorELNS0_4arch9wavefront6targetE0EEEvT1_.num_agpr, 0
	.set _ZN7rocprim17ROCPRIM_400000_NS6detail17trampoline_kernelINS0_14default_configENS1_25partition_config_selectorILNS1_17partition_subalgoE9EllbEEZZNS1_14partition_implILS5_9ELb0ES3_jPlS8_PNS0_10empty_typeENS0_5tupleIJS8_S9_EEENSB_IJS8_SA_EEENS0_18inequality_wrapperIZN2at6native12_GLOBAL__N_124unique_dim_cuda_templateIlEESt5tupleIJNSF_6TensorESK_SK_EERKSK_lbbbEUlllE0_EEPmJS9_EEE10hipError_tPvRmT3_T4_T5_T6_T7_T9_mT8_P12ihipStream_tbDpT10_ENKUlT_T0_E_clISt17integral_constantIbLb0EES19_IbLb1EEEEDaS15_S16_EUlS15_E_NS1_11comp_targetILNS1_3genE0ELNS1_11target_archE4294967295ELNS1_3gpuE0ELNS1_3repE0EEENS1_30default_config_static_selectorELNS0_4arch9wavefront6targetE0EEEvT1_.numbered_sgpr, 36
	.set _ZN7rocprim17ROCPRIM_400000_NS6detail17trampoline_kernelINS0_14default_configENS1_25partition_config_selectorILNS1_17partition_subalgoE9EllbEEZZNS1_14partition_implILS5_9ELb0ES3_jPlS8_PNS0_10empty_typeENS0_5tupleIJS8_S9_EEENSB_IJS8_SA_EEENS0_18inequality_wrapperIZN2at6native12_GLOBAL__N_124unique_dim_cuda_templateIlEESt5tupleIJNSF_6TensorESK_SK_EERKSK_lbbbEUlllE0_EEPmJS9_EEE10hipError_tPvRmT3_T4_T5_T6_T7_T9_mT8_P12ihipStream_tbDpT10_ENKUlT_T0_E_clISt17integral_constantIbLb0EES19_IbLb1EEEEDaS15_S16_EUlS15_E_NS1_11comp_targetILNS1_3genE0ELNS1_11target_archE4294967295ELNS1_3gpuE0ELNS1_3repE0EEENS1_30default_config_static_selectorELNS0_4arch9wavefront6targetE0EEEvT1_.num_named_barrier, 0
	.set _ZN7rocprim17ROCPRIM_400000_NS6detail17trampoline_kernelINS0_14default_configENS1_25partition_config_selectorILNS1_17partition_subalgoE9EllbEEZZNS1_14partition_implILS5_9ELb0ES3_jPlS8_PNS0_10empty_typeENS0_5tupleIJS8_S9_EEENSB_IJS8_SA_EEENS0_18inequality_wrapperIZN2at6native12_GLOBAL__N_124unique_dim_cuda_templateIlEESt5tupleIJNSF_6TensorESK_SK_EERKSK_lbbbEUlllE0_EEPmJS9_EEE10hipError_tPvRmT3_T4_T5_T6_T7_T9_mT8_P12ihipStream_tbDpT10_ENKUlT_T0_E_clISt17integral_constantIbLb0EES19_IbLb1EEEEDaS15_S16_EUlS15_E_NS1_11comp_targetILNS1_3genE0ELNS1_11target_archE4294967295ELNS1_3gpuE0ELNS1_3repE0EEENS1_30default_config_static_selectorELNS0_4arch9wavefront6targetE0EEEvT1_.private_seg_size, 0
	.set _ZN7rocprim17ROCPRIM_400000_NS6detail17trampoline_kernelINS0_14default_configENS1_25partition_config_selectorILNS1_17partition_subalgoE9EllbEEZZNS1_14partition_implILS5_9ELb0ES3_jPlS8_PNS0_10empty_typeENS0_5tupleIJS8_S9_EEENSB_IJS8_SA_EEENS0_18inequality_wrapperIZN2at6native12_GLOBAL__N_124unique_dim_cuda_templateIlEESt5tupleIJNSF_6TensorESK_SK_EERKSK_lbbbEUlllE0_EEPmJS9_EEE10hipError_tPvRmT3_T4_T5_T6_T7_T9_mT8_P12ihipStream_tbDpT10_ENKUlT_T0_E_clISt17integral_constantIbLb0EES19_IbLb1EEEEDaS15_S16_EUlS15_E_NS1_11comp_targetILNS1_3genE0ELNS1_11target_archE4294967295ELNS1_3gpuE0ELNS1_3repE0EEENS1_30default_config_static_selectorELNS0_4arch9wavefront6targetE0EEEvT1_.uses_vcc, 1
	.set _ZN7rocprim17ROCPRIM_400000_NS6detail17trampoline_kernelINS0_14default_configENS1_25partition_config_selectorILNS1_17partition_subalgoE9EllbEEZZNS1_14partition_implILS5_9ELb0ES3_jPlS8_PNS0_10empty_typeENS0_5tupleIJS8_S9_EEENSB_IJS8_SA_EEENS0_18inequality_wrapperIZN2at6native12_GLOBAL__N_124unique_dim_cuda_templateIlEESt5tupleIJNSF_6TensorESK_SK_EERKSK_lbbbEUlllE0_EEPmJS9_EEE10hipError_tPvRmT3_T4_T5_T6_T7_T9_mT8_P12ihipStream_tbDpT10_ENKUlT_T0_E_clISt17integral_constantIbLb0EES19_IbLb1EEEEDaS15_S16_EUlS15_E_NS1_11comp_targetILNS1_3genE0ELNS1_11target_archE4294967295ELNS1_3gpuE0ELNS1_3repE0EEENS1_30default_config_static_selectorELNS0_4arch9wavefront6targetE0EEEvT1_.uses_flat_scratch, 0
	.set _ZN7rocprim17ROCPRIM_400000_NS6detail17trampoline_kernelINS0_14default_configENS1_25partition_config_selectorILNS1_17partition_subalgoE9EllbEEZZNS1_14partition_implILS5_9ELb0ES3_jPlS8_PNS0_10empty_typeENS0_5tupleIJS8_S9_EEENSB_IJS8_SA_EEENS0_18inequality_wrapperIZN2at6native12_GLOBAL__N_124unique_dim_cuda_templateIlEESt5tupleIJNSF_6TensorESK_SK_EERKSK_lbbbEUlllE0_EEPmJS9_EEE10hipError_tPvRmT3_T4_T5_T6_T7_T9_mT8_P12ihipStream_tbDpT10_ENKUlT_T0_E_clISt17integral_constantIbLb0EES19_IbLb1EEEEDaS15_S16_EUlS15_E_NS1_11comp_targetILNS1_3genE0ELNS1_11target_archE4294967295ELNS1_3gpuE0ELNS1_3repE0EEENS1_30default_config_static_selectorELNS0_4arch9wavefront6targetE0EEEvT1_.has_dyn_sized_stack, 0
	.set _ZN7rocprim17ROCPRIM_400000_NS6detail17trampoline_kernelINS0_14default_configENS1_25partition_config_selectorILNS1_17partition_subalgoE9EllbEEZZNS1_14partition_implILS5_9ELb0ES3_jPlS8_PNS0_10empty_typeENS0_5tupleIJS8_S9_EEENSB_IJS8_SA_EEENS0_18inequality_wrapperIZN2at6native12_GLOBAL__N_124unique_dim_cuda_templateIlEESt5tupleIJNSF_6TensorESK_SK_EERKSK_lbbbEUlllE0_EEPmJS9_EEE10hipError_tPvRmT3_T4_T5_T6_T7_T9_mT8_P12ihipStream_tbDpT10_ENKUlT_T0_E_clISt17integral_constantIbLb0EES19_IbLb1EEEEDaS15_S16_EUlS15_E_NS1_11comp_targetILNS1_3genE0ELNS1_11target_archE4294967295ELNS1_3gpuE0ELNS1_3repE0EEENS1_30default_config_static_selectorELNS0_4arch9wavefront6targetE0EEEvT1_.has_recursion, 0
	.set _ZN7rocprim17ROCPRIM_400000_NS6detail17trampoline_kernelINS0_14default_configENS1_25partition_config_selectorILNS1_17partition_subalgoE9EllbEEZZNS1_14partition_implILS5_9ELb0ES3_jPlS8_PNS0_10empty_typeENS0_5tupleIJS8_S9_EEENSB_IJS8_SA_EEENS0_18inequality_wrapperIZN2at6native12_GLOBAL__N_124unique_dim_cuda_templateIlEESt5tupleIJNSF_6TensorESK_SK_EERKSK_lbbbEUlllE0_EEPmJS9_EEE10hipError_tPvRmT3_T4_T5_T6_T7_T9_mT8_P12ihipStream_tbDpT10_ENKUlT_T0_E_clISt17integral_constantIbLb0EES19_IbLb1EEEEDaS15_S16_EUlS15_E_NS1_11comp_targetILNS1_3genE0ELNS1_11target_archE4294967295ELNS1_3gpuE0ELNS1_3repE0EEENS1_30default_config_static_selectorELNS0_4arch9wavefront6targetE0EEEvT1_.has_indirect_call, 0
	.section	.AMDGPU.csdata,"",@progbits
; Kernel info:
; codeLenInByte = 9540
; TotalNumSgprs: 38
; NumVgprs: 55
; ScratchSize: 0
; MemoryBound: 0
; FloatMode: 240
; IeeeMode: 1
; LDSByteSize: 5128 bytes/workgroup (compile time only)
; SGPRBlocks: 0
; VGPRBlocks: 3
; NumSGPRsForWavesPerEU: 38
; NumVGPRsForWavesPerEU: 55
; NamedBarCnt: 0
; Occupancy: 16
; WaveLimiterHint : 1
; COMPUTE_PGM_RSRC2:SCRATCH_EN: 0
; COMPUTE_PGM_RSRC2:USER_SGPR: 2
; COMPUTE_PGM_RSRC2:TRAP_HANDLER: 0
; COMPUTE_PGM_RSRC2:TGID_X_EN: 1
; COMPUTE_PGM_RSRC2:TGID_Y_EN: 0
; COMPUTE_PGM_RSRC2:TGID_Z_EN: 0
; COMPUTE_PGM_RSRC2:TIDIG_COMP_CNT: 0
	.section	.text._ZN7rocprim17ROCPRIM_400000_NS6detail17trampoline_kernelINS0_14default_configENS1_25partition_config_selectorILNS1_17partition_subalgoE9EllbEEZZNS1_14partition_implILS5_9ELb0ES3_jPlS8_PNS0_10empty_typeENS0_5tupleIJS8_S9_EEENSB_IJS8_SA_EEENS0_18inequality_wrapperIZN2at6native12_GLOBAL__N_124unique_dim_cuda_templateIlEESt5tupleIJNSF_6TensorESK_SK_EERKSK_lbbbEUlllE0_EEPmJS9_EEE10hipError_tPvRmT3_T4_T5_T6_T7_T9_mT8_P12ihipStream_tbDpT10_ENKUlT_T0_E_clISt17integral_constantIbLb0EES19_IbLb1EEEEDaS15_S16_EUlS15_E_NS1_11comp_targetILNS1_3genE5ELNS1_11target_archE942ELNS1_3gpuE9ELNS1_3repE0EEENS1_30default_config_static_selectorELNS0_4arch9wavefront6targetE0EEEvT1_,"axG",@progbits,_ZN7rocprim17ROCPRIM_400000_NS6detail17trampoline_kernelINS0_14default_configENS1_25partition_config_selectorILNS1_17partition_subalgoE9EllbEEZZNS1_14partition_implILS5_9ELb0ES3_jPlS8_PNS0_10empty_typeENS0_5tupleIJS8_S9_EEENSB_IJS8_SA_EEENS0_18inequality_wrapperIZN2at6native12_GLOBAL__N_124unique_dim_cuda_templateIlEESt5tupleIJNSF_6TensorESK_SK_EERKSK_lbbbEUlllE0_EEPmJS9_EEE10hipError_tPvRmT3_T4_T5_T6_T7_T9_mT8_P12ihipStream_tbDpT10_ENKUlT_T0_E_clISt17integral_constantIbLb0EES19_IbLb1EEEEDaS15_S16_EUlS15_E_NS1_11comp_targetILNS1_3genE5ELNS1_11target_archE942ELNS1_3gpuE9ELNS1_3repE0EEENS1_30default_config_static_selectorELNS0_4arch9wavefront6targetE0EEEvT1_,comdat
	.globl	_ZN7rocprim17ROCPRIM_400000_NS6detail17trampoline_kernelINS0_14default_configENS1_25partition_config_selectorILNS1_17partition_subalgoE9EllbEEZZNS1_14partition_implILS5_9ELb0ES3_jPlS8_PNS0_10empty_typeENS0_5tupleIJS8_S9_EEENSB_IJS8_SA_EEENS0_18inequality_wrapperIZN2at6native12_GLOBAL__N_124unique_dim_cuda_templateIlEESt5tupleIJNSF_6TensorESK_SK_EERKSK_lbbbEUlllE0_EEPmJS9_EEE10hipError_tPvRmT3_T4_T5_T6_T7_T9_mT8_P12ihipStream_tbDpT10_ENKUlT_T0_E_clISt17integral_constantIbLb0EES19_IbLb1EEEEDaS15_S16_EUlS15_E_NS1_11comp_targetILNS1_3genE5ELNS1_11target_archE942ELNS1_3gpuE9ELNS1_3repE0EEENS1_30default_config_static_selectorELNS0_4arch9wavefront6targetE0EEEvT1_ ; -- Begin function _ZN7rocprim17ROCPRIM_400000_NS6detail17trampoline_kernelINS0_14default_configENS1_25partition_config_selectorILNS1_17partition_subalgoE9EllbEEZZNS1_14partition_implILS5_9ELb0ES3_jPlS8_PNS0_10empty_typeENS0_5tupleIJS8_S9_EEENSB_IJS8_SA_EEENS0_18inequality_wrapperIZN2at6native12_GLOBAL__N_124unique_dim_cuda_templateIlEESt5tupleIJNSF_6TensorESK_SK_EERKSK_lbbbEUlllE0_EEPmJS9_EEE10hipError_tPvRmT3_T4_T5_T6_T7_T9_mT8_P12ihipStream_tbDpT10_ENKUlT_T0_E_clISt17integral_constantIbLb0EES19_IbLb1EEEEDaS15_S16_EUlS15_E_NS1_11comp_targetILNS1_3genE5ELNS1_11target_archE942ELNS1_3gpuE9ELNS1_3repE0EEENS1_30default_config_static_selectorELNS0_4arch9wavefront6targetE0EEEvT1_
	.p2align	8
	.type	_ZN7rocprim17ROCPRIM_400000_NS6detail17trampoline_kernelINS0_14default_configENS1_25partition_config_selectorILNS1_17partition_subalgoE9EllbEEZZNS1_14partition_implILS5_9ELb0ES3_jPlS8_PNS0_10empty_typeENS0_5tupleIJS8_S9_EEENSB_IJS8_SA_EEENS0_18inequality_wrapperIZN2at6native12_GLOBAL__N_124unique_dim_cuda_templateIlEESt5tupleIJNSF_6TensorESK_SK_EERKSK_lbbbEUlllE0_EEPmJS9_EEE10hipError_tPvRmT3_T4_T5_T6_T7_T9_mT8_P12ihipStream_tbDpT10_ENKUlT_T0_E_clISt17integral_constantIbLb0EES19_IbLb1EEEEDaS15_S16_EUlS15_E_NS1_11comp_targetILNS1_3genE5ELNS1_11target_archE942ELNS1_3gpuE9ELNS1_3repE0EEENS1_30default_config_static_selectorELNS0_4arch9wavefront6targetE0EEEvT1_,@function
_ZN7rocprim17ROCPRIM_400000_NS6detail17trampoline_kernelINS0_14default_configENS1_25partition_config_selectorILNS1_17partition_subalgoE9EllbEEZZNS1_14partition_implILS5_9ELb0ES3_jPlS8_PNS0_10empty_typeENS0_5tupleIJS8_S9_EEENSB_IJS8_SA_EEENS0_18inequality_wrapperIZN2at6native12_GLOBAL__N_124unique_dim_cuda_templateIlEESt5tupleIJNSF_6TensorESK_SK_EERKSK_lbbbEUlllE0_EEPmJS9_EEE10hipError_tPvRmT3_T4_T5_T6_T7_T9_mT8_P12ihipStream_tbDpT10_ENKUlT_T0_E_clISt17integral_constantIbLb0EES19_IbLb1EEEEDaS15_S16_EUlS15_E_NS1_11comp_targetILNS1_3genE5ELNS1_11target_archE942ELNS1_3gpuE9ELNS1_3repE0EEENS1_30default_config_static_selectorELNS0_4arch9wavefront6targetE0EEEvT1_: ; @_ZN7rocprim17ROCPRIM_400000_NS6detail17trampoline_kernelINS0_14default_configENS1_25partition_config_selectorILNS1_17partition_subalgoE9EllbEEZZNS1_14partition_implILS5_9ELb0ES3_jPlS8_PNS0_10empty_typeENS0_5tupleIJS8_S9_EEENSB_IJS8_SA_EEENS0_18inequality_wrapperIZN2at6native12_GLOBAL__N_124unique_dim_cuda_templateIlEESt5tupleIJNSF_6TensorESK_SK_EERKSK_lbbbEUlllE0_EEPmJS9_EEE10hipError_tPvRmT3_T4_T5_T6_T7_T9_mT8_P12ihipStream_tbDpT10_ENKUlT_T0_E_clISt17integral_constantIbLb0EES19_IbLb1EEEEDaS15_S16_EUlS15_E_NS1_11comp_targetILNS1_3genE5ELNS1_11target_archE942ELNS1_3gpuE9ELNS1_3repE0EEENS1_30default_config_static_selectorELNS0_4arch9wavefront6targetE0EEEvT1_
; %bb.0:
	.section	.rodata,"a",@progbits
	.p2align	6, 0x0
	.amdhsa_kernel _ZN7rocprim17ROCPRIM_400000_NS6detail17trampoline_kernelINS0_14default_configENS1_25partition_config_selectorILNS1_17partition_subalgoE9EllbEEZZNS1_14partition_implILS5_9ELb0ES3_jPlS8_PNS0_10empty_typeENS0_5tupleIJS8_S9_EEENSB_IJS8_SA_EEENS0_18inequality_wrapperIZN2at6native12_GLOBAL__N_124unique_dim_cuda_templateIlEESt5tupleIJNSF_6TensorESK_SK_EERKSK_lbbbEUlllE0_EEPmJS9_EEE10hipError_tPvRmT3_T4_T5_T6_T7_T9_mT8_P12ihipStream_tbDpT10_ENKUlT_T0_E_clISt17integral_constantIbLb0EES19_IbLb1EEEEDaS15_S16_EUlS15_E_NS1_11comp_targetILNS1_3genE5ELNS1_11target_archE942ELNS1_3gpuE9ELNS1_3repE0EEENS1_30default_config_static_selectorELNS0_4arch9wavefront6targetE0EEEvT1_
		.amdhsa_group_segment_fixed_size 0
		.amdhsa_private_segment_fixed_size 0
		.amdhsa_kernarg_size 136
		.amdhsa_user_sgpr_count 2
		.amdhsa_user_sgpr_dispatch_ptr 0
		.amdhsa_user_sgpr_queue_ptr 0
		.amdhsa_user_sgpr_kernarg_segment_ptr 1
		.amdhsa_user_sgpr_dispatch_id 0
		.amdhsa_user_sgpr_kernarg_preload_length 0
		.amdhsa_user_sgpr_kernarg_preload_offset 0
		.amdhsa_user_sgpr_private_segment_size 0
		.amdhsa_wavefront_size32 1
		.amdhsa_uses_dynamic_stack 0
		.amdhsa_enable_private_segment 0
		.amdhsa_system_sgpr_workgroup_id_x 1
		.amdhsa_system_sgpr_workgroup_id_y 0
		.amdhsa_system_sgpr_workgroup_id_z 0
		.amdhsa_system_sgpr_workgroup_info 0
		.amdhsa_system_vgpr_workitem_id 0
		.amdhsa_next_free_vgpr 1
		.amdhsa_next_free_sgpr 1
		.amdhsa_named_barrier_count 0
		.amdhsa_reserve_vcc 0
		.amdhsa_float_round_mode_32 0
		.amdhsa_float_round_mode_16_64 0
		.amdhsa_float_denorm_mode_32 3
		.amdhsa_float_denorm_mode_16_64 3
		.amdhsa_fp16_overflow 0
		.amdhsa_memory_ordered 1
		.amdhsa_forward_progress 1
		.amdhsa_inst_pref_size 0
		.amdhsa_round_robin_scheduling 0
		.amdhsa_exception_fp_ieee_invalid_op 0
		.amdhsa_exception_fp_denorm_src 0
		.amdhsa_exception_fp_ieee_div_zero 0
		.amdhsa_exception_fp_ieee_overflow 0
		.amdhsa_exception_fp_ieee_underflow 0
		.amdhsa_exception_fp_ieee_inexact 0
		.amdhsa_exception_int_div_zero 0
	.end_amdhsa_kernel
	.section	.text._ZN7rocprim17ROCPRIM_400000_NS6detail17trampoline_kernelINS0_14default_configENS1_25partition_config_selectorILNS1_17partition_subalgoE9EllbEEZZNS1_14partition_implILS5_9ELb0ES3_jPlS8_PNS0_10empty_typeENS0_5tupleIJS8_S9_EEENSB_IJS8_SA_EEENS0_18inequality_wrapperIZN2at6native12_GLOBAL__N_124unique_dim_cuda_templateIlEESt5tupleIJNSF_6TensorESK_SK_EERKSK_lbbbEUlllE0_EEPmJS9_EEE10hipError_tPvRmT3_T4_T5_T6_T7_T9_mT8_P12ihipStream_tbDpT10_ENKUlT_T0_E_clISt17integral_constantIbLb0EES19_IbLb1EEEEDaS15_S16_EUlS15_E_NS1_11comp_targetILNS1_3genE5ELNS1_11target_archE942ELNS1_3gpuE9ELNS1_3repE0EEENS1_30default_config_static_selectorELNS0_4arch9wavefront6targetE0EEEvT1_,"axG",@progbits,_ZN7rocprim17ROCPRIM_400000_NS6detail17trampoline_kernelINS0_14default_configENS1_25partition_config_selectorILNS1_17partition_subalgoE9EllbEEZZNS1_14partition_implILS5_9ELb0ES3_jPlS8_PNS0_10empty_typeENS0_5tupleIJS8_S9_EEENSB_IJS8_SA_EEENS0_18inequality_wrapperIZN2at6native12_GLOBAL__N_124unique_dim_cuda_templateIlEESt5tupleIJNSF_6TensorESK_SK_EERKSK_lbbbEUlllE0_EEPmJS9_EEE10hipError_tPvRmT3_T4_T5_T6_T7_T9_mT8_P12ihipStream_tbDpT10_ENKUlT_T0_E_clISt17integral_constantIbLb0EES19_IbLb1EEEEDaS15_S16_EUlS15_E_NS1_11comp_targetILNS1_3genE5ELNS1_11target_archE942ELNS1_3gpuE9ELNS1_3repE0EEENS1_30default_config_static_selectorELNS0_4arch9wavefront6targetE0EEEvT1_,comdat
.Lfunc_end620:
	.size	_ZN7rocprim17ROCPRIM_400000_NS6detail17trampoline_kernelINS0_14default_configENS1_25partition_config_selectorILNS1_17partition_subalgoE9EllbEEZZNS1_14partition_implILS5_9ELb0ES3_jPlS8_PNS0_10empty_typeENS0_5tupleIJS8_S9_EEENSB_IJS8_SA_EEENS0_18inequality_wrapperIZN2at6native12_GLOBAL__N_124unique_dim_cuda_templateIlEESt5tupleIJNSF_6TensorESK_SK_EERKSK_lbbbEUlllE0_EEPmJS9_EEE10hipError_tPvRmT3_T4_T5_T6_T7_T9_mT8_P12ihipStream_tbDpT10_ENKUlT_T0_E_clISt17integral_constantIbLb0EES19_IbLb1EEEEDaS15_S16_EUlS15_E_NS1_11comp_targetILNS1_3genE5ELNS1_11target_archE942ELNS1_3gpuE9ELNS1_3repE0EEENS1_30default_config_static_selectorELNS0_4arch9wavefront6targetE0EEEvT1_, .Lfunc_end620-_ZN7rocprim17ROCPRIM_400000_NS6detail17trampoline_kernelINS0_14default_configENS1_25partition_config_selectorILNS1_17partition_subalgoE9EllbEEZZNS1_14partition_implILS5_9ELb0ES3_jPlS8_PNS0_10empty_typeENS0_5tupleIJS8_S9_EEENSB_IJS8_SA_EEENS0_18inequality_wrapperIZN2at6native12_GLOBAL__N_124unique_dim_cuda_templateIlEESt5tupleIJNSF_6TensorESK_SK_EERKSK_lbbbEUlllE0_EEPmJS9_EEE10hipError_tPvRmT3_T4_T5_T6_T7_T9_mT8_P12ihipStream_tbDpT10_ENKUlT_T0_E_clISt17integral_constantIbLb0EES19_IbLb1EEEEDaS15_S16_EUlS15_E_NS1_11comp_targetILNS1_3genE5ELNS1_11target_archE942ELNS1_3gpuE9ELNS1_3repE0EEENS1_30default_config_static_selectorELNS0_4arch9wavefront6targetE0EEEvT1_
                                        ; -- End function
	.set _ZN7rocprim17ROCPRIM_400000_NS6detail17trampoline_kernelINS0_14default_configENS1_25partition_config_selectorILNS1_17partition_subalgoE9EllbEEZZNS1_14partition_implILS5_9ELb0ES3_jPlS8_PNS0_10empty_typeENS0_5tupleIJS8_S9_EEENSB_IJS8_SA_EEENS0_18inequality_wrapperIZN2at6native12_GLOBAL__N_124unique_dim_cuda_templateIlEESt5tupleIJNSF_6TensorESK_SK_EERKSK_lbbbEUlllE0_EEPmJS9_EEE10hipError_tPvRmT3_T4_T5_T6_T7_T9_mT8_P12ihipStream_tbDpT10_ENKUlT_T0_E_clISt17integral_constantIbLb0EES19_IbLb1EEEEDaS15_S16_EUlS15_E_NS1_11comp_targetILNS1_3genE5ELNS1_11target_archE942ELNS1_3gpuE9ELNS1_3repE0EEENS1_30default_config_static_selectorELNS0_4arch9wavefront6targetE0EEEvT1_.num_vgpr, 0
	.set _ZN7rocprim17ROCPRIM_400000_NS6detail17trampoline_kernelINS0_14default_configENS1_25partition_config_selectorILNS1_17partition_subalgoE9EllbEEZZNS1_14partition_implILS5_9ELb0ES3_jPlS8_PNS0_10empty_typeENS0_5tupleIJS8_S9_EEENSB_IJS8_SA_EEENS0_18inequality_wrapperIZN2at6native12_GLOBAL__N_124unique_dim_cuda_templateIlEESt5tupleIJNSF_6TensorESK_SK_EERKSK_lbbbEUlllE0_EEPmJS9_EEE10hipError_tPvRmT3_T4_T5_T6_T7_T9_mT8_P12ihipStream_tbDpT10_ENKUlT_T0_E_clISt17integral_constantIbLb0EES19_IbLb1EEEEDaS15_S16_EUlS15_E_NS1_11comp_targetILNS1_3genE5ELNS1_11target_archE942ELNS1_3gpuE9ELNS1_3repE0EEENS1_30default_config_static_selectorELNS0_4arch9wavefront6targetE0EEEvT1_.num_agpr, 0
	.set _ZN7rocprim17ROCPRIM_400000_NS6detail17trampoline_kernelINS0_14default_configENS1_25partition_config_selectorILNS1_17partition_subalgoE9EllbEEZZNS1_14partition_implILS5_9ELb0ES3_jPlS8_PNS0_10empty_typeENS0_5tupleIJS8_S9_EEENSB_IJS8_SA_EEENS0_18inequality_wrapperIZN2at6native12_GLOBAL__N_124unique_dim_cuda_templateIlEESt5tupleIJNSF_6TensorESK_SK_EERKSK_lbbbEUlllE0_EEPmJS9_EEE10hipError_tPvRmT3_T4_T5_T6_T7_T9_mT8_P12ihipStream_tbDpT10_ENKUlT_T0_E_clISt17integral_constantIbLb0EES19_IbLb1EEEEDaS15_S16_EUlS15_E_NS1_11comp_targetILNS1_3genE5ELNS1_11target_archE942ELNS1_3gpuE9ELNS1_3repE0EEENS1_30default_config_static_selectorELNS0_4arch9wavefront6targetE0EEEvT1_.numbered_sgpr, 0
	.set _ZN7rocprim17ROCPRIM_400000_NS6detail17trampoline_kernelINS0_14default_configENS1_25partition_config_selectorILNS1_17partition_subalgoE9EllbEEZZNS1_14partition_implILS5_9ELb0ES3_jPlS8_PNS0_10empty_typeENS0_5tupleIJS8_S9_EEENSB_IJS8_SA_EEENS0_18inequality_wrapperIZN2at6native12_GLOBAL__N_124unique_dim_cuda_templateIlEESt5tupleIJNSF_6TensorESK_SK_EERKSK_lbbbEUlllE0_EEPmJS9_EEE10hipError_tPvRmT3_T4_T5_T6_T7_T9_mT8_P12ihipStream_tbDpT10_ENKUlT_T0_E_clISt17integral_constantIbLb0EES19_IbLb1EEEEDaS15_S16_EUlS15_E_NS1_11comp_targetILNS1_3genE5ELNS1_11target_archE942ELNS1_3gpuE9ELNS1_3repE0EEENS1_30default_config_static_selectorELNS0_4arch9wavefront6targetE0EEEvT1_.num_named_barrier, 0
	.set _ZN7rocprim17ROCPRIM_400000_NS6detail17trampoline_kernelINS0_14default_configENS1_25partition_config_selectorILNS1_17partition_subalgoE9EllbEEZZNS1_14partition_implILS5_9ELb0ES3_jPlS8_PNS0_10empty_typeENS0_5tupleIJS8_S9_EEENSB_IJS8_SA_EEENS0_18inequality_wrapperIZN2at6native12_GLOBAL__N_124unique_dim_cuda_templateIlEESt5tupleIJNSF_6TensorESK_SK_EERKSK_lbbbEUlllE0_EEPmJS9_EEE10hipError_tPvRmT3_T4_T5_T6_T7_T9_mT8_P12ihipStream_tbDpT10_ENKUlT_T0_E_clISt17integral_constantIbLb0EES19_IbLb1EEEEDaS15_S16_EUlS15_E_NS1_11comp_targetILNS1_3genE5ELNS1_11target_archE942ELNS1_3gpuE9ELNS1_3repE0EEENS1_30default_config_static_selectorELNS0_4arch9wavefront6targetE0EEEvT1_.private_seg_size, 0
	.set _ZN7rocprim17ROCPRIM_400000_NS6detail17trampoline_kernelINS0_14default_configENS1_25partition_config_selectorILNS1_17partition_subalgoE9EllbEEZZNS1_14partition_implILS5_9ELb0ES3_jPlS8_PNS0_10empty_typeENS0_5tupleIJS8_S9_EEENSB_IJS8_SA_EEENS0_18inequality_wrapperIZN2at6native12_GLOBAL__N_124unique_dim_cuda_templateIlEESt5tupleIJNSF_6TensorESK_SK_EERKSK_lbbbEUlllE0_EEPmJS9_EEE10hipError_tPvRmT3_T4_T5_T6_T7_T9_mT8_P12ihipStream_tbDpT10_ENKUlT_T0_E_clISt17integral_constantIbLb0EES19_IbLb1EEEEDaS15_S16_EUlS15_E_NS1_11comp_targetILNS1_3genE5ELNS1_11target_archE942ELNS1_3gpuE9ELNS1_3repE0EEENS1_30default_config_static_selectorELNS0_4arch9wavefront6targetE0EEEvT1_.uses_vcc, 0
	.set _ZN7rocprim17ROCPRIM_400000_NS6detail17trampoline_kernelINS0_14default_configENS1_25partition_config_selectorILNS1_17partition_subalgoE9EllbEEZZNS1_14partition_implILS5_9ELb0ES3_jPlS8_PNS0_10empty_typeENS0_5tupleIJS8_S9_EEENSB_IJS8_SA_EEENS0_18inequality_wrapperIZN2at6native12_GLOBAL__N_124unique_dim_cuda_templateIlEESt5tupleIJNSF_6TensorESK_SK_EERKSK_lbbbEUlllE0_EEPmJS9_EEE10hipError_tPvRmT3_T4_T5_T6_T7_T9_mT8_P12ihipStream_tbDpT10_ENKUlT_T0_E_clISt17integral_constantIbLb0EES19_IbLb1EEEEDaS15_S16_EUlS15_E_NS1_11comp_targetILNS1_3genE5ELNS1_11target_archE942ELNS1_3gpuE9ELNS1_3repE0EEENS1_30default_config_static_selectorELNS0_4arch9wavefront6targetE0EEEvT1_.uses_flat_scratch, 0
	.set _ZN7rocprim17ROCPRIM_400000_NS6detail17trampoline_kernelINS0_14default_configENS1_25partition_config_selectorILNS1_17partition_subalgoE9EllbEEZZNS1_14partition_implILS5_9ELb0ES3_jPlS8_PNS0_10empty_typeENS0_5tupleIJS8_S9_EEENSB_IJS8_SA_EEENS0_18inequality_wrapperIZN2at6native12_GLOBAL__N_124unique_dim_cuda_templateIlEESt5tupleIJNSF_6TensorESK_SK_EERKSK_lbbbEUlllE0_EEPmJS9_EEE10hipError_tPvRmT3_T4_T5_T6_T7_T9_mT8_P12ihipStream_tbDpT10_ENKUlT_T0_E_clISt17integral_constantIbLb0EES19_IbLb1EEEEDaS15_S16_EUlS15_E_NS1_11comp_targetILNS1_3genE5ELNS1_11target_archE942ELNS1_3gpuE9ELNS1_3repE0EEENS1_30default_config_static_selectorELNS0_4arch9wavefront6targetE0EEEvT1_.has_dyn_sized_stack, 0
	.set _ZN7rocprim17ROCPRIM_400000_NS6detail17trampoline_kernelINS0_14default_configENS1_25partition_config_selectorILNS1_17partition_subalgoE9EllbEEZZNS1_14partition_implILS5_9ELb0ES3_jPlS8_PNS0_10empty_typeENS0_5tupleIJS8_S9_EEENSB_IJS8_SA_EEENS0_18inequality_wrapperIZN2at6native12_GLOBAL__N_124unique_dim_cuda_templateIlEESt5tupleIJNSF_6TensorESK_SK_EERKSK_lbbbEUlllE0_EEPmJS9_EEE10hipError_tPvRmT3_T4_T5_T6_T7_T9_mT8_P12ihipStream_tbDpT10_ENKUlT_T0_E_clISt17integral_constantIbLb0EES19_IbLb1EEEEDaS15_S16_EUlS15_E_NS1_11comp_targetILNS1_3genE5ELNS1_11target_archE942ELNS1_3gpuE9ELNS1_3repE0EEENS1_30default_config_static_selectorELNS0_4arch9wavefront6targetE0EEEvT1_.has_recursion, 0
	.set _ZN7rocprim17ROCPRIM_400000_NS6detail17trampoline_kernelINS0_14default_configENS1_25partition_config_selectorILNS1_17partition_subalgoE9EllbEEZZNS1_14partition_implILS5_9ELb0ES3_jPlS8_PNS0_10empty_typeENS0_5tupleIJS8_S9_EEENSB_IJS8_SA_EEENS0_18inequality_wrapperIZN2at6native12_GLOBAL__N_124unique_dim_cuda_templateIlEESt5tupleIJNSF_6TensorESK_SK_EERKSK_lbbbEUlllE0_EEPmJS9_EEE10hipError_tPvRmT3_T4_T5_T6_T7_T9_mT8_P12ihipStream_tbDpT10_ENKUlT_T0_E_clISt17integral_constantIbLb0EES19_IbLb1EEEEDaS15_S16_EUlS15_E_NS1_11comp_targetILNS1_3genE5ELNS1_11target_archE942ELNS1_3gpuE9ELNS1_3repE0EEENS1_30default_config_static_selectorELNS0_4arch9wavefront6targetE0EEEvT1_.has_indirect_call, 0
	.section	.AMDGPU.csdata,"",@progbits
; Kernel info:
; codeLenInByte = 0
; TotalNumSgprs: 0
; NumVgprs: 0
; ScratchSize: 0
; MemoryBound: 0
; FloatMode: 240
; IeeeMode: 1
; LDSByteSize: 0 bytes/workgroup (compile time only)
; SGPRBlocks: 0
; VGPRBlocks: 0
; NumSGPRsForWavesPerEU: 1
; NumVGPRsForWavesPerEU: 1
; NamedBarCnt: 0
; Occupancy: 16
; WaveLimiterHint : 0
; COMPUTE_PGM_RSRC2:SCRATCH_EN: 0
; COMPUTE_PGM_RSRC2:USER_SGPR: 2
; COMPUTE_PGM_RSRC2:TRAP_HANDLER: 0
; COMPUTE_PGM_RSRC2:TGID_X_EN: 1
; COMPUTE_PGM_RSRC2:TGID_Y_EN: 0
; COMPUTE_PGM_RSRC2:TGID_Z_EN: 0
; COMPUTE_PGM_RSRC2:TIDIG_COMP_CNT: 0
	.section	.text._ZN7rocprim17ROCPRIM_400000_NS6detail17trampoline_kernelINS0_14default_configENS1_25partition_config_selectorILNS1_17partition_subalgoE9EllbEEZZNS1_14partition_implILS5_9ELb0ES3_jPlS8_PNS0_10empty_typeENS0_5tupleIJS8_S9_EEENSB_IJS8_SA_EEENS0_18inequality_wrapperIZN2at6native12_GLOBAL__N_124unique_dim_cuda_templateIlEESt5tupleIJNSF_6TensorESK_SK_EERKSK_lbbbEUlllE0_EEPmJS9_EEE10hipError_tPvRmT3_T4_T5_T6_T7_T9_mT8_P12ihipStream_tbDpT10_ENKUlT_T0_E_clISt17integral_constantIbLb0EES19_IbLb1EEEEDaS15_S16_EUlS15_E_NS1_11comp_targetILNS1_3genE4ELNS1_11target_archE910ELNS1_3gpuE8ELNS1_3repE0EEENS1_30default_config_static_selectorELNS0_4arch9wavefront6targetE0EEEvT1_,"axG",@progbits,_ZN7rocprim17ROCPRIM_400000_NS6detail17trampoline_kernelINS0_14default_configENS1_25partition_config_selectorILNS1_17partition_subalgoE9EllbEEZZNS1_14partition_implILS5_9ELb0ES3_jPlS8_PNS0_10empty_typeENS0_5tupleIJS8_S9_EEENSB_IJS8_SA_EEENS0_18inequality_wrapperIZN2at6native12_GLOBAL__N_124unique_dim_cuda_templateIlEESt5tupleIJNSF_6TensorESK_SK_EERKSK_lbbbEUlllE0_EEPmJS9_EEE10hipError_tPvRmT3_T4_T5_T6_T7_T9_mT8_P12ihipStream_tbDpT10_ENKUlT_T0_E_clISt17integral_constantIbLb0EES19_IbLb1EEEEDaS15_S16_EUlS15_E_NS1_11comp_targetILNS1_3genE4ELNS1_11target_archE910ELNS1_3gpuE8ELNS1_3repE0EEENS1_30default_config_static_selectorELNS0_4arch9wavefront6targetE0EEEvT1_,comdat
	.globl	_ZN7rocprim17ROCPRIM_400000_NS6detail17trampoline_kernelINS0_14default_configENS1_25partition_config_selectorILNS1_17partition_subalgoE9EllbEEZZNS1_14partition_implILS5_9ELb0ES3_jPlS8_PNS0_10empty_typeENS0_5tupleIJS8_S9_EEENSB_IJS8_SA_EEENS0_18inequality_wrapperIZN2at6native12_GLOBAL__N_124unique_dim_cuda_templateIlEESt5tupleIJNSF_6TensorESK_SK_EERKSK_lbbbEUlllE0_EEPmJS9_EEE10hipError_tPvRmT3_T4_T5_T6_T7_T9_mT8_P12ihipStream_tbDpT10_ENKUlT_T0_E_clISt17integral_constantIbLb0EES19_IbLb1EEEEDaS15_S16_EUlS15_E_NS1_11comp_targetILNS1_3genE4ELNS1_11target_archE910ELNS1_3gpuE8ELNS1_3repE0EEENS1_30default_config_static_selectorELNS0_4arch9wavefront6targetE0EEEvT1_ ; -- Begin function _ZN7rocprim17ROCPRIM_400000_NS6detail17trampoline_kernelINS0_14default_configENS1_25partition_config_selectorILNS1_17partition_subalgoE9EllbEEZZNS1_14partition_implILS5_9ELb0ES3_jPlS8_PNS0_10empty_typeENS0_5tupleIJS8_S9_EEENSB_IJS8_SA_EEENS0_18inequality_wrapperIZN2at6native12_GLOBAL__N_124unique_dim_cuda_templateIlEESt5tupleIJNSF_6TensorESK_SK_EERKSK_lbbbEUlllE0_EEPmJS9_EEE10hipError_tPvRmT3_T4_T5_T6_T7_T9_mT8_P12ihipStream_tbDpT10_ENKUlT_T0_E_clISt17integral_constantIbLb0EES19_IbLb1EEEEDaS15_S16_EUlS15_E_NS1_11comp_targetILNS1_3genE4ELNS1_11target_archE910ELNS1_3gpuE8ELNS1_3repE0EEENS1_30default_config_static_selectorELNS0_4arch9wavefront6targetE0EEEvT1_
	.p2align	8
	.type	_ZN7rocprim17ROCPRIM_400000_NS6detail17trampoline_kernelINS0_14default_configENS1_25partition_config_selectorILNS1_17partition_subalgoE9EllbEEZZNS1_14partition_implILS5_9ELb0ES3_jPlS8_PNS0_10empty_typeENS0_5tupleIJS8_S9_EEENSB_IJS8_SA_EEENS0_18inequality_wrapperIZN2at6native12_GLOBAL__N_124unique_dim_cuda_templateIlEESt5tupleIJNSF_6TensorESK_SK_EERKSK_lbbbEUlllE0_EEPmJS9_EEE10hipError_tPvRmT3_T4_T5_T6_T7_T9_mT8_P12ihipStream_tbDpT10_ENKUlT_T0_E_clISt17integral_constantIbLb0EES19_IbLb1EEEEDaS15_S16_EUlS15_E_NS1_11comp_targetILNS1_3genE4ELNS1_11target_archE910ELNS1_3gpuE8ELNS1_3repE0EEENS1_30default_config_static_selectorELNS0_4arch9wavefront6targetE0EEEvT1_,@function
_ZN7rocprim17ROCPRIM_400000_NS6detail17trampoline_kernelINS0_14default_configENS1_25partition_config_selectorILNS1_17partition_subalgoE9EllbEEZZNS1_14partition_implILS5_9ELb0ES3_jPlS8_PNS0_10empty_typeENS0_5tupleIJS8_S9_EEENSB_IJS8_SA_EEENS0_18inequality_wrapperIZN2at6native12_GLOBAL__N_124unique_dim_cuda_templateIlEESt5tupleIJNSF_6TensorESK_SK_EERKSK_lbbbEUlllE0_EEPmJS9_EEE10hipError_tPvRmT3_T4_T5_T6_T7_T9_mT8_P12ihipStream_tbDpT10_ENKUlT_T0_E_clISt17integral_constantIbLb0EES19_IbLb1EEEEDaS15_S16_EUlS15_E_NS1_11comp_targetILNS1_3genE4ELNS1_11target_archE910ELNS1_3gpuE8ELNS1_3repE0EEENS1_30default_config_static_selectorELNS0_4arch9wavefront6targetE0EEEvT1_: ; @_ZN7rocprim17ROCPRIM_400000_NS6detail17trampoline_kernelINS0_14default_configENS1_25partition_config_selectorILNS1_17partition_subalgoE9EllbEEZZNS1_14partition_implILS5_9ELb0ES3_jPlS8_PNS0_10empty_typeENS0_5tupleIJS8_S9_EEENSB_IJS8_SA_EEENS0_18inequality_wrapperIZN2at6native12_GLOBAL__N_124unique_dim_cuda_templateIlEESt5tupleIJNSF_6TensorESK_SK_EERKSK_lbbbEUlllE0_EEPmJS9_EEE10hipError_tPvRmT3_T4_T5_T6_T7_T9_mT8_P12ihipStream_tbDpT10_ENKUlT_T0_E_clISt17integral_constantIbLb0EES19_IbLb1EEEEDaS15_S16_EUlS15_E_NS1_11comp_targetILNS1_3genE4ELNS1_11target_archE910ELNS1_3gpuE8ELNS1_3repE0EEENS1_30default_config_static_selectorELNS0_4arch9wavefront6targetE0EEEvT1_
; %bb.0:
	.section	.rodata,"a",@progbits
	.p2align	6, 0x0
	.amdhsa_kernel _ZN7rocprim17ROCPRIM_400000_NS6detail17trampoline_kernelINS0_14default_configENS1_25partition_config_selectorILNS1_17partition_subalgoE9EllbEEZZNS1_14partition_implILS5_9ELb0ES3_jPlS8_PNS0_10empty_typeENS0_5tupleIJS8_S9_EEENSB_IJS8_SA_EEENS0_18inequality_wrapperIZN2at6native12_GLOBAL__N_124unique_dim_cuda_templateIlEESt5tupleIJNSF_6TensorESK_SK_EERKSK_lbbbEUlllE0_EEPmJS9_EEE10hipError_tPvRmT3_T4_T5_T6_T7_T9_mT8_P12ihipStream_tbDpT10_ENKUlT_T0_E_clISt17integral_constantIbLb0EES19_IbLb1EEEEDaS15_S16_EUlS15_E_NS1_11comp_targetILNS1_3genE4ELNS1_11target_archE910ELNS1_3gpuE8ELNS1_3repE0EEENS1_30default_config_static_selectorELNS0_4arch9wavefront6targetE0EEEvT1_
		.amdhsa_group_segment_fixed_size 0
		.amdhsa_private_segment_fixed_size 0
		.amdhsa_kernarg_size 136
		.amdhsa_user_sgpr_count 2
		.amdhsa_user_sgpr_dispatch_ptr 0
		.amdhsa_user_sgpr_queue_ptr 0
		.amdhsa_user_sgpr_kernarg_segment_ptr 1
		.amdhsa_user_sgpr_dispatch_id 0
		.amdhsa_user_sgpr_kernarg_preload_length 0
		.amdhsa_user_sgpr_kernarg_preload_offset 0
		.amdhsa_user_sgpr_private_segment_size 0
		.amdhsa_wavefront_size32 1
		.amdhsa_uses_dynamic_stack 0
		.amdhsa_enable_private_segment 0
		.amdhsa_system_sgpr_workgroup_id_x 1
		.amdhsa_system_sgpr_workgroup_id_y 0
		.amdhsa_system_sgpr_workgroup_id_z 0
		.amdhsa_system_sgpr_workgroup_info 0
		.amdhsa_system_vgpr_workitem_id 0
		.amdhsa_next_free_vgpr 1
		.amdhsa_next_free_sgpr 1
		.amdhsa_named_barrier_count 0
		.amdhsa_reserve_vcc 0
		.amdhsa_float_round_mode_32 0
		.amdhsa_float_round_mode_16_64 0
		.amdhsa_float_denorm_mode_32 3
		.amdhsa_float_denorm_mode_16_64 3
		.amdhsa_fp16_overflow 0
		.amdhsa_memory_ordered 1
		.amdhsa_forward_progress 1
		.amdhsa_inst_pref_size 0
		.amdhsa_round_robin_scheduling 0
		.amdhsa_exception_fp_ieee_invalid_op 0
		.amdhsa_exception_fp_denorm_src 0
		.amdhsa_exception_fp_ieee_div_zero 0
		.amdhsa_exception_fp_ieee_overflow 0
		.amdhsa_exception_fp_ieee_underflow 0
		.amdhsa_exception_fp_ieee_inexact 0
		.amdhsa_exception_int_div_zero 0
	.end_amdhsa_kernel
	.section	.text._ZN7rocprim17ROCPRIM_400000_NS6detail17trampoline_kernelINS0_14default_configENS1_25partition_config_selectorILNS1_17partition_subalgoE9EllbEEZZNS1_14partition_implILS5_9ELb0ES3_jPlS8_PNS0_10empty_typeENS0_5tupleIJS8_S9_EEENSB_IJS8_SA_EEENS0_18inequality_wrapperIZN2at6native12_GLOBAL__N_124unique_dim_cuda_templateIlEESt5tupleIJNSF_6TensorESK_SK_EERKSK_lbbbEUlllE0_EEPmJS9_EEE10hipError_tPvRmT3_T4_T5_T6_T7_T9_mT8_P12ihipStream_tbDpT10_ENKUlT_T0_E_clISt17integral_constantIbLb0EES19_IbLb1EEEEDaS15_S16_EUlS15_E_NS1_11comp_targetILNS1_3genE4ELNS1_11target_archE910ELNS1_3gpuE8ELNS1_3repE0EEENS1_30default_config_static_selectorELNS0_4arch9wavefront6targetE0EEEvT1_,"axG",@progbits,_ZN7rocprim17ROCPRIM_400000_NS6detail17trampoline_kernelINS0_14default_configENS1_25partition_config_selectorILNS1_17partition_subalgoE9EllbEEZZNS1_14partition_implILS5_9ELb0ES3_jPlS8_PNS0_10empty_typeENS0_5tupleIJS8_S9_EEENSB_IJS8_SA_EEENS0_18inequality_wrapperIZN2at6native12_GLOBAL__N_124unique_dim_cuda_templateIlEESt5tupleIJNSF_6TensorESK_SK_EERKSK_lbbbEUlllE0_EEPmJS9_EEE10hipError_tPvRmT3_T4_T5_T6_T7_T9_mT8_P12ihipStream_tbDpT10_ENKUlT_T0_E_clISt17integral_constantIbLb0EES19_IbLb1EEEEDaS15_S16_EUlS15_E_NS1_11comp_targetILNS1_3genE4ELNS1_11target_archE910ELNS1_3gpuE8ELNS1_3repE0EEENS1_30default_config_static_selectorELNS0_4arch9wavefront6targetE0EEEvT1_,comdat
.Lfunc_end621:
	.size	_ZN7rocprim17ROCPRIM_400000_NS6detail17trampoline_kernelINS0_14default_configENS1_25partition_config_selectorILNS1_17partition_subalgoE9EllbEEZZNS1_14partition_implILS5_9ELb0ES3_jPlS8_PNS0_10empty_typeENS0_5tupleIJS8_S9_EEENSB_IJS8_SA_EEENS0_18inequality_wrapperIZN2at6native12_GLOBAL__N_124unique_dim_cuda_templateIlEESt5tupleIJNSF_6TensorESK_SK_EERKSK_lbbbEUlllE0_EEPmJS9_EEE10hipError_tPvRmT3_T4_T5_T6_T7_T9_mT8_P12ihipStream_tbDpT10_ENKUlT_T0_E_clISt17integral_constantIbLb0EES19_IbLb1EEEEDaS15_S16_EUlS15_E_NS1_11comp_targetILNS1_3genE4ELNS1_11target_archE910ELNS1_3gpuE8ELNS1_3repE0EEENS1_30default_config_static_selectorELNS0_4arch9wavefront6targetE0EEEvT1_, .Lfunc_end621-_ZN7rocprim17ROCPRIM_400000_NS6detail17trampoline_kernelINS0_14default_configENS1_25partition_config_selectorILNS1_17partition_subalgoE9EllbEEZZNS1_14partition_implILS5_9ELb0ES3_jPlS8_PNS0_10empty_typeENS0_5tupleIJS8_S9_EEENSB_IJS8_SA_EEENS0_18inequality_wrapperIZN2at6native12_GLOBAL__N_124unique_dim_cuda_templateIlEESt5tupleIJNSF_6TensorESK_SK_EERKSK_lbbbEUlllE0_EEPmJS9_EEE10hipError_tPvRmT3_T4_T5_T6_T7_T9_mT8_P12ihipStream_tbDpT10_ENKUlT_T0_E_clISt17integral_constantIbLb0EES19_IbLb1EEEEDaS15_S16_EUlS15_E_NS1_11comp_targetILNS1_3genE4ELNS1_11target_archE910ELNS1_3gpuE8ELNS1_3repE0EEENS1_30default_config_static_selectorELNS0_4arch9wavefront6targetE0EEEvT1_
                                        ; -- End function
	.set _ZN7rocprim17ROCPRIM_400000_NS6detail17trampoline_kernelINS0_14default_configENS1_25partition_config_selectorILNS1_17partition_subalgoE9EllbEEZZNS1_14partition_implILS5_9ELb0ES3_jPlS8_PNS0_10empty_typeENS0_5tupleIJS8_S9_EEENSB_IJS8_SA_EEENS0_18inequality_wrapperIZN2at6native12_GLOBAL__N_124unique_dim_cuda_templateIlEESt5tupleIJNSF_6TensorESK_SK_EERKSK_lbbbEUlllE0_EEPmJS9_EEE10hipError_tPvRmT3_T4_T5_T6_T7_T9_mT8_P12ihipStream_tbDpT10_ENKUlT_T0_E_clISt17integral_constantIbLb0EES19_IbLb1EEEEDaS15_S16_EUlS15_E_NS1_11comp_targetILNS1_3genE4ELNS1_11target_archE910ELNS1_3gpuE8ELNS1_3repE0EEENS1_30default_config_static_selectorELNS0_4arch9wavefront6targetE0EEEvT1_.num_vgpr, 0
	.set _ZN7rocprim17ROCPRIM_400000_NS6detail17trampoline_kernelINS0_14default_configENS1_25partition_config_selectorILNS1_17partition_subalgoE9EllbEEZZNS1_14partition_implILS5_9ELb0ES3_jPlS8_PNS0_10empty_typeENS0_5tupleIJS8_S9_EEENSB_IJS8_SA_EEENS0_18inequality_wrapperIZN2at6native12_GLOBAL__N_124unique_dim_cuda_templateIlEESt5tupleIJNSF_6TensorESK_SK_EERKSK_lbbbEUlllE0_EEPmJS9_EEE10hipError_tPvRmT3_T4_T5_T6_T7_T9_mT8_P12ihipStream_tbDpT10_ENKUlT_T0_E_clISt17integral_constantIbLb0EES19_IbLb1EEEEDaS15_S16_EUlS15_E_NS1_11comp_targetILNS1_3genE4ELNS1_11target_archE910ELNS1_3gpuE8ELNS1_3repE0EEENS1_30default_config_static_selectorELNS0_4arch9wavefront6targetE0EEEvT1_.num_agpr, 0
	.set _ZN7rocprim17ROCPRIM_400000_NS6detail17trampoline_kernelINS0_14default_configENS1_25partition_config_selectorILNS1_17partition_subalgoE9EllbEEZZNS1_14partition_implILS5_9ELb0ES3_jPlS8_PNS0_10empty_typeENS0_5tupleIJS8_S9_EEENSB_IJS8_SA_EEENS0_18inequality_wrapperIZN2at6native12_GLOBAL__N_124unique_dim_cuda_templateIlEESt5tupleIJNSF_6TensorESK_SK_EERKSK_lbbbEUlllE0_EEPmJS9_EEE10hipError_tPvRmT3_T4_T5_T6_T7_T9_mT8_P12ihipStream_tbDpT10_ENKUlT_T0_E_clISt17integral_constantIbLb0EES19_IbLb1EEEEDaS15_S16_EUlS15_E_NS1_11comp_targetILNS1_3genE4ELNS1_11target_archE910ELNS1_3gpuE8ELNS1_3repE0EEENS1_30default_config_static_selectorELNS0_4arch9wavefront6targetE0EEEvT1_.numbered_sgpr, 0
	.set _ZN7rocprim17ROCPRIM_400000_NS6detail17trampoline_kernelINS0_14default_configENS1_25partition_config_selectorILNS1_17partition_subalgoE9EllbEEZZNS1_14partition_implILS5_9ELb0ES3_jPlS8_PNS0_10empty_typeENS0_5tupleIJS8_S9_EEENSB_IJS8_SA_EEENS0_18inequality_wrapperIZN2at6native12_GLOBAL__N_124unique_dim_cuda_templateIlEESt5tupleIJNSF_6TensorESK_SK_EERKSK_lbbbEUlllE0_EEPmJS9_EEE10hipError_tPvRmT3_T4_T5_T6_T7_T9_mT8_P12ihipStream_tbDpT10_ENKUlT_T0_E_clISt17integral_constantIbLb0EES19_IbLb1EEEEDaS15_S16_EUlS15_E_NS1_11comp_targetILNS1_3genE4ELNS1_11target_archE910ELNS1_3gpuE8ELNS1_3repE0EEENS1_30default_config_static_selectorELNS0_4arch9wavefront6targetE0EEEvT1_.num_named_barrier, 0
	.set _ZN7rocprim17ROCPRIM_400000_NS6detail17trampoline_kernelINS0_14default_configENS1_25partition_config_selectorILNS1_17partition_subalgoE9EllbEEZZNS1_14partition_implILS5_9ELb0ES3_jPlS8_PNS0_10empty_typeENS0_5tupleIJS8_S9_EEENSB_IJS8_SA_EEENS0_18inequality_wrapperIZN2at6native12_GLOBAL__N_124unique_dim_cuda_templateIlEESt5tupleIJNSF_6TensorESK_SK_EERKSK_lbbbEUlllE0_EEPmJS9_EEE10hipError_tPvRmT3_T4_T5_T6_T7_T9_mT8_P12ihipStream_tbDpT10_ENKUlT_T0_E_clISt17integral_constantIbLb0EES19_IbLb1EEEEDaS15_S16_EUlS15_E_NS1_11comp_targetILNS1_3genE4ELNS1_11target_archE910ELNS1_3gpuE8ELNS1_3repE0EEENS1_30default_config_static_selectorELNS0_4arch9wavefront6targetE0EEEvT1_.private_seg_size, 0
	.set _ZN7rocprim17ROCPRIM_400000_NS6detail17trampoline_kernelINS0_14default_configENS1_25partition_config_selectorILNS1_17partition_subalgoE9EllbEEZZNS1_14partition_implILS5_9ELb0ES3_jPlS8_PNS0_10empty_typeENS0_5tupleIJS8_S9_EEENSB_IJS8_SA_EEENS0_18inequality_wrapperIZN2at6native12_GLOBAL__N_124unique_dim_cuda_templateIlEESt5tupleIJNSF_6TensorESK_SK_EERKSK_lbbbEUlllE0_EEPmJS9_EEE10hipError_tPvRmT3_T4_T5_T6_T7_T9_mT8_P12ihipStream_tbDpT10_ENKUlT_T0_E_clISt17integral_constantIbLb0EES19_IbLb1EEEEDaS15_S16_EUlS15_E_NS1_11comp_targetILNS1_3genE4ELNS1_11target_archE910ELNS1_3gpuE8ELNS1_3repE0EEENS1_30default_config_static_selectorELNS0_4arch9wavefront6targetE0EEEvT1_.uses_vcc, 0
	.set _ZN7rocprim17ROCPRIM_400000_NS6detail17trampoline_kernelINS0_14default_configENS1_25partition_config_selectorILNS1_17partition_subalgoE9EllbEEZZNS1_14partition_implILS5_9ELb0ES3_jPlS8_PNS0_10empty_typeENS0_5tupleIJS8_S9_EEENSB_IJS8_SA_EEENS0_18inequality_wrapperIZN2at6native12_GLOBAL__N_124unique_dim_cuda_templateIlEESt5tupleIJNSF_6TensorESK_SK_EERKSK_lbbbEUlllE0_EEPmJS9_EEE10hipError_tPvRmT3_T4_T5_T6_T7_T9_mT8_P12ihipStream_tbDpT10_ENKUlT_T0_E_clISt17integral_constantIbLb0EES19_IbLb1EEEEDaS15_S16_EUlS15_E_NS1_11comp_targetILNS1_3genE4ELNS1_11target_archE910ELNS1_3gpuE8ELNS1_3repE0EEENS1_30default_config_static_selectorELNS0_4arch9wavefront6targetE0EEEvT1_.uses_flat_scratch, 0
	.set _ZN7rocprim17ROCPRIM_400000_NS6detail17trampoline_kernelINS0_14default_configENS1_25partition_config_selectorILNS1_17partition_subalgoE9EllbEEZZNS1_14partition_implILS5_9ELb0ES3_jPlS8_PNS0_10empty_typeENS0_5tupleIJS8_S9_EEENSB_IJS8_SA_EEENS0_18inequality_wrapperIZN2at6native12_GLOBAL__N_124unique_dim_cuda_templateIlEESt5tupleIJNSF_6TensorESK_SK_EERKSK_lbbbEUlllE0_EEPmJS9_EEE10hipError_tPvRmT3_T4_T5_T6_T7_T9_mT8_P12ihipStream_tbDpT10_ENKUlT_T0_E_clISt17integral_constantIbLb0EES19_IbLb1EEEEDaS15_S16_EUlS15_E_NS1_11comp_targetILNS1_3genE4ELNS1_11target_archE910ELNS1_3gpuE8ELNS1_3repE0EEENS1_30default_config_static_selectorELNS0_4arch9wavefront6targetE0EEEvT1_.has_dyn_sized_stack, 0
	.set _ZN7rocprim17ROCPRIM_400000_NS6detail17trampoline_kernelINS0_14default_configENS1_25partition_config_selectorILNS1_17partition_subalgoE9EllbEEZZNS1_14partition_implILS5_9ELb0ES3_jPlS8_PNS0_10empty_typeENS0_5tupleIJS8_S9_EEENSB_IJS8_SA_EEENS0_18inequality_wrapperIZN2at6native12_GLOBAL__N_124unique_dim_cuda_templateIlEESt5tupleIJNSF_6TensorESK_SK_EERKSK_lbbbEUlllE0_EEPmJS9_EEE10hipError_tPvRmT3_T4_T5_T6_T7_T9_mT8_P12ihipStream_tbDpT10_ENKUlT_T0_E_clISt17integral_constantIbLb0EES19_IbLb1EEEEDaS15_S16_EUlS15_E_NS1_11comp_targetILNS1_3genE4ELNS1_11target_archE910ELNS1_3gpuE8ELNS1_3repE0EEENS1_30default_config_static_selectorELNS0_4arch9wavefront6targetE0EEEvT1_.has_recursion, 0
	.set _ZN7rocprim17ROCPRIM_400000_NS6detail17trampoline_kernelINS0_14default_configENS1_25partition_config_selectorILNS1_17partition_subalgoE9EllbEEZZNS1_14partition_implILS5_9ELb0ES3_jPlS8_PNS0_10empty_typeENS0_5tupleIJS8_S9_EEENSB_IJS8_SA_EEENS0_18inequality_wrapperIZN2at6native12_GLOBAL__N_124unique_dim_cuda_templateIlEESt5tupleIJNSF_6TensorESK_SK_EERKSK_lbbbEUlllE0_EEPmJS9_EEE10hipError_tPvRmT3_T4_T5_T6_T7_T9_mT8_P12ihipStream_tbDpT10_ENKUlT_T0_E_clISt17integral_constantIbLb0EES19_IbLb1EEEEDaS15_S16_EUlS15_E_NS1_11comp_targetILNS1_3genE4ELNS1_11target_archE910ELNS1_3gpuE8ELNS1_3repE0EEENS1_30default_config_static_selectorELNS0_4arch9wavefront6targetE0EEEvT1_.has_indirect_call, 0
	.section	.AMDGPU.csdata,"",@progbits
; Kernel info:
; codeLenInByte = 0
; TotalNumSgprs: 0
; NumVgprs: 0
; ScratchSize: 0
; MemoryBound: 0
; FloatMode: 240
; IeeeMode: 1
; LDSByteSize: 0 bytes/workgroup (compile time only)
; SGPRBlocks: 0
; VGPRBlocks: 0
; NumSGPRsForWavesPerEU: 1
; NumVGPRsForWavesPerEU: 1
; NamedBarCnt: 0
; Occupancy: 16
; WaveLimiterHint : 0
; COMPUTE_PGM_RSRC2:SCRATCH_EN: 0
; COMPUTE_PGM_RSRC2:USER_SGPR: 2
; COMPUTE_PGM_RSRC2:TRAP_HANDLER: 0
; COMPUTE_PGM_RSRC2:TGID_X_EN: 1
; COMPUTE_PGM_RSRC2:TGID_Y_EN: 0
; COMPUTE_PGM_RSRC2:TGID_Z_EN: 0
; COMPUTE_PGM_RSRC2:TIDIG_COMP_CNT: 0
	.section	.text._ZN7rocprim17ROCPRIM_400000_NS6detail17trampoline_kernelINS0_14default_configENS1_25partition_config_selectorILNS1_17partition_subalgoE9EllbEEZZNS1_14partition_implILS5_9ELb0ES3_jPlS8_PNS0_10empty_typeENS0_5tupleIJS8_S9_EEENSB_IJS8_SA_EEENS0_18inequality_wrapperIZN2at6native12_GLOBAL__N_124unique_dim_cuda_templateIlEESt5tupleIJNSF_6TensorESK_SK_EERKSK_lbbbEUlllE0_EEPmJS9_EEE10hipError_tPvRmT3_T4_T5_T6_T7_T9_mT8_P12ihipStream_tbDpT10_ENKUlT_T0_E_clISt17integral_constantIbLb0EES19_IbLb1EEEEDaS15_S16_EUlS15_E_NS1_11comp_targetILNS1_3genE3ELNS1_11target_archE908ELNS1_3gpuE7ELNS1_3repE0EEENS1_30default_config_static_selectorELNS0_4arch9wavefront6targetE0EEEvT1_,"axG",@progbits,_ZN7rocprim17ROCPRIM_400000_NS6detail17trampoline_kernelINS0_14default_configENS1_25partition_config_selectorILNS1_17partition_subalgoE9EllbEEZZNS1_14partition_implILS5_9ELb0ES3_jPlS8_PNS0_10empty_typeENS0_5tupleIJS8_S9_EEENSB_IJS8_SA_EEENS0_18inequality_wrapperIZN2at6native12_GLOBAL__N_124unique_dim_cuda_templateIlEESt5tupleIJNSF_6TensorESK_SK_EERKSK_lbbbEUlllE0_EEPmJS9_EEE10hipError_tPvRmT3_T4_T5_T6_T7_T9_mT8_P12ihipStream_tbDpT10_ENKUlT_T0_E_clISt17integral_constantIbLb0EES19_IbLb1EEEEDaS15_S16_EUlS15_E_NS1_11comp_targetILNS1_3genE3ELNS1_11target_archE908ELNS1_3gpuE7ELNS1_3repE0EEENS1_30default_config_static_selectorELNS0_4arch9wavefront6targetE0EEEvT1_,comdat
	.globl	_ZN7rocprim17ROCPRIM_400000_NS6detail17trampoline_kernelINS0_14default_configENS1_25partition_config_selectorILNS1_17partition_subalgoE9EllbEEZZNS1_14partition_implILS5_9ELb0ES3_jPlS8_PNS0_10empty_typeENS0_5tupleIJS8_S9_EEENSB_IJS8_SA_EEENS0_18inequality_wrapperIZN2at6native12_GLOBAL__N_124unique_dim_cuda_templateIlEESt5tupleIJNSF_6TensorESK_SK_EERKSK_lbbbEUlllE0_EEPmJS9_EEE10hipError_tPvRmT3_T4_T5_T6_T7_T9_mT8_P12ihipStream_tbDpT10_ENKUlT_T0_E_clISt17integral_constantIbLb0EES19_IbLb1EEEEDaS15_S16_EUlS15_E_NS1_11comp_targetILNS1_3genE3ELNS1_11target_archE908ELNS1_3gpuE7ELNS1_3repE0EEENS1_30default_config_static_selectorELNS0_4arch9wavefront6targetE0EEEvT1_ ; -- Begin function _ZN7rocprim17ROCPRIM_400000_NS6detail17trampoline_kernelINS0_14default_configENS1_25partition_config_selectorILNS1_17partition_subalgoE9EllbEEZZNS1_14partition_implILS5_9ELb0ES3_jPlS8_PNS0_10empty_typeENS0_5tupleIJS8_S9_EEENSB_IJS8_SA_EEENS0_18inequality_wrapperIZN2at6native12_GLOBAL__N_124unique_dim_cuda_templateIlEESt5tupleIJNSF_6TensorESK_SK_EERKSK_lbbbEUlllE0_EEPmJS9_EEE10hipError_tPvRmT3_T4_T5_T6_T7_T9_mT8_P12ihipStream_tbDpT10_ENKUlT_T0_E_clISt17integral_constantIbLb0EES19_IbLb1EEEEDaS15_S16_EUlS15_E_NS1_11comp_targetILNS1_3genE3ELNS1_11target_archE908ELNS1_3gpuE7ELNS1_3repE0EEENS1_30default_config_static_selectorELNS0_4arch9wavefront6targetE0EEEvT1_
	.p2align	8
	.type	_ZN7rocprim17ROCPRIM_400000_NS6detail17trampoline_kernelINS0_14default_configENS1_25partition_config_selectorILNS1_17partition_subalgoE9EllbEEZZNS1_14partition_implILS5_9ELb0ES3_jPlS8_PNS0_10empty_typeENS0_5tupleIJS8_S9_EEENSB_IJS8_SA_EEENS0_18inequality_wrapperIZN2at6native12_GLOBAL__N_124unique_dim_cuda_templateIlEESt5tupleIJNSF_6TensorESK_SK_EERKSK_lbbbEUlllE0_EEPmJS9_EEE10hipError_tPvRmT3_T4_T5_T6_T7_T9_mT8_P12ihipStream_tbDpT10_ENKUlT_T0_E_clISt17integral_constantIbLb0EES19_IbLb1EEEEDaS15_S16_EUlS15_E_NS1_11comp_targetILNS1_3genE3ELNS1_11target_archE908ELNS1_3gpuE7ELNS1_3repE0EEENS1_30default_config_static_selectorELNS0_4arch9wavefront6targetE0EEEvT1_,@function
_ZN7rocprim17ROCPRIM_400000_NS6detail17trampoline_kernelINS0_14default_configENS1_25partition_config_selectorILNS1_17partition_subalgoE9EllbEEZZNS1_14partition_implILS5_9ELb0ES3_jPlS8_PNS0_10empty_typeENS0_5tupleIJS8_S9_EEENSB_IJS8_SA_EEENS0_18inequality_wrapperIZN2at6native12_GLOBAL__N_124unique_dim_cuda_templateIlEESt5tupleIJNSF_6TensorESK_SK_EERKSK_lbbbEUlllE0_EEPmJS9_EEE10hipError_tPvRmT3_T4_T5_T6_T7_T9_mT8_P12ihipStream_tbDpT10_ENKUlT_T0_E_clISt17integral_constantIbLb0EES19_IbLb1EEEEDaS15_S16_EUlS15_E_NS1_11comp_targetILNS1_3genE3ELNS1_11target_archE908ELNS1_3gpuE7ELNS1_3repE0EEENS1_30default_config_static_selectorELNS0_4arch9wavefront6targetE0EEEvT1_: ; @_ZN7rocprim17ROCPRIM_400000_NS6detail17trampoline_kernelINS0_14default_configENS1_25partition_config_selectorILNS1_17partition_subalgoE9EllbEEZZNS1_14partition_implILS5_9ELb0ES3_jPlS8_PNS0_10empty_typeENS0_5tupleIJS8_S9_EEENSB_IJS8_SA_EEENS0_18inequality_wrapperIZN2at6native12_GLOBAL__N_124unique_dim_cuda_templateIlEESt5tupleIJNSF_6TensorESK_SK_EERKSK_lbbbEUlllE0_EEPmJS9_EEE10hipError_tPvRmT3_T4_T5_T6_T7_T9_mT8_P12ihipStream_tbDpT10_ENKUlT_T0_E_clISt17integral_constantIbLb0EES19_IbLb1EEEEDaS15_S16_EUlS15_E_NS1_11comp_targetILNS1_3genE3ELNS1_11target_archE908ELNS1_3gpuE7ELNS1_3repE0EEENS1_30default_config_static_selectorELNS0_4arch9wavefront6targetE0EEEvT1_
; %bb.0:
	.section	.rodata,"a",@progbits
	.p2align	6, 0x0
	.amdhsa_kernel _ZN7rocprim17ROCPRIM_400000_NS6detail17trampoline_kernelINS0_14default_configENS1_25partition_config_selectorILNS1_17partition_subalgoE9EllbEEZZNS1_14partition_implILS5_9ELb0ES3_jPlS8_PNS0_10empty_typeENS0_5tupleIJS8_S9_EEENSB_IJS8_SA_EEENS0_18inequality_wrapperIZN2at6native12_GLOBAL__N_124unique_dim_cuda_templateIlEESt5tupleIJNSF_6TensorESK_SK_EERKSK_lbbbEUlllE0_EEPmJS9_EEE10hipError_tPvRmT3_T4_T5_T6_T7_T9_mT8_P12ihipStream_tbDpT10_ENKUlT_T0_E_clISt17integral_constantIbLb0EES19_IbLb1EEEEDaS15_S16_EUlS15_E_NS1_11comp_targetILNS1_3genE3ELNS1_11target_archE908ELNS1_3gpuE7ELNS1_3repE0EEENS1_30default_config_static_selectorELNS0_4arch9wavefront6targetE0EEEvT1_
		.amdhsa_group_segment_fixed_size 0
		.amdhsa_private_segment_fixed_size 0
		.amdhsa_kernarg_size 136
		.amdhsa_user_sgpr_count 2
		.amdhsa_user_sgpr_dispatch_ptr 0
		.amdhsa_user_sgpr_queue_ptr 0
		.amdhsa_user_sgpr_kernarg_segment_ptr 1
		.amdhsa_user_sgpr_dispatch_id 0
		.amdhsa_user_sgpr_kernarg_preload_length 0
		.amdhsa_user_sgpr_kernarg_preload_offset 0
		.amdhsa_user_sgpr_private_segment_size 0
		.amdhsa_wavefront_size32 1
		.amdhsa_uses_dynamic_stack 0
		.amdhsa_enable_private_segment 0
		.amdhsa_system_sgpr_workgroup_id_x 1
		.amdhsa_system_sgpr_workgroup_id_y 0
		.amdhsa_system_sgpr_workgroup_id_z 0
		.amdhsa_system_sgpr_workgroup_info 0
		.amdhsa_system_vgpr_workitem_id 0
		.amdhsa_next_free_vgpr 1
		.amdhsa_next_free_sgpr 1
		.amdhsa_named_barrier_count 0
		.amdhsa_reserve_vcc 0
		.amdhsa_float_round_mode_32 0
		.amdhsa_float_round_mode_16_64 0
		.amdhsa_float_denorm_mode_32 3
		.amdhsa_float_denorm_mode_16_64 3
		.amdhsa_fp16_overflow 0
		.amdhsa_memory_ordered 1
		.amdhsa_forward_progress 1
		.amdhsa_inst_pref_size 0
		.amdhsa_round_robin_scheduling 0
		.amdhsa_exception_fp_ieee_invalid_op 0
		.amdhsa_exception_fp_denorm_src 0
		.amdhsa_exception_fp_ieee_div_zero 0
		.amdhsa_exception_fp_ieee_overflow 0
		.amdhsa_exception_fp_ieee_underflow 0
		.amdhsa_exception_fp_ieee_inexact 0
		.amdhsa_exception_int_div_zero 0
	.end_amdhsa_kernel
	.section	.text._ZN7rocprim17ROCPRIM_400000_NS6detail17trampoline_kernelINS0_14default_configENS1_25partition_config_selectorILNS1_17partition_subalgoE9EllbEEZZNS1_14partition_implILS5_9ELb0ES3_jPlS8_PNS0_10empty_typeENS0_5tupleIJS8_S9_EEENSB_IJS8_SA_EEENS0_18inequality_wrapperIZN2at6native12_GLOBAL__N_124unique_dim_cuda_templateIlEESt5tupleIJNSF_6TensorESK_SK_EERKSK_lbbbEUlllE0_EEPmJS9_EEE10hipError_tPvRmT3_T4_T5_T6_T7_T9_mT8_P12ihipStream_tbDpT10_ENKUlT_T0_E_clISt17integral_constantIbLb0EES19_IbLb1EEEEDaS15_S16_EUlS15_E_NS1_11comp_targetILNS1_3genE3ELNS1_11target_archE908ELNS1_3gpuE7ELNS1_3repE0EEENS1_30default_config_static_selectorELNS0_4arch9wavefront6targetE0EEEvT1_,"axG",@progbits,_ZN7rocprim17ROCPRIM_400000_NS6detail17trampoline_kernelINS0_14default_configENS1_25partition_config_selectorILNS1_17partition_subalgoE9EllbEEZZNS1_14partition_implILS5_9ELb0ES3_jPlS8_PNS0_10empty_typeENS0_5tupleIJS8_S9_EEENSB_IJS8_SA_EEENS0_18inequality_wrapperIZN2at6native12_GLOBAL__N_124unique_dim_cuda_templateIlEESt5tupleIJNSF_6TensorESK_SK_EERKSK_lbbbEUlllE0_EEPmJS9_EEE10hipError_tPvRmT3_T4_T5_T6_T7_T9_mT8_P12ihipStream_tbDpT10_ENKUlT_T0_E_clISt17integral_constantIbLb0EES19_IbLb1EEEEDaS15_S16_EUlS15_E_NS1_11comp_targetILNS1_3genE3ELNS1_11target_archE908ELNS1_3gpuE7ELNS1_3repE0EEENS1_30default_config_static_selectorELNS0_4arch9wavefront6targetE0EEEvT1_,comdat
.Lfunc_end622:
	.size	_ZN7rocprim17ROCPRIM_400000_NS6detail17trampoline_kernelINS0_14default_configENS1_25partition_config_selectorILNS1_17partition_subalgoE9EllbEEZZNS1_14partition_implILS5_9ELb0ES3_jPlS8_PNS0_10empty_typeENS0_5tupleIJS8_S9_EEENSB_IJS8_SA_EEENS0_18inequality_wrapperIZN2at6native12_GLOBAL__N_124unique_dim_cuda_templateIlEESt5tupleIJNSF_6TensorESK_SK_EERKSK_lbbbEUlllE0_EEPmJS9_EEE10hipError_tPvRmT3_T4_T5_T6_T7_T9_mT8_P12ihipStream_tbDpT10_ENKUlT_T0_E_clISt17integral_constantIbLb0EES19_IbLb1EEEEDaS15_S16_EUlS15_E_NS1_11comp_targetILNS1_3genE3ELNS1_11target_archE908ELNS1_3gpuE7ELNS1_3repE0EEENS1_30default_config_static_selectorELNS0_4arch9wavefront6targetE0EEEvT1_, .Lfunc_end622-_ZN7rocprim17ROCPRIM_400000_NS6detail17trampoline_kernelINS0_14default_configENS1_25partition_config_selectorILNS1_17partition_subalgoE9EllbEEZZNS1_14partition_implILS5_9ELb0ES3_jPlS8_PNS0_10empty_typeENS0_5tupleIJS8_S9_EEENSB_IJS8_SA_EEENS0_18inequality_wrapperIZN2at6native12_GLOBAL__N_124unique_dim_cuda_templateIlEESt5tupleIJNSF_6TensorESK_SK_EERKSK_lbbbEUlllE0_EEPmJS9_EEE10hipError_tPvRmT3_T4_T5_T6_T7_T9_mT8_P12ihipStream_tbDpT10_ENKUlT_T0_E_clISt17integral_constantIbLb0EES19_IbLb1EEEEDaS15_S16_EUlS15_E_NS1_11comp_targetILNS1_3genE3ELNS1_11target_archE908ELNS1_3gpuE7ELNS1_3repE0EEENS1_30default_config_static_selectorELNS0_4arch9wavefront6targetE0EEEvT1_
                                        ; -- End function
	.set _ZN7rocprim17ROCPRIM_400000_NS6detail17trampoline_kernelINS0_14default_configENS1_25partition_config_selectorILNS1_17partition_subalgoE9EllbEEZZNS1_14partition_implILS5_9ELb0ES3_jPlS8_PNS0_10empty_typeENS0_5tupleIJS8_S9_EEENSB_IJS8_SA_EEENS0_18inequality_wrapperIZN2at6native12_GLOBAL__N_124unique_dim_cuda_templateIlEESt5tupleIJNSF_6TensorESK_SK_EERKSK_lbbbEUlllE0_EEPmJS9_EEE10hipError_tPvRmT3_T4_T5_T6_T7_T9_mT8_P12ihipStream_tbDpT10_ENKUlT_T0_E_clISt17integral_constantIbLb0EES19_IbLb1EEEEDaS15_S16_EUlS15_E_NS1_11comp_targetILNS1_3genE3ELNS1_11target_archE908ELNS1_3gpuE7ELNS1_3repE0EEENS1_30default_config_static_selectorELNS0_4arch9wavefront6targetE0EEEvT1_.num_vgpr, 0
	.set _ZN7rocprim17ROCPRIM_400000_NS6detail17trampoline_kernelINS0_14default_configENS1_25partition_config_selectorILNS1_17partition_subalgoE9EllbEEZZNS1_14partition_implILS5_9ELb0ES3_jPlS8_PNS0_10empty_typeENS0_5tupleIJS8_S9_EEENSB_IJS8_SA_EEENS0_18inequality_wrapperIZN2at6native12_GLOBAL__N_124unique_dim_cuda_templateIlEESt5tupleIJNSF_6TensorESK_SK_EERKSK_lbbbEUlllE0_EEPmJS9_EEE10hipError_tPvRmT3_T4_T5_T6_T7_T9_mT8_P12ihipStream_tbDpT10_ENKUlT_T0_E_clISt17integral_constantIbLb0EES19_IbLb1EEEEDaS15_S16_EUlS15_E_NS1_11comp_targetILNS1_3genE3ELNS1_11target_archE908ELNS1_3gpuE7ELNS1_3repE0EEENS1_30default_config_static_selectorELNS0_4arch9wavefront6targetE0EEEvT1_.num_agpr, 0
	.set _ZN7rocprim17ROCPRIM_400000_NS6detail17trampoline_kernelINS0_14default_configENS1_25partition_config_selectorILNS1_17partition_subalgoE9EllbEEZZNS1_14partition_implILS5_9ELb0ES3_jPlS8_PNS0_10empty_typeENS0_5tupleIJS8_S9_EEENSB_IJS8_SA_EEENS0_18inequality_wrapperIZN2at6native12_GLOBAL__N_124unique_dim_cuda_templateIlEESt5tupleIJNSF_6TensorESK_SK_EERKSK_lbbbEUlllE0_EEPmJS9_EEE10hipError_tPvRmT3_T4_T5_T6_T7_T9_mT8_P12ihipStream_tbDpT10_ENKUlT_T0_E_clISt17integral_constantIbLb0EES19_IbLb1EEEEDaS15_S16_EUlS15_E_NS1_11comp_targetILNS1_3genE3ELNS1_11target_archE908ELNS1_3gpuE7ELNS1_3repE0EEENS1_30default_config_static_selectorELNS0_4arch9wavefront6targetE0EEEvT1_.numbered_sgpr, 0
	.set _ZN7rocprim17ROCPRIM_400000_NS6detail17trampoline_kernelINS0_14default_configENS1_25partition_config_selectorILNS1_17partition_subalgoE9EllbEEZZNS1_14partition_implILS5_9ELb0ES3_jPlS8_PNS0_10empty_typeENS0_5tupleIJS8_S9_EEENSB_IJS8_SA_EEENS0_18inequality_wrapperIZN2at6native12_GLOBAL__N_124unique_dim_cuda_templateIlEESt5tupleIJNSF_6TensorESK_SK_EERKSK_lbbbEUlllE0_EEPmJS9_EEE10hipError_tPvRmT3_T4_T5_T6_T7_T9_mT8_P12ihipStream_tbDpT10_ENKUlT_T0_E_clISt17integral_constantIbLb0EES19_IbLb1EEEEDaS15_S16_EUlS15_E_NS1_11comp_targetILNS1_3genE3ELNS1_11target_archE908ELNS1_3gpuE7ELNS1_3repE0EEENS1_30default_config_static_selectorELNS0_4arch9wavefront6targetE0EEEvT1_.num_named_barrier, 0
	.set _ZN7rocprim17ROCPRIM_400000_NS6detail17trampoline_kernelINS0_14default_configENS1_25partition_config_selectorILNS1_17partition_subalgoE9EllbEEZZNS1_14partition_implILS5_9ELb0ES3_jPlS8_PNS0_10empty_typeENS0_5tupleIJS8_S9_EEENSB_IJS8_SA_EEENS0_18inequality_wrapperIZN2at6native12_GLOBAL__N_124unique_dim_cuda_templateIlEESt5tupleIJNSF_6TensorESK_SK_EERKSK_lbbbEUlllE0_EEPmJS9_EEE10hipError_tPvRmT3_T4_T5_T6_T7_T9_mT8_P12ihipStream_tbDpT10_ENKUlT_T0_E_clISt17integral_constantIbLb0EES19_IbLb1EEEEDaS15_S16_EUlS15_E_NS1_11comp_targetILNS1_3genE3ELNS1_11target_archE908ELNS1_3gpuE7ELNS1_3repE0EEENS1_30default_config_static_selectorELNS0_4arch9wavefront6targetE0EEEvT1_.private_seg_size, 0
	.set _ZN7rocprim17ROCPRIM_400000_NS6detail17trampoline_kernelINS0_14default_configENS1_25partition_config_selectorILNS1_17partition_subalgoE9EllbEEZZNS1_14partition_implILS5_9ELb0ES3_jPlS8_PNS0_10empty_typeENS0_5tupleIJS8_S9_EEENSB_IJS8_SA_EEENS0_18inequality_wrapperIZN2at6native12_GLOBAL__N_124unique_dim_cuda_templateIlEESt5tupleIJNSF_6TensorESK_SK_EERKSK_lbbbEUlllE0_EEPmJS9_EEE10hipError_tPvRmT3_T4_T5_T6_T7_T9_mT8_P12ihipStream_tbDpT10_ENKUlT_T0_E_clISt17integral_constantIbLb0EES19_IbLb1EEEEDaS15_S16_EUlS15_E_NS1_11comp_targetILNS1_3genE3ELNS1_11target_archE908ELNS1_3gpuE7ELNS1_3repE0EEENS1_30default_config_static_selectorELNS0_4arch9wavefront6targetE0EEEvT1_.uses_vcc, 0
	.set _ZN7rocprim17ROCPRIM_400000_NS6detail17trampoline_kernelINS0_14default_configENS1_25partition_config_selectorILNS1_17partition_subalgoE9EllbEEZZNS1_14partition_implILS5_9ELb0ES3_jPlS8_PNS0_10empty_typeENS0_5tupleIJS8_S9_EEENSB_IJS8_SA_EEENS0_18inequality_wrapperIZN2at6native12_GLOBAL__N_124unique_dim_cuda_templateIlEESt5tupleIJNSF_6TensorESK_SK_EERKSK_lbbbEUlllE0_EEPmJS9_EEE10hipError_tPvRmT3_T4_T5_T6_T7_T9_mT8_P12ihipStream_tbDpT10_ENKUlT_T0_E_clISt17integral_constantIbLb0EES19_IbLb1EEEEDaS15_S16_EUlS15_E_NS1_11comp_targetILNS1_3genE3ELNS1_11target_archE908ELNS1_3gpuE7ELNS1_3repE0EEENS1_30default_config_static_selectorELNS0_4arch9wavefront6targetE0EEEvT1_.uses_flat_scratch, 0
	.set _ZN7rocprim17ROCPRIM_400000_NS6detail17trampoline_kernelINS0_14default_configENS1_25partition_config_selectorILNS1_17partition_subalgoE9EllbEEZZNS1_14partition_implILS5_9ELb0ES3_jPlS8_PNS0_10empty_typeENS0_5tupleIJS8_S9_EEENSB_IJS8_SA_EEENS0_18inequality_wrapperIZN2at6native12_GLOBAL__N_124unique_dim_cuda_templateIlEESt5tupleIJNSF_6TensorESK_SK_EERKSK_lbbbEUlllE0_EEPmJS9_EEE10hipError_tPvRmT3_T4_T5_T6_T7_T9_mT8_P12ihipStream_tbDpT10_ENKUlT_T0_E_clISt17integral_constantIbLb0EES19_IbLb1EEEEDaS15_S16_EUlS15_E_NS1_11comp_targetILNS1_3genE3ELNS1_11target_archE908ELNS1_3gpuE7ELNS1_3repE0EEENS1_30default_config_static_selectorELNS0_4arch9wavefront6targetE0EEEvT1_.has_dyn_sized_stack, 0
	.set _ZN7rocprim17ROCPRIM_400000_NS6detail17trampoline_kernelINS0_14default_configENS1_25partition_config_selectorILNS1_17partition_subalgoE9EllbEEZZNS1_14partition_implILS5_9ELb0ES3_jPlS8_PNS0_10empty_typeENS0_5tupleIJS8_S9_EEENSB_IJS8_SA_EEENS0_18inequality_wrapperIZN2at6native12_GLOBAL__N_124unique_dim_cuda_templateIlEESt5tupleIJNSF_6TensorESK_SK_EERKSK_lbbbEUlllE0_EEPmJS9_EEE10hipError_tPvRmT3_T4_T5_T6_T7_T9_mT8_P12ihipStream_tbDpT10_ENKUlT_T0_E_clISt17integral_constantIbLb0EES19_IbLb1EEEEDaS15_S16_EUlS15_E_NS1_11comp_targetILNS1_3genE3ELNS1_11target_archE908ELNS1_3gpuE7ELNS1_3repE0EEENS1_30default_config_static_selectorELNS0_4arch9wavefront6targetE0EEEvT1_.has_recursion, 0
	.set _ZN7rocprim17ROCPRIM_400000_NS6detail17trampoline_kernelINS0_14default_configENS1_25partition_config_selectorILNS1_17partition_subalgoE9EllbEEZZNS1_14partition_implILS5_9ELb0ES3_jPlS8_PNS0_10empty_typeENS0_5tupleIJS8_S9_EEENSB_IJS8_SA_EEENS0_18inequality_wrapperIZN2at6native12_GLOBAL__N_124unique_dim_cuda_templateIlEESt5tupleIJNSF_6TensorESK_SK_EERKSK_lbbbEUlllE0_EEPmJS9_EEE10hipError_tPvRmT3_T4_T5_T6_T7_T9_mT8_P12ihipStream_tbDpT10_ENKUlT_T0_E_clISt17integral_constantIbLb0EES19_IbLb1EEEEDaS15_S16_EUlS15_E_NS1_11comp_targetILNS1_3genE3ELNS1_11target_archE908ELNS1_3gpuE7ELNS1_3repE0EEENS1_30default_config_static_selectorELNS0_4arch9wavefront6targetE0EEEvT1_.has_indirect_call, 0
	.section	.AMDGPU.csdata,"",@progbits
; Kernel info:
; codeLenInByte = 0
; TotalNumSgprs: 0
; NumVgprs: 0
; ScratchSize: 0
; MemoryBound: 0
; FloatMode: 240
; IeeeMode: 1
; LDSByteSize: 0 bytes/workgroup (compile time only)
; SGPRBlocks: 0
; VGPRBlocks: 0
; NumSGPRsForWavesPerEU: 1
; NumVGPRsForWavesPerEU: 1
; NamedBarCnt: 0
; Occupancy: 16
; WaveLimiterHint : 0
; COMPUTE_PGM_RSRC2:SCRATCH_EN: 0
; COMPUTE_PGM_RSRC2:USER_SGPR: 2
; COMPUTE_PGM_RSRC2:TRAP_HANDLER: 0
; COMPUTE_PGM_RSRC2:TGID_X_EN: 1
; COMPUTE_PGM_RSRC2:TGID_Y_EN: 0
; COMPUTE_PGM_RSRC2:TGID_Z_EN: 0
; COMPUTE_PGM_RSRC2:TIDIG_COMP_CNT: 0
	.section	.text._ZN7rocprim17ROCPRIM_400000_NS6detail17trampoline_kernelINS0_14default_configENS1_25partition_config_selectorILNS1_17partition_subalgoE9EllbEEZZNS1_14partition_implILS5_9ELb0ES3_jPlS8_PNS0_10empty_typeENS0_5tupleIJS8_S9_EEENSB_IJS8_SA_EEENS0_18inequality_wrapperIZN2at6native12_GLOBAL__N_124unique_dim_cuda_templateIlEESt5tupleIJNSF_6TensorESK_SK_EERKSK_lbbbEUlllE0_EEPmJS9_EEE10hipError_tPvRmT3_T4_T5_T6_T7_T9_mT8_P12ihipStream_tbDpT10_ENKUlT_T0_E_clISt17integral_constantIbLb0EES19_IbLb1EEEEDaS15_S16_EUlS15_E_NS1_11comp_targetILNS1_3genE2ELNS1_11target_archE906ELNS1_3gpuE6ELNS1_3repE0EEENS1_30default_config_static_selectorELNS0_4arch9wavefront6targetE0EEEvT1_,"axG",@progbits,_ZN7rocprim17ROCPRIM_400000_NS6detail17trampoline_kernelINS0_14default_configENS1_25partition_config_selectorILNS1_17partition_subalgoE9EllbEEZZNS1_14partition_implILS5_9ELb0ES3_jPlS8_PNS0_10empty_typeENS0_5tupleIJS8_S9_EEENSB_IJS8_SA_EEENS0_18inequality_wrapperIZN2at6native12_GLOBAL__N_124unique_dim_cuda_templateIlEESt5tupleIJNSF_6TensorESK_SK_EERKSK_lbbbEUlllE0_EEPmJS9_EEE10hipError_tPvRmT3_T4_T5_T6_T7_T9_mT8_P12ihipStream_tbDpT10_ENKUlT_T0_E_clISt17integral_constantIbLb0EES19_IbLb1EEEEDaS15_S16_EUlS15_E_NS1_11comp_targetILNS1_3genE2ELNS1_11target_archE906ELNS1_3gpuE6ELNS1_3repE0EEENS1_30default_config_static_selectorELNS0_4arch9wavefront6targetE0EEEvT1_,comdat
	.globl	_ZN7rocprim17ROCPRIM_400000_NS6detail17trampoline_kernelINS0_14default_configENS1_25partition_config_selectorILNS1_17partition_subalgoE9EllbEEZZNS1_14partition_implILS5_9ELb0ES3_jPlS8_PNS0_10empty_typeENS0_5tupleIJS8_S9_EEENSB_IJS8_SA_EEENS0_18inequality_wrapperIZN2at6native12_GLOBAL__N_124unique_dim_cuda_templateIlEESt5tupleIJNSF_6TensorESK_SK_EERKSK_lbbbEUlllE0_EEPmJS9_EEE10hipError_tPvRmT3_T4_T5_T6_T7_T9_mT8_P12ihipStream_tbDpT10_ENKUlT_T0_E_clISt17integral_constantIbLb0EES19_IbLb1EEEEDaS15_S16_EUlS15_E_NS1_11comp_targetILNS1_3genE2ELNS1_11target_archE906ELNS1_3gpuE6ELNS1_3repE0EEENS1_30default_config_static_selectorELNS0_4arch9wavefront6targetE0EEEvT1_ ; -- Begin function _ZN7rocprim17ROCPRIM_400000_NS6detail17trampoline_kernelINS0_14default_configENS1_25partition_config_selectorILNS1_17partition_subalgoE9EllbEEZZNS1_14partition_implILS5_9ELb0ES3_jPlS8_PNS0_10empty_typeENS0_5tupleIJS8_S9_EEENSB_IJS8_SA_EEENS0_18inequality_wrapperIZN2at6native12_GLOBAL__N_124unique_dim_cuda_templateIlEESt5tupleIJNSF_6TensorESK_SK_EERKSK_lbbbEUlllE0_EEPmJS9_EEE10hipError_tPvRmT3_T4_T5_T6_T7_T9_mT8_P12ihipStream_tbDpT10_ENKUlT_T0_E_clISt17integral_constantIbLb0EES19_IbLb1EEEEDaS15_S16_EUlS15_E_NS1_11comp_targetILNS1_3genE2ELNS1_11target_archE906ELNS1_3gpuE6ELNS1_3repE0EEENS1_30default_config_static_selectorELNS0_4arch9wavefront6targetE0EEEvT1_
	.p2align	8
	.type	_ZN7rocprim17ROCPRIM_400000_NS6detail17trampoline_kernelINS0_14default_configENS1_25partition_config_selectorILNS1_17partition_subalgoE9EllbEEZZNS1_14partition_implILS5_9ELb0ES3_jPlS8_PNS0_10empty_typeENS0_5tupleIJS8_S9_EEENSB_IJS8_SA_EEENS0_18inequality_wrapperIZN2at6native12_GLOBAL__N_124unique_dim_cuda_templateIlEESt5tupleIJNSF_6TensorESK_SK_EERKSK_lbbbEUlllE0_EEPmJS9_EEE10hipError_tPvRmT3_T4_T5_T6_T7_T9_mT8_P12ihipStream_tbDpT10_ENKUlT_T0_E_clISt17integral_constantIbLb0EES19_IbLb1EEEEDaS15_S16_EUlS15_E_NS1_11comp_targetILNS1_3genE2ELNS1_11target_archE906ELNS1_3gpuE6ELNS1_3repE0EEENS1_30default_config_static_selectorELNS0_4arch9wavefront6targetE0EEEvT1_,@function
_ZN7rocprim17ROCPRIM_400000_NS6detail17trampoline_kernelINS0_14default_configENS1_25partition_config_selectorILNS1_17partition_subalgoE9EllbEEZZNS1_14partition_implILS5_9ELb0ES3_jPlS8_PNS0_10empty_typeENS0_5tupleIJS8_S9_EEENSB_IJS8_SA_EEENS0_18inequality_wrapperIZN2at6native12_GLOBAL__N_124unique_dim_cuda_templateIlEESt5tupleIJNSF_6TensorESK_SK_EERKSK_lbbbEUlllE0_EEPmJS9_EEE10hipError_tPvRmT3_T4_T5_T6_T7_T9_mT8_P12ihipStream_tbDpT10_ENKUlT_T0_E_clISt17integral_constantIbLb0EES19_IbLb1EEEEDaS15_S16_EUlS15_E_NS1_11comp_targetILNS1_3genE2ELNS1_11target_archE906ELNS1_3gpuE6ELNS1_3repE0EEENS1_30default_config_static_selectorELNS0_4arch9wavefront6targetE0EEEvT1_: ; @_ZN7rocprim17ROCPRIM_400000_NS6detail17trampoline_kernelINS0_14default_configENS1_25partition_config_selectorILNS1_17partition_subalgoE9EllbEEZZNS1_14partition_implILS5_9ELb0ES3_jPlS8_PNS0_10empty_typeENS0_5tupleIJS8_S9_EEENSB_IJS8_SA_EEENS0_18inequality_wrapperIZN2at6native12_GLOBAL__N_124unique_dim_cuda_templateIlEESt5tupleIJNSF_6TensorESK_SK_EERKSK_lbbbEUlllE0_EEPmJS9_EEE10hipError_tPvRmT3_T4_T5_T6_T7_T9_mT8_P12ihipStream_tbDpT10_ENKUlT_T0_E_clISt17integral_constantIbLb0EES19_IbLb1EEEEDaS15_S16_EUlS15_E_NS1_11comp_targetILNS1_3genE2ELNS1_11target_archE906ELNS1_3gpuE6ELNS1_3repE0EEENS1_30default_config_static_selectorELNS0_4arch9wavefront6targetE0EEEvT1_
; %bb.0:
	.section	.rodata,"a",@progbits
	.p2align	6, 0x0
	.amdhsa_kernel _ZN7rocprim17ROCPRIM_400000_NS6detail17trampoline_kernelINS0_14default_configENS1_25partition_config_selectorILNS1_17partition_subalgoE9EllbEEZZNS1_14partition_implILS5_9ELb0ES3_jPlS8_PNS0_10empty_typeENS0_5tupleIJS8_S9_EEENSB_IJS8_SA_EEENS0_18inequality_wrapperIZN2at6native12_GLOBAL__N_124unique_dim_cuda_templateIlEESt5tupleIJNSF_6TensorESK_SK_EERKSK_lbbbEUlllE0_EEPmJS9_EEE10hipError_tPvRmT3_T4_T5_T6_T7_T9_mT8_P12ihipStream_tbDpT10_ENKUlT_T0_E_clISt17integral_constantIbLb0EES19_IbLb1EEEEDaS15_S16_EUlS15_E_NS1_11comp_targetILNS1_3genE2ELNS1_11target_archE906ELNS1_3gpuE6ELNS1_3repE0EEENS1_30default_config_static_selectorELNS0_4arch9wavefront6targetE0EEEvT1_
		.amdhsa_group_segment_fixed_size 0
		.amdhsa_private_segment_fixed_size 0
		.amdhsa_kernarg_size 136
		.amdhsa_user_sgpr_count 2
		.amdhsa_user_sgpr_dispatch_ptr 0
		.amdhsa_user_sgpr_queue_ptr 0
		.amdhsa_user_sgpr_kernarg_segment_ptr 1
		.amdhsa_user_sgpr_dispatch_id 0
		.amdhsa_user_sgpr_kernarg_preload_length 0
		.amdhsa_user_sgpr_kernarg_preload_offset 0
		.amdhsa_user_sgpr_private_segment_size 0
		.amdhsa_wavefront_size32 1
		.amdhsa_uses_dynamic_stack 0
		.amdhsa_enable_private_segment 0
		.amdhsa_system_sgpr_workgroup_id_x 1
		.amdhsa_system_sgpr_workgroup_id_y 0
		.amdhsa_system_sgpr_workgroup_id_z 0
		.amdhsa_system_sgpr_workgroup_info 0
		.amdhsa_system_vgpr_workitem_id 0
		.amdhsa_next_free_vgpr 1
		.amdhsa_next_free_sgpr 1
		.amdhsa_named_barrier_count 0
		.amdhsa_reserve_vcc 0
		.amdhsa_float_round_mode_32 0
		.amdhsa_float_round_mode_16_64 0
		.amdhsa_float_denorm_mode_32 3
		.amdhsa_float_denorm_mode_16_64 3
		.amdhsa_fp16_overflow 0
		.amdhsa_memory_ordered 1
		.amdhsa_forward_progress 1
		.amdhsa_inst_pref_size 0
		.amdhsa_round_robin_scheduling 0
		.amdhsa_exception_fp_ieee_invalid_op 0
		.amdhsa_exception_fp_denorm_src 0
		.amdhsa_exception_fp_ieee_div_zero 0
		.amdhsa_exception_fp_ieee_overflow 0
		.amdhsa_exception_fp_ieee_underflow 0
		.amdhsa_exception_fp_ieee_inexact 0
		.amdhsa_exception_int_div_zero 0
	.end_amdhsa_kernel
	.section	.text._ZN7rocprim17ROCPRIM_400000_NS6detail17trampoline_kernelINS0_14default_configENS1_25partition_config_selectorILNS1_17partition_subalgoE9EllbEEZZNS1_14partition_implILS5_9ELb0ES3_jPlS8_PNS0_10empty_typeENS0_5tupleIJS8_S9_EEENSB_IJS8_SA_EEENS0_18inequality_wrapperIZN2at6native12_GLOBAL__N_124unique_dim_cuda_templateIlEESt5tupleIJNSF_6TensorESK_SK_EERKSK_lbbbEUlllE0_EEPmJS9_EEE10hipError_tPvRmT3_T4_T5_T6_T7_T9_mT8_P12ihipStream_tbDpT10_ENKUlT_T0_E_clISt17integral_constantIbLb0EES19_IbLb1EEEEDaS15_S16_EUlS15_E_NS1_11comp_targetILNS1_3genE2ELNS1_11target_archE906ELNS1_3gpuE6ELNS1_3repE0EEENS1_30default_config_static_selectorELNS0_4arch9wavefront6targetE0EEEvT1_,"axG",@progbits,_ZN7rocprim17ROCPRIM_400000_NS6detail17trampoline_kernelINS0_14default_configENS1_25partition_config_selectorILNS1_17partition_subalgoE9EllbEEZZNS1_14partition_implILS5_9ELb0ES3_jPlS8_PNS0_10empty_typeENS0_5tupleIJS8_S9_EEENSB_IJS8_SA_EEENS0_18inequality_wrapperIZN2at6native12_GLOBAL__N_124unique_dim_cuda_templateIlEESt5tupleIJNSF_6TensorESK_SK_EERKSK_lbbbEUlllE0_EEPmJS9_EEE10hipError_tPvRmT3_T4_T5_T6_T7_T9_mT8_P12ihipStream_tbDpT10_ENKUlT_T0_E_clISt17integral_constantIbLb0EES19_IbLb1EEEEDaS15_S16_EUlS15_E_NS1_11comp_targetILNS1_3genE2ELNS1_11target_archE906ELNS1_3gpuE6ELNS1_3repE0EEENS1_30default_config_static_selectorELNS0_4arch9wavefront6targetE0EEEvT1_,comdat
.Lfunc_end623:
	.size	_ZN7rocprim17ROCPRIM_400000_NS6detail17trampoline_kernelINS0_14default_configENS1_25partition_config_selectorILNS1_17partition_subalgoE9EllbEEZZNS1_14partition_implILS5_9ELb0ES3_jPlS8_PNS0_10empty_typeENS0_5tupleIJS8_S9_EEENSB_IJS8_SA_EEENS0_18inequality_wrapperIZN2at6native12_GLOBAL__N_124unique_dim_cuda_templateIlEESt5tupleIJNSF_6TensorESK_SK_EERKSK_lbbbEUlllE0_EEPmJS9_EEE10hipError_tPvRmT3_T4_T5_T6_T7_T9_mT8_P12ihipStream_tbDpT10_ENKUlT_T0_E_clISt17integral_constantIbLb0EES19_IbLb1EEEEDaS15_S16_EUlS15_E_NS1_11comp_targetILNS1_3genE2ELNS1_11target_archE906ELNS1_3gpuE6ELNS1_3repE0EEENS1_30default_config_static_selectorELNS0_4arch9wavefront6targetE0EEEvT1_, .Lfunc_end623-_ZN7rocprim17ROCPRIM_400000_NS6detail17trampoline_kernelINS0_14default_configENS1_25partition_config_selectorILNS1_17partition_subalgoE9EllbEEZZNS1_14partition_implILS5_9ELb0ES3_jPlS8_PNS0_10empty_typeENS0_5tupleIJS8_S9_EEENSB_IJS8_SA_EEENS0_18inequality_wrapperIZN2at6native12_GLOBAL__N_124unique_dim_cuda_templateIlEESt5tupleIJNSF_6TensorESK_SK_EERKSK_lbbbEUlllE0_EEPmJS9_EEE10hipError_tPvRmT3_T4_T5_T6_T7_T9_mT8_P12ihipStream_tbDpT10_ENKUlT_T0_E_clISt17integral_constantIbLb0EES19_IbLb1EEEEDaS15_S16_EUlS15_E_NS1_11comp_targetILNS1_3genE2ELNS1_11target_archE906ELNS1_3gpuE6ELNS1_3repE0EEENS1_30default_config_static_selectorELNS0_4arch9wavefront6targetE0EEEvT1_
                                        ; -- End function
	.set _ZN7rocprim17ROCPRIM_400000_NS6detail17trampoline_kernelINS0_14default_configENS1_25partition_config_selectorILNS1_17partition_subalgoE9EllbEEZZNS1_14partition_implILS5_9ELb0ES3_jPlS8_PNS0_10empty_typeENS0_5tupleIJS8_S9_EEENSB_IJS8_SA_EEENS0_18inequality_wrapperIZN2at6native12_GLOBAL__N_124unique_dim_cuda_templateIlEESt5tupleIJNSF_6TensorESK_SK_EERKSK_lbbbEUlllE0_EEPmJS9_EEE10hipError_tPvRmT3_T4_T5_T6_T7_T9_mT8_P12ihipStream_tbDpT10_ENKUlT_T0_E_clISt17integral_constantIbLb0EES19_IbLb1EEEEDaS15_S16_EUlS15_E_NS1_11comp_targetILNS1_3genE2ELNS1_11target_archE906ELNS1_3gpuE6ELNS1_3repE0EEENS1_30default_config_static_selectorELNS0_4arch9wavefront6targetE0EEEvT1_.num_vgpr, 0
	.set _ZN7rocprim17ROCPRIM_400000_NS6detail17trampoline_kernelINS0_14default_configENS1_25partition_config_selectorILNS1_17partition_subalgoE9EllbEEZZNS1_14partition_implILS5_9ELb0ES3_jPlS8_PNS0_10empty_typeENS0_5tupleIJS8_S9_EEENSB_IJS8_SA_EEENS0_18inequality_wrapperIZN2at6native12_GLOBAL__N_124unique_dim_cuda_templateIlEESt5tupleIJNSF_6TensorESK_SK_EERKSK_lbbbEUlllE0_EEPmJS9_EEE10hipError_tPvRmT3_T4_T5_T6_T7_T9_mT8_P12ihipStream_tbDpT10_ENKUlT_T0_E_clISt17integral_constantIbLb0EES19_IbLb1EEEEDaS15_S16_EUlS15_E_NS1_11comp_targetILNS1_3genE2ELNS1_11target_archE906ELNS1_3gpuE6ELNS1_3repE0EEENS1_30default_config_static_selectorELNS0_4arch9wavefront6targetE0EEEvT1_.num_agpr, 0
	.set _ZN7rocprim17ROCPRIM_400000_NS6detail17trampoline_kernelINS0_14default_configENS1_25partition_config_selectorILNS1_17partition_subalgoE9EllbEEZZNS1_14partition_implILS5_9ELb0ES3_jPlS8_PNS0_10empty_typeENS0_5tupleIJS8_S9_EEENSB_IJS8_SA_EEENS0_18inequality_wrapperIZN2at6native12_GLOBAL__N_124unique_dim_cuda_templateIlEESt5tupleIJNSF_6TensorESK_SK_EERKSK_lbbbEUlllE0_EEPmJS9_EEE10hipError_tPvRmT3_T4_T5_T6_T7_T9_mT8_P12ihipStream_tbDpT10_ENKUlT_T0_E_clISt17integral_constantIbLb0EES19_IbLb1EEEEDaS15_S16_EUlS15_E_NS1_11comp_targetILNS1_3genE2ELNS1_11target_archE906ELNS1_3gpuE6ELNS1_3repE0EEENS1_30default_config_static_selectorELNS0_4arch9wavefront6targetE0EEEvT1_.numbered_sgpr, 0
	.set _ZN7rocprim17ROCPRIM_400000_NS6detail17trampoline_kernelINS0_14default_configENS1_25partition_config_selectorILNS1_17partition_subalgoE9EllbEEZZNS1_14partition_implILS5_9ELb0ES3_jPlS8_PNS0_10empty_typeENS0_5tupleIJS8_S9_EEENSB_IJS8_SA_EEENS0_18inequality_wrapperIZN2at6native12_GLOBAL__N_124unique_dim_cuda_templateIlEESt5tupleIJNSF_6TensorESK_SK_EERKSK_lbbbEUlllE0_EEPmJS9_EEE10hipError_tPvRmT3_T4_T5_T6_T7_T9_mT8_P12ihipStream_tbDpT10_ENKUlT_T0_E_clISt17integral_constantIbLb0EES19_IbLb1EEEEDaS15_S16_EUlS15_E_NS1_11comp_targetILNS1_3genE2ELNS1_11target_archE906ELNS1_3gpuE6ELNS1_3repE0EEENS1_30default_config_static_selectorELNS0_4arch9wavefront6targetE0EEEvT1_.num_named_barrier, 0
	.set _ZN7rocprim17ROCPRIM_400000_NS6detail17trampoline_kernelINS0_14default_configENS1_25partition_config_selectorILNS1_17partition_subalgoE9EllbEEZZNS1_14partition_implILS5_9ELb0ES3_jPlS8_PNS0_10empty_typeENS0_5tupleIJS8_S9_EEENSB_IJS8_SA_EEENS0_18inequality_wrapperIZN2at6native12_GLOBAL__N_124unique_dim_cuda_templateIlEESt5tupleIJNSF_6TensorESK_SK_EERKSK_lbbbEUlllE0_EEPmJS9_EEE10hipError_tPvRmT3_T4_T5_T6_T7_T9_mT8_P12ihipStream_tbDpT10_ENKUlT_T0_E_clISt17integral_constantIbLb0EES19_IbLb1EEEEDaS15_S16_EUlS15_E_NS1_11comp_targetILNS1_3genE2ELNS1_11target_archE906ELNS1_3gpuE6ELNS1_3repE0EEENS1_30default_config_static_selectorELNS0_4arch9wavefront6targetE0EEEvT1_.private_seg_size, 0
	.set _ZN7rocprim17ROCPRIM_400000_NS6detail17trampoline_kernelINS0_14default_configENS1_25partition_config_selectorILNS1_17partition_subalgoE9EllbEEZZNS1_14partition_implILS5_9ELb0ES3_jPlS8_PNS0_10empty_typeENS0_5tupleIJS8_S9_EEENSB_IJS8_SA_EEENS0_18inequality_wrapperIZN2at6native12_GLOBAL__N_124unique_dim_cuda_templateIlEESt5tupleIJNSF_6TensorESK_SK_EERKSK_lbbbEUlllE0_EEPmJS9_EEE10hipError_tPvRmT3_T4_T5_T6_T7_T9_mT8_P12ihipStream_tbDpT10_ENKUlT_T0_E_clISt17integral_constantIbLb0EES19_IbLb1EEEEDaS15_S16_EUlS15_E_NS1_11comp_targetILNS1_3genE2ELNS1_11target_archE906ELNS1_3gpuE6ELNS1_3repE0EEENS1_30default_config_static_selectorELNS0_4arch9wavefront6targetE0EEEvT1_.uses_vcc, 0
	.set _ZN7rocprim17ROCPRIM_400000_NS6detail17trampoline_kernelINS0_14default_configENS1_25partition_config_selectorILNS1_17partition_subalgoE9EllbEEZZNS1_14partition_implILS5_9ELb0ES3_jPlS8_PNS0_10empty_typeENS0_5tupleIJS8_S9_EEENSB_IJS8_SA_EEENS0_18inequality_wrapperIZN2at6native12_GLOBAL__N_124unique_dim_cuda_templateIlEESt5tupleIJNSF_6TensorESK_SK_EERKSK_lbbbEUlllE0_EEPmJS9_EEE10hipError_tPvRmT3_T4_T5_T6_T7_T9_mT8_P12ihipStream_tbDpT10_ENKUlT_T0_E_clISt17integral_constantIbLb0EES19_IbLb1EEEEDaS15_S16_EUlS15_E_NS1_11comp_targetILNS1_3genE2ELNS1_11target_archE906ELNS1_3gpuE6ELNS1_3repE0EEENS1_30default_config_static_selectorELNS0_4arch9wavefront6targetE0EEEvT1_.uses_flat_scratch, 0
	.set _ZN7rocprim17ROCPRIM_400000_NS6detail17trampoline_kernelINS0_14default_configENS1_25partition_config_selectorILNS1_17partition_subalgoE9EllbEEZZNS1_14partition_implILS5_9ELb0ES3_jPlS8_PNS0_10empty_typeENS0_5tupleIJS8_S9_EEENSB_IJS8_SA_EEENS0_18inequality_wrapperIZN2at6native12_GLOBAL__N_124unique_dim_cuda_templateIlEESt5tupleIJNSF_6TensorESK_SK_EERKSK_lbbbEUlllE0_EEPmJS9_EEE10hipError_tPvRmT3_T4_T5_T6_T7_T9_mT8_P12ihipStream_tbDpT10_ENKUlT_T0_E_clISt17integral_constantIbLb0EES19_IbLb1EEEEDaS15_S16_EUlS15_E_NS1_11comp_targetILNS1_3genE2ELNS1_11target_archE906ELNS1_3gpuE6ELNS1_3repE0EEENS1_30default_config_static_selectorELNS0_4arch9wavefront6targetE0EEEvT1_.has_dyn_sized_stack, 0
	.set _ZN7rocprim17ROCPRIM_400000_NS6detail17trampoline_kernelINS0_14default_configENS1_25partition_config_selectorILNS1_17partition_subalgoE9EllbEEZZNS1_14partition_implILS5_9ELb0ES3_jPlS8_PNS0_10empty_typeENS0_5tupleIJS8_S9_EEENSB_IJS8_SA_EEENS0_18inequality_wrapperIZN2at6native12_GLOBAL__N_124unique_dim_cuda_templateIlEESt5tupleIJNSF_6TensorESK_SK_EERKSK_lbbbEUlllE0_EEPmJS9_EEE10hipError_tPvRmT3_T4_T5_T6_T7_T9_mT8_P12ihipStream_tbDpT10_ENKUlT_T0_E_clISt17integral_constantIbLb0EES19_IbLb1EEEEDaS15_S16_EUlS15_E_NS1_11comp_targetILNS1_3genE2ELNS1_11target_archE906ELNS1_3gpuE6ELNS1_3repE0EEENS1_30default_config_static_selectorELNS0_4arch9wavefront6targetE0EEEvT1_.has_recursion, 0
	.set _ZN7rocprim17ROCPRIM_400000_NS6detail17trampoline_kernelINS0_14default_configENS1_25partition_config_selectorILNS1_17partition_subalgoE9EllbEEZZNS1_14partition_implILS5_9ELb0ES3_jPlS8_PNS0_10empty_typeENS0_5tupleIJS8_S9_EEENSB_IJS8_SA_EEENS0_18inequality_wrapperIZN2at6native12_GLOBAL__N_124unique_dim_cuda_templateIlEESt5tupleIJNSF_6TensorESK_SK_EERKSK_lbbbEUlllE0_EEPmJS9_EEE10hipError_tPvRmT3_T4_T5_T6_T7_T9_mT8_P12ihipStream_tbDpT10_ENKUlT_T0_E_clISt17integral_constantIbLb0EES19_IbLb1EEEEDaS15_S16_EUlS15_E_NS1_11comp_targetILNS1_3genE2ELNS1_11target_archE906ELNS1_3gpuE6ELNS1_3repE0EEENS1_30default_config_static_selectorELNS0_4arch9wavefront6targetE0EEEvT1_.has_indirect_call, 0
	.section	.AMDGPU.csdata,"",@progbits
; Kernel info:
; codeLenInByte = 0
; TotalNumSgprs: 0
; NumVgprs: 0
; ScratchSize: 0
; MemoryBound: 0
; FloatMode: 240
; IeeeMode: 1
; LDSByteSize: 0 bytes/workgroup (compile time only)
; SGPRBlocks: 0
; VGPRBlocks: 0
; NumSGPRsForWavesPerEU: 1
; NumVGPRsForWavesPerEU: 1
; NamedBarCnt: 0
; Occupancy: 16
; WaveLimiterHint : 0
; COMPUTE_PGM_RSRC2:SCRATCH_EN: 0
; COMPUTE_PGM_RSRC2:USER_SGPR: 2
; COMPUTE_PGM_RSRC2:TRAP_HANDLER: 0
; COMPUTE_PGM_RSRC2:TGID_X_EN: 1
; COMPUTE_PGM_RSRC2:TGID_Y_EN: 0
; COMPUTE_PGM_RSRC2:TGID_Z_EN: 0
; COMPUTE_PGM_RSRC2:TIDIG_COMP_CNT: 0
	.section	.text._ZN7rocprim17ROCPRIM_400000_NS6detail17trampoline_kernelINS0_14default_configENS1_25partition_config_selectorILNS1_17partition_subalgoE9EllbEEZZNS1_14partition_implILS5_9ELb0ES3_jPlS8_PNS0_10empty_typeENS0_5tupleIJS8_S9_EEENSB_IJS8_SA_EEENS0_18inequality_wrapperIZN2at6native12_GLOBAL__N_124unique_dim_cuda_templateIlEESt5tupleIJNSF_6TensorESK_SK_EERKSK_lbbbEUlllE0_EEPmJS9_EEE10hipError_tPvRmT3_T4_T5_T6_T7_T9_mT8_P12ihipStream_tbDpT10_ENKUlT_T0_E_clISt17integral_constantIbLb0EES19_IbLb1EEEEDaS15_S16_EUlS15_E_NS1_11comp_targetILNS1_3genE10ELNS1_11target_archE1200ELNS1_3gpuE4ELNS1_3repE0EEENS1_30default_config_static_selectorELNS0_4arch9wavefront6targetE0EEEvT1_,"axG",@progbits,_ZN7rocprim17ROCPRIM_400000_NS6detail17trampoline_kernelINS0_14default_configENS1_25partition_config_selectorILNS1_17partition_subalgoE9EllbEEZZNS1_14partition_implILS5_9ELb0ES3_jPlS8_PNS0_10empty_typeENS0_5tupleIJS8_S9_EEENSB_IJS8_SA_EEENS0_18inequality_wrapperIZN2at6native12_GLOBAL__N_124unique_dim_cuda_templateIlEESt5tupleIJNSF_6TensorESK_SK_EERKSK_lbbbEUlllE0_EEPmJS9_EEE10hipError_tPvRmT3_T4_T5_T6_T7_T9_mT8_P12ihipStream_tbDpT10_ENKUlT_T0_E_clISt17integral_constantIbLb0EES19_IbLb1EEEEDaS15_S16_EUlS15_E_NS1_11comp_targetILNS1_3genE10ELNS1_11target_archE1200ELNS1_3gpuE4ELNS1_3repE0EEENS1_30default_config_static_selectorELNS0_4arch9wavefront6targetE0EEEvT1_,comdat
	.globl	_ZN7rocprim17ROCPRIM_400000_NS6detail17trampoline_kernelINS0_14default_configENS1_25partition_config_selectorILNS1_17partition_subalgoE9EllbEEZZNS1_14partition_implILS5_9ELb0ES3_jPlS8_PNS0_10empty_typeENS0_5tupleIJS8_S9_EEENSB_IJS8_SA_EEENS0_18inequality_wrapperIZN2at6native12_GLOBAL__N_124unique_dim_cuda_templateIlEESt5tupleIJNSF_6TensorESK_SK_EERKSK_lbbbEUlllE0_EEPmJS9_EEE10hipError_tPvRmT3_T4_T5_T6_T7_T9_mT8_P12ihipStream_tbDpT10_ENKUlT_T0_E_clISt17integral_constantIbLb0EES19_IbLb1EEEEDaS15_S16_EUlS15_E_NS1_11comp_targetILNS1_3genE10ELNS1_11target_archE1200ELNS1_3gpuE4ELNS1_3repE0EEENS1_30default_config_static_selectorELNS0_4arch9wavefront6targetE0EEEvT1_ ; -- Begin function _ZN7rocprim17ROCPRIM_400000_NS6detail17trampoline_kernelINS0_14default_configENS1_25partition_config_selectorILNS1_17partition_subalgoE9EllbEEZZNS1_14partition_implILS5_9ELb0ES3_jPlS8_PNS0_10empty_typeENS0_5tupleIJS8_S9_EEENSB_IJS8_SA_EEENS0_18inequality_wrapperIZN2at6native12_GLOBAL__N_124unique_dim_cuda_templateIlEESt5tupleIJNSF_6TensorESK_SK_EERKSK_lbbbEUlllE0_EEPmJS9_EEE10hipError_tPvRmT3_T4_T5_T6_T7_T9_mT8_P12ihipStream_tbDpT10_ENKUlT_T0_E_clISt17integral_constantIbLb0EES19_IbLb1EEEEDaS15_S16_EUlS15_E_NS1_11comp_targetILNS1_3genE10ELNS1_11target_archE1200ELNS1_3gpuE4ELNS1_3repE0EEENS1_30default_config_static_selectorELNS0_4arch9wavefront6targetE0EEEvT1_
	.p2align	8
	.type	_ZN7rocprim17ROCPRIM_400000_NS6detail17trampoline_kernelINS0_14default_configENS1_25partition_config_selectorILNS1_17partition_subalgoE9EllbEEZZNS1_14partition_implILS5_9ELb0ES3_jPlS8_PNS0_10empty_typeENS0_5tupleIJS8_S9_EEENSB_IJS8_SA_EEENS0_18inequality_wrapperIZN2at6native12_GLOBAL__N_124unique_dim_cuda_templateIlEESt5tupleIJNSF_6TensorESK_SK_EERKSK_lbbbEUlllE0_EEPmJS9_EEE10hipError_tPvRmT3_T4_T5_T6_T7_T9_mT8_P12ihipStream_tbDpT10_ENKUlT_T0_E_clISt17integral_constantIbLb0EES19_IbLb1EEEEDaS15_S16_EUlS15_E_NS1_11comp_targetILNS1_3genE10ELNS1_11target_archE1200ELNS1_3gpuE4ELNS1_3repE0EEENS1_30default_config_static_selectorELNS0_4arch9wavefront6targetE0EEEvT1_,@function
_ZN7rocprim17ROCPRIM_400000_NS6detail17trampoline_kernelINS0_14default_configENS1_25partition_config_selectorILNS1_17partition_subalgoE9EllbEEZZNS1_14partition_implILS5_9ELb0ES3_jPlS8_PNS0_10empty_typeENS0_5tupleIJS8_S9_EEENSB_IJS8_SA_EEENS0_18inequality_wrapperIZN2at6native12_GLOBAL__N_124unique_dim_cuda_templateIlEESt5tupleIJNSF_6TensorESK_SK_EERKSK_lbbbEUlllE0_EEPmJS9_EEE10hipError_tPvRmT3_T4_T5_T6_T7_T9_mT8_P12ihipStream_tbDpT10_ENKUlT_T0_E_clISt17integral_constantIbLb0EES19_IbLb1EEEEDaS15_S16_EUlS15_E_NS1_11comp_targetILNS1_3genE10ELNS1_11target_archE1200ELNS1_3gpuE4ELNS1_3repE0EEENS1_30default_config_static_selectorELNS0_4arch9wavefront6targetE0EEEvT1_: ; @_ZN7rocprim17ROCPRIM_400000_NS6detail17trampoline_kernelINS0_14default_configENS1_25partition_config_selectorILNS1_17partition_subalgoE9EllbEEZZNS1_14partition_implILS5_9ELb0ES3_jPlS8_PNS0_10empty_typeENS0_5tupleIJS8_S9_EEENSB_IJS8_SA_EEENS0_18inequality_wrapperIZN2at6native12_GLOBAL__N_124unique_dim_cuda_templateIlEESt5tupleIJNSF_6TensorESK_SK_EERKSK_lbbbEUlllE0_EEPmJS9_EEE10hipError_tPvRmT3_T4_T5_T6_T7_T9_mT8_P12ihipStream_tbDpT10_ENKUlT_T0_E_clISt17integral_constantIbLb0EES19_IbLb1EEEEDaS15_S16_EUlS15_E_NS1_11comp_targetILNS1_3genE10ELNS1_11target_archE1200ELNS1_3gpuE4ELNS1_3repE0EEENS1_30default_config_static_selectorELNS0_4arch9wavefront6targetE0EEEvT1_
; %bb.0:
	.section	.rodata,"a",@progbits
	.p2align	6, 0x0
	.amdhsa_kernel _ZN7rocprim17ROCPRIM_400000_NS6detail17trampoline_kernelINS0_14default_configENS1_25partition_config_selectorILNS1_17partition_subalgoE9EllbEEZZNS1_14partition_implILS5_9ELb0ES3_jPlS8_PNS0_10empty_typeENS0_5tupleIJS8_S9_EEENSB_IJS8_SA_EEENS0_18inequality_wrapperIZN2at6native12_GLOBAL__N_124unique_dim_cuda_templateIlEESt5tupleIJNSF_6TensorESK_SK_EERKSK_lbbbEUlllE0_EEPmJS9_EEE10hipError_tPvRmT3_T4_T5_T6_T7_T9_mT8_P12ihipStream_tbDpT10_ENKUlT_T0_E_clISt17integral_constantIbLb0EES19_IbLb1EEEEDaS15_S16_EUlS15_E_NS1_11comp_targetILNS1_3genE10ELNS1_11target_archE1200ELNS1_3gpuE4ELNS1_3repE0EEENS1_30default_config_static_selectorELNS0_4arch9wavefront6targetE0EEEvT1_
		.amdhsa_group_segment_fixed_size 0
		.amdhsa_private_segment_fixed_size 0
		.amdhsa_kernarg_size 136
		.amdhsa_user_sgpr_count 2
		.amdhsa_user_sgpr_dispatch_ptr 0
		.amdhsa_user_sgpr_queue_ptr 0
		.amdhsa_user_sgpr_kernarg_segment_ptr 1
		.amdhsa_user_sgpr_dispatch_id 0
		.amdhsa_user_sgpr_kernarg_preload_length 0
		.amdhsa_user_sgpr_kernarg_preload_offset 0
		.amdhsa_user_sgpr_private_segment_size 0
		.amdhsa_wavefront_size32 1
		.amdhsa_uses_dynamic_stack 0
		.amdhsa_enable_private_segment 0
		.amdhsa_system_sgpr_workgroup_id_x 1
		.amdhsa_system_sgpr_workgroup_id_y 0
		.amdhsa_system_sgpr_workgroup_id_z 0
		.amdhsa_system_sgpr_workgroup_info 0
		.amdhsa_system_vgpr_workitem_id 0
		.amdhsa_next_free_vgpr 1
		.amdhsa_next_free_sgpr 1
		.amdhsa_named_barrier_count 0
		.amdhsa_reserve_vcc 0
		.amdhsa_float_round_mode_32 0
		.amdhsa_float_round_mode_16_64 0
		.amdhsa_float_denorm_mode_32 3
		.amdhsa_float_denorm_mode_16_64 3
		.amdhsa_fp16_overflow 0
		.amdhsa_memory_ordered 1
		.amdhsa_forward_progress 1
		.amdhsa_inst_pref_size 0
		.amdhsa_round_robin_scheduling 0
		.amdhsa_exception_fp_ieee_invalid_op 0
		.amdhsa_exception_fp_denorm_src 0
		.amdhsa_exception_fp_ieee_div_zero 0
		.amdhsa_exception_fp_ieee_overflow 0
		.amdhsa_exception_fp_ieee_underflow 0
		.amdhsa_exception_fp_ieee_inexact 0
		.amdhsa_exception_int_div_zero 0
	.end_amdhsa_kernel
	.section	.text._ZN7rocprim17ROCPRIM_400000_NS6detail17trampoline_kernelINS0_14default_configENS1_25partition_config_selectorILNS1_17partition_subalgoE9EllbEEZZNS1_14partition_implILS5_9ELb0ES3_jPlS8_PNS0_10empty_typeENS0_5tupleIJS8_S9_EEENSB_IJS8_SA_EEENS0_18inequality_wrapperIZN2at6native12_GLOBAL__N_124unique_dim_cuda_templateIlEESt5tupleIJNSF_6TensorESK_SK_EERKSK_lbbbEUlllE0_EEPmJS9_EEE10hipError_tPvRmT3_T4_T5_T6_T7_T9_mT8_P12ihipStream_tbDpT10_ENKUlT_T0_E_clISt17integral_constantIbLb0EES19_IbLb1EEEEDaS15_S16_EUlS15_E_NS1_11comp_targetILNS1_3genE10ELNS1_11target_archE1200ELNS1_3gpuE4ELNS1_3repE0EEENS1_30default_config_static_selectorELNS0_4arch9wavefront6targetE0EEEvT1_,"axG",@progbits,_ZN7rocprim17ROCPRIM_400000_NS6detail17trampoline_kernelINS0_14default_configENS1_25partition_config_selectorILNS1_17partition_subalgoE9EllbEEZZNS1_14partition_implILS5_9ELb0ES3_jPlS8_PNS0_10empty_typeENS0_5tupleIJS8_S9_EEENSB_IJS8_SA_EEENS0_18inequality_wrapperIZN2at6native12_GLOBAL__N_124unique_dim_cuda_templateIlEESt5tupleIJNSF_6TensorESK_SK_EERKSK_lbbbEUlllE0_EEPmJS9_EEE10hipError_tPvRmT3_T4_T5_T6_T7_T9_mT8_P12ihipStream_tbDpT10_ENKUlT_T0_E_clISt17integral_constantIbLb0EES19_IbLb1EEEEDaS15_S16_EUlS15_E_NS1_11comp_targetILNS1_3genE10ELNS1_11target_archE1200ELNS1_3gpuE4ELNS1_3repE0EEENS1_30default_config_static_selectorELNS0_4arch9wavefront6targetE0EEEvT1_,comdat
.Lfunc_end624:
	.size	_ZN7rocprim17ROCPRIM_400000_NS6detail17trampoline_kernelINS0_14default_configENS1_25partition_config_selectorILNS1_17partition_subalgoE9EllbEEZZNS1_14partition_implILS5_9ELb0ES3_jPlS8_PNS0_10empty_typeENS0_5tupleIJS8_S9_EEENSB_IJS8_SA_EEENS0_18inequality_wrapperIZN2at6native12_GLOBAL__N_124unique_dim_cuda_templateIlEESt5tupleIJNSF_6TensorESK_SK_EERKSK_lbbbEUlllE0_EEPmJS9_EEE10hipError_tPvRmT3_T4_T5_T6_T7_T9_mT8_P12ihipStream_tbDpT10_ENKUlT_T0_E_clISt17integral_constantIbLb0EES19_IbLb1EEEEDaS15_S16_EUlS15_E_NS1_11comp_targetILNS1_3genE10ELNS1_11target_archE1200ELNS1_3gpuE4ELNS1_3repE0EEENS1_30default_config_static_selectorELNS0_4arch9wavefront6targetE0EEEvT1_, .Lfunc_end624-_ZN7rocprim17ROCPRIM_400000_NS6detail17trampoline_kernelINS0_14default_configENS1_25partition_config_selectorILNS1_17partition_subalgoE9EllbEEZZNS1_14partition_implILS5_9ELb0ES3_jPlS8_PNS0_10empty_typeENS0_5tupleIJS8_S9_EEENSB_IJS8_SA_EEENS0_18inequality_wrapperIZN2at6native12_GLOBAL__N_124unique_dim_cuda_templateIlEESt5tupleIJNSF_6TensorESK_SK_EERKSK_lbbbEUlllE0_EEPmJS9_EEE10hipError_tPvRmT3_T4_T5_T6_T7_T9_mT8_P12ihipStream_tbDpT10_ENKUlT_T0_E_clISt17integral_constantIbLb0EES19_IbLb1EEEEDaS15_S16_EUlS15_E_NS1_11comp_targetILNS1_3genE10ELNS1_11target_archE1200ELNS1_3gpuE4ELNS1_3repE0EEENS1_30default_config_static_selectorELNS0_4arch9wavefront6targetE0EEEvT1_
                                        ; -- End function
	.set _ZN7rocprim17ROCPRIM_400000_NS6detail17trampoline_kernelINS0_14default_configENS1_25partition_config_selectorILNS1_17partition_subalgoE9EllbEEZZNS1_14partition_implILS5_9ELb0ES3_jPlS8_PNS0_10empty_typeENS0_5tupleIJS8_S9_EEENSB_IJS8_SA_EEENS0_18inequality_wrapperIZN2at6native12_GLOBAL__N_124unique_dim_cuda_templateIlEESt5tupleIJNSF_6TensorESK_SK_EERKSK_lbbbEUlllE0_EEPmJS9_EEE10hipError_tPvRmT3_T4_T5_T6_T7_T9_mT8_P12ihipStream_tbDpT10_ENKUlT_T0_E_clISt17integral_constantIbLb0EES19_IbLb1EEEEDaS15_S16_EUlS15_E_NS1_11comp_targetILNS1_3genE10ELNS1_11target_archE1200ELNS1_3gpuE4ELNS1_3repE0EEENS1_30default_config_static_selectorELNS0_4arch9wavefront6targetE0EEEvT1_.num_vgpr, 0
	.set _ZN7rocprim17ROCPRIM_400000_NS6detail17trampoline_kernelINS0_14default_configENS1_25partition_config_selectorILNS1_17partition_subalgoE9EllbEEZZNS1_14partition_implILS5_9ELb0ES3_jPlS8_PNS0_10empty_typeENS0_5tupleIJS8_S9_EEENSB_IJS8_SA_EEENS0_18inequality_wrapperIZN2at6native12_GLOBAL__N_124unique_dim_cuda_templateIlEESt5tupleIJNSF_6TensorESK_SK_EERKSK_lbbbEUlllE0_EEPmJS9_EEE10hipError_tPvRmT3_T4_T5_T6_T7_T9_mT8_P12ihipStream_tbDpT10_ENKUlT_T0_E_clISt17integral_constantIbLb0EES19_IbLb1EEEEDaS15_S16_EUlS15_E_NS1_11comp_targetILNS1_3genE10ELNS1_11target_archE1200ELNS1_3gpuE4ELNS1_3repE0EEENS1_30default_config_static_selectorELNS0_4arch9wavefront6targetE0EEEvT1_.num_agpr, 0
	.set _ZN7rocprim17ROCPRIM_400000_NS6detail17trampoline_kernelINS0_14default_configENS1_25partition_config_selectorILNS1_17partition_subalgoE9EllbEEZZNS1_14partition_implILS5_9ELb0ES3_jPlS8_PNS0_10empty_typeENS0_5tupleIJS8_S9_EEENSB_IJS8_SA_EEENS0_18inequality_wrapperIZN2at6native12_GLOBAL__N_124unique_dim_cuda_templateIlEESt5tupleIJNSF_6TensorESK_SK_EERKSK_lbbbEUlllE0_EEPmJS9_EEE10hipError_tPvRmT3_T4_T5_T6_T7_T9_mT8_P12ihipStream_tbDpT10_ENKUlT_T0_E_clISt17integral_constantIbLb0EES19_IbLb1EEEEDaS15_S16_EUlS15_E_NS1_11comp_targetILNS1_3genE10ELNS1_11target_archE1200ELNS1_3gpuE4ELNS1_3repE0EEENS1_30default_config_static_selectorELNS0_4arch9wavefront6targetE0EEEvT1_.numbered_sgpr, 0
	.set _ZN7rocprim17ROCPRIM_400000_NS6detail17trampoline_kernelINS0_14default_configENS1_25partition_config_selectorILNS1_17partition_subalgoE9EllbEEZZNS1_14partition_implILS5_9ELb0ES3_jPlS8_PNS0_10empty_typeENS0_5tupleIJS8_S9_EEENSB_IJS8_SA_EEENS0_18inequality_wrapperIZN2at6native12_GLOBAL__N_124unique_dim_cuda_templateIlEESt5tupleIJNSF_6TensorESK_SK_EERKSK_lbbbEUlllE0_EEPmJS9_EEE10hipError_tPvRmT3_T4_T5_T6_T7_T9_mT8_P12ihipStream_tbDpT10_ENKUlT_T0_E_clISt17integral_constantIbLb0EES19_IbLb1EEEEDaS15_S16_EUlS15_E_NS1_11comp_targetILNS1_3genE10ELNS1_11target_archE1200ELNS1_3gpuE4ELNS1_3repE0EEENS1_30default_config_static_selectorELNS0_4arch9wavefront6targetE0EEEvT1_.num_named_barrier, 0
	.set _ZN7rocprim17ROCPRIM_400000_NS6detail17trampoline_kernelINS0_14default_configENS1_25partition_config_selectorILNS1_17partition_subalgoE9EllbEEZZNS1_14partition_implILS5_9ELb0ES3_jPlS8_PNS0_10empty_typeENS0_5tupleIJS8_S9_EEENSB_IJS8_SA_EEENS0_18inequality_wrapperIZN2at6native12_GLOBAL__N_124unique_dim_cuda_templateIlEESt5tupleIJNSF_6TensorESK_SK_EERKSK_lbbbEUlllE0_EEPmJS9_EEE10hipError_tPvRmT3_T4_T5_T6_T7_T9_mT8_P12ihipStream_tbDpT10_ENKUlT_T0_E_clISt17integral_constantIbLb0EES19_IbLb1EEEEDaS15_S16_EUlS15_E_NS1_11comp_targetILNS1_3genE10ELNS1_11target_archE1200ELNS1_3gpuE4ELNS1_3repE0EEENS1_30default_config_static_selectorELNS0_4arch9wavefront6targetE0EEEvT1_.private_seg_size, 0
	.set _ZN7rocprim17ROCPRIM_400000_NS6detail17trampoline_kernelINS0_14default_configENS1_25partition_config_selectorILNS1_17partition_subalgoE9EllbEEZZNS1_14partition_implILS5_9ELb0ES3_jPlS8_PNS0_10empty_typeENS0_5tupleIJS8_S9_EEENSB_IJS8_SA_EEENS0_18inequality_wrapperIZN2at6native12_GLOBAL__N_124unique_dim_cuda_templateIlEESt5tupleIJNSF_6TensorESK_SK_EERKSK_lbbbEUlllE0_EEPmJS9_EEE10hipError_tPvRmT3_T4_T5_T6_T7_T9_mT8_P12ihipStream_tbDpT10_ENKUlT_T0_E_clISt17integral_constantIbLb0EES19_IbLb1EEEEDaS15_S16_EUlS15_E_NS1_11comp_targetILNS1_3genE10ELNS1_11target_archE1200ELNS1_3gpuE4ELNS1_3repE0EEENS1_30default_config_static_selectorELNS0_4arch9wavefront6targetE0EEEvT1_.uses_vcc, 0
	.set _ZN7rocprim17ROCPRIM_400000_NS6detail17trampoline_kernelINS0_14default_configENS1_25partition_config_selectorILNS1_17partition_subalgoE9EllbEEZZNS1_14partition_implILS5_9ELb0ES3_jPlS8_PNS0_10empty_typeENS0_5tupleIJS8_S9_EEENSB_IJS8_SA_EEENS0_18inequality_wrapperIZN2at6native12_GLOBAL__N_124unique_dim_cuda_templateIlEESt5tupleIJNSF_6TensorESK_SK_EERKSK_lbbbEUlllE0_EEPmJS9_EEE10hipError_tPvRmT3_T4_T5_T6_T7_T9_mT8_P12ihipStream_tbDpT10_ENKUlT_T0_E_clISt17integral_constantIbLb0EES19_IbLb1EEEEDaS15_S16_EUlS15_E_NS1_11comp_targetILNS1_3genE10ELNS1_11target_archE1200ELNS1_3gpuE4ELNS1_3repE0EEENS1_30default_config_static_selectorELNS0_4arch9wavefront6targetE0EEEvT1_.uses_flat_scratch, 0
	.set _ZN7rocprim17ROCPRIM_400000_NS6detail17trampoline_kernelINS0_14default_configENS1_25partition_config_selectorILNS1_17partition_subalgoE9EllbEEZZNS1_14partition_implILS5_9ELb0ES3_jPlS8_PNS0_10empty_typeENS0_5tupleIJS8_S9_EEENSB_IJS8_SA_EEENS0_18inequality_wrapperIZN2at6native12_GLOBAL__N_124unique_dim_cuda_templateIlEESt5tupleIJNSF_6TensorESK_SK_EERKSK_lbbbEUlllE0_EEPmJS9_EEE10hipError_tPvRmT3_T4_T5_T6_T7_T9_mT8_P12ihipStream_tbDpT10_ENKUlT_T0_E_clISt17integral_constantIbLb0EES19_IbLb1EEEEDaS15_S16_EUlS15_E_NS1_11comp_targetILNS1_3genE10ELNS1_11target_archE1200ELNS1_3gpuE4ELNS1_3repE0EEENS1_30default_config_static_selectorELNS0_4arch9wavefront6targetE0EEEvT1_.has_dyn_sized_stack, 0
	.set _ZN7rocprim17ROCPRIM_400000_NS6detail17trampoline_kernelINS0_14default_configENS1_25partition_config_selectorILNS1_17partition_subalgoE9EllbEEZZNS1_14partition_implILS5_9ELb0ES3_jPlS8_PNS0_10empty_typeENS0_5tupleIJS8_S9_EEENSB_IJS8_SA_EEENS0_18inequality_wrapperIZN2at6native12_GLOBAL__N_124unique_dim_cuda_templateIlEESt5tupleIJNSF_6TensorESK_SK_EERKSK_lbbbEUlllE0_EEPmJS9_EEE10hipError_tPvRmT3_T4_T5_T6_T7_T9_mT8_P12ihipStream_tbDpT10_ENKUlT_T0_E_clISt17integral_constantIbLb0EES19_IbLb1EEEEDaS15_S16_EUlS15_E_NS1_11comp_targetILNS1_3genE10ELNS1_11target_archE1200ELNS1_3gpuE4ELNS1_3repE0EEENS1_30default_config_static_selectorELNS0_4arch9wavefront6targetE0EEEvT1_.has_recursion, 0
	.set _ZN7rocprim17ROCPRIM_400000_NS6detail17trampoline_kernelINS0_14default_configENS1_25partition_config_selectorILNS1_17partition_subalgoE9EllbEEZZNS1_14partition_implILS5_9ELb0ES3_jPlS8_PNS0_10empty_typeENS0_5tupleIJS8_S9_EEENSB_IJS8_SA_EEENS0_18inequality_wrapperIZN2at6native12_GLOBAL__N_124unique_dim_cuda_templateIlEESt5tupleIJNSF_6TensorESK_SK_EERKSK_lbbbEUlllE0_EEPmJS9_EEE10hipError_tPvRmT3_T4_T5_T6_T7_T9_mT8_P12ihipStream_tbDpT10_ENKUlT_T0_E_clISt17integral_constantIbLb0EES19_IbLb1EEEEDaS15_S16_EUlS15_E_NS1_11comp_targetILNS1_3genE10ELNS1_11target_archE1200ELNS1_3gpuE4ELNS1_3repE0EEENS1_30default_config_static_selectorELNS0_4arch9wavefront6targetE0EEEvT1_.has_indirect_call, 0
	.section	.AMDGPU.csdata,"",@progbits
; Kernel info:
; codeLenInByte = 0
; TotalNumSgprs: 0
; NumVgprs: 0
; ScratchSize: 0
; MemoryBound: 0
; FloatMode: 240
; IeeeMode: 1
; LDSByteSize: 0 bytes/workgroup (compile time only)
; SGPRBlocks: 0
; VGPRBlocks: 0
; NumSGPRsForWavesPerEU: 1
; NumVGPRsForWavesPerEU: 1
; NamedBarCnt: 0
; Occupancy: 16
; WaveLimiterHint : 0
; COMPUTE_PGM_RSRC2:SCRATCH_EN: 0
; COMPUTE_PGM_RSRC2:USER_SGPR: 2
; COMPUTE_PGM_RSRC2:TRAP_HANDLER: 0
; COMPUTE_PGM_RSRC2:TGID_X_EN: 1
; COMPUTE_PGM_RSRC2:TGID_Y_EN: 0
; COMPUTE_PGM_RSRC2:TGID_Z_EN: 0
; COMPUTE_PGM_RSRC2:TIDIG_COMP_CNT: 0
	.section	.text._ZN7rocprim17ROCPRIM_400000_NS6detail17trampoline_kernelINS0_14default_configENS1_25partition_config_selectorILNS1_17partition_subalgoE9EllbEEZZNS1_14partition_implILS5_9ELb0ES3_jPlS8_PNS0_10empty_typeENS0_5tupleIJS8_S9_EEENSB_IJS8_SA_EEENS0_18inequality_wrapperIZN2at6native12_GLOBAL__N_124unique_dim_cuda_templateIlEESt5tupleIJNSF_6TensorESK_SK_EERKSK_lbbbEUlllE0_EEPmJS9_EEE10hipError_tPvRmT3_T4_T5_T6_T7_T9_mT8_P12ihipStream_tbDpT10_ENKUlT_T0_E_clISt17integral_constantIbLb0EES19_IbLb1EEEEDaS15_S16_EUlS15_E_NS1_11comp_targetILNS1_3genE9ELNS1_11target_archE1100ELNS1_3gpuE3ELNS1_3repE0EEENS1_30default_config_static_selectorELNS0_4arch9wavefront6targetE0EEEvT1_,"axG",@progbits,_ZN7rocprim17ROCPRIM_400000_NS6detail17trampoline_kernelINS0_14default_configENS1_25partition_config_selectorILNS1_17partition_subalgoE9EllbEEZZNS1_14partition_implILS5_9ELb0ES3_jPlS8_PNS0_10empty_typeENS0_5tupleIJS8_S9_EEENSB_IJS8_SA_EEENS0_18inequality_wrapperIZN2at6native12_GLOBAL__N_124unique_dim_cuda_templateIlEESt5tupleIJNSF_6TensorESK_SK_EERKSK_lbbbEUlllE0_EEPmJS9_EEE10hipError_tPvRmT3_T4_T5_T6_T7_T9_mT8_P12ihipStream_tbDpT10_ENKUlT_T0_E_clISt17integral_constantIbLb0EES19_IbLb1EEEEDaS15_S16_EUlS15_E_NS1_11comp_targetILNS1_3genE9ELNS1_11target_archE1100ELNS1_3gpuE3ELNS1_3repE0EEENS1_30default_config_static_selectorELNS0_4arch9wavefront6targetE0EEEvT1_,comdat
	.globl	_ZN7rocprim17ROCPRIM_400000_NS6detail17trampoline_kernelINS0_14default_configENS1_25partition_config_selectorILNS1_17partition_subalgoE9EllbEEZZNS1_14partition_implILS5_9ELb0ES3_jPlS8_PNS0_10empty_typeENS0_5tupleIJS8_S9_EEENSB_IJS8_SA_EEENS0_18inequality_wrapperIZN2at6native12_GLOBAL__N_124unique_dim_cuda_templateIlEESt5tupleIJNSF_6TensorESK_SK_EERKSK_lbbbEUlllE0_EEPmJS9_EEE10hipError_tPvRmT3_T4_T5_T6_T7_T9_mT8_P12ihipStream_tbDpT10_ENKUlT_T0_E_clISt17integral_constantIbLb0EES19_IbLb1EEEEDaS15_S16_EUlS15_E_NS1_11comp_targetILNS1_3genE9ELNS1_11target_archE1100ELNS1_3gpuE3ELNS1_3repE0EEENS1_30default_config_static_selectorELNS0_4arch9wavefront6targetE0EEEvT1_ ; -- Begin function _ZN7rocprim17ROCPRIM_400000_NS6detail17trampoline_kernelINS0_14default_configENS1_25partition_config_selectorILNS1_17partition_subalgoE9EllbEEZZNS1_14partition_implILS5_9ELb0ES3_jPlS8_PNS0_10empty_typeENS0_5tupleIJS8_S9_EEENSB_IJS8_SA_EEENS0_18inequality_wrapperIZN2at6native12_GLOBAL__N_124unique_dim_cuda_templateIlEESt5tupleIJNSF_6TensorESK_SK_EERKSK_lbbbEUlllE0_EEPmJS9_EEE10hipError_tPvRmT3_T4_T5_T6_T7_T9_mT8_P12ihipStream_tbDpT10_ENKUlT_T0_E_clISt17integral_constantIbLb0EES19_IbLb1EEEEDaS15_S16_EUlS15_E_NS1_11comp_targetILNS1_3genE9ELNS1_11target_archE1100ELNS1_3gpuE3ELNS1_3repE0EEENS1_30default_config_static_selectorELNS0_4arch9wavefront6targetE0EEEvT1_
	.p2align	8
	.type	_ZN7rocprim17ROCPRIM_400000_NS6detail17trampoline_kernelINS0_14default_configENS1_25partition_config_selectorILNS1_17partition_subalgoE9EllbEEZZNS1_14partition_implILS5_9ELb0ES3_jPlS8_PNS0_10empty_typeENS0_5tupleIJS8_S9_EEENSB_IJS8_SA_EEENS0_18inequality_wrapperIZN2at6native12_GLOBAL__N_124unique_dim_cuda_templateIlEESt5tupleIJNSF_6TensorESK_SK_EERKSK_lbbbEUlllE0_EEPmJS9_EEE10hipError_tPvRmT3_T4_T5_T6_T7_T9_mT8_P12ihipStream_tbDpT10_ENKUlT_T0_E_clISt17integral_constantIbLb0EES19_IbLb1EEEEDaS15_S16_EUlS15_E_NS1_11comp_targetILNS1_3genE9ELNS1_11target_archE1100ELNS1_3gpuE3ELNS1_3repE0EEENS1_30default_config_static_selectorELNS0_4arch9wavefront6targetE0EEEvT1_,@function
_ZN7rocprim17ROCPRIM_400000_NS6detail17trampoline_kernelINS0_14default_configENS1_25partition_config_selectorILNS1_17partition_subalgoE9EllbEEZZNS1_14partition_implILS5_9ELb0ES3_jPlS8_PNS0_10empty_typeENS0_5tupleIJS8_S9_EEENSB_IJS8_SA_EEENS0_18inequality_wrapperIZN2at6native12_GLOBAL__N_124unique_dim_cuda_templateIlEESt5tupleIJNSF_6TensorESK_SK_EERKSK_lbbbEUlllE0_EEPmJS9_EEE10hipError_tPvRmT3_T4_T5_T6_T7_T9_mT8_P12ihipStream_tbDpT10_ENKUlT_T0_E_clISt17integral_constantIbLb0EES19_IbLb1EEEEDaS15_S16_EUlS15_E_NS1_11comp_targetILNS1_3genE9ELNS1_11target_archE1100ELNS1_3gpuE3ELNS1_3repE0EEENS1_30default_config_static_selectorELNS0_4arch9wavefront6targetE0EEEvT1_: ; @_ZN7rocprim17ROCPRIM_400000_NS6detail17trampoline_kernelINS0_14default_configENS1_25partition_config_selectorILNS1_17partition_subalgoE9EllbEEZZNS1_14partition_implILS5_9ELb0ES3_jPlS8_PNS0_10empty_typeENS0_5tupleIJS8_S9_EEENSB_IJS8_SA_EEENS0_18inequality_wrapperIZN2at6native12_GLOBAL__N_124unique_dim_cuda_templateIlEESt5tupleIJNSF_6TensorESK_SK_EERKSK_lbbbEUlllE0_EEPmJS9_EEE10hipError_tPvRmT3_T4_T5_T6_T7_T9_mT8_P12ihipStream_tbDpT10_ENKUlT_T0_E_clISt17integral_constantIbLb0EES19_IbLb1EEEEDaS15_S16_EUlS15_E_NS1_11comp_targetILNS1_3genE9ELNS1_11target_archE1100ELNS1_3gpuE3ELNS1_3repE0EEENS1_30default_config_static_selectorELNS0_4arch9wavefront6targetE0EEEvT1_
; %bb.0:
	.section	.rodata,"a",@progbits
	.p2align	6, 0x0
	.amdhsa_kernel _ZN7rocprim17ROCPRIM_400000_NS6detail17trampoline_kernelINS0_14default_configENS1_25partition_config_selectorILNS1_17partition_subalgoE9EllbEEZZNS1_14partition_implILS5_9ELb0ES3_jPlS8_PNS0_10empty_typeENS0_5tupleIJS8_S9_EEENSB_IJS8_SA_EEENS0_18inequality_wrapperIZN2at6native12_GLOBAL__N_124unique_dim_cuda_templateIlEESt5tupleIJNSF_6TensorESK_SK_EERKSK_lbbbEUlllE0_EEPmJS9_EEE10hipError_tPvRmT3_T4_T5_T6_T7_T9_mT8_P12ihipStream_tbDpT10_ENKUlT_T0_E_clISt17integral_constantIbLb0EES19_IbLb1EEEEDaS15_S16_EUlS15_E_NS1_11comp_targetILNS1_3genE9ELNS1_11target_archE1100ELNS1_3gpuE3ELNS1_3repE0EEENS1_30default_config_static_selectorELNS0_4arch9wavefront6targetE0EEEvT1_
		.amdhsa_group_segment_fixed_size 0
		.amdhsa_private_segment_fixed_size 0
		.amdhsa_kernarg_size 136
		.amdhsa_user_sgpr_count 2
		.amdhsa_user_sgpr_dispatch_ptr 0
		.amdhsa_user_sgpr_queue_ptr 0
		.amdhsa_user_sgpr_kernarg_segment_ptr 1
		.amdhsa_user_sgpr_dispatch_id 0
		.amdhsa_user_sgpr_kernarg_preload_length 0
		.amdhsa_user_sgpr_kernarg_preload_offset 0
		.amdhsa_user_sgpr_private_segment_size 0
		.amdhsa_wavefront_size32 1
		.amdhsa_uses_dynamic_stack 0
		.amdhsa_enable_private_segment 0
		.amdhsa_system_sgpr_workgroup_id_x 1
		.amdhsa_system_sgpr_workgroup_id_y 0
		.amdhsa_system_sgpr_workgroup_id_z 0
		.amdhsa_system_sgpr_workgroup_info 0
		.amdhsa_system_vgpr_workitem_id 0
		.amdhsa_next_free_vgpr 1
		.amdhsa_next_free_sgpr 1
		.amdhsa_named_barrier_count 0
		.amdhsa_reserve_vcc 0
		.amdhsa_float_round_mode_32 0
		.amdhsa_float_round_mode_16_64 0
		.amdhsa_float_denorm_mode_32 3
		.amdhsa_float_denorm_mode_16_64 3
		.amdhsa_fp16_overflow 0
		.amdhsa_memory_ordered 1
		.amdhsa_forward_progress 1
		.amdhsa_inst_pref_size 0
		.amdhsa_round_robin_scheduling 0
		.amdhsa_exception_fp_ieee_invalid_op 0
		.amdhsa_exception_fp_denorm_src 0
		.amdhsa_exception_fp_ieee_div_zero 0
		.amdhsa_exception_fp_ieee_overflow 0
		.amdhsa_exception_fp_ieee_underflow 0
		.amdhsa_exception_fp_ieee_inexact 0
		.amdhsa_exception_int_div_zero 0
	.end_amdhsa_kernel
	.section	.text._ZN7rocprim17ROCPRIM_400000_NS6detail17trampoline_kernelINS0_14default_configENS1_25partition_config_selectorILNS1_17partition_subalgoE9EllbEEZZNS1_14partition_implILS5_9ELb0ES3_jPlS8_PNS0_10empty_typeENS0_5tupleIJS8_S9_EEENSB_IJS8_SA_EEENS0_18inequality_wrapperIZN2at6native12_GLOBAL__N_124unique_dim_cuda_templateIlEESt5tupleIJNSF_6TensorESK_SK_EERKSK_lbbbEUlllE0_EEPmJS9_EEE10hipError_tPvRmT3_T4_T5_T6_T7_T9_mT8_P12ihipStream_tbDpT10_ENKUlT_T0_E_clISt17integral_constantIbLb0EES19_IbLb1EEEEDaS15_S16_EUlS15_E_NS1_11comp_targetILNS1_3genE9ELNS1_11target_archE1100ELNS1_3gpuE3ELNS1_3repE0EEENS1_30default_config_static_selectorELNS0_4arch9wavefront6targetE0EEEvT1_,"axG",@progbits,_ZN7rocprim17ROCPRIM_400000_NS6detail17trampoline_kernelINS0_14default_configENS1_25partition_config_selectorILNS1_17partition_subalgoE9EllbEEZZNS1_14partition_implILS5_9ELb0ES3_jPlS8_PNS0_10empty_typeENS0_5tupleIJS8_S9_EEENSB_IJS8_SA_EEENS0_18inequality_wrapperIZN2at6native12_GLOBAL__N_124unique_dim_cuda_templateIlEESt5tupleIJNSF_6TensorESK_SK_EERKSK_lbbbEUlllE0_EEPmJS9_EEE10hipError_tPvRmT3_T4_T5_T6_T7_T9_mT8_P12ihipStream_tbDpT10_ENKUlT_T0_E_clISt17integral_constantIbLb0EES19_IbLb1EEEEDaS15_S16_EUlS15_E_NS1_11comp_targetILNS1_3genE9ELNS1_11target_archE1100ELNS1_3gpuE3ELNS1_3repE0EEENS1_30default_config_static_selectorELNS0_4arch9wavefront6targetE0EEEvT1_,comdat
.Lfunc_end625:
	.size	_ZN7rocprim17ROCPRIM_400000_NS6detail17trampoline_kernelINS0_14default_configENS1_25partition_config_selectorILNS1_17partition_subalgoE9EllbEEZZNS1_14partition_implILS5_9ELb0ES3_jPlS8_PNS0_10empty_typeENS0_5tupleIJS8_S9_EEENSB_IJS8_SA_EEENS0_18inequality_wrapperIZN2at6native12_GLOBAL__N_124unique_dim_cuda_templateIlEESt5tupleIJNSF_6TensorESK_SK_EERKSK_lbbbEUlllE0_EEPmJS9_EEE10hipError_tPvRmT3_T4_T5_T6_T7_T9_mT8_P12ihipStream_tbDpT10_ENKUlT_T0_E_clISt17integral_constantIbLb0EES19_IbLb1EEEEDaS15_S16_EUlS15_E_NS1_11comp_targetILNS1_3genE9ELNS1_11target_archE1100ELNS1_3gpuE3ELNS1_3repE0EEENS1_30default_config_static_selectorELNS0_4arch9wavefront6targetE0EEEvT1_, .Lfunc_end625-_ZN7rocprim17ROCPRIM_400000_NS6detail17trampoline_kernelINS0_14default_configENS1_25partition_config_selectorILNS1_17partition_subalgoE9EllbEEZZNS1_14partition_implILS5_9ELb0ES3_jPlS8_PNS0_10empty_typeENS0_5tupleIJS8_S9_EEENSB_IJS8_SA_EEENS0_18inequality_wrapperIZN2at6native12_GLOBAL__N_124unique_dim_cuda_templateIlEESt5tupleIJNSF_6TensorESK_SK_EERKSK_lbbbEUlllE0_EEPmJS9_EEE10hipError_tPvRmT3_T4_T5_T6_T7_T9_mT8_P12ihipStream_tbDpT10_ENKUlT_T0_E_clISt17integral_constantIbLb0EES19_IbLb1EEEEDaS15_S16_EUlS15_E_NS1_11comp_targetILNS1_3genE9ELNS1_11target_archE1100ELNS1_3gpuE3ELNS1_3repE0EEENS1_30default_config_static_selectorELNS0_4arch9wavefront6targetE0EEEvT1_
                                        ; -- End function
	.set _ZN7rocprim17ROCPRIM_400000_NS6detail17trampoline_kernelINS0_14default_configENS1_25partition_config_selectorILNS1_17partition_subalgoE9EllbEEZZNS1_14partition_implILS5_9ELb0ES3_jPlS8_PNS0_10empty_typeENS0_5tupleIJS8_S9_EEENSB_IJS8_SA_EEENS0_18inequality_wrapperIZN2at6native12_GLOBAL__N_124unique_dim_cuda_templateIlEESt5tupleIJNSF_6TensorESK_SK_EERKSK_lbbbEUlllE0_EEPmJS9_EEE10hipError_tPvRmT3_T4_T5_T6_T7_T9_mT8_P12ihipStream_tbDpT10_ENKUlT_T0_E_clISt17integral_constantIbLb0EES19_IbLb1EEEEDaS15_S16_EUlS15_E_NS1_11comp_targetILNS1_3genE9ELNS1_11target_archE1100ELNS1_3gpuE3ELNS1_3repE0EEENS1_30default_config_static_selectorELNS0_4arch9wavefront6targetE0EEEvT1_.num_vgpr, 0
	.set _ZN7rocprim17ROCPRIM_400000_NS6detail17trampoline_kernelINS0_14default_configENS1_25partition_config_selectorILNS1_17partition_subalgoE9EllbEEZZNS1_14partition_implILS5_9ELb0ES3_jPlS8_PNS0_10empty_typeENS0_5tupleIJS8_S9_EEENSB_IJS8_SA_EEENS0_18inequality_wrapperIZN2at6native12_GLOBAL__N_124unique_dim_cuda_templateIlEESt5tupleIJNSF_6TensorESK_SK_EERKSK_lbbbEUlllE0_EEPmJS9_EEE10hipError_tPvRmT3_T4_T5_T6_T7_T9_mT8_P12ihipStream_tbDpT10_ENKUlT_T0_E_clISt17integral_constantIbLb0EES19_IbLb1EEEEDaS15_S16_EUlS15_E_NS1_11comp_targetILNS1_3genE9ELNS1_11target_archE1100ELNS1_3gpuE3ELNS1_3repE0EEENS1_30default_config_static_selectorELNS0_4arch9wavefront6targetE0EEEvT1_.num_agpr, 0
	.set _ZN7rocprim17ROCPRIM_400000_NS6detail17trampoline_kernelINS0_14default_configENS1_25partition_config_selectorILNS1_17partition_subalgoE9EllbEEZZNS1_14partition_implILS5_9ELb0ES3_jPlS8_PNS0_10empty_typeENS0_5tupleIJS8_S9_EEENSB_IJS8_SA_EEENS0_18inequality_wrapperIZN2at6native12_GLOBAL__N_124unique_dim_cuda_templateIlEESt5tupleIJNSF_6TensorESK_SK_EERKSK_lbbbEUlllE0_EEPmJS9_EEE10hipError_tPvRmT3_T4_T5_T6_T7_T9_mT8_P12ihipStream_tbDpT10_ENKUlT_T0_E_clISt17integral_constantIbLb0EES19_IbLb1EEEEDaS15_S16_EUlS15_E_NS1_11comp_targetILNS1_3genE9ELNS1_11target_archE1100ELNS1_3gpuE3ELNS1_3repE0EEENS1_30default_config_static_selectorELNS0_4arch9wavefront6targetE0EEEvT1_.numbered_sgpr, 0
	.set _ZN7rocprim17ROCPRIM_400000_NS6detail17trampoline_kernelINS0_14default_configENS1_25partition_config_selectorILNS1_17partition_subalgoE9EllbEEZZNS1_14partition_implILS5_9ELb0ES3_jPlS8_PNS0_10empty_typeENS0_5tupleIJS8_S9_EEENSB_IJS8_SA_EEENS0_18inequality_wrapperIZN2at6native12_GLOBAL__N_124unique_dim_cuda_templateIlEESt5tupleIJNSF_6TensorESK_SK_EERKSK_lbbbEUlllE0_EEPmJS9_EEE10hipError_tPvRmT3_T4_T5_T6_T7_T9_mT8_P12ihipStream_tbDpT10_ENKUlT_T0_E_clISt17integral_constantIbLb0EES19_IbLb1EEEEDaS15_S16_EUlS15_E_NS1_11comp_targetILNS1_3genE9ELNS1_11target_archE1100ELNS1_3gpuE3ELNS1_3repE0EEENS1_30default_config_static_selectorELNS0_4arch9wavefront6targetE0EEEvT1_.num_named_barrier, 0
	.set _ZN7rocprim17ROCPRIM_400000_NS6detail17trampoline_kernelINS0_14default_configENS1_25partition_config_selectorILNS1_17partition_subalgoE9EllbEEZZNS1_14partition_implILS5_9ELb0ES3_jPlS8_PNS0_10empty_typeENS0_5tupleIJS8_S9_EEENSB_IJS8_SA_EEENS0_18inequality_wrapperIZN2at6native12_GLOBAL__N_124unique_dim_cuda_templateIlEESt5tupleIJNSF_6TensorESK_SK_EERKSK_lbbbEUlllE0_EEPmJS9_EEE10hipError_tPvRmT3_T4_T5_T6_T7_T9_mT8_P12ihipStream_tbDpT10_ENKUlT_T0_E_clISt17integral_constantIbLb0EES19_IbLb1EEEEDaS15_S16_EUlS15_E_NS1_11comp_targetILNS1_3genE9ELNS1_11target_archE1100ELNS1_3gpuE3ELNS1_3repE0EEENS1_30default_config_static_selectorELNS0_4arch9wavefront6targetE0EEEvT1_.private_seg_size, 0
	.set _ZN7rocprim17ROCPRIM_400000_NS6detail17trampoline_kernelINS0_14default_configENS1_25partition_config_selectorILNS1_17partition_subalgoE9EllbEEZZNS1_14partition_implILS5_9ELb0ES3_jPlS8_PNS0_10empty_typeENS0_5tupleIJS8_S9_EEENSB_IJS8_SA_EEENS0_18inequality_wrapperIZN2at6native12_GLOBAL__N_124unique_dim_cuda_templateIlEESt5tupleIJNSF_6TensorESK_SK_EERKSK_lbbbEUlllE0_EEPmJS9_EEE10hipError_tPvRmT3_T4_T5_T6_T7_T9_mT8_P12ihipStream_tbDpT10_ENKUlT_T0_E_clISt17integral_constantIbLb0EES19_IbLb1EEEEDaS15_S16_EUlS15_E_NS1_11comp_targetILNS1_3genE9ELNS1_11target_archE1100ELNS1_3gpuE3ELNS1_3repE0EEENS1_30default_config_static_selectorELNS0_4arch9wavefront6targetE0EEEvT1_.uses_vcc, 0
	.set _ZN7rocprim17ROCPRIM_400000_NS6detail17trampoline_kernelINS0_14default_configENS1_25partition_config_selectorILNS1_17partition_subalgoE9EllbEEZZNS1_14partition_implILS5_9ELb0ES3_jPlS8_PNS0_10empty_typeENS0_5tupleIJS8_S9_EEENSB_IJS8_SA_EEENS0_18inequality_wrapperIZN2at6native12_GLOBAL__N_124unique_dim_cuda_templateIlEESt5tupleIJNSF_6TensorESK_SK_EERKSK_lbbbEUlllE0_EEPmJS9_EEE10hipError_tPvRmT3_T4_T5_T6_T7_T9_mT8_P12ihipStream_tbDpT10_ENKUlT_T0_E_clISt17integral_constantIbLb0EES19_IbLb1EEEEDaS15_S16_EUlS15_E_NS1_11comp_targetILNS1_3genE9ELNS1_11target_archE1100ELNS1_3gpuE3ELNS1_3repE0EEENS1_30default_config_static_selectorELNS0_4arch9wavefront6targetE0EEEvT1_.uses_flat_scratch, 0
	.set _ZN7rocprim17ROCPRIM_400000_NS6detail17trampoline_kernelINS0_14default_configENS1_25partition_config_selectorILNS1_17partition_subalgoE9EllbEEZZNS1_14partition_implILS5_9ELb0ES3_jPlS8_PNS0_10empty_typeENS0_5tupleIJS8_S9_EEENSB_IJS8_SA_EEENS0_18inequality_wrapperIZN2at6native12_GLOBAL__N_124unique_dim_cuda_templateIlEESt5tupleIJNSF_6TensorESK_SK_EERKSK_lbbbEUlllE0_EEPmJS9_EEE10hipError_tPvRmT3_T4_T5_T6_T7_T9_mT8_P12ihipStream_tbDpT10_ENKUlT_T0_E_clISt17integral_constantIbLb0EES19_IbLb1EEEEDaS15_S16_EUlS15_E_NS1_11comp_targetILNS1_3genE9ELNS1_11target_archE1100ELNS1_3gpuE3ELNS1_3repE0EEENS1_30default_config_static_selectorELNS0_4arch9wavefront6targetE0EEEvT1_.has_dyn_sized_stack, 0
	.set _ZN7rocprim17ROCPRIM_400000_NS6detail17trampoline_kernelINS0_14default_configENS1_25partition_config_selectorILNS1_17partition_subalgoE9EllbEEZZNS1_14partition_implILS5_9ELb0ES3_jPlS8_PNS0_10empty_typeENS0_5tupleIJS8_S9_EEENSB_IJS8_SA_EEENS0_18inequality_wrapperIZN2at6native12_GLOBAL__N_124unique_dim_cuda_templateIlEESt5tupleIJNSF_6TensorESK_SK_EERKSK_lbbbEUlllE0_EEPmJS9_EEE10hipError_tPvRmT3_T4_T5_T6_T7_T9_mT8_P12ihipStream_tbDpT10_ENKUlT_T0_E_clISt17integral_constantIbLb0EES19_IbLb1EEEEDaS15_S16_EUlS15_E_NS1_11comp_targetILNS1_3genE9ELNS1_11target_archE1100ELNS1_3gpuE3ELNS1_3repE0EEENS1_30default_config_static_selectorELNS0_4arch9wavefront6targetE0EEEvT1_.has_recursion, 0
	.set _ZN7rocprim17ROCPRIM_400000_NS6detail17trampoline_kernelINS0_14default_configENS1_25partition_config_selectorILNS1_17partition_subalgoE9EllbEEZZNS1_14partition_implILS5_9ELb0ES3_jPlS8_PNS0_10empty_typeENS0_5tupleIJS8_S9_EEENSB_IJS8_SA_EEENS0_18inequality_wrapperIZN2at6native12_GLOBAL__N_124unique_dim_cuda_templateIlEESt5tupleIJNSF_6TensorESK_SK_EERKSK_lbbbEUlllE0_EEPmJS9_EEE10hipError_tPvRmT3_T4_T5_T6_T7_T9_mT8_P12ihipStream_tbDpT10_ENKUlT_T0_E_clISt17integral_constantIbLb0EES19_IbLb1EEEEDaS15_S16_EUlS15_E_NS1_11comp_targetILNS1_3genE9ELNS1_11target_archE1100ELNS1_3gpuE3ELNS1_3repE0EEENS1_30default_config_static_selectorELNS0_4arch9wavefront6targetE0EEEvT1_.has_indirect_call, 0
	.section	.AMDGPU.csdata,"",@progbits
; Kernel info:
; codeLenInByte = 0
; TotalNumSgprs: 0
; NumVgprs: 0
; ScratchSize: 0
; MemoryBound: 0
; FloatMode: 240
; IeeeMode: 1
; LDSByteSize: 0 bytes/workgroup (compile time only)
; SGPRBlocks: 0
; VGPRBlocks: 0
; NumSGPRsForWavesPerEU: 1
; NumVGPRsForWavesPerEU: 1
; NamedBarCnt: 0
; Occupancy: 16
; WaveLimiterHint : 0
; COMPUTE_PGM_RSRC2:SCRATCH_EN: 0
; COMPUTE_PGM_RSRC2:USER_SGPR: 2
; COMPUTE_PGM_RSRC2:TRAP_HANDLER: 0
; COMPUTE_PGM_RSRC2:TGID_X_EN: 1
; COMPUTE_PGM_RSRC2:TGID_Y_EN: 0
; COMPUTE_PGM_RSRC2:TGID_Z_EN: 0
; COMPUTE_PGM_RSRC2:TIDIG_COMP_CNT: 0
	.section	.text._ZN7rocprim17ROCPRIM_400000_NS6detail17trampoline_kernelINS0_14default_configENS1_25partition_config_selectorILNS1_17partition_subalgoE9EllbEEZZNS1_14partition_implILS5_9ELb0ES3_jPlS8_PNS0_10empty_typeENS0_5tupleIJS8_S9_EEENSB_IJS8_SA_EEENS0_18inequality_wrapperIZN2at6native12_GLOBAL__N_124unique_dim_cuda_templateIlEESt5tupleIJNSF_6TensorESK_SK_EERKSK_lbbbEUlllE0_EEPmJS9_EEE10hipError_tPvRmT3_T4_T5_T6_T7_T9_mT8_P12ihipStream_tbDpT10_ENKUlT_T0_E_clISt17integral_constantIbLb0EES19_IbLb1EEEEDaS15_S16_EUlS15_E_NS1_11comp_targetILNS1_3genE8ELNS1_11target_archE1030ELNS1_3gpuE2ELNS1_3repE0EEENS1_30default_config_static_selectorELNS0_4arch9wavefront6targetE0EEEvT1_,"axG",@progbits,_ZN7rocprim17ROCPRIM_400000_NS6detail17trampoline_kernelINS0_14default_configENS1_25partition_config_selectorILNS1_17partition_subalgoE9EllbEEZZNS1_14partition_implILS5_9ELb0ES3_jPlS8_PNS0_10empty_typeENS0_5tupleIJS8_S9_EEENSB_IJS8_SA_EEENS0_18inequality_wrapperIZN2at6native12_GLOBAL__N_124unique_dim_cuda_templateIlEESt5tupleIJNSF_6TensorESK_SK_EERKSK_lbbbEUlllE0_EEPmJS9_EEE10hipError_tPvRmT3_T4_T5_T6_T7_T9_mT8_P12ihipStream_tbDpT10_ENKUlT_T0_E_clISt17integral_constantIbLb0EES19_IbLb1EEEEDaS15_S16_EUlS15_E_NS1_11comp_targetILNS1_3genE8ELNS1_11target_archE1030ELNS1_3gpuE2ELNS1_3repE0EEENS1_30default_config_static_selectorELNS0_4arch9wavefront6targetE0EEEvT1_,comdat
	.globl	_ZN7rocprim17ROCPRIM_400000_NS6detail17trampoline_kernelINS0_14default_configENS1_25partition_config_selectorILNS1_17partition_subalgoE9EllbEEZZNS1_14partition_implILS5_9ELb0ES3_jPlS8_PNS0_10empty_typeENS0_5tupleIJS8_S9_EEENSB_IJS8_SA_EEENS0_18inequality_wrapperIZN2at6native12_GLOBAL__N_124unique_dim_cuda_templateIlEESt5tupleIJNSF_6TensorESK_SK_EERKSK_lbbbEUlllE0_EEPmJS9_EEE10hipError_tPvRmT3_T4_T5_T6_T7_T9_mT8_P12ihipStream_tbDpT10_ENKUlT_T0_E_clISt17integral_constantIbLb0EES19_IbLb1EEEEDaS15_S16_EUlS15_E_NS1_11comp_targetILNS1_3genE8ELNS1_11target_archE1030ELNS1_3gpuE2ELNS1_3repE0EEENS1_30default_config_static_selectorELNS0_4arch9wavefront6targetE0EEEvT1_ ; -- Begin function _ZN7rocprim17ROCPRIM_400000_NS6detail17trampoline_kernelINS0_14default_configENS1_25partition_config_selectorILNS1_17partition_subalgoE9EllbEEZZNS1_14partition_implILS5_9ELb0ES3_jPlS8_PNS0_10empty_typeENS0_5tupleIJS8_S9_EEENSB_IJS8_SA_EEENS0_18inequality_wrapperIZN2at6native12_GLOBAL__N_124unique_dim_cuda_templateIlEESt5tupleIJNSF_6TensorESK_SK_EERKSK_lbbbEUlllE0_EEPmJS9_EEE10hipError_tPvRmT3_T4_T5_T6_T7_T9_mT8_P12ihipStream_tbDpT10_ENKUlT_T0_E_clISt17integral_constantIbLb0EES19_IbLb1EEEEDaS15_S16_EUlS15_E_NS1_11comp_targetILNS1_3genE8ELNS1_11target_archE1030ELNS1_3gpuE2ELNS1_3repE0EEENS1_30default_config_static_selectorELNS0_4arch9wavefront6targetE0EEEvT1_
	.p2align	8
	.type	_ZN7rocprim17ROCPRIM_400000_NS6detail17trampoline_kernelINS0_14default_configENS1_25partition_config_selectorILNS1_17partition_subalgoE9EllbEEZZNS1_14partition_implILS5_9ELb0ES3_jPlS8_PNS0_10empty_typeENS0_5tupleIJS8_S9_EEENSB_IJS8_SA_EEENS0_18inequality_wrapperIZN2at6native12_GLOBAL__N_124unique_dim_cuda_templateIlEESt5tupleIJNSF_6TensorESK_SK_EERKSK_lbbbEUlllE0_EEPmJS9_EEE10hipError_tPvRmT3_T4_T5_T6_T7_T9_mT8_P12ihipStream_tbDpT10_ENKUlT_T0_E_clISt17integral_constantIbLb0EES19_IbLb1EEEEDaS15_S16_EUlS15_E_NS1_11comp_targetILNS1_3genE8ELNS1_11target_archE1030ELNS1_3gpuE2ELNS1_3repE0EEENS1_30default_config_static_selectorELNS0_4arch9wavefront6targetE0EEEvT1_,@function
_ZN7rocprim17ROCPRIM_400000_NS6detail17trampoline_kernelINS0_14default_configENS1_25partition_config_selectorILNS1_17partition_subalgoE9EllbEEZZNS1_14partition_implILS5_9ELb0ES3_jPlS8_PNS0_10empty_typeENS0_5tupleIJS8_S9_EEENSB_IJS8_SA_EEENS0_18inequality_wrapperIZN2at6native12_GLOBAL__N_124unique_dim_cuda_templateIlEESt5tupleIJNSF_6TensorESK_SK_EERKSK_lbbbEUlllE0_EEPmJS9_EEE10hipError_tPvRmT3_T4_T5_T6_T7_T9_mT8_P12ihipStream_tbDpT10_ENKUlT_T0_E_clISt17integral_constantIbLb0EES19_IbLb1EEEEDaS15_S16_EUlS15_E_NS1_11comp_targetILNS1_3genE8ELNS1_11target_archE1030ELNS1_3gpuE2ELNS1_3repE0EEENS1_30default_config_static_selectorELNS0_4arch9wavefront6targetE0EEEvT1_: ; @_ZN7rocprim17ROCPRIM_400000_NS6detail17trampoline_kernelINS0_14default_configENS1_25partition_config_selectorILNS1_17partition_subalgoE9EllbEEZZNS1_14partition_implILS5_9ELb0ES3_jPlS8_PNS0_10empty_typeENS0_5tupleIJS8_S9_EEENSB_IJS8_SA_EEENS0_18inequality_wrapperIZN2at6native12_GLOBAL__N_124unique_dim_cuda_templateIlEESt5tupleIJNSF_6TensorESK_SK_EERKSK_lbbbEUlllE0_EEPmJS9_EEE10hipError_tPvRmT3_T4_T5_T6_T7_T9_mT8_P12ihipStream_tbDpT10_ENKUlT_T0_E_clISt17integral_constantIbLb0EES19_IbLb1EEEEDaS15_S16_EUlS15_E_NS1_11comp_targetILNS1_3genE8ELNS1_11target_archE1030ELNS1_3gpuE2ELNS1_3repE0EEENS1_30default_config_static_selectorELNS0_4arch9wavefront6targetE0EEEvT1_
; %bb.0:
	.section	.rodata,"a",@progbits
	.p2align	6, 0x0
	.amdhsa_kernel _ZN7rocprim17ROCPRIM_400000_NS6detail17trampoline_kernelINS0_14default_configENS1_25partition_config_selectorILNS1_17partition_subalgoE9EllbEEZZNS1_14partition_implILS5_9ELb0ES3_jPlS8_PNS0_10empty_typeENS0_5tupleIJS8_S9_EEENSB_IJS8_SA_EEENS0_18inequality_wrapperIZN2at6native12_GLOBAL__N_124unique_dim_cuda_templateIlEESt5tupleIJNSF_6TensorESK_SK_EERKSK_lbbbEUlllE0_EEPmJS9_EEE10hipError_tPvRmT3_T4_T5_T6_T7_T9_mT8_P12ihipStream_tbDpT10_ENKUlT_T0_E_clISt17integral_constantIbLb0EES19_IbLb1EEEEDaS15_S16_EUlS15_E_NS1_11comp_targetILNS1_3genE8ELNS1_11target_archE1030ELNS1_3gpuE2ELNS1_3repE0EEENS1_30default_config_static_selectorELNS0_4arch9wavefront6targetE0EEEvT1_
		.amdhsa_group_segment_fixed_size 0
		.amdhsa_private_segment_fixed_size 0
		.amdhsa_kernarg_size 136
		.amdhsa_user_sgpr_count 2
		.amdhsa_user_sgpr_dispatch_ptr 0
		.amdhsa_user_sgpr_queue_ptr 0
		.amdhsa_user_sgpr_kernarg_segment_ptr 1
		.amdhsa_user_sgpr_dispatch_id 0
		.amdhsa_user_sgpr_kernarg_preload_length 0
		.amdhsa_user_sgpr_kernarg_preload_offset 0
		.amdhsa_user_sgpr_private_segment_size 0
		.amdhsa_wavefront_size32 1
		.amdhsa_uses_dynamic_stack 0
		.amdhsa_enable_private_segment 0
		.amdhsa_system_sgpr_workgroup_id_x 1
		.amdhsa_system_sgpr_workgroup_id_y 0
		.amdhsa_system_sgpr_workgroup_id_z 0
		.amdhsa_system_sgpr_workgroup_info 0
		.amdhsa_system_vgpr_workitem_id 0
		.amdhsa_next_free_vgpr 1
		.amdhsa_next_free_sgpr 1
		.amdhsa_named_barrier_count 0
		.amdhsa_reserve_vcc 0
		.amdhsa_float_round_mode_32 0
		.amdhsa_float_round_mode_16_64 0
		.amdhsa_float_denorm_mode_32 3
		.amdhsa_float_denorm_mode_16_64 3
		.amdhsa_fp16_overflow 0
		.amdhsa_memory_ordered 1
		.amdhsa_forward_progress 1
		.amdhsa_inst_pref_size 0
		.amdhsa_round_robin_scheduling 0
		.amdhsa_exception_fp_ieee_invalid_op 0
		.amdhsa_exception_fp_denorm_src 0
		.amdhsa_exception_fp_ieee_div_zero 0
		.amdhsa_exception_fp_ieee_overflow 0
		.amdhsa_exception_fp_ieee_underflow 0
		.amdhsa_exception_fp_ieee_inexact 0
		.amdhsa_exception_int_div_zero 0
	.end_amdhsa_kernel
	.section	.text._ZN7rocprim17ROCPRIM_400000_NS6detail17trampoline_kernelINS0_14default_configENS1_25partition_config_selectorILNS1_17partition_subalgoE9EllbEEZZNS1_14partition_implILS5_9ELb0ES3_jPlS8_PNS0_10empty_typeENS0_5tupleIJS8_S9_EEENSB_IJS8_SA_EEENS0_18inequality_wrapperIZN2at6native12_GLOBAL__N_124unique_dim_cuda_templateIlEESt5tupleIJNSF_6TensorESK_SK_EERKSK_lbbbEUlllE0_EEPmJS9_EEE10hipError_tPvRmT3_T4_T5_T6_T7_T9_mT8_P12ihipStream_tbDpT10_ENKUlT_T0_E_clISt17integral_constantIbLb0EES19_IbLb1EEEEDaS15_S16_EUlS15_E_NS1_11comp_targetILNS1_3genE8ELNS1_11target_archE1030ELNS1_3gpuE2ELNS1_3repE0EEENS1_30default_config_static_selectorELNS0_4arch9wavefront6targetE0EEEvT1_,"axG",@progbits,_ZN7rocprim17ROCPRIM_400000_NS6detail17trampoline_kernelINS0_14default_configENS1_25partition_config_selectorILNS1_17partition_subalgoE9EllbEEZZNS1_14partition_implILS5_9ELb0ES3_jPlS8_PNS0_10empty_typeENS0_5tupleIJS8_S9_EEENSB_IJS8_SA_EEENS0_18inequality_wrapperIZN2at6native12_GLOBAL__N_124unique_dim_cuda_templateIlEESt5tupleIJNSF_6TensorESK_SK_EERKSK_lbbbEUlllE0_EEPmJS9_EEE10hipError_tPvRmT3_T4_T5_T6_T7_T9_mT8_P12ihipStream_tbDpT10_ENKUlT_T0_E_clISt17integral_constantIbLb0EES19_IbLb1EEEEDaS15_S16_EUlS15_E_NS1_11comp_targetILNS1_3genE8ELNS1_11target_archE1030ELNS1_3gpuE2ELNS1_3repE0EEENS1_30default_config_static_selectorELNS0_4arch9wavefront6targetE0EEEvT1_,comdat
.Lfunc_end626:
	.size	_ZN7rocprim17ROCPRIM_400000_NS6detail17trampoline_kernelINS0_14default_configENS1_25partition_config_selectorILNS1_17partition_subalgoE9EllbEEZZNS1_14partition_implILS5_9ELb0ES3_jPlS8_PNS0_10empty_typeENS0_5tupleIJS8_S9_EEENSB_IJS8_SA_EEENS0_18inequality_wrapperIZN2at6native12_GLOBAL__N_124unique_dim_cuda_templateIlEESt5tupleIJNSF_6TensorESK_SK_EERKSK_lbbbEUlllE0_EEPmJS9_EEE10hipError_tPvRmT3_T4_T5_T6_T7_T9_mT8_P12ihipStream_tbDpT10_ENKUlT_T0_E_clISt17integral_constantIbLb0EES19_IbLb1EEEEDaS15_S16_EUlS15_E_NS1_11comp_targetILNS1_3genE8ELNS1_11target_archE1030ELNS1_3gpuE2ELNS1_3repE0EEENS1_30default_config_static_selectorELNS0_4arch9wavefront6targetE0EEEvT1_, .Lfunc_end626-_ZN7rocprim17ROCPRIM_400000_NS6detail17trampoline_kernelINS0_14default_configENS1_25partition_config_selectorILNS1_17partition_subalgoE9EllbEEZZNS1_14partition_implILS5_9ELb0ES3_jPlS8_PNS0_10empty_typeENS0_5tupleIJS8_S9_EEENSB_IJS8_SA_EEENS0_18inequality_wrapperIZN2at6native12_GLOBAL__N_124unique_dim_cuda_templateIlEESt5tupleIJNSF_6TensorESK_SK_EERKSK_lbbbEUlllE0_EEPmJS9_EEE10hipError_tPvRmT3_T4_T5_T6_T7_T9_mT8_P12ihipStream_tbDpT10_ENKUlT_T0_E_clISt17integral_constantIbLb0EES19_IbLb1EEEEDaS15_S16_EUlS15_E_NS1_11comp_targetILNS1_3genE8ELNS1_11target_archE1030ELNS1_3gpuE2ELNS1_3repE0EEENS1_30default_config_static_selectorELNS0_4arch9wavefront6targetE0EEEvT1_
                                        ; -- End function
	.set _ZN7rocprim17ROCPRIM_400000_NS6detail17trampoline_kernelINS0_14default_configENS1_25partition_config_selectorILNS1_17partition_subalgoE9EllbEEZZNS1_14partition_implILS5_9ELb0ES3_jPlS8_PNS0_10empty_typeENS0_5tupleIJS8_S9_EEENSB_IJS8_SA_EEENS0_18inequality_wrapperIZN2at6native12_GLOBAL__N_124unique_dim_cuda_templateIlEESt5tupleIJNSF_6TensorESK_SK_EERKSK_lbbbEUlllE0_EEPmJS9_EEE10hipError_tPvRmT3_T4_T5_T6_T7_T9_mT8_P12ihipStream_tbDpT10_ENKUlT_T0_E_clISt17integral_constantIbLb0EES19_IbLb1EEEEDaS15_S16_EUlS15_E_NS1_11comp_targetILNS1_3genE8ELNS1_11target_archE1030ELNS1_3gpuE2ELNS1_3repE0EEENS1_30default_config_static_selectorELNS0_4arch9wavefront6targetE0EEEvT1_.num_vgpr, 0
	.set _ZN7rocprim17ROCPRIM_400000_NS6detail17trampoline_kernelINS0_14default_configENS1_25partition_config_selectorILNS1_17partition_subalgoE9EllbEEZZNS1_14partition_implILS5_9ELb0ES3_jPlS8_PNS0_10empty_typeENS0_5tupleIJS8_S9_EEENSB_IJS8_SA_EEENS0_18inequality_wrapperIZN2at6native12_GLOBAL__N_124unique_dim_cuda_templateIlEESt5tupleIJNSF_6TensorESK_SK_EERKSK_lbbbEUlllE0_EEPmJS9_EEE10hipError_tPvRmT3_T4_T5_T6_T7_T9_mT8_P12ihipStream_tbDpT10_ENKUlT_T0_E_clISt17integral_constantIbLb0EES19_IbLb1EEEEDaS15_S16_EUlS15_E_NS1_11comp_targetILNS1_3genE8ELNS1_11target_archE1030ELNS1_3gpuE2ELNS1_3repE0EEENS1_30default_config_static_selectorELNS0_4arch9wavefront6targetE0EEEvT1_.num_agpr, 0
	.set _ZN7rocprim17ROCPRIM_400000_NS6detail17trampoline_kernelINS0_14default_configENS1_25partition_config_selectorILNS1_17partition_subalgoE9EllbEEZZNS1_14partition_implILS5_9ELb0ES3_jPlS8_PNS0_10empty_typeENS0_5tupleIJS8_S9_EEENSB_IJS8_SA_EEENS0_18inequality_wrapperIZN2at6native12_GLOBAL__N_124unique_dim_cuda_templateIlEESt5tupleIJNSF_6TensorESK_SK_EERKSK_lbbbEUlllE0_EEPmJS9_EEE10hipError_tPvRmT3_T4_T5_T6_T7_T9_mT8_P12ihipStream_tbDpT10_ENKUlT_T0_E_clISt17integral_constantIbLb0EES19_IbLb1EEEEDaS15_S16_EUlS15_E_NS1_11comp_targetILNS1_3genE8ELNS1_11target_archE1030ELNS1_3gpuE2ELNS1_3repE0EEENS1_30default_config_static_selectorELNS0_4arch9wavefront6targetE0EEEvT1_.numbered_sgpr, 0
	.set _ZN7rocprim17ROCPRIM_400000_NS6detail17trampoline_kernelINS0_14default_configENS1_25partition_config_selectorILNS1_17partition_subalgoE9EllbEEZZNS1_14partition_implILS5_9ELb0ES3_jPlS8_PNS0_10empty_typeENS0_5tupleIJS8_S9_EEENSB_IJS8_SA_EEENS0_18inequality_wrapperIZN2at6native12_GLOBAL__N_124unique_dim_cuda_templateIlEESt5tupleIJNSF_6TensorESK_SK_EERKSK_lbbbEUlllE0_EEPmJS9_EEE10hipError_tPvRmT3_T4_T5_T6_T7_T9_mT8_P12ihipStream_tbDpT10_ENKUlT_T0_E_clISt17integral_constantIbLb0EES19_IbLb1EEEEDaS15_S16_EUlS15_E_NS1_11comp_targetILNS1_3genE8ELNS1_11target_archE1030ELNS1_3gpuE2ELNS1_3repE0EEENS1_30default_config_static_selectorELNS0_4arch9wavefront6targetE0EEEvT1_.num_named_barrier, 0
	.set _ZN7rocprim17ROCPRIM_400000_NS6detail17trampoline_kernelINS0_14default_configENS1_25partition_config_selectorILNS1_17partition_subalgoE9EllbEEZZNS1_14partition_implILS5_9ELb0ES3_jPlS8_PNS0_10empty_typeENS0_5tupleIJS8_S9_EEENSB_IJS8_SA_EEENS0_18inequality_wrapperIZN2at6native12_GLOBAL__N_124unique_dim_cuda_templateIlEESt5tupleIJNSF_6TensorESK_SK_EERKSK_lbbbEUlllE0_EEPmJS9_EEE10hipError_tPvRmT3_T4_T5_T6_T7_T9_mT8_P12ihipStream_tbDpT10_ENKUlT_T0_E_clISt17integral_constantIbLb0EES19_IbLb1EEEEDaS15_S16_EUlS15_E_NS1_11comp_targetILNS1_3genE8ELNS1_11target_archE1030ELNS1_3gpuE2ELNS1_3repE0EEENS1_30default_config_static_selectorELNS0_4arch9wavefront6targetE0EEEvT1_.private_seg_size, 0
	.set _ZN7rocprim17ROCPRIM_400000_NS6detail17trampoline_kernelINS0_14default_configENS1_25partition_config_selectorILNS1_17partition_subalgoE9EllbEEZZNS1_14partition_implILS5_9ELb0ES3_jPlS8_PNS0_10empty_typeENS0_5tupleIJS8_S9_EEENSB_IJS8_SA_EEENS0_18inequality_wrapperIZN2at6native12_GLOBAL__N_124unique_dim_cuda_templateIlEESt5tupleIJNSF_6TensorESK_SK_EERKSK_lbbbEUlllE0_EEPmJS9_EEE10hipError_tPvRmT3_T4_T5_T6_T7_T9_mT8_P12ihipStream_tbDpT10_ENKUlT_T0_E_clISt17integral_constantIbLb0EES19_IbLb1EEEEDaS15_S16_EUlS15_E_NS1_11comp_targetILNS1_3genE8ELNS1_11target_archE1030ELNS1_3gpuE2ELNS1_3repE0EEENS1_30default_config_static_selectorELNS0_4arch9wavefront6targetE0EEEvT1_.uses_vcc, 0
	.set _ZN7rocprim17ROCPRIM_400000_NS6detail17trampoline_kernelINS0_14default_configENS1_25partition_config_selectorILNS1_17partition_subalgoE9EllbEEZZNS1_14partition_implILS5_9ELb0ES3_jPlS8_PNS0_10empty_typeENS0_5tupleIJS8_S9_EEENSB_IJS8_SA_EEENS0_18inequality_wrapperIZN2at6native12_GLOBAL__N_124unique_dim_cuda_templateIlEESt5tupleIJNSF_6TensorESK_SK_EERKSK_lbbbEUlllE0_EEPmJS9_EEE10hipError_tPvRmT3_T4_T5_T6_T7_T9_mT8_P12ihipStream_tbDpT10_ENKUlT_T0_E_clISt17integral_constantIbLb0EES19_IbLb1EEEEDaS15_S16_EUlS15_E_NS1_11comp_targetILNS1_3genE8ELNS1_11target_archE1030ELNS1_3gpuE2ELNS1_3repE0EEENS1_30default_config_static_selectorELNS0_4arch9wavefront6targetE0EEEvT1_.uses_flat_scratch, 0
	.set _ZN7rocprim17ROCPRIM_400000_NS6detail17trampoline_kernelINS0_14default_configENS1_25partition_config_selectorILNS1_17partition_subalgoE9EllbEEZZNS1_14partition_implILS5_9ELb0ES3_jPlS8_PNS0_10empty_typeENS0_5tupleIJS8_S9_EEENSB_IJS8_SA_EEENS0_18inequality_wrapperIZN2at6native12_GLOBAL__N_124unique_dim_cuda_templateIlEESt5tupleIJNSF_6TensorESK_SK_EERKSK_lbbbEUlllE0_EEPmJS9_EEE10hipError_tPvRmT3_T4_T5_T6_T7_T9_mT8_P12ihipStream_tbDpT10_ENKUlT_T0_E_clISt17integral_constantIbLb0EES19_IbLb1EEEEDaS15_S16_EUlS15_E_NS1_11comp_targetILNS1_3genE8ELNS1_11target_archE1030ELNS1_3gpuE2ELNS1_3repE0EEENS1_30default_config_static_selectorELNS0_4arch9wavefront6targetE0EEEvT1_.has_dyn_sized_stack, 0
	.set _ZN7rocprim17ROCPRIM_400000_NS6detail17trampoline_kernelINS0_14default_configENS1_25partition_config_selectorILNS1_17partition_subalgoE9EllbEEZZNS1_14partition_implILS5_9ELb0ES3_jPlS8_PNS0_10empty_typeENS0_5tupleIJS8_S9_EEENSB_IJS8_SA_EEENS0_18inequality_wrapperIZN2at6native12_GLOBAL__N_124unique_dim_cuda_templateIlEESt5tupleIJNSF_6TensorESK_SK_EERKSK_lbbbEUlllE0_EEPmJS9_EEE10hipError_tPvRmT3_T4_T5_T6_T7_T9_mT8_P12ihipStream_tbDpT10_ENKUlT_T0_E_clISt17integral_constantIbLb0EES19_IbLb1EEEEDaS15_S16_EUlS15_E_NS1_11comp_targetILNS1_3genE8ELNS1_11target_archE1030ELNS1_3gpuE2ELNS1_3repE0EEENS1_30default_config_static_selectorELNS0_4arch9wavefront6targetE0EEEvT1_.has_recursion, 0
	.set _ZN7rocprim17ROCPRIM_400000_NS6detail17trampoline_kernelINS0_14default_configENS1_25partition_config_selectorILNS1_17partition_subalgoE9EllbEEZZNS1_14partition_implILS5_9ELb0ES3_jPlS8_PNS0_10empty_typeENS0_5tupleIJS8_S9_EEENSB_IJS8_SA_EEENS0_18inequality_wrapperIZN2at6native12_GLOBAL__N_124unique_dim_cuda_templateIlEESt5tupleIJNSF_6TensorESK_SK_EERKSK_lbbbEUlllE0_EEPmJS9_EEE10hipError_tPvRmT3_T4_T5_T6_T7_T9_mT8_P12ihipStream_tbDpT10_ENKUlT_T0_E_clISt17integral_constantIbLb0EES19_IbLb1EEEEDaS15_S16_EUlS15_E_NS1_11comp_targetILNS1_3genE8ELNS1_11target_archE1030ELNS1_3gpuE2ELNS1_3repE0EEENS1_30default_config_static_selectorELNS0_4arch9wavefront6targetE0EEEvT1_.has_indirect_call, 0
	.section	.AMDGPU.csdata,"",@progbits
; Kernel info:
; codeLenInByte = 0
; TotalNumSgprs: 0
; NumVgprs: 0
; ScratchSize: 0
; MemoryBound: 0
; FloatMode: 240
; IeeeMode: 1
; LDSByteSize: 0 bytes/workgroup (compile time only)
; SGPRBlocks: 0
; VGPRBlocks: 0
; NumSGPRsForWavesPerEU: 1
; NumVGPRsForWavesPerEU: 1
; NamedBarCnt: 0
; Occupancy: 16
; WaveLimiterHint : 0
; COMPUTE_PGM_RSRC2:SCRATCH_EN: 0
; COMPUTE_PGM_RSRC2:USER_SGPR: 2
; COMPUTE_PGM_RSRC2:TRAP_HANDLER: 0
; COMPUTE_PGM_RSRC2:TGID_X_EN: 1
; COMPUTE_PGM_RSRC2:TGID_Y_EN: 0
; COMPUTE_PGM_RSRC2:TGID_Z_EN: 0
; COMPUTE_PGM_RSRC2:TIDIG_COMP_CNT: 0
	.section	.text._ZN7rocprim17ROCPRIM_400000_NS6detail17trampoline_kernelINS0_14default_configENS1_37merge_sort_block_sort_config_selectorIlNS0_10empty_typeEEEZNS1_21merge_sort_block_sortIS3_PlS8_PS5_S9_ZN2at6native12_GLOBAL__N_124unique_dim_cuda_templateIsEESt5tupleIJNSA_6TensorESF_SF_EERKSF_lbbbEUlllE_EE10hipError_tT0_T1_T2_T3_mRjT4_P12ihipStream_tbNS1_7vsmem_tEEUlT_E_NS1_11comp_targetILNS1_3genE0ELNS1_11target_archE4294967295ELNS1_3gpuE0ELNS1_3repE0EEENS1_30default_config_static_selectorELNS0_4arch9wavefront6targetE0EEEvSM_,"axG",@progbits,_ZN7rocprim17ROCPRIM_400000_NS6detail17trampoline_kernelINS0_14default_configENS1_37merge_sort_block_sort_config_selectorIlNS0_10empty_typeEEEZNS1_21merge_sort_block_sortIS3_PlS8_PS5_S9_ZN2at6native12_GLOBAL__N_124unique_dim_cuda_templateIsEESt5tupleIJNSA_6TensorESF_SF_EERKSF_lbbbEUlllE_EE10hipError_tT0_T1_T2_T3_mRjT4_P12ihipStream_tbNS1_7vsmem_tEEUlT_E_NS1_11comp_targetILNS1_3genE0ELNS1_11target_archE4294967295ELNS1_3gpuE0ELNS1_3repE0EEENS1_30default_config_static_selectorELNS0_4arch9wavefront6targetE0EEEvSM_,comdat
	.globl	_ZN7rocprim17ROCPRIM_400000_NS6detail17trampoline_kernelINS0_14default_configENS1_37merge_sort_block_sort_config_selectorIlNS0_10empty_typeEEEZNS1_21merge_sort_block_sortIS3_PlS8_PS5_S9_ZN2at6native12_GLOBAL__N_124unique_dim_cuda_templateIsEESt5tupleIJNSA_6TensorESF_SF_EERKSF_lbbbEUlllE_EE10hipError_tT0_T1_T2_T3_mRjT4_P12ihipStream_tbNS1_7vsmem_tEEUlT_E_NS1_11comp_targetILNS1_3genE0ELNS1_11target_archE4294967295ELNS1_3gpuE0ELNS1_3repE0EEENS1_30default_config_static_selectorELNS0_4arch9wavefront6targetE0EEEvSM_ ; -- Begin function _ZN7rocprim17ROCPRIM_400000_NS6detail17trampoline_kernelINS0_14default_configENS1_37merge_sort_block_sort_config_selectorIlNS0_10empty_typeEEEZNS1_21merge_sort_block_sortIS3_PlS8_PS5_S9_ZN2at6native12_GLOBAL__N_124unique_dim_cuda_templateIsEESt5tupleIJNSA_6TensorESF_SF_EERKSF_lbbbEUlllE_EE10hipError_tT0_T1_T2_T3_mRjT4_P12ihipStream_tbNS1_7vsmem_tEEUlT_E_NS1_11comp_targetILNS1_3genE0ELNS1_11target_archE4294967295ELNS1_3gpuE0ELNS1_3repE0EEENS1_30default_config_static_selectorELNS0_4arch9wavefront6targetE0EEEvSM_
	.p2align	8
	.type	_ZN7rocprim17ROCPRIM_400000_NS6detail17trampoline_kernelINS0_14default_configENS1_37merge_sort_block_sort_config_selectorIlNS0_10empty_typeEEEZNS1_21merge_sort_block_sortIS3_PlS8_PS5_S9_ZN2at6native12_GLOBAL__N_124unique_dim_cuda_templateIsEESt5tupleIJNSA_6TensorESF_SF_EERKSF_lbbbEUlllE_EE10hipError_tT0_T1_T2_T3_mRjT4_P12ihipStream_tbNS1_7vsmem_tEEUlT_E_NS1_11comp_targetILNS1_3genE0ELNS1_11target_archE4294967295ELNS1_3gpuE0ELNS1_3repE0EEENS1_30default_config_static_selectorELNS0_4arch9wavefront6targetE0EEEvSM_,@function
_ZN7rocprim17ROCPRIM_400000_NS6detail17trampoline_kernelINS0_14default_configENS1_37merge_sort_block_sort_config_selectorIlNS0_10empty_typeEEEZNS1_21merge_sort_block_sortIS3_PlS8_PS5_S9_ZN2at6native12_GLOBAL__N_124unique_dim_cuda_templateIsEESt5tupleIJNSA_6TensorESF_SF_EERKSF_lbbbEUlllE_EE10hipError_tT0_T1_T2_T3_mRjT4_P12ihipStream_tbNS1_7vsmem_tEEUlT_E_NS1_11comp_targetILNS1_3genE0ELNS1_11target_archE4294967295ELNS1_3gpuE0ELNS1_3repE0EEENS1_30default_config_static_selectorELNS0_4arch9wavefront6targetE0EEEvSM_: ; @_ZN7rocprim17ROCPRIM_400000_NS6detail17trampoline_kernelINS0_14default_configENS1_37merge_sort_block_sort_config_selectorIlNS0_10empty_typeEEEZNS1_21merge_sort_block_sortIS3_PlS8_PS5_S9_ZN2at6native12_GLOBAL__N_124unique_dim_cuda_templateIsEESt5tupleIJNSA_6TensorESF_SF_EERKSF_lbbbEUlllE_EE10hipError_tT0_T1_T2_T3_mRjT4_P12ihipStream_tbNS1_7vsmem_tEEUlT_E_NS1_11comp_targetILNS1_3genE0ELNS1_11target_archE4294967295ELNS1_3gpuE0ELNS1_3repE0EEENS1_30default_config_static_selectorELNS0_4arch9wavefront6targetE0EEEvSM_
; %bb.0:
	s_clause 0x1
	s_load_b32 s4, s[0:1], 0x0
	s_load_b64 s[8:9], s[0:1], 0x48
	s_bfe_u32 s2, ttmp6, 0x40010
	s_and_b32 s3, ttmp7, 0xffff
	s_add_co_i32 s2, s2, 1
	s_bfe_u32 s6, ttmp6, 0x4000c
	s_mul_i32 s2, s3, s2
	s_bfe_u32 s5, ttmp6, 0x40004
	s_add_co_i32 s6, s6, 1
	s_bfe_u32 s7, ttmp6, 0x40014
	s_add_co_i32 s5, s5, s2
	s_and_b32 s2, ttmp6, 15
	s_mul_i32 s6, ttmp9, s6
	s_lshr_b32 s10, ttmp7, 16
	s_add_co_i32 s7, s7, 1
	s_add_co_i32 s2, s2, s6
	s_mul_i32 s6, s10, s7
	s_bfe_u32 s7, ttmp6, 0x40008
	s_getreg_b32 s11, hwreg(HW_REG_IB_STS2, 6, 4)
	s_add_co_i32 s7, s7, s6
	s_cmp_eq_u32 s11, 0
	s_cselect_b32 s6, s10, s7
	s_cselect_b32 s3, s3, s5
	s_wait_kmcnt 0x0
	s_mul_i32 s6, s9, s6
	s_cselect_b32 s9, ttmp9, s2
	s_add_co_i32 s2, s6, s3
	s_mov_b32 s3, 0
	s_mul_i32 s2, s2, s8
	s_delay_alu instid0(SALU_CYCLE_1) | instskip(NEXT) | instid1(SALU_CYCLE_1)
	s_add_co_i32 s2, s2, s9
	s_cmp_ge_u32 s2, s4
	s_cbranch_scc1 .LBB627_1486
; %bb.1:
	s_clause 0x2
	s_load_b64 s[4:5], s[0:1], 0x8
	s_load_b128 s[12:15], s[0:1], 0x18
	s_load_b128 s[16:19], s[0:1], 0x38
	v_and_b32_e32 v18, 0x3ff, v0
	s_add_nc_u64 s[10:11], s[0:1], 0x48
	s_wait_xcnt 0x0
	s_lshl_b64 s[0:1], s[2:3], 14
	s_wait_kmcnt 0x0
	s_lshr_b64 s[6:7], s[4:5], 11
	s_add_nc_u64 s[12:13], s[12:13], s[0:1]
	s_cmp_lg_u64 s[6:7], s[2:3]
	s_add_nc_u64 s[20:21], s[14:15], s[0:1]
	s_cbranch_scc0 .LBB627_8
; %bb.2:
	s_clause 0x7
	global_load_b64 v[2:3], v18, s[12:13] scale_offset
	global_load_b64 v[4:5], v18, s[12:13] offset:2048 scale_offset
	global_load_b64 v[6:7], v18, s[12:13] offset:4096 scale_offset
	;; [unrolled: 1-line block ×7, first 2 shown]
	v_dual_lshrrev_b32 v19, 2, v18 :: v_dual_lshlrev_b32 v1, 3, v18
	v_add_nc_u32_e32 v20, 0x100, v18
	v_add_nc_u32_e32 v21, 0x200, v18
	;; [unrolled: 1-line block ×3, first 2 shown]
	v_or_b32_e32 v23, 0x400, v18
	v_add_nc_u32_e32 v24, 0x500, v18
	v_add_nc_u32_e32 v25, 0x600, v18
	;; [unrolled: 1-line block ×3, first 2 shown]
	v_dual_lshlrev_b32 v27, 1, v18 :: v_dual_lshrrev_b32 v20, 2, v20
	v_and_b32_e32 v19, 0xf8, v19
	v_dual_lshrrev_b32 v21, 2, v21 :: v_dual_lshrrev_b32 v22, 2, v22
	v_dual_lshrrev_b32 v23, 2, v23 :: v_dual_lshrrev_b32 v24, 2, v24
	;; [unrolled: 1-line block ×3, first 2 shown]
	v_and_b32_e32 v27, 0x7f8, v27
	v_add_nc_u32_e32 v36, v19, v1
	v_and_b32_e32 v19, 0x1f8, v20
	v_and_b32_e32 v20, 0x1f8, v21
	;; [unrolled: 1-line block ×7, first 2 shown]
	v_lshl_add_u32 v44, v18, 6, v27
	v_dual_add_nc_u32 v37, v19, v1 :: v_dual_add_nc_u32 v38, v20, v1
	v_add_nc_u32_e32 v39, v21, v1
	s_cmp_lt_u32 s9, s8
	v_dual_add_nc_u32 v40, v22, v1 :: v_dual_add_nc_u32 v41, v23, v1
	v_dual_add_nc_u32 v42, v24, v1 :: v_dual_add_nc_u32 v43, v25, v1
	s_mov_b32 s1, 0
	s_cselect_b32 s0, 12, 18
	v_bfe_u32 v19, v0, 10, 10
	s_add_nc_u64 s[0:1], s[10:11], s[0:1]
	v_bfe_u32 v20, v0, 20, 10
	v_cmp_gt_i64_e64 s14, s[16:17], 0
	s_wait_loadcnt 0x7
	ds_store_b64 v36, v[2:3]
	s_wait_loadcnt 0x6
	ds_store_b64 v37, v[4:5] offset:2048
	s_wait_loadcnt 0x5
	ds_store_b64 v38, v[6:7] offset:4096
	;; [unrolled: 2-line block ×7, first 2 shown]
	s_wait_dscnt 0x0
	s_barrier_signal -1
	s_barrier_wait -1
	ds_load_2addr_b64 v[14:17], v44 offset1:1
	ds_load_2addr_b64 v[10:13], v44 offset0:2 offset1:3
	ds_load_2addr_b64 v[6:9], v44 offset0:4 offset1:5
	;; [unrolled: 1-line block ×3, first 2 shown]
	s_wait_dscnt 0x0
	s_barrier_signal -1
	s_barrier_wait -1
	s_load_u16 s5, s[10:11], 0xe
	v_cndmask_b32_e64 v45, 0, 1, s14
	s_load_u16 s0, s[0:1], 0x0
	s_wait_kmcnt 0x0
	v_mad_u32_u24 v19, v20, s5, v19
	s_mov_b32 s5, exec_lo
	s_delay_alu instid0(VALU_DEP_1) | instskip(NEXT) | instid1(VALU_DEP_1)
	v_mul_lo_u32 v19, v19, s0
	v_add_lshl_u32 v24, v19, v18, 3
	v_mov_b32_e32 v19, 0
	s_delay_alu instid0(VALU_DEP_2)
	v_cmpx_gt_u32_e32 0x800, v24
	s_cbranch_execz .LBB627_188
; %bb.3:
	s_and_not1_b32 vcc_lo, exec_lo, s14
	s_cbranch_vccnz .LBB627_18
; %bb.4:
	v_mul_u64_e32 v[20:21], s[16:17], v[16:17]
	v_mul_u64_e32 v[22:23], s[16:17], v[14:15]
	s_mov_b32 s22, 0
	s_mov_b64 s[6:7], s[16:17]
                                        ; implicit-def: $sgpr15
                                        ; implicit-def: $sgpr23
                                        ; implicit-def: $sgpr25
                                        ; implicit-def: $sgpr24
                                        ; implicit-def: $sgpr26
	s_delay_alu instid0(VALU_DEP_2) | instskip(NEXT) | instid1(VALU_DEP_2)
	v_lshl_add_u64 v[20:21], v[20:21], 1, s[18:19]
	v_lshl_add_u64 v[22:23], v[22:23], 1, s[18:19]
	s_branch .LBB627_6
.LBB627_5:                              ;   in Loop: Header=BB627_6 Depth=1
	s_or_b32 exec_lo, exec_lo, s27
	s_and_b32 s0, s0, s26
	s_delay_alu instid0(SALU_CYCLE_1) | instskip(SKIP_1) | instid1(SALU_CYCLE_1)
	s_or_b32 s0, vcc_lo, s0
	s_and_b32 s1, exec_lo, s25
	s_or_b32 s22, s1, s22
	s_and_not1_b32 s1, s26, exec_lo
	s_and_b32 s0, s0, exec_lo
	s_and_not1_b32 s23, s23, exec_lo
	s_and_b32 s27, s24, exec_lo
	s_or_b32 s26, s1, s0
	s_and_not1_b32 s1, s15, exec_lo
	s_or_b32 s23, s23, s27
	s_or_b32 s15, s1, s0
	s_and_not1_b32 exec_lo, exec_lo, s22
	s_cbranch_execz .LBB627_9
.LBB627_6:                              ; =>This Inner Loop Header: Depth=1
	global_load_u16 v25, v[20:21], off
	global_load_u16 v26, v[22:23], off
	s_or_b32 s24, s24, exec_lo
	s_or_b32 s25, s25, exec_lo
	s_mov_b32 s27, exec_lo
	s_wait_loadcnt 0x0
	v_cmp_le_i16_e64 s0, v25, v26
	v_cmp_lt_i16_e32 vcc_lo, v25, v26
	v_cmpx_eq_u16_e64 v25, v26
	s_cbranch_execz .LBB627_5
; %bb.7:                                ;   in Loop: Header=BB627_6 Depth=1
	s_add_nc_u64 s[6:7], s[6:7], -1
	v_add_nc_u64_e32 v[20:21], 2, v[20:21]
	s_cmp_eq_u64 s[6:7], 0
	v_add_nc_u64_e32 v[22:23], 2, v[22:23]
	s_cselect_b32 s1, -1, 0
	s_and_not1_b32 s25, s25, exec_lo
	s_and_b32 s1, s1, exec_lo
	s_and_not1_b32 s24, s24, exec_lo
	s_or_b32 s25, s25, s1
	s_branch .LBB627_5
.LBB627_8:
	s_mov_b32 s24, s3
                                        ; implicit-def: $vgpr2_vgpr3
	s_cbranch_execnz .LBB627_698
	s_branch .LBB627_1484
.LBB627_9:
	s_or_b32 exec_lo, exec_lo, s22
	s_and_saveexec_b32 s0, s23
	s_delay_alu instid0(SALU_CYCLE_1)
	s_xor_b32 s0, exec_lo, s0
; %bb.10:
	v_dual_cndmask_b32 v21, v17, v15, s15 :: v_dual_cndmask_b32 v20, v16, v14, s15
	v_dual_cndmask_b32 v15, v15, v17, s15 :: v_dual_cndmask_b32 v14, v14, v16, s15
	s_delay_alu instid0(VALU_DEP_2)
	v_mov_b64_e32 v[16:17], v[20:21]
; %bb.11:
	s_or_b32 exec_lo, exec_lo, s0
	v_mul_u64_e32 v[20:21], s[16:17], v[12:13]
	v_mul_u64_e32 v[22:23], s[16:17], v[10:11]
	s_mov_b32 s22, 0
	s_mov_b64 s[6:7], s[16:17]
                                        ; implicit-def: $sgpr15
                                        ; implicit-def: $sgpr23
                                        ; implicit-def: $sgpr25
                                        ; implicit-def: $sgpr24
                                        ; implicit-def: $sgpr26
	s_delay_alu instid0(VALU_DEP_2) | instskip(NEXT) | instid1(VALU_DEP_2)
	v_lshl_add_u64 v[20:21], v[20:21], 1, s[18:19]
	v_lshl_add_u64 v[22:23], v[22:23], 1, s[18:19]
	s_branch .LBB627_13
.LBB627_12:                             ;   in Loop: Header=BB627_13 Depth=1
	s_or_b32 exec_lo, exec_lo, s27
	s_and_b32 s0, s0, s26
	s_delay_alu instid0(SALU_CYCLE_1) | instskip(SKIP_1) | instid1(SALU_CYCLE_1)
	s_or_b32 s0, vcc_lo, s0
	s_and_b32 s1, exec_lo, s25
	s_or_b32 s22, s1, s22
	s_and_not1_b32 s1, s26, exec_lo
	s_and_b32 s0, s0, exec_lo
	s_and_not1_b32 s23, s23, exec_lo
	s_and_b32 s27, s24, exec_lo
	s_or_b32 s26, s1, s0
	s_and_not1_b32 s1, s15, exec_lo
	s_or_b32 s23, s23, s27
	s_or_b32 s15, s1, s0
	s_and_not1_b32 exec_lo, exec_lo, s22
	s_cbranch_execz .LBB627_15
.LBB627_13:                             ; =>This Inner Loop Header: Depth=1
	global_load_u16 v25, v[20:21], off
	global_load_u16 v26, v[22:23], off
	s_or_b32 s24, s24, exec_lo
	s_or_b32 s25, s25, exec_lo
	s_mov_b32 s27, exec_lo
	s_wait_loadcnt 0x0
	v_cmp_le_i16_e64 s0, v25, v26
	v_cmp_lt_i16_e32 vcc_lo, v25, v26
	v_cmpx_eq_u16_e64 v25, v26
	s_cbranch_execz .LBB627_12
; %bb.14:                               ;   in Loop: Header=BB627_13 Depth=1
	s_add_nc_u64 s[6:7], s[6:7], -1
	v_add_nc_u64_e32 v[20:21], 2, v[20:21]
	s_cmp_eq_u64 s[6:7], 0
	v_add_nc_u64_e32 v[22:23], 2, v[22:23]
	s_cselect_b32 s1, -1, 0
	s_and_not1_b32 s25, s25, exec_lo
	s_and_b32 s1, s1, exec_lo
	s_and_not1_b32 s24, s24, exec_lo
	s_or_b32 s25, s25, s1
	s_branch .LBB627_12
.LBB627_15:
	s_or_b32 exec_lo, exec_lo, s22
	s_and_saveexec_b32 s0, s23
	s_delay_alu instid0(SALU_CYCLE_1)
	s_xor_b32 s0, exec_lo, s0
; %bb.16:
	v_dual_cndmask_b32 v21, v11, v13, s15 :: v_dual_cndmask_b32 v20, v10, v12, s15
	v_dual_cndmask_b32 v13, v13, v11, s15 :: v_dual_cndmask_b32 v12, v12, v10, s15
	s_delay_alu instid0(VALU_DEP_2)
	v_mov_b64_e32 v[10:11], v[20:21]
; %bb.17:
	s_or_b32 exec_lo, exec_lo, s0
.LBB627_18:
	s_delay_alu instid0(SALU_CYCLE_1)
	s_and_not1_b32 vcc_lo, exec_lo, s14
	s_cbranch_vccnz .LBB627_32
; %bb.19:
	v_mul_u64_e32 v[20:21], s[16:17], v[8:9]
	v_mul_u64_e32 v[22:23], s[16:17], v[6:7]
	s_mov_b32 s22, 0
	s_mov_b64 s[6:7], s[16:17]
                                        ; implicit-def: $sgpr15
                                        ; implicit-def: $sgpr23
                                        ; implicit-def: $sgpr25
                                        ; implicit-def: $sgpr24
                                        ; implicit-def: $sgpr26
	s_delay_alu instid0(VALU_DEP_2) | instskip(NEXT) | instid1(VALU_DEP_2)
	v_lshl_add_u64 v[20:21], v[20:21], 1, s[18:19]
	v_lshl_add_u64 v[22:23], v[22:23], 1, s[18:19]
	s_branch .LBB627_21
.LBB627_20:                             ;   in Loop: Header=BB627_21 Depth=1
	s_or_b32 exec_lo, exec_lo, s27
	s_and_b32 s0, s0, s26
	s_delay_alu instid0(SALU_CYCLE_1) | instskip(SKIP_1) | instid1(SALU_CYCLE_1)
	s_or_b32 s0, vcc_lo, s0
	s_and_b32 s1, exec_lo, s25
	s_or_b32 s22, s1, s22
	s_and_not1_b32 s1, s26, exec_lo
	s_and_b32 s0, s0, exec_lo
	s_and_not1_b32 s23, s23, exec_lo
	s_and_b32 s27, s24, exec_lo
	s_or_b32 s26, s1, s0
	s_and_not1_b32 s1, s15, exec_lo
	s_or_b32 s23, s23, s27
	s_or_b32 s15, s1, s0
	s_and_not1_b32 exec_lo, exec_lo, s22
	s_cbranch_execz .LBB627_23
.LBB627_21:                             ; =>This Inner Loop Header: Depth=1
	global_load_u16 v25, v[20:21], off
	global_load_u16 v26, v[22:23], off
	s_or_b32 s24, s24, exec_lo
	s_or_b32 s25, s25, exec_lo
	s_mov_b32 s27, exec_lo
	s_wait_loadcnt 0x0
	v_cmp_le_i16_e64 s0, v25, v26
	v_cmp_lt_i16_e32 vcc_lo, v25, v26
	v_cmpx_eq_u16_e64 v25, v26
	s_cbranch_execz .LBB627_20
; %bb.22:                               ;   in Loop: Header=BB627_21 Depth=1
	s_add_nc_u64 s[6:7], s[6:7], -1
	v_add_nc_u64_e32 v[20:21], 2, v[20:21]
	s_cmp_eq_u64 s[6:7], 0
	v_add_nc_u64_e32 v[22:23], 2, v[22:23]
	s_cselect_b32 s1, -1, 0
	s_and_not1_b32 s25, s25, exec_lo
	s_and_b32 s1, s1, exec_lo
	s_and_not1_b32 s24, s24, exec_lo
	s_or_b32 s25, s25, s1
	s_branch .LBB627_20
.LBB627_23:
	s_or_b32 exec_lo, exec_lo, s22
	s_and_saveexec_b32 s0, s23
	s_delay_alu instid0(SALU_CYCLE_1)
	s_xor_b32 s0, exec_lo, s0
; %bb.24:
	v_dual_cndmask_b32 v21, v7, v9, s15 :: v_dual_cndmask_b32 v20, v6, v8, s15
	v_dual_cndmask_b32 v9, v9, v7, s15 :: v_dual_cndmask_b32 v8, v8, v6, s15
	s_delay_alu instid0(VALU_DEP_2)
	v_mov_b64_e32 v[6:7], v[20:21]
; %bb.25:
	s_or_b32 exec_lo, exec_lo, s0
	v_mul_u64_e32 v[20:21], s[16:17], v[4:5]
	v_mul_u64_e32 v[22:23], s[16:17], v[2:3]
	s_mov_b32 s22, 0
	s_mov_b64 s[6:7], s[16:17]
                                        ; implicit-def: $sgpr15
                                        ; implicit-def: $sgpr23
                                        ; implicit-def: $sgpr25
                                        ; implicit-def: $sgpr24
                                        ; implicit-def: $sgpr26
	s_delay_alu instid0(VALU_DEP_2) | instskip(NEXT) | instid1(VALU_DEP_2)
	v_lshl_add_u64 v[20:21], v[20:21], 1, s[18:19]
	v_lshl_add_u64 v[22:23], v[22:23], 1, s[18:19]
	s_branch .LBB627_27
.LBB627_26:                             ;   in Loop: Header=BB627_27 Depth=1
	s_or_b32 exec_lo, exec_lo, s27
	s_and_b32 s0, s0, s26
	s_delay_alu instid0(SALU_CYCLE_1) | instskip(SKIP_1) | instid1(SALU_CYCLE_1)
	s_or_b32 s0, vcc_lo, s0
	s_and_b32 s1, exec_lo, s25
	s_or_b32 s22, s1, s22
	s_and_not1_b32 s1, s26, exec_lo
	s_and_b32 s0, s0, exec_lo
	s_and_not1_b32 s23, s23, exec_lo
	s_and_b32 s27, s24, exec_lo
	s_or_b32 s26, s1, s0
	s_and_not1_b32 s1, s15, exec_lo
	s_or_b32 s23, s23, s27
	s_or_b32 s15, s1, s0
	s_and_not1_b32 exec_lo, exec_lo, s22
	s_cbranch_execz .LBB627_29
.LBB627_27:                             ; =>This Inner Loop Header: Depth=1
	global_load_u16 v25, v[20:21], off
	global_load_u16 v26, v[22:23], off
	s_or_b32 s24, s24, exec_lo
	s_or_b32 s25, s25, exec_lo
	s_mov_b32 s27, exec_lo
	s_wait_loadcnt 0x0
	v_cmp_le_i16_e64 s0, v25, v26
	v_cmp_lt_i16_e32 vcc_lo, v25, v26
	v_cmpx_eq_u16_e64 v25, v26
	s_cbranch_execz .LBB627_26
; %bb.28:                               ;   in Loop: Header=BB627_27 Depth=1
	s_add_nc_u64 s[6:7], s[6:7], -1
	v_add_nc_u64_e32 v[20:21], 2, v[20:21]
	s_cmp_eq_u64 s[6:7], 0
	v_add_nc_u64_e32 v[22:23], 2, v[22:23]
	s_cselect_b32 s1, -1, 0
	s_and_not1_b32 s25, s25, exec_lo
	s_and_b32 s1, s1, exec_lo
	s_and_not1_b32 s24, s24, exec_lo
	s_or_b32 s25, s25, s1
	s_branch .LBB627_26
.LBB627_29:
	s_or_b32 exec_lo, exec_lo, s22
	s_and_saveexec_b32 s0, s23
	s_delay_alu instid0(SALU_CYCLE_1)
	s_xor_b32 s0, exec_lo, s0
; %bb.30:
	v_dual_cndmask_b32 v21, v3, v5, s15 :: v_dual_cndmask_b32 v20, v2, v4, s15
	v_dual_cndmask_b32 v5, v5, v3, s15 :: v_dual_cndmask_b32 v4, v4, v2, s15
	s_delay_alu instid0(VALU_DEP_2)
	v_mov_b64_e32 v[2:3], v[20:21]
; %bb.31:
	s_or_b32 exec_lo, exec_lo, s0
.LBB627_32:
	s_delay_alu instid0(SALU_CYCLE_1)
	s_and_b32 vcc_lo, exec_lo, s14
	s_cbranch_vccz .LBB627_46
; %bb.33:
	s_delay_alu instid0(VALU_DEP_1) | instskip(SKIP_3) | instid1(VALU_DEP_2)
	v_mul_u64_e32 v[20:21], s[16:17], v[10:11]
	v_mul_u64_e32 v[22:23], s[16:17], v[16:17]
	s_mov_b32 s15, 0
	s_mov_b64 s[6:7], s[16:17]
                                        ; implicit-def: $sgpr14
                                        ; implicit-def: $sgpr22
                                        ; implicit-def: $sgpr24
                                        ; implicit-def: $sgpr23
                                        ; implicit-def: $sgpr25
	v_lshl_add_u64 v[20:21], v[20:21], 1, s[18:19]
	s_delay_alu instid0(VALU_DEP_2)
	v_lshl_add_u64 v[22:23], v[22:23], 1, s[18:19]
	s_branch .LBB627_35
.LBB627_34:                             ;   in Loop: Header=BB627_35 Depth=1
	s_or_b32 exec_lo, exec_lo, s26
	s_and_b32 s0, s0, s25
	s_delay_alu instid0(SALU_CYCLE_1) | instskip(SKIP_1) | instid1(SALU_CYCLE_1)
	s_or_b32 s0, vcc_lo, s0
	s_and_b32 s1, exec_lo, s24
	s_or_b32 s15, s1, s15
	s_and_not1_b32 s1, s25, exec_lo
	s_and_b32 s0, s0, exec_lo
	s_and_not1_b32 s22, s22, exec_lo
	s_and_b32 s26, s23, exec_lo
	s_or_b32 s25, s1, s0
	s_and_not1_b32 s1, s14, exec_lo
	s_or_b32 s22, s22, s26
	s_or_b32 s14, s1, s0
	s_and_not1_b32 exec_lo, exec_lo, s15
	s_cbranch_execz .LBB627_37
.LBB627_35:                             ; =>This Inner Loop Header: Depth=1
	global_load_u16 v25, v[20:21], off
	global_load_u16 v26, v[22:23], off
	s_or_b32 s23, s23, exec_lo
	s_or_b32 s24, s24, exec_lo
	s_mov_b32 s26, exec_lo
	s_wait_loadcnt 0x0
	v_cmp_le_i16_e64 s0, v25, v26
	v_cmp_lt_i16_e32 vcc_lo, v25, v26
	v_cmpx_eq_u16_e64 v25, v26
	s_cbranch_execz .LBB627_34
; %bb.36:                               ;   in Loop: Header=BB627_35 Depth=1
	s_add_nc_u64 s[6:7], s[6:7], -1
	v_add_nc_u64_e32 v[20:21], 2, v[20:21]
	s_cmp_eq_u64 s[6:7], 0
	v_add_nc_u64_e32 v[22:23], 2, v[22:23]
	s_cselect_b32 s1, -1, 0
	s_and_not1_b32 s24, s24, exec_lo
	s_and_b32 s1, s1, exec_lo
	s_and_not1_b32 s23, s23, exec_lo
	s_or_b32 s24, s24, s1
	s_branch .LBB627_34
.LBB627_37:
	s_or_b32 exec_lo, exec_lo, s15
	s_and_saveexec_b32 s0, s22
	s_delay_alu instid0(SALU_CYCLE_1)
	s_xor_b32 s0, exec_lo, s0
; %bb.38:
	v_dual_cndmask_b32 v21, v17, v11, s14 :: v_dual_cndmask_b32 v20, v16, v10, s14
	v_dual_cndmask_b32 v11, v11, v17, s14 :: v_dual_cndmask_b32 v10, v10, v16, s14
	s_delay_alu instid0(VALU_DEP_2)
	v_mov_b64_e32 v[16:17], v[20:21]
; %bb.39:
	s_or_b32 exec_lo, exec_lo, s0
	v_mul_u64_e32 v[20:21], s[16:17], v[6:7]
	v_mul_u64_e32 v[22:23], s[16:17], v[12:13]
	s_mov_b32 s15, 0
	s_mov_b64 s[6:7], s[16:17]
                                        ; implicit-def: $sgpr14
                                        ; implicit-def: $sgpr22
                                        ; implicit-def: $sgpr24
                                        ; implicit-def: $sgpr23
                                        ; implicit-def: $sgpr25
	s_delay_alu instid0(VALU_DEP_2) | instskip(NEXT) | instid1(VALU_DEP_2)
	v_lshl_add_u64 v[20:21], v[20:21], 1, s[18:19]
	v_lshl_add_u64 v[22:23], v[22:23], 1, s[18:19]
	s_branch .LBB627_41
.LBB627_40:                             ;   in Loop: Header=BB627_41 Depth=1
	s_or_b32 exec_lo, exec_lo, s26
	s_and_b32 s0, s0, s25
	s_delay_alu instid0(SALU_CYCLE_1) | instskip(SKIP_1) | instid1(SALU_CYCLE_1)
	s_or_b32 s0, vcc_lo, s0
	s_and_b32 s1, exec_lo, s24
	s_or_b32 s15, s1, s15
	s_and_not1_b32 s1, s25, exec_lo
	s_and_b32 s0, s0, exec_lo
	s_and_not1_b32 s22, s22, exec_lo
	s_and_b32 s26, s23, exec_lo
	s_or_b32 s25, s1, s0
	s_and_not1_b32 s1, s14, exec_lo
	s_or_b32 s22, s22, s26
	s_or_b32 s14, s1, s0
	s_and_not1_b32 exec_lo, exec_lo, s15
	s_cbranch_execz .LBB627_43
.LBB627_41:                             ; =>This Inner Loop Header: Depth=1
	global_load_u16 v25, v[20:21], off
	global_load_u16 v26, v[22:23], off
	s_or_b32 s23, s23, exec_lo
	s_or_b32 s24, s24, exec_lo
	s_mov_b32 s26, exec_lo
	s_wait_loadcnt 0x0
	v_cmp_le_i16_e64 s0, v25, v26
	v_cmp_lt_i16_e32 vcc_lo, v25, v26
	v_cmpx_eq_u16_e64 v25, v26
	s_cbranch_execz .LBB627_40
; %bb.42:                               ;   in Loop: Header=BB627_41 Depth=1
	s_add_nc_u64 s[6:7], s[6:7], -1
	v_add_nc_u64_e32 v[20:21], 2, v[20:21]
	s_cmp_eq_u64 s[6:7], 0
	v_add_nc_u64_e32 v[22:23], 2, v[22:23]
	s_cselect_b32 s1, -1, 0
	s_and_not1_b32 s24, s24, exec_lo
	s_and_b32 s1, s1, exec_lo
	s_and_not1_b32 s23, s23, exec_lo
	s_or_b32 s24, s24, s1
	s_branch .LBB627_40
.LBB627_43:
	s_or_b32 exec_lo, exec_lo, s15
	s_and_saveexec_b32 s0, s22
	s_delay_alu instid0(SALU_CYCLE_1)
	s_xor_b32 s0, exec_lo, s0
; %bb.44:
	v_dual_cndmask_b32 v21, v13, v7, s14 :: v_dual_cndmask_b32 v20, v12, v6, s14
	v_dual_cndmask_b32 v7, v7, v13, s14 :: v_dual_cndmask_b32 v6, v6, v12, s14
	s_delay_alu instid0(VALU_DEP_2)
	v_mov_b64_e32 v[12:13], v[20:21]
; %bb.45:
	s_or_b32 exec_lo, exec_lo, s0
.LBB627_46:
	v_cmp_ne_u32_e32 vcc_lo, 1, v45
	s_cbranch_vccnz .LBB627_72
; %bb.47:
	s_delay_alu instid0(VALU_DEP_2) | instskip(SKIP_3) | instid1(VALU_DEP_2)
	v_mul_u64_e32 v[20:21], s[16:17], v[2:3]
	v_mul_u64_e32 v[22:23], s[16:17], v[8:9]
	s_mov_b32 s15, 0
	s_mov_b64 s[6:7], s[16:17]
                                        ; implicit-def: $sgpr14
                                        ; implicit-def: $sgpr22
                                        ; implicit-def: $sgpr24
                                        ; implicit-def: $sgpr23
                                        ; implicit-def: $sgpr25
	v_lshl_add_u64 v[20:21], v[20:21], 1, s[18:19]
	s_delay_alu instid0(VALU_DEP_2)
	v_lshl_add_u64 v[22:23], v[22:23], 1, s[18:19]
	s_branch .LBB627_49
.LBB627_48:                             ;   in Loop: Header=BB627_49 Depth=1
	s_or_b32 exec_lo, exec_lo, s26
	s_and_b32 s0, s0, s25
	s_delay_alu instid0(SALU_CYCLE_1) | instskip(SKIP_1) | instid1(SALU_CYCLE_1)
	s_or_b32 s0, vcc_lo, s0
	s_and_b32 s1, exec_lo, s24
	s_or_b32 s15, s1, s15
	s_and_not1_b32 s1, s25, exec_lo
	s_and_b32 s0, s0, exec_lo
	s_and_not1_b32 s22, s22, exec_lo
	s_and_b32 s26, s23, exec_lo
	s_or_b32 s25, s1, s0
	s_and_not1_b32 s1, s14, exec_lo
	s_or_b32 s22, s22, s26
	s_or_b32 s14, s1, s0
	s_and_not1_b32 exec_lo, exec_lo, s15
	s_cbranch_execz .LBB627_51
.LBB627_49:                             ; =>This Inner Loop Header: Depth=1
	global_load_u16 v25, v[20:21], off
	global_load_u16 v26, v[22:23], off
	s_or_b32 s23, s23, exec_lo
	s_or_b32 s24, s24, exec_lo
	s_mov_b32 s26, exec_lo
	s_wait_loadcnt 0x0
	v_cmp_le_i16_e64 s0, v25, v26
	v_cmp_lt_i16_e32 vcc_lo, v25, v26
	v_cmpx_eq_u16_e64 v25, v26
	s_cbranch_execz .LBB627_48
; %bb.50:                               ;   in Loop: Header=BB627_49 Depth=1
	s_add_nc_u64 s[6:7], s[6:7], -1
	v_add_nc_u64_e32 v[20:21], 2, v[20:21]
	s_cmp_eq_u64 s[6:7], 0
	v_add_nc_u64_e32 v[22:23], 2, v[22:23]
	s_cselect_b32 s1, -1, 0
	s_and_not1_b32 s24, s24, exec_lo
	s_and_b32 s1, s1, exec_lo
	s_and_not1_b32 s23, s23, exec_lo
	s_or_b32 s24, s24, s1
	s_branch .LBB627_48
.LBB627_51:
	s_or_b32 exec_lo, exec_lo, s15
	s_and_saveexec_b32 s0, s22
	s_delay_alu instid0(SALU_CYCLE_1)
	s_xor_b32 s0, exec_lo, s0
; %bb.52:
	v_dual_cndmask_b32 v21, v9, v3, s14 :: v_dual_cndmask_b32 v20, v8, v2, s14
	v_dual_cndmask_b32 v3, v3, v9, s14 :: v_dual_cndmask_b32 v2, v2, v8, s14
	s_delay_alu instid0(VALU_DEP_2)
	v_mov_b64_e32 v[8:9], v[20:21]
; %bb.53:
	s_or_b32 exec_lo, exec_lo, s0
	v_mul_u64_e32 v[20:21], s[16:17], v[16:17]
	v_mul_u64_e32 v[22:23], s[16:17], v[14:15]
	s_mov_b32 s15, 0
	s_mov_b64 s[6:7], s[16:17]
                                        ; implicit-def: $sgpr14
                                        ; implicit-def: $sgpr22
                                        ; implicit-def: $sgpr24
                                        ; implicit-def: $sgpr23
                                        ; implicit-def: $sgpr25
	s_delay_alu instid0(VALU_DEP_2) | instskip(NEXT) | instid1(VALU_DEP_2)
	v_lshl_add_u64 v[20:21], v[20:21], 1, s[18:19]
	v_lshl_add_u64 v[22:23], v[22:23], 1, s[18:19]
	s_branch .LBB627_55
.LBB627_54:                             ;   in Loop: Header=BB627_55 Depth=1
	s_or_b32 exec_lo, exec_lo, s26
	s_and_b32 s0, s0, s25
	s_delay_alu instid0(SALU_CYCLE_1) | instskip(SKIP_1) | instid1(SALU_CYCLE_1)
	s_or_b32 s0, vcc_lo, s0
	s_and_b32 s1, exec_lo, s24
	s_or_b32 s15, s1, s15
	s_and_not1_b32 s1, s25, exec_lo
	s_and_b32 s0, s0, exec_lo
	s_and_not1_b32 s22, s22, exec_lo
	s_and_b32 s26, s23, exec_lo
	s_or_b32 s25, s1, s0
	s_and_not1_b32 s1, s14, exec_lo
	s_or_b32 s22, s22, s26
	s_or_b32 s14, s1, s0
	s_and_not1_b32 exec_lo, exec_lo, s15
	s_cbranch_execz .LBB627_57
.LBB627_55:                             ; =>This Inner Loop Header: Depth=1
	global_load_u16 v25, v[20:21], off
	global_load_u16 v26, v[22:23], off
	s_or_b32 s23, s23, exec_lo
	s_or_b32 s24, s24, exec_lo
	s_mov_b32 s26, exec_lo
	s_wait_loadcnt 0x0
	v_cmp_le_i16_e64 s0, v25, v26
	v_cmp_lt_i16_e32 vcc_lo, v25, v26
	v_cmpx_eq_u16_e64 v25, v26
	s_cbranch_execz .LBB627_54
; %bb.56:                               ;   in Loop: Header=BB627_55 Depth=1
	s_add_nc_u64 s[6:7], s[6:7], -1
	v_add_nc_u64_e32 v[20:21], 2, v[20:21]
	s_cmp_eq_u64 s[6:7], 0
	v_add_nc_u64_e32 v[22:23], 2, v[22:23]
	s_cselect_b32 s1, -1, 0
	s_and_not1_b32 s24, s24, exec_lo
	s_and_b32 s1, s1, exec_lo
	s_and_not1_b32 s23, s23, exec_lo
	s_or_b32 s24, s24, s1
	s_branch .LBB627_54
.LBB627_57:
	s_or_b32 exec_lo, exec_lo, s15
	s_and_saveexec_b32 s0, s22
	s_delay_alu instid0(SALU_CYCLE_1)
	s_xor_b32 s0, exec_lo, s0
; %bb.58:
	v_dual_cndmask_b32 v21, v17, v15, s14 :: v_dual_cndmask_b32 v20, v16, v14, s14
	v_dual_cndmask_b32 v15, v15, v17, s14 :: v_dual_cndmask_b32 v14, v14, v16, s14
	s_delay_alu instid0(VALU_DEP_2)
	v_mov_b64_e32 v[16:17], v[20:21]
; %bb.59:
	s_or_b32 exec_lo, exec_lo, s0
	v_mul_u64_e32 v[20:21], s[16:17], v[12:13]
	v_mul_u64_e32 v[22:23], s[16:17], v[10:11]
	s_mov_b32 s15, 0
	s_mov_b64 s[6:7], s[16:17]
                                        ; implicit-def: $sgpr14
                                        ; implicit-def: $sgpr22
                                        ; implicit-def: $sgpr24
                                        ; implicit-def: $sgpr23
                                        ; implicit-def: $sgpr25
	s_delay_alu instid0(VALU_DEP_2) | instskip(NEXT) | instid1(VALU_DEP_2)
	v_lshl_add_u64 v[20:21], v[20:21], 1, s[18:19]
	;; [unrolled: 64-line block ×3, first 2 shown]
	v_lshl_add_u64 v[22:23], v[22:23], 1, s[18:19]
	s_branch .LBB627_67
.LBB627_66:                             ;   in Loop: Header=BB627_67 Depth=1
	s_or_b32 exec_lo, exec_lo, s26
	s_and_b32 s0, s0, s25
	s_delay_alu instid0(SALU_CYCLE_1) | instskip(SKIP_1) | instid1(SALU_CYCLE_1)
	s_or_b32 s0, vcc_lo, s0
	s_and_b32 s1, exec_lo, s24
	s_or_b32 s15, s1, s15
	s_and_not1_b32 s1, s25, exec_lo
	s_and_b32 s0, s0, exec_lo
	s_and_not1_b32 s22, s22, exec_lo
	s_and_b32 s26, s23, exec_lo
	s_or_b32 s25, s1, s0
	s_and_not1_b32 s1, s14, exec_lo
	s_or_b32 s22, s22, s26
	s_or_b32 s14, s1, s0
	s_and_not1_b32 exec_lo, exec_lo, s15
	s_cbranch_execz .LBB627_69
.LBB627_67:                             ; =>This Inner Loop Header: Depth=1
	global_load_u16 v25, v[20:21], off
	global_load_u16 v26, v[22:23], off
	s_or_b32 s23, s23, exec_lo
	s_or_b32 s24, s24, exec_lo
	s_mov_b32 s26, exec_lo
	s_wait_loadcnt 0x0
	v_cmp_le_i16_e64 s0, v25, v26
	v_cmp_lt_i16_e32 vcc_lo, v25, v26
	v_cmpx_eq_u16_e64 v25, v26
	s_cbranch_execz .LBB627_66
; %bb.68:                               ;   in Loop: Header=BB627_67 Depth=1
	s_add_nc_u64 s[6:7], s[6:7], -1
	v_add_nc_u64_e32 v[20:21], 2, v[20:21]
	s_cmp_eq_u64 s[6:7], 0
	v_add_nc_u64_e32 v[22:23], 2, v[22:23]
	s_cselect_b32 s1, -1, 0
	s_and_not1_b32 s24, s24, exec_lo
	s_and_b32 s1, s1, exec_lo
	s_and_not1_b32 s23, s23, exec_lo
	s_or_b32 s24, s24, s1
	s_branch .LBB627_66
.LBB627_69:
	s_or_b32 exec_lo, exec_lo, s15
	s_and_saveexec_b32 s0, s22
	s_delay_alu instid0(SALU_CYCLE_1)
	s_xor_b32 s0, exec_lo, s0
; %bb.70:
	v_dual_cndmask_b32 v21, v7, v9, s14 :: v_dual_cndmask_b32 v20, v6, v8, s14
	v_dual_cndmask_b32 v9, v9, v7, s14 :: v_dual_cndmask_b32 v8, v8, v6, s14
	s_delay_alu instid0(VALU_DEP_2)
	v_mov_b64_e32 v[6:7], v[20:21]
; %bb.71:
	s_or_b32 exec_lo, exec_lo, s0
.LBB627_72:
	v_cmp_ne_u32_e32 vcc_lo, 1, v45
	s_cbranch_vccnz .LBB627_86
; %bb.73:
	v_mul_u64_e32 v[20:21], s[16:17], v[4:5]
	v_mul_u64_e32 v[22:23], s[16:17], v[2:3]
	s_mov_b32 s15, 0
	s_mov_b64 s[6:7], s[16:17]
                                        ; implicit-def: $sgpr14
                                        ; implicit-def: $sgpr22
                                        ; implicit-def: $sgpr24
                                        ; implicit-def: $sgpr23
                                        ; implicit-def: $sgpr25
	s_delay_alu instid0(VALU_DEP_2) | instskip(NEXT) | instid1(VALU_DEP_2)
	v_lshl_add_u64 v[20:21], v[20:21], 1, s[18:19]
	v_lshl_add_u64 v[22:23], v[22:23], 1, s[18:19]
	s_branch .LBB627_75
.LBB627_74:                             ;   in Loop: Header=BB627_75 Depth=1
	s_or_b32 exec_lo, exec_lo, s26
	s_and_b32 s0, s0, s25
	s_delay_alu instid0(SALU_CYCLE_1) | instskip(SKIP_1) | instid1(SALU_CYCLE_1)
	s_or_b32 s0, vcc_lo, s0
	s_and_b32 s1, exec_lo, s24
	s_or_b32 s15, s1, s15
	s_and_not1_b32 s1, s25, exec_lo
	s_and_b32 s0, s0, exec_lo
	s_and_not1_b32 s22, s22, exec_lo
	s_and_b32 s26, s23, exec_lo
	s_or_b32 s25, s1, s0
	s_and_not1_b32 s1, s14, exec_lo
	s_or_b32 s22, s22, s26
	s_or_b32 s14, s1, s0
	s_and_not1_b32 exec_lo, exec_lo, s15
	s_cbranch_execz .LBB627_77
.LBB627_75:                             ; =>This Inner Loop Header: Depth=1
	global_load_u16 v25, v[20:21], off
	global_load_u16 v26, v[22:23], off
	s_or_b32 s23, s23, exec_lo
	s_or_b32 s24, s24, exec_lo
	s_mov_b32 s26, exec_lo
	s_wait_loadcnt 0x0
	v_cmp_le_i16_e64 s0, v25, v26
	v_cmp_lt_i16_e32 vcc_lo, v25, v26
	v_cmpx_eq_u16_e64 v25, v26
	s_cbranch_execz .LBB627_74
; %bb.76:                               ;   in Loop: Header=BB627_75 Depth=1
	s_add_nc_u64 s[6:7], s[6:7], -1
	v_add_nc_u64_e32 v[20:21], 2, v[20:21]
	s_cmp_eq_u64 s[6:7], 0
	v_add_nc_u64_e32 v[22:23], 2, v[22:23]
	s_cselect_b32 s1, -1, 0
	s_and_not1_b32 s24, s24, exec_lo
	s_and_b32 s1, s1, exec_lo
	s_and_not1_b32 s23, s23, exec_lo
	s_or_b32 s24, s24, s1
	s_branch .LBB627_74
.LBB627_77:
	s_or_b32 exec_lo, exec_lo, s15
	s_and_saveexec_b32 s0, s22
	s_delay_alu instid0(SALU_CYCLE_1)
	s_xor_b32 s0, exec_lo, s0
; %bb.78:
	v_dual_cndmask_b32 v21, v3, v5, s14 :: v_dual_cndmask_b32 v20, v2, v4, s14
	v_dual_cndmask_b32 v5, v5, v3, s14 :: v_dual_cndmask_b32 v4, v4, v2, s14
	s_delay_alu instid0(VALU_DEP_2)
	v_mov_b64_e32 v[2:3], v[20:21]
; %bb.79:
	s_or_b32 exec_lo, exec_lo, s0
	v_mul_u64_e32 v[20:21], s[16:17], v[10:11]
	v_mul_u64_e32 v[22:23], s[16:17], v[16:17]
	s_mov_b32 s15, 0
	s_mov_b64 s[6:7], s[16:17]
                                        ; implicit-def: $sgpr14
                                        ; implicit-def: $sgpr22
                                        ; implicit-def: $sgpr24
                                        ; implicit-def: $sgpr23
                                        ; implicit-def: $sgpr25
	s_delay_alu instid0(VALU_DEP_2) | instskip(NEXT) | instid1(VALU_DEP_2)
	v_lshl_add_u64 v[20:21], v[20:21], 1, s[18:19]
	v_lshl_add_u64 v[22:23], v[22:23], 1, s[18:19]
	s_branch .LBB627_81
.LBB627_80:                             ;   in Loop: Header=BB627_81 Depth=1
	s_or_b32 exec_lo, exec_lo, s26
	s_and_b32 s0, s0, s25
	s_delay_alu instid0(SALU_CYCLE_1) | instskip(SKIP_1) | instid1(SALU_CYCLE_1)
	s_or_b32 s0, vcc_lo, s0
	s_and_b32 s1, exec_lo, s24
	s_or_b32 s15, s1, s15
	s_and_not1_b32 s1, s25, exec_lo
	s_and_b32 s0, s0, exec_lo
	s_and_not1_b32 s22, s22, exec_lo
	s_and_b32 s26, s23, exec_lo
	s_or_b32 s25, s1, s0
	s_and_not1_b32 s1, s14, exec_lo
	s_or_b32 s22, s22, s26
	s_or_b32 s14, s1, s0
	s_and_not1_b32 exec_lo, exec_lo, s15
	s_cbranch_execz .LBB627_83
.LBB627_81:                             ; =>This Inner Loop Header: Depth=1
	global_load_u16 v25, v[20:21], off
	global_load_u16 v26, v[22:23], off
	s_or_b32 s23, s23, exec_lo
	s_or_b32 s24, s24, exec_lo
	s_mov_b32 s26, exec_lo
	s_wait_loadcnt 0x0
	v_cmp_le_i16_e64 s0, v25, v26
	v_cmp_lt_i16_e32 vcc_lo, v25, v26
	v_cmpx_eq_u16_e64 v25, v26
	s_cbranch_execz .LBB627_80
; %bb.82:                               ;   in Loop: Header=BB627_81 Depth=1
	s_add_nc_u64 s[6:7], s[6:7], -1
	v_add_nc_u64_e32 v[20:21], 2, v[20:21]
	s_cmp_eq_u64 s[6:7], 0
	v_add_nc_u64_e32 v[22:23], 2, v[22:23]
	s_cselect_b32 s1, -1, 0
	s_and_not1_b32 s24, s24, exec_lo
	s_and_b32 s1, s1, exec_lo
	s_and_not1_b32 s23, s23, exec_lo
	s_or_b32 s24, s24, s1
	s_branch .LBB627_80
.LBB627_83:
	s_or_b32 exec_lo, exec_lo, s15
	s_and_saveexec_b32 s0, s22
	s_delay_alu instid0(SALU_CYCLE_1)
	s_xor_b32 s0, exec_lo, s0
; %bb.84:
	v_dual_cndmask_b32 v21, v17, v11, s14 :: v_dual_cndmask_b32 v20, v16, v10, s14
	v_dual_cndmask_b32 v11, v11, v17, s14 :: v_dual_cndmask_b32 v10, v10, v16, s14
	s_delay_alu instid0(VALU_DEP_2)
	v_mov_b64_e32 v[16:17], v[20:21]
; %bb.85:
	s_or_b32 exec_lo, exec_lo, s0
.LBB627_86:
	v_cmp_ne_u32_e32 vcc_lo, 1, v45
	s_cbranch_vccnz .LBB627_100
; %bb.87:
	s_delay_alu instid0(VALU_DEP_3) | instskip(SKIP_3) | instid1(VALU_DEP_2)
	v_mul_u64_e32 v[20:21], s[16:17], v[6:7]
	v_mul_u64_e32 v[22:23], s[16:17], v[12:13]
	s_mov_b32 s15, 0
	s_mov_b64 s[6:7], s[16:17]
                                        ; implicit-def: $sgpr14
                                        ; implicit-def: $sgpr22
                                        ; implicit-def: $sgpr24
                                        ; implicit-def: $sgpr23
                                        ; implicit-def: $sgpr25
	v_lshl_add_u64 v[20:21], v[20:21], 1, s[18:19]
	s_delay_alu instid0(VALU_DEP_2)
	v_lshl_add_u64 v[22:23], v[22:23], 1, s[18:19]
	s_branch .LBB627_89
.LBB627_88:                             ;   in Loop: Header=BB627_89 Depth=1
	s_or_b32 exec_lo, exec_lo, s26
	s_and_b32 s0, s0, s25
	s_delay_alu instid0(SALU_CYCLE_1) | instskip(SKIP_1) | instid1(SALU_CYCLE_1)
	s_or_b32 s0, vcc_lo, s0
	s_and_b32 s1, exec_lo, s24
	s_or_b32 s15, s1, s15
	s_and_not1_b32 s1, s25, exec_lo
	s_and_b32 s0, s0, exec_lo
	s_and_not1_b32 s22, s22, exec_lo
	s_and_b32 s26, s23, exec_lo
	s_or_b32 s25, s1, s0
	s_and_not1_b32 s1, s14, exec_lo
	s_or_b32 s22, s22, s26
	s_or_b32 s14, s1, s0
	s_and_not1_b32 exec_lo, exec_lo, s15
	s_cbranch_execz .LBB627_91
.LBB627_89:                             ; =>This Inner Loop Header: Depth=1
	global_load_u16 v25, v[20:21], off
	global_load_u16 v26, v[22:23], off
	s_or_b32 s23, s23, exec_lo
	s_or_b32 s24, s24, exec_lo
	s_mov_b32 s26, exec_lo
	s_wait_loadcnt 0x0
	v_cmp_le_i16_e64 s0, v25, v26
	v_cmp_lt_i16_e32 vcc_lo, v25, v26
	v_cmpx_eq_u16_e64 v25, v26
	s_cbranch_execz .LBB627_88
; %bb.90:                               ;   in Loop: Header=BB627_89 Depth=1
	s_add_nc_u64 s[6:7], s[6:7], -1
	v_add_nc_u64_e32 v[20:21], 2, v[20:21]
	s_cmp_eq_u64 s[6:7], 0
	v_add_nc_u64_e32 v[22:23], 2, v[22:23]
	s_cselect_b32 s1, -1, 0
	s_and_not1_b32 s24, s24, exec_lo
	s_and_b32 s1, s1, exec_lo
	s_and_not1_b32 s23, s23, exec_lo
	s_or_b32 s24, s24, s1
	s_branch .LBB627_88
.LBB627_91:
	s_or_b32 exec_lo, exec_lo, s15
	s_and_saveexec_b32 s0, s22
	s_delay_alu instid0(SALU_CYCLE_1)
	s_xor_b32 s0, exec_lo, s0
; %bb.92:
	v_dual_cndmask_b32 v21, v13, v7, s14 :: v_dual_cndmask_b32 v20, v12, v6, s14
	v_dual_cndmask_b32 v7, v7, v13, s14 :: v_dual_cndmask_b32 v6, v6, v12, s14
	s_delay_alu instid0(VALU_DEP_2)
	v_mov_b64_e32 v[12:13], v[20:21]
; %bb.93:
	s_or_b32 exec_lo, exec_lo, s0
	v_mul_u64_e32 v[20:21], s[16:17], v[2:3]
	v_mul_u64_e32 v[22:23], s[16:17], v[8:9]
	s_mov_b32 s15, 0
	s_mov_b64 s[6:7], s[16:17]
                                        ; implicit-def: $sgpr14
                                        ; implicit-def: $sgpr22
                                        ; implicit-def: $sgpr24
                                        ; implicit-def: $sgpr23
                                        ; implicit-def: $sgpr25
	s_delay_alu instid0(VALU_DEP_2) | instskip(NEXT) | instid1(VALU_DEP_2)
	v_lshl_add_u64 v[20:21], v[20:21], 1, s[18:19]
	v_lshl_add_u64 v[22:23], v[22:23], 1, s[18:19]
	s_branch .LBB627_95
.LBB627_94:                             ;   in Loop: Header=BB627_95 Depth=1
	s_or_b32 exec_lo, exec_lo, s26
	s_and_b32 s0, s0, s25
	s_delay_alu instid0(SALU_CYCLE_1) | instskip(SKIP_1) | instid1(SALU_CYCLE_1)
	s_or_b32 s0, vcc_lo, s0
	s_and_b32 s1, exec_lo, s24
	s_or_b32 s15, s1, s15
	s_and_not1_b32 s1, s25, exec_lo
	s_and_b32 s0, s0, exec_lo
	s_and_not1_b32 s22, s22, exec_lo
	s_and_b32 s26, s23, exec_lo
	s_or_b32 s25, s1, s0
	s_and_not1_b32 s1, s14, exec_lo
	s_or_b32 s22, s22, s26
	s_or_b32 s14, s1, s0
	s_and_not1_b32 exec_lo, exec_lo, s15
	s_cbranch_execz .LBB627_97
.LBB627_95:                             ; =>This Inner Loop Header: Depth=1
	global_load_u16 v25, v[20:21], off
	global_load_u16 v26, v[22:23], off
	s_or_b32 s23, s23, exec_lo
	s_or_b32 s24, s24, exec_lo
	s_mov_b32 s26, exec_lo
	s_wait_loadcnt 0x0
	v_cmp_le_i16_e64 s0, v25, v26
	v_cmp_lt_i16_e32 vcc_lo, v25, v26
	v_cmpx_eq_u16_e64 v25, v26
	s_cbranch_execz .LBB627_94
; %bb.96:                               ;   in Loop: Header=BB627_95 Depth=1
	s_add_nc_u64 s[6:7], s[6:7], -1
	v_add_nc_u64_e32 v[20:21], 2, v[20:21]
	s_cmp_eq_u64 s[6:7], 0
	v_add_nc_u64_e32 v[22:23], 2, v[22:23]
	s_cselect_b32 s1, -1, 0
	s_and_not1_b32 s24, s24, exec_lo
	s_and_b32 s1, s1, exec_lo
	s_and_not1_b32 s23, s23, exec_lo
	s_or_b32 s24, s24, s1
	s_branch .LBB627_94
.LBB627_97:
	s_or_b32 exec_lo, exec_lo, s15
	s_and_saveexec_b32 s0, s22
	s_delay_alu instid0(SALU_CYCLE_1)
	s_xor_b32 s0, exec_lo, s0
; %bb.98:
	v_dual_cndmask_b32 v21, v9, v3, s14 :: v_dual_cndmask_b32 v20, v8, v2, s14
	v_dual_cndmask_b32 v3, v3, v9, s14 :: v_dual_cndmask_b32 v2, v2, v8, s14
	s_delay_alu instid0(VALU_DEP_2)
	v_mov_b64_e32 v[8:9], v[20:21]
; %bb.99:
	s_or_b32 exec_lo, exec_lo, s0
.LBB627_100:
	v_cmp_ne_u32_e32 vcc_lo, 1, v45
	s_cbranch_vccnz .LBB627_114
; %bb.101:
	s_delay_alu instid0(VALU_DEP_3) | instskip(SKIP_3) | instid1(VALU_DEP_2)
	v_mul_u64_e32 v[20:21], s[16:17], v[16:17]
	v_mul_u64_e32 v[22:23], s[16:17], v[14:15]
	s_mov_b32 s15, 0
	s_mov_b64 s[6:7], s[16:17]
                                        ; implicit-def: $sgpr14
                                        ; implicit-def: $sgpr22
                                        ; implicit-def: $sgpr24
                                        ; implicit-def: $sgpr23
                                        ; implicit-def: $sgpr25
	v_lshl_add_u64 v[20:21], v[20:21], 1, s[18:19]
	s_delay_alu instid0(VALU_DEP_2)
	v_lshl_add_u64 v[22:23], v[22:23], 1, s[18:19]
	s_branch .LBB627_103
.LBB627_102:                            ;   in Loop: Header=BB627_103 Depth=1
	s_or_b32 exec_lo, exec_lo, s26
	s_and_b32 s0, s0, s25
	s_delay_alu instid0(SALU_CYCLE_1) | instskip(SKIP_1) | instid1(SALU_CYCLE_1)
	s_or_b32 s0, vcc_lo, s0
	s_and_b32 s1, exec_lo, s24
	s_or_b32 s15, s1, s15
	s_and_not1_b32 s1, s25, exec_lo
	s_and_b32 s0, s0, exec_lo
	s_and_not1_b32 s22, s22, exec_lo
	s_and_b32 s26, s23, exec_lo
	s_or_b32 s25, s1, s0
	s_and_not1_b32 s1, s14, exec_lo
	s_or_b32 s22, s22, s26
	s_or_b32 s14, s1, s0
	s_and_not1_b32 exec_lo, exec_lo, s15
	s_cbranch_execz .LBB627_105
.LBB627_103:                            ; =>This Inner Loop Header: Depth=1
	global_load_u16 v25, v[20:21], off
	global_load_u16 v26, v[22:23], off
	s_or_b32 s23, s23, exec_lo
	s_or_b32 s24, s24, exec_lo
	s_mov_b32 s26, exec_lo
	s_wait_loadcnt 0x0
	v_cmp_le_i16_e64 s0, v25, v26
	v_cmp_lt_i16_e32 vcc_lo, v25, v26
	v_cmpx_eq_u16_e64 v25, v26
	s_cbranch_execz .LBB627_102
; %bb.104:                              ;   in Loop: Header=BB627_103 Depth=1
	s_add_nc_u64 s[6:7], s[6:7], -1
	v_add_nc_u64_e32 v[20:21], 2, v[20:21]
	s_cmp_eq_u64 s[6:7], 0
	v_add_nc_u64_e32 v[22:23], 2, v[22:23]
	s_cselect_b32 s1, -1, 0
	s_and_not1_b32 s24, s24, exec_lo
	s_and_b32 s1, s1, exec_lo
	s_and_not1_b32 s23, s23, exec_lo
	s_or_b32 s24, s24, s1
	s_branch .LBB627_102
.LBB627_105:
	s_or_b32 exec_lo, exec_lo, s15
	s_and_saveexec_b32 s0, s22
	s_delay_alu instid0(SALU_CYCLE_1)
	s_xor_b32 s0, exec_lo, s0
; %bb.106:
	v_dual_cndmask_b32 v21, v17, v15, s14 :: v_dual_cndmask_b32 v20, v16, v14, s14
	v_dual_cndmask_b32 v15, v15, v17, s14 :: v_dual_cndmask_b32 v14, v14, v16, s14
	s_delay_alu instid0(VALU_DEP_2)
	v_mov_b64_e32 v[16:17], v[20:21]
; %bb.107:
	s_or_b32 exec_lo, exec_lo, s0
	v_mul_u64_e32 v[20:21], s[16:17], v[12:13]
	v_mul_u64_e32 v[22:23], s[16:17], v[10:11]
	s_mov_b32 s15, 0
	s_mov_b64 s[6:7], s[16:17]
                                        ; implicit-def: $sgpr14
                                        ; implicit-def: $sgpr22
                                        ; implicit-def: $sgpr24
                                        ; implicit-def: $sgpr23
                                        ; implicit-def: $sgpr25
	s_delay_alu instid0(VALU_DEP_2) | instskip(NEXT) | instid1(VALU_DEP_2)
	v_lshl_add_u64 v[20:21], v[20:21], 1, s[18:19]
	v_lshl_add_u64 v[22:23], v[22:23], 1, s[18:19]
	s_branch .LBB627_109
.LBB627_108:                            ;   in Loop: Header=BB627_109 Depth=1
	s_or_b32 exec_lo, exec_lo, s26
	s_and_b32 s0, s0, s25
	s_delay_alu instid0(SALU_CYCLE_1) | instskip(SKIP_1) | instid1(SALU_CYCLE_1)
	s_or_b32 s0, vcc_lo, s0
	s_and_b32 s1, exec_lo, s24
	s_or_b32 s15, s1, s15
	s_and_not1_b32 s1, s25, exec_lo
	s_and_b32 s0, s0, exec_lo
	s_and_not1_b32 s22, s22, exec_lo
	s_and_b32 s26, s23, exec_lo
	s_or_b32 s25, s1, s0
	s_and_not1_b32 s1, s14, exec_lo
	s_or_b32 s22, s22, s26
	s_or_b32 s14, s1, s0
	s_and_not1_b32 exec_lo, exec_lo, s15
	s_cbranch_execz .LBB627_111
.LBB627_109:                            ; =>This Inner Loop Header: Depth=1
	global_load_u16 v25, v[20:21], off
	global_load_u16 v26, v[22:23], off
	s_or_b32 s23, s23, exec_lo
	s_or_b32 s24, s24, exec_lo
	s_mov_b32 s26, exec_lo
	s_wait_loadcnt 0x0
	v_cmp_le_i16_e64 s0, v25, v26
	v_cmp_lt_i16_e32 vcc_lo, v25, v26
	v_cmpx_eq_u16_e64 v25, v26
	s_cbranch_execz .LBB627_108
; %bb.110:                              ;   in Loop: Header=BB627_109 Depth=1
	s_add_nc_u64 s[6:7], s[6:7], -1
	v_add_nc_u64_e32 v[20:21], 2, v[20:21]
	s_cmp_eq_u64 s[6:7], 0
	v_add_nc_u64_e32 v[22:23], 2, v[22:23]
	s_cselect_b32 s1, -1, 0
	s_and_not1_b32 s24, s24, exec_lo
	s_and_b32 s1, s1, exec_lo
	s_and_not1_b32 s23, s23, exec_lo
	s_or_b32 s24, s24, s1
	s_branch .LBB627_108
.LBB627_111:
	s_or_b32 exec_lo, exec_lo, s15
	s_and_saveexec_b32 s0, s22
	s_delay_alu instid0(SALU_CYCLE_1)
	s_xor_b32 s0, exec_lo, s0
; %bb.112:
	v_dual_cndmask_b32 v21, v11, v13, s14 :: v_dual_cndmask_b32 v20, v10, v12, s14
	v_dual_cndmask_b32 v13, v13, v11, s14 :: v_dual_cndmask_b32 v12, v12, v10, s14
	s_delay_alu instid0(VALU_DEP_2)
	v_mov_b64_e32 v[10:11], v[20:21]
; %bb.113:
	s_or_b32 exec_lo, exec_lo, s0
.LBB627_114:
	v_cmp_ne_u32_e32 vcc_lo, 1, v45
	s_cbranch_vccnz .LBB627_188
; %bb.115:
	s_delay_alu instid0(VALU_DEP_3) | instskip(SKIP_3) | instid1(VALU_DEP_2)
	v_mul_u64_e32 v[20:21], s[16:17], v[8:9]
	v_mul_u64_e32 v[22:23], s[16:17], v[6:7]
	s_mov_b32 s15, 0
	s_mov_b64 s[6:7], s[16:17]
                                        ; implicit-def: $sgpr14
                                        ; implicit-def: $sgpr22
                                        ; implicit-def: $sgpr24
                                        ; implicit-def: $sgpr23
                                        ; implicit-def: $sgpr25
	v_lshl_add_u64 v[20:21], v[20:21], 1, s[18:19]
	s_delay_alu instid0(VALU_DEP_2)
	v_lshl_add_u64 v[22:23], v[22:23], 1, s[18:19]
	s_branch .LBB627_117
.LBB627_116:                            ;   in Loop: Header=BB627_117 Depth=1
	s_or_b32 exec_lo, exec_lo, s26
	s_and_b32 s0, s0, s25
	s_delay_alu instid0(SALU_CYCLE_1) | instskip(SKIP_1) | instid1(SALU_CYCLE_1)
	s_or_b32 s0, vcc_lo, s0
	s_and_b32 s1, exec_lo, s24
	s_or_b32 s15, s1, s15
	s_and_not1_b32 s1, s25, exec_lo
	s_and_b32 s0, s0, exec_lo
	s_and_not1_b32 s22, s22, exec_lo
	s_and_b32 s26, s23, exec_lo
	s_or_b32 s25, s1, s0
	s_and_not1_b32 s1, s14, exec_lo
	s_or_b32 s22, s22, s26
	s_or_b32 s14, s1, s0
	s_and_not1_b32 exec_lo, exec_lo, s15
	s_cbranch_execz .LBB627_119
.LBB627_117:                            ; =>This Inner Loop Header: Depth=1
	global_load_u16 v25, v[20:21], off
	global_load_u16 v26, v[22:23], off
	s_or_b32 s23, s23, exec_lo
	s_or_b32 s24, s24, exec_lo
	s_mov_b32 s26, exec_lo
	s_wait_loadcnt 0x0
	v_cmp_le_i16_e64 s0, v25, v26
	v_cmp_lt_i16_e32 vcc_lo, v25, v26
	v_cmpx_eq_u16_e64 v25, v26
	s_cbranch_execz .LBB627_116
; %bb.118:                              ;   in Loop: Header=BB627_117 Depth=1
	s_add_nc_u64 s[6:7], s[6:7], -1
	v_add_nc_u64_e32 v[20:21], 2, v[20:21]
	s_cmp_eq_u64 s[6:7], 0
	v_add_nc_u64_e32 v[22:23], 2, v[22:23]
	s_cselect_b32 s1, -1, 0
	s_and_not1_b32 s24, s24, exec_lo
	s_and_b32 s1, s1, exec_lo
	s_and_not1_b32 s23, s23, exec_lo
	s_or_b32 s24, s24, s1
	s_branch .LBB627_116
.LBB627_119:
	s_or_b32 exec_lo, exec_lo, s15
	s_and_saveexec_b32 s0, s22
	s_delay_alu instid0(SALU_CYCLE_1)
	s_xor_b32 s0, exec_lo, s0
; %bb.120:
	v_dual_cndmask_b32 v21, v7, v9, s14 :: v_dual_cndmask_b32 v20, v6, v8, s14
	v_dual_cndmask_b32 v9, v9, v7, s14 :: v_dual_cndmask_b32 v8, v8, v6, s14
	s_delay_alu instid0(VALU_DEP_2)
	v_mov_b64_e32 v[6:7], v[20:21]
; %bb.121:
	s_or_b32 exec_lo, exec_lo, s0
	v_mul_u64_e32 v[20:21], s[16:17], v[4:5]
	v_mul_u64_e32 v[22:23], s[16:17], v[2:3]
	s_mov_b32 s15, 0
	s_mov_b64 s[6:7], s[16:17]
                                        ; implicit-def: $sgpr14
                                        ; implicit-def: $sgpr22
                                        ; implicit-def: $sgpr24
                                        ; implicit-def: $sgpr23
                                        ; implicit-def: $sgpr25
	s_delay_alu instid0(VALU_DEP_2) | instskip(NEXT) | instid1(VALU_DEP_2)
	v_lshl_add_u64 v[20:21], v[20:21], 1, s[18:19]
	v_lshl_add_u64 v[22:23], v[22:23], 1, s[18:19]
	s_branch .LBB627_123
.LBB627_122:                            ;   in Loop: Header=BB627_123 Depth=1
	s_or_b32 exec_lo, exec_lo, s26
	s_and_b32 s0, s0, s25
	s_delay_alu instid0(SALU_CYCLE_1) | instskip(SKIP_1) | instid1(SALU_CYCLE_1)
	s_or_b32 s0, vcc_lo, s0
	s_and_b32 s1, exec_lo, s24
	s_or_b32 s15, s1, s15
	s_and_not1_b32 s1, s25, exec_lo
	s_and_b32 s0, s0, exec_lo
	s_and_not1_b32 s22, s22, exec_lo
	s_and_b32 s26, s23, exec_lo
	s_or_b32 s25, s1, s0
	s_and_not1_b32 s1, s14, exec_lo
	s_or_b32 s22, s22, s26
	s_or_b32 s14, s1, s0
	s_and_not1_b32 exec_lo, exec_lo, s15
	s_cbranch_execz .LBB627_125
.LBB627_123:                            ; =>This Inner Loop Header: Depth=1
	global_load_u16 v25, v[20:21], off
	global_load_u16 v26, v[22:23], off
	s_or_b32 s23, s23, exec_lo
	s_or_b32 s24, s24, exec_lo
	s_mov_b32 s26, exec_lo
	s_wait_loadcnt 0x0
	v_cmp_le_i16_e64 s0, v25, v26
	v_cmp_lt_i16_e32 vcc_lo, v25, v26
	v_cmpx_eq_u16_e64 v25, v26
	s_cbranch_execz .LBB627_122
; %bb.124:                              ;   in Loop: Header=BB627_123 Depth=1
	s_add_nc_u64 s[6:7], s[6:7], -1
	v_add_nc_u64_e32 v[20:21], 2, v[20:21]
	s_cmp_eq_u64 s[6:7], 0
	v_add_nc_u64_e32 v[22:23], 2, v[22:23]
	s_cselect_b32 s1, -1, 0
	s_and_not1_b32 s24, s24, exec_lo
	s_and_b32 s1, s1, exec_lo
	s_and_not1_b32 s23, s23, exec_lo
	s_or_b32 s24, s24, s1
	s_branch .LBB627_122
.LBB627_125:
	s_or_b32 exec_lo, exec_lo, s15
	s_and_saveexec_b32 s0, s22
	s_delay_alu instid0(SALU_CYCLE_1)
	s_xor_b32 s0, exec_lo, s0
; %bb.126:
	v_dual_cndmask_b32 v21, v3, v5, s14 :: v_dual_cndmask_b32 v20, v2, v4, s14
	v_dual_cndmask_b32 v5, v5, v3, s14 :: v_dual_cndmask_b32 v4, v4, v2, s14
	s_delay_alu instid0(VALU_DEP_2)
	v_mov_b64_e32 v[2:3], v[20:21]
; %bb.127:
	s_or_b32 exec_lo, exec_lo, s0
	v_mul_u64_e32 v[20:21], s[16:17], v[10:11]
	v_mul_u64_e32 v[22:23], s[16:17], v[16:17]
	s_mov_b32 s15, 0
	s_mov_b64 s[6:7], s[16:17]
                                        ; implicit-def: $sgpr14
                                        ; implicit-def: $sgpr22
                                        ; implicit-def: $sgpr24
                                        ; implicit-def: $sgpr23
                                        ; implicit-def: $sgpr25
	s_delay_alu instid0(VALU_DEP_2) | instskip(NEXT) | instid1(VALU_DEP_2)
	v_lshl_add_u64 v[20:21], v[20:21], 1, s[18:19]
	;; [unrolled: 64-line block ×11, first 2 shown]
	v_lshl_add_u64 v[22:23], v[22:23], 1, s[18:19]
	s_branch .LBB627_183
.LBB627_182:                            ;   in Loop: Header=BB627_183 Depth=1
	s_or_b32 exec_lo, exec_lo, s26
	s_and_b32 s0, s0, s25
	s_delay_alu instid0(SALU_CYCLE_1) | instskip(SKIP_1) | instid1(SALU_CYCLE_1)
	s_or_b32 s0, vcc_lo, s0
	s_and_b32 s1, exec_lo, s24
	s_or_b32 s15, s1, s15
	s_and_not1_b32 s1, s25, exec_lo
	s_and_b32 s0, s0, exec_lo
	s_and_not1_b32 s22, s22, exec_lo
	s_and_b32 s26, s23, exec_lo
	s_or_b32 s25, s1, s0
	s_and_not1_b32 s1, s14, exec_lo
	s_or_b32 s22, s22, s26
	s_or_b32 s14, s1, s0
	s_and_not1_b32 exec_lo, exec_lo, s15
	s_cbranch_execz .LBB627_185
.LBB627_183:                            ; =>This Inner Loop Header: Depth=1
	global_load_u16 v25, v[20:21], off
	global_load_u16 v26, v[22:23], off
	s_or_b32 s23, s23, exec_lo
	s_or_b32 s24, s24, exec_lo
	s_mov_b32 s26, exec_lo
	s_wait_loadcnt 0x0
	v_cmp_le_i16_e64 s0, v25, v26
	v_cmp_lt_i16_e32 vcc_lo, v25, v26
	v_cmpx_eq_u16_e64 v25, v26
	s_cbranch_execz .LBB627_182
; %bb.184:                              ;   in Loop: Header=BB627_183 Depth=1
	s_add_nc_u64 s[6:7], s[6:7], -1
	v_add_nc_u64_e32 v[20:21], 2, v[20:21]
	s_cmp_eq_u64 s[6:7], 0
	v_add_nc_u64_e32 v[22:23], 2, v[22:23]
	s_cselect_b32 s1, -1, 0
	s_and_not1_b32 s24, s24, exec_lo
	s_and_b32 s1, s1, exec_lo
	s_and_not1_b32 s23, s23, exec_lo
	s_or_b32 s24, s24, s1
	s_branch .LBB627_182
.LBB627_185:
	s_or_b32 exec_lo, exec_lo, s15
	s_and_saveexec_b32 s0, s22
	s_delay_alu instid0(SALU_CYCLE_1)
	s_xor_b32 s0, exec_lo, s0
; %bb.186:
	v_dual_cndmask_b32 v21, v9, v3, s14 :: v_dual_cndmask_b32 v20, v8, v2, s14
	v_dual_cndmask_b32 v3, v3, v9, s14 :: v_dual_cndmask_b32 v2, v2, v8, s14
	s_delay_alu instid0(VALU_DEP_2)
	v_mov_b64_e32 v[8:9], v[20:21]
; %bb.187:
	s_or_b32 exec_lo, exec_lo, s0
.LBB627_188:
	s_delay_alu instid0(SALU_CYCLE_1) | instskip(SKIP_4) | instid1(VALU_DEP_1)
	s_or_b32 exec_lo, exec_lo, s5
	v_mbcnt_lo_u32_b32 v20, -1, 0
	v_and_b32_e32 v21, 0xffffff00, v24
	s_mov_b32 s1, 0
	s_mov_b32 s5, exec_lo
	v_dual_lshlrev_b32 v48, 3, v20 :: v_dual_lshlrev_b32 v46, 3, v21
	v_sub_nc_u32_e64 v47, 0x800, v21 clamp
	s_delay_alu instid0(VALU_DEP_2) | instskip(SKIP_1) | instid1(VALU_DEP_4)
	v_or_b32_e32 v22, 8, v48
	v_and_b32_e32 v26, 0xf0, v48
	v_lshl_or_b32 v49, v20, 6, v46
	ds_store_b128 v49, v[14:17]
	ds_store_b128 v49, v[10:13] offset:16
	v_min_u32_e32 v50, v47, v22
	v_and_b32_e32 v22, 8, v48
	v_lshl_or_b32 v25, v26, 3, v46
	ds_store_b128 v49, v[6:9] offset:32
	ds_store_b128 v49, v[2:5] offset:48
	v_add_min_u32_e64 v51, v50, 8, v47
	v_min_u32_e32 v27, v47, v22
	v_sub_nc_u32_e32 v22, v50, v26
	; wave barrier
	s_delay_alu instid0(VALU_DEP_3) | instskip(NEXT) | instid1(VALU_DEP_2)
	v_sub_nc_u32_e32 v21, v51, v50
	v_min_u32_e32 v28, v27, v22
	s_delay_alu instid0(VALU_DEP_2) | instskip(NEXT) | instid1(VALU_DEP_1)
	v_sub_nc_u32_e64 v24, v27, v21 clamp
	v_cmpx_lt_u32_e64 v24, v28
	s_cbranch_execz .LBB627_199
; %bb.189:
	v_dual_lshlrev_b32 v20, 3, v50 :: v_dual_lshlrev_b32 v21, 3, v27
	s_lshl_b64 s[6:7], s[16:17], 1
	s_delay_alu instid0(VALU_DEP_1)
	v_add3_u32 v29, v46, v20, v21
	s_branch .LBB627_192
.LBB627_190:                            ;   in Loop: Header=BB627_192 Depth=1
	s_or_b32 exec_lo, exec_lo, s23
.LBB627_191:                            ;   in Loop: Header=BB627_192 Depth=1
	s_delay_alu instid0(VALU_DEP_1) | instskip(NEXT) | instid1(VALU_DEP_1)
	v_dual_add_nc_u32 v20, 1, v30 :: v_dual_cndmask_b32 v28, v28, v30, s22
	v_cndmask_b32_e64 v24, v20, v24, s22
	s_delay_alu instid0(VALU_DEP_1) | instskip(SKIP_1) | instid1(SALU_CYCLE_1)
	v_cmp_ge_u32_e32 vcc_lo, v24, v28
	s_or_b32 s1, vcc_lo, s1
	s_and_not1_b32 exec_lo, exec_lo, s1
	s_cbranch_execz .LBB627_198
.LBB627_192:                            ; =>This Loop Header: Depth=1
                                        ;     Child Loop BB627_195 Depth 2
	v_add_nc_u32_e32 v20, v28, v24
	v_cmp_ne_u32_e32 vcc_lo, 1, v45
	s_delay_alu instid0(VALU_DEP_2)
	v_lshrrev_b32_e32 v30, 1, v20
	s_cbranch_vccnz .LBB627_197
; %bb.193:                              ;   in Loop: Header=BB627_192 Depth=1
	s_delay_alu instid0(VALU_DEP_1) | instskip(SKIP_3) | instid1(VALU_DEP_2)
	v_not_b32_e32 v20, v30
	v_lshl_add_u32 v21, v30, 3, v25
	s_mov_b32 s23, 0
	s_mov_b64 s[14:15], s[16:17]
                                        ; implicit-def: $sgpr22
                                        ; implicit-def: $sgpr24
                                        ; implicit-def: $sgpr25
                                        ; implicit-def: $sgpr26
	v_lshl_add_u32 v20, v20, 3, v29
	ds_load_b64 v[32:33], v20
	ds_load_b64 v[34:35], v21
	s_wait_dscnt 0x1
	v_mad_nc_u64_u32 v[20:21], s6, v32, s[18:19]
	s_wait_dscnt 0x0
	v_mad_nc_u64_u32 v[22:23], s6, v34, s[18:19]
	s_delay_alu instid0(VALU_DEP_2) | instskip(NEXT) | instid1(VALU_DEP_2)
	v_mad_u32 v21, s7, v32, v21
	v_mad_u32 v23, s7, v34, v23
	s_delay_alu instid0(VALU_DEP_2) | instskip(NEXT) | instid1(VALU_DEP_2)
	v_mad_u32 v21, s6, v33, v21
	v_mad_u32 v23, s6, v35, v23
	s_branch .LBB627_195
.LBB627_194:                            ;   in Loop: Header=BB627_195 Depth=2
	s_or_b32 exec_lo, exec_lo, s27
	s_delay_alu instid0(SALU_CYCLE_1) | instskip(NEXT) | instid1(SALU_CYCLE_1)
	s_and_b32 s27, exec_lo, s24
	s_or_b32 s23, s27, s23
	s_and_not1_b32 s26, s26, exec_lo
	s_and_b32 s0, s0, exec_lo
	s_and_not1_b32 s22, s22, exec_lo
	s_and_b32 s27, s25, exec_lo
	s_or_b32 s26, s26, s0
	s_or_b32 s22, s22, s27
	s_and_not1_b32 exec_lo, exec_lo, s23
	s_cbranch_execz .LBB627_190
.LBB627_195:                            ;   Parent Loop BB627_192 Depth=1
                                        ; =>  This Inner Loop Header: Depth=2
	global_load_u16 v31, v[20:21], off
	global_load_u16 v32, v[22:23], off
	s_and_not1_b32 s25, s25, exec_lo
	s_or_b32 s24, s24, exec_lo
	s_wait_loadcnt 0x0
	v_cmp_le_i16_e32 vcc_lo, v31, v32
	v_cmp_lt_i16_e64 s0, v31, v32
	s_and_b32 s27, vcc_lo, s26
	s_delay_alu instid0(SALU_CYCLE_1) | instskip(NEXT) | instid1(SALU_CYCLE_1)
	s_or_b32 s0, s0, s27
	s_and_b32 s27, s0, exec_lo
	s_delay_alu instid0(SALU_CYCLE_1)
	s_or_b32 s25, s25, s27
	s_mov_b32 s27, exec_lo
	v_cmpx_eq_u16_e64 v31, v32
	s_cbranch_execz .LBB627_194
; %bb.196:                              ;   in Loop: Header=BB627_195 Depth=2
	s_add_nc_u64 s[14:15], s[14:15], -1
	v_add_nc_u64_e32 v[20:21], 2, v[20:21]
	s_cmp_eq_u64 s[14:15], 0
	v_add_nc_u64_e32 v[22:23], 2, v[22:23]
	s_cselect_b32 s26, -1, 0
	s_and_not1_b32 s24, s24, exec_lo
	s_and_b32 s26, s26, exec_lo
	s_and_not1_b32 s25, s25, exec_lo
	s_or_b32 s24, s24, s26
                                        ; implicit-def: $sgpr26
	s_branch .LBB627_194
.LBB627_197:                            ;   in Loop: Header=BB627_192 Depth=1
	s_mov_b32 s22, 0
	s_branch .LBB627_191
.LBB627_198:
	s_or_b32 exec_lo, exec_lo, s1
.LBB627_199:
	s_delay_alu instid0(SALU_CYCLE_1) | instskip(SKIP_1) | instid1(VALU_DEP_1)
	s_or_b32 exec_lo, exec_lo, s5
	v_dual_add_nc_u32 v21, v50, v27 :: v_dual_add_nc_u32 v20, v24, v26
	v_sub_nc_u32_e32 v21, v21, v24
	s_delay_alu instid0(VALU_DEP_2) | instskip(NEXT) | instid1(VALU_DEP_2)
	v_cmp_le_u32_e32 vcc_lo, v20, v50
	v_cmp_le_u32_e64 s0, v21, v51
	s_or_b32 s0, vcc_lo, s0
	s_delay_alu instid0(SALU_CYCLE_1)
	s_and_saveexec_b32 s1, s0
	s_cbranch_execz .LBB627_290
; %bb.200:
	s_mov_b32 s5, exec_lo
	v_cmp_ge_u32_e32 vcc_lo, v20, v50
                                        ; implicit-def: $vgpr2_vgpr3
	v_cmpx_lt_u32_e64 v20, v50
; %bb.201:
	v_lshl_add_u32 v2, v24, 3, v25
	ds_load_b64 v[2:3], v2
; %bb.202:
	s_or_b32 exec_lo, exec_lo, s5
	v_cmp_ge_u32_e64 s5, v21, v51
	s_mov_b32 s6, exec_lo
                                        ; implicit-def: $vgpr4_vgpr5
	v_cmpx_lt_u32_e64 v21, v51
; %bb.203:
	v_lshl_add_u32 v4, v21, 3, v46
	ds_load_b64 v[4:5], v4
; %bb.204:
	s_or_b32 exec_lo, exec_lo, s6
	s_nor_b32 s0, vcc_lo, s5
	s_delay_alu instid0(SALU_CYCLE_1)
	s_and_saveexec_b32 s14, s0
	s_cbranch_execz .LBB627_213
; %bb.205:
	v_cmp_ne_u32_e32 vcc_lo, 1, v45
	s_cbranch_vccnz .LBB627_211
; %bb.206:
	s_wait_dscnt 0x0
	v_mul_u64_e32 v[6:7], s[16:17], v[4:5]
	v_mul_u64_e32 v[8:9], s[16:17], v[2:3]
	s_mov_b32 s15, 0
	s_mov_b64 s[6:7], s[16:17]
                                        ; implicit-def: $sgpr22
                                        ; implicit-def: $sgpr23
                                        ; implicit-def: $sgpr24
                                        ; implicit-def: $sgpr25
	s_delay_alu instid0(VALU_DEP_2) | instskip(NEXT) | instid1(VALU_DEP_2)
	v_lshl_add_u64 v[6:7], v[6:7], 1, s[18:19]
	v_lshl_add_u64 v[8:9], v[8:9], 1, s[18:19]
	s_branch .LBB627_208
.LBB627_207:                            ;   in Loop: Header=BB627_208 Depth=1
	s_or_b32 exec_lo, exec_lo, s26
	s_delay_alu instid0(SALU_CYCLE_1) | instskip(NEXT) | instid1(SALU_CYCLE_1)
	s_and_b32 s26, exec_lo, s23
	s_or_b32 s15, s26, s15
	s_and_not1_b32 s25, s25, exec_lo
	s_and_b32 s0, s0, exec_lo
	s_and_not1_b32 s22, s22, exec_lo
	s_and_b32 s26, s24, exec_lo
	s_or_b32 s25, s25, s0
	s_or_b32 s22, s22, s26
	s_and_not1_b32 exec_lo, exec_lo, s15
	s_cbranch_execz .LBB627_210
.LBB627_208:                            ; =>This Inner Loop Header: Depth=1
	global_load_u16 v10, v[6:7], off
	global_load_u16 v11, v[8:9], off
	s_and_not1_b32 s24, s24, exec_lo
	s_or_b32 s23, s23, exec_lo
	s_wait_loadcnt 0x0
	v_cmp_le_i16_e32 vcc_lo, v10, v11
	v_cmp_lt_i16_e64 s0, v10, v11
	s_and_b32 s26, vcc_lo, s25
	s_delay_alu instid0(SALU_CYCLE_1) | instskip(NEXT) | instid1(SALU_CYCLE_1)
	s_or_b32 s0, s0, s26
	s_and_b32 s26, s0, exec_lo
	s_delay_alu instid0(SALU_CYCLE_1)
	s_or_b32 s24, s24, s26
	s_mov_b32 s26, exec_lo
	v_cmpx_eq_u16_e64 v10, v11
	s_cbranch_execz .LBB627_207
; %bb.209:                              ;   in Loop: Header=BB627_208 Depth=1
	s_add_nc_u64 s[6:7], s[6:7], -1
	v_add_nc_u64_e32 v[6:7], 2, v[6:7]
	s_cmp_eq_u64 s[6:7], 0
	v_add_nc_u64_e32 v[8:9], 2, v[8:9]
	s_cselect_b32 s25, -1, 0
	s_and_not1_b32 s23, s23, exec_lo
	s_and_b32 s25, s25, exec_lo
	s_and_not1_b32 s24, s24, exec_lo
	s_or_b32 s23, s23, s25
                                        ; implicit-def: $sgpr25
	s_branch .LBB627_207
.LBB627_210:
	s_or_b32 exec_lo, exec_lo, s15
	s_xor_b32 s0, s22, -1
	s_branch .LBB627_212
.LBB627_211:
	s_mov_b32 s0, -1
.LBB627_212:
	s_and_not1_b32 s5, s5, exec_lo
	s_and_b32 s0, s0, exec_lo
	s_delay_alu instid0(SALU_CYCLE_1)
	s_or_b32 s5, s5, s0
.LBB627_213:
	s_or_b32 exec_lo, exec_lo, s14
	v_dual_cndmask_b32 v6, v21, v20, s5 :: v_dual_cndmask_b32 v7, v51, v50, s5
	s_mov_b32 s15, -1
	s_mov_b32 s14, -1
	s_mov_b32 s22, exec_lo
	s_delay_alu instid0(VALU_DEP_1) | instskip(NEXT) | instid1(VALU_DEP_1)
	v_add_nc_u32_e32 v8, 1, v6
	v_add_min_u32_e64 v6, v7, -1, v8
	s_delay_alu instid0(VALU_DEP_1)
	v_lshl_add_u32 v6, v6, 3, v46
	ds_load_b64 v[6:7], v6
	s_wait_dscnt 0x0
	v_cndmask_b32_e64 v15, v7, v5, s5
	v_dual_cndmask_b32 v10, v8, v21, s5 :: v_dual_cndmask_b32 v14, v6, v4, s5
	v_dual_cndmask_b32 v11, v20, v8, s5 :: v_dual_cndmask_b32 v17, v3, v7, s5
	v_cndmask_b32_e64 v16, v2, v6, s5
	s_delay_alu instid0(VALU_DEP_3)
	v_cmpx_lt_u32_e64 v10, v51
	s_cbranch_execz .LBB627_224
; %bb.214:
	s_mov_b32 s0, 0
	s_mov_b32 s14, exec_lo
	v_cmpx_lt_u32_e64 v11, v50
	s_cbranch_execz .LBB627_223
; %bb.215:
	v_cmp_ne_u32_e32 vcc_lo, 1, v45
	s_cbranch_vccnz .LBB627_221
; %bb.216:
	v_mul_u64_e32 v[6:7], s[16:17], v[14:15]
	v_mul_u64_e32 v[8:9], s[16:17], v[16:17]
	s_mov_b32 s23, 0
	s_mov_b64 s[6:7], s[16:17]
                                        ; implicit-def: $sgpr24
                                        ; implicit-def: $sgpr25
                                        ; implicit-def: $sgpr26
                                        ; implicit-def: $sgpr27
	s_delay_alu instid0(VALU_DEP_2) | instskip(NEXT) | instid1(VALU_DEP_2)
	v_lshl_add_u64 v[6:7], v[6:7], 1, s[18:19]
	v_lshl_add_u64 v[8:9], v[8:9], 1, s[18:19]
	s_branch .LBB627_218
.LBB627_217:                            ;   in Loop: Header=BB627_218 Depth=1
	s_or_b32 exec_lo, exec_lo, s28
	s_delay_alu instid0(SALU_CYCLE_1) | instskip(NEXT) | instid1(SALU_CYCLE_1)
	s_and_b32 s28, exec_lo, s25
	s_or_b32 s23, s28, s23
	s_and_not1_b32 s27, s27, exec_lo
	s_and_b32 s0, s0, exec_lo
	s_and_not1_b32 s24, s24, exec_lo
	s_and_b32 s28, s26, exec_lo
	s_or_b32 s27, s27, s0
	s_or_b32 s24, s24, s28
	s_and_not1_b32 exec_lo, exec_lo, s23
	s_cbranch_execz .LBB627_220
.LBB627_218:                            ; =>This Inner Loop Header: Depth=1
	global_load_u16 v12, v[6:7], off
	global_load_u16 v13, v[8:9], off
	s_and_not1_b32 s26, s26, exec_lo
	s_or_b32 s25, s25, exec_lo
	s_wait_loadcnt 0x0
	v_cmp_le_i16_e32 vcc_lo, v12, v13
	v_cmp_lt_i16_e64 s0, v12, v13
	s_and_b32 s28, vcc_lo, s27
	s_delay_alu instid0(SALU_CYCLE_1) | instskip(NEXT) | instid1(SALU_CYCLE_1)
	s_or_b32 s0, s0, s28
	s_and_b32 s28, s0, exec_lo
	s_delay_alu instid0(SALU_CYCLE_1)
	s_or_b32 s26, s26, s28
	s_mov_b32 s28, exec_lo
	v_cmpx_eq_u16_e64 v12, v13
	s_cbranch_execz .LBB627_217
; %bb.219:                              ;   in Loop: Header=BB627_218 Depth=1
	s_add_nc_u64 s[6:7], s[6:7], -1
	v_add_nc_u64_e32 v[6:7], 2, v[6:7]
	s_cmp_eq_u64 s[6:7], 0
	v_add_nc_u64_e32 v[8:9], 2, v[8:9]
	s_cselect_b32 s27, -1, 0
	s_and_not1_b32 s25, s25, exec_lo
	s_and_b32 s27, s27, exec_lo
	s_and_not1_b32 s26, s26, exec_lo
	s_or_b32 s25, s25, s27
                                        ; implicit-def: $sgpr27
	s_branch .LBB627_217
.LBB627_220:
	s_or_b32 exec_lo, exec_lo, s23
	s_xor_b32 s0, s24, -1
	s_branch .LBB627_222
.LBB627_221:
	s_mov_b32 s0, -1
.LBB627_222:
	s_delay_alu instid0(SALU_CYCLE_1)
	s_and_b32 s0, s0, exec_lo
.LBB627_223:
	s_or_b32 exec_lo, exec_lo, s14
	s_delay_alu instid0(SALU_CYCLE_1)
	s_or_not1_b32 s14, s0, exec_lo
.LBB627_224:
	s_or_b32 exec_lo, exec_lo, s22
	v_dual_cndmask_b32 v6, v10, v11, s14 :: v_dual_cndmask_b32 v7, v51, v50, s14
	s_mov_b32 s22, exec_lo
	s_delay_alu instid0(VALU_DEP_1) | instskip(NEXT) | instid1(VALU_DEP_1)
	v_add_nc_u32_e32 v8, 1, v6
	v_add_min_u32_e64 v6, v7, -1, v8
	s_delay_alu instid0(VALU_DEP_1)
	v_lshl_add_u32 v6, v6, 3, v46
	ds_load_b64 v[6:7], v6
	v_cndmask_b32_e64 v13, v11, v8, s14
	s_wait_dscnt 0x0
	v_dual_cndmask_b32 v11, v7, v15, s14 :: v_dual_cndmask_b32 v12, v8, v10, s14
	v_dual_cndmask_b32 v21, v17, v7, s14 :: v_dual_cndmask_b32 v10, v6, v14, s14
	v_cndmask_b32_e64 v20, v16, v6, s14
	s_delay_alu instid0(VALU_DEP_3)
	v_cmpx_lt_u32_e64 v12, v51
	s_cbranch_execz .LBB627_235
; %bb.225:
	s_mov_b32 s0, 0
	s_mov_b32 s15, exec_lo
	v_cmpx_lt_u32_e64 v13, v50
	s_cbranch_execz .LBB627_234
; %bb.226:
	v_cmp_ne_u32_e32 vcc_lo, 1, v45
	s_cbranch_vccnz .LBB627_232
; %bb.227:
	v_mul_u64_e32 v[6:7], s[16:17], v[10:11]
	v_mul_u64_e32 v[8:9], s[16:17], v[20:21]
	s_mov_b32 s23, 0
	s_mov_b64 s[6:7], s[16:17]
                                        ; implicit-def: $sgpr24
                                        ; implicit-def: $sgpr25
                                        ; implicit-def: $sgpr26
                                        ; implicit-def: $sgpr27
	s_delay_alu instid0(VALU_DEP_2) | instskip(NEXT) | instid1(VALU_DEP_2)
	v_lshl_add_u64 v[6:7], v[6:7], 1, s[18:19]
	v_lshl_add_u64 v[8:9], v[8:9], 1, s[18:19]
	s_branch .LBB627_229
.LBB627_228:                            ;   in Loop: Header=BB627_229 Depth=1
	s_or_b32 exec_lo, exec_lo, s28
	s_delay_alu instid0(SALU_CYCLE_1) | instskip(NEXT) | instid1(SALU_CYCLE_1)
	s_and_b32 s28, exec_lo, s25
	s_or_b32 s23, s28, s23
	s_and_not1_b32 s27, s27, exec_lo
	s_and_b32 s0, s0, exec_lo
	s_and_not1_b32 s24, s24, exec_lo
	s_and_b32 s28, s26, exec_lo
	s_or_b32 s27, s27, s0
	s_or_b32 s24, s24, s28
	s_and_not1_b32 exec_lo, exec_lo, s23
	s_cbranch_execz .LBB627_231
.LBB627_229:                            ; =>This Inner Loop Header: Depth=1
	global_load_u16 v22, v[6:7], off
	global_load_u16 v23, v[8:9], off
	s_and_not1_b32 s26, s26, exec_lo
	s_or_b32 s25, s25, exec_lo
	s_wait_loadcnt 0x0
	v_cmp_le_i16_e32 vcc_lo, v22, v23
	v_cmp_lt_i16_e64 s0, v22, v23
	s_and_b32 s28, vcc_lo, s27
	s_delay_alu instid0(SALU_CYCLE_1) | instskip(NEXT) | instid1(SALU_CYCLE_1)
	s_or_b32 s0, s0, s28
	s_and_b32 s28, s0, exec_lo
	s_delay_alu instid0(SALU_CYCLE_1)
	s_or_b32 s26, s26, s28
	s_mov_b32 s28, exec_lo
	v_cmpx_eq_u16_e64 v22, v23
	s_cbranch_execz .LBB627_228
; %bb.230:                              ;   in Loop: Header=BB627_229 Depth=1
	s_add_nc_u64 s[6:7], s[6:7], -1
	v_add_nc_u64_e32 v[6:7], 2, v[6:7]
	s_cmp_eq_u64 s[6:7], 0
	v_add_nc_u64_e32 v[8:9], 2, v[8:9]
	s_cselect_b32 s27, -1, 0
	s_and_not1_b32 s25, s25, exec_lo
	s_and_b32 s27, s27, exec_lo
	s_and_not1_b32 s26, s26, exec_lo
	s_or_b32 s25, s25, s27
                                        ; implicit-def: $sgpr27
	s_branch .LBB627_228
.LBB627_231:
	s_or_b32 exec_lo, exec_lo, s23
	s_xor_b32 s0, s24, -1
	s_branch .LBB627_233
.LBB627_232:
	s_mov_b32 s0, -1
.LBB627_233:
	s_delay_alu instid0(SALU_CYCLE_1)
	s_and_b32 s0, s0, exec_lo
.LBB627_234:
	s_or_b32 exec_lo, exec_lo, s15
	s_delay_alu instid0(SALU_CYCLE_1)
	s_or_not1_b32 s15, s0, exec_lo
.LBB627_235:
	s_or_b32 exec_lo, exec_lo, s22
	v_dual_cndmask_b32 v6, v12, v13, s15 :: v_dual_cndmask_b32 v7, v51, v50, s15
	s_mov_b32 s23, -1
	s_mov_b32 s22, -1
	s_mov_b32 s24, exec_lo
	s_delay_alu instid0(VALU_DEP_1) | instskip(NEXT) | instid1(VALU_DEP_1)
	v_add_nc_u32_e32 v8, 1, v6
	v_add_min_u32_e64 v6, v7, -1, v8
	s_delay_alu instid0(VALU_DEP_1)
	v_lshl_add_u32 v6, v6, 3, v46
	ds_load_b64 v[6:7], v6
	s_wait_dscnt 0x0
	v_dual_cndmask_b32 v25, v13, v8, s15 :: v_dual_cndmask_b32 v22, v20, v6, s15
	v_dual_cndmask_b32 v13, v7, v11, s15 :: v_dual_cndmask_b32 v24, v8, v12, s15
	;; [unrolled: 1-line block ×3, first 2 shown]
	s_delay_alu instid0(VALU_DEP_2)
	v_cmpx_lt_u32_e64 v24, v51
	s_cbranch_execz .LBB627_246
; %bb.236:
	s_mov_b32 s0, 0
	s_mov_b32 s22, exec_lo
	v_cmpx_lt_u32_e64 v25, v50
	s_cbranch_execz .LBB627_245
; %bb.237:
	v_cmp_ne_u32_e32 vcc_lo, 1, v45
	s_cbranch_vccnz .LBB627_243
; %bb.238:
	v_mul_u64_e32 v[6:7], s[16:17], v[12:13]
	v_mul_u64_e32 v[8:9], s[16:17], v[22:23]
	s_mov_b32 s25, 0
	s_mov_b64 s[6:7], s[16:17]
                                        ; implicit-def: $sgpr26
                                        ; implicit-def: $sgpr27
                                        ; implicit-def: $sgpr28
                                        ; implicit-def: $sgpr29
	s_delay_alu instid0(VALU_DEP_2) | instskip(NEXT) | instid1(VALU_DEP_2)
	v_lshl_add_u64 v[6:7], v[6:7], 1, s[18:19]
	v_lshl_add_u64 v[8:9], v[8:9], 1, s[18:19]
	s_branch .LBB627_240
.LBB627_239:                            ;   in Loop: Header=BB627_240 Depth=1
	s_or_b32 exec_lo, exec_lo, s30
	s_delay_alu instid0(SALU_CYCLE_1) | instskip(NEXT) | instid1(SALU_CYCLE_1)
	s_and_b32 s30, exec_lo, s27
	s_or_b32 s25, s30, s25
	s_and_not1_b32 s29, s29, exec_lo
	s_and_b32 s0, s0, exec_lo
	s_and_not1_b32 s26, s26, exec_lo
	s_and_b32 s30, s28, exec_lo
	s_or_b32 s29, s29, s0
	s_or_b32 s26, s26, s30
	s_and_not1_b32 exec_lo, exec_lo, s25
	s_cbranch_execz .LBB627_242
.LBB627_240:                            ; =>This Inner Loop Header: Depth=1
	global_load_u16 v26, v[6:7], off
	global_load_u16 v27, v[8:9], off
	s_and_not1_b32 s28, s28, exec_lo
	s_or_b32 s27, s27, exec_lo
	s_wait_loadcnt 0x0
	v_cmp_le_i16_e32 vcc_lo, v26, v27
	v_cmp_lt_i16_e64 s0, v26, v27
	s_and_b32 s30, vcc_lo, s29
	s_delay_alu instid0(SALU_CYCLE_1) | instskip(NEXT) | instid1(SALU_CYCLE_1)
	s_or_b32 s0, s0, s30
	s_and_b32 s30, s0, exec_lo
	s_delay_alu instid0(SALU_CYCLE_1)
	s_or_b32 s28, s28, s30
	s_mov_b32 s30, exec_lo
	v_cmpx_eq_u16_e64 v26, v27
	s_cbranch_execz .LBB627_239
; %bb.241:                              ;   in Loop: Header=BB627_240 Depth=1
	s_add_nc_u64 s[6:7], s[6:7], -1
	v_add_nc_u64_e32 v[6:7], 2, v[6:7]
	s_cmp_eq_u64 s[6:7], 0
	v_add_nc_u64_e32 v[8:9], 2, v[8:9]
	s_cselect_b32 s29, -1, 0
	s_and_not1_b32 s27, s27, exec_lo
	s_and_b32 s29, s29, exec_lo
	s_and_not1_b32 s28, s28, exec_lo
	s_or_b32 s27, s27, s29
                                        ; implicit-def: $sgpr29
	s_branch .LBB627_239
.LBB627_242:
	s_or_b32 exec_lo, exec_lo, s25
	s_xor_b32 s0, s26, -1
	s_branch .LBB627_244
.LBB627_243:
	s_mov_b32 s0, -1
.LBB627_244:
	s_delay_alu instid0(SALU_CYCLE_1)
	s_and_b32 s0, s0, exec_lo
.LBB627_245:
	s_or_b32 exec_lo, exec_lo, s22
	s_delay_alu instid0(SALU_CYCLE_1)
	s_or_not1_b32 s22, s0, exec_lo
.LBB627_246:
	s_or_b32 exec_lo, exec_lo, s24
	v_dual_cndmask_b32 v6, v24, v25, s22 :: v_dual_cndmask_b32 v7, v51, v50, s22
	s_mov_b32 s24, exec_lo
	s_delay_alu instid0(VALU_DEP_1) | instskip(NEXT) | instid1(VALU_DEP_1)
	v_add_nc_u32_e32 v6, 1, v6
	v_add_min_u32_e64 v7, v7, -1, v6
	s_delay_alu instid0(VALU_DEP_1)
	v_lshl_add_u32 v7, v7, 3, v46
	ds_load_b64 v[8:9], v7
	s_wait_dscnt 0x0
	v_dual_cndmask_b32 v7, v9, v13, s22 :: v_dual_cndmask_b32 v28, v6, v24, s22
	v_dual_cndmask_b32 v29, v25, v6, s22 :: v_dual_cndmask_b32 v6, v8, v12, s22
	;; [unrolled: 1-line block ×3, first 2 shown]
	s_delay_alu instid0(VALU_DEP_3)
	v_cmpx_lt_u32_e64 v28, v51
	s_cbranch_execz .LBB627_257
; %bb.247:
	s_mov_b32 s0, 0
	s_mov_b32 s23, exec_lo
	v_cmpx_lt_u32_e64 v29, v50
	s_cbranch_execz .LBB627_256
; %bb.248:
	v_cmp_ne_u32_e32 vcc_lo, 1, v45
	s_cbranch_vccnz .LBB627_254
; %bb.249:
	v_mul_u64_e32 v[8:9], s[16:17], v[6:7]
	v_mul_u64_e32 v[26:27], s[16:17], v[24:25]
	s_mov_b32 s25, 0
	s_mov_b64 s[6:7], s[16:17]
                                        ; implicit-def: $sgpr26
                                        ; implicit-def: $sgpr27
                                        ; implicit-def: $sgpr28
                                        ; implicit-def: $sgpr29
	s_delay_alu instid0(VALU_DEP_2) | instskip(NEXT) | instid1(VALU_DEP_2)
	v_lshl_add_u64 v[8:9], v[8:9], 1, s[18:19]
	v_lshl_add_u64 v[26:27], v[26:27], 1, s[18:19]
	s_branch .LBB627_251
.LBB627_250:                            ;   in Loop: Header=BB627_251 Depth=1
	s_or_b32 exec_lo, exec_lo, s30
	s_delay_alu instid0(SALU_CYCLE_1) | instskip(NEXT) | instid1(SALU_CYCLE_1)
	s_and_b32 s30, exec_lo, s27
	s_or_b32 s25, s30, s25
	s_and_not1_b32 s29, s29, exec_lo
	s_and_b32 s0, s0, exec_lo
	s_and_not1_b32 s26, s26, exec_lo
	s_and_b32 s30, s28, exec_lo
	s_or_b32 s29, s29, s0
	s_or_b32 s26, s26, s30
	s_and_not1_b32 exec_lo, exec_lo, s25
	s_cbranch_execz .LBB627_253
.LBB627_251:                            ; =>This Inner Loop Header: Depth=1
	global_load_u16 v30, v[8:9], off
	global_load_u16 v31, v[26:27], off
	s_and_not1_b32 s28, s28, exec_lo
	s_or_b32 s27, s27, exec_lo
	s_wait_loadcnt 0x0
	v_cmp_le_i16_e32 vcc_lo, v30, v31
	v_cmp_lt_i16_e64 s0, v30, v31
	s_and_b32 s30, vcc_lo, s29
	s_delay_alu instid0(SALU_CYCLE_1) | instskip(NEXT) | instid1(SALU_CYCLE_1)
	s_or_b32 s0, s0, s30
	s_and_b32 s30, s0, exec_lo
	s_delay_alu instid0(SALU_CYCLE_1)
	s_or_b32 s28, s28, s30
	s_mov_b32 s30, exec_lo
	v_cmpx_eq_u16_e64 v30, v31
	s_cbranch_execz .LBB627_250
; %bb.252:                              ;   in Loop: Header=BB627_251 Depth=1
	s_add_nc_u64 s[6:7], s[6:7], -1
	v_add_nc_u64_e32 v[8:9], 2, v[8:9]
	s_cmp_eq_u64 s[6:7], 0
	v_add_nc_u64_e32 v[26:27], 2, v[26:27]
	s_cselect_b32 s29, -1, 0
	s_and_not1_b32 s27, s27, exec_lo
	s_and_b32 s29, s29, exec_lo
	s_and_not1_b32 s28, s28, exec_lo
	s_or_b32 s27, s27, s29
                                        ; implicit-def: $sgpr29
	s_branch .LBB627_250
.LBB627_253:
	s_or_b32 exec_lo, exec_lo, s25
	s_xor_b32 s0, s26, -1
	s_branch .LBB627_255
.LBB627_254:
	s_mov_b32 s0, -1
.LBB627_255:
	s_delay_alu instid0(SALU_CYCLE_1)
	s_and_b32 s0, s0, exec_lo
.LBB627_256:
	s_or_b32 exec_lo, exec_lo, s23
	s_delay_alu instid0(SALU_CYCLE_1)
	s_or_not1_b32 s23, s0, exec_lo
.LBB627_257:
	s_or_b32 exec_lo, exec_lo, s24
	v_dual_cndmask_b32 v8, v28, v29, s23 :: v_dual_cndmask_b32 v9, v51, v50, s23
	s_mov_b32 s24, -1
	s_mov_b32 s25, -1
	s_mov_b32 s26, exec_lo
	s_delay_alu instid0(VALU_DEP_1) | instskip(NEXT) | instid1(VALU_DEP_1)
	v_add_nc_u32_e32 v8, 1, v8
	v_add_min_u32_e64 v9, v9, -1, v8
	s_delay_alu instid0(VALU_DEP_1)
	v_lshl_add_u32 v9, v9, 3, v46
	ds_load_b64 v[26:27], v9
	s_wait_dscnt 0x0
	v_dual_cndmask_b32 v9, v27, v7, s23 :: v_dual_cndmask_b32 v32, v8, v28, s23
	v_dual_cndmask_b32 v33, v29, v8, s23 :: v_dual_cndmask_b32 v8, v26, v6, s23
	;; [unrolled: 1-line block ×3, first 2 shown]
	s_delay_alu instid0(VALU_DEP_3)
	v_cmpx_lt_u32_e64 v32, v51
	s_cbranch_execz .LBB627_268
; %bb.258:
	s_mov_b32 s0, 0
	s_mov_b32 s25, exec_lo
	v_cmpx_lt_u32_e64 v33, v50
	s_cbranch_execz .LBB627_267
; %bb.259:
	v_cmp_ne_u32_e32 vcc_lo, 1, v45
	s_cbranch_vccnz .LBB627_265
; %bb.260:
	v_mul_u64_e32 v[28:29], s[16:17], v[8:9]
	v_mul_u64_e32 v[30:31], s[16:17], v[26:27]
	s_mov_b32 s27, 0
	s_mov_b64 s[6:7], s[16:17]
                                        ; implicit-def: $sgpr28
                                        ; implicit-def: $sgpr29
                                        ; implicit-def: $sgpr30
                                        ; implicit-def: $sgpr31
	s_delay_alu instid0(VALU_DEP_2) | instskip(NEXT) | instid1(VALU_DEP_2)
	v_lshl_add_u64 v[28:29], v[28:29], 1, s[18:19]
	v_lshl_add_u64 v[30:31], v[30:31], 1, s[18:19]
	s_branch .LBB627_262
.LBB627_261:                            ;   in Loop: Header=BB627_262 Depth=1
	s_or_b32 exec_lo, exec_lo, s33
	s_delay_alu instid0(SALU_CYCLE_1) | instskip(NEXT) | instid1(SALU_CYCLE_1)
	s_and_b32 s33, exec_lo, s29
	s_or_b32 s27, s33, s27
	s_and_not1_b32 s31, s31, exec_lo
	s_and_b32 s0, s0, exec_lo
	s_and_not1_b32 s28, s28, exec_lo
	s_and_b32 s33, s30, exec_lo
	s_or_b32 s31, s31, s0
	s_or_b32 s28, s28, s33
	s_and_not1_b32 exec_lo, exec_lo, s27
	s_cbranch_execz .LBB627_264
.LBB627_262:                            ; =>This Inner Loop Header: Depth=1
	global_load_u16 v34, v[28:29], off
	global_load_u16 v35, v[30:31], off
	s_and_not1_b32 s30, s30, exec_lo
	s_or_b32 s29, s29, exec_lo
	s_wait_loadcnt 0x0
	v_cmp_le_i16_e32 vcc_lo, v34, v35
	v_cmp_lt_i16_e64 s0, v34, v35
	s_and_b32 s33, vcc_lo, s31
	s_delay_alu instid0(SALU_CYCLE_1) | instskip(NEXT) | instid1(SALU_CYCLE_1)
	s_or_b32 s0, s0, s33
	s_and_b32 s33, s0, exec_lo
	s_delay_alu instid0(SALU_CYCLE_1)
	s_or_b32 s30, s30, s33
	s_mov_b32 s33, exec_lo
	v_cmpx_eq_u16_e64 v34, v35
	s_cbranch_execz .LBB627_261
; %bb.263:                              ;   in Loop: Header=BB627_262 Depth=1
	s_add_nc_u64 s[6:7], s[6:7], -1
	v_add_nc_u64_e32 v[28:29], 2, v[28:29]
	s_cmp_eq_u64 s[6:7], 0
	v_add_nc_u64_e32 v[30:31], 2, v[30:31]
	s_cselect_b32 s31, -1, 0
	s_and_not1_b32 s29, s29, exec_lo
	s_and_b32 s31, s31, exec_lo
	s_and_not1_b32 s30, s30, exec_lo
	s_or_b32 s29, s29, s31
                                        ; implicit-def: $sgpr31
	s_branch .LBB627_261
.LBB627_264:
	s_or_b32 exec_lo, exec_lo, s27
	s_xor_b32 s0, s28, -1
	s_branch .LBB627_266
.LBB627_265:
	s_mov_b32 s0, -1
.LBB627_266:
	s_delay_alu instid0(SALU_CYCLE_1)
	s_and_b32 s0, s0, exec_lo
.LBB627_267:
	s_or_b32 exec_lo, exec_lo, s25
	s_delay_alu instid0(SALU_CYCLE_1)
	s_or_not1_b32 s25, s0, exec_lo
.LBB627_268:
	s_or_b32 exec_lo, exec_lo, s26
	v_dual_cndmask_b32 v28, v32, v33, s25 :: v_dual_cndmask_b32 v29, v51, v50, s25
	s_mov_b32 s26, exec_lo
	s_delay_alu instid0(VALU_DEP_1) | instskip(NEXT) | instid1(VALU_DEP_1)
	v_add_nc_u32_e32 v28, 1, v28
	v_add_min_u32_e64 v29, v29, -1, v28
	s_delay_alu instid0(VALU_DEP_1)
	v_lshl_add_u32 v29, v29, 3, v46
	ds_load_b64 v[30:31], v29
	s_wait_dscnt 0x0
	v_dual_cndmask_b32 v29, v31, v9, s25 :: v_dual_cndmask_b32 v53, v28, v32, s25
	v_dual_cndmask_b32 v31, v27, v31, s25 :: v_dual_cndmask_b32 v52, v33, v28, s25
	v_cndmask_b32_e64 v28, v30, v8, s25
	v_cndmask_b32_e64 v30, v26, v30, s25
	s_delay_alu instid0(VALU_DEP_4)
	v_cmpx_lt_u32_e64 v53, v51
	s_cbranch_execz .LBB627_279
; %bb.269:
	s_mov_b32 s0, 0
	s_mov_b32 s24, exec_lo
	v_cmpx_lt_u32_e64 v52, v50
	s_cbranch_execz .LBB627_278
; %bb.270:
	v_cmp_ne_u32_e32 vcc_lo, 1, v45
	s_cbranch_vccnz .LBB627_276
; %bb.271:
	v_mul_u64_e32 v[32:33], s[16:17], v[28:29]
	v_mul_u64_e32 v[34:35], s[16:17], v[30:31]
	s_mov_b32 s27, 0
	s_mov_b64 s[6:7], s[16:17]
                                        ; implicit-def: $sgpr28
                                        ; implicit-def: $sgpr29
                                        ; implicit-def: $sgpr30
                                        ; implicit-def: $sgpr31
	s_delay_alu instid0(VALU_DEP_2) | instskip(NEXT) | instid1(VALU_DEP_2)
	v_lshl_add_u64 v[32:33], v[32:33], 1, s[18:19]
	v_lshl_add_u64 v[34:35], v[34:35], 1, s[18:19]
	s_branch .LBB627_273
.LBB627_272:                            ;   in Loop: Header=BB627_273 Depth=1
	s_or_b32 exec_lo, exec_lo, s33
	s_delay_alu instid0(SALU_CYCLE_1) | instskip(NEXT) | instid1(SALU_CYCLE_1)
	s_and_b32 s33, exec_lo, s29
	s_or_b32 s27, s33, s27
	s_and_not1_b32 s31, s31, exec_lo
	s_and_b32 s0, s0, exec_lo
	s_and_not1_b32 s28, s28, exec_lo
	s_and_b32 s33, s30, exec_lo
	s_or_b32 s31, s31, s0
	s_or_b32 s28, s28, s33
	s_and_not1_b32 exec_lo, exec_lo, s27
	s_cbranch_execz .LBB627_275
.LBB627_273:                            ; =>This Inner Loop Header: Depth=1
	global_load_u16 v54, v[32:33], off
	global_load_u16 v55, v[34:35], off
	s_and_not1_b32 s30, s30, exec_lo
	s_or_b32 s29, s29, exec_lo
	s_wait_loadcnt 0x0
	v_cmp_le_i16_e32 vcc_lo, v54, v55
	v_cmp_lt_i16_e64 s0, v54, v55
	s_and_b32 s33, vcc_lo, s31
	s_delay_alu instid0(SALU_CYCLE_1) | instskip(NEXT) | instid1(SALU_CYCLE_1)
	s_or_b32 s0, s0, s33
	s_and_b32 s33, s0, exec_lo
	s_delay_alu instid0(SALU_CYCLE_1)
	s_or_b32 s30, s30, s33
	s_mov_b32 s33, exec_lo
	v_cmpx_eq_u16_e64 v54, v55
	s_cbranch_execz .LBB627_272
; %bb.274:                              ;   in Loop: Header=BB627_273 Depth=1
	s_add_nc_u64 s[6:7], s[6:7], -1
	v_add_nc_u64_e32 v[32:33], 2, v[32:33]
	s_cmp_eq_u64 s[6:7], 0
	v_add_nc_u64_e32 v[34:35], 2, v[34:35]
	s_cselect_b32 s31, -1, 0
	s_and_not1_b32 s29, s29, exec_lo
	s_and_b32 s31, s31, exec_lo
	s_and_not1_b32 s30, s30, exec_lo
	s_or_b32 s29, s29, s31
                                        ; implicit-def: $sgpr31
	s_branch .LBB627_272
.LBB627_275:
	s_or_b32 exec_lo, exec_lo, s27
	s_xor_b32 s0, s28, -1
	s_branch .LBB627_277
.LBB627_276:
	s_mov_b32 s0, -1
.LBB627_277:
	s_delay_alu instid0(SALU_CYCLE_1)
	s_and_b32 s0, s0, exec_lo
.LBB627_278:
	s_or_b32 exec_lo, exec_lo, s24
	s_delay_alu instid0(SALU_CYCLE_1)
	s_or_not1_b32 s24, s0, exec_lo
.LBB627_279:
	s_or_b32 exec_lo, exec_lo, s26
	v_dual_cndmask_b32 v32, v53, v52, s24 :: v_dual_cndmask_b32 v33, v51, v50, s24
	v_dual_cndmask_b32 v8, v8, v26, s25 :: v_dual_cndmask_b32 v7, v7, v25, s23
	v_dual_cndmask_b32 v6, v6, v24, s23 :: v_dual_cndmask_b32 v13, v13, v23, s22
	s_delay_alu instid0(VALU_DEP_3) | instskip(SKIP_2) | instid1(VALU_DEP_3)
	v_dual_add_nc_u32 v34, 1, v32 :: v_dual_cndmask_b32 v9, v9, v27, s25
	v_dual_cndmask_b32 v12, v12, v22, s22 :: v_dual_cndmask_b32 v11, v11, v21, s15
	v_dual_cndmask_b32 v10, v10, v20, s15 :: v_dual_cndmask_b32 v17, v15, v17, s14
	v_add_min_u32_e64 v32, v33, -1, v34
	v_dual_cndmask_b32 v16, v14, v16, s14 :: v_dual_cndmask_b32 v15, v5, v3, s5
	v_dual_cndmask_b32 v14, v4, v2, s5 :: v_dual_cndmask_b32 v20, v34, v53, s24
	s_delay_alu instid0(VALU_DEP_3)
	v_lshl_add_u32 v32, v32, 3, v46
	v_dual_cndmask_b32 v3, v29, v31, s24 :: v_dual_cndmask_b32 v2, v28, v30, s24
	s_mov_b32 s5, exec_lo
	ds_load_b64 v[32:33], v32
	s_wait_dscnt 0x0
	v_dual_cndmask_b32 v5, v31, v33, s24 :: v_dual_cndmask_b32 v4, v30, v32, s24
	v_cmpx_lt_u32_e64 v20, v51
	s_cbranch_execz .LBB627_289
; %bb.280:
	v_dual_cndmask_b32 v22, v52, v34, s24 :: v_dual_cndmask_b32 v21, v33, v29, s24
	v_cndmask_b32_e64 v20, v32, v28, s24
	s_mov_b32 s14, exec_lo
	s_delay_alu instid0(VALU_DEP_2)
	v_cmpx_lt_u32_e64 v22, v50
	s_cbranch_execz .LBB627_288
; %bb.281:
	v_cmp_ne_u32_e32 vcc_lo, 1, v45
	s_cbranch_vccnz .LBB627_287
; %bb.282:
	v_mul_u64_e32 v[22:23], s[16:17], v[20:21]
	v_mul_u64_e32 v[24:25], s[16:17], v[4:5]
	s_mov_b32 s15, 0
	s_mov_b64 s[6:7], s[16:17]
                                        ; implicit-def: $sgpr22
                                        ; implicit-def: $sgpr23
                                        ; implicit-def: $sgpr24
                                        ; implicit-def: $sgpr25
	s_delay_alu instid0(VALU_DEP_2) | instskip(NEXT) | instid1(VALU_DEP_2)
	v_lshl_add_u64 v[22:23], v[22:23], 1, s[18:19]
	v_lshl_add_u64 v[24:25], v[24:25], 1, s[18:19]
	s_branch .LBB627_284
.LBB627_283:                            ;   in Loop: Header=BB627_284 Depth=1
	s_or_b32 exec_lo, exec_lo, s26
	s_delay_alu instid0(SALU_CYCLE_1) | instskip(NEXT) | instid1(SALU_CYCLE_1)
	s_and_b32 s26, exec_lo, s23
	s_or_b32 s15, s26, s15
	s_and_not1_b32 s25, s25, exec_lo
	s_and_b32 s0, s0, exec_lo
	s_and_not1_b32 s22, s22, exec_lo
	s_and_b32 s26, s24, exec_lo
	s_or_b32 s25, s25, s0
	s_or_b32 s22, s22, s26
	s_and_not1_b32 exec_lo, exec_lo, s15
	s_cbranch_execz .LBB627_286
.LBB627_284:                            ; =>This Inner Loop Header: Depth=1
	global_load_u16 v26, v[22:23], off
	global_load_u16 v27, v[24:25], off
	s_and_not1_b32 s24, s24, exec_lo
	s_or_b32 s23, s23, exec_lo
	s_wait_loadcnt 0x0
	v_cmp_le_i16_e32 vcc_lo, v26, v27
	v_cmp_lt_i16_e64 s0, v26, v27
	s_and_b32 s26, vcc_lo, s25
	s_delay_alu instid0(SALU_CYCLE_1) | instskip(NEXT) | instid1(SALU_CYCLE_1)
	s_or_b32 s0, s0, s26
	s_and_b32 s26, s0, exec_lo
	s_delay_alu instid0(SALU_CYCLE_1)
	s_or_b32 s24, s24, s26
	s_mov_b32 s26, exec_lo
	v_cmpx_eq_u16_e64 v26, v27
	s_cbranch_execz .LBB627_283
; %bb.285:                              ;   in Loop: Header=BB627_284 Depth=1
	s_add_nc_u64 s[6:7], s[6:7], -1
	v_add_nc_u64_e32 v[22:23], 2, v[22:23]
	s_cmp_eq_u64 s[6:7], 0
	v_add_nc_u64_e32 v[24:25], 2, v[24:25]
	s_cselect_b32 s25, -1, 0
	s_and_not1_b32 s23, s23, exec_lo
	s_and_b32 s25, s25, exec_lo
	s_and_not1_b32 s24, s24, exec_lo
	s_or_b32 s23, s23, s25
                                        ; implicit-def: $sgpr25
	s_branch .LBB627_283
.LBB627_286:
	s_or_b32 exec_lo, exec_lo, s15
	v_dual_cndmask_b32 v5, v5, v21, s22 :: v_dual_cndmask_b32 v4, v4, v20, s22
.LBB627_287:
	s_delay_alu instid0(VALU_DEP_1)
	v_mov_b64_e32 v[20:21], v[4:5]
.LBB627_288:
	s_or_b32 exec_lo, exec_lo, s14
	s_delay_alu instid0(VALU_DEP_1)
	v_mov_b64_e32 v[4:5], v[20:21]
.LBB627_289:
	s_or_b32 exec_lo, exec_lo, s5
.LBB627_290:
	s_delay_alu instid0(SALU_CYCLE_1)
	s_or_b32 exec_lo, exec_lo, s1
	v_and_b32_e32 v26, 0xe0, v48
	s_mov_b32 s1, exec_lo
	; wave barrier
	ds_store_b128 v49, v[14:17]
	ds_store_b128 v49, v[10:13] offset:16
	v_or_b32_e32 v20, 16, v26
	v_lshl_add_u32 v25, v26, 3, v46
	ds_store_b128 v49, v[6:9] offset:32
	ds_store_b128 v49, v[2:5] offset:48
	; wave barrier
	v_min_u32_e32 v50, v47, v20
	v_and_b32_e32 v20, 24, v48
	s_delay_alu instid0(VALU_DEP_2) | instskip(NEXT) | instid1(VALU_DEP_2)
	v_add_min_u32_e64 v51, v50, 16, v47
	v_min_u32_e32 v27, v47, v20
	v_sub_nc_u32_e32 v21, v50, v26
	s_delay_alu instid0(VALU_DEP_3) | instskip(NEXT) | instid1(VALU_DEP_2)
	v_sub_nc_u32_e32 v20, v51, v50
	v_min_u32_e32 v28, v27, v21
	s_delay_alu instid0(VALU_DEP_2) | instskip(NEXT) | instid1(VALU_DEP_1)
	v_sub_nc_u32_e64 v24, v27, v20 clamp
	v_cmpx_lt_u32_e64 v24, v28
	s_cbranch_execz .LBB627_300
; %bb.291:
	v_dual_lshlrev_b32 v20, 3, v50 :: v_dual_lshlrev_b32 v21, 3, v27
	s_lshl_b64 s[6:7], s[16:17], 1
	s_mov_b32 s5, 0
	s_delay_alu instid0(VALU_DEP_1)
	v_add3_u32 v29, v46, v20, v21
	s_branch .LBB627_294
.LBB627_292:                            ;   in Loop: Header=BB627_294 Depth=1
	s_or_b32 exec_lo, exec_lo, s23
.LBB627_293:                            ;   in Loop: Header=BB627_294 Depth=1
	s_delay_alu instid0(VALU_DEP_1) | instskip(NEXT) | instid1(VALU_DEP_1)
	v_dual_add_nc_u32 v20, 1, v30 :: v_dual_cndmask_b32 v28, v28, v30, s22
	v_cndmask_b32_e64 v24, v20, v24, s22
	s_delay_alu instid0(VALU_DEP_1) | instskip(SKIP_1) | instid1(SALU_CYCLE_1)
	v_cmp_ge_u32_e32 vcc_lo, v24, v28
	s_or_b32 s5, vcc_lo, s5
	s_and_not1_b32 exec_lo, exec_lo, s5
	s_cbranch_execz .LBB627_299
.LBB627_294:                            ; =>This Loop Header: Depth=1
                                        ;     Child Loop BB627_297 Depth 2
	v_add_nc_u32_e32 v20, v28, v24
	v_cmp_ne_u32_e32 vcc_lo, 1, v45
	s_mov_b32 s22, 0
	s_delay_alu instid0(VALU_DEP_2)
	v_lshrrev_b32_e32 v30, 1, v20
	s_cbranch_vccnz .LBB627_293
; %bb.295:                              ;   in Loop: Header=BB627_294 Depth=1
	s_delay_alu instid0(VALU_DEP_1) | instskip(SKIP_3) | instid1(VALU_DEP_2)
	v_not_b32_e32 v20, v30
	v_lshl_add_u32 v21, v30, 3, v25
	s_mov_b32 s23, 0
	s_mov_b64 s[14:15], s[16:17]
                                        ; implicit-def: $sgpr22
                                        ; implicit-def: $sgpr24
                                        ; implicit-def: $sgpr25
                                        ; implicit-def: $sgpr26
	v_lshl_add_u32 v20, v20, 3, v29
	ds_load_b64 v[32:33], v20
	ds_load_b64 v[34:35], v21
	s_wait_dscnt 0x1
	v_mad_nc_u64_u32 v[20:21], s6, v32, s[18:19]
	s_wait_dscnt 0x0
	v_mad_nc_u64_u32 v[22:23], s6, v34, s[18:19]
	s_delay_alu instid0(VALU_DEP_2) | instskip(NEXT) | instid1(VALU_DEP_2)
	v_mad_u32 v21, s7, v32, v21
	v_mad_u32 v23, s7, v34, v23
	s_delay_alu instid0(VALU_DEP_2) | instskip(NEXT) | instid1(VALU_DEP_2)
	v_mad_u32 v21, s6, v33, v21
	v_mad_u32 v23, s6, v35, v23
	s_branch .LBB627_297
.LBB627_296:                            ;   in Loop: Header=BB627_297 Depth=2
	s_or_b32 exec_lo, exec_lo, s27
	s_delay_alu instid0(SALU_CYCLE_1) | instskip(NEXT) | instid1(SALU_CYCLE_1)
	s_and_b32 s27, exec_lo, s24
	s_or_b32 s23, s27, s23
	s_and_not1_b32 s26, s26, exec_lo
	s_and_b32 s0, s0, exec_lo
	s_and_not1_b32 s22, s22, exec_lo
	s_and_b32 s27, s25, exec_lo
	s_or_b32 s26, s26, s0
	s_or_b32 s22, s22, s27
	s_and_not1_b32 exec_lo, exec_lo, s23
	s_cbranch_execz .LBB627_292
.LBB627_297:                            ;   Parent Loop BB627_294 Depth=1
                                        ; =>  This Inner Loop Header: Depth=2
	global_load_u16 v31, v[20:21], off
	global_load_u16 v32, v[22:23], off
	s_and_not1_b32 s25, s25, exec_lo
	s_or_b32 s24, s24, exec_lo
	s_wait_loadcnt 0x0
	v_cmp_le_i16_e32 vcc_lo, v31, v32
	v_cmp_lt_i16_e64 s0, v31, v32
	s_and_b32 s27, vcc_lo, s26
	s_delay_alu instid0(SALU_CYCLE_1) | instskip(NEXT) | instid1(SALU_CYCLE_1)
	s_or_b32 s0, s0, s27
	s_and_b32 s27, s0, exec_lo
	s_delay_alu instid0(SALU_CYCLE_1)
	s_or_b32 s25, s25, s27
	s_mov_b32 s27, exec_lo
	v_cmpx_eq_u16_e64 v31, v32
	s_cbranch_execz .LBB627_296
; %bb.298:                              ;   in Loop: Header=BB627_297 Depth=2
	s_add_nc_u64 s[14:15], s[14:15], -1
	v_add_nc_u64_e32 v[20:21], 2, v[20:21]
	s_cmp_eq_u64 s[14:15], 0
	v_add_nc_u64_e32 v[22:23], 2, v[22:23]
	s_cselect_b32 s26, -1, 0
	s_and_not1_b32 s24, s24, exec_lo
	s_and_b32 s26, s26, exec_lo
	s_and_not1_b32 s25, s25, exec_lo
	s_or_b32 s24, s24, s26
                                        ; implicit-def: $sgpr26
	s_branch .LBB627_296
.LBB627_299:
	s_or_b32 exec_lo, exec_lo, s5
.LBB627_300:
	s_delay_alu instid0(SALU_CYCLE_1) | instskip(SKIP_1) | instid1(VALU_DEP_1)
	s_or_b32 exec_lo, exec_lo, s1
	v_dual_add_nc_u32 v21, v50, v27 :: v_dual_add_nc_u32 v20, v24, v26
	v_sub_nc_u32_e32 v21, v21, v24
	s_delay_alu instid0(VALU_DEP_2) | instskip(NEXT) | instid1(VALU_DEP_2)
	v_cmp_le_u32_e32 vcc_lo, v20, v50
	v_cmp_le_u32_e64 s0, v21, v51
	s_or_b32 s0, vcc_lo, s0
	s_delay_alu instid0(SALU_CYCLE_1)
	s_and_saveexec_b32 s1, s0
	s_cbranch_execz .LBB627_391
; %bb.301:
	s_mov_b32 s5, exec_lo
	v_cmp_ge_u32_e32 vcc_lo, v20, v50
                                        ; implicit-def: $vgpr2_vgpr3
	v_cmpx_lt_u32_e64 v20, v50
; %bb.302:
	v_lshl_add_u32 v2, v24, 3, v25
	ds_load_b64 v[2:3], v2
; %bb.303:
	s_or_b32 exec_lo, exec_lo, s5
	v_cmp_ge_u32_e64 s5, v21, v51
	s_mov_b32 s6, exec_lo
                                        ; implicit-def: $vgpr4_vgpr5
	v_cmpx_lt_u32_e64 v21, v51
; %bb.304:
	v_lshl_add_u32 v4, v21, 3, v46
	ds_load_b64 v[4:5], v4
; %bb.305:
	s_or_b32 exec_lo, exec_lo, s6
	s_nor_b32 s0, vcc_lo, s5
	s_delay_alu instid0(SALU_CYCLE_1)
	s_and_saveexec_b32 s14, s0
	s_cbranch_execz .LBB627_314
; %bb.306:
	v_cmp_ne_u32_e32 vcc_lo, 1, v45
	s_cbranch_vccnz .LBB627_312
; %bb.307:
	s_wait_dscnt 0x0
	v_mul_u64_e32 v[6:7], s[16:17], v[4:5]
	v_mul_u64_e32 v[8:9], s[16:17], v[2:3]
	s_mov_b32 s15, 0
	s_mov_b64 s[6:7], s[16:17]
                                        ; implicit-def: $sgpr22
                                        ; implicit-def: $sgpr23
                                        ; implicit-def: $sgpr24
                                        ; implicit-def: $sgpr25
	s_delay_alu instid0(VALU_DEP_2) | instskip(NEXT) | instid1(VALU_DEP_2)
	v_lshl_add_u64 v[6:7], v[6:7], 1, s[18:19]
	v_lshl_add_u64 v[8:9], v[8:9], 1, s[18:19]
	s_branch .LBB627_309
.LBB627_308:                            ;   in Loop: Header=BB627_309 Depth=1
	s_or_b32 exec_lo, exec_lo, s26
	s_delay_alu instid0(SALU_CYCLE_1) | instskip(NEXT) | instid1(SALU_CYCLE_1)
	s_and_b32 s26, exec_lo, s23
	s_or_b32 s15, s26, s15
	s_and_not1_b32 s25, s25, exec_lo
	s_and_b32 s0, s0, exec_lo
	s_and_not1_b32 s22, s22, exec_lo
	s_and_b32 s26, s24, exec_lo
	s_or_b32 s25, s25, s0
	s_or_b32 s22, s22, s26
	s_and_not1_b32 exec_lo, exec_lo, s15
	s_cbranch_execz .LBB627_311
.LBB627_309:                            ; =>This Inner Loop Header: Depth=1
	global_load_u16 v10, v[6:7], off
	global_load_u16 v11, v[8:9], off
	s_and_not1_b32 s24, s24, exec_lo
	s_or_b32 s23, s23, exec_lo
	s_wait_loadcnt 0x0
	v_cmp_le_i16_e32 vcc_lo, v10, v11
	v_cmp_lt_i16_e64 s0, v10, v11
	s_and_b32 s26, vcc_lo, s25
	s_delay_alu instid0(SALU_CYCLE_1) | instskip(NEXT) | instid1(SALU_CYCLE_1)
	s_or_b32 s0, s0, s26
	s_and_b32 s26, s0, exec_lo
	s_delay_alu instid0(SALU_CYCLE_1)
	s_or_b32 s24, s24, s26
	s_mov_b32 s26, exec_lo
	v_cmpx_eq_u16_e64 v10, v11
	s_cbranch_execz .LBB627_308
; %bb.310:                              ;   in Loop: Header=BB627_309 Depth=1
	s_add_nc_u64 s[6:7], s[6:7], -1
	v_add_nc_u64_e32 v[6:7], 2, v[6:7]
	s_cmp_eq_u64 s[6:7], 0
	v_add_nc_u64_e32 v[8:9], 2, v[8:9]
	s_cselect_b32 s25, -1, 0
	s_and_not1_b32 s23, s23, exec_lo
	s_and_b32 s25, s25, exec_lo
	s_and_not1_b32 s24, s24, exec_lo
	s_or_b32 s23, s23, s25
                                        ; implicit-def: $sgpr25
	s_branch .LBB627_308
.LBB627_311:
	s_or_b32 exec_lo, exec_lo, s15
	s_xor_b32 s0, s22, -1
	s_branch .LBB627_313
.LBB627_312:
	s_mov_b32 s0, -1
.LBB627_313:
	s_and_not1_b32 s5, s5, exec_lo
	s_and_b32 s0, s0, exec_lo
	s_delay_alu instid0(SALU_CYCLE_1)
	s_or_b32 s5, s5, s0
.LBB627_314:
	s_or_b32 exec_lo, exec_lo, s14
	v_dual_cndmask_b32 v6, v21, v20, s5 :: v_dual_cndmask_b32 v7, v51, v50, s5
	s_mov_b32 s15, -1
	s_mov_b32 s14, -1
	s_mov_b32 s22, exec_lo
	s_delay_alu instid0(VALU_DEP_1) | instskip(NEXT) | instid1(VALU_DEP_1)
	v_add_nc_u32_e32 v8, 1, v6
	v_add_min_u32_e64 v6, v7, -1, v8
	s_delay_alu instid0(VALU_DEP_1)
	v_lshl_add_u32 v6, v6, 3, v46
	ds_load_b64 v[6:7], v6
	s_wait_dscnt 0x0
	v_cndmask_b32_e64 v15, v7, v5, s5
	v_dual_cndmask_b32 v10, v8, v21, s5 :: v_dual_cndmask_b32 v14, v6, v4, s5
	v_dual_cndmask_b32 v11, v20, v8, s5 :: v_dual_cndmask_b32 v17, v3, v7, s5
	v_cndmask_b32_e64 v16, v2, v6, s5
	s_delay_alu instid0(VALU_DEP_3)
	v_cmpx_lt_u32_e64 v10, v51
	s_cbranch_execz .LBB627_325
; %bb.315:
	s_mov_b32 s0, 0
	s_mov_b32 s14, exec_lo
	v_cmpx_lt_u32_e64 v11, v50
	s_cbranch_execz .LBB627_324
; %bb.316:
	v_cmp_ne_u32_e32 vcc_lo, 1, v45
	s_cbranch_vccnz .LBB627_322
; %bb.317:
	v_mul_u64_e32 v[6:7], s[16:17], v[14:15]
	v_mul_u64_e32 v[8:9], s[16:17], v[16:17]
	s_mov_b32 s23, 0
	s_mov_b64 s[6:7], s[16:17]
                                        ; implicit-def: $sgpr24
                                        ; implicit-def: $sgpr25
                                        ; implicit-def: $sgpr26
                                        ; implicit-def: $sgpr27
	s_delay_alu instid0(VALU_DEP_2) | instskip(NEXT) | instid1(VALU_DEP_2)
	v_lshl_add_u64 v[6:7], v[6:7], 1, s[18:19]
	v_lshl_add_u64 v[8:9], v[8:9], 1, s[18:19]
	s_branch .LBB627_319
.LBB627_318:                            ;   in Loop: Header=BB627_319 Depth=1
	s_or_b32 exec_lo, exec_lo, s28
	s_delay_alu instid0(SALU_CYCLE_1) | instskip(NEXT) | instid1(SALU_CYCLE_1)
	s_and_b32 s28, exec_lo, s25
	s_or_b32 s23, s28, s23
	s_and_not1_b32 s27, s27, exec_lo
	s_and_b32 s0, s0, exec_lo
	s_and_not1_b32 s24, s24, exec_lo
	s_and_b32 s28, s26, exec_lo
	s_or_b32 s27, s27, s0
	s_or_b32 s24, s24, s28
	s_and_not1_b32 exec_lo, exec_lo, s23
	s_cbranch_execz .LBB627_321
.LBB627_319:                            ; =>This Inner Loop Header: Depth=1
	global_load_u16 v12, v[6:7], off
	global_load_u16 v13, v[8:9], off
	s_and_not1_b32 s26, s26, exec_lo
	s_or_b32 s25, s25, exec_lo
	s_wait_loadcnt 0x0
	v_cmp_le_i16_e32 vcc_lo, v12, v13
	v_cmp_lt_i16_e64 s0, v12, v13
	s_and_b32 s28, vcc_lo, s27
	s_delay_alu instid0(SALU_CYCLE_1) | instskip(NEXT) | instid1(SALU_CYCLE_1)
	s_or_b32 s0, s0, s28
	s_and_b32 s28, s0, exec_lo
	s_delay_alu instid0(SALU_CYCLE_1)
	s_or_b32 s26, s26, s28
	s_mov_b32 s28, exec_lo
	v_cmpx_eq_u16_e64 v12, v13
	s_cbranch_execz .LBB627_318
; %bb.320:                              ;   in Loop: Header=BB627_319 Depth=1
	s_add_nc_u64 s[6:7], s[6:7], -1
	v_add_nc_u64_e32 v[6:7], 2, v[6:7]
	s_cmp_eq_u64 s[6:7], 0
	v_add_nc_u64_e32 v[8:9], 2, v[8:9]
	s_cselect_b32 s27, -1, 0
	s_and_not1_b32 s25, s25, exec_lo
	s_and_b32 s27, s27, exec_lo
	s_and_not1_b32 s26, s26, exec_lo
	s_or_b32 s25, s25, s27
                                        ; implicit-def: $sgpr27
	s_branch .LBB627_318
.LBB627_321:
	s_or_b32 exec_lo, exec_lo, s23
	s_xor_b32 s0, s24, -1
	s_branch .LBB627_323
.LBB627_322:
	s_mov_b32 s0, -1
.LBB627_323:
	s_delay_alu instid0(SALU_CYCLE_1)
	s_and_b32 s0, s0, exec_lo
.LBB627_324:
	s_or_b32 exec_lo, exec_lo, s14
	s_delay_alu instid0(SALU_CYCLE_1)
	s_or_not1_b32 s14, s0, exec_lo
.LBB627_325:
	s_or_b32 exec_lo, exec_lo, s22
	v_dual_cndmask_b32 v6, v10, v11, s14 :: v_dual_cndmask_b32 v7, v51, v50, s14
	s_mov_b32 s22, exec_lo
	s_delay_alu instid0(VALU_DEP_1) | instskip(NEXT) | instid1(VALU_DEP_1)
	v_add_nc_u32_e32 v8, 1, v6
	v_add_min_u32_e64 v6, v7, -1, v8
	s_delay_alu instid0(VALU_DEP_1)
	v_lshl_add_u32 v6, v6, 3, v46
	ds_load_b64 v[6:7], v6
	v_cndmask_b32_e64 v13, v11, v8, s14
	s_wait_dscnt 0x0
	v_dual_cndmask_b32 v11, v7, v15, s14 :: v_dual_cndmask_b32 v12, v8, v10, s14
	v_dual_cndmask_b32 v21, v17, v7, s14 :: v_dual_cndmask_b32 v10, v6, v14, s14
	v_cndmask_b32_e64 v20, v16, v6, s14
	s_delay_alu instid0(VALU_DEP_3)
	v_cmpx_lt_u32_e64 v12, v51
	s_cbranch_execz .LBB627_336
; %bb.326:
	s_mov_b32 s0, 0
	s_mov_b32 s15, exec_lo
	v_cmpx_lt_u32_e64 v13, v50
	s_cbranch_execz .LBB627_335
; %bb.327:
	v_cmp_ne_u32_e32 vcc_lo, 1, v45
	s_cbranch_vccnz .LBB627_333
; %bb.328:
	v_mul_u64_e32 v[6:7], s[16:17], v[10:11]
	v_mul_u64_e32 v[8:9], s[16:17], v[20:21]
	s_mov_b32 s23, 0
	s_mov_b64 s[6:7], s[16:17]
                                        ; implicit-def: $sgpr24
                                        ; implicit-def: $sgpr25
                                        ; implicit-def: $sgpr26
                                        ; implicit-def: $sgpr27
	s_delay_alu instid0(VALU_DEP_2) | instskip(NEXT) | instid1(VALU_DEP_2)
	v_lshl_add_u64 v[6:7], v[6:7], 1, s[18:19]
	v_lshl_add_u64 v[8:9], v[8:9], 1, s[18:19]
	s_branch .LBB627_330
.LBB627_329:                            ;   in Loop: Header=BB627_330 Depth=1
	s_or_b32 exec_lo, exec_lo, s28
	s_delay_alu instid0(SALU_CYCLE_1) | instskip(NEXT) | instid1(SALU_CYCLE_1)
	s_and_b32 s28, exec_lo, s25
	s_or_b32 s23, s28, s23
	s_and_not1_b32 s27, s27, exec_lo
	s_and_b32 s0, s0, exec_lo
	s_and_not1_b32 s24, s24, exec_lo
	s_and_b32 s28, s26, exec_lo
	s_or_b32 s27, s27, s0
	s_or_b32 s24, s24, s28
	s_and_not1_b32 exec_lo, exec_lo, s23
	s_cbranch_execz .LBB627_332
.LBB627_330:                            ; =>This Inner Loop Header: Depth=1
	global_load_u16 v22, v[6:7], off
	global_load_u16 v23, v[8:9], off
	s_and_not1_b32 s26, s26, exec_lo
	s_or_b32 s25, s25, exec_lo
	s_wait_loadcnt 0x0
	v_cmp_le_i16_e32 vcc_lo, v22, v23
	v_cmp_lt_i16_e64 s0, v22, v23
	s_and_b32 s28, vcc_lo, s27
	s_delay_alu instid0(SALU_CYCLE_1) | instskip(NEXT) | instid1(SALU_CYCLE_1)
	s_or_b32 s0, s0, s28
	s_and_b32 s28, s0, exec_lo
	s_delay_alu instid0(SALU_CYCLE_1)
	s_or_b32 s26, s26, s28
	s_mov_b32 s28, exec_lo
	v_cmpx_eq_u16_e64 v22, v23
	s_cbranch_execz .LBB627_329
; %bb.331:                              ;   in Loop: Header=BB627_330 Depth=1
	s_add_nc_u64 s[6:7], s[6:7], -1
	v_add_nc_u64_e32 v[6:7], 2, v[6:7]
	s_cmp_eq_u64 s[6:7], 0
	v_add_nc_u64_e32 v[8:9], 2, v[8:9]
	s_cselect_b32 s27, -1, 0
	s_and_not1_b32 s25, s25, exec_lo
	s_and_b32 s27, s27, exec_lo
	s_and_not1_b32 s26, s26, exec_lo
	s_or_b32 s25, s25, s27
                                        ; implicit-def: $sgpr27
	s_branch .LBB627_329
.LBB627_332:
	s_or_b32 exec_lo, exec_lo, s23
	s_xor_b32 s0, s24, -1
	s_branch .LBB627_334
.LBB627_333:
	s_mov_b32 s0, -1
.LBB627_334:
	s_delay_alu instid0(SALU_CYCLE_1)
	s_and_b32 s0, s0, exec_lo
.LBB627_335:
	s_or_b32 exec_lo, exec_lo, s15
	s_delay_alu instid0(SALU_CYCLE_1)
	s_or_not1_b32 s15, s0, exec_lo
.LBB627_336:
	s_or_b32 exec_lo, exec_lo, s22
	v_dual_cndmask_b32 v6, v12, v13, s15 :: v_dual_cndmask_b32 v7, v51, v50, s15
	s_mov_b32 s23, -1
	s_mov_b32 s22, -1
	s_mov_b32 s24, exec_lo
	s_delay_alu instid0(VALU_DEP_1) | instskip(NEXT) | instid1(VALU_DEP_1)
	v_add_nc_u32_e32 v8, 1, v6
	v_add_min_u32_e64 v6, v7, -1, v8
	s_delay_alu instid0(VALU_DEP_1)
	v_lshl_add_u32 v6, v6, 3, v46
	ds_load_b64 v[6:7], v6
	s_wait_dscnt 0x0
	v_dual_cndmask_b32 v25, v13, v8, s15 :: v_dual_cndmask_b32 v22, v20, v6, s15
	v_dual_cndmask_b32 v13, v7, v11, s15 :: v_dual_cndmask_b32 v24, v8, v12, s15
	;; [unrolled: 1-line block ×3, first 2 shown]
	s_delay_alu instid0(VALU_DEP_2)
	v_cmpx_lt_u32_e64 v24, v51
	s_cbranch_execz .LBB627_347
; %bb.337:
	s_mov_b32 s0, 0
	s_mov_b32 s22, exec_lo
	v_cmpx_lt_u32_e64 v25, v50
	s_cbranch_execz .LBB627_346
; %bb.338:
	v_cmp_ne_u32_e32 vcc_lo, 1, v45
	s_cbranch_vccnz .LBB627_344
; %bb.339:
	v_mul_u64_e32 v[6:7], s[16:17], v[12:13]
	v_mul_u64_e32 v[8:9], s[16:17], v[22:23]
	s_mov_b32 s25, 0
	s_mov_b64 s[6:7], s[16:17]
                                        ; implicit-def: $sgpr26
                                        ; implicit-def: $sgpr27
                                        ; implicit-def: $sgpr28
                                        ; implicit-def: $sgpr29
	s_delay_alu instid0(VALU_DEP_2) | instskip(NEXT) | instid1(VALU_DEP_2)
	v_lshl_add_u64 v[6:7], v[6:7], 1, s[18:19]
	v_lshl_add_u64 v[8:9], v[8:9], 1, s[18:19]
	s_branch .LBB627_341
.LBB627_340:                            ;   in Loop: Header=BB627_341 Depth=1
	s_or_b32 exec_lo, exec_lo, s30
	s_delay_alu instid0(SALU_CYCLE_1) | instskip(NEXT) | instid1(SALU_CYCLE_1)
	s_and_b32 s30, exec_lo, s27
	s_or_b32 s25, s30, s25
	s_and_not1_b32 s29, s29, exec_lo
	s_and_b32 s0, s0, exec_lo
	s_and_not1_b32 s26, s26, exec_lo
	s_and_b32 s30, s28, exec_lo
	s_or_b32 s29, s29, s0
	s_or_b32 s26, s26, s30
	s_and_not1_b32 exec_lo, exec_lo, s25
	s_cbranch_execz .LBB627_343
.LBB627_341:                            ; =>This Inner Loop Header: Depth=1
	global_load_u16 v26, v[6:7], off
	global_load_u16 v27, v[8:9], off
	s_and_not1_b32 s28, s28, exec_lo
	s_or_b32 s27, s27, exec_lo
	s_wait_loadcnt 0x0
	v_cmp_le_i16_e32 vcc_lo, v26, v27
	v_cmp_lt_i16_e64 s0, v26, v27
	s_and_b32 s30, vcc_lo, s29
	s_delay_alu instid0(SALU_CYCLE_1) | instskip(NEXT) | instid1(SALU_CYCLE_1)
	s_or_b32 s0, s0, s30
	s_and_b32 s30, s0, exec_lo
	s_delay_alu instid0(SALU_CYCLE_1)
	s_or_b32 s28, s28, s30
	s_mov_b32 s30, exec_lo
	v_cmpx_eq_u16_e64 v26, v27
	s_cbranch_execz .LBB627_340
; %bb.342:                              ;   in Loop: Header=BB627_341 Depth=1
	s_add_nc_u64 s[6:7], s[6:7], -1
	v_add_nc_u64_e32 v[6:7], 2, v[6:7]
	s_cmp_eq_u64 s[6:7], 0
	v_add_nc_u64_e32 v[8:9], 2, v[8:9]
	s_cselect_b32 s29, -1, 0
	s_and_not1_b32 s27, s27, exec_lo
	s_and_b32 s29, s29, exec_lo
	s_and_not1_b32 s28, s28, exec_lo
	s_or_b32 s27, s27, s29
                                        ; implicit-def: $sgpr29
	s_branch .LBB627_340
.LBB627_343:
	s_or_b32 exec_lo, exec_lo, s25
	s_xor_b32 s0, s26, -1
	s_branch .LBB627_345
.LBB627_344:
	s_mov_b32 s0, -1
.LBB627_345:
	s_delay_alu instid0(SALU_CYCLE_1)
	s_and_b32 s0, s0, exec_lo
.LBB627_346:
	s_or_b32 exec_lo, exec_lo, s22
	s_delay_alu instid0(SALU_CYCLE_1)
	s_or_not1_b32 s22, s0, exec_lo
.LBB627_347:
	s_or_b32 exec_lo, exec_lo, s24
	v_dual_cndmask_b32 v6, v24, v25, s22 :: v_dual_cndmask_b32 v7, v51, v50, s22
	s_mov_b32 s24, exec_lo
	s_delay_alu instid0(VALU_DEP_1) | instskip(NEXT) | instid1(VALU_DEP_1)
	v_add_nc_u32_e32 v6, 1, v6
	v_add_min_u32_e64 v7, v7, -1, v6
	s_delay_alu instid0(VALU_DEP_1)
	v_lshl_add_u32 v7, v7, 3, v46
	ds_load_b64 v[8:9], v7
	s_wait_dscnt 0x0
	v_dual_cndmask_b32 v7, v9, v13, s22 :: v_dual_cndmask_b32 v28, v6, v24, s22
	v_dual_cndmask_b32 v29, v25, v6, s22 :: v_dual_cndmask_b32 v6, v8, v12, s22
	;; [unrolled: 1-line block ×3, first 2 shown]
	s_delay_alu instid0(VALU_DEP_3)
	v_cmpx_lt_u32_e64 v28, v51
	s_cbranch_execz .LBB627_358
; %bb.348:
	s_mov_b32 s0, 0
	s_mov_b32 s23, exec_lo
	v_cmpx_lt_u32_e64 v29, v50
	s_cbranch_execz .LBB627_357
; %bb.349:
	v_cmp_ne_u32_e32 vcc_lo, 1, v45
	s_cbranch_vccnz .LBB627_355
; %bb.350:
	v_mul_u64_e32 v[8:9], s[16:17], v[6:7]
	v_mul_u64_e32 v[26:27], s[16:17], v[24:25]
	s_mov_b32 s25, 0
	s_mov_b64 s[6:7], s[16:17]
                                        ; implicit-def: $sgpr26
                                        ; implicit-def: $sgpr27
                                        ; implicit-def: $sgpr28
                                        ; implicit-def: $sgpr29
	s_delay_alu instid0(VALU_DEP_2) | instskip(NEXT) | instid1(VALU_DEP_2)
	v_lshl_add_u64 v[8:9], v[8:9], 1, s[18:19]
	v_lshl_add_u64 v[26:27], v[26:27], 1, s[18:19]
	s_branch .LBB627_352
.LBB627_351:                            ;   in Loop: Header=BB627_352 Depth=1
	s_or_b32 exec_lo, exec_lo, s30
	s_delay_alu instid0(SALU_CYCLE_1) | instskip(NEXT) | instid1(SALU_CYCLE_1)
	s_and_b32 s30, exec_lo, s27
	s_or_b32 s25, s30, s25
	s_and_not1_b32 s29, s29, exec_lo
	s_and_b32 s0, s0, exec_lo
	s_and_not1_b32 s26, s26, exec_lo
	s_and_b32 s30, s28, exec_lo
	s_or_b32 s29, s29, s0
	s_or_b32 s26, s26, s30
	s_and_not1_b32 exec_lo, exec_lo, s25
	s_cbranch_execz .LBB627_354
.LBB627_352:                            ; =>This Inner Loop Header: Depth=1
	global_load_u16 v30, v[8:9], off
	global_load_u16 v31, v[26:27], off
	s_and_not1_b32 s28, s28, exec_lo
	s_or_b32 s27, s27, exec_lo
	s_wait_loadcnt 0x0
	v_cmp_le_i16_e32 vcc_lo, v30, v31
	v_cmp_lt_i16_e64 s0, v30, v31
	s_and_b32 s30, vcc_lo, s29
	s_delay_alu instid0(SALU_CYCLE_1) | instskip(NEXT) | instid1(SALU_CYCLE_1)
	s_or_b32 s0, s0, s30
	s_and_b32 s30, s0, exec_lo
	s_delay_alu instid0(SALU_CYCLE_1)
	s_or_b32 s28, s28, s30
	s_mov_b32 s30, exec_lo
	v_cmpx_eq_u16_e64 v30, v31
	s_cbranch_execz .LBB627_351
; %bb.353:                              ;   in Loop: Header=BB627_352 Depth=1
	s_add_nc_u64 s[6:7], s[6:7], -1
	v_add_nc_u64_e32 v[8:9], 2, v[8:9]
	s_cmp_eq_u64 s[6:7], 0
	v_add_nc_u64_e32 v[26:27], 2, v[26:27]
	s_cselect_b32 s29, -1, 0
	s_and_not1_b32 s27, s27, exec_lo
	s_and_b32 s29, s29, exec_lo
	s_and_not1_b32 s28, s28, exec_lo
	s_or_b32 s27, s27, s29
                                        ; implicit-def: $sgpr29
	s_branch .LBB627_351
.LBB627_354:
	s_or_b32 exec_lo, exec_lo, s25
	s_xor_b32 s0, s26, -1
	s_branch .LBB627_356
.LBB627_355:
	s_mov_b32 s0, -1
.LBB627_356:
	s_delay_alu instid0(SALU_CYCLE_1)
	s_and_b32 s0, s0, exec_lo
.LBB627_357:
	s_or_b32 exec_lo, exec_lo, s23
	s_delay_alu instid0(SALU_CYCLE_1)
	s_or_not1_b32 s23, s0, exec_lo
.LBB627_358:
	s_or_b32 exec_lo, exec_lo, s24
	v_dual_cndmask_b32 v8, v28, v29, s23 :: v_dual_cndmask_b32 v9, v51, v50, s23
	s_mov_b32 s24, -1
	s_mov_b32 s25, -1
	s_mov_b32 s26, exec_lo
	s_delay_alu instid0(VALU_DEP_1) | instskip(NEXT) | instid1(VALU_DEP_1)
	v_add_nc_u32_e32 v8, 1, v8
	v_add_min_u32_e64 v9, v9, -1, v8
	s_delay_alu instid0(VALU_DEP_1)
	v_lshl_add_u32 v9, v9, 3, v46
	ds_load_b64 v[26:27], v9
	s_wait_dscnt 0x0
	v_dual_cndmask_b32 v9, v27, v7, s23 :: v_dual_cndmask_b32 v32, v8, v28, s23
	v_dual_cndmask_b32 v33, v29, v8, s23 :: v_dual_cndmask_b32 v8, v26, v6, s23
	v_dual_cndmask_b32 v27, v25, v27, s23 :: v_dual_cndmask_b32 v26, v24, v26, s23
	s_delay_alu instid0(VALU_DEP_3)
	v_cmpx_lt_u32_e64 v32, v51
	s_cbranch_execz .LBB627_369
; %bb.359:
	s_mov_b32 s0, 0
	s_mov_b32 s25, exec_lo
	v_cmpx_lt_u32_e64 v33, v50
	s_cbranch_execz .LBB627_368
; %bb.360:
	v_cmp_ne_u32_e32 vcc_lo, 1, v45
	s_cbranch_vccnz .LBB627_366
; %bb.361:
	v_mul_u64_e32 v[28:29], s[16:17], v[8:9]
	v_mul_u64_e32 v[30:31], s[16:17], v[26:27]
	s_mov_b32 s27, 0
	s_mov_b64 s[6:7], s[16:17]
                                        ; implicit-def: $sgpr28
                                        ; implicit-def: $sgpr29
                                        ; implicit-def: $sgpr30
                                        ; implicit-def: $sgpr31
	s_delay_alu instid0(VALU_DEP_2) | instskip(NEXT) | instid1(VALU_DEP_2)
	v_lshl_add_u64 v[28:29], v[28:29], 1, s[18:19]
	v_lshl_add_u64 v[30:31], v[30:31], 1, s[18:19]
	s_branch .LBB627_363
.LBB627_362:                            ;   in Loop: Header=BB627_363 Depth=1
	s_or_b32 exec_lo, exec_lo, s33
	s_delay_alu instid0(SALU_CYCLE_1) | instskip(NEXT) | instid1(SALU_CYCLE_1)
	s_and_b32 s33, exec_lo, s29
	s_or_b32 s27, s33, s27
	s_and_not1_b32 s31, s31, exec_lo
	s_and_b32 s0, s0, exec_lo
	s_and_not1_b32 s28, s28, exec_lo
	s_and_b32 s33, s30, exec_lo
	s_or_b32 s31, s31, s0
	s_or_b32 s28, s28, s33
	s_and_not1_b32 exec_lo, exec_lo, s27
	s_cbranch_execz .LBB627_365
.LBB627_363:                            ; =>This Inner Loop Header: Depth=1
	global_load_u16 v34, v[28:29], off
	global_load_u16 v35, v[30:31], off
	s_and_not1_b32 s30, s30, exec_lo
	s_or_b32 s29, s29, exec_lo
	s_wait_loadcnt 0x0
	v_cmp_le_i16_e32 vcc_lo, v34, v35
	v_cmp_lt_i16_e64 s0, v34, v35
	s_and_b32 s33, vcc_lo, s31
	s_delay_alu instid0(SALU_CYCLE_1) | instskip(NEXT) | instid1(SALU_CYCLE_1)
	s_or_b32 s0, s0, s33
	s_and_b32 s33, s0, exec_lo
	s_delay_alu instid0(SALU_CYCLE_1)
	s_or_b32 s30, s30, s33
	s_mov_b32 s33, exec_lo
	v_cmpx_eq_u16_e64 v34, v35
	s_cbranch_execz .LBB627_362
; %bb.364:                              ;   in Loop: Header=BB627_363 Depth=1
	s_add_nc_u64 s[6:7], s[6:7], -1
	v_add_nc_u64_e32 v[28:29], 2, v[28:29]
	s_cmp_eq_u64 s[6:7], 0
	v_add_nc_u64_e32 v[30:31], 2, v[30:31]
	s_cselect_b32 s31, -1, 0
	s_and_not1_b32 s29, s29, exec_lo
	s_and_b32 s31, s31, exec_lo
	s_and_not1_b32 s30, s30, exec_lo
	s_or_b32 s29, s29, s31
                                        ; implicit-def: $sgpr31
	s_branch .LBB627_362
.LBB627_365:
	s_or_b32 exec_lo, exec_lo, s27
	s_xor_b32 s0, s28, -1
	s_branch .LBB627_367
.LBB627_366:
	s_mov_b32 s0, -1
.LBB627_367:
	s_delay_alu instid0(SALU_CYCLE_1)
	s_and_b32 s0, s0, exec_lo
.LBB627_368:
	s_or_b32 exec_lo, exec_lo, s25
	s_delay_alu instid0(SALU_CYCLE_1)
	s_or_not1_b32 s25, s0, exec_lo
.LBB627_369:
	s_or_b32 exec_lo, exec_lo, s26
	v_dual_cndmask_b32 v28, v32, v33, s25 :: v_dual_cndmask_b32 v29, v51, v50, s25
	s_mov_b32 s26, exec_lo
	s_delay_alu instid0(VALU_DEP_1) | instskip(NEXT) | instid1(VALU_DEP_1)
	v_add_nc_u32_e32 v28, 1, v28
	v_add_min_u32_e64 v29, v29, -1, v28
	s_delay_alu instid0(VALU_DEP_1)
	v_lshl_add_u32 v29, v29, 3, v46
	ds_load_b64 v[30:31], v29
	s_wait_dscnt 0x0
	v_dual_cndmask_b32 v29, v31, v9, s25 :: v_dual_cndmask_b32 v53, v28, v32, s25
	v_dual_cndmask_b32 v31, v27, v31, s25 :: v_dual_cndmask_b32 v52, v33, v28, s25
	v_cndmask_b32_e64 v28, v30, v8, s25
	v_cndmask_b32_e64 v30, v26, v30, s25
	s_delay_alu instid0(VALU_DEP_4)
	v_cmpx_lt_u32_e64 v53, v51
	s_cbranch_execz .LBB627_380
; %bb.370:
	s_mov_b32 s0, 0
	s_mov_b32 s24, exec_lo
	v_cmpx_lt_u32_e64 v52, v50
	s_cbranch_execz .LBB627_379
; %bb.371:
	v_cmp_ne_u32_e32 vcc_lo, 1, v45
	s_cbranch_vccnz .LBB627_377
; %bb.372:
	v_mul_u64_e32 v[32:33], s[16:17], v[28:29]
	v_mul_u64_e32 v[34:35], s[16:17], v[30:31]
	s_mov_b32 s27, 0
	s_mov_b64 s[6:7], s[16:17]
                                        ; implicit-def: $sgpr28
                                        ; implicit-def: $sgpr29
                                        ; implicit-def: $sgpr30
                                        ; implicit-def: $sgpr31
	s_delay_alu instid0(VALU_DEP_2) | instskip(NEXT) | instid1(VALU_DEP_2)
	v_lshl_add_u64 v[32:33], v[32:33], 1, s[18:19]
	v_lshl_add_u64 v[34:35], v[34:35], 1, s[18:19]
	s_branch .LBB627_374
.LBB627_373:                            ;   in Loop: Header=BB627_374 Depth=1
	s_or_b32 exec_lo, exec_lo, s33
	s_delay_alu instid0(SALU_CYCLE_1) | instskip(NEXT) | instid1(SALU_CYCLE_1)
	s_and_b32 s33, exec_lo, s29
	s_or_b32 s27, s33, s27
	s_and_not1_b32 s31, s31, exec_lo
	s_and_b32 s0, s0, exec_lo
	s_and_not1_b32 s28, s28, exec_lo
	s_and_b32 s33, s30, exec_lo
	s_or_b32 s31, s31, s0
	s_or_b32 s28, s28, s33
	s_and_not1_b32 exec_lo, exec_lo, s27
	s_cbranch_execz .LBB627_376
.LBB627_374:                            ; =>This Inner Loop Header: Depth=1
	global_load_u16 v54, v[32:33], off
	global_load_u16 v55, v[34:35], off
	s_and_not1_b32 s30, s30, exec_lo
	s_or_b32 s29, s29, exec_lo
	s_wait_loadcnt 0x0
	v_cmp_le_i16_e32 vcc_lo, v54, v55
	v_cmp_lt_i16_e64 s0, v54, v55
	s_and_b32 s33, vcc_lo, s31
	s_delay_alu instid0(SALU_CYCLE_1) | instskip(NEXT) | instid1(SALU_CYCLE_1)
	s_or_b32 s0, s0, s33
	s_and_b32 s33, s0, exec_lo
	s_delay_alu instid0(SALU_CYCLE_1)
	s_or_b32 s30, s30, s33
	s_mov_b32 s33, exec_lo
	v_cmpx_eq_u16_e64 v54, v55
	s_cbranch_execz .LBB627_373
; %bb.375:                              ;   in Loop: Header=BB627_374 Depth=1
	s_add_nc_u64 s[6:7], s[6:7], -1
	v_add_nc_u64_e32 v[32:33], 2, v[32:33]
	s_cmp_eq_u64 s[6:7], 0
	v_add_nc_u64_e32 v[34:35], 2, v[34:35]
	s_cselect_b32 s31, -1, 0
	s_and_not1_b32 s29, s29, exec_lo
	s_and_b32 s31, s31, exec_lo
	s_and_not1_b32 s30, s30, exec_lo
	s_or_b32 s29, s29, s31
                                        ; implicit-def: $sgpr31
	s_branch .LBB627_373
.LBB627_376:
	s_or_b32 exec_lo, exec_lo, s27
	s_xor_b32 s0, s28, -1
	s_branch .LBB627_378
.LBB627_377:
	s_mov_b32 s0, -1
.LBB627_378:
	s_delay_alu instid0(SALU_CYCLE_1)
	s_and_b32 s0, s0, exec_lo
.LBB627_379:
	s_or_b32 exec_lo, exec_lo, s24
	s_delay_alu instid0(SALU_CYCLE_1)
	s_or_not1_b32 s24, s0, exec_lo
.LBB627_380:
	s_or_b32 exec_lo, exec_lo, s26
	v_dual_cndmask_b32 v32, v53, v52, s24 :: v_dual_cndmask_b32 v33, v51, v50, s24
	v_dual_cndmask_b32 v8, v8, v26, s25 :: v_dual_cndmask_b32 v7, v7, v25, s23
	;; [unrolled: 1-line block ×3, first 2 shown]
	s_delay_alu instid0(VALU_DEP_3) | instskip(SKIP_2) | instid1(VALU_DEP_3)
	v_dual_add_nc_u32 v34, 1, v32 :: v_dual_cndmask_b32 v9, v9, v27, s25
	v_dual_cndmask_b32 v12, v12, v22, s22 :: v_dual_cndmask_b32 v11, v11, v21, s15
	v_dual_cndmask_b32 v10, v10, v20, s15 :: v_dual_cndmask_b32 v17, v15, v17, s14
	v_add_min_u32_e64 v32, v33, -1, v34
	v_dual_cndmask_b32 v16, v14, v16, s14 :: v_dual_cndmask_b32 v15, v5, v3, s5
	v_dual_cndmask_b32 v14, v4, v2, s5 :: v_dual_cndmask_b32 v20, v34, v53, s24
	s_delay_alu instid0(VALU_DEP_3)
	v_lshl_add_u32 v32, v32, 3, v46
	v_dual_cndmask_b32 v3, v29, v31, s24 :: v_dual_cndmask_b32 v2, v28, v30, s24
	s_mov_b32 s5, exec_lo
	ds_load_b64 v[32:33], v32
	s_wait_dscnt 0x0
	v_dual_cndmask_b32 v5, v31, v33, s24 :: v_dual_cndmask_b32 v4, v30, v32, s24
	v_cmpx_lt_u32_e64 v20, v51
	s_cbranch_execz .LBB627_390
; %bb.381:
	v_dual_cndmask_b32 v22, v52, v34, s24 :: v_dual_cndmask_b32 v21, v33, v29, s24
	v_cndmask_b32_e64 v20, v32, v28, s24
	s_mov_b32 s14, exec_lo
	s_delay_alu instid0(VALU_DEP_2)
	v_cmpx_lt_u32_e64 v22, v50
	s_cbranch_execz .LBB627_389
; %bb.382:
	v_cmp_ne_u32_e32 vcc_lo, 1, v45
	s_cbranch_vccnz .LBB627_388
; %bb.383:
	v_mul_u64_e32 v[22:23], s[16:17], v[20:21]
	v_mul_u64_e32 v[24:25], s[16:17], v[4:5]
	s_mov_b32 s15, 0
	s_mov_b64 s[6:7], s[16:17]
                                        ; implicit-def: $sgpr22
                                        ; implicit-def: $sgpr23
                                        ; implicit-def: $sgpr24
                                        ; implicit-def: $sgpr25
	s_delay_alu instid0(VALU_DEP_2) | instskip(NEXT) | instid1(VALU_DEP_2)
	v_lshl_add_u64 v[22:23], v[22:23], 1, s[18:19]
	v_lshl_add_u64 v[24:25], v[24:25], 1, s[18:19]
	s_branch .LBB627_385
.LBB627_384:                            ;   in Loop: Header=BB627_385 Depth=1
	s_or_b32 exec_lo, exec_lo, s26
	s_delay_alu instid0(SALU_CYCLE_1) | instskip(NEXT) | instid1(SALU_CYCLE_1)
	s_and_b32 s26, exec_lo, s23
	s_or_b32 s15, s26, s15
	s_and_not1_b32 s25, s25, exec_lo
	s_and_b32 s0, s0, exec_lo
	s_and_not1_b32 s22, s22, exec_lo
	s_and_b32 s26, s24, exec_lo
	s_or_b32 s25, s25, s0
	s_or_b32 s22, s22, s26
	s_and_not1_b32 exec_lo, exec_lo, s15
	s_cbranch_execz .LBB627_387
.LBB627_385:                            ; =>This Inner Loop Header: Depth=1
	global_load_u16 v26, v[22:23], off
	global_load_u16 v27, v[24:25], off
	s_and_not1_b32 s24, s24, exec_lo
	s_or_b32 s23, s23, exec_lo
	s_wait_loadcnt 0x0
	v_cmp_le_i16_e32 vcc_lo, v26, v27
	v_cmp_lt_i16_e64 s0, v26, v27
	s_and_b32 s26, vcc_lo, s25
	s_delay_alu instid0(SALU_CYCLE_1) | instskip(NEXT) | instid1(SALU_CYCLE_1)
	s_or_b32 s0, s0, s26
	s_and_b32 s26, s0, exec_lo
	s_delay_alu instid0(SALU_CYCLE_1)
	s_or_b32 s24, s24, s26
	s_mov_b32 s26, exec_lo
	v_cmpx_eq_u16_e64 v26, v27
	s_cbranch_execz .LBB627_384
; %bb.386:                              ;   in Loop: Header=BB627_385 Depth=1
	s_add_nc_u64 s[6:7], s[6:7], -1
	v_add_nc_u64_e32 v[22:23], 2, v[22:23]
	s_cmp_eq_u64 s[6:7], 0
	v_add_nc_u64_e32 v[24:25], 2, v[24:25]
	s_cselect_b32 s25, -1, 0
	s_and_not1_b32 s23, s23, exec_lo
	s_and_b32 s25, s25, exec_lo
	s_and_not1_b32 s24, s24, exec_lo
	s_or_b32 s23, s23, s25
                                        ; implicit-def: $sgpr25
	s_branch .LBB627_384
.LBB627_387:
	s_or_b32 exec_lo, exec_lo, s15
	v_dual_cndmask_b32 v5, v5, v21, s22 :: v_dual_cndmask_b32 v4, v4, v20, s22
.LBB627_388:
	s_delay_alu instid0(VALU_DEP_1)
	v_mov_b64_e32 v[20:21], v[4:5]
.LBB627_389:
	s_or_b32 exec_lo, exec_lo, s14
	s_delay_alu instid0(VALU_DEP_1)
	v_mov_b64_e32 v[4:5], v[20:21]
.LBB627_390:
	s_or_b32 exec_lo, exec_lo, s5
.LBB627_391:
	s_delay_alu instid0(SALU_CYCLE_1)
	s_or_b32 exec_lo, exec_lo, s1
	v_and_b32_e32 v26, 0xc0, v48
	s_mov_b32 s1, exec_lo
	; wave barrier
	ds_store_b128 v49, v[14:17]
	ds_store_b128 v49, v[10:13] offset:16
	v_or_b32_e32 v20, 32, v26
	v_lshl_add_u32 v25, v26, 3, v46
	ds_store_b128 v49, v[6:9] offset:32
	ds_store_b128 v49, v[2:5] offset:48
	; wave barrier
	v_min_u32_e32 v50, v47, v20
	v_and_b32_e32 v20, 56, v48
	s_delay_alu instid0(VALU_DEP_2) | instskip(NEXT) | instid1(VALU_DEP_2)
	v_add_min_u32_e64 v51, v50, 32, v47
	v_min_u32_e32 v27, v47, v20
	v_sub_nc_u32_e32 v21, v50, v26
	s_delay_alu instid0(VALU_DEP_3) | instskip(NEXT) | instid1(VALU_DEP_2)
	v_sub_nc_u32_e32 v20, v51, v50
	v_min_u32_e32 v28, v27, v21
	s_delay_alu instid0(VALU_DEP_2) | instskip(NEXT) | instid1(VALU_DEP_1)
	v_sub_nc_u32_e64 v24, v27, v20 clamp
	v_cmpx_lt_u32_e64 v24, v28
	s_cbranch_execz .LBB627_401
; %bb.392:
	v_dual_lshlrev_b32 v20, 3, v50 :: v_dual_lshlrev_b32 v21, 3, v27
	s_lshl_b64 s[6:7], s[16:17], 1
	s_mov_b32 s5, 0
	s_delay_alu instid0(VALU_DEP_1)
	v_add3_u32 v29, v46, v20, v21
	s_branch .LBB627_395
.LBB627_393:                            ;   in Loop: Header=BB627_395 Depth=1
	s_or_b32 exec_lo, exec_lo, s23
.LBB627_394:                            ;   in Loop: Header=BB627_395 Depth=1
	s_delay_alu instid0(VALU_DEP_1) | instskip(NEXT) | instid1(VALU_DEP_1)
	v_dual_add_nc_u32 v20, 1, v30 :: v_dual_cndmask_b32 v28, v28, v30, s22
	v_cndmask_b32_e64 v24, v20, v24, s22
	s_delay_alu instid0(VALU_DEP_1) | instskip(SKIP_1) | instid1(SALU_CYCLE_1)
	v_cmp_ge_u32_e32 vcc_lo, v24, v28
	s_or_b32 s5, vcc_lo, s5
	s_and_not1_b32 exec_lo, exec_lo, s5
	s_cbranch_execz .LBB627_400
.LBB627_395:                            ; =>This Loop Header: Depth=1
                                        ;     Child Loop BB627_398 Depth 2
	v_add_nc_u32_e32 v20, v28, v24
	v_cmp_ne_u32_e32 vcc_lo, 1, v45
	s_mov_b32 s22, 0
	s_delay_alu instid0(VALU_DEP_2)
	v_lshrrev_b32_e32 v30, 1, v20
	s_cbranch_vccnz .LBB627_394
; %bb.396:                              ;   in Loop: Header=BB627_395 Depth=1
	s_delay_alu instid0(VALU_DEP_1) | instskip(SKIP_3) | instid1(VALU_DEP_2)
	v_not_b32_e32 v20, v30
	v_lshl_add_u32 v21, v30, 3, v25
	s_mov_b32 s23, 0
	s_mov_b64 s[14:15], s[16:17]
                                        ; implicit-def: $sgpr22
                                        ; implicit-def: $sgpr24
                                        ; implicit-def: $sgpr25
                                        ; implicit-def: $sgpr26
	v_lshl_add_u32 v20, v20, 3, v29
	ds_load_b64 v[32:33], v20
	ds_load_b64 v[34:35], v21
	s_wait_dscnt 0x1
	v_mad_nc_u64_u32 v[20:21], s6, v32, s[18:19]
	s_wait_dscnt 0x0
	v_mad_nc_u64_u32 v[22:23], s6, v34, s[18:19]
	s_delay_alu instid0(VALU_DEP_2) | instskip(NEXT) | instid1(VALU_DEP_2)
	v_mad_u32 v21, s7, v32, v21
	v_mad_u32 v23, s7, v34, v23
	s_delay_alu instid0(VALU_DEP_2) | instskip(NEXT) | instid1(VALU_DEP_2)
	v_mad_u32 v21, s6, v33, v21
	v_mad_u32 v23, s6, v35, v23
	s_branch .LBB627_398
.LBB627_397:                            ;   in Loop: Header=BB627_398 Depth=2
	s_or_b32 exec_lo, exec_lo, s27
	s_delay_alu instid0(SALU_CYCLE_1) | instskip(NEXT) | instid1(SALU_CYCLE_1)
	s_and_b32 s27, exec_lo, s24
	s_or_b32 s23, s27, s23
	s_and_not1_b32 s26, s26, exec_lo
	s_and_b32 s0, s0, exec_lo
	s_and_not1_b32 s22, s22, exec_lo
	s_and_b32 s27, s25, exec_lo
	s_or_b32 s26, s26, s0
	s_or_b32 s22, s22, s27
	s_and_not1_b32 exec_lo, exec_lo, s23
	s_cbranch_execz .LBB627_393
.LBB627_398:                            ;   Parent Loop BB627_395 Depth=1
                                        ; =>  This Inner Loop Header: Depth=2
	global_load_u16 v31, v[20:21], off
	global_load_u16 v32, v[22:23], off
	s_and_not1_b32 s25, s25, exec_lo
	s_or_b32 s24, s24, exec_lo
	s_wait_loadcnt 0x0
	v_cmp_le_i16_e32 vcc_lo, v31, v32
	v_cmp_lt_i16_e64 s0, v31, v32
	s_and_b32 s27, vcc_lo, s26
	s_delay_alu instid0(SALU_CYCLE_1) | instskip(NEXT) | instid1(SALU_CYCLE_1)
	s_or_b32 s0, s0, s27
	s_and_b32 s27, s0, exec_lo
	s_delay_alu instid0(SALU_CYCLE_1)
	s_or_b32 s25, s25, s27
	s_mov_b32 s27, exec_lo
	v_cmpx_eq_u16_e64 v31, v32
	s_cbranch_execz .LBB627_397
; %bb.399:                              ;   in Loop: Header=BB627_398 Depth=2
	s_add_nc_u64 s[14:15], s[14:15], -1
	v_add_nc_u64_e32 v[20:21], 2, v[20:21]
	s_cmp_eq_u64 s[14:15], 0
	v_add_nc_u64_e32 v[22:23], 2, v[22:23]
	s_cselect_b32 s26, -1, 0
	s_and_not1_b32 s24, s24, exec_lo
	s_and_b32 s26, s26, exec_lo
	s_and_not1_b32 s25, s25, exec_lo
	s_or_b32 s24, s24, s26
                                        ; implicit-def: $sgpr26
	s_branch .LBB627_397
.LBB627_400:
	s_or_b32 exec_lo, exec_lo, s5
.LBB627_401:
	s_delay_alu instid0(SALU_CYCLE_1) | instskip(SKIP_1) | instid1(VALU_DEP_1)
	s_or_b32 exec_lo, exec_lo, s1
	v_dual_add_nc_u32 v21, v50, v27 :: v_dual_add_nc_u32 v20, v24, v26
	v_sub_nc_u32_e32 v21, v21, v24
	s_delay_alu instid0(VALU_DEP_2) | instskip(NEXT) | instid1(VALU_DEP_2)
	v_cmp_le_u32_e32 vcc_lo, v20, v50
	v_cmp_le_u32_e64 s0, v21, v51
	s_or_b32 s0, vcc_lo, s0
	s_delay_alu instid0(SALU_CYCLE_1)
	s_and_saveexec_b32 s1, s0
	s_cbranch_execz .LBB627_492
; %bb.402:
	s_mov_b32 s5, exec_lo
	v_cmp_ge_u32_e32 vcc_lo, v20, v50
                                        ; implicit-def: $vgpr2_vgpr3
	v_cmpx_lt_u32_e64 v20, v50
; %bb.403:
	v_lshl_add_u32 v2, v24, 3, v25
	ds_load_b64 v[2:3], v2
; %bb.404:
	s_or_b32 exec_lo, exec_lo, s5
	v_cmp_ge_u32_e64 s5, v21, v51
	s_mov_b32 s6, exec_lo
                                        ; implicit-def: $vgpr4_vgpr5
	v_cmpx_lt_u32_e64 v21, v51
; %bb.405:
	v_lshl_add_u32 v4, v21, 3, v46
	ds_load_b64 v[4:5], v4
; %bb.406:
	s_or_b32 exec_lo, exec_lo, s6
	s_nor_b32 s0, vcc_lo, s5
	s_delay_alu instid0(SALU_CYCLE_1)
	s_and_saveexec_b32 s14, s0
	s_cbranch_execz .LBB627_415
; %bb.407:
	v_cmp_ne_u32_e32 vcc_lo, 1, v45
	s_cbranch_vccnz .LBB627_413
; %bb.408:
	s_wait_dscnt 0x0
	v_mul_u64_e32 v[6:7], s[16:17], v[4:5]
	v_mul_u64_e32 v[8:9], s[16:17], v[2:3]
	s_mov_b32 s15, 0
	s_mov_b64 s[6:7], s[16:17]
                                        ; implicit-def: $sgpr22
                                        ; implicit-def: $sgpr23
                                        ; implicit-def: $sgpr24
                                        ; implicit-def: $sgpr25
	s_delay_alu instid0(VALU_DEP_2) | instskip(NEXT) | instid1(VALU_DEP_2)
	v_lshl_add_u64 v[6:7], v[6:7], 1, s[18:19]
	v_lshl_add_u64 v[8:9], v[8:9], 1, s[18:19]
	s_branch .LBB627_410
.LBB627_409:                            ;   in Loop: Header=BB627_410 Depth=1
	s_or_b32 exec_lo, exec_lo, s26
	s_delay_alu instid0(SALU_CYCLE_1) | instskip(NEXT) | instid1(SALU_CYCLE_1)
	s_and_b32 s26, exec_lo, s23
	s_or_b32 s15, s26, s15
	s_and_not1_b32 s25, s25, exec_lo
	s_and_b32 s0, s0, exec_lo
	s_and_not1_b32 s22, s22, exec_lo
	s_and_b32 s26, s24, exec_lo
	s_or_b32 s25, s25, s0
	s_or_b32 s22, s22, s26
	s_and_not1_b32 exec_lo, exec_lo, s15
	s_cbranch_execz .LBB627_412
.LBB627_410:                            ; =>This Inner Loop Header: Depth=1
	global_load_u16 v10, v[6:7], off
	global_load_u16 v11, v[8:9], off
	s_and_not1_b32 s24, s24, exec_lo
	s_or_b32 s23, s23, exec_lo
	s_wait_loadcnt 0x0
	v_cmp_le_i16_e32 vcc_lo, v10, v11
	v_cmp_lt_i16_e64 s0, v10, v11
	s_and_b32 s26, vcc_lo, s25
	s_delay_alu instid0(SALU_CYCLE_1) | instskip(NEXT) | instid1(SALU_CYCLE_1)
	s_or_b32 s0, s0, s26
	s_and_b32 s26, s0, exec_lo
	s_delay_alu instid0(SALU_CYCLE_1)
	s_or_b32 s24, s24, s26
	s_mov_b32 s26, exec_lo
	v_cmpx_eq_u16_e64 v10, v11
	s_cbranch_execz .LBB627_409
; %bb.411:                              ;   in Loop: Header=BB627_410 Depth=1
	s_add_nc_u64 s[6:7], s[6:7], -1
	v_add_nc_u64_e32 v[6:7], 2, v[6:7]
	s_cmp_eq_u64 s[6:7], 0
	v_add_nc_u64_e32 v[8:9], 2, v[8:9]
	s_cselect_b32 s25, -1, 0
	s_and_not1_b32 s23, s23, exec_lo
	s_and_b32 s25, s25, exec_lo
	s_and_not1_b32 s24, s24, exec_lo
	s_or_b32 s23, s23, s25
                                        ; implicit-def: $sgpr25
	s_branch .LBB627_409
.LBB627_412:
	s_or_b32 exec_lo, exec_lo, s15
	s_xor_b32 s0, s22, -1
	s_branch .LBB627_414
.LBB627_413:
	s_mov_b32 s0, -1
.LBB627_414:
	s_and_not1_b32 s5, s5, exec_lo
	s_and_b32 s0, s0, exec_lo
	s_delay_alu instid0(SALU_CYCLE_1)
	s_or_b32 s5, s5, s0
.LBB627_415:
	s_or_b32 exec_lo, exec_lo, s14
	v_dual_cndmask_b32 v6, v21, v20, s5 :: v_dual_cndmask_b32 v7, v51, v50, s5
	s_mov_b32 s15, -1
	s_mov_b32 s14, -1
	s_mov_b32 s22, exec_lo
	s_delay_alu instid0(VALU_DEP_1) | instskip(NEXT) | instid1(VALU_DEP_1)
	v_add_nc_u32_e32 v8, 1, v6
	v_add_min_u32_e64 v6, v7, -1, v8
	s_delay_alu instid0(VALU_DEP_1)
	v_lshl_add_u32 v6, v6, 3, v46
	ds_load_b64 v[6:7], v6
	s_wait_dscnt 0x0
	v_cndmask_b32_e64 v15, v7, v5, s5
	v_dual_cndmask_b32 v10, v8, v21, s5 :: v_dual_cndmask_b32 v14, v6, v4, s5
	v_dual_cndmask_b32 v11, v20, v8, s5 :: v_dual_cndmask_b32 v17, v3, v7, s5
	v_cndmask_b32_e64 v16, v2, v6, s5
	s_delay_alu instid0(VALU_DEP_3)
	v_cmpx_lt_u32_e64 v10, v51
	s_cbranch_execz .LBB627_426
; %bb.416:
	s_mov_b32 s0, 0
	s_mov_b32 s14, exec_lo
	v_cmpx_lt_u32_e64 v11, v50
	s_cbranch_execz .LBB627_425
; %bb.417:
	v_cmp_ne_u32_e32 vcc_lo, 1, v45
	s_cbranch_vccnz .LBB627_423
; %bb.418:
	v_mul_u64_e32 v[6:7], s[16:17], v[14:15]
	v_mul_u64_e32 v[8:9], s[16:17], v[16:17]
	s_mov_b32 s23, 0
	s_mov_b64 s[6:7], s[16:17]
                                        ; implicit-def: $sgpr24
                                        ; implicit-def: $sgpr25
                                        ; implicit-def: $sgpr26
                                        ; implicit-def: $sgpr27
	s_delay_alu instid0(VALU_DEP_2) | instskip(NEXT) | instid1(VALU_DEP_2)
	v_lshl_add_u64 v[6:7], v[6:7], 1, s[18:19]
	v_lshl_add_u64 v[8:9], v[8:9], 1, s[18:19]
	s_branch .LBB627_420
.LBB627_419:                            ;   in Loop: Header=BB627_420 Depth=1
	s_or_b32 exec_lo, exec_lo, s28
	s_delay_alu instid0(SALU_CYCLE_1) | instskip(NEXT) | instid1(SALU_CYCLE_1)
	s_and_b32 s28, exec_lo, s25
	s_or_b32 s23, s28, s23
	s_and_not1_b32 s27, s27, exec_lo
	s_and_b32 s0, s0, exec_lo
	s_and_not1_b32 s24, s24, exec_lo
	s_and_b32 s28, s26, exec_lo
	s_or_b32 s27, s27, s0
	s_or_b32 s24, s24, s28
	s_and_not1_b32 exec_lo, exec_lo, s23
	s_cbranch_execz .LBB627_422
.LBB627_420:                            ; =>This Inner Loop Header: Depth=1
	global_load_u16 v12, v[6:7], off
	global_load_u16 v13, v[8:9], off
	s_and_not1_b32 s26, s26, exec_lo
	s_or_b32 s25, s25, exec_lo
	s_wait_loadcnt 0x0
	v_cmp_le_i16_e32 vcc_lo, v12, v13
	v_cmp_lt_i16_e64 s0, v12, v13
	s_and_b32 s28, vcc_lo, s27
	s_delay_alu instid0(SALU_CYCLE_1) | instskip(NEXT) | instid1(SALU_CYCLE_1)
	s_or_b32 s0, s0, s28
	s_and_b32 s28, s0, exec_lo
	s_delay_alu instid0(SALU_CYCLE_1)
	s_or_b32 s26, s26, s28
	s_mov_b32 s28, exec_lo
	v_cmpx_eq_u16_e64 v12, v13
	s_cbranch_execz .LBB627_419
; %bb.421:                              ;   in Loop: Header=BB627_420 Depth=1
	s_add_nc_u64 s[6:7], s[6:7], -1
	v_add_nc_u64_e32 v[6:7], 2, v[6:7]
	s_cmp_eq_u64 s[6:7], 0
	v_add_nc_u64_e32 v[8:9], 2, v[8:9]
	s_cselect_b32 s27, -1, 0
	s_and_not1_b32 s25, s25, exec_lo
	s_and_b32 s27, s27, exec_lo
	s_and_not1_b32 s26, s26, exec_lo
	s_or_b32 s25, s25, s27
                                        ; implicit-def: $sgpr27
	s_branch .LBB627_419
.LBB627_422:
	s_or_b32 exec_lo, exec_lo, s23
	s_xor_b32 s0, s24, -1
	s_branch .LBB627_424
.LBB627_423:
	s_mov_b32 s0, -1
.LBB627_424:
	s_delay_alu instid0(SALU_CYCLE_1)
	s_and_b32 s0, s0, exec_lo
.LBB627_425:
	s_or_b32 exec_lo, exec_lo, s14
	s_delay_alu instid0(SALU_CYCLE_1)
	s_or_not1_b32 s14, s0, exec_lo
.LBB627_426:
	s_or_b32 exec_lo, exec_lo, s22
	v_dual_cndmask_b32 v6, v10, v11, s14 :: v_dual_cndmask_b32 v7, v51, v50, s14
	s_mov_b32 s22, exec_lo
	s_delay_alu instid0(VALU_DEP_1) | instskip(NEXT) | instid1(VALU_DEP_1)
	v_add_nc_u32_e32 v8, 1, v6
	v_add_min_u32_e64 v6, v7, -1, v8
	s_delay_alu instid0(VALU_DEP_1)
	v_lshl_add_u32 v6, v6, 3, v46
	ds_load_b64 v[6:7], v6
	v_cndmask_b32_e64 v13, v11, v8, s14
	s_wait_dscnt 0x0
	v_dual_cndmask_b32 v11, v7, v15, s14 :: v_dual_cndmask_b32 v12, v8, v10, s14
	v_dual_cndmask_b32 v21, v17, v7, s14 :: v_dual_cndmask_b32 v10, v6, v14, s14
	v_cndmask_b32_e64 v20, v16, v6, s14
	s_delay_alu instid0(VALU_DEP_3)
	v_cmpx_lt_u32_e64 v12, v51
	s_cbranch_execz .LBB627_437
; %bb.427:
	s_mov_b32 s0, 0
	s_mov_b32 s15, exec_lo
	v_cmpx_lt_u32_e64 v13, v50
	s_cbranch_execz .LBB627_436
; %bb.428:
	v_cmp_ne_u32_e32 vcc_lo, 1, v45
	s_cbranch_vccnz .LBB627_434
; %bb.429:
	v_mul_u64_e32 v[6:7], s[16:17], v[10:11]
	v_mul_u64_e32 v[8:9], s[16:17], v[20:21]
	s_mov_b32 s23, 0
	s_mov_b64 s[6:7], s[16:17]
                                        ; implicit-def: $sgpr24
                                        ; implicit-def: $sgpr25
                                        ; implicit-def: $sgpr26
                                        ; implicit-def: $sgpr27
	s_delay_alu instid0(VALU_DEP_2) | instskip(NEXT) | instid1(VALU_DEP_2)
	v_lshl_add_u64 v[6:7], v[6:7], 1, s[18:19]
	v_lshl_add_u64 v[8:9], v[8:9], 1, s[18:19]
	s_branch .LBB627_431
.LBB627_430:                            ;   in Loop: Header=BB627_431 Depth=1
	s_or_b32 exec_lo, exec_lo, s28
	s_delay_alu instid0(SALU_CYCLE_1) | instskip(NEXT) | instid1(SALU_CYCLE_1)
	s_and_b32 s28, exec_lo, s25
	s_or_b32 s23, s28, s23
	s_and_not1_b32 s27, s27, exec_lo
	s_and_b32 s0, s0, exec_lo
	s_and_not1_b32 s24, s24, exec_lo
	s_and_b32 s28, s26, exec_lo
	s_or_b32 s27, s27, s0
	s_or_b32 s24, s24, s28
	s_and_not1_b32 exec_lo, exec_lo, s23
	s_cbranch_execz .LBB627_433
.LBB627_431:                            ; =>This Inner Loop Header: Depth=1
	global_load_u16 v22, v[6:7], off
	global_load_u16 v23, v[8:9], off
	s_and_not1_b32 s26, s26, exec_lo
	s_or_b32 s25, s25, exec_lo
	s_wait_loadcnt 0x0
	v_cmp_le_i16_e32 vcc_lo, v22, v23
	v_cmp_lt_i16_e64 s0, v22, v23
	s_and_b32 s28, vcc_lo, s27
	s_delay_alu instid0(SALU_CYCLE_1) | instskip(NEXT) | instid1(SALU_CYCLE_1)
	s_or_b32 s0, s0, s28
	s_and_b32 s28, s0, exec_lo
	s_delay_alu instid0(SALU_CYCLE_1)
	s_or_b32 s26, s26, s28
	s_mov_b32 s28, exec_lo
	v_cmpx_eq_u16_e64 v22, v23
	s_cbranch_execz .LBB627_430
; %bb.432:                              ;   in Loop: Header=BB627_431 Depth=1
	s_add_nc_u64 s[6:7], s[6:7], -1
	v_add_nc_u64_e32 v[6:7], 2, v[6:7]
	s_cmp_eq_u64 s[6:7], 0
	v_add_nc_u64_e32 v[8:9], 2, v[8:9]
	s_cselect_b32 s27, -1, 0
	s_and_not1_b32 s25, s25, exec_lo
	s_and_b32 s27, s27, exec_lo
	s_and_not1_b32 s26, s26, exec_lo
	s_or_b32 s25, s25, s27
                                        ; implicit-def: $sgpr27
	s_branch .LBB627_430
.LBB627_433:
	s_or_b32 exec_lo, exec_lo, s23
	s_xor_b32 s0, s24, -1
	s_branch .LBB627_435
.LBB627_434:
	s_mov_b32 s0, -1
.LBB627_435:
	s_delay_alu instid0(SALU_CYCLE_1)
	s_and_b32 s0, s0, exec_lo
.LBB627_436:
	s_or_b32 exec_lo, exec_lo, s15
	s_delay_alu instid0(SALU_CYCLE_1)
	s_or_not1_b32 s15, s0, exec_lo
.LBB627_437:
	s_or_b32 exec_lo, exec_lo, s22
	v_dual_cndmask_b32 v6, v12, v13, s15 :: v_dual_cndmask_b32 v7, v51, v50, s15
	s_mov_b32 s23, -1
	s_mov_b32 s22, -1
	s_mov_b32 s24, exec_lo
	s_delay_alu instid0(VALU_DEP_1) | instskip(NEXT) | instid1(VALU_DEP_1)
	v_add_nc_u32_e32 v8, 1, v6
	v_add_min_u32_e64 v6, v7, -1, v8
	s_delay_alu instid0(VALU_DEP_1)
	v_lshl_add_u32 v6, v6, 3, v46
	ds_load_b64 v[6:7], v6
	s_wait_dscnt 0x0
	v_dual_cndmask_b32 v25, v13, v8, s15 :: v_dual_cndmask_b32 v22, v20, v6, s15
	v_dual_cndmask_b32 v13, v7, v11, s15 :: v_dual_cndmask_b32 v24, v8, v12, s15
	v_dual_cndmask_b32 v12, v6, v10, s15 :: v_dual_cndmask_b32 v23, v21, v7, s15
	s_delay_alu instid0(VALU_DEP_2)
	v_cmpx_lt_u32_e64 v24, v51
	s_cbranch_execz .LBB627_448
; %bb.438:
	s_mov_b32 s0, 0
	s_mov_b32 s22, exec_lo
	v_cmpx_lt_u32_e64 v25, v50
	s_cbranch_execz .LBB627_447
; %bb.439:
	v_cmp_ne_u32_e32 vcc_lo, 1, v45
	s_cbranch_vccnz .LBB627_445
; %bb.440:
	v_mul_u64_e32 v[6:7], s[16:17], v[12:13]
	v_mul_u64_e32 v[8:9], s[16:17], v[22:23]
	s_mov_b32 s25, 0
	s_mov_b64 s[6:7], s[16:17]
                                        ; implicit-def: $sgpr26
                                        ; implicit-def: $sgpr27
                                        ; implicit-def: $sgpr28
                                        ; implicit-def: $sgpr29
	s_delay_alu instid0(VALU_DEP_2) | instskip(NEXT) | instid1(VALU_DEP_2)
	v_lshl_add_u64 v[6:7], v[6:7], 1, s[18:19]
	v_lshl_add_u64 v[8:9], v[8:9], 1, s[18:19]
	s_branch .LBB627_442
.LBB627_441:                            ;   in Loop: Header=BB627_442 Depth=1
	s_or_b32 exec_lo, exec_lo, s30
	s_delay_alu instid0(SALU_CYCLE_1) | instskip(NEXT) | instid1(SALU_CYCLE_1)
	s_and_b32 s30, exec_lo, s27
	s_or_b32 s25, s30, s25
	s_and_not1_b32 s29, s29, exec_lo
	s_and_b32 s0, s0, exec_lo
	s_and_not1_b32 s26, s26, exec_lo
	s_and_b32 s30, s28, exec_lo
	s_or_b32 s29, s29, s0
	s_or_b32 s26, s26, s30
	s_and_not1_b32 exec_lo, exec_lo, s25
	s_cbranch_execz .LBB627_444
.LBB627_442:                            ; =>This Inner Loop Header: Depth=1
	global_load_u16 v26, v[6:7], off
	global_load_u16 v27, v[8:9], off
	s_and_not1_b32 s28, s28, exec_lo
	s_or_b32 s27, s27, exec_lo
	s_wait_loadcnt 0x0
	v_cmp_le_i16_e32 vcc_lo, v26, v27
	v_cmp_lt_i16_e64 s0, v26, v27
	s_and_b32 s30, vcc_lo, s29
	s_delay_alu instid0(SALU_CYCLE_1) | instskip(NEXT) | instid1(SALU_CYCLE_1)
	s_or_b32 s0, s0, s30
	s_and_b32 s30, s0, exec_lo
	s_delay_alu instid0(SALU_CYCLE_1)
	s_or_b32 s28, s28, s30
	s_mov_b32 s30, exec_lo
	v_cmpx_eq_u16_e64 v26, v27
	s_cbranch_execz .LBB627_441
; %bb.443:                              ;   in Loop: Header=BB627_442 Depth=1
	s_add_nc_u64 s[6:7], s[6:7], -1
	v_add_nc_u64_e32 v[6:7], 2, v[6:7]
	s_cmp_eq_u64 s[6:7], 0
	v_add_nc_u64_e32 v[8:9], 2, v[8:9]
	s_cselect_b32 s29, -1, 0
	s_and_not1_b32 s27, s27, exec_lo
	s_and_b32 s29, s29, exec_lo
	s_and_not1_b32 s28, s28, exec_lo
	s_or_b32 s27, s27, s29
                                        ; implicit-def: $sgpr29
	s_branch .LBB627_441
.LBB627_444:
	s_or_b32 exec_lo, exec_lo, s25
	s_xor_b32 s0, s26, -1
	s_branch .LBB627_446
.LBB627_445:
	s_mov_b32 s0, -1
.LBB627_446:
	s_delay_alu instid0(SALU_CYCLE_1)
	s_and_b32 s0, s0, exec_lo
.LBB627_447:
	s_or_b32 exec_lo, exec_lo, s22
	s_delay_alu instid0(SALU_CYCLE_1)
	s_or_not1_b32 s22, s0, exec_lo
.LBB627_448:
	s_or_b32 exec_lo, exec_lo, s24
	v_dual_cndmask_b32 v6, v24, v25, s22 :: v_dual_cndmask_b32 v7, v51, v50, s22
	s_mov_b32 s24, exec_lo
	s_delay_alu instid0(VALU_DEP_1) | instskip(NEXT) | instid1(VALU_DEP_1)
	v_add_nc_u32_e32 v6, 1, v6
	v_add_min_u32_e64 v7, v7, -1, v6
	s_delay_alu instid0(VALU_DEP_1)
	v_lshl_add_u32 v7, v7, 3, v46
	ds_load_b64 v[8:9], v7
	s_wait_dscnt 0x0
	v_dual_cndmask_b32 v7, v9, v13, s22 :: v_dual_cndmask_b32 v28, v6, v24, s22
	v_dual_cndmask_b32 v29, v25, v6, s22 :: v_dual_cndmask_b32 v6, v8, v12, s22
	;; [unrolled: 1-line block ×3, first 2 shown]
	s_delay_alu instid0(VALU_DEP_3)
	v_cmpx_lt_u32_e64 v28, v51
	s_cbranch_execz .LBB627_459
; %bb.449:
	s_mov_b32 s0, 0
	s_mov_b32 s23, exec_lo
	v_cmpx_lt_u32_e64 v29, v50
	s_cbranch_execz .LBB627_458
; %bb.450:
	v_cmp_ne_u32_e32 vcc_lo, 1, v45
	s_cbranch_vccnz .LBB627_456
; %bb.451:
	v_mul_u64_e32 v[8:9], s[16:17], v[6:7]
	v_mul_u64_e32 v[26:27], s[16:17], v[24:25]
	s_mov_b32 s25, 0
	s_mov_b64 s[6:7], s[16:17]
                                        ; implicit-def: $sgpr26
                                        ; implicit-def: $sgpr27
                                        ; implicit-def: $sgpr28
                                        ; implicit-def: $sgpr29
	s_delay_alu instid0(VALU_DEP_2) | instskip(NEXT) | instid1(VALU_DEP_2)
	v_lshl_add_u64 v[8:9], v[8:9], 1, s[18:19]
	v_lshl_add_u64 v[26:27], v[26:27], 1, s[18:19]
	s_branch .LBB627_453
.LBB627_452:                            ;   in Loop: Header=BB627_453 Depth=1
	s_or_b32 exec_lo, exec_lo, s30
	s_delay_alu instid0(SALU_CYCLE_1) | instskip(NEXT) | instid1(SALU_CYCLE_1)
	s_and_b32 s30, exec_lo, s27
	s_or_b32 s25, s30, s25
	s_and_not1_b32 s29, s29, exec_lo
	s_and_b32 s0, s0, exec_lo
	s_and_not1_b32 s26, s26, exec_lo
	s_and_b32 s30, s28, exec_lo
	s_or_b32 s29, s29, s0
	s_or_b32 s26, s26, s30
	s_and_not1_b32 exec_lo, exec_lo, s25
	s_cbranch_execz .LBB627_455
.LBB627_453:                            ; =>This Inner Loop Header: Depth=1
	global_load_u16 v30, v[8:9], off
	global_load_u16 v31, v[26:27], off
	s_and_not1_b32 s28, s28, exec_lo
	s_or_b32 s27, s27, exec_lo
	s_wait_loadcnt 0x0
	v_cmp_le_i16_e32 vcc_lo, v30, v31
	v_cmp_lt_i16_e64 s0, v30, v31
	s_and_b32 s30, vcc_lo, s29
	s_delay_alu instid0(SALU_CYCLE_1) | instskip(NEXT) | instid1(SALU_CYCLE_1)
	s_or_b32 s0, s0, s30
	s_and_b32 s30, s0, exec_lo
	s_delay_alu instid0(SALU_CYCLE_1)
	s_or_b32 s28, s28, s30
	s_mov_b32 s30, exec_lo
	v_cmpx_eq_u16_e64 v30, v31
	s_cbranch_execz .LBB627_452
; %bb.454:                              ;   in Loop: Header=BB627_453 Depth=1
	s_add_nc_u64 s[6:7], s[6:7], -1
	v_add_nc_u64_e32 v[8:9], 2, v[8:9]
	s_cmp_eq_u64 s[6:7], 0
	v_add_nc_u64_e32 v[26:27], 2, v[26:27]
	s_cselect_b32 s29, -1, 0
	s_and_not1_b32 s27, s27, exec_lo
	s_and_b32 s29, s29, exec_lo
	s_and_not1_b32 s28, s28, exec_lo
	s_or_b32 s27, s27, s29
                                        ; implicit-def: $sgpr29
	s_branch .LBB627_452
.LBB627_455:
	s_or_b32 exec_lo, exec_lo, s25
	s_xor_b32 s0, s26, -1
	s_branch .LBB627_457
.LBB627_456:
	s_mov_b32 s0, -1
.LBB627_457:
	s_delay_alu instid0(SALU_CYCLE_1)
	s_and_b32 s0, s0, exec_lo
.LBB627_458:
	s_or_b32 exec_lo, exec_lo, s23
	s_delay_alu instid0(SALU_CYCLE_1)
	s_or_not1_b32 s23, s0, exec_lo
.LBB627_459:
	s_or_b32 exec_lo, exec_lo, s24
	v_dual_cndmask_b32 v8, v28, v29, s23 :: v_dual_cndmask_b32 v9, v51, v50, s23
	s_mov_b32 s24, -1
	s_mov_b32 s25, -1
	s_mov_b32 s26, exec_lo
	s_delay_alu instid0(VALU_DEP_1) | instskip(NEXT) | instid1(VALU_DEP_1)
	v_add_nc_u32_e32 v8, 1, v8
	v_add_min_u32_e64 v9, v9, -1, v8
	s_delay_alu instid0(VALU_DEP_1)
	v_lshl_add_u32 v9, v9, 3, v46
	ds_load_b64 v[26:27], v9
	s_wait_dscnt 0x0
	v_dual_cndmask_b32 v9, v27, v7, s23 :: v_dual_cndmask_b32 v32, v8, v28, s23
	v_dual_cndmask_b32 v33, v29, v8, s23 :: v_dual_cndmask_b32 v8, v26, v6, s23
	;; [unrolled: 1-line block ×3, first 2 shown]
	s_delay_alu instid0(VALU_DEP_3)
	v_cmpx_lt_u32_e64 v32, v51
	s_cbranch_execz .LBB627_470
; %bb.460:
	s_mov_b32 s0, 0
	s_mov_b32 s25, exec_lo
	v_cmpx_lt_u32_e64 v33, v50
	s_cbranch_execz .LBB627_469
; %bb.461:
	v_cmp_ne_u32_e32 vcc_lo, 1, v45
	s_cbranch_vccnz .LBB627_467
; %bb.462:
	v_mul_u64_e32 v[28:29], s[16:17], v[8:9]
	v_mul_u64_e32 v[30:31], s[16:17], v[26:27]
	s_mov_b32 s27, 0
	s_mov_b64 s[6:7], s[16:17]
                                        ; implicit-def: $sgpr28
                                        ; implicit-def: $sgpr29
                                        ; implicit-def: $sgpr30
                                        ; implicit-def: $sgpr31
	s_delay_alu instid0(VALU_DEP_2) | instskip(NEXT) | instid1(VALU_DEP_2)
	v_lshl_add_u64 v[28:29], v[28:29], 1, s[18:19]
	v_lshl_add_u64 v[30:31], v[30:31], 1, s[18:19]
	s_branch .LBB627_464
.LBB627_463:                            ;   in Loop: Header=BB627_464 Depth=1
	s_or_b32 exec_lo, exec_lo, s33
	s_delay_alu instid0(SALU_CYCLE_1) | instskip(NEXT) | instid1(SALU_CYCLE_1)
	s_and_b32 s33, exec_lo, s29
	s_or_b32 s27, s33, s27
	s_and_not1_b32 s31, s31, exec_lo
	s_and_b32 s0, s0, exec_lo
	s_and_not1_b32 s28, s28, exec_lo
	s_and_b32 s33, s30, exec_lo
	s_or_b32 s31, s31, s0
	s_or_b32 s28, s28, s33
	s_and_not1_b32 exec_lo, exec_lo, s27
	s_cbranch_execz .LBB627_466
.LBB627_464:                            ; =>This Inner Loop Header: Depth=1
	global_load_u16 v34, v[28:29], off
	global_load_u16 v35, v[30:31], off
	s_and_not1_b32 s30, s30, exec_lo
	s_or_b32 s29, s29, exec_lo
	s_wait_loadcnt 0x0
	v_cmp_le_i16_e32 vcc_lo, v34, v35
	v_cmp_lt_i16_e64 s0, v34, v35
	s_and_b32 s33, vcc_lo, s31
	s_delay_alu instid0(SALU_CYCLE_1) | instskip(NEXT) | instid1(SALU_CYCLE_1)
	s_or_b32 s0, s0, s33
	s_and_b32 s33, s0, exec_lo
	s_delay_alu instid0(SALU_CYCLE_1)
	s_or_b32 s30, s30, s33
	s_mov_b32 s33, exec_lo
	v_cmpx_eq_u16_e64 v34, v35
	s_cbranch_execz .LBB627_463
; %bb.465:                              ;   in Loop: Header=BB627_464 Depth=1
	s_add_nc_u64 s[6:7], s[6:7], -1
	v_add_nc_u64_e32 v[28:29], 2, v[28:29]
	s_cmp_eq_u64 s[6:7], 0
	v_add_nc_u64_e32 v[30:31], 2, v[30:31]
	s_cselect_b32 s31, -1, 0
	s_and_not1_b32 s29, s29, exec_lo
	s_and_b32 s31, s31, exec_lo
	s_and_not1_b32 s30, s30, exec_lo
	s_or_b32 s29, s29, s31
                                        ; implicit-def: $sgpr31
	s_branch .LBB627_463
.LBB627_466:
	s_or_b32 exec_lo, exec_lo, s27
	s_xor_b32 s0, s28, -1
	s_branch .LBB627_468
.LBB627_467:
	s_mov_b32 s0, -1
.LBB627_468:
	s_delay_alu instid0(SALU_CYCLE_1)
	s_and_b32 s0, s0, exec_lo
.LBB627_469:
	s_or_b32 exec_lo, exec_lo, s25
	s_delay_alu instid0(SALU_CYCLE_1)
	s_or_not1_b32 s25, s0, exec_lo
.LBB627_470:
	s_or_b32 exec_lo, exec_lo, s26
	v_dual_cndmask_b32 v28, v32, v33, s25 :: v_dual_cndmask_b32 v29, v51, v50, s25
	s_mov_b32 s26, exec_lo
	s_delay_alu instid0(VALU_DEP_1) | instskip(NEXT) | instid1(VALU_DEP_1)
	v_add_nc_u32_e32 v28, 1, v28
	v_add_min_u32_e64 v29, v29, -1, v28
	s_delay_alu instid0(VALU_DEP_1)
	v_lshl_add_u32 v29, v29, 3, v46
	ds_load_b64 v[30:31], v29
	s_wait_dscnt 0x0
	v_dual_cndmask_b32 v29, v31, v9, s25 :: v_dual_cndmask_b32 v53, v28, v32, s25
	v_dual_cndmask_b32 v31, v27, v31, s25 :: v_dual_cndmask_b32 v52, v33, v28, s25
	v_cndmask_b32_e64 v28, v30, v8, s25
	v_cndmask_b32_e64 v30, v26, v30, s25
	s_delay_alu instid0(VALU_DEP_4)
	v_cmpx_lt_u32_e64 v53, v51
	s_cbranch_execz .LBB627_481
; %bb.471:
	s_mov_b32 s0, 0
	s_mov_b32 s24, exec_lo
	v_cmpx_lt_u32_e64 v52, v50
	s_cbranch_execz .LBB627_480
; %bb.472:
	v_cmp_ne_u32_e32 vcc_lo, 1, v45
	s_cbranch_vccnz .LBB627_478
; %bb.473:
	v_mul_u64_e32 v[32:33], s[16:17], v[28:29]
	v_mul_u64_e32 v[34:35], s[16:17], v[30:31]
	s_mov_b32 s27, 0
	s_mov_b64 s[6:7], s[16:17]
                                        ; implicit-def: $sgpr28
                                        ; implicit-def: $sgpr29
                                        ; implicit-def: $sgpr30
                                        ; implicit-def: $sgpr31
	s_delay_alu instid0(VALU_DEP_2) | instskip(NEXT) | instid1(VALU_DEP_2)
	v_lshl_add_u64 v[32:33], v[32:33], 1, s[18:19]
	v_lshl_add_u64 v[34:35], v[34:35], 1, s[18:19]
	s_branch .LBB627_475
.LBB627_474:                            ;   in Loop: Header=BB627_475 Depth=1
	s_or_b32 exec_lo, exec_lo, s33
	s_delay_alu instid0(SALU_CYCLE_1) | instskip(NEXT) | instid1(SALU_CYCLE_1)
	s_and_b32 s33, exec_lo, s29
	s_or_b32 s27, s33, s27
	s_and_not1_b32 s31, s31, exec_lo
	s_and_b32 s0, s0, exec_lo
	s_and_not1_b32 s28, s28, exec_lo
	s_and_b32 s33, s30, exec_lo
	s_or_b32 s31, s31, s0
	s_or_b32 s28, s28, s33
	s_and_not1_b32 exec_lo, exec_lo, s27
	s_cbranch_execz .LBB627_477
.LBB627_475:                            ; =>This Inner Loop Header: Depth=1
	global_load_u16 v54, v[32:33], off
	global_load_u16 v55, v[34:35], off
	s_and_not1_b32 s30, s30, exec_lo
	s_or_b32 s29, s29, exec_lo
	s_wait_loadcnt 0x0
	v_cmp_le_i16_e32 vcc_lo, v54, v55
	v_cmp_lt_i16_e64 s0, v54, v55
	s_and_b32 s33, vcc_lo, s31
	s_delay_alu instid0(SALU_CYCLE_1) | instskip(NEXT) | instid1(SALU_CYCLE_1)
	s_or_b32 s0, s0, s33
	s_and_b32 s33, s0, exec_lo
	s_delay_alu instid0(SALU_CYCLE_1)
	s_or_b32 s30, s30, s33
	s_mov_b32 s33, exec_lo
	v_cmpx_eq_u16_e64 v54, v55
	s_cbranch_execz .LBB627_474
; %bb.476:                              ;   in Loop: Header=BB627_475 Depth=1
	s_add_nc_u64 s[6:7], s[6:7], -1
	v_add_nc_u64_e32 v[32:33], 2, v[32:33]
	s_cmp_eq_u64 s[6:7], 0
	v_add_nc_u64_e32 v[34:35], 2, v[34:35]
	s_cselect_b32 s31, -1, 0
	s_and_not1_b32 s29, s29, exec_lo
	s_and_b32 s31, s31, exec_lo
	s_and_not1_b32 s30, s30, exec_lo
	s_or_b32 s29, s29, s31
                                        ; implicit-def: $sgpr31
	s_branch .LBB627_474
.LBB627_477:
	s_or_b32 exec_lo, exec_lo, s27
	s_xor_b32 s0, s28, -1
	s_branch .LBB627_479
.LBB627_478:
	s_mov_b32 s0, -1
.LBB627_479:
	s_delay_alu instid0(SALU_CYCLE_1)
	s_and_b32 s0, s0, exec_lo
.LBB627_480:
	s_or_b32 exec_lo, exec_lo, s24
	s_delay_alu instid0(SALU_CYCLE_1)
	s_or_not1_b32 s24, s0, exec_lo
.LBB627_481:
	s_or_b32 exec_lo, exec_lo, s26
	v_dual_cndmask_b32 v32, v53, v52, s24 :: v_dual_cndmask_b32 v33, v51, v50, s24
	v_dual_cndmask_b32 v8, v8, v26, s25 :: v_dual_cndmask_b32 v7, v7, v25, s23
	;; [unrolled: 1-line block ×3, first 2 shown]
	s_delay_alu instid0(VALU_DEP_3) | instskip(SKIP_2) | instid1(VALU_DEP_3)
	v_dual_add_nc_u32 v34, 1, v32 :: v_dual_cndmask_b32 v9, v9, v27, s25
	v_dual_cndmask_b32 v12, v12, v22, s22 :: v_dual_cndmask_b32 v11, v11, v21, s15
	v_dual_cndmask_b32 v10, v10, v20, s15 :: v_dual_cndmask_b32 v17, v15, v17, s14
	v_add_min_u32_e64 v32, v33, -1, v34
	v_dual_cndmask_b32 v16, v14, v16, s14 :: v_dual_cndmask_b32 v15, v5, v3, s5
	v_dual_cndmask_b32 v14, v4, v2, s5 :: v_dual_cndmask_b32 v20, v34, v53, s24
	s_delay_alu instid0(VALU_DEP_3)
	v_lshl_add_u32 v32, v32, 3, v46
	v_dual_cndmask_b32 v3, v29, v31, s24 :: v_dual_cndmask_b32 v2, v28, v30, s24
	s_mov_b32 s5, exec_lo
	ds_load_b64 v[32:33], v32
	s_wait_dscnt 0x0
	v_dual_cndmask_b32 v5, v31, v33, s24 :: v_dual_cndmask_b32 v4, v30, v32, s24
	v_cmpx_lt_u32_e64 v20, v51
	s_cbranch_execz .LBB627_491
; %bb.482:
	v_dual_cndmask_b32 v22, v52, v34, s24 :: v_dual_cndmask_b32 v21, v33, v29, s24
	v_cndmask_b32_e64 v20, v32, v28, s24
	s_mov_b32 s14, exec_lo
	s_delay_alu instid0(VALU_DEP_2)
	v_cmpx_lt_u32_e64 v22, v50
	s_cbranch_execz .LBB627_490
; %bb.483:
	v_cmp_ne_u32_e32 vcc_lo, 1, v45
	s_cbranch_vccnz .LBB627_489
; %bb.484:
	v_mul_u64_e32 v[22:23], s[16:17], v[20:21]
	v_mul_u64_e32 v[24:25], s[16:17], v[4:5]
	s_mov_b32 s15, 0
	s_mov_b64 s[6:7], s[16:17]
                                        ; implicit-def: $sgpr22
                                        ; implicit-def: $sgpr23
                                        ; implicit-def: $sgpr24
                                        ; implicit-def: $sgpr25
	s_delay_alu instid0(VALU_DEP_2) | instskip(NEXT) | instid1(VALU_DEP_2)
	v_lshl_add_u64 v[22:23], v[22:23], 1, s[18:19]
	v_lshl_add_u64 v[24:25], v[24:25], 1, s[18:19]
	s_branch .LBB627_486
.LBB627_485:                            ;   in Loop: Header=BB627_486 Depth=1
	s_or_b32 exec_lo, exec_lo, s26
	s_delay_alu instid0(SALU_CYCLE_1) | instskip(NEXT) | instid1(SALU_CYCLE_1)
	s_and_b32 s26, exec_lo, s23
	s_or_b32 s15, s26, s15
	s_and_not1_b32 s25, s25, exec_lo
	s_and_b32 s0, s0, exec_lo
	s_and_not1_b32 s22, s22, exec_lo
	s_and_b32 s26, s24, exec_lo
	s_or_b32 s25, s25, s0
	s_or_b32 s22, s22, s26
	s_and_not1_b32 exec_lo, exec_lo, s15
	s_cbranch_execz .LBB627_488
.LBB627_486:                            ; =>This Inner Loop Header: Depth=1
	global_load_u16 v26, v[22:23], off
	global_load_u16 v27, v[24:25], off
	s_and_not1_b32 s24, s24, exec_lo
	s_or_b32 s23, s23, exec_lo
	s_wait_loadcnt 0x0
	v_cmp_le_i16_e32 vcc_lo, v26, v27
	v_cmp_lt_i16_e64 s0, v26, v27
	s_and_b32 s26, vcc_lo, s25
	s_delay_alu instid0(SALU_CYCLE_1) | instskip(NEXT) | instid1(SALU_CYCLE_1)
	s_or_b32 s0, s0, s26
	s_and_b32 s26, s0, exec_lo
	s_delay_alu instid0(SALU_CYCLE_1)
	s_or_b32 s24, s24, s26
	s_mov_b32 s26, exec_lo
	v_cmpx_eq_u16_e64 v26, v27
	s_cbranch_execz .LBB627_485
; %bb.487:                              ;   in Loop: Header=BB627_486 Depth=1
	s_add_nc_u64 s[6:7], s[6:7], -1
	v_add_nc_u64_e32 v[22:23], 2, v[22:23]
	s_cmp_eq_u64 s[6:7], 0
	v_add_nc_u64_e32 v[24:25], 2, v[24:25]
	s_cselect_b32 s25, -1, 0
	s_and_not1_b32 s23, s23, exec_lo
	s_and_b32 s25, s25, exec_lo
	s_and_not1_b32 s24, s24, exec_lo
	s_or_b32 s23, s23, s25
                                        ; implicit-def: $sgpr25
	s_branch .LBB627_485
.LBB627_488:
	s_or_b32 exec_lo, exec_lo, s15
	v_dual_cndmask_b32 v5, v5, v21, s22 :: v_dual_cndmask_b32 v4, v4, v20, s22
.LBB627_489:
	s_delay_alu instid0(VALU_DEP_1)
	v_mov_b64_e32 v[20:21], v[4:5]
.LBB627_490:
	s_or_b32 exec_lo, exec_lo, s14
	s_delay_alu instid0(VALU_DEP_1)
	v_mov_b64_e32 v[4:5], v[20:21]
.LBB627_491:
	s_or_b32 exec_lo, exec_lo, s5
.LBB627_492:
	s_delay_alu instid0(SALU_CYCLE_1)
	s_or_b32 exec_lo, exec_lo, s1
	v_and_b32_e32 v26, 0x80, v48
	s_mov_b32 s1, exec_lo
	; wave barrier
	ds_store_b128 v49, v[14:17]
	ds_store_b128 v49, v[10:13] offset:16
	v_or_b32_e32 v20, 64, v26
	v_lshl_add_u32 v25, v26, 3, v46
	ds_store_b128 v49, v[6:9] offset:32
	ds_store_b128 v49, v[2:5] offset:48
	; wave barrier
	v_min_u32_e32 v50, v47, v20
	v_and_b32_e32 v20, 0x78, v48
	s_delay_alu instid0(VALU_DEP_2) | instskip(NEXT) | instid1(VALU_DEP_2)
	v_add_min_u32_e64 v48, v50, 64, v47
	v_min_u32_e32 v27, v47, v20
	v_sub_nc_u32_e32 v21, v50, v26
	s_delay_alu instid0(VALU_DEP_3) | instskip(NEXT) | instid1(VALU_DEP_2)
	v_sub_nc_u32_e32 v20, v48, v50
	v_min_u32_e32 v28, v27, v21
	s_delay_alu instid0(VALU_DEP_2) | instskip(NEXT) | instid1(VALU_DEP_1)
	v_sub_nc_u32_e64 v24, v27, v20 clamp
	v_cmpx_lt_u32_e64 v24, v28
	s_cbranch_execz .LBB627_502
; %bb.493:
	v_dual_lshlrev_b32 v20, 3, v50 :: v_dual_lshlrev_b32 v21, 3, v27
	s_lshl_b64 s[6:7], s[16:17], 1
	s_mov_b32 s5, 0
	s_delay_alu instid0(VALU_DEP_1)
	v_add3_u32 v29, v46, v20, v21
	s_branch .LBB627_496
.LBB627_494:                            ;   in Loop: Header=BB627_496 Depth=1
	s_or_b32 exec_lo, exec_lo, s23
.LBB627_495:                            ;   in Loop: Header=BB627_496 Depth=1
	s_delay_alu instid0(VALU_DEP_1) | instskip(NEXT) | instid1(VALU_DEP_1)
	v_dual_add_nc_u32 v20, 1, v30 :: v_dual_cndmask_b32 v28, v28, v30, s22
	v_cndmask_b32_e64 v24, v20, v24, s22
	s_delay_alu instid0(VALU_DEP_1) | instskip(SKIP_1) | instid1(SALU_CYCLE_1)
	v_cmp_ge_u32_e32 vcc_lo, v24, v28
	s_or_b32 s5, vcc_lo, s5
	s_and_not1_b32 exec_lo, exec_lo, s5
	s_cbranch_execz .LBB627_501
.LBB627_496:                            ; =>This Loop Header: Depth=1
                                        ;     Child Loop BB627_499 Depth 2
	v_add_nc_u32_e32 v20, v28, v24
	v_cmp_ne_u32_e32 vcc_lo, 1, v45
	s_mov_b32 s22, 0
	s_delay_alu instid0(VALU_DEP_2)
	v_lshrrev_b32_e32 v30, 1, v20
	s_cbranch_vccnz .LBB627_495
; %bb.497:                              ;   in Loop: Header=BB627_496 Depth=1
	s_delay_alu instid0(VALU_DEP_1) | instskip(SKIP_3) | instid1(VALU_DEP_2)
	v_not_b32_e32 v20, v30
	v_lshl_add_u32 v21, v30, 3, v25
	s_mov_b32 s23, 0
	s_mov_b64 s[14:15], s[16:17]
                                        ; implicit-def: $sgpr22
                                        ; implicit-def: $sgpr24
                                        ; implicit-def: $sgpr25
                                        ; implicit-def: $sgpr26
	v_lshl_add_u32 v20, v20, 3, v29
	ds_load_b64 v[32:33], v20
	ds_load_b64 v[34:35], v21
	s_wait_dscnt 0x1
	v_mad_nc_u64_u32 v[20:21], s6, v32, s[18:19]
	s_wait_dscnt 0x0
	v_mad_nc_u64_u32 v[22:23], s6, v34, s[18:19]
	s_delay_alu instid0(VALU_DEP_2) | instskip(NEXT) | instid1(VALU_DEP_2)
	v_mad_u32 v21, s7, v32, v21
	v_mad_u32 v23, s7, v34, v23
	s_delay_alu instid0(VALU_DEP_2) | instskip(NEXT) | instid1(VALU_DEP_2)
	v_mad_u32 v21, s6, v33, v21
	v_mad_u32 v23, s6, v35, v23
	s_branch .LBB627_499
.LBB627_498:                            ;   in Loop: Header=BB627_499 Depth=2
	s_or_b32 exec_lo, exec_lo, s27
	s_delay_alu instid0(SALU_CYCLE_1) | instskip(NEXT) | instid1(SALU_CYCLE_1)
	s_and_b32 s27, exec_lo, s24
	s_or_b32 s23, s27, s23
	s_and_not1_b32 s26, s26, exec_lo
	s_and_b32 s0, s0, exec_lo
	s_and_not1_b32 s22, s22, exec_lo
	s_and_b32 s27, s25, exec_lo
	s_or_b32 s26, s26, s0
	s_or_b32 s22, s22, s27
	s_and_not1_b32 exec_lo, exec_lo, s23
	s_cbranch_execz .LBB627_494
.LBB627_499:                            ;   Parent Loop BB627_496 Depth=1
                                        ; =>  This Inner Loop Header: Depth=2
	global_load_u16 v31, v[20:21], off
	global_load_u16 v32, v[22:23], off
	s_and_not1_b32 s25, s25, exec_lo
	s_or_b32 s24, s24, exec_lo
	s_wait_loadcnt 0x0
	v_cmp_le_i16_e32 vcc_lo, v31, v32
	v_cmp_lt_i16_e64 s0, v31, v32
	s_and_b32 s27, vcc_lo, s26
	s_delay_alu instid0(SALU_CYCLE_1) | instskip(NEXT) | instid1(SALU_CYCLE_1)
	s_or_b32 s0, s0, s27
	s_and_b32 s27, s0, exec_lo
	s_delay_alu instid0(SALU_CYCLE_1)
	s_or_b32 s25, s25, s27
	s_mov_b32 s27, exec_lo
	v_cmpx_eq_u16_e64 v31, v32
	s_cbranch_execz .LBB627_498
; %bb.500:                              ;   in Loop: Header=BB627_499 Depth=2
	s_add_nc_u64 s[14:15], s[14:15], -1
	v_add_nc_u64_e32 v[20:21], 2, v[20:21]
	s_cmp_eq_u64 s[14:15], 0
	v_add_nc_u64_e32 v[22:23], 2, v[22:23]
	s_cselect_b32 s26, -1, 0
	s_and_not1_b32 s24, s24, exec_lo
	s_and_b32 s26, s26, exec_lo
	s_and_not1_b32 s25, s25, exec_lo
	s_or_b32 s24, s24, s26
                                        ; implicit-def: $sgpr26
	s_branch .LBB627_498
.LBB627_501:
	s_or_b32 exec_lo, exec_lo, s5
.LBB627_502:
	s_delay_alu instid0(SALU_CYCLE_1) | instskip(SKIP_1) | instid1(VALU_DEP_1)
	s_or_b32 exec_lo, exec_lo, s1
	v_dual_add_nc_u32 v21, v50, v27 :: v_dual_add_nc_u32 v20, v24, v26
	v_sub_nc_u32_e32 v21, v21, v24
	s_delay_alu instid0(VALU_DEP_2) | instskip(NEXT) | instid1(VALU_DEP_2)
	v_cmp_le_u32_e32 vcc_lo, v20, v50
	v_cmp_le_u32_e64 s0, v21, v48
	s_or_b32 s0, vcc_lo, s0
	s_delay_alu instid0(SALU_CYCLE_1)
	s_and_saveexec_b32 s1, s0
	s_cbranch_execz .LBB627_593
; %bb.503:
	s_mov_b32 s5, exec_lo
	v_cmp_ge_u32_e32 vcc_lo, v20, v50
                                        ; implicit-def: $vgpr2_vgpr3
	v_cmpx_lt_u32_e64 v20, v50
; %bb.504:
	v_lshl_add_u32 v2, v24, 3, v25
	ds_load_b64 v[2:3], v2
; %bb.505:
	s_or_b32 exec_lo, exec_lo, s5
	v_cmp_ge_u32_e64 s5, v21, v48
	s_mov_b32 s6, exec_lo
                                        ; implicit-def: $vgpr4_vgpr5
	v_cmpx_lt_u32_e64 v21, v48
; %bb.506:
	v_lshl_add_u32 v4, v21, 3, v46
	ds_load_b64 v[4:5], v4
; %bb.507:
	s_or_b32 exec_lo, exec_lo, s6
	s_nor_b32 s0, vcc_lo, s5
	s_delay_alu instid0(SALU_CYCLE_1)
	s_and_saveexec_b32 s14, s0
	s_cbranch_execz .LBB627_516
; %bb.508:
	v_cmp_ne_u32_e32 vcc_lo, 1, v45
	s_cbranch_vccnz .LBB627_514
; %bb.509:
	s_wait_dscnt 0x0
	v_mul_u64_e32 v[6:7], s[16:17], v[4:5]
	v_mul_u64_e32 v[8:9], s[16:17], v[2:3]
	s_mov_b32 s15, 0
	s_mov_b64 s[6:7], s[16:17]
                                        ; implicit-def: $sgpr22
                                        ; implicit-def: $sgpr23
                                        ; implicit-def: $sgpr24
                                        ; implicit-def: $sgpr25
	s_delay_alu instid0(VALU_DEP_2) | instskip(NEXT) | instid1(VALU_DEP_2)
	v_lshl_add_u64 v[6:7], v[6:7], 1, s[18:19]
	v_lshl_add_u64 v[8:9], v[8:9], 1, s[18:19]
	s_branch .LBB627_511
.LBB627_510:                            ;   in Loop: Header=BB627_511 Depth=1
	s_or_b32 exec_lo, exec_lo, s26
	s_delay_alu instid0(SALU_CYCLE_1) | instskip(NEXT) | instid1(SALU_CYCLE_1)
	s_and_b32 s26, exec_lo, s23
	s_or_b32 s15, s26, s15
	s_and_not1_b32 s25, s25, exec_lo
	s_and_b32 s0, s0, exec_lo
	s_and_not1_b32 s22, s22, exec_lo
	s_and_b32 s26, s24, exec_lo
	s_or_b32 s25, s25, s0
	s_or_b32 s22, s22, s26
	s_and_not1_b32 exec_lo, exec_lo, s15
	s_cbranch_execz .LBB627_513
.LBB627_511:                            ; =>This Inner Loop Header: Depth=1
	global_load_u16 v10, v[6:7], off
	global_load_u16 v11, v[8:9], off
	s_and_not1_b32 s24, s24, exec_lo
	s_or_b32 s23, s23, exec_lo
	s_wait_loadcnt 0x0
	v_cmp_le_i16_e32 vcc_lo, v10, v11
	v_cmp_lt_i16_e64 s0, v10, v11
	s_and_b32 s26, vcc_lo, s25
	s_delay_alu instid0(SALU_CYCLE_1) | instskip(NEXT) | instid1(SALU_CYCLE_1)
	s_or_b32 s0, s0, s26
	s_and_b32 s26, s0, exec_lo
	s_delay_alu instid0(SALU_CYCLE_1)
	s_or_b32 s24, s24, s26
	s_mov_b32 s26, exec_lo
	v_cmpx_eq_u16_e64 v10, v11
	s_cbranch_execz .LBB627_510
; %bb.512:                              ;   in Loop: Header=BB627_511 Depth=1
	s_add_nc_u64 s[6:7], s[6:7], -1
	v_add_nc_u64_e32 v[6:7], 2, v[6:7]
	s_cmp_eq_u64 s[6:7], 0
	v_add_nc_u64_e32 v[8:9], 2, v[8:9]
	s_cselect_b32 s25, -1, 0
	s_and_not1_b32 s23, s23, exec_lo
	s_and_b32 s25, s25, exec_lo
	s_and_not1_b32 s24, s24, exec_lo
	s_or_b32 s23, s23, s25
                                        ; implicit-def: $sgpr25
	s_branch .LBB627_510
.LBB627_513:
	s_or_b32 exec_lo, exec_lo, s15
	s_xor_b32 s0, s22, -1
	s_branch .LBB627_515
.LBB627_514:
	s_mov_b32 s0, -1
.LBB627_515:
	s_and_not1_b32 s5, s5, exec_lo
	s_and_b32 s0, s0, exec_lo
	s_delay_alu instid0(SALU_CYCLE_1)
	s_or_b32 s5, s5, s0
.LBB627_516:
	s_or_b32 exec_lo, exec_lo, s14
	v_dual_cndmask_b32 v6, v21, v20, s5 :: v_dual_cndmask_b32 v7, v48, v50, s5
	s_mov_b32 s15, -1
	s_mov_b32 s14, -1
	s_mov_b32 s22, exec_lo
	s_delay_alu instid0(VALU_DEP_1) | instskip(NEXT) | instid1(VALU_DEP_1)
	v_add_nc_u32_e32 v8, 1, v6
	v_add_min_u32_e64 v6, v7, -1, v8
	s_delay_alu instid0(VALU_DEP_1)
	v_lshl_add_u32 v6, v6, 3, v46
	ds_load_b64 v[6:7], v6
	s_wait_dscnt 0x0
	v_cndmask_b32_e64 v15, v7, v5, s5
	v_dual_cndmask_b32 v10, v8, v21, s5 :: v_dual_cndmask_b32 v14, v6, v4, s5
	v_dual_cndmask_b32 v11, v20, v8, s5 :: v_dual_cndmask_b32 v17, v3, v7, s5
	v_cndmask_b32_e64 v16, v2, v6, s5
	s_delay_alu instid0(VALU_DEP_3)
	v_cmpx_lt_u32_e64 v10, v48
	s_cbranch_execz .LBB627_527
; %bb.517:
	s_mov_b32 s0, 0
	s_mov_b32 s14, exec_lo
	v_cmpx_lt_u32_e64 v11, v50
	s_cbranch_execz .LBB627_526
; %bb.518:
	v_cmp_ne_u32_e32 vcc_lo, 1, v45
	s_cbranch_vccnz .LBB627_524
; %bb.519:
	v_mul_u64_e32 v[6:7], s[16:17], v[14:15]
	v_mul_u64_e32 v[8:9], s[16:17], v[16:17]
	s_mov_b32 s23, 0
	s_mov_b64 s[6:7], s[16:17]
                                        ; implicit-def: $sgpr24
                                        ; implicit-def: $sgpr25
                                        ; implicit-def: $sgpr26
                                        ; implicit-def: $sgpr27
	s_delay_alu instid0(VALU_DEP_2) | instskip(NEXT) | instid1(VALU_DEP_2)
	v_lshl_add_u64 v[6:7], v[6:7], 1, s[18:19]
	v_lshl_add_u64 v[8:9], v[8:9], 1, s[18:19]
	s_branch .LBB627_521
.LBB627_520:                            ;   in Loop: Header=BB627_521 Depth=1
	s_or_b32 exec_lo, exec_lo, s28
	s_delay_alu instid0(SALU_CYCLE_1) | instskip(NEXT) | instid1(SALU_CYCLE_1)
	s_and_b32 s28, exec_lo, s25
	s_or_b32 s23, s28, s23
	s_and_not1_b32 s27, s27, exec_lo
	s_and_b32 s0, s0, exec_lo
	s_and_not1_b32 s24, s24, exec_lo
	s_and_b32 s28, s26, exec_lo
	s_or_b32 s27, s27, s0
	s_or_b32 s24, s24, s28
	s_and_not1_b32 exec_lo, exec_lo, s23
	s_cbranch_execz .LBB627_523
.LBB627_521:                            ; =>This Inner Loop Header: Depth=1
	global_load_u16 v12, v[6:7], off
	global_load_u16 v13, v[8:9], off
	s_and_not1_b32 s26, s26, exec_lo
	s_or_b32 s25, s25, exec_lo
	s_wait_loadcnt 0x0
	v_cmp_le_i16_e32 vcc_lo, v12, v13
	v_cmp_lt_i16_e64 s0, v12, v13
	s_and_b32 s28, vcc_lo, s27
	s_delay_alu instid0(SALU_CYCLE_1) | instskip(NEXT) | instid1(SALU_CYCLE_1)
	s_or_b32 s0, s0, s28
	s_and_b32 s28, s0, exec_lo
	s_delay_alu instid0(SALU_CYCLE_1)
	s_or_b32 s26, s26, s28
	s_mov_b32 s28, exec_lo
	v_cmpx_eq_u16_e64 v12, v13
	s_cbranch_execz .LBB627_520
; %bb.522:                              ;   in Loop: Header=BB627_521 Depth=1
	s_add_nc_u64 s[6:7], s[6:7], -1
	v_add_nc_u64_e32 v[6:7], 2, v[6:7]
	s_cmp_eq_u64 s[6:7], 0
	v_add_nc_u64_e32 v[8:9], 2, v[8:9]
	s_cselect_b32 s27, -1, 0
	s_and_not1_b32 s25, s25, exec_lo
	s_and_b32 s27, s27, exec_lo
	s_and_not1_b32 s26, s26, exec_lo
	s_or_b32 s25, s25, s27
                                        ; implicit-def: $sgpr27
	s_branch .LBB627_520
.LBB627_523:
	s_or_b32 exec_lo, exec_lo, s23
	s_xor_b32 s0, s24, -1
	s_branch .LBB627_525
.LBB627_524:
	s_mov_b32 s0, -1
.LBB627_525:
	s_delay_alu instid0(SALU_CYCLE_1)
	s_and_b32 s0, s0, exec_lo
.LBB627_526:
	s_or_b32 exec_lo, exec_lo, s14
	s_delay_alu instid0(SALU_CYCLE_1)
	s_or_not1_b32 s14, s0, exec_lo
.LBB627_527:
	s_or_b32 exec_lo, exec_lo, s22
	v_dual_cndmask_b32 v6, v10, v11, s14 :: v_dual_cndmask_b32 v7, v48, v50, s14
	s_mov_b32 s22, exec_lo
	s_delay_alu instid0(VALU_DEP_1) | instskip(NEXT) | instid1(VALU_DEP_1)
	v_add_nc_u32_e32 v8, 1, v6
	v_add_min_u32_e64 v6, v7, -1, v8
	s_delay_alu instid0(VALU_DEP_1)
	v_lshl_add_u32 v6, v6, 3, v46
	ds_load_b64 v[6:7], v6
	v_cndmask_b32_e64 v13, v11, v8, s14
	s_wait_dscnt 0x0
	v_dual_cndmask_b32 v11, v7, v15, s14 :: v_dual_cndmask_b32 v12, v8, v10, s14
	v_dual_cndmask_b32 v21, v17, v7, s14 :: v_dual_cndmask_b32 v10, v6, v14, s14
	v_cndmask_b32_e64 v20, v16, v6, s14
	s_delay_alu instid0(VALU_DEP_3)
	v_cmpx_lt_u32_e64 v12, v48
	s_cbranch_execz .LBB627_538
; %bb.528:
	s_mov_b32 s0, 0
	s_mov_b32 s15, exec_lo
	v_cmpx_lt_u32_e64 v13, v50
	s_cbranch_execz .LBB627_537
; %bb.529:
	v_cmp_ne_u32_e32 vcc_lo, 1, v45
	s_cbranch_vccnz .LBB627_535
; %bb.530:
	v_mul_u64_e32 v[6:7], s[16:17], v[10:11]
	v_mul_u64_e32 v[8:9], s[16:17], v[20:21]
	s_mov_b32 s23, 0
	s_mov_b64 s[6:7], s[16:17]
                                        ; implicit-def: $sgpr24
                                        ; implicit-def: $sgpr25
                                        ; implicit-def: $sgpr26
                                        ; implicit-def: $sgpr27
	s_delay_alu instid0(VALU_DEP_2) | instskip(NEXT) | instid1(VALU_DEP_2)
	v_lshl_add_u64 v[6:7], v[6:7], 1, s[18:19]
	v_lshl_add_u64 v[8:9], v[8:9], 1, s[18:19]
	s_branch .LBB627_532
.LBB627_531:                            ;   in Loop: Header=BB627_532 Depth=1
	s_or_b32 exec_lo, exec_lo, s28
	s_delay_alu instid0(SALU_CYCLE_1) | instskip(NEXT) | instid1(SALU_CYCLE_1)
	s_and_b32 s28, exec_lo, s25
	s_or_b32 s23, s28, s23
	s_and_not1_b32 s27, s27, exec_lo
	s_and_b32 s0, s0, exec_lo
	s_and_not1_b32 s24, s24, exec_lo
	s_and_b32 s28, s26, exec_lo
	s_or_b32 s27, s27, s0
	s_or_b32 s24, s24, s28
	s_and_not1_b32 exec_lo, exec_lo, s23
	s_cbranch_execz .LBB627_534
.LBB627_532:                            ; =>This Inner Loop Header: Depth=1
	global_load_u16 v22, v[6:7], off
	global_load_u16 v23, v[8:9], off
	s_and_not1_b32 s26, s26, exec_lo
	s_or_b32 s25, s25, exec_lo
	s_wait_loadcnt 0x0
	v_cmp_le_i16_e32 vcc_lo, v22, v23
	v_cmp_lt_i16_e64 s0, v22, v23
	s_and_b32 s28, vcc_lo, s27
	s_delay_alu instid0(SALU_CYCLE_1) | instskip(NEXT) | instid1(SALU_CYCLE_1)
	s_or_b32 s0, s0, s28
	s_and_b32 s28, s0, exec_lo
	s_delay_alu instid0(SALU_CYCLE_1)
	s_or_b32 s26, s26, s28
	s_mov_b32 s28, exec_lo
	v_cmpx_eq_u16_e64 v22, v23
	s_cbranch_execz .LBB627_531
; %bb.533:                              ;   in Loop: Header=BB627_532 Depth=1
	s_add_nc_u64 s[6:7], s[6:7], -1
	v_add_nc_u64_e32 v[6:7], 2, v[6:7]
	s_cmp_eq_u64 s[6:7], 0
	v_add_nc_u64_e32 v[8:9], 2, v[8:9]
	s_cselect_b32 s27, -1, 0
	s_and_not1_b32 s25, s25, exec_lo
	s_and_b32 s27, s27, exec_lo
	s_and_not1_b32 s26, s26, exec_lo
	s_or_b32 s25, s25, s27
                                        ; implicit-def: $sgpr27
	s_branch .LBB627_531
.LBB627_534:
	s_or_b32 exec_lo, exec_lo, s23
	s_xor_b32 s0, s24, -1
	s_branch .LBB627_536
.LBB627_535:
	s_mov_b32 s0, -1
.LBB627_536:
	s_delay_alu instid0(SALU_CYCLE_1)
	s_and_b32 s0, s0, exec_lo
.LBB627_537:
	s_or_b32 exec_lo, exec_lo, s15
	s_delay_alu instid0(SALU_CYCLE_1)
	s_or_not1_b32 s15, s0, exec_lo
.LBB627_538:
	s_or_b32 exec_lo, exec_lo, s22
	v_cndmask_b32_e64 v6, v12, v13, s15
	v_cndmask_b32_e64 v7, v48, v50, s15
	s_mov_b32 s23, -1
	s_mov_b32 s22, -1
	s_mov_b32 s24, exec_lo
	v_add_nc_u32_e32 v8, 1, v6
	s_delay_alu instid0(VALU_DEP_1) | instskip(SKIP_1) | instid1(VALU_DEP_2)
	v_add_min_u32_e64 v6, v7, -1, v8
	v_cndmask_b32_e64 v25, v13, v8, s15
	v_lshl_add_u32 v6, v6, 3, v46
	ds_load_b64 v[6:7], v6
	s_wait_dscnt 0x0
	v_dual_cndmask_b32 v13, v7, v11, s15 :: v_dual_cndmask_b32 v24, v8, v12, s15
	v_dual_cndmask_b32 v12, v6, v10, s15 :: v_dual_cndmask_b32 v23, v21, v7, s15
	v_cndmask_b32_e64 v22, v20, v6, s15
	s_delay_alu instid0(VALU_DEP_3)
	v_cmpx_lt_u32_e64 v24, v48
	s_cbranch_execz .LBB627_549
; %bb.539:
	s_mov_b32 s0, 0
	s_mov_b32 s22, exec_lo
	v_cmpx_lt_u32_e64 v25, v50
	s_cbranch_execz .LBB627_548
; %bb.540:
	v_cmp_ne_u32_e32 vcc_lo, 1, v45
	s_cbranch_vccnz .LBB627_546
; %bb.541:
	v_mul_u64_e32 v[6:7], s[16:17], v[12:13]
	v_mul_u64_e32 v[8:9], s[16:17], v[22:23]
	s_mov_b32 s25, 0
	s_mov_b64 s[6:7], s[16:17]
                                        ; implicit-def: $sgpr26
                                        ; implicit-def: $sgpr27
                                        ; implicit-def: $sgpr28
                                        ; implicit-def: $sgpr29
	s_delay_alu instid0(VALU_DEP_2) | instskip(NEXT) | instid1(VALU_DEP_2)
	v_lshl_add_u64 v[6:7], v[6:7], 1, s[18:19]
	v_lshl_add_u64 v[8:9], v[8:9], 1, s[18:19]
	s_branch .LBB627_543
.LBB627_542:                            ;   in Loop: Header=BB627_543 Depth=1
	s_or_b32 exec_lo, exec_lo, s30
	s_delay_alu instid0(SALU_CYCLE_1) | instskip(NEXT) | instid1(SALU_CYCLE_1)
	s_and_b32 s30, exec_lo, s27
	s_or_b32 s25, s30, s25
	s_and_not1_b32 s29, s29, exec_lo
	s_and_b32 s0, s0, exec_lo
	s_and_not1_b32 s26, s26, exec_lo
	s_and_b32 s30, s28, exec_lo
	s_or_b32 s29, s29, s0
	s_or_b32 s26, s26, s30
	s_and_not1_b32 exec_lo, exec_lo, s25
	s_cbranch_execz .LBB627_545
.LBB627_543:                            ; =>This Inner Loop Header: Depth=1
	global_load_u16 v26, v[6:7], off
	global_load_u16 v27, v[8:9], off
	s_and_not1_b32 s28, s28, exec_lo
	s_or_b32 s27, s27, exec_lo
	s_wait_loadcnt 0x0
	v_cmp_le_i16_e32 vcc_lo, v26, v27
	v_cmp_lt_i16_e64 s0, v26, v27
	s_and_b32 s30, vcc_lo, s29
	s_delay_alu instid0(SALU_CYCLE_1) | instskip(NEXT) | instid1(SALU_CYCLE_1)
	s_or_b32 s0, s0, s30
	s_and_b32 s30, s0, exec_lo
	s_delay_alu instid0(SALU_CYCLE_1)
	s_or_b32 s28, s28, s30
	s_mov_b32 s30, exec_lo
	v_cmpx_eq_u16_e64 v26, v27
	s_cbranch_execz .LBB627_542
; %bb.544:                              ;   in Loop: Header=BB627_543 Depth=1
	s_add_nc_u64 s[6:7], s[6:7], -1
	v_add_nc_u64_e32 v[6:7], 2, v[6:7]
	s_cmp_eq_u64 s[6:7], 0
	v_add_nc_u64_e32 v[8:9], 2, v[8:9]
	s_cselect_b32 s29, -1, 0
	s_and_not1_b32 s27, s27, exec_lo
	s_and_b32 s29, s29, exec_lo
	s_and_not1_b32 s28, s28, exec_lo
	s_or_b32 s27, s27, s29
                                        ; implicit-def: $sgpr29
	s_branch .LBB627_542
.LBB627_545:
	s_or_b32 exec_lo, exec_lo, s25
	s_xor_b32 s0, s26, -1
	s_branch .LBB627_547
.LBB627_546:
	s_mov_b32 s0, -1
.LBB627_547:
	s_delay_alu instid0(SALU_CYCLE_1)
	s_and_b32 s0, s0, exec_lo
.LBB627_548:
	s_or_b32 exec_lo, exec_lo, s22
	s_delay_alu instid0(SALU_CYCLE_1)
	s_or_not1_b32 s22, s0, exec_lo
.LBB627_549:
	s_or_b32 exec_lo, exec_lo, s24
	v_cndmask_b32_e64 v6, v24, v25, s22
	s_mov_b32 s24, exec_lo
	s_delay_alu instid0(VALU_DEP_1) | instskip(NEXT) | instid1(VALU_DEP_1)
	v_add_nc_u32_e32 v6, 1, v6
	v_dual_cndmask_b32 v7, v48, v50, s22 :: v_dual_cndmask_b32 v28, v6, v24, s22
	s_delay_alu instid0(VALU_DEP_1) | instskip(NEXT) | instid1(VALU_DEP_1)
	v_add_min_u32_e64 v7, v7, -1, v6
	v_lshl_add_u32 v7, v7, 3, v46
	ds_load_b64 v[8:9], v7
	s_wait_dscnt 0x0
	v_cndmask_b32_e64 v7, v9, v13, s22
	v_dual_cndmask_b32 v29, v25, v6, s22 :: v_dual_cndmask_b32 v6, v8, v12, s22
	v_dual_cndmask_b32 v25, v23, v9, s22 :: v_dual_cndmask_b32 v24, v22, v8, s22
	v_cmpx_lt_u32_e64 v28, v48
	s_cbranch_execz .LBB627_560
; %bb.550:
	s_mov_b32 s0, 0
	s_mov_b32 s23, exec_lo
	v_cmpx_lt_u32_e64 v29, v50
	s_cbranch_execz .LBB627_559
; %bb.551:
	v_cmp_ne_u32_e32 vcc_lo, 1, v45
	s_cbranch_vccnz .LBB627_557
; %bb.552:
	v_mul_u64_e32 v[8:9], s[16:17], v[6:7]
	v_mul_u64_e32 v[26:27], s[16:17], v[24:25]
	s_mov_b32 s25, 0
	s_mov_b64 s[6:7], s[16:17]
                                        ; implicit-def: $sgpr26
                                        ; implicit-def: $sgpr27
                                        ; implicit-def: $sgpr28
                                        ; implicit-def: $sgpr29
	s_delay_alu instid0(VALU_DEP_2) | instskip(NEXT) | instid1(VALU_DEP_2)
	v_lshl_add_u64 v[8:9], v[8:9], 1, s[18:19]
	v_lshl_add_u64 v[26:27], v[26:27], 1, s[18:19]
	s_branch .LBB627_554
.LBB627_553:                            ;   in Loop: Header=BB627_554 Depth=1
	s_or_b32 exec_lo, exec_lo, s30
	s_delay_alu instid0(SALU_CYCLE_1) | instskip(NEXT) | instid1(SALU_CYCLE_1)
	s_and_b32 s30, exec_lo, s27
	s_or_b32 s25, s30, s25
	s_and_not1_b32 s29, s29, exec_lo
	s_and_b32 s0, s0, exec_lo
	s_and_not1_b32 s26, s26, exec_lo
	s_and_b32 s30, s28, exec_lo
	s_or_b32 s29, s29, s0
	s_or_b32 s26, s26, s30
	s_and_not1_b32 exec_lo, exec_lo, s25
	s_cbranch_execz .LBB627_556
.LBB627_554:                            ; =>This Inner Loop Header: Depth=1
	global_load_u16 v30, v[8:9], off
	global_load_u16 v31, v[26:27], off
	s_and_not1_b32 s28, s28, exec_lo
	s_or_b32 s27, s27, exec_lo
	s_wait_loadcnt 0x0
	v_cmp_le_i16_e32 vcc_lo, v30, v31
	v_cmp_lt_i16_e64 s0, v30, v31
	s_and_b32 s30, vcc_lo, s29
	s_delay_alu instid0(SALU_CYCLE_1) | instskip(NEXT) | instid1(SALU_CYCLE_1)
	s_or_b32 s0, s0, s30
	s_and_b32 s30, s0, exec_lo
	s_delay_alu instid0(SALU_CYCLE_1)
	s_or_b32 s28, s28, s30
	s_mov_b32 s30, exec_lo
	v_cmpx_eq_u16_e64 v30, v31
	s_cbranch_execz .LBB627_553
; %bb.555:                              ;   in Loop: Header=BB627_554 Depth=1
	s_add_nc_u64 s[6:7], s[6:7], -1
	v_add_nc_u64_e32 v[8:9], 2, v[8:9]
	s_cmp_eq_u64 s[6:7], 0
	v_add_nc_u64_e32 v[26:27], 2, v[26:27]
	s_cselect_b32 s29, -1, 0
	s_and_not1_b32 s27, s27, exec_lo
	s_and_b32 s29, s29, exec_lo
	s_and_not1_b32 s28, s28, exec_lo
	s_or_b32 s27, s27, s29
                                        ; implicit-def: $sgpr29
	s_branch .LBB627_553
.LBB627_556:
	s_or_b32 exec_lo, exec_lo, s25
	s_xor_b32 s0, s26, -1
	s_branch .LBB627_558
.LBB627_557:
	s_mov_b32 s0, -1
.LBB627_558:
	s_delay_alu instid0(SALU_CYCLE_1)
	s_and_b32 s0, s0, exec_lo
.LBB627_559:
	s_or_b32 exec_lo, exec_lo, s23
	s_delay_alu instid0(SALU_CYCLE_1)
	s_or_not1_b32 s23, s0, exec_lo
.LBB627_560:
	s_or_b32 exec_lo, exec_lo, s24
	v_cndmask_b32_e64 v8, v28, v29, s23
	v_cndmask_b32_e64 v9, v48, v50, s23
	s_mov_b32 s24, -1
	s_mov_b32 s25, -1
	s_mov_b32 s26, exec_lo
	v_add_nc_u32_e32 v8, 1, v8
	s_delay_alu instid0(VALU_DEP_1) | instskip(NEXT) | instid1(VALU_DEP_1)
	v_add_min_u32_e64 v9, v9, -1, v8
	v_lshl_add_u32 v9, v9, 3, v46
	ds_load_b64 v[26:27], v9
	v_cndmask_b32_e64 v32, v8, v28, s23
	s_wait_dscnt 0x0
	v_dual_cndmask_b32 v33, v29, v8, s23 :: v_dual_cndmask_b32 v9, v27, v7, s23
	v_dual_cndmask_b32 v8, v26, v6, s23 :: v_dual_cndmask_b32 v27, v25, v27, s23
	v_cndmask_b32_e64 v26, v24, v26, s23
	v_cmpx_lt_u32_e64 v32, v48
	s_cbranch_execz .LBB627_571
; %bb.561:
	s_mov_b32 s0, 0
	s_mov_b32 s25, exec_lo
	v_cmpx_lt_u32_e64 v33, v50
	s_cbranch_execz .LBB627_570
; %bb.562:
	v_cmp_ne_u32_e32 vcc_lo, 1, v45
	s_cbranch_vccnz .LBB627_568
; %bb.563:
	v_mul_u64_e32 v[28:29], s[16:17], v[8:9]
	v_mul_u64_e32 v[30:31], s[16:17], v[26:27]
	s_mov_b32 s27, 0
	s_mov_b64 s[6:7], s[16:17]
                                        ; implicit-def: $sgpr28
                                        ; implicit-def: $sgpr29
                                        ; implicit-def: $sgpr30
                                        ; implicit-def: $sgpr31
	s_delay_alu instid0(VALU_DEP_2) | instskip(NEXT) | instid1(VALU_DEP_2)
	v_lshl_add_u64 v[28:29], v[28:29], 1, s[18:19]
	v_lshl_add_u64 v[30:31], v[30:31], 1, s[18:19]
	s_branch .LBB627_565
.LBB627_564:                            ;   in Loop: Header=BB627_565 Depth=1
	s_or_b32 exec_lo, exec_lo, s33
	s_delay_alu instid0(SALU_CYCLE_1) | instskip(NEXT) | instid1(SALU_CYCLE_1)
	s_and_b32 s33, exec_lo, s29
	s_or_b32 s27, s33, s27
	s_and_not1_b32 s31, s31, exec_lo
	s_and_b32 s0, s0, exec_lo
	s_and_not1_b32 s28, s28, exec_lo
	s_and_b32 s33, s30, exec_lo
	s_or_b32 s31, s31, s0
	s_or_b32 s28, s28, s33
	s_and_not1_b32 exec_lo, exec_lo, s27
	s_cbranch_execz .LBB627_567
.LBB627_565:                            ; =>This Inner Loop Header: Depth=1
	global_load_u16 v34, v[28:29], off
	global_load_u16 v35, v[30:31], off
	s_and_not1_b32 s30, s30, exec_lo
	s_or_b32 s29, s29, exec_lo
	s_wait_loadcnt 0x0
	v_cmp_le_i16_e32 vcc_lo, v34, v35
	v_cmp_lt_i16_e64 s0, v34, v35
	s_and_b32 s33, vcc_lo, s31
	s_delay_alu instid0(SALU_CYCLE_1) | instskip(NEXT) | instid1(SALU_CYCLE_1)
	s_or_b32 s0, s0, s33
	s_and_b32 s33, s0, exec_lo
	s_delay_alu instid0(SALU_CYCLE_1)
	s_or_b32 s30, s30, s33
	s_mov_b32 s33, exec_lo
	v_cmpx_eq_u16_e64 v34, v35
	s_cbranch_execz .LBB627_564
; %bb.566:                              ;   in Loop: Header=BB627_565 Depth=1
	s_add_nc_u64 s[6:7], s[6:7], -1
	v_add_nc_u64_e32 v[28:29], 2, v[28:29]
	s_cmp_eq_u64 s[6:7], 0
	v_add_nc_u64_e32 v[30:31], 2, v[30:31]
	s_cselect_b32 s31, -1, 0
	s_and_not1_b32 s29, s29, exec_lo
	s_and_b32 s31, s31, exec_lo
	s_and_not1_b32 s30, s30, exec_lo
	s_or_b32 s29, s29, s31
                                        ; implicit-def: $sgpr31
	s_branch .LBB627_564
.LBB627_567:
	s_or_b32 exec_lo, exec_lo, s27
	s_xor_b32 s0, s28, -1
	s_branch .LBB627_569
.LBB627_568:
	s_mov_b32 s0, -1
.LBB627_569:
	s_delay_alu instid0(SALU_CYCLE_1)
	s_and_b32 s0, s0, exec_lo
.LBB627_570:
	s_or_b32 exec_lo, exec_lo, s25
	s_delay_alu instid0(SALU_CYCLE_1)
	s_or_not1_b32 s25, s0, exec_lo
.LBB627_571:
	s_or_b32 exec_lo, exec_lo, s26
	v_cndmask_b32_e64 v28, v32, v33, s25
	v_cndmask_b32_e64 v29, v48, v50, s25
	s_mov_b32 s26, exec_lo
	s_delay_alu instid0(VALU_DEP_2) | instskip(NEXT) | instid1(VALU_DEP_1)
	v_add_nc_u32_e32 v28, 1, v28
	v_add_min_u32_e64 v29, v29, -1, v28
	s_delay_alu instid0(VALU_DEP_1)
	v_lshl_add_u32 v29, v29, 3, v46
	ds_load_b64 v[30:31], v29
	v_cndmask_b32_e64 v49, v28, v32, s25
	s_wait_dscnt 0x0
	v_dual_cndmask_b32 v47, v33, v28, s25 :: v_dual_cndmask_b32 v29, v31, v9, s25
	v_dual_cndmask_b32 v28, v30, v8, s25 :: v_dual_cndmask_b32 v31, v27, v31, s25
	v_cndmask_b32_e64 v30, v26, v30, s25
	v_cmpx_lt_u32_e64 v49, v48
	s_cbranch_execz .LBB627_582
; %bb.572:
	s_mov_b32 s0, 0
	s_mov_b32 s24, exec_lo
	v_cmpx_lt_u32_e64 v47, v50
	s_cbranch_execz .LBB627_581
; %bb.573:
	v_cmp_ne_u32_e32 vcc_lo, 1, v45
	s_cbranch_vccnz .LBB627_579
; %bb.574:
	v_mul_u64_e32 v[32:33], s[16:17], v[28:29]
	v_mul_u64_e32 v[34:35], s[16:17], v[30:31]
	s_mov_b32 s27, 0
	s_mov_b64 s[6:7], s[16:17]
                                        ; implicit-def: $sgpr28
                                        ; implicit-def: $sgpr29
                                        ; implicit-def: $sgpr30
                                        ; implicit-def: $sgpr31
	s_delay_alu instid0(VALU_DEP_2) | instskip(NEXT) | instid1(VALU_DEP_2)
	v_lshl_add_u64 v[32:33], v[32:33], 1, s[18:19]
	v_lshl_add_u64 v[34:35], v[34:35], 1, s[18:19]
	s_branch .LBB627_576
.LBB627_575:                            ;   in Loop: Header=BB627_576 Depth=1
	s_or_b32 exec_lo, exec_lo, s33
	s_delay_alu instid0(SALU_CYCLE_1) | instskip(NEXT) | instid1(SALU_CYCLE_1)
	s_and_b32 s33, exec_lo, s29
	s_or_b32 s27, s33, s27
	s_and_not1_b32 s31, s31, exec_lo
	s_and_b32 s0, s0, exec_lo
	s_and_not1_b32 s28, s28, exec_lo
	s_and_b32 s33, s30, exec_lo
	s_or_b32 s31, s31, s0
	s_or_b32 s28, s28, s33
	s_and_not1_b32 exec_lo, exec_lo, s27
	s_cbranch_execz .LBB627_578
.LBB627_576:                            ; =>This Inner Loop Header: Depth=1
	global_load_u16 v51, v[32:33], off
	global_load_u16 v52, v[34:35], off
	s_and_not1_b32 s30, s30, exec_lo
	s_or_b32 s29, s29, exec_lo
	s_wait_loadcnt 0x0
	v_cmp_le_i16_e32 vcc_lo, v51, v52
	v_cmp_lt_i16_e64 s0, v51, v52
	s_and_b32 s33, vcc_lo, s31
	s_delay_alu instid0(SALU_CYCLE_1) | instskip(NEXT) | instid1(SALU_CYCLE_1)
	s_or_b32 s0, s0, s33
	s_and_b32 s33, s0, exec_lo
	s_delay_alu instid0(SALU_CYCLE_1)
	s_or_b32 s30, s30, s33
	s_mov_b32 s33, exec_lo
	v_cmpx_eq_u16_e64 v51, v52
	s_cbranch_execz .LBB627_575
; %bb.577:                              ;   in Loop: Header=BB627_576 Depth=1
	s_add_nc_u64 s[6:7], s[6:7], -1
	v_add_nc_u64_e32 v[32:33], 2, v[32:33]
	s_cmp_eq_u64 s[6:7], 0
	v_add_nc_u64_e32 v[34:35], 2, v[34:35]
	s_cselect_b32 s31, -1, 0
	s_and_not1_b32 s29, s29, exec_lo
	s_and_b32 s31, s31, exec_lo
	s_and_not1_b32 s30, s30, exec_lo
	s_or_b32 s29, s29, s31
                                        ; implicit-def: $sgpr31
	s_branch .LBB627_575
.LBB627_578:
	s_or_b32 exec_lo, exec_lo, s27
	s_xor_b32 s0, s28, -1
	s_branch .LBB627_580
.LBB627_579:
	s_mov_b32 s0, -1
.LBB627_580:
	s_delay_alu instid0(SALU_CYCLE_1)
	s_and_b32 s0, s0, exec_lo
.LBB627_581:
	s_or_b32 exec_lo, exec_lo, s24
	s_delay_alu instid0(SALU_CYCLE_1)
	s_or_not1_b32 s24, s0, exec_lo
.LBB627_582:
	s_or_b32 exec_lo, exec_lo, s26
	v_dual_cndmask_b32 v32, v49, v47, s24 :: v_dual_cndmask_b32 v33, v48, v50, s24
	v_dual_cndmask_b32 v8, v8, v26, s25 :: v_dual_cndmask_b32 v7, v7, v25, s23
	;; [unrolled: 1-line block ×3, first 2 shown]
	s_delay_alu instid0(VALU_DEP_3) | instskip(SKIP_2) | instid1(VALU_DEP_3)
	v_dual_add_nc_u32 v34, 1, v32 :: v_dual_cndmask_b32 v9, v9, v27, s25
	v_dual_cndmask_b32 v12, v12, v22, s22 :: v_dual_cndmask_b32 v11, v11, v21, s15
	v_dual_cndmask_b32 v10, v10, v20, s15 :: v_dual_cndmask_b32 v17, v15, v17, s14
	v_add_min_u32_e64 v32, v33, -1, v34
	v_dual_cndmask_b32 v16, v14, v16, s14 :: v_dual_cndmask_b32 v15, v5, v3, s5
	v_dual_cndmask_b32 v14, v4, v2, s5 :: v_dual_cndmask_b32 v20, v34, v49, s24
	s_delay_alu instid0(VALU_DEP_3)
	v_lshl_add_u32 v32, v32, 3, v46
	v_dual_cndmask_b32 v3, v29, v31, s24 :: v_dual_cndmask_b32 v2, v28, v30, s24
	s_mov_b32 s5, exec_lo
	ds_load_b64 v[32:33], v32
	s_wait_dscnt 0x0
	v_dual_cndmask_b32 v5, v31, v33, s24 :: v_dual_cndmask_b32 v4, v30, v32, s24
	v_cmpx_lt_u32_e64 v20, v48
	s_cbranch_execz .LBB627_592
; %bb.583:
	v_dual_cndmask_b32 v22, v47, v34, s24 :: v_dual_cndmask_b32 v21, v33, v29, s24
	v_cndmask_b32_e64 v20, v32, v28, s24
	s_mov_b32 s14, exec_lo
	s_delay_alu instid0(VALU_DEP_2)
	v_cmpx_lt_u32_e64 v22, v50
	s_cbranch_execz .LBB627_591
; %bb.584:
	v_cmp_ne_u32_e32 vcc_lo, 1, v45
	s_cbranch_vccnz .LBB627_590
; %bb.585:
	v_mul_u64_e32 v[22:23], s[16:17], v[20:21]
	v_mul_u64_e32 v[24:25], s[16:17], v[4:5]
	s_mov_b32 s15, 0
	s_mov_b64 s[6:7], s[16:17]
                                        ; implicit-def: $sgpr22
                                        ; implicit-def: $sgpr23
                                        ; implicit-def: $sgpr24
                                        ; implicit-def: $sgpr25
	s_delay_alu instid0(VALU_DEP_2) | instskip(NEXT) | instid1(VALU_DEP_2)
	v_lshl_add_u64 v[22:23], v[22:23], 1, s[18:19]
	v_lshl_add_u64 v[24:25], v[24:25], 1, s[18:19]
	s_branch .LBB627_587
.LBB627_586:                            ;   in Loop: Header=BB627_587 Depth=1
	s_or_b32 exec_lo, exec_lo, s26
	s_delay_alu instid0(SALU_CYCLE_1) | instskip(NEXT) | instid1(SALU_CYCLE_1)
	s_and_b32 s26, exec_lo, s23
	s_or_b32 s15, s26, s15
	s_and_not1_b32 s25, s25, exec_lo
	s_and_b32 s0, s0, exec_lo
	s_and_not1_b32 s22, s22, exec_lo
	s_and_b32 s26, s24, exec_lo
	s_or_b32 s25, s25, s0
	s_or_b32 s22, s22, s26
	s_and_not1_b32 exec_lo, exec_lo, s15
	s_cbranch_execz .LBB627_589
.LBB627_587:                            ; =>This Inner Loop Header: Depth=1
	global_load_u16 v26, v[22:23], off
	global_load_u16 v27, v[24:25], off
	s_and_not1_b32 s24, s24, exec_lo
	s_or_b32 s23, s23, exec_lo
	s_wait_loadcnt 0x0
	v_cmp_le_i16_e32 vcc_lo, v26, v27
	v_cmp_lt_i16_e64 s0, v26, v27
	s_and_b32 s26, vcc_lo, s25
	s_delay_alu instid0(SALU_CYCLE_1) | instskip(NEXT) | instid1(SALU_CYCLE_1)
	s_or_b32 s0, s0, s26
	s_and_b32 s26, s0, exec_lo
	s_delay_alu instid0(SALU_CYCLE_1)
	s_or_b32 s24, s24, s26
	s_mov_b32 s26, exec_lo
	v_cmpx_eq_u16_e64 v26, v27
	s_cbranch_execz .LBB627_586
; %bb.588:                              ;   in Loop: Header=BB627_587 Depth=1
	s_add_nc_u64 s[6:7], s[6:7], -1
	v_add_nc_u64_e32 v[22:23], 2, v[22:23]
	s_cmp_eq_u64 s[6:7], 0
	v_add_nc_u64_e32 v[24:25], 2, v[24:25]
	s_cselect_b32 s25, -1, 0
	s_and_not1_b32 s23, s23, exec_lo
	s_and_b32 s25, s25, exec_lo
	s_and_not1_b32 s24, s24, exec_lo
	s_or_b32 s23, s23, s25
                                        ; implicit-def: $sgpr25
	s_branch .LBB627_586
.LBB627_589:
	s_or_b32 exec_lo, exec_lo, s15
	v_dual_cndmask_b32 v5, v5, v21, s22 :: v_dual_cndmask_b32 v4, v4, v20, s22
.LBB627_590:
	s_delay_alu instid0(VALU_DEP_1)
	v_mov_b64_e32 v[20:21], v[4:5]
.LBB627_591:
	s_or_b32 exec_lo, exec_lo, s14
	s_delay_alu instid0(VALU_DEP_1)
	v_mov_b64_e32 v[4:5], v[20:21]
.LBB627_592:
	s_or_b32 exec_lo, exec_lo, s5
.LBB627_593:
	s_delay_alu instid0(SALU_CYCLE_1)
	s_or_b32 exec_lo, exec_lo, s1
	v_lshlrev_b32_e32 v24, 3, v1
	s_lshl_b64 s[6:7], s[16:17], 1
	s_movk_i32 s1, 0x80
	; wave barrier
	s_wait_dscnt 0x0
	s_barrier_signal -1
	s_barrier_wait -1
.LBB627_594:                            ; =>This Loop Header: Depth=1
                                        ;     Child Loop BB627_598 Depth 2
                                        ;       Child Loop BB627_601 Depth 3
                                        ;     Child Loop BB627_613 Depth 2
                                        ;     Child Loop BB627_623 Depth 2
	;; [unrolled: 1-line block ×8, first 2 shown]
	s_lshl_b32 s5, s1, 1
	s_mov_b32 s22, exec_lo
	s_sub_co_i32 s0, 0, s5
	ds_store_b128 v24, v[14:17]
	ds_store_b128 v24, v[10:13] offset:16
	ds_store_b128 v24, v[6:9] offset:32
	;; [unrolled: 1-line block ×3, first 2 shown]
	v_and_b32_e32 v29, s0, v1
	s_add_co_i32 s0, s5, -1
	s_wait_dscnt 0x0
	v_and_b32_e32 v20, s0, v1
	s_barrier_signal -1
	v_add_min_u32_e64 v25, v29, s1, 0x800
	s_barrier_wait -1
	s_delay_alu instid0(VALU_DEP_2) | instskip(NEXT) | instid1(VALU_DEP_2)
	v_min_u32_e32 v30, 0x800, v20
	v_dual_lshlrev_b32 v28, 3, v29 :: v_dual_sub_nc_u32 v20, v25, v29
	v_add_min_u32_e64 v26, v25, s1, 0x800
	s_delay_alu instid0(VALU_DEP_2) | instskip(NEXT) | instid1(VALU_DEP_2)
	v_min_u32_e32 v31, v30, v20
	v_sub_nc_u32_e32 v21, v26, v25
	s_delay_alu instid0(VALU_DEP_1) | instskip(NEXT) | instid1(VALU_DEP_1)
	v_sub_nc_u32_e64 v27, v30, v21 clamp
	v_cmpx_lt_u32_e64 v27, v31
	s_cbranch_execz .LBB627_604
; %bb.595:                              ;   in Loop: Header=BB627_594 Depth=1
	v_lshlrev_b32_e32 v20, 3, v30
	s_mov_b32 s23, 0
	s_delay_alu instid0(VALU_DEP_1)
	v_lshl_add_u32 v32, v25, 3, v20
	s_branch .LBB627_598
.LBB627_596:                            ;   in Loop: Header=BB627_598 Depth=2
	s_or_b32 exec_lo, exec_lo, s25
.LBB627_597:                            ;   in Loop: Header=BB627_598 Depth=2
	s_delay_alu instid0(VALU_DEP_1) | instskip(NEXT) | instid1(VALU_DEP_1)
	v_dual_add_nc_u32 v20, 1, v33 :: v_dual_cndmask_b32 v31, v31, v33, s24
	v_cndmask_b32_e64 v27, v20, v27, s24
	s_delay_alu instid0(VALU_DEP_1) | instskip(SKIP_1) | instid1(SALU_CYCLE_1)
	v_cmp_ge_u32_e32 vcc_lo, v27, v31
	s_or_b32 s23, vcc_lo, s23
	s_and_not1_b32 exec_lo, exec_lo, s23
	s_cbranch_execz .LBB627_603
.LBB627_598:                            ;   Parent Loop BB627_594 Depth=1
                                        ; =>  This Loop Header: Depth=2
                                        ;       Child Loop BB627_601 Depth 3
	v_add_nc_u32_e32 v20, v31, v27
	v_cmp_ne_u32_e32 vcc_lo, 1, v45
	s_mov_b32 s24, 0
	s_delay_alu instid0(VALU_DEP_2)
	v_lshrrev_b32_e32 v33, 1, v20
	s_cbranch_vccnz .LBB627_597
; %bb.599:                              ;   in Loop: Header=BB627_598 Depth=2
	s_delay_alu instid0(VALU_DEP_1) | instskip(SKIP_3) | instid1(VALU_DEP_2)
	v_not_b32_e32 v20, v33
	v_lshl_add_u32 v21, v33, 3, v28
	s_mov_b32 s25, 0
	s_mov_b64 s[14:15], s[16:17]
                                        ; implicit-def: $sgpr24
                                        ; implicit-def: $sgpr26
                                        ; implicit-def: $sgpr27
                                        ; implicit-def: $sgpr28
	v_lshl_add_u32 v20, v20, 3, v32
	ds_load_b64 v[34:35], v20
	ds_load_b64 v[46:47], v21
	s_wait_dscnt 0x1
	v_mad_nc_u64_u32 v[20:21], s6, v34, s[18:19]
	s_wait_dscnt 0x0
	v_mad_nc_u64_u32 v[22:23], s6, v46, s[18:19]
	s_delay_alu instid0(VALU_DEP_2) | instskip(NEXT) | instid1(VALU_DEP_2)
	v_mad_u32 v21, s7, v34, v21
	v_mad_u32 v23, s7, v46, v23
	s_delay_alu instid0(VALU_DEP_2) | instskip(NEXT) | instid1(VALU_DEP_2)
	v_mad_u32 v21, s6, v35, v21
	v_mad_u32 v23, s6, v47, v23
	s_branch .LBB627_601
.LBB627_600:                            ;   in Loop: Header=BB627_601 Depth=3
	s_or_b32 exec_lo, exec_lo, s29
	s_delay_alu instid0(SALU_CYCLE_1) | instskip(NEXT) | instid1(SALU_CYCLE_1)
	s_and_b32 s29, exec_lo, s26
	s_or_b32 s25, s29, s25
	s_and_not1_b32 s28, s28, exec_lo
	s_and_b32 s0, s0, exec_lo
	s_and_not1_b32 s24, s24, exec_lo
	s_and_b32 s29, s27, exec_lo
	s_or_b32 s28, s28, s0
	s_or_b32 s24, s24, s29
	s_and_not1_b32 exec_lo, exec_lo, s25
	s_cbranch_execz .LBB627_596
.LBB627_601:                            ;   Parent Loop BB627_594 Depth=1
                                        ;     Parent Loop BB627_598 Depth=2
                                        ; =>    This Inner Loop Header: Depth=3
	global_load_u16 v34, v[20:21], off
	global_load_u16 v35, v[22:23], off
	s_and_not1_b32 s27, s27, exec_lo
	s_or_b32 s26, s26, exec_lo
	s_wait_loadcnt 0x0
	v_cmp_le_i16_e32 vcc_lo, v34, v35
	v_cmp_lt_i16_e64 s0, v34, v35
	s_and_b32 s29, vcc_lo, s28
	s_delay_alu instid0(SALU_CYCLE_1) | instskip(NEXT) | instid1(SALU_CYCLE_1)
	s_or_b32 s0, s0, s29
	s_and_b32 s29, s0, exec_lo
	s_delay_alu instid0(SALU_CYCLE_1)
	s_or_b32 s27, s27, s29
	s_mov_b32 s29, exec_lo
	v_cmpx_eq_u16_e64 v34, v35
	s_cbranch_execz .LBB627_600
; %bb.602:                              ;   in Loop: Header=BB627_601 Depth=3
	s_add_nc_u64 s[14:15], s[14:15], -1
	v_add_nc_u64_e32 v[20:21], 2, v[20:21]
	s_cmp_eq_u64 s[14:15], 0
	v_add_nc_u64_e32 v[22:23], 2, v[22:23]
	s_cselect_b32 s28, -1, 0
	s_and_not1_b32 s26, s26, exec_lo
	s_and_b32 s28, s28, exec_lo
	s_and_not1_b32 s27, s27, exec_lo
	s_or_b32 s26, s26, s28
                                        ; implicit-def: $sgpr28
	s_branch .LBB627_600
.LBB627_603:                            ;   in Loop: Header=BB627_594 Depth=1
	s_or_b32 exec_lo, exec_lo, s23
.LBB627_604:                            ;   in Loop: Header=BB627_594 Depth=1
	s_delay_alu instid0(SALU_CYCLE_1) | instskip(SKIP_1) | instid1(VALU_DEP_1)
	s_or_b32 exec_lo, exec_lo, s22
	v_dual_sub_nc_u32 v21, v30, v27 :: v_dual_add_nc_u32 v20, v27, v29
	v_add_nc_u32_e32 v21, v21, v25
	s_delay_alu instid0(VALU_DEP_2) | instskip(NEXT) | instid1(VALU_DEP_2)
	v_cmp_le_u32_e32 vcc_lo, v20, v25
	v_cmp_le_u32_e64 s0, v21, v26
	s_or_b32 s0, vcc_lo, s0
	s_delay_alu instid0(SALU_CYCLE_1)
	s_and_saveexec_b32 s22, s0
	s_cbranch_execz .LBB627_695
; %bb.605:                              ;   in Loop: Header=BB627_594 Depth=1
	s_mov_b32 s14, exec_lo
	v_cmp_ge_u32_e32 vcc_lo, v20, v25
                                        ; implicit-def: $vgpr2_vgpr3
	v_cmpx_lt_u32_e64 v20, v25
; %bb.606:                              ;   in Loop: Header=BB627_594 Depth=1
	v_lshl_add_u32 v2, v27, 3, v28
	ds_load_b64 v[2:3], v2
; %bb.607:                              ;   in Loop: Header=BB627_594 Depth=1
	s_or_b32 exec_lo, exec_lo, s14
	v_cmp_ge_u32_e64 s23, v21, v26
	s_mov_b32 s14, exec_lo
                                        ; implicit-def: $vgpr14_vgpr15
	v_cmpx_lt_u32_e64 v21, v26
; %bb.608:                              ;   in Loop: Header=BB627_594 Depth=1
	v_lshlrev_b32_e32 v4, 3, v21
	ds_load_b64 v[14:15], v4
; %bb.609:                              ;   in Loop: Header=BB627_594 Depth=1
	s_or_b32 exec_lo, exec_lo, s14
	s_nor_b32 s0, vcc_lo, s23
	s_delay_alu instid0(SALU_CYCLE_1)
	s_and_saveexec_b32 s24, s0
	s_cbranch_execz .LBB627_618
; %bb.610:                              ;   in Loop: Header=BB627_594 Depth=1
	v_cmp_ne_u32_e32 vcc_lo, 1, v45
	s_cbranch_vccnz .LBB627_616
; %bb.611:                              ;   in Loop: Header=BB627_594 Depth=1
	s_wait_dscnt 0x0
	v_mad_nc_u64_u32 v[4:5], s6, v14, s[18:19]
	v_mad_nc_u64_u32 v[6:7], s6, v2, s[18:19]
	s_mov_b32 s25, 0
	s_mov_b64 s[14:15], s[16:17]
                                        ; implicit-def: $sgpr26
                                        ; implicit-def: $sgpr27
                                        ; implicit-def: $sgpr28
                                        ; implicit-def: $sgpr29
	s_delay_alu instid0(VALU_DEP_2) | instskip(NEXT) | instid1(VALU_DEP_2)
	v_mad_u32 v5, s7, v14, v5
	v_mad_u32 v7, s7, v2, v7
	s_delay_alu instid0(VALU_DEP_2) | instskip(NEXT) | instid1(VALU_DEP_2)
	v_mad_u32 v5, s6, v15, v5
	v_mad_u32 v7, s6, v3, v7
	s_branch .LBB627_613
.LBB627_612:                            ;   in Loop: Header=BB627_613 Depth=2
	s_or_b32 exec_lo, exec_lo, s30
	s_delay_alu instid0(SALU_CYCLE_1) | instskip(NEXT) | instid1(SALU_CYCLE_1)
	s_and_b32 s30, exec_lo, s27
	s_or_b32 s25, s30, s25
	s_and_not1_b32 s29, s29, exec_lo
	s_and_b32 s0, s0, exec_lo
	s_and_not1_b32 s26, s26, exec_lo
	s_and_b32 s30, s28, exec_lo
	s_or_b32 s29, s29, s0
	s_or_b32 s26, s26, s30
	s_and_not1_b32 exec_lo, exec_lo, s25
	s_cbranch_execz .LBB627_615
.LBB627_613:                            ;   Parent Loop BB627_594 Depth=1
                                        ; =>  This Inner Loop Header: Depth=2
	global_load_u16 v8, v[4:5], off
	global_load_u16 v9, v[6:7], off
	s_and_not1_b32 s28, s28, exec_lo
	s_or_b32 s27, s27, exec_lo
	s_wait_loadcnt 0x0
	v_cmp_le_i16_e32 vcc_lo, v8, v9
	v_cmp_lt_i16_e64 s0, v8, v9
	s_and_b32 s30, vcc_lo, s29
	s_delay_alu instid0(SALU_CYCLE_1) | instskip(NEXT) | instid1(SALU_CYCLE_1)
	s_or_b32 s0, s0, s30
	s_and_b32 s30, s0, exec_lo
	s_delay_alu instid0(SALU_CYCLE_1)
	s_or_b32 s28, s28, s30
	s_mov_b32 s30, exec_lo
	v_cmpx_eq_u16_e64 v8, v9
	s_cbranch_execz .LBB627_612
; %bb.614:                              ;   in Loop: Header=BB627_613 Depth=2
	s_add_nc_u64 s[14:15], s[14:15], -1
	v_add_nc_u64_e32 v[4:5], 2, v[4:5]
	s_cmp_eq_u64 s[14:15], 0
	v_add_nc_u64_e32 v[6:7], 2, v[6:7]
	s_cselect_b32 s29, -1, 0
	s_and_not1_b32 s27, s27, exec_lo
	s_and_b32 s29, s29, exec_lo
	s_and_not1_b32 s28, s28, exec_lo
	s_or_b32 s27, s27, s29
                                        ; implicit-def: $sgpr29
	s_branch .LBB627_612
.LBB627_615:                            ;   in Loop: Header=BB627_594 Depth=1
	s_or_b32 exec_lo, exec_lo, s25
	s_xor_b32 s0, s26, -1
	s_branch .LBB627_617
.LBB627_616:                            ;   in Loop: Header=BB627_594 Depth=1
	s_mov_b32 s0, -1
.LBB627_617:                            ;   in Loop: Header=BB627_594 Depth=1
	s_and_not1_b32 s14, s23, exec_lo
	s_and_b32 s0, s0, exec_lo
	s_delay_alu instid0(SALU_CYCLE_1)
	s_or_b32 s23, s14, s0
.LBB627_618:                            ;   in Loop: Header=BB627_594 Depth=1
	s_or_b32 exec_lo, exec_lo, s24
	v_dual_cndmask_b32 v4, v21, v20, s23 :: v_dual_cndmask_b32 v5, v26, v25, s23
	s_mov_b32 s25, -1
	s_mov_b32 s24, -1
	s_mov_b32 s26, exec_lo
	s_delay_alu instid0(VALU_DEP_1) | instskip(NEXT) | instid1(VALU_DEP_1)
	v_add_nc_u32_e32 v6, 1, v4
	v_add_min_u32_e64 v4, v5, -1, v6
	s_delay_alu instid0(VALU_DEP_1)
	v_dual_lshlrev_b32 v4, 3, v4 :: v_dual_cndmask_b32 v8, v6, v21, s23
	v_cndmask_b32_e64 v9, v20, v6, s23
	ds_load_b64 v[4:5], v4
	s_wait_dscnt 0x0
	v_dual_cndmask_b32 v16, v5, v15, s23 :: v_dual_cndmask_b32 v20, v4, v14, s23
	v_dual_cndmask_b32 v17, v3, v5, s23 :: v_dual_cndmask_b32 v21, v2, v4, s23
	v_cmpx_lt_u32_e64 v8, v26
	s_cbranch_execz .LBB627_629
; %bb.619:                              ;   in Loop: Header=BB627_594 Depth=1
	s_mov_b32 s0, 0
	s_mov_b32 s24, exec_lo
	v_cmpx_lt_u32_e64 v9, v25
	s_cbranch_execz .LBB627_628
; %bb.620:                              ;   in Loop: Header=BB627_594 Depth=1
	v_cmp_ne_u32_e32 vcc_lo, 1, v45
	s_cbranch_vccnz .LBB627_626
; %bb.621:                              ;   in Loop: Header=BB627_594 Depth=1
	v_mad_nc_u64_u32 v[4:5], s6, v20, s[18:19]
	v_mad_nc_u64_u32 v[6:7], s6, v21, s[18:19]
	s_mov_b32 s27, 0
	s_mov_b64 s[14:15], s[16:17]
                                        ; implicit-def: $sgpr28
                                        ; implicit-def: $sgpr29
                                        ; implicit-def: $sgpr30
                                        ; implicit-def: $sgpr31
	s_delay_alu instid0(VALU_DEP_2) | instskip(NEXT) | instid1(VALU_DEP_2)
	v_mad_u32 v5, s7, v20, v5
	v_mad_u32 v7, s7, v21, v7
	s_delay_alu instid0(VALU_DEP_2) | instskip(NEXT) | instid1(VALU_DEP_2)
	v_mad_u32 v5, s6, v16, v5
	v_mad_u32 v7, s6, v17, v7
	s_branch .LBB627_623
.LBB627_622:                            ;   in Loop: Header=BB627_623 Depth=2
	s_or_b32 exec_lo, exec_lo, s33
	s_delay_alu instid0(SALU_CYCLE_1) | instskip(NEXT) | instid1(SALU_CYCLE_1)
	s_and_b32 s33, exec_lo, s29
	s_or_b32 s27, s33, s27
	s_and_not1_b32 s31, s31, exec_lo
	s_and_b32 s0, s0, exec_lo
	s_and_not1_b32 s28, s28, exec_lo
	s_and_b32 s33, s30, exec_lo
	s_or_b32 s31, s31, s0
	s_or_b32 s28, s28, s33
	s_and_not1_b32 exec_lo, exec_lo, s27
	s_cbranch_execz .LBB627_625
.LBB627_623:                            ;   Parent Loop BB627_594 Depth=1
                                        ; =>  This Inner Loop Header: Depth=2
	global_load_u16 v10, v[4:5], off
	global_load_u16 v11, v[6:7], off
	s_and_not1_b32 s30, s30, exec_lo
	s_or_b32 s29, s29, exec_lo
	s_wait_loadcnt 0x0
	v_cmp_le_i16_e32 vcc_lo, v10, v11
	v_cmp_lt_i16_e64 s0, v10, v11
	s_and_b32 s33, vcc_lo, s31
	s_delay_alu instid0(SALU_CYCLE_1) | instskip(NEXT) | instid1(SALU_CYCLE_1)
	s_or_b32 s0, s0, s33
	s_and_b32 s33, s0, exec_lo
	s_delay_alu instid0(SALU_CYCLE_1)
	s_or_b32 s30, s30, s33
	s_mov_b32 s33, exec_lo
	v_cmpx_eq_u16_e64 v10, v11
	s_cbranch_execz .LBB627_622
; %bb.624:                              ;   in Loop: Header=BB627_623 Depth=2
	s_add_nc_u64 s[14:15], s[14:15], -1
	v_add_nc_u64_e32 v[4:5], 2, v[4:5]
	s_cmp_eq_u64 s[14:15], 0
	v_add_nc_u64_e32 v[6:7], 2, v[6:7]
	s_cselect_b32 s31, -1, 0
	s_and_not1_b32 s29, s29, exec_lo
	s_and_b32 s31, s31, exec_lo
	s_and_not1_b32 s30, s30, exec_lo
	s_or_b32 s29, s29, s31
                                        ; implicit-def: $sgpr31
	s_branch .LBB627_622
.LBB627_625:                            ;   in Loop: Header=BB627_594 Depth=1
	s_or_b32 exec_lo, exec_lo, s27
	s_xor_b32 s0, s28, -1
	s_branch .LBB627_627
.LBB627_626:                            ;   in Loop: Header=BB627_594 Depth=1
	s_mov_b32 s0, -1
.LBB627_627:                            ;   in Loop: Header=BB627_594 Depth=1
	s_delay_alu instid0(SALU_CYCLE_1)
	s_and_b32 s0, s0, exec_lo
.LBB627_628:                            ;   in Loop: Header=BB627_594 Depth=1
	s_or_b32 exec_lo, exec_lo, s24
	s_delay_alu instid0(SALU_CYCLE_1)
	s_or_not1_b32 s24, s0, exec_lo
.LBB627_629:                            ;   in Loop: Header=BB627_594 Depth=1
	s_or_b32 exec_lo, exec_lo, s26
	v_cndmask_b32_e64 v4, v8, v9, s24
	v_cndmask_b32_e64 v5, v26, v25, s24
	s_mov_b32 s26, exec_lo
	s_delay_alu instid0(VALU_DEP_2) | instskip(NEXT) | instid1(VALU_DEP_1)
	v_add_nc_u32_e32 v6, 1, v4
	v_add_min_u32_e64 v4, v5, -1, v6
	v_dual_cndmask_b32 v8, v6, v8, s24 :: v_dual_cndmask_b32 v9, v9, v6, s24
	s_delay_alu instid0(VALU_DEP_2)
	v_lshlrev_b32_e32 v4, 3, v4
	ds_load_b64 v[4:5], v4
	s_wait_dscnt 0x0
	v_cndmask_b32_e64 v22, v5, v16, s24
	v_dual_cndmask_b32 v23, v4, v20, s24 :: v_dual_cndmask_b32 v27, v17, v5, s24
	v_cndmask_b32_e64 v28, v21, v4, s24
	v_cmpx_lt_u32_e64 v8, v26
	s_cbranch_execz .LBB627_640
; %bb.630:                              ;   in Loop: Header=BB627_594 Depth=1
	s_mov_b32 s0, 0
	s_mov_b32 s25, exec_lo
	v_cmpx_lt_u32_e64 v9, v25
	s_cbranch_execz .LBB627_639
; %bb.631:                              ;   in Loop: Header=BB627_594 Depth=1
	v_cmp_ne_u32_e32 vcc_lo, 1, v45
	s_cbranch_vccnz .LBB627_637
; %bb.632:                              ;   in Loop: Header=BB627_594 Depth=1
	v_mad_nc_u64_u32 v[4:5], s6, v23, s[18:19]
	v_mad_nc_u64_u32 v[6:7], s6, v28, s[18:19]
	s_mov_b32 s27, 0
	s_mov_b64 s[14:15], s[16:17]
                                        ; implicit-def: $sgpr28
                                        ; implicit-def: $sgpr29
                                        ; implicit-def: $sgpr30
                                        ; implicit-def: $sgpr31
	s_delay_alu instid0(VALU_DEP_2) | instskip(NEXT) | instid1(VALU_DEP_2)
	v_mad_u32 v5, s7, v23, v5
	v_mad_u32 v7, s7, v28, v7
	s_delay_alu instid0(VALU_DEP_2) | instskip(NEXT) | instid1(VALU_DEP_2)
	v_mad_u32 v5, s6, v22, v5
	v_mad_u32 v7, s6, v27, v7
	s_branch .LBB627_634
.LBB627_633:                            ;   in Loop: Header=BB627_634 Depth=2
	s_or_b32 exec_lo, exec_lo, s33
	s_delay_alu instid0(SALU_CYCLE_1) | instskip(NEXT) | instid1(SALU_CYCLE_1)
	s_and_b32 s33, exec_lo, s29
	s_or_b32 s27, s33, s27
	s_and_not1_b32 s31, s31, exec_lo
	s_and_b32 s0, s0, exec_lo
	s_and_not1_b32 s28, s28, exec_lo
	s_and_b32 s33, s30, exec_lo
	s_or_b32 s31, s31, s0
	s_or_b32 s28, s28, s33
	s_and_not1_b32 exec_lo, exec_lo, s27
	s_cbranch_execz .LBB627_636
.LBB627_634:                            ;   Parent Loop BB627_594 Depth=1
                                        ; =>  This Inner Loop Header: Depth=2
	global_load_u16 v10, v[4:5], off
	global_load_u16 v11, v[6:7], off
	s_and_not1_b32 s30, s30, exec_lo
	s_or_b32 s29, s29, exec_lo
	s_wait_loadcnt 0x0
	v_cmp_le_i16_e32 vcc_lo, v10, v11
	v_cmp_lt_i16_e64 s0, v10, v11
	s_and_b32 s33, vcc_lo, s31
	s_delay_alu instid0(SALU_CYCLE_1) | instskip(NEXT) | instid1(SALU_CYCLE_1)
	s_or_b32 s0, s0, s33
	s_and_b32 s33, s0, exec_lo
	s_delay_alu instid0(SALU_CYCLE_1)
	s_or_b32 s30, s30, s33
	s_mov_b32 s33, exec_lo
	v_cmpx_eq_u16_e64 v10, v11
	s_cbranch_execz .LBB627_633
; %bb.635:                              ;   in Loop: Header=BB627_634 Depth=2
	s_add_nc_u64 s[14:15], s[14:15], -1
	v_add_nc_u64_e32 v[4:5], 2, v[4:5]
	s_cmp_eq_u64 s[14:15], 0
	v_add_nc_u64_e32 v[6:7], 2, v[6:7]
	s_cselect_b32 s31, -1, 0
	s_and_not1_b32 s29, s29, exec_lo
	s_and_b32 s31, s31, exec_lo
	s_and_not1_b32 s30, s30, exec_lo
	s_or_b32 s29, s29, s31
                                        ; implicit-def: $sgpr31
	s_branch .LBB627_633
.LBB627_636:                            ;   in Loop: Header=BB627_594 Depth=1
	s_or_b32 exec_lo, exec_lo, s27
	s_xor_b32 s0, s28, -1
	s_branch .LBB627_638
.LBB627_637:                            ;   in Loop: Header=BB627_594 Depth=1
	s_mov_b32 s0, -1
.LBB627_638:                            ;   in Loop: Header=BB627_594 Depth=1
	s_delay_alu instid0(SALU_CYCLE_1)
	s_and_b32 s0, s0, exec_lo
.LBB627_639:                            ;   in Loop: Header=BB627_594 Depth=1
	s_or_b32 exec_lo, exec_lo, s25
	s_delay_alu instid0(SALU_CYCLE_1)
	s_or_not1_b32 s25, s0, exec_lo
.LBB627_640:                            ;   in Loop: Header=BB627_594 Depth=1
	s_or_b32 exec_lo, exec_lo, s26
	v_cndmask_b32_e64 v4, v8, v9, s25
	v_cndmask_b32_e64 v5, v26, v25, s25
	s_mov_b32 s27, -1
	s_mov_b32 s26, -1
	s_mov_b32 s28, exec_lo
	v_add_nc_u32_e32 v6, 1, v4
	s_delay_alu instid0(VALU_DEP_1) | instskip(SKIP_1) | instid1(VALU_DEP_2)
	v_add_min_u32_e64 v4, v5, -1, v6
	v_dual_cndmask_b32 v8, v6, v8, s25 :: v_dual_cndmask_b32 v9, v9, v6, s25
	v_lshlrev_b32_e32 v4, 3, v4
	ds_load_b64 v[4:5], v4
	s_wait_dscnt 0x0
	v_dual_cndmask_b32 v12, v5, v22, s25 :: v_dual_cndmask_b32 v29, v4, v23, s25
	v_dual_cndmask_b32 v13, v27, v5, s25 :: v_dual_cndmask_b32 v30, v28, v4, s25
	v_cmpx_lt_u32_e64 v8, v26
	s_cbranch_execz .LBB627_651
; %bb.641:                              ;   in Loop: Header=BB627_594 Depth=1
	s_mov_b32 s0, 0
	s_mov_b32 s26, exec_lo
	v_cmpx_lt_u32_e64 v9, v25
	s_cbranch_execz .LBB627_650
; %bb.642:                              ;   in Loop: Header=BB627_594 Depth=1
	v_cmp_ne_u32_e32 vcc_lo, 1, v45
	s_cbranch_vccnz .LBB627_648
; %bb.643:                              ;   in Loop: Header=BB627_594 Depth=1
	v_mad_nc_u64_u32 v[4:5], s6, v29, s[18:19]
	v_mad_nc_u64_u32 v[6:7], s6, v30, s[18:19]
	s_mov_b32 s29, 0
	s_mov_b64 s[14:15], s[16:17]
                                        ; implicit-def: $sgpr30
                                        ; implicit-def: $sgpr31
                                        ; implicit-def: $sgpr33
                                        ; implicit-def: $sgpr34
	s_delay_alu instid0(VALU_DEP_2) | instskip(NEXT) | instid1(VALU_DEP_2)
	v_mad_u32 v5, s7, v29, v5
	v_mad_u32 v7, s7, v30, v7
	s_delay_alu instid0(VALU_DEP_2) | instskip(NEXT) | instid1(VALU_DEP_2)
	v_mad_u32 v5, s6, v12, v5
	v_mad_u32 v7, s6, v13, v7
	s_branch .LBB627_645
.LBB627_644:                            ;   in Loop: Header=BB627_645 Depth=2
	s_or_b32 exec_lo, exec_lo, s35
	s_delay_alu instid0(SALU_CYCLE_1) | instskip(NEXT) | instid1(SALU_CYCLE_1)
	s_and_b32 s35, exec_lo, s31
	s_or_b32 s29, s35, s29
	s_and_not1_b32 s34, s34, exec_lo
	s_and_b32 s0, s0, exec_lo
	s_and_not1_b32 s30, s30, exec_lo
	s_and_b32 s35, s33, exec_lo
	s_or_b32 s34, s34, s0
	s_or_b32 s30, s30, s35
	s_and_not1_b32 exec_lo, exec_lo, s29
	s_cbranch_execz .LBB627_647
.LBB627_645:                            ;   Parent Loop BB627_594 Depth=1
                                        ; =>  This Inner Loop Header: Depth=2
	global_load_u16 v10, v[4:5], off
	global_load_u16 v11, v[6:7], off
	s_and_not1_b32 s33, s33, exec_lo
	s_or_b32 s31, s31, exec_lo
	s_wait_loadcnt 0x0
	v_cmp_le_i16_e32 vcc_lo, v10, v11
	v_cmp_lt_i16_e64 s0, v10, v11
	s_and_b32 s35, vcc_lo, s34
	s_delay_alu instid0(SALU_CYCLE_1) | instskip(NEXT) | instid1(SALU_CYCLE_1)
	s_or_b32 s0, s0, s35
	s_and_b32 s35, s0, exec_lo
	s_delay_alu instid0(SALU_CYCLE_1)
	s_or_b32 s33, s33, s35
	s_mov_b32 s35, exec_lo
	v_cmpx_eq_u16_e64 v10, v11
	s_cbranch_execz .LBB627_644
; %bb.646:                              ;   in Loop: Header=BB627_645 Depth=2
	s_add_nc_u64 s[14:15], s[14:15], -1
	v_add_nc_u64_e32 v[4:5], 2, v[4:5]
	s_cmp_eq_u64 s[14:15], 0
	v_add_nc_u64_e32 v[6:7], 2, v[6:7]
	s_cselect_b32 s34, -1, 0
	s_and_not1_b32 s31, s31, exec_lo
	s_and_b32 s34, s34, exec_lo
	s_and_not1_b32 s33, s33, exec_lo
	s_or_b32 s31, s31, s34
                                        ; implicit-def: $sgpr34
	s_branch .LBB627_644
.LBB627_647:                            ;   in Loop: Header=BB627_594 Depth=1
	s_or_b32 exec_lo, exec_lo, s29
	s_xor_b32 s0, s30, -1
	s_branch .LBB627_649
.LBB627_648:                            ;   in Loop: Header=BB627_594 Depth=1
	s_mov_b32 s0, -1
.LBB627_649:                            ;   in Loop: Header=BB627_594 Depth=1
	s_delay_alu instid0(SALU_CYCLE_1)
	s_and_b32 s0, s0, exec_lo
.LBB627_650:                            ;   in Loop: Header=BB627_594 Depth=1
	s_or_b32 exec_lo, exec_lo, s26
	s_delay_alu instid0(SALU_CYCLE_1)
	s_or_not1_b32 s26, s0, exec_lo
.LBB627_651:                            ;   in Loop: Header=BB627_594 Depth=1
	s_or_b32 exec_lo, exec_lo, s28
	v_cndmask_b32_e64 v4, v8, v9, s26
	v_cndmask_b32_e64 v5, v26, v25, s26
	s_mov_b32 s28, exec_lo
	s_delay_alu instid0(VALU_DEP_2) | instskip(NEXT) | instid1(VALU_DEP_1)
	v_add_nc_u32_e32 v6, 1, v4
	v_add_min_u32_e64 v4, v5, -1, v6
	v_dual_cndmask_b32 v8, v6, v8, s26 :: v_dual_cndmask_b32 v9, v9, v6, s26
	s_delay_alu instid0(VALU_DEP_2)
	v_lshlrev_b32_e32 v4, 3, v4
	ds_load_b64 v[4:5], v4
	s_wait_dscnt 0x0
	v_dual_cndmask_b32 v31, v5, v12, s26 :: v_dual_cndmask_b32 v32, v4, v29, s26
	v_dual_cndmask_b32 v33, v13, v5, s26 :: v_dual_cndmask_b32 v34, v30, v4, s26
	v_cmpx_lt_u32_e64 v8, v26
	s_cbranch_execz .LBB627_662
; %bb.652:                              ;   in Loop: Header=BB627_594 Depth=1
	s_mov_b32 s0, 0
	s_mov_b32 s27, exec_lo
	v_cmpx_lt_u32_e64 v9, v25
	s_cbranch_execz .LBB627_661
; %bb.653:                              ;   in Loop: Header=BB627_594 Depth=1
	v_cmp_ne_u32_e32 vcc_lo, 1, v45
	s_cbranch_vccnz .LBB627_659
; %bb.654:                              ;   in Loop: Header=BB627_594 Depth=1
	v_mad_nc_u64_u32 v[4:5], s6, v32, s[18:19]
	v_mad_nc_u64_u32 v[6:7], s6, v34, s[18:19]
	s_mov_b32 s29, 0
	s_mov_b64 s[14:15], s[16:17]
                                        ; implicit-def: $sgpr30
                                        ; implicit-def: $sgpr31
                                        ; implicit-def: $sgpr33
                                        ; implicit-def: $sgpr34
	s_delay_alu instid0(VALU_DEP_2) | instskip(NEXT) | instid1(VALU_DEP_2)
	v_mad_u32 v5, s7, v32, v5
	v_mad_u32 v7, s7, v34, v7
	s_delay_alu instid0(VALU_DEP_2) | instskip(NEXT) | instid1(VALU_DEP_2)
	v_mad_u32 v5, s6, v31, v5
	v_mad_u32 v7, s6, v33, v7
	s_branch .LBB627_656
.LBB627_655:                            ;   in Loop: Header=BB627_656 Depth=2
	s_or_b32 exec_lo, exec_lo, s35
	s_delay_alu instid0(SALU_CYCLE_1) | instskip(NEXT) | instid1(SALU_CYCLE_1)
	s_and_b32 s35, exec_lo, s31
	s_or_b32 s29, s35, s29
	s_and_not1_b32 s34, s34, exec_lo
	s_and_b32 s0, s0, exec_lo
	s_and_not1_b32 s30, s30, exec_lo
	s_and_b32 s35, s33, exec_lo
	s_or_b32 s34, s34, s0
	s_or_b32 s30, s30, s35
	s_and_not1_b32 exec_lo, exec_lo, s29
	s_cbranch_execz .LBB627_658
.LBB627_656:                            ;   Parent Loop BB627_594 Depth=1
                                        ; =>  This Inner Loop Header: Depth=2
	global_load_u16 v10, v[4:5], off
	global_load_u16 v11, v[6:7], off
	s_and_not1_b32 s33, s33, exec_lo
	s_or_b32 s31, s31, exec_lo
	s_wait_loadcnt 0x0
	v_cmp_le_i16_e32 vcc_lo, v10, v11
	v_cmp_lt_i16_e64 s0, v10, v11
	s_and_b32 s35, vcc_lo, s34
	s_delay_alu instid0(SALU_CYCLE_1) | instskip(NEXT) | instid1(SALU_CYCLE_1)
	s_or_b32 s0, s0, s35
	s_and_b32 s35, s0, exec_lo
	s_delay_alu instid0(SALU_CYCLE_1)
	s_or_b32 s33, s33, s35
	s_mov_b32 s35, exec_lo
	v_cmpx_eq_u16_e64 v10, v11
	s_cbranch_execz .LBB627_655
; %bb.657:                              ;   in Loop: Header=BB627_656 Depth=2
	s_add_nc_u64 s[14:15], s[14:15], -1
	v_add_nc_u64_e32 v[4:5], 2, v[4:5]
	s_cmp_eq_u64 s[14:15], 0
	v_add_nc_u64_e32 v[6:7], 2, v[6:7]
	s_cselect_b32 s34, -1, 0
	s_and_not1_b32 s31, s31, exec_lo
	s_and_b32 s34, s34, exec_lo
	s_and_not1_b32 s33, s33, exec_lo
	s_or_b32 s31, s31, s34
                                        ; implicit-def: $sgpr34
	s_branch .LBB627_655
.LBB627_658:                            ;   in Loop: Header=BB627_594 Depth=1
	s_or_b32 exec_lo, exec_lo, s29
	s_xor_b32 s0, s30, -1
	s_branch .LBB627_660
.LBB627_659:                            ;   in Loop: Header=BB627_594 Depth=1
	s_mov_b32 s0, -1
.LBB627_660:                            ;   in Loop: Header=BB627_594 Depth=1
	s_delay_alu instid0(SALU_CYCLE_1)
	s_and_b32 s0, s0, exec_lo
.LBB627_661:                            ;   in Loop: Header=BB627_594 Depth=1
	s_or_b32 exec_lo, exec_lo, s27
	s_delay_alu instid0(SALU_CYCLE_1)
	s_or_not1_b32 s27, s0, exec_lo
.LBB627_662:                            ;   in Loop: Header=BB627_594 Depth=1
	s_or_b32 exec_lo, exec_lo, s28
	v_cndmask_b32_e64 v4, v8, v9, s27
	v_cndmask_b32_e64 v5, v26, v25, s27
	s_mov_b32 s28, -1
	s_mov_b32 s29, -1
	s_mov_b32 s30, exec_lo
	v_add_nc_u32_e32 v6, 1, v4
	s_delay_alu instid0(VALU_DEP_1) | instskip(SKIP_1) | instid1(VALU_DEP_2)
	v_add_min_u32_e64 v4, v5, -1, v6
	v_dual_cndmask_b32 v8, v6, v8, s27 :: v_dual_cndmask_b32 v9, v9, v6, s27
	v_lshlrev_b32_e32 v4, 3, v4
	ds_load_b64 v[4:5], v4
	s_wait_dscnt 0x0
	v_dual_cndmask_b32 v35, v5, v31, s27 :: v_dual_cndmask_b32 v46, v4, v32, s27
	v_dual_cndmask_b32 v47, v33, v5, s27 :: v_dual_cndmask_b32 v48, v34, v4, s27
	v_cmpx_lt_u32_e64 v8, v26
	s_cbranch_execz .LBB627_673
; %bb.663:                              ;   in Loop: Header=BB627_594 Depth=1
	s_mov_b32 s0, 0
	s_mov_b32 s29, exec_lo
	v_cmpx_lt_u32_e64 v9, v25
	s_cbranch_execz .LBB627_672
; %bb.664:                              ;   in Loop: Header=BB627_594 Depth=1
	v_cmp_ne_u32_e32 vcc_lo, 1, v45
	s_cbranch_vccnz .LBB627_670
; %bb.665:                              ;   in Loop: Header=BB627_594 Depth=1
	v_mad_nc_u64_u32 v[4:5], s6, v46, s[18:19]
	v_mad_nc_u64_u32 v[6:7], s6, v48, s[18:19]
	s_mov_b32 s31, 0
	s_mov_b64 s[14:15], s[16:17]
                                        ; implicit-def: $sgpr33
                                        ; implicit-def: $sgpr34
                                        ; implicit-def: $sgpr35
                                        ; implicit-def: $sgpr36
	s_delay_alu instid0(VALU_DEP_2) | instskip(NEXT) | instid1(VALU_DEP_2)
	v_mad_u32 v5, s7, v46, v5
	v_mad_u32 v7, s7, v48, v7
	s_delay_alu instid0(VALU_DEP_2) | instskip(NEXT) | instid1(VALU_DEP_2)
	v_mad_u32 v5, s6, v35, v5
	v_mad_u32 v7, s6, v47, v7
	s_branch .LBB627_667
.LBB627_666:                            ;   in Loop: Header=BB627_667 Depth=2
	s_or_b32 exec_lo, exec_lo, s37
	s_delay_alu instid0(SALU_CYCLE_1) | instskip(NEXT) | instid1(SALU_CYCLE_1)
	s_and_b32 s37, exec_lo, s34
	s_or_b32 s31, s37, s31
	s_and_not1_b32 s36, s36, exec_lo
	s_and_b32 s0, s0, exec_lo
	s_and_not1_b32 s33, s33, exec_lo
	s_and_b32 s37, s35, exec_lo
	s_or_b32 s36, s36, s0
	s_or_b32 s33, s33, s37
	s_and_not1_b32 exec_lo, exec_lo, s31
	s_cbranch_execz .LBB627_669
.LBB627_667:                            ;   Parent Loop BB627_594 Depth=1
                                        ; =>  This Inner Loop Header: Depth=2
	global_load_u16 v10, v[4:5], off
	global_load_u16 v11, v[6:7], off
	s_and_not1_b32 s35, s35, exec_lo
	s_or_b32 s34, s34, exec_lo
	s_wait_loadcnt 0x0
	v_cmp_le_i16_e32 vcc_lo, v10, v11
	v_cmp_lt_i16_e64 s0, v10, v11
	s_and_b32 s37, vcc_lo, s36
	s_delay_alu instid0(SALU_CYCLE_1) | instskip(NEXT) | instid1(SALU_CYCLE_1)
	s_or_b32 s0, s0, s37
	s_and_b32 s37, s0, exec_lo
	s_delay_alu instid0(SALU_CYCLE_1)
	s_or_b32 s35, s35, s37
	s_mov_b32 s37, exec_lo
	v_cmpx_eq_u16_e64 v10, v11
	s_cbranch_execz .LBB627_666
; %bb.668:                              ;   in Loop: Header=BB627_667 Depth=2
	s_add_nc_u64 s[14:15], s[14:15], -1
	v_add_nc_u64_e32 v[4:5], 2, v[4:5]
	s_cmp_eq_u64 s[14:15], 0
	v_add_nc_u64_e32 v[6:7], 2, v[6:7]
	s_cselect_b32 s36, -1, 0
	s_and_not1_b32 s34, s34, exec_lo
	s_and_b32 s36, s36, exec_lo
	s_and_not1_b32 s35, s35, exec_lo
	s_or_b32 s34, s34, s36
                                        ; implicit-def: $sgpr36
	s_branch .LBB627_666
.LBB627_669:                            ;   in Loop: Header=BB627_594 Depth=1
	s_or_b32 exec_lo, exec_lo, s31
	s_xor_b32 s0, s33, -1
	s_branch .LBB627_671
.LBB627_670:                            ;   in Loop: Header=BB627_594 Depth=1
	s_mov_b32 s0, -1
.LBB627_671:                            ;   in Loop: Header=BB627_594 Depth=1
	s_delay_alu instid0(SALU_CYCLE_1)
	s_and_b32 s0, s0, exec_lo
.LBB627_672:                            ;   in Loop: Header=BB627_594 Depth=1
	s_or_b32 exec_lo, exec_lo, s29
	s_delay_alu instid0(SALU_CYCLE_1)
	s_or_not1_b32 s29, s0, exec_lo
.LBB627_673:                            ;   in Loop: Header=BB627_594 Depth=1
	s_or_b32 exec_lo, exec_lo, s30
	v_cndmask_b32_e64 v4, v8, v9, s29
	v_cndmask_b32_e64 v5, v26, v25, s29
	s_mov_b32 s30, exec_lo
	s_delay_alu instid0(VALU_DEP_2) | instskip(NEXT) | instid1(VALU_DEP_1)
	v_add_nc_u32_e32 v6, 1, v4
	v_add_min_u32_e64 v4, v5, -1, v6
	v_dual_cndmask_b32 v10, v6, v8, s29 :: v_dual_cndmask_b32 v8, v9, v6, s29
	s_delay_alu instid0(VALU_DEP_2)
	v_lshlrev_b32_e32 v4, 3, v4
	ds_load_b64 v[4:5], v4
	s_wait_dscnt 0x0
	v_dual_cndmask_b32 v49, v5, v35, s29 :: v_dual_cndmask_b32 v50, v4, v46, s29
	v_dual_cndmask_b32 v51, v47, v5, s29 :: v_dual_cndmask_b32 v52, v48, v4, s29
	v_cmpx_lt_u32_e64 v10, v26
	s_cbranch_execz .LBB627_684
; %bb.674:                              ;   in Loop: Header=BB627_594 Depth=1
	s_mov_b32 s0, 0
	s_mov_b32 s28, exec_lo
	v_cmpx_lt_u32_e64 v8, v25
	s_cbranch_execz .LBB627_683
; %bb.675:                              ;   in Loop: Header=BB627_594 Depth=1
	v_cmp_ne_u32_e32 vcc_lo, 1, v45
	s_cbranch_vccnz .LBB627_681
; %bb.676:                              ;   in Loop: Header=BB627_594 Depth=1
	v_mad_nc_u64_u32 v[4:5], s6, v50, s[18:19]
	v_mad_nc_u64_u32 v[6:7], s6, v52, s[18:19]
	s_mov_b32 s31, 0
	s_mov_b64 s[14:15], s[16:17]
                                        ; implicit-def: $sgpr33
                                        ; implicit-def: $sgpr34
                                        ; implicit-def: $sgpr35
                                        ; implicit-def: $sgpr36
	s_delay_alu instid0(VALU_DEP_2) | instskip(NEXT) | instid1(VALU_DEP_2)
	v_mad_u32 v5, s7, v50, v5
	v_mad_u32 v7, s7, v52, v7
	s_delay_alu instid0(VALU_DEP_2) | instskip(NEXT) | instid1(VALU_DEP_2)
	v_mad_u32 v5, s6, v49, v5
	v_mad_u32 v7, s6, v51, v7
	s_branch .LBB627_678
.LBB627_677:                            ;   in Loop: Header=BB627_678 Depth=2
	s_or_b32 exec_lo, exec_lo, s37
	s_delay_alu instid0(SALU_CYCLE_1) | instskip(NEXT) | instid1(SALU_CYCLE_1)
	s_and_b32 s37, exec_lo, s34
	s_or_b32 s31, s37, s31
	s_and_not1_b32 s36, s36, exec_lo
	s_and_b32 s0, s0, exec_lo
	s_and_not1_b32 s33, s33, exec_lo
	s_and_b32 s37, s35, exec_lo
	s_or_b32 s36, s36, s0
	s_or_b32 s33, s33, s37
	s_and_not1_b32 exec_lo, exec_lo, s31
	s_cbranch_execz .LBB627_680
.LBB627_678:                            ;   Parent Loop BB627_594 Depth=1
                                        ; =>  This Inner Loop Header: Depth=2
	global_load_u16 v9, v[4:5], off
	global_load_u16 v11, v[6:7], off
	s_and_not1_b32 s35, s35, exec_lo
	s_or_b32 s34, s34, exec_lo
	s_wait_loadcnt 0x0
	v_cmp_le_i16_e32 vcc_lo, v9, v11
	v_cmp_lt_i16_e64 s0, v9, v11
	s_and_b32 s37, vcc_lo, s36
	s_delay_alu instid0(SALU_CYCLE_1) | instskip(NEXT) | instid1(SALU_CYCLE_1)
	s_or_b32 s0, s0, s37
	s_and_b32 s37, s0, exec_lo
	s_delay_alu instid0(SALU_CYCLE_1)
	s_or_b32 s35, s35, s37
	s_mov_b32 s37, exec_lo
	v_cmpx_eq_u16_e64 v9, v11
	s_cbranch_execz .LBB627_677
; %bb.679:                              ;   in Loop: Header=BB627_678 Depth=2
	s_add_nc_u64 s[14:15], s[14:15], -1
	v_add_nc_u64_e32 v[4:5], 2, v[4:5]
	s_cmp_eq_u64 s[14:15], 0
	v_add_nc_u64_e32 v[6:7], 2, v[6:7]
	s_cselect_b32 s36, -1, 0
	s_and_not1_b32 s34, s34, exec_lo
	s_and_b32 s36, s36, exec_lo
	s_and_not1_b32 s35, s35, exec_lo
	s_or_b32 s34, s34, s36
                                        ; implicit-def: $sgpr36
	s_branch .LBB627_677
.LBB627_680:                            ;   in Loop: Header=BB627_594 Depth=1
	s_or_b32 exec_lo, exec_lo, s31
	s_xor_b32 s0, s33, -1
	s_branch .LBB627_682
.LBB627_681:                            ;   in Loop: Header=BB627_594 Depth=1
	s_mov_b32 s0, -1
.LBB627_682:                            ;   in Loop: Header=BB627_594 Depth=1
	s_delay_alu instid0(SALU_CYCLE_1)
	s_and_b32 s0, s0, exec_lo
.LBB627_683:                            ;   in Loop: Header=BB627_594 Depth=1
	s_or_b32 exec_lo, exec_lo, s28
	s_delay_alu instid0(SALU_CYCLE_1)
	s_or_not1_b32 s28, s0, exec_lo
.LBB627_684:                            ;   in Loop: Header=BB627_594 Depth=1
	s_or_b32 exec_lo, exec_lo, s30
	v_cndmask_b32_e64 v4, v10, v8, s28
	v_cndmask_b32_e64 v5, v26, v25, s28
	s_mov_b32 s30, exec_lo
	s_delay_alu instid0(VALU_DEP_2) | instskip(NEXT) | instid1(VALU_DEP_1)
	v_add_nc_u32_e32 v9, 1, v4
	v_add_min_u32_e64 v4, v5, -1, v9
	s_delay_alu instid0(VALU_DEP_1)
	v_dual_cndmask_b32 v10, v9, v10, s28 :: v_dual_lshlrev_b32 v4, 3, v4
	ds_load_b64 v[6:7], v4
	s_wait_dscnt 0x0
	v_dual_cndmask_b32 v5, v51, v7, s28 :: v_dual_cndmask_b32 v4, v52, v6, s28
	v_cmpx_lt_u32_e64 v10, v26
	s_cbranch_execz .LBB627_694
; %bb.685:                              ;   in Loop: Header=BB627_594 Depth=1
	v_dual_cndmask_b32 v8, v8, v9, s28 :: v_dual_cndmask_b32 v6, v6, v50, s28
	v_cndmask_b32_e64 v7, v7, v49, s28
	s_mov_b32 s31, exec_lo
	s_delay_alu instid0(VALU_DEP_2)
	v_cmpx_lt_u32_e64 v8, v25
	s_cbranch_execz .LBB627_693
; %bb.686:                              ;   in Loop: Header=BB627_594 Depth=1
	v_cmp_ne_u32_e32 vcc_lo, 1, v45
	s_cbranch_vccnz .LBB627_692
; %bb.687:                              ;   in Loop: Header=BB627_594 Depth=1
	v_mad_nc_u64_u32 v[8:9], s6, v6, s[18:19]
	v_mad_nc_u64_u32 v[10:11], s6, v4, s[18:19]
	s_mov_b32 s33, 0
	s_mov_b64 s[14:15], s[16:17]
                                        ; implicit-def: $sgpr34
                                        ; implicit-def: $sgpr35
                                        ; implicit-def: $sgpr36
                                        ; implicit-def: $sgpr37
	s_delay_alu instid0(VALU_DEP_2) | instskip(NEXT) | instid1(VALU_DEP_2)
	v_mad_u32 v9, s7, v6, v9
	v_mad_u32 v11, s7, v4, v11
	s_delay_alu instid0(VALU_DEP_2) | instskip(NEXT) | instid1(VALU_DEP_2)
	v_mad_u32 v9, s6, v7, v9
	v_mad_u32 v11, s6, v5, v11
	s_branch .LBB627_689
.LBB627_688:                            ;   in Loop: Header=BB627_689 Depth=2
	s_or_b32 exec_lo, exec_lo, s38
	s_delay_alu instid0(SALU_CYCLE_1) | instskip(NEXT) | instid1(SALU_CYCLE_1)
	s_and_b32 s38, exec_lo, s35
	s_or_b32 s33, s38, s33
	s_and_not1_b32 s37, s37, exec_lo
	s_and_b32 s0, s0, exec_lo
	s_and_not1_b32 s34, s34, exec_lo
	s_and_b32 s38, s36, exec_lo
	s_or_b32 s37, s37, s0
	s_or_b32 s34, s34, s38
	s_and_not1_b32 exec_lo, exec_lo, s33
	s_cbranch_execz .LBB627_691
.LBB627_689:                            ;   Parent Loop BB627_594 Depth=1
                                        ; =>  This Inner Loop Header: Depth=2
	global_load_u16 v25, v[8:9], off
	global_load_u16 v26, v[10:11], off
	s_and_not1_b32 s36, s36, exec_lo
	s_or_b32 s35, s35, exec_lo
	s_wait_loadcnt 0x0
	v_cmp_le_i16_e32 vcc_lo, v25, v26
	v_cmp_lt_i16_e64 s0, v25, v26
	s_and_b32 s38, vcc_lo, s37
	s_delay_alu instid0(SALU_CYCLE_1) | instskip(NEXT) | instid1(SALU_CYCLE_1)
	s_or_b32 s0, s0, s38
	s_and_b32 s38, s0, exec_lo
	s_delay_alu instid0(SALU_CYCLE_1)
	s_or_b32 s36, s36, s38
	s_mov_b32 s38, exec_lo
	v_cmpx_eq_u16_e64 v25, v26
	s_cbranch_execz .LBB627_688
; %bb.690:                              ;   in Loop: Header=BB627_689 Depth=2
	s_add_nc_u64 s[14:15], s[14:15], -1
	v_add_nc_u64_e32 v[8:9], 2, v[8:9]
	s_cmp_eq_u64 s[14:15], 0
	v_add_nc_u64_e32 v[10:11], 2, v[10:11]
	s_cselect_b32 s37, -1, 0
	s_and_not1_b32 s35, s35, exec_lo
	s_and_b32 s37, s37, exec_lo
	s_and_not1_b32 s36, s36, exec_lo
	s_or_b32 s35, s35, s37
                                        ; implicit-def: $sgpr37
	s_branch .LBB627_688
.LBB627_691:                            ;   in Loop: Header=BB627_594 Depth=1
	s_or_b32 exec_lo, exec_lo, s33
	v_dual_cndmask_b32 v5, v5, v7, s34 :: v_dual_cndmask_b32 v4, v4, v6, s34
.LBB627_692:                            ;   in Loop: Header=BB627_594 Depth=1
	s_delay_alu instid0(VALU_DEP_1)
	v_mov_b64_e32 v[6:7], v[4:5]
.LBB627_693:                            ;   in Loop: Header=BB627_594 Depth=1
	s_or_b32 exec_lo, exec_lo, s31
	s_delay_alu instid0(VALU_DEP_1)
	v_mov_b64_e32 v[4:5], v[6:7]
.LBB627_694:                            ;   in Loop: Header=BB627_594 Depth=1
	s_or_b32 exec_lo, exec_lo, s30
	v_dual_cndmask_b32 v9, v35, v47, s29 :: v_dual_cndmask_b32 v8, v46, v48, s29
	v_dual_cndmask_b32 v7, v31, v33, s27 :: v_dual_cndmask_b32 v6, v32, v34, s27
	;; [unrolled: 1-line block ×7, first 2 shown]
.LBB627_695:                            ;   in Loop: Header=BB627_594 Depth=1
	s_or_b32 exec_lo, exec_lo, s22
	s_cmp_lt_u32 s1, 0x400
	s_barrier_signal -1
	s_barrier_wait -1
	s_cbranch_scc0 .LBB627_697
; %bb.696:                              ;   in Loop: Header=BB627_594 Depth=1
	s_mov_b32 s1, s5
	s_branch .LBB627_594
.LBB627_697:
	s_barrier_signal -1
	s_barrier_wait -1
	ds_store_2addr_b64 v44, v[14:15], v[16:17] offset1:1
	ds_store_2addr_b64 v44, v[10:11], v[12:13] offset0:2 offset1:3
	ds_store_2addr_b64 v44, v[6:7], v[8:9] offset0:4 offset1:5
	;; [unrolled: 1-line block ×3, first 2 shown]
	s_wait_dscnt 0x0
	s_barrier_signal -1
	s_barrier_wait -1
	ds_load_b64 v[4:5], v36
	ds_load_b64 v[6:7], v37 offset:2048
	ds_load_b64 v[8:9], v38 offset:4096
	;; [unrolled: 1-line block ×7, first 2 shown]
	s_mov_b32 s24, -1
	s_wait_dscnt 0x7
	global_store_b64 v18, v[4:5], s[20:21] scale_offset
	s_wait_dscnt 0x6
	global_store_b64 v18, v[6:7], s[20:21] offset:2048 scale_offset
	s_wait_dscnt 0x5
	global_store_b64 v18, v[8:9], s[20:21] offset:4096 scale_offset
	;; [unrolled: 2-line block ×6, first 2 shown]
	s_branch .LBB627_1484
.LBB627_698:
	s_lshl_b64 s[0:1], s[2:3], 11
                                        ; implicit-def: $vgpr2_vgpr3
	s_delay_alu instid0(SALU_CYCLE_1) | instskip(NEXT) | instid1(SALU_CYCLE_1)
	s_sub_co_i32 s25, s4, s0
	v_cmp_gt_u32_e64 s0, s25, v18
	s_wait_xcnt 0x0
	s_and_saveexec_b32 s1, s0
	s_cbranch_execz .LBB627_700
; %bb.699:
	s_wait_dscnt 0x0
	global_load_b64 v[2:3], v18, s[12:13] scale_offset
.LBB627_700:
	s_wait_xcnt 0x0
	s_or_b32 exec_lo, exec_lo, s1
	v_add_nc_u32_e32 v1, 0x100, v18
                                        ; implicit-def: $vgpr4_vgpr5
	s_delay_alu instid0(VALU_DEP_1)
	v_cmp_gt_u32_e64 s1, s25, v1
	s_and_saveexec_b32 s2, s1
	s_cbranch_execz .LBB627_702
; %bb.701:
	global_load_b64 v[4:5], v18, s[12:13] offset:2048 scale_offset
.LBB627_702:
	s_wait_xcnt 0x0
	s_or_b32 exec_lo, exec_lo, s2
	v_add_nc_u32_e32 v19, 0x200, v18
                                        ; implicit-def: $vgpr6_vgpr7
	s_delay_alu instid0(VALU_DEP_1)
	v_cmp_gt_u32_e64 s2, s25, v19
	s_and_saveexec_b32 s3, s2
	s_cbranch_execz .LBB627_704
; %bb.703:
	global_load_b64 v[6:7], v18, s[12:13] offset:4096 scale_offset
.LBB627_704:
	s_wait_xcnt 0x0
	s_or_b32 exec_lo, exec_lo, s3
	v_add_nc_u32_e32 v20, 0x300, v18
                                        ; implicit-def: $vgpr10_vgpr11
	s_delay_alu instid0(VALU_DEP_1)
	v_cmp_gt_u32_e64 s3, s25, v20
	s_and_saveexec_b32 s4, s3
	s_cbranch_execz .LBB627_706
; %bb.705:
	global_load_b64 v[10:11], v18, s[12:13] offset:6144 scale_offset
.LBB627_706:
	s_wait_xcnt 0x0
	s_or_b32 exec_lo, exec_lo, s4
	v_or_b32_e32 v22, 0x400, v18
                                        ; implicit-def: $vgpr8_vgpr9
	s_delay_alu instid0(VALU_DEP_1)
	v_cmp_gt_u32_e64 s4, s25, v22
	s_and_saveexec_b32 s5, s4
	s_cbranch_execz .LBB627_708
; %bb.707:
	global_load_b64 v[8:9], v18, s[12:13] offset:8192 scale_offset
.LBB627_708:
	s_wait_xcnt 0x0
	s_or_b32 exec_lo, exec_lo, s5
	v_add_nc_u32_e32 v23, 0x500, v18
                                        ; implicit-def: $vgpr12_vgpr13
	s_delay_alu instid0(VALU_DEP_1)
	v_cmp_gt_u32_e64 s5, s25, v23
	s_and_saveexec_b32 s6, s5
	s_cbranch_execz .LBB627_710
; %bb.709:
	global_load_b64 v[12:13], v18, s[12:13] offset:10240 scale_offset
.LBB627_710:
	s_wait_xcnt 0x0
	s_or_b32 exec_lo, exec_lo, s6
	v_add_nc_u32_e32 v24, 0x600, v18
                                        ; implicit-def: $vgpr14_vgpr15
	s_delay_alu instid0(VALU_DEP_1)
	v_cmp_gt_u32_e64 s6, s25, v24
	s_and_saveexec_b32 s7, s6
	s_cbranch_execz .LBB627_712
; %bb.711:
	global_load_b64 v[14:15], v18, s[12:13] offset:12288 scale_offset
.LBB627_712:
	s_wait_xcnt 0x0
	s_or_b32 exec_lo, exec_lo, s7
	v_add_nc_u32_e32 v25, 0x700, v18
                                        ; implicit-def: $vgpr16_vgpr17
	s_delay_alu instid0(VALU_DEP_1)
	v_cmp_gt_u32_e64 s24, s25, v25
	s_and_saveexec_b32 s7, s24
	s_cbranch_execz .LBB627_714
; %bb.713:
	global_load_b64 v[16:17], v18, s[12:13] offset:14336 scale_offset
.LBB627_714:
	s_wait_xcnt 0x0
	s_or_b32 exec_lo, exec_lo, s7
	v_dual_lshrrev_b32 v21, 2, v18 :: v_dual_lshrrev_b32 v1, 2, v1
	v_dual_lshrrev_b32 v19, 2, v19 :: v_dual_lshrrev_b32 v26, 2, v20
	v_lshlrev_b32_e32 v20, 3, v18
	s_delay_alu instid0(VALU_DEP_3) | instskip(NEXT) | instid1(VALU_DEP_4)
	v_and_b32_e32 v21, 0xf8, v21
	v_and_b32_e32 v1, 0x1f8, v1
	s_delay_alu instid0(VALU_DEP_4)
	v_and_b32_e32 v27, 0x1f8, v19
	v_and_b32_e32 v26, 0x1f8, v26
	s_cmp_lt_u32 s9, s8
	v_add_nc_u32_e32 v19, v21, v20
	v_dual_add_nc_u32 v21, v1, v20 :: v_dual_lshrrev_b32 v1, 2, v22
	v_dual_lshrrev_b32 v22, 2, v23 :: v_dual_add_nc_u32 v36, v27, v20
	v_add_nc_u32_e32 v37, v26, v20
	v_dual_lshrrev_b32 v23, 2, v24 :: v_dual_lshrrev_b32 v24, 2, v25
	s_wait_loadcnt_dscnt 0x0
	ds_store_b64 v19, v[2:3]
	ds_store_b64 v21, v[4:5] offset:2048
	ds_store_b64 v36, v[6:7] offset:4096
	;; [unrolled: 1-line block ×3, first 2 shown]
	v_and_b32_e32 v1, 0x1f8, v1
	v_lshlrev_b32_e32 v5, 1, v18
	v_and_b32_e32 v2, 0x3f8, v22
	v_and_b32_e32 v3, 0x3f8, v23
	;; [unrolled: 1-line block ×3, first 2 shown]
	v_add_nc_u32_e32 v38, v1, v20
	v_and_b32_e32 v1, 0x7f8, v5
	s_delay_alu instid0(VALU_DEP_4) | instskip(NEXT) | instid1(VALU_DEP_4)
	v_dual_add_nc_u32 v39, v2, v20 :: v_dual_add_nc_u32 v40, v3, v20
	v_add_nc_u32_e32 v41, v4, v20
	ds_store_b64 v38, v[8:9] offset:8192
	ds_store_b64 v39, v[12:13] offset:10240
	;; [unrolled: 1-line block ×4, first 2 shown]
	v_lshl_add_u32 v42, v18, 6, v1
	s_wait_storecnt_dscnt 0x0
	s_barrier_signal -1
	s_barrier_wait -1
	ds_load_2addr_b64 v[14:17], v42 offset1:1
	ds_load_2addr_b64 v[10:13], v42 offset0:2 offset1:3
	ds_load_2addr_b64 v[6:9], v42 offset0:4 offset1:5
	;; [unrolled: 1-line block ×3, first 2 shown]
	s_wait_dscnt 0x0
	s_barrier_signal -1
	s_barrier_wait -1
	s_load_u16 s7, s[10:11], 0xe
	s_cselect_b32 s8, 12, 18
	s_mov_b32 s9, 0
	v_bfe_u32 v1, v0, 10, 10
	s_add_nc_u64 s[8:9], s[10:11], s[8:9]
	v_bfe_u32 v0, v0, 20, 10
	s_load_u16 s8, s[8:9], 0x0
	v_cmp_gt_i64_e64 s26, s[16:17], 0
	s_wait_kmcnt 0x0
	s_delay_alu instid0(VALU_DEP_2) | instskip(NEXT) | instid1(VALU_DEP_1)
	v_mad_u32_u24 v0, v0, s7, v1
	v_mul_lo_u32 v0, v0, s8
	s_delay_alu instid0(VALU_DEP_1) | instskip(NEXT) | instid1(VALU_DEP_1)
	v_add_lshl_u32 v24, v0, v18, 3
	v_sub_nc_u32_e64 v25, s25, v24 clamp
	s_delay_alu instid0(VALU_DEP_1)
	v_cmp_lt_u32_e64 s7, 1, v25
	s_and_saveexec_b32 s12, s7
	s_cbranch_execz .LBB627_723
; %bb.715:
	s_and_not1_b32 vcc_lo, exec_lo, s26
	s_cbranch_vccnz .LBB627_723
; %bb.716:
	v_mul_u64_e32 v[0:1], s[16:17], v[16:17]
	v_mul_u64_e32 v[22:23], s[16:17], v[14:15]
	s_mov_b32 s14, 0
	s_mov_b64 s[10:11], s[16:17]
                                        ; implicit-def: $sgpr13
                                        ; implicit-def: $sgpr15
                                        ; implicit-def: $sgpr23
                                        ; implicit-def: $sgpr22
                                        ; implicit-def: $sgpr27
	s_delay_alu instid0(VALU_DEP_2) | instskip(NEXT) | instid1(VALU_DEP_2)
	v_lshl_add_u64 v[0:1], v[0:1], 1, s[18:19]
	v_lshl_add_u64 v[22:23], v[22:23], 1, s[18:19]
	s_branch .LBB627_718
.LBB627_717:                            ;   in Loop: Header=BB627_718 Depth=1
	s_or_b32 exec_lo, exec_lo, s28
	s_and_b32 s8, s8, s27
	s_delay_alu instid0(SALU_CYCLE_1) | instskip(SKIP_1) | instid1(SALU_CYCLE_1)
	s_or_b32 s8, vcc_lo, s8
	s_and_b32 s9, exec_lo, s23
	s_or_b32 s14, s9, s14
	s_and_not1_b32 s9, s27, exec_lo
	s_and_b32 s8, s8, exec_lo
	s_and_not1_b32 s15, s15, exec_lo
	s_and_b32 s28, s22, exec_lo
	s_or_b32 s27, s9, s8
	s_and_not1_b32 s9, s13, exec_lo
	s_or_b32 s15, s15, s28
	s_or_b32 s13, s9, s8
	s_and_not1_b32 exec_lo, exec_lo, s14
	s_cbranch_execz .LBB627_720
.LBB627_718:                            ; =>This Inner Loop Header: Depth=1
	global_load_u16 v26, v[0:1], off
	global_load_u16 v27, v[22:23], off
	s_or_b32 s22, s22, exec_lo
	s_or_b32 s23, s23, exec_lo
	s_mov_b32 s28, exec_lo
	s_wait_loadcnt 0x0
	v_cmp_le_i16_e64 s8, v26, v27
	v_cmp_lt_i16_e32 vcc_lo, v26, v27
	v_cmpx_eq_u16_e64 v26, v27
	s_cbranch_execz .LBB627_717
; %bb.719:                              ;   in Loop: Header=BB627_718 Depth=1
	s_add_nc_u64 s[10:11], s[10:11], -1
	v_add_nc_u64_e32 v[0:1], 2, v[0:1]
	s_cmp_eq_u64 s[10:11], 0
	v_add_nc_u64_e32 v[22:23], 2, v[22:23]
	s_cselect_b32 s9, -1, 0
	s_and_not1_b32 s23, s23, exec_lo
	s_and_b32 s9, s9, exec_lo
	s_and_not1_b32 s22, s22, exec_lo
	s_or_b32 s23, s23, s9
	s_branch .LBB627_717
.LBB627_720:
	s_or_b32 exec_lo, exec_lo, s14
	s_and_saveexec_b32 s8, s15
	s_delay_alu instid0(SALU_CYCLE_1)
	s_xor_b32 s8, exec_lo, s8
; %bb.721:
	v_dual_cndmask_b32 v1, v17, v15, s13 :: v_dual_cndmask_b32 v0, v16, v14, s13
	v_dual_cndmask_b32 v15, v15, v17, s13 :: v_dual_cndmask_b32 v14, v14, v16, s13
	s_delay_alu instid0(VALU_DEP_2)
	v_mov_b64_e32 v[16:17], v[0:1]
; %bb.722:
	s_or_b32 exec_lo, exec_lo, s8
.LBB627_723:
	s_delay_alu instid0(SALU_CYCLE_1)
	s_or_b32 exec_lo, exec_lo, s12
	v_cmp_lt_u32_e64 s8, 3, v25
	s_and_saveexec_b32 s11, s8
	s_cbranch_execz .LBB627_732
; %bb.724:
	s_and_not1_b32 vcc_lo, exec_lo, s26
	s_cbranch_vccnz .LBB627_732
; %bb.725:
	v_mul_u64_e32 v[0:1], s[16:17], v[12:13]
	v_mul_u64_e32 v[22:23], s[16:17], v[10:11]
	s_mov_b32 s15, 0
	s_mov_b64 s[12:13], s[16:17]
                                        ; implicit-def: $sgpr14
                                        ; implicit-def: $sgpr22
                                        ; implicit-def: $sgpr27
                                        ; implicit-def: $sgpr23
                                        ; implicit-def: $sgpr28
	s_delay_alu instid0(VALU_DEP_2) | instskip(NEXT) | instid1(VALU_DEP_2)
	v_lshl_add_u64 v[0:1], v[0:1], 1, s[18:19]
	v_lshl_add_u64 v[22:23], v[22:23], 1, s[18:19]
	s_branch .LBB627_727
.LBB627_726:                            ;   in Loop: Header=BB627_727 Depth=1
	s_or_b32 exec_lo, exec_lo, s29
	s_and_b32 s9, s9, s28
	s_delay_alu instid0(SALU_CYCLE_1) | instskip(SKIP_1) | instid1(SALU_CYCLE_1)
	s_or_b32 s9, vcc_lo, s9
	s_and_b32 s10, exec_lo, s27
	s_or_b32 s15, s10, s15
	s_and_not1_b32 s10, s28, exec_lo
	s_and_b32 s9, s9, exec_lo
	s_and_not1_b32 s22, s22, exec_lo
	s_and_b32 s29, s23, exec_lo
	s_or_b32 s28, s10, s9
	s_and_not1_b32 s10, s14, exec_lo
	s_or_b32 s22, s22, s29
	s_or_b32 s14, s10, s9
	s_and_not1_b32 exec_lo, exec_lo, s15
	s_cbranch_execz .LBB627_729
.LBB627_727:                            ; =>This Inner Loop Header: Depth=1
	global_load_u16 v26, v[0:1], off
	global_load_u16 v27, v[22:23], off
	s_or_b32 s23, s23, exec_lo
	s_or_b32 s27, s27, exec_lo
	s_mov_b32 s29, exec_lo
	s_wait_loadcnt 0x0
	v_cmp_le_i16_e64 s9, v26, v27
	v_cmp_lt_i16_e32 vcc_lo, v26, v27
	v_cmpx_eq_u16_e64 v26, v27
	s_cbranch_execz .LBB627_726
; %bb.728:                              ;   in Loop: Header=BB627_727 Depth=1
	s_add_nc_u64 s[12:13], s[12:13], -1
	v_add_nc_u64_e32 v[0:1], 2, v[0:1]
	s_cmp_eq_u64 s[12:13], 0
	v_add_nc_u64_e32 v[22:23], 2, v[22:23]
	s_cselect_b32 s10, -1, 0
	s_and_not1_b32 s27, s27, exec_lo
	s_and_b32 s10, s10, exec_lo
	s_and_not1_b32 s23, s23, exec_lo
	s_or_b32 s27, s27, s10
	s_branch .LBB627_726
.LBB627_729:
	s_or_b32 exec_lo, exec_lo, s15
	s_and_saveexec_b32 s9, s22
	s_delay_alu instid0(SALU_CYCLE_1)
	s_xor_b32 s9, exec_lo, s9
; %bb.730:
	v_dual_cndmask_b32 v1, v11, v13, s14 :: v_dual_cndmask_b32 v0, v10, v12, s14
	v_dual_cndmask_b32 v13, v13, v11, s14 :: v_dual_cndmask_b32 v12, v12, v10, s14
	s_delay_alu instid0(VALU_DEP_2)
	v_mov_b64_e32 v[10:11], v[0:1]
; %bb.731:
	s_or_b32 exec_lo, exec_lo, s9
.LBB627_732:
	s_delay_alu instid0(SALU_CYCLE_1)
	s_or_b32 exec_lo, exec_lo, s11
	v_cmp_lt_u32_e64 s9, 5, v25
	s_and_saveexec_b32 s14, s9
	s_cbranch_execz .LBB627_741
; %bb.733:
	s_and_not1_b32 vcc_lo, exec_lo, s26
	s_cbranch_vccnz .LBB627_741
; %bb.734:
	v_mul_u64_e32 v[0:1], s[16:17], v[8:9]
	v_mul_u64_e32 v[22:23], s[16:17], v[6:7]
	s_mov_b32 s22, 0
	s_mov_b64 s[12:13], s[16:17]
                                        ; implicit-def: $sgpr15
                                        ; implicit-def: $sgpr23
                                        ; implicit-def: $sgpr28
                                        ; implicit-def: $sgpr27
                                        ; implicit-def: $sgpr29
	s_delay_alu instid0(VALU_DEP_2) | instskip(NEXT) | instid1(VALU_DEP_2)
	v_lshl_add_u64 v[0:1], v[0:1], 1, s[18:19]
	v_lshl_add_u64 v[22:23], v[22:23], 1, s[18:19]
	s_branch .LBB627_736
.LBB627_735:                            ;   in Loop: Header=BB627_736 Depth=1
	s_or_b32 exec_lo, exec_lo, s30
	s_and_b32 s10, s10, s29
	s_delay_alu instid0(SALU_CYCLE_1) | instskip(SKIP_1) | instid1(SALU_CYCLE_1)
	s_or_b32 s10, vcc_lo, s10
	s_and_b32 s11, exec_lo, s28
	s_or_b32 s22, s11, s22
	s_and_not1_b32 s11, s29, exec_lo
	s_and_b32 s10, s10, exec_lo
	s_and_not1_b32 s23, s23, exec_lo
	s_and_b32 s30, s27, exec_lo
	s_or_b32 s29, s11, s10
	s_and_not1_b32 s11, s15, exec_lo
	s_or_b32 s23, s23, s30
	s_or_b32 s15, s11, s10
	s_and_not1_b32 exec_lo, exec_lo, s22
	s_cbranch_execz .LBB627_738
.LBB627_736:                            ; =>This Inner Loop Header: Depth=1
	global_load_u16 v26, v[0:1], off
	global_load_u16 v27, v[22:23], off
	s_or_b32 s27, s27, exec_lo
	s_or_b32 s28, s28, exec_lo
	s_mov_b32 s30, exec_lo
	s_wait_loadcnt 0x0
	v_cmp_le_i16_e64 s10, v26, v27
	v_cmp_lt_i16_e32 vcc_lo, v26, v27
	v_cmpx_eq_u16_e64 v26, v27
	s_cbranch_execz .LBB627_735
; %bb.737:                              ;   in Loop: Header=BB627_736 Depth=1
	s_add_nc_u64 s[12:13], s[12:13], -1
	v_add_nc_u64_e32 v[0:1], 2, v[0:1]
	s_cmp_eq_u64 s[12:13], 0
	v_add_nc_u64_e32 v[22:23], 2, v[22:23]
	s_cselect_b32 s11, -1, 0
	s_and_not1_b32 s28, s28, exec_lo
	s_and_b32 s11, s11, exec_lo
	s_and_not1_b32 s27, s27, exec_lo
	s_or_b32 s28, s28, s11
	s_branch .LBB627_735
.LBB627_738:
	s_or_b32 exec_lo, exec_lo, s22
	s_and_saveexec_b32 s10, s23
	s_delay_alu instid0(SALU_CYCLE_1)
	s_xor_b32 s10, exec_lo, s10
; %bb.739:
	v_dual_cndmask_b32 v1, v7, v9, s15 :: v_dual_cndmask_b32 v0, v6, v8, s15
	v_dual_cndmask_b32 v9, v9, v7, s15 :: v_dual_cndmask_b32 v8, v8, v6, s15
	s_delay_alu instid0(VALU_DEP_2)
	v_mov_b64_e32 v[6:7], v[0:1]
; %bb.740:
	s_or_b32 exec_lo, exec_lo, s10
.LBB627_741:
	s_delay_alu instid0(SALU_CYCLE_1)
	s_or_b32 exec_lo, exec_lo, s14
	v_cmp_lt_u32_e64 s10, 7, v25
	s_and_saveexec_b32 s13, s10
	s_cbranch_execz .LBB627_750
; %bb.742:
	s_and_not1_b32 vcc_lo, exec_lo, s26
	s_cbranch_vccnz .LBB627_750
; %bb.743:
	v_mul_u64_e32 v[0:1], s[16:17], v[4:5]
	v_mul_u64_e32 v[22:23], s[16:17], v[2:3]
	s_mov_b32 s23, 0
	s_mov_b64 s[14:15], s[16:17]
                                        ; implicit-def: $sgpr22
                                        ; implicit-def: $sgpr27
                                        ; implicit-def: $sgpr29
                                        ; implicit-def: $sgpr28
                                        ; implicit-def: $sgpr30
	s_delay_alu instid0(VALU_DEP_2) | instskip(NEXT) | instid1(VALU_DEP_2)
	v_lshl_add_u64 v[0:1], v[0:1], 1, s[18:19]
	v_lshl_add_u64 v[22:23], v[22:23], 1, s[18:19]
	s_branch .LBB627_745
.LBB627_744:                            ;   in Loop: Header=BB627_745 Depth=1
	s_or_b32 exec_lo, exec_lo, s31
	s_and_b32 s11, s11, s30
	s_delay_alu instid0(SALU_CYCLE_1) | instskip(SKIP_1) | instid1(SALU_CYCLE_1)
	s_or_b32 s11, vcc_lo, s11
	s_and_b32 s12, exec_lo, s29
	s_or_b32 s23, s12, s23
	s_and_not1_b32 s12, s30, exec_lo
	s_and_b32 s11, s11, exec_lo
	s_and_not1_b32 s27, s27, exec_lo
	s_and_b32 s31, s28, exec_lo
	s_or_b32 s30, s12, s11
	s_and_not1_b32 s12, s22, exec_lo
	s_or_b32 s27, s27, s31
	s_or_b32 s22, s12, s11
	s_and_not1_b32 exec_lo, exec_lo, s23
	s_cbranch_execz .LBB627_747
.LBB627_745:                            ; =>This Inner Loop Header: Depth=1
	global_load_u16 v26, v[0:1], off
	global_load_u16 v27, v[22:23], off
	s_or_b32 s28, s28, exec_lo
	s_or_b32 s29, s29, exec_lo
	s_mov_b32 s31, exec_lo
	s_wait_loadcnt 0x0
	v_cmp_le_i16_e64 s11, v26, v27
	v_cmp_lt_i16_e32 vcc_lo, v26, v27
	v_cmpx_eq_u16_e64 v26, v27
	s_cbranch_execz .LBB627_744
; %bb.746:                              ;   in Loop: Header=BB627_745 Depth=1
	s_add_nc_u64 s[14:15], s[14:15], -1
	v_add_nc_u64_e32 v[0:1], 2, v[0:1]
	s_cmp_eq_u64 s[14:15], 0
	v_add_nc_u64_e32 v[22:23], 2, v[22:23]
	s_cselect_b32 s12, -1, 0
	s_and_not1_b32 s29, s29, exec_lo
	s_and_b32 s12, s12, exec_lo
	s_and_not1_b32 s28, s28, exec_lo
	s_or_b32 s29, s29, s12
	s_branch .LBB627_744
.LBB627_747:
	s_or_b32 exec_lo, exec_lo, s23
	s_and_saveexec_b32 s11, s27
	s_delay_alu instid0(SALU_CYCLE_1)
	s_xor_b32 s11, exec_lo, s11
; %bb.748:
	v_dual_cndmask_b32 v1, v3, v5, s22 :: v_dual_cndmask_b32 v0, v2, v4, s22
	v_dual_cndmask_b32 v5, v5, v3, s22 :: v_dual_cndmask_b32 v4, v4, v2, s22
	s_delay_alu instid0(VALU_DEP_2)
	v_mov_b64_e32 v[2:3], v[0:1]
; %bb.749:
	s_or_b32 exec_lo, exec_lo, s11
.LBB627_750:
	s_delay_alu instid0(SALU_CYCLE_1) | instskip(SKIP_2) | instid1(SALU_CYCLE_1)
	s_or_b32 exec_lo, exec_lo, s13
	v_cmp_lt_u32_e64 s11, 2, v25
	s_and_saveexec_b32 s12, s11
	s_xor_b32 s22, exec_lo, s12
	s_cbranch_execz .LBB627_759
; %bb.751:
	s_and_not1_b32 vcc_lo, exec_lo, s26
	s_cbranch_vccnz .LBB627_759
; %bb.752:
	v_mul_u64_e32 v[0:1], s[16:17], v[10:11]
	v_mul_u64_e32 v[22:23], s[16:17], v[16:17]
	s_mov_b32 s27, 0
	s_mov_b64 s[14:15], s[16:17]
                                        ; implicit-def: $sgpr23
                                        ; implicit-def: $sgpr28
                                        ; implicit-def: $sgpr30
                                        ; implicit-def: $sgpr29
                                        ; implicit-def: $sgpr31
	s_delay_alu instid0(VALU_DEP_2) | instskip(NEXT) | instid1(VALU_DEP_2)
	v_lshl_add_u64 v[0:1], v[0:1], 1, s[18:19]
	v_lshl_add_u64 v[22:23], v[22:23], 1, s[18:19]
	s_branch .LBB627_754
.LBB627_753:                            ;   in Loop: Header=BB627_754 Depth=1
	s_or_b32 exec_lo, exec_lo, s33
	s_and_b32 s12, s12, s31
	s_delay_alu instid0(SALU_CYCLE_1) | instskip(SKIP_1) | instid1(SALU_CYCLE_1)
	s_or_b32 s12, vcc_lo, s12
	s_and_b32 s13, exec_lo, s30
	s_or_b32 s27, s13, s27
	s_and_not1_b32 s13, s31, exec_lo
	s_and_b32 s12, s12, exec_lo
	s_and_not1_b32 s28, s28, exec_lo
	s_and_b32 s33, s29, exec_lo
	s_or_b32 s31, s13, s12
	s_and_not1_b32 s13, s23, exec_lo
	s_or_b32 s28, s28, s33
	s_or_b32 s23, s13, s12
	s_and_not1_b32 exec_lo, exec_lo, s27
	s_cbranch_execz .LBB627_756
.LBB627_754:                            ; =>This Inner Loop Header: Depth=1
	global_load_u16 v26, v[0:1], off
	global_load_u16 v27, v[22:23], off
	s_or_b32 s29, s29, exec_lo
	s_or_b32 s30, s30, exec_lo
	s_mov_b32 s33, exec_lo
	s_wait_loadcnt 0x0
	v_cmp_le_i16_e64 s12, v26, v27
	v_cmp_lt_i16_e32 vcc_lo, v26, v27
	v_cmpx_eq_u16_e64 v26, v27
	s_cbranch_execz .LBB627_753
; %bb.755:                              ;   in Loop: Header=BB627_754 Depth=1
	s_add_nc_u64 s[14:15], s[14:15], -1
	v_add_nc_u64_e32 v[0:1], 2, v[0:1]
	s_cmp_eq_u64 s[14:15], 0
	v_add_nc_u64_e32 v[22:23], 2, v[22:23]
	s_cselect_b32 s13, -1, 0
	s_and_not1_b32 s30, s30, exec_lo
	s_and_b32 s13, s13, exec_lo
	s_and_not1_b32 s29, s29, exec_lo
	s_or_b32 s30, s30, s13
	s_branch .LBB627_753
.LBB627_756:
	s_or_b32 exec_lo, exec_lo, s27
	s_and_saveexec_b32 s12, s28
	s_delay_alu instid0(SALU_CYCLE_1)
	s_xor_b32 s12, exec_lo, s12
; %bb.757:
	v_dual_cndmask_b32 v1, v17, v11, s23 :: v_dual_cndmask_b32 v0, v16, v10, s23
	v_dual_cndmask_b32 v11, v11, v17, s23 :: v_dual_cndmask_b32 v10, v10, v16, s23
	s_delay_alu instid0(VALU_DEP_2)
	v_mov_b64_e32 v[16:17], v[0:1]
; %bb.758:
	s_or_b32 exec_lo, exec_lo, s12
.LBB627_759:
	s_delay_alu instid0(SALU_CYCLE_1)
	s_or_b32 exec_lo, exec_lo, s22
	v_cmp_lt_u32_e64 s12, 4, v25
	s_and_saveexec_b32 s15, s12
	s_cbranch_execz .LBB627_768
; %bb.760:
	s_and_not1_b32 vcc_lo, exec_lo, s26
	s_cbranch_vccnz .LBB627_768
; %bb.761:
	v_mul_u64_e32 v[0:1], s[16:17], v[6:7]
	v_mul_u64_e32 v[22:23], s[16:17], v[12:13]
	s_mov_b32 s28, 0
	s_mov_b64 s[22:23], s[16:17]
                                        ; implicit-def: $sgpr27
                                        ; implicit-def: $sgpr29
                                        ; implicit-def: $sgpr31
                                        ; implicit-def: $sgpr30
                                        ; implicit-def: $sgpr33
	s_delay_alu instid0(VALU_DEP_2) | instskip(NEXT) | instid1(VALU_DEP_2)
	v_lshl_add_u64 v[0:1], v[0:1], 1, s[18:19]
	v_lshl_add_u64 v[22:23], v[22:23], 1, s[18:19]
	s_branch .LBB627_763
.LBB627_762:                            ;   in Loop: Header=BB627_763 Depth=1
	s_or_b32 exec_lo, exec_lo, s34
	s_and_b32 s13, s13, s33
	s_delay_alu instid0(SALU_CYCLE_1) | instskip(SKIP_1) | instid1(SALU_CYCLE_1)
	s_or_b32 s13, vcc_lo, s13
	s_and_b32 s14, exec_lo, s31
	s_or_b32 s28, s14, s28
	s_and_not1_b32 s14, s33, exec_lo
	s_and_b32 s13, s13, exec_lo
	s_and_not1_b32 s29, s29, exec_lo
	s_and_b32 s34, s30, exec_lo
	s_or_b32 s33, s14, s13
	s_and_not1_b32 s14, s27, exec_lo
	s_or_b32 s29, s29, s34
	s_or_b32 s27, s14, s13
	s_and_not1_b32 exec_lo, exec_lo, s28
	s_cbranch_execz .LBB627_765
.LBB627_763:                            ; =>This Inner Loop Header: Depth=1
	global_load_u16 v26, v[0:1], off
	global_load_u16 v27, v[22:23], off
	s_or_b32 s30, s30, exec_lo
	s_or_b32 s31, s31, exec_lo
	s_mov_b32 s34, exec_lo
	s_wait_loadcnt 0x0
	v_cmp_le_i16_e64 s13, v26, v27
	v_cmp_lt_i16_e32 vcc_lo, v26, v27
	v_cmpx_eq_u16_e64 v26, v27
	s_cbranch_execz .LBB627_762
; %bb.764:                              ;   in Loop: Header=BB627_763 Depth=1
	s_add_nc_u64 s[22:23], s[22:23], -1
	v_add_nc_u64_e32 v[0:1], 2, v[0:1]
	s_cmp_eq_u64 s[22:23], 0
	v_add_nc_u64_e32 v[22:23], 2, v[22:23]
	s_cselect_b32 s14, -1, 0
	s_and_not1_b32 s31, s31, exec_lo
	s_and_b32 s14, s14, exec_lo
	s_and_not1_b32 s30, s30, exec_lo
	s_or_b32 s31, s31, s14
	s_branch .LBB627_762
.LBB627_765:
	s_or_b32 exec_lo, exec_lo, s28
	s_and_saveexec_b32 s13, s29
	s_delay_alu instid0(SALU_CYCLE_1)
	s_xor_b32 s13, exec_lo, s13
; %bb.766:
	v_dual_cndmask_b32 v1, v13, v7, s27 :: v_dual_cndmask_b32 v0, v12, v6, s27
	v_dual_cndmask_b32 v7, v7, v13, s27 :: v_dual_cndmask_b32 v6, v6, v12, s27
	s_delay_alu instid0(VALU_DEP_2)
	v_mov_b64_e32 v[12:13], v[0:1]
; %bb.767:
	s_or_b32 exec_lo, exec_lo, s13
.LBB627_768:
	s_delay_alu instid0(SALU_CYCLE_1)
	s_or_b32 exec_lo, exec_lo, s15
	v_cmp_lt_u32_e64 s13, 6, v25
	s_and_saveexec_b32 s27, s13
	s_cbranch_execz .LBB627_777
; %bb.769:
	s_and_not1_b32 vcc_lo, exec_lo, s26
	s_cbranch_vccnz .LBB627_777
; %bb.770:
	v_mul_u64_e32 v[0:1], s[16:17], v[2:3]
	v_mul_u64_e32 v[22:23], s[16:17], v[8:9]
	s_mov_b32 s29, 0
	s_mov_b64 s[22:23], s[16:17]
                                        ; implicit-def: $sgpr28
                                        ; implicit-def: $sgpr30
                                        ; implicit-def: $sgpr33
                                        ; implicit-def: $sgpr31
                                        ; implicit-def: $sgpr34
	s_delay_alu instid0(VALU_DEP_2) | instskip(NEXT) | instid1(VALU_DEP_2)
	v_lshl_add_u64 v[0:1], v[0:1], 1, s[18:19]
	v_lshl_add_u64 v[22:23], v[22:23], 1, s[18:19]
	s_branch .LBB627_772
.LBB627_771:                            ;   in Loop: Header=BB627_772 Depth=1
	s_or_b32 exec_lo, exec_lo, s35
	s_and_b32 s14, s14, s34
	s_delay_alu instid0(SALU_CYCLE_1) | instskip(SKIP_1) | instid1(SALU_CYCLE_1)
	s_or_b32 s14, vcc_lo, s14
	s_and_b32 s15, exec_lo, s33
	s_or_b32 s29, s15, s29
	s_and_not1_b32 s15, s34, exec_lo
	s_and_b32 s14, s14, exec_lo
	s_and_not1_b32 s30, s30, exec_lo
	s_and_b32 s35, s31, exec_lo
	s_or_b32 s34, s15, s14
	s_and_not1_b32 s15, s28, exec_lo
	s_or_b32 s30, s30, s35
	s_or_b32 s28, s15, s14
	s_and_not1_b32 exec_lo, exec_lo, s29
	s_cbranch_execz .LBB627_774
.LBB627_772:                            ; =>This Inner Loop Header: Depth=1
	global_load_u16 v25, v[0:1], off
	global_load_u16 v26, v[22:23], off
	s_or_b32 s31, s31, exec_lo
	s_or_b32 s33, s33, exec_lo
	s_mov_b32 s35, exec_lo
	s_wait_loadcnt 0x0
	v_cmp_le_i16_e64 s14, v25, v26
	v_cmp_lt_i16_e32 vcc_lo, v25, v26
	v_cmpx_eq_u16_e64 v25, v26
	s_cbranch_execz .LBB627_771
; %bb.773:                              ;   in Loop: Header=BB627_772 Depth=1
	s_add_nc_u64 s[22:23], s[22:23], -1
	v_add_nc_u64_e32 v[0:1], 2, v[0:1]
	s_cmp_eq_u64 s[22:23], 0
	v_add_nc_u64_e32 v[22:23], 2, v[22:23]
	s_cselect_b32 s15, -1, 0
	s_and_not1_b32 s33, s33, exec_lo
	s_and_b32 s15, s15, exec_lo
	s_and_not1_b32 s31, s31, exec_lo
	s_or_b32 s33, s33, s15
	s_branch .LBB627_771
.LBB627_774:
	s_or_b32 exec_lo, exec_lo, s29
	s_and_saveexec_b32 s14, s30
	s_delay_alu instid0(SALU_CYCLE_1)
	s_xor_b32 s14, exec_lo, s14
; %bb.775:
	v_dual_cndmask_b32 v1, v9, v3, s28 :: v_dual_cndmask_b32 v0, v8, v2, s28
	v_dual_cndmask_b32 v3, v3, v9, s28 :: v_dual_cndmask_b32 v2, v2, v8, s28
	s_delay_alu instid0(VALU_DEP_2)
	v_mov_b64_e32 v[8:9], v[0:1]
; %bb.776:
	s_or_b32 exec_lo, exec_lo, s14
.LBB627_777:
	s_delay_alu instid0(SALU_CYCLE_1)
	s_or_b32 exec_lo, exec_lo, s27
	s_and_saveexec_b32 s27, s7
	s_cbranch_execz .LBB627_786
; %bb.778:
	s_and_not1_b32 vcc_lo, exec_lo, s26
	s_cbranch_vccnz .LBB627_786
; %bb.779:
	v_mul_u64_e32 v[0:1], s[16:17], v[16:17]
	v_mul_u64_e32 v[22:23], s[16:17], v[14:15]
	s_mov_b32 s29, 0
	s_mov_b64 s[22:23], s[16:17]
                                        ; implicit-def: $sgpr28
                                        ; implicit-def: $sgpr30
                                        ; implicit-def: $sgpr33
                                        ; implicit-def: $sgpr31
                                        ; implicit-def: $sgpr34
	s_delay_alu instid0(VALU_DEP_2) | instskip(NEXT) | instid1(VALU_DEP_2)
	v_lshl_add_u64 v[0:1], v[0:1], 1, s[18:19]
	v_lshl_add_u64 v[22:23], v[22:23], 1, s[18:19]
	s_branch .LBB627_781
.LBB627_780:                            ;   in Loop: Header=BB627_781 Depth=1
	s_or_b32 exec_lo, exec_lo, s35
	s_and_b32 s14, s14, s34
	s_delay_alu instid0(SALU_CYCLE_1) | instskip(SKIP_1) | instid1(SALU_CYCLE_1)
	s_or_b32 s14, vcc_lo, s14
	s_and_b32 s15, exec_lo, s33
	s_or_b32 s29, s15, s29
	s_and_not1_b32 s15, s34, exec_lo
	s_and_b32 s14, s14, exec_lo
	s_and_not1_b32 s30, s30, exec_lo
	s_and_b32 s35, s31, exec_lo
	s_or_b32 s34, s15, s14
	s_and_not1_b32 s15, s28, exec_lo
	s_or_b32 s30, s30, s35
	s_or_b32 s28, s15, s14
	s_and_not1_b32 exec_lo, exec_lo, s29
	s_cbranch_execz .LBB627_783
.LBB627_781:                            ; =>This Inner Loop Header: Depth=1
	global_load_u16 v25, v[0:1], off
	global_load_u16 v26, v[22:23], off
	s_or_b32 s31, s31, exec_lo
	s_or_b32 s33, s33, exec_lo
	s_mov_b32 s35, exec_lo
	s_wait_loadcnt 0x0
	v_cmp_le_i16_e64 s14, v25, v26
	v_cmp_lt_i16_e32 vcc_lo, v25, v26
	v_cmpx_eq_u16_e64 v25, v26
	s_cbranch_execz .LBB627_780
; %bb.782:                              ;   in Loop: Header=BB627_781 Depth=1
	s_add_nc_u64 s[22:23], s[22:23], -1
	v_add_nc_u64_e32 v[0:1], 2, v[0:1]
	s_cmp_eq_u64 s[22:23], 0
	v_add_nc_u64_e32 v[22:23], 2, v[22:23]
	s_cselect_b32 s15, -1, 0
	s_and_not1_b32 s33, s33, exec_lo
	s_and_b32 s15, s15, exec_lo
	s_and_not1_b32 s31, s31, exec_lo
	s_or_b32 s33, s33, s15
	s_branch .LBB627_780
.LBB627_783:
	s_or_b32 exec_lo, exec_lo, s29
	s_and_saveexec_b32 s14, s30
	s_delay_alu instid0(SALU_CYCLE_1)
	s_xor_b32 s14, exec_lo, s14
; %bb.784:
	v_dual_cndmask_b32 v1, v17, v15, s28 :: v_dual_cndmask_b32 v0, v16, v14, s28
	v_dual_cndmask_b32 v15, v15, v17, s28 :: v_dual_cndmask_b32 v14, v14, v16, s28
	s_delay_alu instid0(VALU_DEP_2)
	v_mov_b64_e32 v[16:17], v[0:1]
; %bb.785:
	s_or_b32 exec_lo, exec_lo, s14
.LBB627_786:
	s_delay_alu instid0(SALU_CYCLE_1)
	s_or_b32 exec_lo, exec_lo, s27
	s_and_saveexec_b32 s27, s8
	s_cbranch_execz .LBB627_795
; %bb.787:
	s_and_not1_b32 vcc_lo, exec_lo, s26
	s_cbranch_vccnz .LBB627_795
; %bb.788:
	v_mul_u64_e32 v[0:1], s[16:17], v[12:13]
	v_mul_u64_e32 v[22:23], s[16:17], v[10:11]
	s_mov_b32 s29, 0
	s_mov_b64 s[22:23], s[16:17]
                                        ; implicit-def: $sgpr28
                                        ; implicit-def: $sgpr30
                                        ; implicit-def: $sgpr33
                                        ; implicit-def: $sgpr31
                                        ; implicit-def: $sgpr34
	s_delay_alu instid0(VALU_DEP_2) | instskip(NEXT) | instid1(VALU_DEP_2)
	v_lshl_add_u64 v[0:1], v[0:1], 1, s[18:19]
	v_lshl_add_u64 v[22:23], v[22:23], 1, s[18:19]
	s_branch .LBB627_790
.LBB627_789:                            ;   in Loop: Header=BB627_790 Depth=1
	s_or_b32 exec_lo, exec_lo, s35
	s_and_b32 s14, s14, s34
	s_delay_alu instid0(SALU_CYCLE_1) | instskip(SKIP_1) | instid1(SALU_CYCLE_1)
	s_or_b32 s14, vcc_lo, s14
	s_and_b32 s15, exec_lo, s33
	s_or_b32 s29, s15, s29
	s_and_not1_b32 s15, s34, exec_lo
	s_and_b32 s14, s14, exec_lo
	s_and_not1_b32 s30, s30, exec_lo
	s_and_b32 s35, s31, exec_lo
	s_or_b32 s34, s15, s14
	s_and_not1_b32 s15, s28, exec_lo
	s_or_b32 s30, s30, s35
	s_or_b32 s28, s15, s14
	s_and_not1_b32 exec_lo, exec_lo, s29
	s_cbranch_execz .LBB627_792
.LBB627_790:                            ; =>This Inner Loop Header: Depth=1
	global_load_u16 v25, v[0:1], off
	global_load_u16 v26, v[22:23], off
	s_or_b32 s31, s31, exec_lo
	s_or_b32 s33, s33, exec_lo
	s_mov_b32 s35, exec_lo
	s_wait_loadcnt 0x0
	v_cmp_le_i16_e64 s14, v25, v26
	v_cmp_lt_i16_e32 vcc_lo, v25, v26
	v_cmpx_eq_u16_e64 v25, v26
	s_cbranch_execz .LBB627_789
; %bb.791:                              ;   in Loop: Header=BB627_790 Depth=1
	s_add_nc_u64 s[22:23], s[22:23], -1
	v_add_nc_u64_e32 v[0:1], 2, v[0:1]
	s_cmp_eq_u64 s[22:23], 0
	v_add_nc_u64_e32 v[22:23], 2, v[22:23]
	s_cselect_b32 s15, -1, 0
	s_and_not1_b32 s33, s33, exec_lo
	s_and_b32 s15, s15, exec_lo
	s_and_not1_b32 s31, s31, exec_lo
	s_or_b32 s33, s33, s15
	s_branch .LBB627_789
.LBB627_792:
	s_or_b32 exec_lo, exec_lo, s29
	s_and_saveexec_b32 s14, s30
	s_delay_alu instid0(SALU_CYCLE_1)
	s_xor_b32 s14, exec_lo, s14
; %bb.793:
	v_dual_cndmask_b32 v1, v11, v13, s28 :: v_dual_cndmask_b32 v0, v10, v12, s28
	v_dual_cndmask_b32 v13, v13, v11, s28 :: v_dual_cndmask_b32 v12, v12, v10, s28
	s_delay_alu instid0(VALU_DEP_2)
	v_mov_b64_e32 v[10:11], v[0:1]
; %bb.794:
	s_or_b32 exec_lo, exec_lo, s14
.LBB627_795:
	s_delay_alu instid0(SALU_CYCLE_1)
	s_or_b32 exec_lo, exec_lo, s27
	s_and_saveexec_b32 s27, s9
	s_cbranch_execz .LBB627_804
; %bb.796:
	s_and_not1_b32 vcc_lo, exec_lo, s26
	s_cbranch_vccnz .LBB627_804
; %bb.797:
	v_mul_u64_e32 v[0:1], s[16:17], v[8:9]
	v_mul_u64_e32 v[22:23], s[16:17], v[6:7]
	s_mov_b32 s29, 0
	s_mov_b64 s[22:23], s[16:17]
                                        ; implicit-def: $sgpr28
                                        ; implicit-def: $sgpr30
                                        ; implicit-def: $sgpr33
                                        ; implicit-def: $sgpr31
                                        ; implicit-def: $sgpr34
	s_delay_alu instid0(VALU_DEP_2) | instskip(NEXT) | instid1(VALU_DEP_2)
	v_lshl_add_u64 v[0:1], v[0:1], 1, s[18:19]
	v_lshl_add_u64 v[22:23], v[22:23], 1, s[18:19]
	s_branch .LBB627_799
.LBB627_798:                            ;   in Loop: Header=BB627_799 Depth=1
	s_or_b32 exec_lo, exec_lo, s35
	s_and_b32 s14, s14, s34
	s_delay_alu instid0(SALU_CYCLE_1) | instskip(SKIP_1) | instid1(SALU_CYCLE_1)
	s_or_b32 s14, vcc_lo, s14
	s_and_b32 s15, exec_lo, s33
	s_or_b32 s29, s15, s29
	s_and_not1_b32 s15, s34, exec_lo
	s_and_b32 s14, s14, exec_lo
	s_and_not1_b32 s30, s30, exec_lo
	s_and_b32 s35, s31, exec_lo
	s_or_b32 s34, s15, s14
	s_and_not1_b32 s15, s28, exec_lo
	s_or_b32 s30, s30, s35
	s_or_b32 s28, s15, s14
	s_and_not1_b32 exec_lo, exec_lo, s29
	s_cbranch_execz .LBB627_801
.LBB627_799:                            ; =>This Inner Loop Header: Depth=1
	global_load_u16 v25, v[0:1], off
	global_load_u16 v26, v[22:23], off
	s_or_b32 s31, s31, exec_lo
	s_or_b32 s33, s33, exec_lo
	s_mov_b32 s35, exec_lo
	s_wait_loadcnt 0x0
	v_cmp_le_i16_e64 s14, v25, v26
	v_cmp_lt_i16_e32 vcc_lo, v25, v26
	v_cmpx_eq_u16_e64 v25, v26
	s_cbranch_execz .LBB627_798
; %bb.800:                              ;   in Loop: Header=BB627_799 Depth=1
	s_add_nc_u64 s[22:23], s[22:23], -1
	v_add_nc_u64_e32 v[0:1], 2, v[0:1]
	s_cmp_eq_u64 s[22:23], 0
	v_add_nc_u64_e32 v[22:23], 2, v[22:23]
	s_cselect_b32 s15, -1, 0
	s_and_not1_b32 s33, s33, exec_lo
	s_and_b32 s15, s15, exec_lo
	s_and_not1_b32 s31, s31, exec_lo
	s_or_b32 s33, s33, s15
	s_branch .LBB627_798
.LBB627_801:
	s_or_b32 exec_lo, exec_lo, s29
	s_and_saveexec_b32 s14, s30
	s_delay_alu instid0(SALU_CYCLE_1)
	s_xor_b32 s14, exec_lo, s14
; %bb.802:
	v_dual_cndmask_b32 v1, v7, v9, s28 :: v_dual_cndmask_b32 v0, v6, v8, s28
	v_dual_cndmask_b32 v9, v9, v7, s28 :: v_dual_cndmask_b32 v8, v8, v6, s28
	s_delay_alu instid0(VALU_DEP_2)
	v_mov_b64_e32 v[6:7], v[0:1]
; %bb.803:
	s_or_b32 exec_lo, exec_lo, s14
.LBB627_804:
	s_delay_alu instid0(SALU_CYCLE_1)
	s_or_b32 exec_lo, exec_lo, s27
	s_and_saveexec_b32 s27, s10
	s_cbranch_execz .LBB627_813
; %bb.805:
	s_and_not1_b32 vcc_lo, exec_lo, s26
	s_cbranch_vccnz .LBB627_813
; %bb.806:
	v_mul_u64_e32 v[0:1], s[16:17], v[4:5]
	v_mul_u64_e32 v[22:23], s[16:17], v[2:3]
	s_mov_b32 s29, 0
	s_mov_b64 s[22:23], s[16:17]
                                        ; implicit-def: $sgpr28
                                        ; implicit-def: $sgpr30
                                        ; implicit-def: $sgpr33
                                        ; implicit-def: $sgpr31
                                        ; implicit-def: $sgpr34
	s_delay_alu instid0(VALU_DEP_2) | instskip(NEXT) | instid1(VALU_DEP_2)
	v_lshl_add_u64 v[0:1], v[0:1], 1, s[18:19]
	v_lshl_add_u64 v[22:23], v[22:23], 1, s[18:19]
	s_branch .LBB627_808
.LBB627_807:                            ;   in Loop: Header=BB627_808 Depth=1
	s_or_b32 exec_lo, exec_lo, s35
	s_and_b32 s14, s14, s34
	s_delay_alu instid0(SALU_CYCLE_1) | instskip(SKIP_1) | instid1(SALU_CYCLE_1)
	s_or_b32 s14, vcc_lo, s14
	s_and_b32 s15, exec_lo, s33
	s_or_b32 s29, s15, s29
	s_and_not1_b32 s15, s34, exec_lo
	s_and_b32 s14, s14, exec_lo
	s_and_not1_b32 s30, s30, exec_lo
	s_and_b32 s35, s31, exec_lo
	s_or_b32 s34, s15, s14
	s_and_not1_b32 s15, s28, exec_lo
	s_or_b32 s30, s30, s35
	s_or_b32 s28, s15, s14
	s_and_not1_b32 exec_lo, exec_lo, s29
	s_cbranch_execz .LBB627_810
.LBB627_808:                            ; =>This Inner Loop Header: Depth=1
	global_load_u16 v25, v[0:1], off
	global_load_u16 v26, v[22:23], off
	s_or_b32 s31, s31, exec_lo
	s_or_b32 s33, s33, exec_lo
	s_mov_b32 s35, exec_lo
	s_wait_loadcnt 0x0
	v_cmp_le_i16_e64 s14, v25, v26
	v_cmp_lt_i16_e32 vcc_lo, v25, v26
	v_cmpx_eq_u16_e64 v25, v26
	s_cbranch_execz .LBB627_807
; %bb.809:                              ;   in Loop: Header=BB627_808 Depth=1
	s_add_nc_u64 s[22:23], s[22:23], -1
	v_add_nc_u64_e32 v[0:1], 2, v[0:1]
	s_cmp_eq_u64 s[22:23], 0
	v_add_nc_u64_e32 v[22:23], 2, v[22:23]
	s_cselect_b32 s15, -1, 0
	s_and_not1_b32 s33, s33, exec_lo
	s_and_b32 s15, s15, exec_lo
	s_and_not1_b32 s31, s31, exec_lo
	s_or_b32 s33, s33, s15
	s_branch .LBB627_807
.LBB627_810:
	s_or_b32 exec_lo, exec_lo, s29
	s_and_saveexec_b32 s14, s30
	s_delay_alu instid0(SALU_CYCLE_1)
	s_xor_b32 s14, exec_lo, s14
; %bb.811:
	v_dual_cndmask_b32 v1, v3, v5, s28 :: v_dual_cndmask_b32 v0, v2, v4, s28
	v_dual_cndmask_b32 v5, v5, v3, s28 :: v_dual_cndmask_b32 v4, v4, v2, s28
	s_delay_alu instid0(VALU_DEP_2)
	v_mov_b64_e32 v[2:3], v[0:1]
; %bb.812:
	s_or_b32 exec_lo, exec_lo, s14
.LBB627_813:
	s_delay_alu instid0(SALU_CYCLE_1)
	s_or_b32 exec_lo, exec_lo, s27
	s_and_saveexec_b32 s27, s11
	s_cbranch_execz .LBB627_822
; %bb.814:
	s_and_not1_b32 vcc_lo, exec_lo, s26
	s_cbranch_vccnz .LBB627_822
; %bb.815:
	v_mul_u64_e32 v[0:1], s[16:17], v[10:11]
	v_mul_u64_e32 v[22:23], s[16:17], v[16:17]
	s_mov_b32 s29, 0
	s_mov_b64 s[22:23], s[16:17]
                                        ; implicit-def: $sgpr28
                                        ; implicit-def: $sgpr30
                                        ; implicit-def: $sgpr33
                                        ; implicit-def: $sgpr31
                                        ; implicit-def: $sgpr34
	s_delay_alu instid0(VALU_DEP_2) | instskip(NEXT) | instid1(VALU_DEP_2)
	v_lshl_add_u64 v[0:1], v[0:1], 1, s[18:19]
	v_lshl_add_u64 v[22:23], v[22:23], 1, s[18:19]
	s_branch .LBB627_817
.LBB627_816:                            ;   in Loop: Header=BB627_817 Depth=1
	s_or_b32 exec_lo, exec_lo, s35
	s_and_b32 s14, s14, s34
	s_delay_alu instid0(SALU_CYCLE_1) | instskip(SKIP_1) | instid1(SALU_CYCLE_1)
	s_or_b32 s14, vcc_lo, s14
	s_and_b32 s15, exec_lo, s33
	s_or_b32 s29, s15, s29
	s_and_not1_b32 s15, s34, exec_lo
	s_and_b32 s14, s14, exec_lo
	s_and_not1_b32 s30, s30, exec_lo
	s_and_b32 s35, s31, exec_lo
	s_or_b32 s34, s15, s14
	s_and_not1_b32 s15, s28, exec_lo
	s_or_b32 s30, s30, s35
	s_or_b32 s28, s15, s14
	s_and_not1_b32 exec_lo, exec_lo, s29
	s_cbranch_execz .LBB627_819
.LBB627_817:                            ; =>This Inner Loop Header: Depth=1
	global_load_u16 v25, v[0:1], off
	global_load_u16 v26, v[22:23], off
	s_or_b32 s31, s31, exec_lo
	s_or_b32 s33, s33, exec_lo
	s_mov_b32 s35, exec_lo
	s_wait_loadcnt 0x0
	v_cmp_le_i16_e64 s14, v25, v26
	v_cmp_lt_i16_e32 vcc_lo, v25, v26
	v_cmpx_eq_u16_e64 v25, v26
	s_cbranch_execz .LBB627_816
; %bb.818:                              ;   in Loop: Header=BB627_817 Depth=1
	s_add_nc_u64 s[22:23], s[22:23], -1
	v_add_nc_u64_e32 v[0:1], 2, v[0:1]
	s_cmp_eq_u64 s[22:23], 0
	v_add_nc_u64_e32 v[22:23], 2, v[22:23]
	s_cselect_b32 s15, -1, 0
	s_and_not1_b32 s33, s33, exec_lo
	s_and_b32 s15, s15, exec_lo
	s_and_not1_b32 s31, s31, exec_lo
	s_or_b32 s33, s33, s15
	s_branch .LBB627_816
.LBB627_819:
	s_or_b32 exec_lo, exec_lo, s29
	s_and_saveexec_b32 s14, s30
	s_delay_alu instid0(SALU_CYCLE_1)
	s_xor_b32 s14, exec_lo, s14
; %bb.820:
	v_dual_cndmask_b32 v1, v17, v11, s28 :: v_dual_cndmask_b32 v0, v16, v10, s28
	v_dual_cndmask_b32 v11, v11, v17, s28 :: v_dual_cndmask_b32 v10, v10, v16, s28
	s_delay_alu instid0(VALU_DEP_2)
	v_mov_b64_e32 v[16:17], v[0:1]
; %bb.821:
	s_or_b32 exec_lo, exec_lo, s14
.LBB627_822:
	s_delay_alu instid0(SALU_CYCLE_1)
	s_or_b32 exec_lo, exec_lo, s27
	s_and_saveexec_b32 s27, s12
	s_cbranch_execz .LBB627_831
; %bb.823:
	s_and_not1_b32 vcc_lo, exec_lo, s26
	s_cbranch_vccnz .LBB627_831
; %bb.824:
	v_mul_u64_e32 v[0:1], s[16:17], v[6:7]
	v_mul_u64_e32 v[22:23], s[16:17], v[12:13]
	s_mov_b32 s29, 0
	s_mov_b64 s[22:23], s[16:17]
                                        ; implicit-def: $sgpr28
                                        ; implicit-def: $sgpr30
                                        ; implicit-def: $sgpr33
                                        ; implicit-def: $sgpr31
                                        ; implicit-def: $sgpr34
	s_delay_alu instid0(VALU_DEP_2) | instskip(NEXT) | instid1(VALU_DEP_2)
	v_lshl_add_u64 v[0:1], v[0:1], 1, s[18:19]
	v_lshl_add_u64 v[22:23], v[22:23], 1, s[18:19]
	s_branch .LBB627_826
.LBB627_825:                            ;   in Loop: Header=BB627_826 Depth=1
	s_or_b32 exec_lo, exec_lo, s35
	s_and_b32 s14, s14, s34
	s_delay_alu instid0(SALU_CYCLE_1) | instskip(SKIP_1) | instid1(SALU_CYCLE_1)
	s_or_b32 s14, vcc_lo, s14
	s_and_b32 s15, exec_lo, s33
	s_or_b32 s29, s15, s29
	s_and_not1_b32 s15, s34, exec_lo
	s_and_b32 s14, s14, exec_lo
	s_and_not1_b32 s30, s30, exec_lo
	s_and_b32 s35, s31, exec_lo
	s_or_b32 s34, s15, s14
	s_and_not1_b32 s15, s28, exec_lo
	s_or_b32 s30, s30, s35
	s_or_b32 s28, s15, s14
	s_and_not1_b32 exec_lo, exec_lo, s29
	s_cbranch_execz .LBB627_828
.LBB627_826:                            ; =>This Inner Loop Header: Depth=1
	global_load_u16 v25, v[0:1], off
	global_load_u16 v26, v[22:23], off
	s_or_b32 s31, s31, exec_lo
	s_or_b32 s33, s33, exec_lo
	s_mov_b32 s35, exec_lo
	s_wait_loadcnt 0x0
	v_cmp_le_i16_e64 s14, v25, v26
	v_cmp_lt_i16_e32 vcc_lo, v25, v26
	v_cmpx_eq_u16_e64 v25, v26
	s_cbranch_execz .LBB627_825
; %bb.827:                              ;   in Loop: Header=BB627_826 Depth=1
	s_add_nc_u64 s[22:23], s[22:23], -1
	v_add_nc_u64_e32 v[0:1], 2, v[0:1]
	s_cmp_eq_u64 s[22:23], 0
	v_add_nc_u64_e32 v[22:23], 2, v[22:23]
	s_cselect_b32 s15, -1, 0
	s_and_not1_b32 s33, s33, exec_lo
	s_and_b32 s15, s15, exec_lo
	s_and_not1_b32 s31, s31, exec_lo
	s_or_b32 s33, s33, s15
	s_branch .LBB627_825
.LBB627_828:
	s_or_b32 exec_lo, exec_lo, s29
	s_and_saveexec_b32 s14, s30
	s_delay_alu instid0(SALU_CYCLE_1)
	s_xor_b32 s14, exec_lo, s14
; %bb.829:
	v_dual_cndmask_b32 v1, v13, v7, s28 :: v_dual_cndmask_b32 v0, v12, v6, s28
	v_dual_cndmask_b32 v7, v7, v13, s28 :: v_dual_cndmask_b32 v6, v6, v12, s28
	s_delay_alu instid0(VALU_DEP_2)
	v_mov_b64_e32 v[12:13], v[0:1]
; %bb.830:
	s_or_b32 exec_lo, exec_lo, s14
.LBB627_831:
	s_delay_alu instid0(SALU_CYCLE_1)
	s_or_b32 exec_lo, exec_lo, s27
	s_and_saveexec_b32 s27, s13
	s_cbranch_execz .LBB627_840
; %bb.832:
	s_and_not1_b32 vcc_lo, exec_lo, s26
	s_cbranch_vccnz .LBB627_840
; %bb.833:
	v_mul_u64_e32 v[0:1], s[16:17], v[2:3]
	v_mul_u64_e32 v[22:23], s[16:17], v[8:9]
	s_mov_b32 s29, 0
	s_mov_b64 s[22:23], s[16:17]
                                        ; implicit-def: $sgpr28
                                        ; implicit-def: $sgpr30
                                        ; implicit-def: $sgpr33
                                        ; implicit-def: $sgpr31
                                        ; implicit-def: $sgpr34
	s_delay_alu instid0(VALU_DEP_2) | instskip(NEXT) | instid1(VALU_DEP_2)
	v_lshl_add_u64 v[0:1], v[0:1], 1, s[18:19]
	v_lshl_add_u64 v[22:23], v[22:23], 1, s[18:19]
	s_branch .LBB627_835
.LBB627_834:                            ;   in Loop: Header=BB627_835 Depth=1
	s_or_b32 exec_lo, exec_lo, s35
	s_and_b32 s14, s14, s34
	s_delay_alu instid0(SALU_CYCLE_1) | instskip(SKIP_1) | instid1(SALU_CYCLE_1)
	s_or_b32 s14, vcc_lo, s14
	s_and_b32 s15, exec_lo, s33
	s_or_b32 s29, s15, s29
	s_and_not1_b32 s15, s34, exec_lo
	s_and_b32 s14, s14, exec_lo
	s_and_not1_b32 s30, s30, exec_lo
	s_and_b32 s35, s31, exec_lo
	s_or_b32 s34, s15, s14
	s_and_not1_b32 s15, s28, exec_lo
	s_or_b32 s30, s30, s35
	s_or_b32 s28, s15, s14
	s_and_not1_b32 exec_lo, exec_lo, s29
	s_cbranch_execz .LBB627_837
.LBB627_835:                            ; =>This Inner Loop Header: Depth=1
	global_load_u16 v25, v[0:1], off
	global_load_u16 v26, v[22:23], off
	s_or_b32 s31, s31, exec_lo
	s_or_b32 s33, s33, exec_lo
	s_mov_b32 s35, exec_lo
	s_wait_loadcnt 0x0
	v_cmp_le_i16_e64 s14, v25, v26
	v_cmp_lt_i16_e32 vcc_lo, v25, v26
	v_cmpx_eq_u16_e64 v25, v26
	s_cbranch_execz .LBB627_834
; %bb.836:                              ;   in Loop: Header=BB627_835 Depth=1
	s_add_nc_u64 s[22:23], s[22:23], -1
	v_add_nc_u64_e32 v[0:1], 2, v[0:1]
	s_cmp_eq_u64 s[22:23], 0
	v_add_nc_u64_e32 v[22:23], 2, v[22:23]
	s_cselect_b32 s15, -1, 0
	s_and_not1_b32 s33, s33, exec_lo
	s_and_b32 s15, s15, exec_lo
	s_and_not1_b32 s31, s31, exec_lo
	s_or_b32 s33, s33, s15
	s_branch .LBB627_834
.LBB627_837:
	s_or_b32 exec_lo, exec_lo, s29
	s_and_saveexec_b32 s14, s30
	s_delay_alu instid0(SALU_CYCLE_1)
	s_xor_b32 s14, exec_lo, s14
; %bb.838:
	v_dual_cndmask_b32 v1, v9, v3, s28 :: v_dual_cndmask_b32 v0, v8, v2, s28
	v_dual_cndmask_b32 v3, v3, v9, s28 :: v_dual_cndmask_b32 v2, v2, v8, s28
	s_delay_alu instid0(VALU_DEP_2)
	v_mov_b64_e32 v[8:9], v[0:1]
; %bb.839:
	s_or_b32 exec_lo, exec_lo, s14
.LBB627_840:
	s_delay_alu instid0(SALU_CYCLE_1)
	s_or_b32 exec_lo, exec_lo, s27
	s_and_saveexec_b32 s27, s7
	s_cbranch_execz .LBB627_849
; %bb.841:
	s_and_not1_b32 vcc_lo, exec_lo, s26
	s_cbranch_vccnz .LBB627_849
; %bb.842:
	v_mul_u64_e32 v[0:1], s[16:17], v[16:17]
	v_mul_u64_e32 v[22:23], s[16:17], v[14:15]
	s_mov_b32 s29, 0
	s_mov_b64 s[22:23], s[16:17]
                                        ; implicit-def: $sgpr28
                                        ; implicit-def: $sgpr30
                                        ; implicit-def: $sgpr33
                                        ; implicit-def: $sgpr31
                                        ; implicit-def: $sgpr34
	s_delay_alu instid0(VALU_DEP_2) | instskip(NEXT) | instid1(VALU_DEP_2)
	v_lshl_add_u64 v[0:1], v[0:1], 1, s[18:19]
	v_lshl_add_u64 v[22:23], v[22:23], 1, s[18:19]
	s_branch .LBB627_844
.LBB627_843:                            ;   in Loop: Header=BB627_844 Depth=1
	s_or_b32 exec_lo, exec_lo, s35
	s_and_b32 s14, s14, s34
	s_delay_alu instid0(SALU_CYCLE_1) | instskip(SKIP_1) | instid1(SALU_CYCLE_1)
	s_or_b32 s14, vcc_lo, s14
	s_and_b32 s15, exec_lo, s33
	s_or_b32 s29, s15, s29
	s_and_not1_b32 s15, s34, exec_lo
	s_and_b32 s14, s14, exec_lo
	s_and_not1_b32 s30, s30, exec_lo
	s_and_b32 s35, s31, exec_lo
	s_or_b32 s34, s15, s14
	s_and_not1_b32 s15, s28, exec_lo
	s_or_b32 s30, s30, s35
	s_or_b32 s28, s15, s14
	s_and_not1_b32 exec_lo, exec_lo, s29
	s_cbranch_execz .LBB627_846
.LBB627_844:                            ; =>This Inner Loop Header: Depth=1
	global_load_u16 v25, v[0:1], off
	global_load_u16 v26, v[22:23], off
	s_or_b32 s31, s31, exec_lo
	s_or_b32 s33, s33, exec_lo
	s_mov_b32 s35, exec_lo
	s_wait_loadcnt 0x0
	v_cmp_le_i16_e64 s14, v25, v26
	v_cmp_lt_i16_e32 vcc_lo, v25, v26
	v_cmpx_eq_u16_e64 v25, v26
	s_cbranch_execz .LBB627_843
; %bb.845:                              ;   in Loop: Header=BB627_844 Depth=1
	s_add_nc_u64 s[22:23], s[22:23], -1
	v_add_nc_u64_e32 v[0:1], 2, v[0:1]
	s_cmp_eq_u64 s[22:23], 0
	v_add_nc_u64_e32 v[22:23], 2, v[22:23]
	s_cselect_b32 s15, -1, 0
	s_and_not1_b32 s33, s33, exec_lo
	s_and_b32 s15, s15, exec_lo
	s_and_not1_b32 s31, s31, exec_lo
	s_or_b32 s33, s33, s15
	s_branch .LBB627_843
.LBB627_846:
	s_or_b32 exec_lo, exec_lo, s29
	s_and_saveexec_b32 s14, s30
	s_delay_alu instid0(SALU_CYCLE_1)
	s_xor_b32 s14, exec_lo, s14
; %bb.847:
	v_dual_cndmask_b32 v1, v17, v15, s28 :: v_dual_cndmask_b32 v0, v16, v14, s28
	v_dual_cndmask_b32 v15, v15, v17, s28 :: v_dual_cndmask_b32 v14, v14, v16, s28
	s_delay_alu instid0(VALU_DEP_2)
	v_mov_b64_e32 v[16:17], v[0:1]
; %bb.848:
	s_or_b32 exec_lo, exec_lo, s14
.LBB627_849:
	s_delay_alu instid0(SALU_CYCLE_1)
	s_or_b32 exec_lo, exec_lo, s27
	s_and_saveexec_b32 s27, s8
	s_cbranch_execz .LBB627_858
; %bb.850:
	s_and_not1_b32 vcc_lo, exec_lo, s26
	s_cbranch_vccnz .LBB627_858
; %bb.851:
	v_mul_u64_e32 v[0:1], s[16:17], v[12:13]
	v_mul_u64_e32 v[22:23], s[16:17], v[10:11]
	s_mov_b32 s29, 0
	s_mov_b64 s[22:23], s[16:17]
                                        ; implicit-def: $sgpr28
                                        ; implicit-def: $sgpr30
                                        ; implicit-def: $sgpr33
                                        ; implicit-def: $sgpr31
                                        ; implicit-def: $sgpr34
	s_delay_alu instid0(VALU_DEP_2) | instskip(NEXT) | instid1(VALU_DEP_2)
	v_lshl_add_u64 v[0:1], v[0:1], 1, s[18:19]
	v_lshl_add_u64 v[22:23], v[22:23], 1, s[18:19]
	s_branch .LBB627_853
.LBB627_852:                            ;   in Loop: Header=BB627_853 Depth=1
	s_or_b32 exec_lo, exec_lo, s35
	s_and_b32 s14, s14, s34
	s_delay_alu instid0(SALU_CYCLE_1) | instskip(SKIP_1) | instid1(SALU_CYCLE_1)
	s_or_b32 s14, vcc_lo, s14
	s_and_b32 s15, exec_lo, s33
	s_or_b32 s29, s15, s29
	s_and_not1_b32 s15, s34, exec_lo
	s_and_b32 s14, s14, exec_lo
	s_and_not1_b32 s30, s30, exec_lo
	s_and_b32 s35, s31, exec_lo
	s_or_b32 s34, s15, s14
	s_and_not1_b32 s15, s28, exec_lo
	s_or_b32 s30, s30, s35
	s_or_b32 s28, s15, s14
	s_and_not1_b32 exec_lo, exec_lo, s29
	s_cbranch_execz .LBB627_855
.LBB627_853:                            ; =>This Inner Loop Header: Depth=1
	global_load_u16 v25, v[0:1], off
	global_load_u16 v26, v[22:23], off
	s_or_b32 s31, s31, exec_lo
	s_or_b32 s33, s33, exec_lo
	s_mov_b32 s35, exec_lo
	s_wait_loadcnt 0x0
	v_cmp_le_i16_e64 s14, v25, v26
	v_cmp_lt_i16_e32 vcc_lo, v25, v26
	v_cmpx_eq_u16_e64 v25, v26
	s_cbranch_execz .LBB627_852
; %bb.854:                              ;   in Loop: Header=BB627_853 Depth=1
	s_add_nc_u64 s[22:23], s[22:23], -1
	v_add_nc_u64_e32 v[0:1], 2, v[0:1]
	s_cmp_eq_u64 s[22:23], 0
	v_add_nc_u64_e32 v[22:23], 2, v[22:23]
	s_cselect_b32 s15, -1, 0
	s_and_not1_b32 s33, s33, exec_lo
	s_and_b32 s15, s15, exec_lo
	s_and_not1_b32 s31, s31, exec_lo
	s_or_b32 s33, s33, s15
	s_branch .LBB627_852
.LBB627_855:
	s_or_b32 exec_lo, exec_lo, s29
	s_and_saveexec_b32 s14, s30
	s_delay_alu instid0(SALU_CYCLE_1)
	s_xor_b32 s14, exec_lo, s14
; %bb.856:
	v_dual_cndmask_b32 v1, v11, v13, s28 :: v_dual_cndmask_b32 v0, v10, v12, s28
	v_dual_cndmask_b32 v13, v13, v11, s28 :: v_dual_cndmask_b32 v12, v12, v10, s28
	s_delay_alu instid0(VALU_DEP_2)
	v_mov_b64_e32 v[10:11], v[0:1]
; %bb.857:
	s_or_b32 exec_lo, exec_lo, s14
.LBB627_858:
	s_delay_alu instid0(SALU_CYCLE_1)
	s_or_b32 exec_lo, exec_lo, s27
	s_and_saveexec_b32 s27, s9
	s_cbranch_execz .LBB627_867
; %bb.859:
	s_and_not1_b32 vcc_lo, exec_lo, s26
	s_cbranch_vccnz .LBB627_867
; %bb.860:
	v_mul_u64_e32 v[0:1], s[16:17], v[8:9]
	v_mul_u64_e32 v[22:23], s[16:17], v[6:7]
	s_mov_b32 s29, 0
	s_mov_b64 s[22:23], s[16:17]
                                        ; implicit-def: $sgpr28
                                        ; implicit-def: $sgpr30
                                        ; implicit-def: $sgpr33
                                        ; implicit-def: $sgpr31
                                        ; implicit-def: $sgpr34
	s_delay_alu instid0(VALU_DEP_2) | instskip(NEXT) | instid1(VALU_DEP_2)
	v_lshl_add_u64 v[0:1], v[0:1], 1, s[18:19]
	v_lshl_add_u64 v[22:23], v[22:23], 1, s[18:19]
	s_branch .LBB627_862
.LBB627_861:                            ;   in Loop: Header=BB627_862 Depth=1
	s_or_b32 exec_lo, exec_lo, s35
	s_and_b32 s14, s14, s34
	s_delay_alu instid0(SALU_CYCLE_1) | instskip(SKIP_1) | instid1(SALU_CYCLE_1)
	s_or_b32 s14, vcc_lo, s14
	s_and_b32 s15, exec_lo, s33
	s_or_b32 s29, s15, s29
	s_and_not1_b32 s15, s34, exec_lo
	s_and_b32 s14, s14, exec_lo
	s_and_not1_b32 s30, s30, exec_lo
	s_and_b32 s35, s31, exec_lo
	s_or_b32 s34, s15, s14
	s_and_not1_b32 s15, s28, exec_lo
	s_or_b32 s30, s30, s35
	s_or_b32 s28, s15, s14
	s_and_not1_b32 exec_lo, exec_lo, s29
	s_cbranch_execz .LBB627_864
.LBB627_862:                            ; =>This Inner Loop Header: Depth=1
	global_load_u16 v25, v[0:1], off
	global_load_u16 v26, v[22:23], off
	s_or_b32 s31, s31, exec_lo
	s_or_b32 s33, s33, exec_lo
	s_mov_b32 s35, exec_lo
	s_wait_loadcnt 0x0
	v_cmp_le_i16_e64 s14, v25, v26
	v_cmp_lt_i16_e32 vcc_lo, v25, v26
	v_cmpx_eq_u16_e64 v25, v26
	s_cbranch_execz .LBB627_861
; %bb.863:                              ;   in Loop: Header=BB627_862 Depth=1
	s_add_nc_u64 s[22:23], s[22:23], -1
	v_add_nc_u64_e32 v[0:1], 2, v[0:1]
	s_cmp_eq_u64 s[22:23], 0
	v_add_nc_u64_e32 v[22:23], 2, v[22:23]
	s_cselect_b32 s15, -1, 0
	s_and_not1_b32 s33, s33, exec_lo
	s_and_b32 s15, s15, exec_lo
	s_and_not1_b32 s31, s31, exec_lo
	s_or_b32 s33, s33, s15
	s_branch .LBB627_861
.LBB627_864:
	s_or_b32 exec_lo, exec_lo, s29
	s_and_saveexec_b32 s14, s30
	s_delay_alu instid0(SALU_CYCLE_1)
	s_xor_b32 s14, exec_lo, s14
; %bb.865:
	v_dual_cndmask_b32 v1, v7, v9, s28 :: v_dual_cndmask_b32 v0, v6, v8, s28
	v_dual_cndmask_b32 v9, v9, v7, s28 :: v_dual_cndmask_b32 v8, v8, v6, s28
	s_delay_alu instid0(VALU_DEP_2)
	v_mov_b64_e32 v[6:7], v[0:1]
; %bb.866:
	s_or_b32 exec_lo, exec_lo, s14
.LBB627_867:
	s_delay_alu instid0(SALU_CYCLE_1)
	s_or_b32 exec_lo, exec_lo, s27
	s_and_saveexec_b32 s27, s10
	s_cbranch_execz .LBB627_876
; %bb.868:
	s_and_not1_b32 vcc_lo, exec_lo, s26
	s_cbranch_vccnz .LBB627_876
; %bb.869:
	v_mul_u64_e32 v[0:1], s[16:17], v[4:5]
	v_mul_u64_e32 v[22:23], s[16:17], v[2:3]
	s_mov_b32 s29, 0
	s_mov_b64 s[22:23], s[16:17]
                                        ; implicit-def: $sgpr28
                                        ; implicit-def: $sgpr30
                                        ; implicit-def: $sgpr33
                                        ; implicit-def: $sgpr31
                                        ; implicit-def: $sgpr34
	s_delay_alu instid0(VALU_DEP_2) | instskip(NEXT) | instid1(VALU_DEP_2)
	v_lshl_add_u64 v[0:1], v[0:1], 1, s[18:19]
	v_lshl_add_u64 v[22:23], v[22:23], 1, s[18:19]
	s_branch .LBB627_871
.LBB627_870:                            ;   in Loop: Header=BB627_871 Depth=1
	s_or_b32 exec_lo, exec_lo, s35
	s_and_b32 s14, s14, s34
	s_delay_alu instid0(SALU_CYCLE_1) | instskip(SKIP_1) | instid1(SALU_CYCLE_1)
	s_or_b32 s14, vcc_lo, s14
	s_and_b32 s15, exec_lo, s33
	s_or_b32 s29, s15, s29
	s_and_not1_b32 s15, s34, exec_lo
	s_and_b32 s14, s14, exec_lo
	s_and_not1_b32 s30, s30, exec_lo
	s_and_b32 s35, s31, exec_lo
	s_or_b32 s34, s15, s14
	s_and_not1_b32 s15, s28, exec_lo
	s_or_b32 s30, s30, s35
	s_or_b32 s28, s15, s14
	s_and_not1_b32 exec_lo, exec_lo, s29
	s_cbranch_execz .LBB627_873
.LBB627_871:                            ; =>This Inner Loop Header: Depth=1
	global_load_u16 v25, v[0:1], off
	global_load_u16 v26, v[22:23], off
	s_or_b32 s31, s31, exec_lo
	s_or_b32 s33, s33, exec_lo
	s_mov_b32 s35, exec_lo
	s_wait_loadcnt 0x0
	v_cmp_le_i16_e64 s14, v25, v26
	v_cmp_lt_i16_e32 vcc_lo, v25, v26
	v_cmpx_eq_u16_e64 v25, v26
	s_cbranch_execz .LBB627_870
; %bb.872:                              ;   in Loop: Header=BB627_871 Depth=1
	s_add_nc_u64 s[22:23], s[22:23], -1
	v_add_nc_u64_e32 v[0:1], 2, v[0:1]
	s_cmp_eq_u64 s[22:23], 0
	v_add_nc_u64_e32 v[22:23], 2, v[22:23]
	s_cselect_b32 s15, -1, 0
	s_and_not1_b32 s33, s33, exec_lo
	s_and_b32 s15, s15, exec_lo
	s_and_not1_b32 s31, s31, exec_lo
	s_or_b32 s33, s33, s15
	s_branch .LBB627_870
.LBB627_873:
	s_or_b32 exec_lo, exec_lo, s29
	s_and_saveexec_b32 s14, s30
	s_delay_alu instid0(SALU_CYCLE_1)
	s_xor_b32 s14, exec_lo, s14
; %bb.874:
	v_dual_cndmask_b32 v1, v3, v5, s28 :: v_dual_cndmask_b32 v0, v2, v4, s28
	v_dual_cndmask_b32 v5, v5, v3, s28 :: v_dual_cndmask_b32 v4, v4, v2, s28
	s_delay_alu instid0(VALU_DEP_2)
	v_mov_b64_e32 v[2:3], v[0:1]
; %bb.875:
	s_or_b32 exec_lo, exec_lo, s14
.LBB627_876:
	s_delay_alu instid0(SALU_CYCLE_1)
	s_or_b32 exec_lo, exec_lo, s27
	s_and_saveexec_b32 s27, s11
	s_cbranch_execz .LBB627_885
; %bb.877:
	s_and_not1_b32 vcc_lo, exec_lo, s26
	s_cbranch_vccnz .LBB627_885
; %bb.878:
	v_mul_u64_e32 v[0:1], s[16:17], v[10:11]
	v_mul_u64_e32 v[22:23], s[16:17], v[16:17]
	s_mov_b32 s29, 0
	s_mov_b64 s[22:23], s[16:17]
                                        ; implicit-def: $sgpr28
                                        ; implicit-def: $sgpr30
                                        ; implicit-def: $sgpr33
                                        ; implicit-def: $sgpr31
                                        ; implicit-def: $sgpr34
	s_delay_alu instid0(VALU_DEP_2) | instskip(NEXT) | instid1(VALU_DEP_2)
	v_lshl_add_u64 v[0:1], v[0:1], 1, s[18:19]
	v_lshl_add_u64 v[22:23], v[22:23], 1, s[18:19]
	s_branch .LBB627_880
.LBB627_879:                            ;   in Loop: Header=BB627_880 Depth=1
	s_or_b32 exec_lo, exec_lo, s35
	s_and_b32 s14, s14, s34
	s_delay_alu instid0(SALU_CYCLE_1) | instskip(SKIP_1) | instid1(SALU_CYCLE_1)
	s_or_b32 s14, vcc_lo, s14
	s_and_b32 s15, exec_lo, s33
	s_or_b32 s29, s15, s29
	s_and_not1_b32 s15, s34, exec_lo
	s_and_b32 s14, s14, exec_lo
	s_and_not1_b32 s30, s30, exec_lo
	s_and_b32 s35, s31, exec_lo
	s_or_b32 s34, s15, s14
	s_and_not1_b32 s15, s28, exec_lo
	s_or_b32 s30, s30, s35
	s_or_b32 s28, s15, s14
	s_and_not1_b32 exec_lo, exec_lo, s29
	s_cbranch_execz .LBB627_882
.LBB627_880:                            ; =>This Inner Loop Header: Depth=1
	global_load_u16 v25, v[0:1], off
	global_load_u16 v26, v[22:23], off
	s_or_b32 s31, s31, exec_lo
	s_or_b32 s33, s33, exec_lo
	s_mov_b32 s35, exec_lo
	s_wait_loadcnt 0x0
	v_cmp_le_i16_e64 s14, v25, v26
	v_cmp_lt_i16_e32 vcc_lo, v25, v26
	v_cmpx_eq_u16_e64 v25, v26
	s_cbranch_execz .LBB627_879
; %bb.881:                              ;   in Loop: Header=BB627_880 Depth=1
	s_add_nc_u64 s[22:23], s[22:23], -1
	v_add_nc_u64_e32 v[0:1], 2, v[0:1]
	s_cmp_eq_u64 s[22:23], 0
	v_add_nc_u64_e32 v[22:23], 2, v[22:23]
	s_cselect_b32 s15, -1, 0
	s_and_not1_b32 s33, s33, exec_lo
	s_and_b32 s15, s15, exec_lo
	s_and_not1_b32 s31, s31, exec_lo
	s_or_b32 s33, s33, s15
	s_branch .LBB627_879
.LBB627_882:
	s_or_b32 exec_lo, exec_lo, s29
	s_and_saveexec_b32 s14, s30
	s_delay_alu instid0(SALU_CYCLE_1)
	s_xor_b32 s14, exec_lo, s14
; %bb.883:
	v_dual_cndmask_b32 v1, v17, v11, s28 :: v_dual_cndmask_b32 v0, v16, v10, s28
	v_dual_cndmask_b32 v11, v11, v17, s28 :: v_dual_cndmask_b32 v10, v10, v16, s28
	s_delay_alu instid0(VALU_DEP_2)
	v_mov_b64_e32 v[16:17], v[0:1]
; %bb.884:
	s_or_b32 exec_lo, exec_lo, s14
.LBB627_885:
	s_delay_alu instid0(SALU_CYCLE_1)
	s_or_b32 exec_lo, exec_lo, s27
	s_and_saveexec_b32 s27, s12
	s_cbranch_execz .LBB627_894
; %bb.886:
	s_and_not1_b32 vcc_lo, exec_lo, s26
	s_cbranch_vccnz .LBB627_894
; %bb.887:
	v_mul_u64_e32 v[0:1], s[16:17], v[6:7]
	v_mul_u64_e32 v[22:23], s[16:17], v[12:13]
	s_mov_b32 s29, 0
	s_mov_b64 s[22:23], s[16:17]
                                        ; implicit-def: $sgpr28
                                        ; implicit-def: $sgpr30
                                        ; implicit-def: $sgpr33
                                        ; implicit-def: $sgpr31
                                        ; implicit-def: $sgpr34
	s_delay_alu instid0(VALU_DEP_2) | instskip(NEXT) | instid1(VALU_DEP_2)
	v_lshl_add_u64 v[0:1], v[0:1], 1, s[18:19]
	v_lshl_add_u64 v[22:23], v[22:23], 1, s[18:19]
	s_branch .LBB627_889
.LBB627_888:                            ;   in Loop: Header=BB627_889 Depth=1
	s_or_b32 exec_lo, exec_lo, s35
	s_and_b32 s14, s14, s34
	s_delay_alu instid0(SALU_CYCLE_1) | instskip(SKIP_1) | instid1(SALU_CYCLE_1)
	s_or_b32 s14, vcc_lo, s14
	s_and_b32 s15, exec_lo, s33
	s_or_b32 s29, s15, s29
	s_and_not1_b32 s15, s34, exec_lo
	s_and_b32 s14, s14, exec_lo
	s_and_not1_b32 s30, s30, exec_lo
	s_and_b32 s35, s31, exec_lo
	s_or_b32 s34, s15, s14
	s_and_not1_b32 s15, s28, exec_lo
	s_or_b32 s30, s30, s35
	s_or_b32 s28, s15, s14
	s_and_not1_b32 exec_lo, exec_lo, s29
	s_cbranch_execz .LBB627_891
.LBB627_889:                            ; =>This Inner Loop Header: Depth=1
	global_load_u16 v25, v[0:1], off
	global_load_u16 v26, v[22:23], off
	s_or_b32 s31, s31, exec_lo
	s_or_b32 s33, s33, exec_lo
	s_mov_b32 s35, exec_lo
	s_wait_loadcnt 0x0
	v_cmp_le_i16_e64 s14, v25, v26
	v_cmp_lt_i16_e32 vcc_lo, v25, v26
	v_cmpx_eq_u16_e64 v25, v26
	s_cbranch_execz .LBB627_888
; %bb.890:                              ;   in Loop: Header=BB627_889 Depth=1
	s_add_nc_u64 s[22:23], s[22:23], -1
	v_add_nc_u64_e32 v[0:1], 2, v[0:1]
	s_cmp_eq_u64 s[22:23], 0
	v_add_nc_u64_e32 v[22:23], 2, v[22:23]
	s_cselect_b32 s15, -1, 0
	s_and_not1_b32 s33, s33, exec_lo
	s_and_b32 s15, s15, exec_lo
	s_and_not1_b32 s31, s31, exec_lo
	s_or_b32 s33, s33, s15
	s_branch .LBB627_888
.LBB627_891:
	s_or_b32 exec_lo, exec_lo, s29
	s_and_saveexec_b32 s14, s30
	s_delay_alu instid0(SALU_CYCLE_1)
	s_xor_b32 s14, exec_lo, s14
; %bb.892:
	v_dual_cndmask_b32 v1, v13, v7, s28 :: v_dual_cndmask_b32 v0, v12, v6, s28
	v_dual_cndmask_b32 v7, v7, v13, s28 :: v_dual_cndmask_b32 v6, v6, v12, s28
	s_delay_alu instid0(VALU_DEP_2)
	v_mov_b64_e32 v[12:13], v[0:1]
; %bb.893:
	s_or_b32 exec_lo, exec_lo, s14
.LBB627_894:
	s_delay_alu instid0(SALU_CYCLE_1)
	s_or_b32 exec_lo, exec_lo, s27
	s_and_saveexec_b32 s27, s13
	s_cbranch_execz .LBB627_903
; %bb.895:
	s_and_not1_b32 vcc_lo, exec_lo, s26
	s_cbranch_vccnz .LBB627_903
; %bb.896:
	v_mul_u64_e32 v[0:1], s[16:17], v[2:3]
	v_mul_u64_e32 v[22:23], s[16:17], v[8:9]
	s_mov_b32 s29, 0
	s_mov_b64 s[22:23], s[16:17]
                                        ; implicit-def: $sgpr28
                                        ; implicit-def: $sgpr30
                                        ; implicit-def: $sgpr33
                                        ; implicit-def: $sgpr31
                                        ; implicit-def: $sgpr34
	s_delay_alu instid0(VALU_DEP_2) | instskip(NEXT) | instid1(VALU_DEP_2)
	v_lshl_add_u64 v[0:1], v[0:1], 1, s[18:19]
	v_lshl_add_u64 v[22:23], v[22:23], 1, s[18:19]
	s_branch .LBB627_898
.LBB627_897:                            ;   in Loop: Header=BB627_898 Depth=1
	s_or_b32 exec_lo, exec_lo, s35
	s_and_b32 s14, s14, s34
	s_delay_alu instid0(SALU_CYCLE_1) | instskip(SKIP_1) | instid1(SALU_CYCLE_1)
	s_or_b32 s14, vcc_lo, s14
	s_and_b32 s15, exec_lo, s33
	s_or_b32 s29, s15, s29
	s_and_not1_b32 s15, s34, exec_lo
	s_and_b32 s14, s14, exec_lo
	s_and_not1_b32 s30, s30, exec_lo
	s_and_b32 s35, s31, exec_lo
	s_or_b32 s34, s15, s14
	s_and_not1_b32 s15, s28, exec_lo
	s_or_b32 s30, s30, s35
	s_or_b32 s28, s15, s14
	s_and_not1_b32 exec_lo, exec_lo, s29
	s_cbranch_execz .LBB627_900
.LBB627_898:                            ; =>This Inner Loop Header: Depth=1
	global_load_u16 v25, v[0:1], off
	global_load_u16 v26, v[22:23], off
	s_or_b32 s31, s31, exec_lo
	s_or_b32 s33, s33, exec_lo
	s_mov_b32 s35, exec_lo
	s_wait_loadcnt 0x0
	v_cmp_le_i16_e64 s14, v25, v26
	v_cmp_lt_i16_e32 vcc_lo, v25, v26
	v_cmpx_eq_u16_e64 v25, v26
	s_cbranch_execz .LBB627_897
; %bb.899:                              ;   in Loop: Header=BB627_898 Depth=1
	s_add_nc_u64 s[22:23], s[22:23], -1
	v_add_nc_u64_e32 v[0:1], 2, v[0:1]
	s_cmp_eq_u64 s[22:23], 0
	v_add_nc_u64_e32 v[22:23], 2, v[22:23]
	s_cselect_b32 s15, -1, 0
	s_and_not1_b32 s33, s33, exec_lo
	s_and_b32 s15, s15, exec_lo
	s_and_not1_b32 s31, s31, exec_lo
	s_or_b32 s33, s33, s15
	s_branch .LBB627_897
.LBB627_900:
	s_or_b32 exec_lo, exec_lo, s29
	s_and_saveexec_b32 s14, s30
	s_delay_alu instid0(SALU_CYCLE_1)
	s_xor_b32 s14, exec_lo, s14
; %bb.901:
	v_dual_cndmask_b32 v1, v9, v3, s28 :: v_dual_cndmask_b32 v0, v8, v2, s28
	v_dual_cndmask_b32 v3, v3, v9, s28 :: v_dual_cndmask_b32 v2, v2, v8, s28
	s_delay_alu instid0(VALU_DEP_2)
	v_mov_b64_e32 v[8:9], v[0:1]
; %bb.902:
	s_or_b32 exec_lo, exec_lo, s14
.LBB627_903:
	s_delay_alu instid0(SALU_CYCLE_1)
	s_or_b32 exec_lo, exec_lo, s27
	s_and_saveexec_b32 s15, s7
	s_cbranch_execz .LBB627_912
; %bb.904:
	s_and_not1_b32 vcc_lo, exec_lo, s26
	s_cbranch_vccnz .LBB627_912
; %bb.905:
	v_mul_u64_e32 v[0:1], s[16:17], v[16:17]
	v_mul_u64_e32 v[22:23], s[16:17], v[14:15]
	s_mov_b32 s28, 0
	s_mov_b64 s[22:23], s[16:17]
                                        ; implicit-def: $sgpr27
                                        ; implicit-def: $sgpr29
                                        ; implicit-def: $sgpr31
                                        ; implicit-def: $sgpr30
                                        ; implicit-def: $sgpr33
	s_delay_alu instid0(VALU_DEP_2) | instskip(NEXT) | instid1(VALU_DEP_2)
	v_lshl_add_u64 v[0:1], v[0:1], 1, s[18:19]
	v_lshl_add_u64 v[22:23], v[22:23], 1, s[18:19]
	s_branch .LBB627_907
.LBB627_906:                            ;   in Loop: Header=BB627_907 Depth=1
	s_or_b32 exec_lo, exec_lo, s34
	s_and_b32 s7, s7, s33
	s_delay_alu instid0(SALU_CYCLE_1) | instskip(SKIP_1) | instid1(SALU_CYCLE_1)
	s_or_b32 s7, vcc_lo, s7
	s_and_b32 s14, exec_lo, s31
	s_or_b32 s28, s14, s28
	s_and_not1_b32 s14, s33, exec_lo
	s_and_b32 s7, s7, exec_lo
	s_and_not1_b32 s29, s29, exec_lo
	s_and_b32 s34, s30, exec_lo
	s_or_b32 s33, s14, s7
	s_and_not1_b32 s14, s27, exec_lo
	s_or_b32 s29, s29, s34
	s_or_b32 s27, s14, s7
	s_and_not1_b32 exec_lo, exec_lo, s28
	s_cbranch_execz .LBB627_909
.LBB627_907:                            ; =>This Inner Loop Header: Depth=1
	global_load_u16 v25, v[0:1], off
	global_load_u16 v26, v[22:23], off
	s_or_b32 s30, s30, exec_lo
	s_or_b32 s31, s31, exec_lo
	s_mov_b32 s34, exec_lo
	s_wait_loadcnt 0x0
	v_cmp_le_i16_e64 s7, v25, v26
	v_cmp_lt_i16_e32 vcc_lo, v25, v26
	v_cmpx_eq_u16_e64 v25, v26
	s_cbranch_execz .LBB627_906
; %bb.908:                              ;   in Loop: Header=BB627_907 Depth=1
	s_add_nc_u64 s[22:23], s[22:23], -1
	v_add_nc_u64_e32 v[0:1], 2, v[0:1]
	s_cmp_eq_u64 s[22:23], 0
	v_add_nc_u64_e32 v[22:23], 2, v[22:23]
	s_cselect_b32 s14, -1, 0
	s_and_not1_b32 s31, s31, exec_lo
	s_and_b32 s14, s14, exec_lo
	s_and_not1_b32 s30, s30, exec_lo
	s_or_b32 s31, s31, s14
	s_branch .LBB627_906
.LBB627_909:
	s_or_b32 exec_lo, exec_lo, s28
	s_and_saveexec_b32 s7, s29
	s_delay_alu instid0(SALU_CYCLE_1)
	s_xor_b32 s7, exec_lo, s7
; %bb.910:
	v_dual_cndmask_b32 v1, v17, v15, s27 :: v_dual_cndmask_b32 v0, v16, v14, s27
	v_dual_cndmask_b32 v15, v15, v17, s27 :: v_dual_cndmask_b32 v14, v14, v16, s27
	s_delay_alu instid0(VALU_DEP_2)
	v_mov_b64_e32 v[16:17], v[0:1]
; %bb.911:
	s_or_b32 exec_lo, exec_lo, s7
.LBB627_912:
	s_delay_alu instid0(SALU_CYCLE_1)
	s_or_b32 exec_lo, exec_lo, s15
	s_and_saveexec_b32 s22, s8
	s_cbranch_execz .LBB627_921
; %bb.913:
	s_and_not1_b32 vcc_lo, exec_lo, s26
	s_cbranch_vccnz .LBB627_921
; %bb.914:
	v_mul_u64_e32 v[0:1], s[16:17], v[12:13]
	v_mul_u64_e32 v[22:23], s[16:17], v[10:11]
	s_mov_b32 s27, 0
	s_mov_b64 s[14:15], s[16:17]
                                        ; implicit-def: $sgpr23
                                        ; implicit-def: $sgpr28
                                        ; implicit-def: $sgpr30
                                        ; implicit-def: $sgpr29
                                        ; implicit-def: $sgpr31
	s_delay_alu instid0(VALU_DEP_2) | instskip(NEXT) | instid1(VALU_DEP_2)
	v_lshl_add_u64 v[0:1], v[0:1], 1, s[18:19]
	v_lshl_add_u64 v[22:23], v[22:23], 1, s[18:19]
	s_branch .LBB627_916
.LBB627_915:                            ;   in Loop: Header=BB627_916 Depth=1
	s_or_b32 exec_lo, exec_lo, s33
	s_and_b32 s7, s7, s31
	s_delay_alu instid0(SALU_CYCLE_1) | instskip(SKIP_1) | instid1(SALU_CYCLE_1)
	s_or_b32 s7, vcc_lo, s7
	s_and_b32 s8, exec_lo, s30
	s_or_b32 s27, s8, s27
	s_and_not1_b32 s8, s31, exec_lo
	s_and_b32 s7, s7, exec_lo
	s_and_not1_b32 s28, s28, exec_lo
	s_and_b32 s33, s29, exec_lo
	s_or_b32 s31, s8, s7
	s_and_not1_b32 s8, s23, exec_lo
	s_or_b32 s28, s28, s33
	s_or_b32 s23, s8, s7
	s_and_not1_b32 exec_lo, exec_lo, s27
	s_cbranch_execz .LBB627_918
.LBB627_916:                            ; =>This Inner Loop Header: Depth=1
	global_load_u16 v25, v[0:1], off
	global_load_u16 v26, v[22:23], off
	s_or_b32 s29, s29, exec_lo
	s_or_b32 s30, s30, exec_lo
	s_mov_b32 s33, exec_lo
	s_wait_loadcnt 0x0
	v_cmp_le_i16_e64 s7, v25, v26
	v_cmp_lt_i16_e32 vcc_lo, v25, v26
	v_cmpx_eq_u16_e64 v25, v26
	s_cbranch_execz .LBB627_915
; %bb.917:                              ;   in Loop: Header=BB627_916 Depth=1
	s_add_nc_u64 s[14:15], s[14:15], -1
	v_add_nc_u64_e32 v[0:1], 2, v[0:1]
	s_cmp_eq_u64 s[14:15], 0
	v_add_nc_u64_e32 v[22:23], 2, v[22:23]
	s_cselect_b32 s8, -1, 0
	s_and_not1_b32 s30, s30, exec_lo
	s_and_b32 s8, s8, exec_lo
	s_and_not1_b32 s29, s29, exec_lo
	s_or_b32 s30, s30, s8
	s_branch .LBB627_915
.LBB627_918:
	s_or_b32 exec_lo, exec_lo, s27
	s_and_saveexec_b32 s7, s28
	s_delay_alu instid0(SALU_CYCLE_1)
	s_xor_b32 s7, exec_lo, s7
; %bb.919:
	v_dual_cndmask_b32 v1, v11, v13, s23 :: v_dual_cndmask_b32 v0, v10, v12, s23
	v_dual_cndmask_b32 v13, v13, v11, s23 :: v_dual_cndmask_b32 v12, v12, v10, s23
	s_delay_alu instid0(VALU_DEP_2)
	v_mov_b64_e32 v[10:11], v[0:1]
; %bb.920:
	s_or_b32 exec_lo, exec_lo, s7
.LBB627_921:
	s_delay_alu instid0(SALU_CYCLE_1)
	s_or_b32 exec_lo, exec_lo, s22
	s_and_saveexec_b32 s22, s9
	s_cbranch_execz .LBB627_930
; %bb.922:
	s_and_not1_b32 vcc_lo, exec_lo, s26
	s_cbranch_vccnz .LBB627_930
; %bb.923:
	v_mul_u64_e32 v[0:1], s[16:17], v[8:9]
	v_mul_u64_e32 v[22:23], s[16:17], v[6:7]
	s_mov_b32 s23, 0
	s_mov_b64 s[14:15], s[16:17]
                                        ; implicit-def: $sgpr9
                                        ; implicit-def: $sgpr27
                                        ; implicit-def: $sgpr29
                                        ; implicit-def: $sgpr28
                                        ; implicit-def: $sgpr30
	s_delay_alu instid0(VALU_DEP_2) | instskip(NEXT) | instid1(VALU_DEP_2)
	v_lshl_add_u64 v[0:1], v[0:1], 1, s[18:19]
	v_lshl_add_u64 v[22:23], v[22:23], 1, s[18:19]
	s_branch .LBB627_925
.LBB627_924:                            ;   in Loop: Header=BB627_925 Depth=1
	s_or_b32 exec_lo, exec_lo, s31
	s_and_b32 s7, s7, s30
	s_delay_alu instid0(SALU_CYCLE_1) | instskip(SKIP_1) | instid1(SALU_CYCLE_1)
	s_or_b32 s7, vcc_lo, s7
	s_and_b32 s8, exec_lo, s29
	s_or_b32 s23, s8, s23
	s_and_not1_b32 s8, s30, exec_lo
	s_and_b32 s7, s7, exec_lo
	s_and_not1_b32 s27, s27, exec_lo
	s_and_b32 s31, s28, exec_lo
	s_or_b32 s30, s8, s7
	s_and_not1_b32 s8, s9, exec_lo
	s_or_b32 s27, s27, s31
	s_or_b32 s9, s8, s7
	s_and_not1_b32 exec_lo, exec_lo, s23
	s_cbranch_execz .LBB627_927
.LBB627_925:                            ; =>This Inner Loop Header: Depth=1
	global_load_u16 v25, v[0:1], off
	global_load_u16 v26, v[22:23], off
	s_or_b32 s28, s28, exec_lo
	s_or_b32 s29, s29, exec_lo
	s_mov_b32 s31, exec_lo
	s_wait_loadcnt 0x0
	v_cmp_le_i16_e64 s7, v25, v26
	v_cmp_lt_i16_e32 vcc_lo, v25, v26
	v_cmpx_eq_u16_e64 v25, v26
	s_cbranch_execz .LBB627_924
; %bb.926:                              ;   in Loop: Header=BB627_925 Depth=1
	s_add_nc_u64 s[14:15], s[14:15], -1
	v_add_nc_u64_e32 v[0:1], 2, v[0:1]
	s_cmp_eq_u64 s[14:15], 0
	v_add_nc_u64_e32 v[22:23], 2, v[22:23]
	s_cselect_b32 s8, -1, 0
	s_and_not1_b32 s29, s29, exec_lo
	s_and_b32 s8, s8, exec_lo
	s_and_not1_b32 s28, s28, exec_lo
	s_or_b32 s29, s29, s8
	s_branch .LBB627_924
.LBB627_927:
	s_or_b32 exec_lo, exec_lo, s23
	s_and_saveexec_b32 s7, s27
	s_delay_alu instid0(SALU_CYCLE_1)
	s_xor_b32 s7, exec_lo, s7
; %bb.928:
	v_dual_cndmask_b32 v1, v7, v9, s9 :: v_dual_cndmask_b32 v0, v6, v8, s9
	v_dual_cndmask_b32 v9, v9, v7, s9 :: v_dual_cndmask_b32 v8, v8, v6, s9
	s_delay_alu instid0(VALU_DEP_2)
	v_mov_b64_e32 v[6:7], v[0:1]
; %bb.929:
	s_or_b32 exec_lo, exec_lo, s7
.LBB627_930:
	s_delay_alu instid0(SALU_CYCLE_1)
	s_or_b32 exec_lo, exec_lo, s22
	s_and_saveexec_b32 s9, s10
	s_cbranch_execz .LBB627_939
; %bb.931:
	s_and_not1_b32 vcc_lo, exec_lo, s26
	s_cbranch_vccnz .LBB627_939
; %bb.932:
	v_mul_u64_e32 v[0:1], s[16:17], v[4:5]
	v_mul_u64_e32 v[22:23], s[16:17], v[2:3]
	s_mov_b32 s22, 0
	s_mov_b64 s[14:15], s[16:17]
                                        ; implicit-def: $sgpr10
                                        ; implicit-def: $sgpr23
                                        ; implicit-def: $sgpr28
                                        ; implicit-def: $sgpr27
                                        ; implicit-def: $sgpr29
	s_delay_alu instid0(VALU_DEP_2) | instskip(NEXT) | instid1(VALU_DEP_2)
	v_lshl_add_u64 v[0:1], v[0:1], 1, s[18:19]
	v_lshl_add_u64 v[22:23], v[22:23], 1, s[18:19]
	s_branch .LBB627_934
.LBB627_933:                            ;   in Loop: Header=BB627_934 Depth=1
	s_or_b32 exec_lo, exec_lo, s30
	s_and_b32 s7, s7, s29
	s_delay_alu instid0(SALU_CYCLE_1) | instskip(SKIP_1) | instid1(SALU_CYCLE_1)
	s_or_b32 s7, vcc_lo, s7
	s_and_b32 s8, exec_lo, s28
	s_or_b32 s22, s8, s22
	s_and_not1_b32 s8, s29, exec_lo
	s_and_b32 s7, s7, exec_lo
	s_and_not1_b32 s23, s23, exec_lo
	s_and_b32 s30, s27, exec_lo
	s_or_b32 s29, s8, s7
	s_and_not1_b32 s8, s10, exec_lo
	s_or_b32 s23, s23, s30
	s_or_b32 s10, s8, s7
	s_and_not1_b32 exec_lo, exec_lo, s22
	s_cbranch_execz .LBB627_936
.LBB627_934:                            ; =>This Inner Loop Header: Depth=1
	global_load_u16 v25, v[0:1], off
	global_load_u16 v26, v[22:23], off
	s_or_b32 s27, s27, exec_lo
	s_or_b32 s28, s28, exec_lo
	s_mov_b32 s30, exec_lo
	s_wait_loadcnt 0x0
	v_cmp_le_i16_e64 s7, v25, v26
	v_cmp_lt_i16_e32 vcc_lo, v25, v26
	v_cmpx_eq_u16_e64 v25, v26
	s_cbranch_execz .LBB627_933
; %bb.935:                              ;   in Loop: Header=BB627_934 Depth=1
	s_add_nc_u64 s[14:15], s[14:15], -1
	v_add_nc_u64_e32 v[0:1], 2, v[0:1]
	s_cmp_eq_u64 s[14:15], 0
	v_add_nc_u64_e32 v[22:23], 2, v[22:23]
	s_cselect_b32 s8, -1, 0
	s_and_not1_b32 s28, s28, exec_lo
	s_and_b32 s8, s8, exec_lo
	s_and_not1_b32 s27, s27, exec_lo
	s_or_b32 s28, s28, s8
	s_branch .LBB627_933
.LBB627_936:
	s_or_b32 exec_lo, exec_lo, s22
	s_and_saveexec_b32 s7, s23
	s_delay_alu instid0(SALU_CYCLE_1)
	s_xor_b32 s7, exec_lo, s7
; %bb.937:
	v_dual_cndmask_b32 v1, v3, v5, s10 :: v_dual_cndmask_b32 v0, v2, v4, s10
	v_dual_cndmask_b32 v5, v5, v3, s10 :: v_dual_cndmask_b32 v4, v4, v2, s10
	s_delay_alu instid0(VALU_DEP_2)
	v_mov_b64_e32 v[2:3], v[0:1]
; %bb.938:
	s_or_b32 exec_lo, exec_lo, s7
.LBB627_939:
	s_delay_alu instid0(SALU_CYCLE_1)
	s_or_b32 exec_lo, exec_lo, s9
	s_and_saveexec_b32 s9, s11
	s_cbranch_execz .LBB627_948
; %bb.940:
	s_and_not1_b32 vcc_lo, exec_lo, s26
	s_cbranch_vccnz .LBB627_948
; %bb.941:
	v_mul_u64_e32 v[0:1], s[16:17], v[10:11]
	v_mul_u64_e32 v[22:23], s[16:17], v[16:17]
	s_mov_b32 s15, 0
	s_mov_b64 s[10:11], s[16:17]
                                        ; implicit-def: $sgpr14
                                        ; implicit-def: $sgpr22
                                        ; implicit-def: $sgpr27
                                        ; implicit-def: $sgpr23
                                        ; implicit-def: $sgpr28
	s_delay_alu instid0(VALU_DEP_2) | instskip(NEXT) | instid1(VALU_DEP_2)
	v_lshl_add_u64 v[0:1], v[0:1], 1, s[18:19]
	v_lshl_add_u64 v[22:23], v[22:23], 1, s[18:19]
	s_branch .LBB627_943
.LBB627_942:                            ;   in Loop: Header=BB627_943 Depth=1
	s_or_b32 exec_lo, exec_lo, s29
	s_and_b32 s7, s7, s28
	s_delay_alu instid0(SALU_CYCLE_1) | instskip(SKIP_1) | instid1(SALU_CYCLE_1)
	s_or_b32 s7, vcc_lo, s7
	s_and_b32 s8, exec_lo, s27
	s_or_b32 s15, s8, s15
	s_and_not1_b32 s8, s28, exec_lo
	s_and_b32 s7, s7, exec_lo
	s_and_not1_b32 s22, s22, exec_lo
	s_and_b32 s29, s23, exec_lo
	s_or_b32 s28, s8, s7
	s_and_not1_b32 s8, s14, exec_lo
	s_or_b32 s22, s22, s29
	s_or_b32 s14, s8, s7
	s_and_not1_b32 exec_lo, exec_lo, s15
	s_cbranch_execz .LBB627_945
.LBB627_943:                            ; =>This Inner Loop Header: Depth=1
	global_load_u16 v25, v[0:1], off
	global_load_u16 v26, v[22:23], off
	s_or_b32 s23, s23, exec_lo
	s_or_b32 s27, s27, exec_lo
	s_mov_b32 s29, exec_lo
	s_wait_loadcnt 0x0
	v_cmp_le_i16_e64 s7, v25, v26
	v_cmp_lt_i16_e32 vcc_lo, v25, v26
	v_cmpx_eq_u16_e64 v25, v26
	s_cbranch_execz .LBB627_942
; %bb.944:                              ;   in Loop: Header=BB627_943 Depth=1
	s_add_nc_u64 s[10:11], s[10:11], -1
	v_add_nc_u64_e32 v[0:1], 2, v[0:1]
	s_cmp_eq_u64 s[10:11], 0
	v_add_nc_u64_e32 v[22:23], 2, v[22:23]
	s_cselect_b32 s8, -1, 0
	s_and_not1_b32 s27, s27, exec_lo
	s_and_b32 s8, s8, exec_lo
	s_and_not1_b32 s23, s23, exec_lo
	s_or_b32 s27, s27, s8
	s_branch .LBB627_942
.LBB627_945:
	s_or_b32 exec_lo, exec_lo, s15
	s_and_saveexec_b32 s7, s22
	s_delay_alu instid0(SALU_CYCLE_1)
	s_xor_b32 s7, exec_lo, s7
; %bb.946:
	v_dual_cndmask_b32 v1, v17, v11, s14 :: v_dual_cndmask_b32 v0, v16, v10, s14
	v_dual_cndmask_b32 v11, v11, v17, s14 :: v_dual_cndmask_b32 v10, v10, v16, s14
	s_delay_alu instid0(VALU_DEP_2)
	v_mov_b64_e32 v[16:17], v[0:1]
; %bb.947:
	s_or_b32 exec_lo, exec_lo, s7
.LBB627_948:
	s_delay_alu instid0(SALU_CYCLE_1)
	s_or_b32 exec_lo, exec_lo, s9
	s_and_saveexec_b32 s9, s12
	s_cbranch_execz .LBB627_957
; %bb.949:
	s_and_not1_b32 vcc_lo, exec_lo, s26
	s_cbranch_vccnz .LBB627_957
; %bb.950:
	v_mul_u64_e32 v[0:1], s[16:17], v[6:7]
	v_mul_u64_e32 v[22:23], s[16:17], v[12:13]
	s_mov_b32 s14, 0
	s_mov_b64 s[10:11], s[16:17]
                                        ; implicit-def: $sgpr12
                                        ; implicit-def: $sgpr15
                                        ; implicit-def: $sgpr23
                                        ; implicit-def: $sgpr22
                                        ; implicit-def: $sgpr27
	s_delay_alu instid0(VALU_DEP_2) | instskip(NEXT) | instid1(VALU_DEP_2)
	v_lshl_add_u64 v[0:1], v[0:1], 1, s[18:19]
	v_lshl_add_u64 v[22:23], v[22:23], 1, s[18:19]
	s_branch .LBB627_952
.LBB627_951:                            ;   in Loop: Header=BB627_952 Depth=1
	s_or_b32 exec_lo, exec_lo, s28
	s_and_b32 s7, s7, s27
	s_delay_alu instid0(SALU_CYCLE_1) | instskip(SKIP_1) | instid1(SALU_CYCLE_1)
	s_or_b32 s7, vcc_lo, s7
	s_and_b32 s8, exec_lo, s23
	s_or_b32 s14, s8, s14
	s_and_not1_b32 s8, s27, exec_lo
	s_and_b32 s7, s7, exec_lo
	s_and_not1_b32 s15, s15, exec_lo
	s_and_b32 s28, s22, exec_lo
	s_or_b32 s27, s8, s7
	s_and_not1_b32 s8, s12, exec_lo
	s_or_b32 s15, s15, s28
	s_or_b32 s12, s8, s7
	s_and_not1_b32 exec_lo, exec_lo, s14
	s_cbranch_execz .LBB627_954
.LBB627_952:                            ; =>This Inner Loop Header: Depth=1
	global_load_u16 v25, v[0:1], off
	global_load_u16 v26, v[22:23], off
	s_or_b32 s22, s22, exec_lo
	s_or_b32 s23, s23, exec_lo
	s_mov_b32 s28, exec_lo
	s_wait_loadcnt 0x0
	v_cmp_le_i16_e64 s7, v25, v26
	v_cmp_lt_i16_e32 vcc_lo, v25, v26
	v_cmpx_eq_u16_e64 v25, v26
	s_cbranch_execz .LBB627_951
; %bb.953:                              ;   in Loop: Header=BB627_952 Depth=1
	s_add_nc_u64 s[10:11], s[10:11], -1
	v_add_nc_u64_e32 v[0:1], 2, v[0:1]
	s_cmp_eq_u64 s[10:11], 0
	v_add_nc_u64_e32 v[22:23], 2, v[22:23]
	s_cselect_b32 s8, -1, 0
	s_and_not1_b32 s23, s23, exec_lo
	s_and_b32 s8, s8, exec_lo
	s_and_not1_b32 s22, s22, exec_lo
	s_or_b32 s23, s23, s8
	s_branch .LBB627_951
.LBB627_954:
	s_or_b32 exec_lo, exec_lo, s14
	s_and_saveexec_b32 s7, s15
	s_delay_alu instid0(SALU_CYCLE_1)
	s_xor_b32 s7, exec_lo, s7
; %bb.955:
	v_dual_cndmask_b32 v1, v13, v7, s12 :: v_dual_cndmask_b32 v0, v12, v6, s12
	v_dual_cndmask_b32 v7, v7, v13, s12 :: v_dual_cndmask_b32 v6, v6, v12, s12
	s_delay_alu instid0(VALU_DEP_2)
	v_mov_b64_e32 v[12:13], v[0:1]
; %bb.956:
	s_or_b32 exec_lo, exec_lo, s7
.LBB627_957:
	s_delay_alu instid0(SALU_CYCLE_1)
	s_or_b32 exec_lo, exec_lo, s9
	s_and_saveexec_b32 s9, s13
	s_cbranch_execz .LBB627_966
; %bb.958:
	s_and_not1_b32 vcc_lo, exec_lo, s26
	s_cbranch_vccnz .LBB627_966
; %bb.959:
	v_mul_u64_e32 v[0:1], s[16:17], v[2:3]
	v_mul_u64_e32 v[22:23], s[16:17], v[8:9]
	s_mov_b32 s13, 0
	s_mov_b64 s[10:11], s[16:17]
                                        ; implicit-def: $sgpr12
                                        ; implicit-def: $sgpr14
                                        ; implicit-def: $sgpr22
                                        ; implicit-def: $sgpr15
                                        ; implicit-def: $sgpr23
	s_delay_alu instid0(VALU_DEP_2) | instskip(NEXT) | instid1(VALU_DEP_2)
	v_lshl_add_u64 v[0:1], v[0:1], 1, s[18:19]
	v_lshl_add_u64 v[22:23], v[22:23], 1, s[18:19]
	s_branch .LBB627_961
.LBB627_960:                            ;   in Loop: Header=BB627_961 Depth=1
	s_or_b32 exec_lo, exec_lo, s27
	s_and_b32 s7, s7, s23
	s_delay_alu instid0(SALU_CYCLE_1) | instskip(SKIP_1) | instid1(SALU_CYCLE_1)
	s_or_b32 s7, vcc_lo, s7
	s_and_b32 s8, exec_lo, s22
	s_or_b32 s13, s8, s13
	s_and_not1_b32 s8, s23, exec_lo
	s_and_b32 s7, s7, exec_lo
	s_and_not1_b32 s14, s14, exec_lo
	s_and_b32 s27, s15, exec_lo
	s_or_b32 s23, s8, s7
	s_and_not1_b32 s8, s12, exec_lo
	s_or_b32 s14, s14, s27
	s_or_b32 s12, s8, s7
	s_and_not1_b32 exec_lo, exec_lo, s13
	s_cbranch_execz .LBB627_963
.LBB627_961:                            ; =>This Inner Loop Header: Depth=1
	global_load_u16 v25, v[0:1], off
	global_load_u16 v26, v[22:23], off
	s_or_b32 s15, s15, exec_lo
	s_or_b32 s22, s22, exec_lo
	s_mov_b32 s27, exec_lo
	s_wait_loadcnt 0x0
	v_cmp_le_i16_e64 s7, v25, v26
	v_cmp_lt_i16_e32 vcc_lo, v25, v26
	v_cmpx_eq_u16_e64 v25, v26
	s_cbranch_execz .LBB627_960
; %bb.962:                              ;   in Loop: Header=BB627_961 Depth=1
	s_add_nc_u64 s[10:11], s[10:11], -1
	v_add_nc_u64_e32 v[0:1], 2, v[0:1]
	s_cmp_eq_u64 s[10:11], 0
	v_add_nc_u64_e32 v[22:23], 2, v[22:23]
	s_cselect_b32 s8, -1, 0
	s_and_not1_b32 s22, s22, exec_lo
	s_and_b32 s8, s8, exec_lo
	s_and_not1_b32 s15, s15, exec_lo
	s_or_b32 s22, s22, s8
	s_branch .LBB627_960
.LBB627_963:
	s_or_b32 exec_lo, exec_lo, s13
	s_and_saveexec_b32 s7, s14
	s_delay_alu instid0(SALU_CYCLE_1)
	s_xor_b32 s7, exec_lo, s7
; %bb.964:
	v_dual_cndmask_b32 v1, v9, v3, s12 :: v_dual_cndmask_b32 v0, v8, v2, s12
	v_dual_cndmask_b32 v3, v3, v9, s12 :: v_dual_cndmask_b32 v2, v2, v8, s12
	s_delay_alu instid0(VALU_DEP_2)
	v_mov_b64_e32 v[8:9], v[0:1]
; %bb.965:
	s_or_b32 exec_lo, exec_lo, s7
.LBB627_966:
	s_delay_alu instid0(SALU_CYCLE_1) | instskip(SKIP_4) | instid1(VALU_DEP_1)
	s_or_b32 exec_lo, exec_lo, s9
	v_mbcnt_lo_u32_b32 v0, -1, 0
	v_and_b32_e32 v1, 0xffffff00, v24
	s_mov_b32 s12, 0
	s_mov_b32 s13, exec_lo
	v_dual_lshlrev_b32 v45, 3, v0 :: v_dual_lshlrev_b32 v43, 3, v1
	v_sub_nc_u32_e64 v44, s25, v1 clamp
	s_delay_alu instid0(VALU_DEP_2) | instskip(SKIP_1) | instid1(VALU_DEP_4)
	v_or_b32_e32 v22, 8, v45
	v_and_b32_e32 v26, 0xf0, v45
	v_lshl_or_b32 v46, v0, 6, v43
	ds_store_b128 v46, v[14:17]
	ds_store_b128 v46, v[10:13] offset:16
	v_min_u32_e32 v47, v44, v22
	v_and_b32_e32 v22, 8, v45
	v_lshl_or_b32 v25, v26, 3, v43
	ds_store_b128 v46, v[6:9] offset:32
	ds_store_b128 v46, v[2:5] offset:48
	v_add_min_u32_e64 v48, v47, 8, v44
	v_min_u32_e32 v27, v44, v22
	v_sub_nc_u32_e32 v22, v47, v26
	; wave barrier
	s_delay_alu instid0(VALU_DEP_3) | instskip(NEXT) | instid1(VALU_DEP_2)
	v_sub_nc_u32_e32 v1, v48, v47
	v_min_u32_e32 v28, v27, v22
	s_delay_alu instid0(VALU_DEP_2) | instskip(NEXT) | instid1(VALU_DEP_1)
	v_sub_nc_u32_e64 v24, v27, v1 clamp
	v_cmpx_lt_u32_e64 v24, v28
	s_cbranch_execz .LBB627_977
; %bb.967:
	v_lshlrev_b32_e32 v0, 3, v47
	v_lshlrev_b32_e32 v1, 3, v27
	s_lshl_b64 s[8:9], s[16:17], 1
	s_delay_alu instid0(VALU_DEP_1)
	v_add3_u32 v29, v43, v0, v1
	s_branch .LBB627_970
.LBB627_968:                            ;   in Loop: Header=BB627_970 Depth=1
	s_or_b32 exec_lo, exec_lo, s15
.LBB627_969:                            ;   in Loop: Header=BB627_970 Depth=1
	s_delay_alu instid0(VALU_DEP_1) | instskip(NEXT) | instid1(VALU_DEP_1)
	v_dual_add_nc_u32 v0, 1, v30 :: v_dual_cndmask_b32 v28, v28, v30, s14
	v_cndmask_b32_e64 v24, v0, v24, s14
	s_delay_alu instid0(VALU_DEP_1) | instskip(SKIP_1) | instid1(SALU_CYCLE_1)
	v_cmp_ge_u32_e32 vcc_lo, v24, v28
	s_or_b32 s12, vcc_lo, s12
	s_and_not1_b32 exec_lo, exec_lo, s12
	s_cbranch_execz .LBB627_976
.LBB627_970:                            ; =>This Loop Header: Depth=1
                                        ;     Child Loop BB627_973 Depth 2
	v_add_nc_u32_e32 v0, v28, v24
	s_and_not1_b32 vcc_lo, exec_lo, s26
	s_delay_alu instid0(VALU_DEP_1)
	v_lshrrev_b32_e32 v30, 1, v0
	s_cbranch_vccnz .LBB627_975
; %bb.971:                              ;   in Loop: Header=BB627_970 Depth=1
	s_delay_alu instid0(VALU_DEP_1) | instskip(SKIP_3) | instid1(VALU_DEP_2)
	v_not_b32_e32 v0, v30
	v_lshl_add_u32 v1, v30, 3, v25
	s_mov_b32 s15, 0
	s_mov_b64 s[10:11], s[16:17]
                                        ; implicit-def: $sgpr14
                                        ; implicit-def: $sgpr22
                                        ; implicit-def: $sgpr23
                                        ; implicit-def: $sgpr27
	v_lshl_add_u32 v0, v0, 3, v29
	ds_load_b64 v[32:33], v0
	ds_load_b64 v[34:35], v1
	s_wait_dscnt 0x1
	v_mad_nc_u64_u32 v[0:1], s8, v32, s[18:19]
	s_wait_dscnt 0x0
	v_mad_nc_u64_u32 v[22:23], s8, v34, s[18:19]
	s_delay_alu instid0(VALU_DEP_2) | instskip(NEXT) | instid1(VALU_DEP_2)
	v_mad_u32 v1, s9, v32, v1
	v_mad_u32 v23, s9, v34, v23
	s_delay_alu instid0(VALU_DEP_2) | instskip(NEXT) | instid1(VALU_DEP_2)
	v_mad_u32 v1, s8, v33, v1
	v_mad_u32 v23, s8, v35, v23
	s_branch .LBB627_973
.LBB627_972:                            ;   in Loop: Header=BB627_973 Depth=2
	s_or_b32 exec_lo, exec_lo, s28
	s_delay_alu instid0(SALU_CYCLE_1) | instskip(NEXT) | instid1(SALU_CYCLE_1)
	s_and_b32 s28, exec_lo, s22
	s_or_b32 s15, s28, s15
	s_and_not1_b32 s27, s27, exec_lo
	s_and_b32 s7, s7, exec_lo
	s_and_not1_b32 s14, s14, exec_lo
	s_and_b32 s28, s23, exec_lo
	s_or_b32 s27, s27, s7
	s_or_b32 s14, s14, s28
	s_and_not1_b32 exec_lo, exec_lo, s15
	s_cbranch_execz .LBB627_968
.LBB627_973:                            ;   Parent Loop BB627_970 Depth=1
                                        ; =>  This Inner Loop Header: Depth=2
	global_load_u16 v31, v[0:1], off
	global_load_u16 v32, v[22:23], off
	s_and_not1_b32 s23, s23, exec_lo
	s_or_b32 s22, s22, exec_lo
	s_wait_loadcnt 0x0
	v_cmp_le_i16_e32 vcc_lo, v31, v32
	v_cmp_lt_i16_e64 s7, v31, v32
	s_and_b32 s28, vcc_lo, s27
	s_delay_alu instid0(SALU_CYCLE_1) | instskip(NEXT) | instid1(SALU_CYCLE_1)
	s_or_b32 s7, s7, s28
	s_and_b32 s28, s7, exec_lo
	s_delay_alu instid0(SALU_CYCLE_1)
	s_or_b32 s23, s23, s28
	s_mov_b32 s28, exec_lo
	v_cmpx_eq_u16_e64 v31, v32
	s_cbranch_execz .LBB627_972
; %bb.974:                              ;   in Loop: Header=BB627_973 Depth=2
	s_add_nc_u64 s[10:11], s[10:11], -1
	v_add_nc_u64_e32 v[0:1], 2, v[0:1]
	s_cmp_eq_u64 s[10:11], 0
	v_add_nc_u64_e32 v[22:23], 2, v[22:23]
	s_cselect_b32 s27, -1, 0
	s_and_not1_b32 s22, s22, exec_lo
	s_and_b32 s27, s27, exec_lo
	s_and_not1_b32 s23, s23, exec_lo
	s_or_b32 s22, s22, s27
                                        ; implicit-def: $sgpr27
	s_branch .LBB627_972
.LBB627_975:                            ;   in Loop: Header=BB627_970 Depth=1
	s_mov_b32 s14, 0
	s_branch .LBB627_969
.LBB627_976:
	s_or_b32 exec_lo, exec_lo, s12
.LBB627_977:
	s_delay_alu instid0(SALU_CYCLE_1) | instskip(SKIP_1) | instid1(VALU_DEP_1)
	s_or_b32 exec_lo, exec_lo, s13
	v_dual_add_nc_u32 v0, v47, v27 :: v_dual_add_nc_u32 v22, v24, v26
	v_sub_nc_u32_e32 v23, v0, v24
	s_delay_alu instid0(VALU_DEP_2) | instskip(NEXT) | instid1(VALU_DEP_2)
	v_cmp_le_u32_e32 vcc_lo, v22, v47
	v_cmp_le_u32_e64 s7, v23, v48
	s_or_b32 s7, vcc_lo, s7
	s_delay_alu instid0(SALU_CYCLE_1)
	s_and_saveexec_b32 s10, s7
	s_cbranch_execz .LBB627_1068
; %bb.978:
	s_mov_b32 s8, exec_lo
	v_cmp_ge_u32_e32 vcc_lo, v22, v47
                                        ; implicit-def: $vgpr0_vgpr1
	v_cmpx_lt_u32_e64 v22, v47
; %bb.979:
	v_lshl_add_u32 v0, v24, 3, v25
	ds_load_b64 v[0:1], v0
; %bb.980:
	s_or_b32 exec_lo, exec_lo, s8
	v_cmp_ge_u32_e64 s11, v23, v48
	s_mov_b32 s8, exec_lo
                                        ; implicit-def: $vgpr2_vgpr3
	v_cmpx_lt_u32_e64 v23, v48
; %bb.981:
	v_lshl_add_u32 v2, v23, 3, v43
	ds_load_b64 v[2:3], v2
; %bb.982:
	s_or_b32 exec_lo, exec_lo, s8
	s_nor_b32 s7, vcc_lo, s11
	s_delay_alu instid0(SALU_CYCLE_1)
	s_and_saveexec_b32 s12, s7
	s_cbranch_execz .LBB627_991
; %bb.983:
	s_and_not1_b32 vcc_lo, exec_lo, s26
	s_cbranch_vccnz .LBB627_989
; %bb.984:
	s_wait_dscnt 0x0
	v_mul_u64_e32 v[4:5], s[16:17], v[2:3]
	v_mul_u64_e32 v[6:7], s[16:17], v[0:1]
	s_mov_b32 s13, 0
	s_mov_b64 s[8:9], s[16:17]
                                        ; implicit-def: $sgpr14
                                        ; implicit-def: $sgpr15
                                        ; implicit-def: $sgpr22
                                        ; implicit-def: $sgpr23
	s_delay_alu instid0(VALU_DEP_2) | instskip(NEXT) | instid1(VALU_DEP_2)
	v_lshl_add_u64 v[4:5], v[4:5], 1, s[18:19]
	v_lshl_add_u64 v[6:7], v[6:7], 1, s[18:19]
	s_branch .LBB627_986
.LBB627_985:                            ;   in Loop: Header=BB627_986 Depth=1
	s_or_b32 exec_lo, exec_lo, s27
	s_delay_alu instid0(SALU_CYCLE_1) | instskip(NEXT) | instid1(SALU_CYCLE_1)
	s_and_b32 s27, exec_lo, s15
	s_or_b32 s13, s27, s13
	s_and_not1_b32 s23, s23, exec_lo
	s_and_b32 s7, s7, exec_lo
	s_and_not1_b32 s14, s14, exec_lo
	s_and_b32 s27, s22, exec_lo
	s_or_b32 s23, s23, s7
	s_or_b32 s14, s14, s27
	s_and_not1_b32 exec_lo, exec_lo, s13
	s_cbranch_execz .LBB627_988
.LBB627_986:                            ; =>This Inner Loop Header: Depth=1
	global_load_u16 v8, v[4:5], off
	global_load_u16 v9, v[6:7], off
	s_and_not1_b32 s22, s22, exec_lo
	s_or_b32 s15, s15, exec_lo
	s_wait_loadcnt 0x0
	v_cmp_le_i16_e32 vcc_lo, v8, v9
	v_cmp_lt_i16_e64 s7, v8, v9
	s_and_b32 s27, vcc_lo, s23
	s_delay_alu instid0(SALU_CYCLE_1) | instskip(NEXT) | instid1(SALU_CYCLE_1)
	s_or_b32 s7, s7, s27
	s_and_b32 s27, s7, exec_lo
	s_delay_alu instid0(SALU_CYCLE_1)
	s_or_b32 s22, s22, s27
	s_mov_b32 s27, exec_lo
	v_cmpx_eq_u16_e64 v8, v9
	s_cbranch_execz .LBB627_985
; %bb.987:                              ;   in Loop: Header=BB627_986 Depth=1
	s_add_nc_u64 s[8:9], s[8:9], -1
	v_add_nc_u64_e32 v[4:5], 2, v[4:5]
	s_cmp_eq_u64 s[8:9], 0
	v_add_nc_u64_e32 v[6:7], 2, v[6:7]
	s_cselect_b32 s23, -1, 0
	s_and_not1_b32 s15, s15, exec_lo
	s_and_b32 s23, s23, exec_lo
	s_and_not1_b32 s22, s22, exec_lo
	s_or_b32 s15, s15, s23
                                        ; implicit-def: $sgpr23
	s_branch .LBB627_985
.LBB627_988:
	s_or_b32 exec_lo, exec_lo, s13
	s_xor_b32 s7, s14, -1
	s_branch .LBB627_990
.LBB627_989:
	s_mov_b32 s7, -1
.LBB627_990:
	s_and_not1_b32 s8, s11, exec_lo
	s_and_b32 s7, s7, exec_lo
	s_delay_alu instid0(SALU_CYCLE_1)
	s_or_b32 s11, s8, s7
.LBB627_991:
	s_or_b32 exec_lo, exec_lo, s12
	v_dual_cndmask_b32 v4, v23, v22, s11 :: v_dual_cndmask_b32 v5, v48, v47, s11
	s_mov_b32 s13, -1
	s_mov_b32 s12, -1
	s_mov_b32 s14, exec_lo
	s_delay_alu instid0(VALU_DEP_1) | instskip(NEXT) | instid1(VALU_DEP_1)
	v_add_nc_u32_e32 v4, 1, v4
	v_add_min_u32_e64 v5, v5, -1, v4
	s_delay_alu instid0(VALU_DEP_1)
	v_lshl_add_u32 v5, v5, 3, v43
	ds_load_b64 v[6:7], v5
	s_wait_dscnt 0x0
	v_cndmask_b32_e64 v5, v7, v3, s11
	v_dual_cndmask_b32 v10, v4, v23, s11 :: v_dual_cndmask_b32 v11, v22, v4, s11
	v_dual_cndmask_b32 v4, v6, v2, s11 :: v_dual_cndmask_b32 v15, v1, v7, s11
	v_cndmask_b32_e64 v14, v0, v6, s11
	s_delay_alu instid0(VALU_DEP_3)
	v_cmpx_lt_u32_e64 v10, v48
	s_cbranch_execz .LBB627_1002
; %bb.992:
	s_mov_b32 s7, 0
	s_mov_b32 s12, exec_lo
	v_cmpx_lt_u32_e64 v11, v47
	s_cbranch_execz .LBB627_1001
; %bb.993:
	s_and_not1_b32 vcc_lo, exec_lo, s26
	s_cbranch_vccnz .LBB627_999
; %bb.994:
	v_mul_u64_e32 v[6:7], s[16:17], v[4:5]
	v_mul_u64_e32 v[8:9], s[16:17], v[14:15]
	s_mov_b32 s15, 0
	s_mov_b64 s[8:9], s[16:17]
                                        ; implicit-def: $sgpr22
                                        ; implicit-def: $sgpr23
                                        ; implicit-def: $sgpr27
                                        ; implicit-def: $sgpr28
	s_delay_alu instid0(VALU_DEP_2) | instskip(NEXT) | instid1(VALU_DEP_2)
	v_lshl_add_u64 v[6:7], v[6:7], 1, s[18:19]
	v_lshl_add_u64 v[8:9], v[8:9], 1, s[18:19]
	s_branch .LBB627_996
.LBB627_995:                            ;   in Loop: Header=BB627_996 Depth=1
	s_or_b32 exec_lo, exec_lo, s29
	s_delay_alu instid0(SALU_CYCLE_1) | instskip(NEXT) | instid1(SALU_CYCLE_1)
	s_and_b32 s29, exec_lo, s23
	s_or_b32 s15, s29, s15
	s_and_not1_b32 s28, s28, exec_lo
	s_and_b32 s7, s7, exec_lo
	s_and_not1_b32 s22, s22, exec_lo
	s_and_b32 s29, s27, exec_lo
	s_or_b32 s28, s28, s7
	s_or_b32 s22, s22, s29
	s_and_not1_b32 exec_lo, exec_lo, s15
	s_cbranch_execz .LBB627_998
.LBB627_996:                            ; =>This Inner Loop Header: Depth=1
	global_load_u16 v12, v[6:7], off
	global_load_u16 v13, v[8:9], off
	s_and_not1_b32 s27, s27, exec_lo
	s_or_b32 s23, s23, exec_lo
	s_wait_loadcnt 0x0
	v_cmp_le_i16_e32 vcc_lo, v12, v13
	v_cmp_lt_i16_e64 s7, v12, v13
	s_and_b32 s29, vcc_lo, s28
	s_delay_alu instid0(SALU_CYCLE_1) | instskip(NEXT) | instid1(SALU_CYCLE_1)
	s_or_b32 s7, s7, s29
	s_and_b32 s29, s7, exec_lo
	s_delay_alu instid0(SALU_CYCLE_1)
	s_or_b32 s27, s27, s29
	s_mov_b32 s29, exec_lo
	v_cmpx_eq_u16_e64 v12, v13
	s_cbranch_execz .LBB627_995
; %bb.997:                              ;   in Loop: Header=BB627_996 Depth=1
	s_add_nc_u64 s[8:9], s[8:9], -1
	v_add_nc_u64_e32 v[6:7], 2, v[6:7]
	s_cmp_eq_u64 s[8:9], 0
	v_add_nc_u64_e32 v[8:9], 2, v[8:9]
	s_cselect_b32 s28, -1, 0
	s_and_not1_b32 s23, s23, exec_lo
	s_and_b32 s28, s28, exec_lo
	s_and_not1_b32 s27, s27, exec_lo
	s_or_b32 s23, s23, s28
                                        ; implicit-def: $sgpr28
	s_branch .LBB627_995
.LBB627_998:
	s_or_b32 exec_lo, exec_lo, s15
	s_xor_b32 s7, s22, -1
	s_branch .LBB627_1000
.LBB627_999:
	s_mov_b32 s7, -1
.LBB627_1000:
	s_delay_alu instid0(SALU_CYCLE_1)
	s_and_b32 s7, s7, exec_lo
.LBB627_1001:
	s_or_b32 exec_lo, exec_lo, s12
	s_delay_alu instid0(SALU_CYCLE_1)
	s_or_not1_b32 s12, s7, exec_lo
.LBB627_1002:
	s_or_b32 exec_lo, exec_lo, s14
	v_cndmask_b32_e64 v6, v10, v11, s12
	v_cndmask_b32_e64 v7, v48, v47, s12
	s_mov_b32 s14, exec_lo
	s_delay_alu instid0(VALU_DEP_2) | instskip(NEXT) | instid1(VALU_DEP_1)
	v_add_nc_u32_e32 v8, 1, v6
	v_add_min_u32_e64 v6, v7, -1, v8
	v_cndmask_b32_e64 v12, v8, v10, s12
	s_delay_alu instid0(VALU_DEP_2)
	v_lshl_add_u32 v6, v6, 3, v43
	ds_load_b64 v[6:7], v6
	s_wait_dscnt 0x0
	v_dual_cndmask_b32 v13, v11, v8, s12 :: v_dual_cndmask_b32 v16, v14, v6, s12
	v_dual_cndmask_b32 v11, v7, v5, s12 :: v_dual_cndmask_b32 v10, v6, v4, s12
	v_cndmask_b32_e64 v17, v15, v7, s12
	v_cmpx_lt_u32_e64 v12, v48
	s_cbranch_execz .LBB627_1013
; %bb.1003:
	s_mov_b32 s7, 0
	s_mov_b32 s13, exec_lo
	v_cmpx_lt_u32_e64 v13, v47
	s_cbranch_execz .LBB627_1012
; %bb.1004:
	s_and_not1_b32 vcc_lo, exec_lo, s26
	s_cbranch_vccnz .LBB627_1010
; %bb.1005:
	v_mul_u64_e32 v[6:7], s[16:17], v[10:11]
	v_mul_u64_e32 v[8:9], s[16:17], v[16:17]
	s_mov_b32 s15, 0
	s_mov_b64 s[8:9], s[16:17]
                                        ; implicit-def: $sgpr22
                                        ; implicit-def: $sgpr23
                                        ; implicit-def: $sgpr27
                                        ; implicit-def: $sgpr28
	s_delay_alu instid0(VALU_DEP_2) | instskip(NEXT) | instid1(VALU_DEP_2)
	v_lshl_add_u64 v[6:7], v[6:7], 1, s[18:19]
	v_lshl_add_u64 v[8:9], v[8:9], 1, s[18:19]
	s_branch .LBB627_1007
.LBB627_1006:                           ;   in Loop: Header=BB627_1007 Depth=1
	s_or_b32 exec_lo, exec_lo, s29
	s_delay_alu instid0(SALU_CYCLE_1) | instskip(NEXT) | instid1(SALU_CYCLE_1)
	s_and_b32 s29, exec_lo, s23
	s_or_b32 s15, s29, s15
	s_and_not1_b32 s28, s28, exec_lo
	s_and_b32 s7, s7, exec_lo
	s_and_not1_b32 s22, s22, exec_lo
	s_and_b32 s29, s27, exec_lo
	s_or_b32 s28, s28, s7
	s_or_b32 s22, s22, s29
	s_and_not1_b32 exec_lo, exec_lo, s15
	s_cbranch_execz .LBB627_1009
.LBB627_1007:                           ; =>This Inner Loop Header: Depth=1
	global_load_u16 v22, v[6:7], off
	global_load_u16 v23, v[8:9], off
	s_and_not1_b32 s27, s27, exec_lo
	s_or_b32 s23, s23, exec_lo
	s_wait_loadcnt 0x0
	v_cmp_le_i16_e32 vcc_lo, v22, v23
	v_cmp_lt_i16_e64 s7, v22, v23
	s_and_b32 s29, vcc_lo, s28
	s_delay_alu instid0(SALU_CYCLE_1) | instskip(NEXT) | instid1(SALU_CYCLE_1)
	s_or_b32 s7, s7, s29
	s_and_b32 s29, s7, exec_lo
	s_delay_alu instid0(SALU_CYCLE_1)
	s_or_b32 s27, s27, s29
	s_mov_b32 s29, exec_lo
	v_cmpx_eq_u16_e64 v22, v23
	s_cbranch_execz .LBB627_1006
; %bb.1008:                             ;   in Loop: Header=BB627_1007 Depth=1
	s_add_nc_u64 s[8:9], s[8:9], -1
	v_add_nc_u64_e32 v[6:7], 2, v[6:7]
	s_cmp_eq_u64 s[8:9], 0
	v_add_nc_u64_e32 v[8:9], 2, v[8:9]
	s_cselect_b32 s28, -1, 0
	s_and_not1_b32 s23, s23, exec_lo
	s_and_b32 s28, s28, exec_lo
	s_and_not1_b32 s27, s27, exec_lo
	s_or_b32 s23, s23, s28
                                        ; implicit-def: $sgpr28
	s_branch .LBB627_1006
.LBB627_1009:
	s_or_b32 exec_lo, exec_lo, s15
	s_xor_b32 s7, s22, -1
	s_branch .LBB627_1011
.LBB627_1010:
	s_mov_b32 s7, -1
.LBB627_1011:
	s_delay_alu instid0(SALU_CYCLE_1)
	s_and_b32 s7, s7, exec_lo
.LBB627_1012:
	s_or_b32 exec_lo, exec_lo, s13
	s_delay_alu instid0(SALU_CYCLE_1)
	s_or_not1_b32 s13, s7, exec_lo
.LBB627_1013:
	s_or_b32 exec_lo, exec_lo, s14
	v_cndmask_b32_e64 v6, v12, v13, s13
	v_cndmask_b32_e64 v7, v48, v47, s13
	s_mov_b32 s15, -1
	s_mov_b32 s14, -1
	s_mov_b32 s22, exec_lo
	v_add_nc_u32_e32 v8, 1, v6
	s_delay_alu instid0(VALU_DEP_1) | instskip(SKIP_1) | instid1(VALU_DEP_2)
	v_add_min_u32_e64 v6, v7, -1, v8
	v_cndmask_b32_e64 v25, v13, v8, s13
	v_lshl_add_u32 v6, v6, 3, v43
	ds_load_b64 v[6:7], v6
	s_wait_dscnt 0x0
	v_dual_cndmask_b32 v24, v8, v12, s13 :: v_dual_cndmask_b32 v13, v7, v11, s13
	v_dual_cndmask_b32 v12, v6, v10, s13 :: v_dual_cndmask_b32 v23, v17, v7, s13
	v_cndmask_b32_e64 v22, v16, v6, s13
	s_delay_alu instid0(VALU_DEP_3)
	v_cmpx_lt_u32_e64 v24, v48
	s_cbranch_execz .LBB627_1024
; %bb.1014:
	s_mov_b32 s7, 0
	s_mov_b32 s14, exec_lo
	v_cmpx_lt_u32_e64 v25, v47
	s_cbranch_execz .LBB627_1023
; %bb.1015:
	s_and_not1_b32 vcc_lo, exec_lo, s26
	s_cbranch_vccnz .LBB627_1021
; %bb.1016:
	v_mul_u64_e32 v[6:7], s[16:17], v[12:13]
	v_mul_u64_e32 v[8:9], s[16:17], v[22:23]
	s_mov_b32 s23, 0
	s_mov_b64 s[8:9], s[16:17]
                                        ; implicit-def: $sgpr27
                                        ; implicit-def: $sgpr28
                                        ; implicit-def: $sgpr29
                                        ; implicit-def: $sgpr30
	s_delay_alu instid0(VALU_DEP_2) | instskip(NEXT) | instid1(VALU_DEP_2)
	v_lshl_add_u64 v[6:7], v[6:7], 1, s[18:19]
	v_lshl_add_u64 v[8:9], v[8:9], 1, s[18:19]
	s_branch .LBB627_1018
.LBB627_1017:                           ;   in Loop: Header=BB627_1018 Depth=1
	s_or_b32 exec_lo, exec_lo, s31
	s_delay_alu instid0(SALU_CYCLE_1) | instskip(NEXT) | instid1(SALU_CYCLE_1)
	s_and_b32 s31, exec_lo, s28
	s_or_b32 s23, s31, s23
	s_and_not1_b32 s30, s30, exec_lo
	s_and_b32 s7, s7, exec_lo
	s_and_not1_b32 s27, s27, exec_lo
	s_and_b32 s31, s29, exec_lo
	s_or_b32 s30, s30, s7
	s_or_b32 s27, s27, s31
	s_and_not1_b32 exec_lo, exec_lo, s23
	s_cbranch_execz .LBB627_1020
.LBB627_1018:                           ; =>This Inner Loop Header: Depth=1
	global_load_u16 v26, v[6:7], off
	global_load_u16 v27, v[8:9], off
	s_and_not1_b32 s29, s29, exec_lo
	s_or_b32 s28, s28, exec_lo
	s_wait_loadcnt 0x0
	v_cmp_le_i16_e32 vcc_lo, v26, v27
	v_cmp_lt_i16_e64 s7, v26, v27
	s_and_b32 s31, vcc_lo, s30
	s_delay_alu instid0(SALU_CYCLE_1) | instskip(NEXT) | instid1(SALU_CYCLE_1)
	s_or_b32 s7, s7, s31
	s_and_b32 s31, s7, exec_lo
	s_delay_alu instid0(SALU_CYCLE_1)
	s_or_b32 s29, s29, s31
	s_mov_b32 s31, exec_lo
	v_cmpx_eq_u16_e64 v26, v27
	s_cbranch_execz .LBB627_1017
; %bb.1019:                             ;   in Loop: Header=BB627_1018 Depth=1
	s_add_nc_u64 s[8:9], s[8:9], -1
	v_add_nc_u64_e32 v[6:7], 2, v[6:7]
	s_cmp_eq_u64 s[8:9], 0
	v_add_nc_u64_e32 v[8:9], 2, v[8:9]
	s_cselect_b32 s30, -1, 0
	s_and_not1_b32 s28, s28, exec_lo
	s_and_b32 s30, s30, exec_lo
	s_and_not1_b32 s29, s29, exec_lo
	s_or_b32 s28, s28, s30
                                        ; implicit-def: $sgpr30
	s_branch .LBB627_1017
.LBB627_1020:
	s_or_b32 exec_lo, exec_lo, s23
	s_xor_b32 s7, s27, -1
	s_branch .LBB627_1022
.LBB627_1021:
	s_mov_b32 s7, -1
.LBB627_1022:
	s_delay_alu instid0(SALU_CYCLE_1)
	s_and_b32 s7, s7, exec_lo
.LBB627_1023:
	s_or_b32 exec_lo, exec_lo, s14
	s_delay_alu instid0(SALU_CYCLE_1)
	s_or_not1_b32 s14, s7, exec_lo
.LBB627_1024:
	s_or_b32 exec_lo, exec_lo, s22
	v_cndmask_b32_e64 v6, v24, v25, s14
	v_cndmask_b32_e64 v7, v48, v47, s14
	s_mov_b32 s22, exec_lo
	s_delay_alu instid0(VALU_DEP_2) | instskip(NEXT) | instid1(VALU_DEP_1)
	v_add_nc_u32_e32 v6, 1, v6
	v_add_min_u32_e64 v7, v7, -1, v6
	v_dual_cndmask_b32 v28, v6, v24, s14 :: v_dual_cndmask_b32 v29, v25, v6, s14
	s_delay_alu instid0(VALU_DEP_2)
	v_lshl_add_u32 v7, v7, 3, v43
	ds_load_b64 v[8:9], v7
	s_wait_dscnt 0x0
	v_dual_cndmask_b32 v7, v9, v13, s14 :: v_dual_cndmask_b32 v6, v8, v12, s14
	v_dual_cndmask_b32 v25, v23, v9, s14 :: v_dual_cndmask_b32 v24, v22, v8, s14
	v_cmpx_lt_u32_e64 v28, v48
	s_cbranch_execz .LBB627_1035
; %bb.1025:
	s_mov_b32 s7, 0
	s_mov_b32 s15, exec_lo
	v_cmpx_lt_u32_e64 v29, v47
	s_cbranch_execz .LBB627_1034
; %bb.1026:
	s_and_not1_b32 vcc_lo, exec_lo, s26
	s_cbranch_vccnz .LBB627_1032
; %bb.1027:
	v_mul_u64_e32 v[8:9], s[16:17], v[6:7]
	v_mul_u64_e32 v[26:27], s[16:17], v[24:25]
	s_mov_b32 s23, 0
	s_mov_b64 s[8:9], s[16:17]
                                        ; implicit-def: $sgpr27
                                        ; implicit-def: $sgpr28
                                        ; implicit-def: $sgpr29
                                        ; implicit-def: $sgpr30
	s_delay_alu instid0(VALU_DEP_2) | instskip(NEXT) | instid1(VALU_DEP_2)
	v_lshl_add_u64 v[8:9], v[8:9], 1, s[18:19]
	v_lshl_add_u64 v[26:27], v[26:27], 1, s[18:19]
	s_branch .LBB627_1029
.LBB627_1028:                           ;   in Loop: Header=BB627_1029 Depth=1
	s_or_b32 exec_lo, exec_lo, s31
	s_delay_alu instid0(SALU_CYCLE_1) | instskip(NEXT) | instid1(SALU_CYCLE_1)
	s_and_b32 s31, exec_lo, s28
	s_or_b32 s23, s31, s23
	s_and_not1_b32 s30, s30, exec_lo
	s_and_b32 s7, s7, exec_lo
	s_and_not1_b32 s27, s27, exec_lo
	s_and_b32 s31, s29, exec_lo
	s_or_b32 s30, s30, s7
	s_or_b32 s27, s27, s31
	s_and_not1_b32 exec_lo, exec_lo, s23
	s_cbranch_execz .LBB627_1031
.LBB627_1029:                           ; =>This Inner Loop Header: Depth=1
	global_load_u16 v30, v[8:9], off
	global_load_u16 v31, v[26:27], off
	s_and_not1_b32 s29, s29, exec_lo
	s_or_b32 s28, s28, exec_lo
	s_wait_loadcnt 0x0
	v_cmp_le_i16_e32 vcc_lo, v30, v31
	v_cmp_lt_i16_e64 s7, v30, v31
	s_and_b32 s31, vcc_lo, s30
	s_delay_alu instid0(SALU_CYCLE_1) | instskip(NEXT) | instid1(SALU_CYCLE_1)
	s_or_b32 s7, s7, s31
	s_and_b32 s31, s7, exec_lo
	s_delay_alu instid0(SALU_CYCLE_1)
	s_or_b32 s29, s29, s31
	s_mov_b32 s31, exec_lo
	v_cmpx_eq_u16_e64 v30, v31
	s_cbranch_execz .LBB627_1028
; %bb.1030:                             ;   in Loop: Header=BB627_1029 Depth=1
	s_add_nc_u64 s[8:9], s[8:9], -1
	v_add_nc_u64_e32 v[8:9], 2, v[8:9]
	s_cmp_eq_u64 s[8:9], 0
	v_add_nc_u64_e32 v[26:27], 2, v[26:27]
	s_cselect_b32 s30, -1, 0
	s_and_not1_b32 s28, s28, exec_lo
	s_and_b32 s30, s30, exec_lo
	s_and_not1_b32 s29, s29, exec_lo
	s_or_b32 s28, s28, s30
                                        ; implicit-def: $sgpr30
	s_branch .LBB627_1028
.LBB627_1031:
	s_or_b32 exec_lo, exec_lo, s23
	s_xor_b32 s7, s27, -1
	s_branch .LBB627_1033
.LBB627_1032:
	s_mov_b32 s7, -1
.LBB627_1033:
	s_delay_alu instid0(SALU_CYCLE_1)
	s_and_b32 s7, s7, exec_lo
.LBB627_1034:
	s_or_b32 exec_lo, exec_lo, s15
	s_delay_alu instid0(SALU_CYCLE_1)
	s_or_not1_b32 s15, s7, exec_lo
.LBB627_1035:
	s_or_b32 exec_lo, exec_lo, s22
	v_cndmask_b32_e64 v8, v28, v29, s15
	v_cndmask_b32_e64 v9, v48, v47, s15
	s_mov_b32 s22, -1
	s_mov_b32 s23, -1
	s_mov_b32 s27, exec_lo
	v_add_nc_u32_e32 v8, 1, v8
	s_delay_alu instid0(VALU_DEP_1) | instskip(NEXT) | instid1(VALU_DEP_1)
	v_add_min_u32_e64 v9, v9, -1, v8
	v_lshl_add_u32 v9, v9, 3, v43
	ds_load_b64 v[26:27], v9
	v_cndmask_b32_e64 v32, v8, v28, s15
	s_wait_dscnt 0x0
	v_dual_cndmask_b32 v33, v29, v8, s15 :: v_dual_cndmask_b32 v9, v27, v7, s15
	v_dual_cndmask_b32 v8, v26, v6, s15 :: v_dual_cndmask_b32 v27, v25, v27, s15
	v_cndmask_b32_e64 v26, v24, v26, s15
	v_cmpx_lt_u32_e64 v32, v48
	s_cbranch_execz .LBB627_1046
; %bb.1036:
	s_mov_b32 s7, 0
	s_mov_b32 s23, exec_lo
	v_cmpx_lt_u32_e64 v33, v47
	s_cbranch_execz .LBB627_1045
; %bb.1037:
	s_and_not1_b32 vcc_lo, exec_lo, s26
	s_cbranch_vccnz .LBB627_1043
; %bb.1038:
	v_mul_u64_e32 v[28:29], s[16:17], v[8:9]
	v_mul_u64_e32 v[30:31], s[16:17], v[26:27]
	s_mov_b32 s28, 0
	s_mov_b64 s[8:9], s[16:17]
                                        ; implicit-def: $sgpr29
                                        ; implicit-def: $sgpr30
                                        ; implicit-def: $sgpr31
                                        ; implicit-def: $sgpr33
	s_delay_alu instid0(VALU_DEP_2) | instskip(NEXT) | instid1(VALU_DEP_2)
	v_lshl_add_u64 v[28:29], v[28:29], 1, s[18:19]
	v_lshl_add_u64 v[30:31], v[30:31], 1, s[18:19]
	s_branch .LBB627_1040
.LBB627_1039:                           ;   in Loop: Header=BB627_1040 Depth=1
	s_or_b32 exec_lo, exec_lo, s34
	s_delay_alu instid0(SALU_CYCLE_1) | instskip(NEXT) | instid1(SALU_CYCLE_1)
	s_and_b32 s34, exec_lo, s30
	s_or_b32 s28, s34, s28
	s_and_not1_b32 s33, s33, exec_lo
	s_and_b32 s7, s7, exec_lo
	s_and_not1_b32 s29, s29, exec_lo
	s_and_b32 s34, s31, exec_lo
	s_or_b32 s33, s33, s7
	s_or_b32 s29, s29, s34
	s_and_not1_b32 exec_lo, exec_lo, s28
	s_cbranch_execz .LBB627_1042
.LBB627_1040:                           ; =>This Inner Loop Header: Depth=1
	global_load_u16 v34, v[28:29], off
	global_load_u16 v35, v[30:31], off
	s_and_not1_b32 s31, s31, exec_lo
	s_or_b32 s30, s30, exec_lo
	s_wait_loadcnt 0x0
	v_cmp_le_i16_e32 vcc_lo, v34, v35
	v_cmp_lt_i16_e64 s7, v34, v35
	s_and_b32 s34, vcc_lo, s33
	s_delay_alu instid0(SALU_CYCLE_1) | instskip(NEXT) | instid1(SALU_CYCLE_1)
	s_or_b32 s7, s7, s34
	s_and_b32 s34, s7, exec_lo
	s_delay_alu instid0(SALU_CYCLE_1)
	s_or_b32 s31, s31, s34
	s_mov_b32 s34, exec_lo
	v_cmpx_eq_u16_e64 v34, v35
	s_cbranch_execz .LBB627_1039
; %bb.1041:                             ;   in Loop: Header=BB627_1040 Depth=1
	s_add_nc_u64 s[8:9], s[8:9], -1
	v_add_nc_u64_e32 v[28:29], 2, v[28:29]
	s_cmp_eq_u64 s[8:9], 0
	v_add_nc_u64_e32 v[30:31], 2, v[30:31]
	s_cselect_b32 s33, -1, 0
	s_and_not1_b32 s30, s30, exec_lo
	s_and_b32 s33, s33, exec_lo
	s_and_not1_b32 s31, s31, exec_lo
	s_or_b32 s30, s30, s33
                                        ; implicit-def: $sgpr33
	s_branch .LBB627_1039
.LBB627_1042:
	s_or_b32 exec_lo, exec_lo, s28
	s_xor_b32 s7, s29, -1
	s_branch .LBB627_1044
.LBB627_1043:
	s_mov_b32 s7, -1
.LBB627_1044:
	s_delay_alu instid0(SALU_CYCLE_1)
	s_and_b32 s7, s7, exec_lo
.LBB627_1045:
	s_or_b32 exec_lo, exec_lo, s23
	s_delay_alu instid0(SALU_CYCLE_1)
	s_or_not1_b32 s23, s7, exec_lo
.LBB627_1046:
	s_or_b32 exec_lo, exec_lo, s27
	v_cndmask_b32_e64 v28, v32, v33, s23
	v_cndmask_b32_e64 v29, v48, v47, s23
	s_mov_b32 s27, exec_lo
	s_delay_alu instid0(VALU_DEP_2) | instskip(NEXT) | instid1(VALU_DEP_1)
	v_add_nc_u32_e32 v28, 1, v28
	v_add_min_u32_e64 v29, v29, -1, v28
	s_delay_alu instid0(VALU_DEP_1)
	v_lshl_add_u32 v29, v29, 3, v43
	ds_load_b64 v[30:31], v29
	v_cndmask_b32_e64 v50, v28, v32, s23
	s_wait_dscnt 0x0
	v_dual_cndmask_b32 v49, v33, v28, s23 :: v_dual_cndmask_b32 v29, v31, v9, s23
	v_dual_cndmask_b32 v28, v30, v8, s23 :: v_dual_cndmask_b32 v31, v27, v31, s23
	v_cndmask_b32_e64 v30, v26, v30, s23
	v_cmpx_lt_u32_e64 v50, v48
	s_cbranch_execz .LBB627_1057
; %bb.1047:
	s_mov_b32 s7, 0
	s_mov_b32 s22, exec_lo
	v_cmpx_lt_u32_e64 v49, v47
	s_cbranch_execz .LBB627_1056
; %bb.1048:
	s_and_not1_b32 vcc_lo, exec_lo, s26
	s_cbranch_vccnz .LBB627_1054
; %bb.1049:
	v_mul_u64_e32 v[32:33], s[16:17], v[28:29]
	v_mul_u64_e32 v[34:35], s[16:17], v[30:31]
	s_mov_b32 s28, 0
	s_mov_b64 s[8:9], s[16:17]
                                        ; implicit-def: $sgpr29
                                        ; implicit-def: $sgpr30
                                        ; implicit-def: $sgpr31
                                        ; implicit-def: $sgpr33
	s_delay_alu instid0(VALU_DEP_2) | instskip(NEXT) | instid1(VALU_DEP_2)
	v_lshl_add_u64 v[32:33], v[32:33], 1, s[18:19]
	v_lshl_add_u64 v[34:35], v[34:35], 1, s[18:19]
	s_branch .LBB627_1051
.LBB627_1050:                           ;   in Loop: Header=BB627_1051 Depth=1
	s_or_b32 exec_lo, exec_lo, s34
	s_delay_alu instid0(SALU_CYCLE_1) | instskip(NEXT) | instid1(SALU_CYCLE_1)
	s_and_b32 s34, exec_lo, s30
	s_or_b32 s28, s34, s28
	s_and_not1_b32 s33, s33, exec_lo
	s_and_b32 s7, s7, exec_lo
	s_and_not1_b32 s29, s29, exec_lo
	s_and_b32 s34, s31, exec_lo
	s_or_b32 s33, s33, s7
	s_or_b32 s29, s29, s34
	s_and_not1_b32 exec_lo, exec_lo, s28
	s_cbranch_execz .LBB627_1053
.LBB627_1051:                           ; =>This Inner Loop Header: Depth=1
	global_load_u16 v51, v[32:33], off
	global_load_u16 v52, v[34:35], off
	s_and_not1_b32 s31, s31, exec_lo
	s_or_b32 s30, s30, exec_lo
	s_wait_loadcnt 0x0
	v_cmp_le_i16_e32 vcc_lo, v51, v52
	v_cmp_lt_i16_e64 s7, v51, v52
	s_and_b32 s34, vcc_lo, s33
	s_delay_alu instid0(SALU_CYCLE_1) | instskip(NEXT) | instid1(SALU_CYCLE_1)
	s_or_b32 s7, s7, s34
	s_and_b32 s34, s7, exec_lo
	s_delay_alu instid0(SALU_CYCLE_1)
	s_or_b32 s31, s31, s34
	s_mov_b32 s34, exec_lo
	v_cmpx_eq_u16_e64 v51, v52
	s_cbranch_execz .LBB627_1050
; %bb.1052:                             ;   in Loop: Header=BB627_1051 Depth=1
	s_add_nc_u64 s[8:9], s[8:9], -1
	v_add_nc_u64_e32 v[32:33], 2, v[32:33]
	s_cmp_eq_u64 s[8:9], 0
	v_add_nc_u64_e32 v[34:35], 2, v[34:35]
	s_cselect_b32 s33, -1, 0
	s_and_not1_b32 s30, s30, exec_lo
	s_and_b32 s33, s33, exec_lo
	s_and_not1_b32 s31, s31, exec_lo
	s_or_b32 s30, s30, s33
                                        ; implicit-def: $sgpr33
	s_branch .LBB627_1050
.LBB627_1053:
	s_or_b32 exec_lo, exec_lo, s28
	s_xor_b32 s7, s29, -1
	s_branch .LBB627_1055
.LBB627_1054:
	s_mov_b32 s7, -1
.LBB627_1055:
	s_delay_alu instid0(SALU_CYCLE_1)
	s_and_b32 s7, s7, exec_lo
.LBB627_1056:
	s_or_b32 exec_lo, exec_lo, s22
	s_delay_alu instid0(SALU_CYCLE_1)
	s_or_not1_b32 s22, s7, exec_lo
.LBB627_1057:
	s_or_b32 exec_lo, exec_lo, s27
	v_dual_cndmask_b32 v32, v50, v49, s22 :: v_dual_cndmask_b32 v33, v48, v47, s22
	v_dual_cndmask_b32 v8, v8, v26, s23 :: v_dual_cndmask_b32 v7, v7, v25, s15
	;; [unrolled: 1-line block ×3, first 2 shown]
	s_delay_alu instid0(VALU_DEP_3) | instskip(SKIP_2) | instid1(VALU_DEP_3)
	v_dual_add_nc_u32 v34, 1, v32 :: v_dual_cndmask_b32 v9, v9, v27, s23
	v_dual_cndmask_b32 v12, v12, v22, s14 :: v_dual_cndmask_b32 v11, v11, v17, s13
	v_dual_cndmask_b32 v10, v10, v16, s13 :: v_dual_cndmask_b32 v17, v5, v15, s12
	v_add_min_u32_e64 v32, v33, -1, v34
	v_dual_cndmask_b32 v16, v4, v14, s12 :: v_dual_cndmask_b32 v15, v3, v1, s11
	v_dual_cndmask_b32 v14, v2, v0, s11 :: v_dual_cndmask_b32 v3, v29, v31, s22
	s_delay_alu instid0(VALU_DEP_3)
	v_lshl_add_u32 v32, v32, 3, v43
	s_mov_b32 s11, exec_lo
	ds_load_b64 v[32:33], v32
	v_cndmask_b32_e64 v0, v34, v50, s22
	s_wait_dscnt 0x0
	v_dual_cndmask_b32 v2, v28, v30, s22 :: v_dual_cndmask_b32 v4, v30, v32, s22
	v_cndmask_b32_e64 v5, v31, v33, s22
	s_delay_alu instid0(VALU_DEP_3)
	v_cmpx_lt_u32_e64 v0, v48
	s_cbranch_execz .LBB627_1067
; %bb.1058:
	v_dual_cndmask_b32 v22, v49, v34, s22 :: v_dual_cndmask_b32 v0, v32, v28, s22
	v_cndmask_b32_e64 v1, v33, v29, s22
	s_mov_b32 s12, exec_lo
	s_delay_alu instid0(VALU_DEP_2)
	v_cmpx_lt_u32_e64 v22, v47
	s_cbranch_execz .LBB627_1066
; %bb.1059:
	s_and_not1_b32 vcc_lo, exec_lo, s26
	s_cbranch_vccnz .LBB627_1065
; %bb.1060:
	v_mul_u64_e32 v[22:23], s[16:17], v[0:1]
	v_mul_u64_e32 v[24:25], s[16:17], v[4:5]
	s_mov_b32 s13, 0
	s_mov_b64 s[8:9], s[16:17]
                                        ; implicit-def: $sgpr14
                                        ; implicit-def: $sgpr15
                                        ; implicit-def: $sgpr22
                                        ; implicit-def: $sgpr23
	s_delay_alu instid0(VALU_DEP_2) | instskip(NEXT) | instid1(VALU_DEP_2)
	v_lshl_add_u64 v[22:23], v[22:23], 1, s[18:19]
	v_lshl_add_u64 v[24:25], v[24:25], 1, s[18:19]
	s_branch .LBB627_1062
.LBB627_1061:                           ;   in Loop: Header=BB627_1062 Depth=1
	s_or_b32 exec_lo, exec_lo, s27
	s_delay_alu instid0(SALU_CYCLE_1) | instskip(NEXT) | instid1(SALU_CYCLE_1)
	s_and_b32 s27, exec_lo, s15
	s_or_b32 s13, s27, s13
	s_and_not1_b32 s23, s23, exec_lo
	s_and_b32 s7, s7, exec_lo
	s_and_not1_b32 s14, s14, exec_lo
	s_and_b32 s27, s22, exec_lo
	s_or_b32 s23, s23, s7
	s_or_b32 s14, s14, s27
	s_and_not1_b32 exec_lo, exec_lo, s13
	s_cbranch_execz .LBB627_1064
.LBB627_1062:                           ; =>This Inner Loop Header: Depth=1
	global_load_u16 v26, v[22:23], off
	global_load_u16 v27, v[24:25], off
	s_and_not1_b32 s22, s22, exec_lo
	s_or_b32 s15, s15, exec_lo
	s_wait_loadcnt 0x0
	v_cmp_le_i16_e32 vcc_lo, v26, v27
	v_cmp_lt_i16_e64 s7, v26, v27
	s_and_b32 s27, vcc_lo, s23
	s_delay_alu instid0(SALU_CYCLE_1) | instskip(NEXT) | instid1(SALU_CYCLE_1)
	s_or_b32 s7, s7, s27
	s_and_b32 s27, s7, exec_lo
	s_delay_alu instid0(SALU_CYCLE_1)
	s_or_b32 s22, s22, s27
	s_mov_b32 s27, exec_lo
	v_cmpx_eq_u16_e64 v26, v27
	s_cbranch_execz .LBB627_1061
; %bb.1063:                             ;   in Loop: Header=BB627_1062 Depth=1
	s_add_nc_u64 s[8:9], s[8:9], -1
	v_add_nc_u64_e32 v[22:23], 2, v[22:23]
	s_cmp_eq_u64 s[8:9], 0
	v_add_nc_u64_e32 v[24:25], 2, v[24:25]
	s_cselect_b32 s23, -1, 0
	s_and_not1_b32 s15, s15, exec_lo
	s_and_b32 s23, s23, exec_lo
	s_and_not1_b32 s22, s22, exec_lo
	s_or_b32 s15, s15, s23
                                        ; implicit-def: $sgpr23
	s_branch .LBB627_1061
.LBB627_1064:
	s_or_b32 exec_lo, exec_lo, s13
	v_dual_cndmask_b32 v5, v5, v1, s14 :: v_dual_cndmask_b32 v4, v4, v0, s14
.LBB627_1065:
	s_delay_alu instid0(VALU_DEP_1)
	v_mov_b64_e32 v[0:1], v[4:5]
.LBB627_1066:
	s_or_b32 exec_lo, exec_lo, s12
	s_delay_alu instid0(VALU_DEP_1)
	v_mov_b64_e32 v[4:5], v[0:1]
.LBB627_1067:
	s_or_b32 exec_lo, exec_lo, s11
.LBB627_1068:
	s_delay_alu instid0(SALU_CYCLE_1)
	s_or_b32 exec_lo, exec_lo, s10
	v_and_b32_e32 v26, 0xe0, v45
	s_mov_b32 s12, exec_lo
	; wave barrier
	ds_store_b128 v46, v[14:17]
	ds_store_b128 v46, v[10:13] offset:16
	v_or_b32_e32 v0, 16, v26
	v_lshl_add_u32 v25, v26, 3, v43
	ds_store_b128 v46, v[6:9] offset:32
	ds_store_b128 v46, v[2:5] offset:48
	; wave barrier
	v_min_u32_e32 v47, v44, v0
	v_and_b32_e32 v0, 24, v45
	s_delay_alu instid0(VALU_DEP_2) | instskip(NEXT) | instid1(VALU_DEP_2)
	v_add_min_u32_e64 v48, v47, 16, v44
	v_min_u32_e32 v27, v44, v0
	s_delay_alu instid0(VALU_DEP_2) | instskip(NEXT) | instid1(VALU_DEP_1)
	v_dual_sub_nc_u32 v1, v47, v26 :: v_dual_sub_nc_u32 v0, v48, v47
	v_min_u32_e32 v28, v27, v1
	s_delay_alu instid0(VALU_DEP_2) | instskip(NEXT) | instid1(VALU_DEP_1)
	v_sub_nc_u32_e64 v24, v27, v0 clamp
	v_cmpx_lt_u32_e64 v24, v28
	s_cbranch_execz .LBB627_1078
; %bb.1069:
	v_lshlrev_b32_e32 v0, 3, v47
	v_lshlrev_b32_e32 v1, 3, v27
	s_lshl_b64 s[8:9], s[16:17], 1
	s_mov_b32 s13, 0
	s_delay_alu instid0(VALU_DEP_1)
	v_add3_u32 v29, v43, v0, v1
	s_branch .LBB627_1072
.LBB627_1070:                           ;   in Loop: Header=BB627_1072 Depth=1
	s_or_b32 exec_lo, exec_lo, s15
.LBB627_1071:                           ;   in Loop: Header=BB627_1072 Depth=1
	s_delay_alu instid0(VALU_DEP_1) | instskip(NEXT) | instid1(VALU_DEP_1)
	v_dual_add_nc_u32 v0, 1, v30 :: v_dual_cndmask_b32 v28, v28, v30, s14
	v_cndmask_b32_e64 v24, v0, v24, s14
	s_delay_alu instid0(VALU_DEP_1) | instskip(SKIP_1) | instid1(SALU_CYCLE_1)
	v_cmp_ge_u32_e32 vcc_lo, v24, v28
	s_or_b32 s13, vcc_lo, s13
	s_and_not1_b32 exec_lo, exec_lo, s13
	s_cbranch_execz .LBB627_1077
.LBB627_1072:                           ; =>This Loop Header: Depth=1
                                        ;     Child Loop BB627_1075 Depth 2
	v_add_nc_u32_e32 v0, v28, v24
	s_and_not1_b32 vcc_lo, exec_lo, s26
	s_mov_b32 s14, 0
	s_delay_alu instid0(VALU_DEP_1)
	v_lshrrev_b32_e32 v30, 1, v0
	s_cbranch_vccnz .LBB627_1071
; %bb.1073:                             ;   in Loop: Header=BB627_1072 Depth=1
	s_delay_alu instid0(VALU_DEP_1) | instskip(SKIP_3) | instid1(VALU_DEP_2)
	v_not_b32_e32 v0, v30
	v_lshl_add_u32 v1, v30, 3, v25
	s_mov_b32 s15, 0
	s_mov_b64 s[10:11], s[16:17]
                                        ; implicit-def: $sgpr14
                                        ; implicit-def: $sgpr22
                                        ; implicit-def: $sgpr23
                                        ; implicit-def: $sgpr27
	v_lshl_add_u32 v0, v0, 3, v29
	ds_load_b64 v[32:33], v0
	ds_load_b64 v[34:35], v1
	s_wait_dscnt 0x1
	v_mad_nc_u64_u32 v[0:1], s8, v32, s[18:19]
	s_wait_dscnt 0x0
	v_mad_nc_u64_u32 v[22:23], s8, v34, s[18:19]
	s_delay_alu instid0(VALU_DEP_2) | instskip(NEXT) | instid1(VALU_DEP_2)
	v_mad_u32 v1, s9, v32, v1
	v_mad_u32 v23, s9, v34, v23
	s_delay_alu instid0(VALU_DEP_2) | instskip(NEXT) | instid1(VALU_DEP_2)
	v_mad_u32 v1, s8, v33, v1
	v_mad_u32 v23, s8, v35, v23
	s_branch .LBB627_1075
.LBB627_1074:                           ;   in Loop: Header=BB627_1075 Depth=2
	s_or_b32 exec_lo, exec_lo, s28
	s_delay_alu instid0(SALU_CYCLE_1) | instskip(NEXT) | instid1(SALU_CYCLE_1)
	s_and_b32 s28, exec_lo, s22
	s_or_b32 s15, s28, s15
	s_and_not1_b32 s27, s27, exec_lo
	s_and_b32 s7, s7, exec_lo
	s_and_not1_b32 s14, s14, exec_lo
	s_and_b32 s28, s23, exec_lo
	s_or_b32 s27, s27, s7
	s_or_b32 s14, s14, s28
	s_and_not1_b32 exec_lo, exec_lo, s15
	s_cbranch_execz .LBB627_1070
.LBB627_1075:                           ;   Parent Loop BB627_1072 Depth=1
                                        ; =>  This Inner Loop Header: Depth=2
	global_load_u16 v31, v[0:1], off
	global_load_u16 v32, v[22:23], off
	s_and_not1_b32 s23, s23, exec_lo
	s_or_b32 s22, s22, exec_lo
	s_wait_loadcnt 0x0
	v_cmp_le_i16_e32 vcc_lo, v31, v32
	v_cmp_lt_i16_e64 s7, v31, v32
	s_and_b32 s28, vcc_lo, s27
	s_delay_alu instid0(SALU_CYCLE_1) | instskip(NEXT) | instid1(SALU_CYCLE_1)
	s_or_b32 s7, s7, s28
	s_and_b32 s28, s7, exec_lo
	s_delay_alu instid0(SALU_CYCLE_1)
	s_or_b32 s23, s23, s28
	s_mov_b32 s28, exec_lo
	v_cmpx_eq_u16_e64 v31, v32
	s_cbranch_execz .LBB627_1074
; %bb.1076:                             ;   in Loop: Header=BB627_1075 Depth=2
	s_add_nc_u64 s[10:11], s[10:11], -1
	v_add_nc_u64_e32 v[0:1], 2, v[0:1]
	s_cmp_eq_u64 s[10:11], 0
	v_add_nc_u64_e32 v[22:23], 2, v[22:23]
	s_cselect_b32 s27, -1, 0
	s_and_not1_b32 s22, s22, exec_lo
	s_and_b32 s27, s27, exec_lo
	s_and_not1_b32 s23, s23, exec_lo
	s_or_b32 s22, s22, s27
                                        ; implicit-def: $sgpr27
	s_branch .LBB627_1074
.LBB627_1077:
	s_or_b32 exec_lo, exec_lo, s13
.LBB627_1078:
	s_delay_alu instid0(SALU_CYCLE_1) | instskip(SKIP_1) | instid1(VALU_DEP_1)
	s_or_b32 exec_lo, exec_lo, s12
	v_dual_add_nc_u32 v0, v47, v27 :: v_dual_add_nc_u32 v22, v24, v26
	v_sub_nc_u32_e32 v23, v0, v24
	s_delay_alu instid0(VALU_DEP_2) | instskip(NEXT) | instid1(VALU_DEP_2)
	v_cmp_le_u32_e32 vcc_lo, v22, v47
	v_cmp_le_u32_e64 s7, v23, v48
	s_or_b32 s7, vcc_lo, s7
	s_delay_alu instid0(SALU_CYCLE_1)
	s_and_saveexec_b32 s10, s7
	s_cbranch_execz .LBB627_1169
; %bb.1079:
	s_mov_b32 s8, exec_lo
	v_cmp_ge_u32_e32 vcc_lo, v22, v47
                                        ; implicit-def: $vgpr0_vgpr1
	v_cmpx_lt_u32_e64 v22, v47
; %bb.1080:
	v_lshl_add_u32 v0, v24, 3, v25
	ds_load_b64 v[0:1], v0
; %bb.1081:
	s_or_b32 exec_lo, exec_lo, s8
	v_cmp_ge_u32_e64 s11, v23, v48
	s_mov_b32 s8, exec_lo
                                        ; implicit-def: $vgpr2_vgpr3
	v_cmpx_lt_u32_e64 v23, v48
; %bb.1082:
	v_lshl_add_u32 v2, v23, 3, v43
	ds_load_b64 v[2:3], v2
; %bb.1083:
	s_or_b32 exec_lo, exec_lo, s8
	s_nor_b32 s7, vcc_lo, s11
	s_delay_alu instid0(SALU_CYCLE_1)
	s_and_saveexec_b32 s12, s7
	s_cbranch_execz .LBB627_1092
; %bb.1084:
	s_and_not1_b32 vcc_lo, exec_lo, s26
	s_cbranch_vccnz .LBB627_1090
; %bb.1085:
	s_wait_dscnt 0x0
	v_mul_u64_e32 v[4:5], s[16:17], v[2:3]
	v_mul_u64_e32 v[6:7], s[16:17], v[0:1]
	s_mov_b32 s13, 0
	s_mov_b64 s[8:9], s[16:17]
                                        ; implicit-def: $sgpr14
                                        ; implicit-def: $sgpr15
                                        ; implicit-def: $sgpr22
                                        ; implicit-def: $sgpr23
	s_delay_alu instid0(VALU_DEP_2) | instskip(NEXT) | instid1(VALU_DEP_2)
	v_lshl_add_u64 v[4:5], v[4:5], 1, s[18:19]
	v_lshl_add_u64 v[6:7], v[6:7], 1, s[18:19]
	s_branch .LBB627_1087
.LBB627_1086:                           ;   in Loop: Header=BB627_1087 Depth=1
	s_or_b32 exec_lo, exec_lo, s27
	s_delay_alu instid0(SALU_CYCLE_1) | instskip(NEXT) | instid1(SALU_CYCLE_1)
	s_and_b32 s27, exec_lo, s15
	s_or_b32 s13, s27, s13
	s_and_not1_b32 s23, s23, exec_lo
	s_and_b32 s7, s7, exec_lo
	s_and_not1_b32 s14, s14, exec_lo
	s_and_b32 s27, s22, exec_lo
	s_or_b32 s23, s23, s7
	s_or_b32 s14, s14, s27
	s_and_not1_b32 exec_lo, exec_lo, s13
	s_cbranch_execz .LBB627_1089
.LBB627_1087:                           ; =>This Inner Loop Header: Depth=1
	global_load_u16 v8, v[4:5], off
	global_load_u16 v9, v[6:7], off
	s_and_not1_b32 s22, s22, exec_lo
	s_or_b32 s15, s15, exec_lo
	s_wait_loadcnt 0x0
	v_cmp_le_i16_e32 vcc_lo, v8, v9
	v_cmp_lt_i16_e64 s7, v8, v9
	s_and_b32 s27, vcc_lo, s23
	s_delay_alu instid0(SALU_CYCLE_1) | instskip(NEXT) | instid1(SALU_CYCLE_1)
	s_or_b32 s7, s7, s27
	s_and_b32 s27, s7, exec_lo
	s_delay_alu instid0(SALU_CYCLE_1)
	s_or_b32 s22, s22, s27
	s_mov_b32 s27, exec_lo
	v_cmpx_eq_u16_e64 v8, v9
	s_cbranch_execz .LBB627_1086
; %bb.1088:                             ;   in Loop: Header=BB627_1087 Depth=1
	s_add_nc_u64 s[8:9], s[8:9], -1
	v_add_nc_u64_e32 v[4:5], 2, v[4:5]
	s_cmp_eq_u64 s[8:9], 0
	v_add_nc_u64_e32 v[6:7], 2, v[6:7]
	s_cselect_b32 s23, -1, 0
	s_and_not1_b32 s15, s15, exec_lo
	s_and_b32 s23, s23, exec_lo
	s_and_not1_b32 s22, s22, exec_lo
	s_or_b32 s15, s15, s23
                                        ; implicit-def: $sgpr23
	s_branch .LBB627_1086
.LBB627_1089:
	s_or_b32 exec_lo, exec_lo, s13
	s_xor_b32 s7, s14, -1
	s_branch .LBB627_1091
.LBB627_1090:
	s_mov_b32 s7, -1
.LBB627_1091:
	s_and_not1_b32 s8, s11, exec_lo
	s_and_b32 s7, s7, exec_lo
	s_delay_alu instid0(SALU_CYCLE_1)
	s_or_b32 s11, s8, s7
.LBB627_1092:
	s_or_b32 exec_lo, exec_lo, s12
	v_dual_cndmask_b32 v4, v23, v22, s11 :: v_dual_cndmask_b32 v5, v48, v47, s11
	s_mov_b32 s13, -1
	s_mov_b32 s12, -1
	s_mov_b32 s14, exec_lo
	s_delay_alu instid0(VALU_DEP_1) | instskip(NEXT) | instid1(VALU_DEP_1)
	v_add_nc_u32_e32 v4, 1, v4
	v_add_min_u32_e64 v5, v5, -1, v4
	s_delay_alu instid0(VALU_DEP_1)
	v_lshl_add_u32 v5, v5, 3, v43
	ds_load_b64 v[6:7], v5
	s_wait_dscnt 0x0
	v_cndmask_b32_e64 v5, v7, v3, s11
	v_dual_cndmask_b32 v10, v4, v23, s11 :: v_dual_cndmask_b32 v11, v22, v4, s11
	v_dual_cndmask_b32 v4, v6, v2, s11 :: v_dual_cndmask_b32 v15, v1, v7, s11
	v_cndmask_b32_e64 v14, v0, v6, s11
	s_delay_alu instid0(VALU_DEP_3)
	v_cmpx_lt_u32_e64 v10, v48
	s_cbranch_execz .LBB627_1103
; %bb.1093:
	s_mov_b32 s7, 0
	s_mov_b32 s12, exec_lo
	v_cmpx_lt_u32_e64 v11, v47
	s_cbranch_execz .LBB627_1102
; %bb.1094:
	s_and_not1_b32 vcc_lo, exec_lo, s26
	s_cbranch_vccnz .LBB627_1100
; %bb.1095:
	v_mul_u64_e32 v[6:7], s[16:17], v[4:5]
	v_mul_u64_e32 v[8:9], s[16:17], v[14:15]
	s_mov_b32 s15, 0
	s_mov_b64 s[8:9], s[16:17]
                                        ; implicit-def: $sgpr22
                                        ; implicit-def: $sgpr23
                                        ; implicit-def: $sgpr27
                                        ; implicit-def: $sgpr28
	s_delay_alu instid0(VALU_DEP_2) | instskip(NEXT) | instid1(VALU_DEP_2)
	v_lshl_add_u64 v[6:7], v[6:7], 1, s[18:19]
	v_lshl_add_u64 v[8:9], v[8:9], 1, s[18:19]
	s_branch .LBB627_1097
.LBB627_1096:                           ;   in Loop: Header=BB627_1097 Depth=1
	s_or_b32 exec_lo, exec_lo, s29
	s_delay_alu instid0(SALU_CYCLE_1) | instskip(NEXT) | instid1(SALU_CYCLE_1)
	s_and_b32 s29, exec_lo, s23
	s_or_b32 s15, s29, s15
	s_and_not1_b32 s28, s28, exec_lo
	s_and_b32 s7, s7, exec_lo
	s_and_not1_b32 s22, s22, exec_lo
	s_and_b32 s29, s27, exec_lo
	s_or_b32 s28, s28, s7
	s_or_b32 s22, s22, s29
	s_and_not1_b32 exec_lo, exec_lo, s15
	s_cbranch_execz .LBB627_1099
.LBB627_1097:                           ; =>This Inner Loop Header: Depth=1
	global_load_u16 v12, v[6:7], off
	global_load_u16 v13, v[8:9], off
	s_and_not1_b32 s27, s27, exec_lo
	s_or_b32 s23, s23, exec_lo
	s_wait_loadcnt 0x0
	v_cmp_le_i16_e32 vcc_lo, v12, v13
	v_cmp_lt_i16_e64 s7, v12, v13
	s_and_b32 s29, vcc_lo, s28
	s_delay_alu instid0(SALU_CYCLE_1) | instskip(NEXT) | instid1(SALU_CYCLE_1)
	s_or_b32 s7, s7, s29
	s_and_b32 s29, s7, exec_lo
	s_delay_alu instid0(SALU_CYCLE_1)
	s_or_b32 s27, s27, s29
	s_mov_b32 s29, exec_lo
	v_cmpx_eq_u16_e64 v12, v13
	s_cbranch_execz .LBB627_1096
; %bb.1098:                             ;   in Loop: Header=BB627_1097 Depth=1
	s_add_nc_u64 s[8:9], s[8:9], -1
	v_add_nc_u64_e32 v[6:7], 2, v[6:7]
	s_cmp_eq_u64 s[8:9], 0
	v_add_nc_u64_e32 v[8:9], 2, v[8:9]
	s_cselect_b32 s28, -1, 0
	s_and_not1_b32 s23, s23, exec_lo
	s_and_b32 s28, s28, exec_lo
	s_and_not1_b32 s27, s27, exec_lo
	s_or_b32 s23, s23, s28
                                        ; implicit-def: $sgpr28
	s_branch .LBB627_1096
.LBB627_1099:
	s_or_b32 exec_lo, exec_lo, s15
	s_xor_b32 s7, s22, -1
	s_branch .LBB627_1101
.LBB627_1100:
	s_mov_b32 s7, -1
.LBB627_1101:
	s_delay_alu instid0(SALU_CYCLE_1)
	s_and_b32 s7, s7, exec_lo
.LBB627_1102:
	s_or_b32 exec_lo, exec_lo, s12
	s_delay_alu instid0(SALU_CYCLE_1)
	s_or_not1_b32 s12, s7, exec_lo
.LBB627_1103:
	s_or_b32 exec_lo, exec_lo, s14
	v_cndmask_b32_e64 v6, v10, v11, s12
	v_cndmask_b32_e64 v7, v48, v47, s12
	s_mov_b32 s14, exec_lo
	s_delay_alu instid0(VALU_DEP_2) | instskip(NEXT) | instid1(VALU_DEP_1)
	v_add_nc_u32_e32 v8, 1, v6
	v_add_min_u32_e64 v6, v7, -1, v8
	v_cndmask_b32_e64 v12, v8, v10, s12
	s_delay_alu instid0(VALU_DEP_2)
	v_lshl_add_u32 v6, v6, 3, v43
	ds_load_b64 v[6:7], v6
	s_wait_dscnt 0x0
	v_dual_cndmask_b32 v13, v11, v8, s12 :: v_dual_cndmask_b32 v16, v14, v6, s12
	v_dual_cndmask_b32 v11, v7, v5, s12 :: v_dual_cndmask_b32 v10, v6, v4, s12
	v_cndmask_b32_e64 v17, v15, v7, s12
	v_cmpx_lt_u32_e64 v12, v48
	s_cbranch_execz .LBB627_1114
; %bb.1104:
	s_mov_b32 s7, 0
	s_mov_b32 s13, exec_lo
	v_cmpx_lt_u32_e64 v13, v47
	s_cbranch_execz .LBB627_1113
; %bb.1105:
	s_and_not1_b32 vcc_lo, exec_lo, s26
	s_cbranch_vccnz .LBB627_1111
; %bb.1106:
	v_mul_u64_e32 v[6:7], s[16:17], v[10:11]
	v_mul_u64_e32 v[8:9], s[16:17], v[16:17]
	s_mov_b32 s15, 0
	s_mov_b64 s[8:9], s[16:17]
                                        ; implicit-def: $sgpr22
                                        ; implicit-def: $sgpr23
                                        ; implicit-def: $sgpr27
                                        ; implicit-def: $sgpr28
	s_delay_alu instid0(VALU_DEP_2) | instskip(NEXT) | instid1(VALU_DEP_2)
	v_lshl_add_u64 v[6:7], v[6:7], 1, s[18:19]
	v_lshl_add_u64 v[8:9], v[8:9], 1, s[18:19]
	s_branch .LBB627_1108
.LBB627_1107:                           ;   in Loop: Header=BB627_1108 Depth=1
	s_or_b32 exec_lo, exec_lo, s29
	s_delay_alu instid0(SALU_CYCLE_1) | instskip(NEXT) | instid1(SALU_CYCLE_1)
	s_and_b32 s29, exec_lo, s23
	s_or_b32 s15, s29, s15
	s_and_not1_b32 s28, s28, exec_lo
	s_and_b32 s7, s7, exec_lo
	s_and_not1_b32 s22, s22, exec_lo
	s_and_b32 s29, s27, exec_lo
	s_or_b32 s28, s28, s7
	s_or_b32 s22, s22, s29
	s_and_not1_b32 exec_lo, exec_lo, s15
	s_cbranch_execz .LBB627_1110
.LBB627_1108:                           ; =>This Inner Loop Header: Depth=1
	global_load_u16 v22, v[6:7], off
	global_load_u16 v23, v[8:9], off
	s_and_not1_b32 s27, s27, exec_lo
	s_or_b32 s23, s23, exec_lo
	s_wait_loadcnt 0x0
	v_cmp_le_i16_e32 vcc_lo, v22, v23
	v_cmp_lt_i16_e64 s7, v22, v23
	s_and_b32 s29, vcc_lo, s28
	s_delay_alu instid0(SALU_CYCLE_1) | instskip(NEXT) | instid1(SALU_CYCLE_1)
	s_or_b32 s7, s7, s29
	s_and_b32 s29, s7, exec_lo
	s_delay_alu instid0(SALU_CYCLE_1)
	s_or_b32 s27, s27, s29
	s_mov_b32 s29, exec_lo
	v_cmpx_eq_u16_e64 v22, v23
	s_cbranch_execz .LBB627_1107
; %bb.1109:                             ;   in Loop: Header=BB627_1108 Depth=1
	s_add_nc_u64 s[8:9], s[8:9], -1
	v_add_nc_u64_e32 v[6:7], 2, v[6:7]
	s_cmp_eq_u64 s[8:9], 0
	v_add_nc_u64_e32 v[8:9], 2, v[8:9]
	s_cselect_b32 s28, -1, 0
	s_and_not1_b32 s23, s23, exec_lo
	s_and_b32 s28, s28, exec_lo
	s_and_not1_b32 s27, s27, exec_lo
	s_or_b32 s23, s23, s28
                                        ; implicit-def: $sgpr28
	s_branch .LBB627_1107
.LBB627_1110:
	s_or_b32 exec_lo, exec_lo, s15
	s_xor_b32 s7, s22, -1
	s_branch .LBB627_1112
.LBB627_1111:
	s_mov_b32 s7, -1
.LBB627_1112:
	s_delay_alu instid0(SALU_CYCLE_1)
	s_and_b32 s7, s7, exec_lo
.LBB627_1113:
	s_or_b32 exec_lo, exec_lo, s13
	s_delay_alu instid0(SALU_CYCLE_1)
	s_or_not1_b32 s13, s7, exec_lo
.LBB627_1114:
	s_or_b32 exec_lo, exec_lo, s14
	v_cndmask_b32_e64 v6, v12, v13, s13
	v_cndmask_b32_e64 v7, v48, v47, s13
	s_mov_b32 s15, -1
	s_mov_b32 s14, -1
	s_mov_b32 s22, exec_lo
	v_add_nc_u32_e32 v8, 1, v6
	s_delay_alu instid0(VALU_DEP_1) | instskip(SKIP_1) | instid1(VALU_DEP_2)
	v_add_min_u32_e64 v6, v7, -1, v8
	v_cndmask_b32_e64 v25, v13, v8, s13
	v_lshl_add_u32 v6, v6, 3, v43
	ds_load_b64 v[6:7], v6
	s_wait_dscnt 0x0
	v_dual_cndmask_b32 v24, v8, v12, s13 :: v_dual_cndmask_b32 v13, v7, v11, s13
	v_dual_cndmask_b32 v12, v6, v10, s13 :: v_dual_cndmask_b32 v23, v17, v7, s13
	v_cndmask_b32_e64 v22, v16, v6, s13
	s_delay_alu instid0(VALU_DEP_3)
	v_cmpx_lt_u32_e64 v24, v48
	s_cbranch_execz .LBB627_1125
; %bb.1115:
	s_mov_b32 s7, 0
	s_mov_b32 s14, exec_lo
	v_cmpx_lt_u32_e64 v25, v47
	s_cbranch_execz .LBB627_1124
; %bb.1116:
	s_and_not1_b32 vcc_lo, exec_lo, s26
	s_cbranch_vccnz .LBB627_1122
; %bb.1117:
	v_mul_u64_e32 v[6:7], s[16:17], v[12:13]
	v_mul_u64_e32 v[8:9], s[16:17], v[22:23]
	s_mov_b32 s23, 0
	s_mov_b64 s[8:9], s[16:17]
                                        ; implicit-def: $sgpr27
                                        ; implicit-def: $sgpr28
                                        ; implicit-def: $sgpr29
                                        ; implicit-def: $sgpr30
	s_delay_alu instid0(VALU_DEP_2) | instskip(NEXT) | instid1(VALU_DEP_2)
	v_lshl_add_u64 v[6:7], v[6:7], 1, s[18:19]
	v_lshl_add_u64 v[8:9], v[8:9], 1, s[18:19]
	s_branch .LBB627_1119
.LBB627_1118:                           ;   in Loop: Header=BB627_1119 Depth=1
	s_or_b32 exec_lo, exec_lo, s31
	s_delay_alu instid0(SALU_CYCLE_1) | instskip(NEXT) | instid1(SALU_CYCLE_1)
	s_and_b32 s31, exec_lo, s28
	s_or_b32 s23, s31, s23
	s_and_not1_b32 s30, s30, exec_lo
	s_and_b32 s7, s7, exec_lo
	s_and_not1_b32 s27, s27, exec_lo
	s_and_b32 s31, s29, exec_lo
	s_or_b32 s30, s30, s7
	s_or_b32 s27, s27, s31
	s_and_not1_b32 exec_lo, exec_lo, s23
	s_cbranch_execz .LBB627_1121
.LBB627_1119:                           ; =>This Inner Loop Header: Depth=1
	global_load_u16 v26, v[6:7], off
	global_load_u16 v27, v[8:9], off
	s_and_not1_b32 s29, s29, exec_lo
	s_or_b32 s28, s28, exec_lo
	s_wait_loadcnt 0x0
	v_cmp_le_i16_e32 vcc_lo, v26, v27
	v_cmp_lt_i16_e64 s7, v26, v27
	s_and_b32 s31, vcc_lo, s30
	s_delay_alu instid0(SALU_CYCLE_1) | instskip(NEXT) | instid1(SALU_CYCLE_1)
	s_or_b32 s7, s7, s31
	s_and_b32 s31, s7, exec_lo
	s_delay_alu instid0(SALU_CYCLE_1)
	s_or_b32 s29, s29, s31
	s_mov_b32 s31, exec_lo
	v_cmpx_eq_u16_e64 v26, v27
	s_cbranch_execz .LBB627_1118
; %bb.1120:                             ;   in Loop: Header=BB627_1119 Depth=1
	s_add_nc_u64 s[8:9], s[8:9], -1
	v_add_nc_u64_e32 v[6:7], 2, v[6:7]
	s_cmp_eq_u64 s[8:9], 0
	v_add_nc_u64_e32 v[8:9], 2, v[8:9]
	s_cselect_b32 s30, -1, 0
	s_and_not1_b32 s28, s28, exec_lo
	s_and_b32 s30, s30, exec_lo
	s_and_not1_b32 s29, s29, exec_lo
	s_or_b32 s28, s28, s30
                                        ; implicit-def: $sgpr30
	s_branch .LBB627_1118
.LBB627_1121:
	s_or_b32 exec_lo, exec_lo, s23
	s_xor_b32 s7, s27, -1
	s_branch .LBB627_1123
.LBB627_1122:
	s_mov_b32 s7, -1
.LBB627_1123:
	s_delay_alu instid0(SALU_CYCLE_1)
	s_and_b32 s7, s7, exec_lo
.LBB627_1124:
	s_or_b32 exec_lo, exec_lo, s14
	s_delay_alu instid0(SALU_CYCLE_1)
	s_or_not1_b32 s14, s7, exec_lo
.LBB627_1125:
	s_or_b32 exec_lo, exec_lo, s22
	v_cndmask_b32_e64 v6, v24, v25, s14
	v_cndmask_b32_e64 v7, v48, v47, s14
	s_mov_b32 s22, exec_lo
	s_delay_alu instid0(VALU_DEP_2) | instskip(NEXT) | instid1(VALU_DEP_1)
	v_add_nc_u32_e32 v6, 1, v6
	v_add_min_u32_e64 v7, v7, -1, v6
	v_dual_cndmask_b32 v28, v6, v24, s14 :: v_dual_cndmask_b32 v29, v25, v6, s14
	s_delay_alu instid0(VALU_DEP_2)
	v_lshl_add_u32 v7, v7, 3, v43
	ds_load_b64 v[8:9], v7
	s_wait_dscnt 0x0
	v_dual_cndmask_b32 v7, v9, v13, s14 :: v_dual_cndmask_b32 v6, v8, v12, s14
	v_dual_cndmask_b32 v25, v23, v9, s14 :: v_dual_cndmask_b32 v24, v22, v8, s14
	v_cmpx_lt_u32_e64 v28, v48
	s_cbranch_execz .LBB627_1136
; %bb.1126:
	s_mov_b32 s7, 0
	s_mov_b32 s15, exec_lo
	v_cmpx_lt_u32_e64 v29, v47
	s_cbranch_execz .LBB627_1135
; %bb.1127:
	s_and_not1_b32 vcc_lo, exec_lo, s26
	s_cbranch_vccnz .LBB627_1133
; %bb.1128:
	v_mul_u64_e32 v[8:9], s[16:17], v[6:7]
	v_mul_u64_e32 v[26:27], s[16:17], v[24:25]
	s_mov_b32 s23, 0
	s_mov_b64 s[8:9], s[16:17]
                                        ; implicit-def: $sgpr27
                                        ; implicit-def: $sgpr28
                                        ; implicit-def: $sgpr29
                                        ; implicit-def: $sgpr30
	s_delay_alu instid0(VALU_DEP_2) | instskip(NEXT) | instid1(VALU_DEP_2)
	v_lshl_add_u64 v[8:9], v[8:9], 1, s[18:19]
	v_lshl_add_u64 v[26:27], v[26:27], 1, s[18:19]
	s_branch .LBB627_1130
.LBB627_1129:                           ;   in Loop: Header=BB627_1130 Depth=1
	s_or_b32 exec_lo, exec_lo, s31
	s_delay_alu instid0(SALU_CYCLE_1) | instskip(NEXT) | instid1(SALU_CYCLE_1)
	s_and_b32 s31, exec_lo, s28
	s_or_b32 s23, s31, s23
	s_and_not1_b32 s30, s30, exec_lo
	s_and_b32 s7, s7, exec_lo
	s_and_not1_b32 s27, s27, exec_lo
	s_and_b32 s31, s29, exec_lo
	s_or_b32 s30, s30, s7
	s_or_b32 s27, s27, s31
	s_and_not1_b32 exec_lo, exec_lo, s23
	s_cbranch_execz .LBB627_1132
.LBB627_1130:                           ; =>This Inner Loop Header: Depth=1
	global_load_u16 v30, v[8:9], off
	global_load_u16 v31, v[26:27], off
	s_and_not1_b32 s29, s29, exec_lo
	s_or_b32 s28, s28, exec_lo
	s_wait_loadcnt 0x0
	v_cmp_le_i16_e32 vcc_lo, v30, v31
	v_cmp_lt_i16_e64 s7, v30, v31
	s_and_b32 s31, vcc_lo, s30
	s_delay_alu instid0(SALU_CYCLE_1) | instskip(NEXT) | instid1(SALU_CYCLE_1)
	s_or_b32 s7, s7, s31
	s_and_b32 s31, s7, exec_lo
	s_delay_alu instid0(SALU_CYCLE_1)
	s_or_b32 s29, s29, s31
	s_mov_b32 s31, exec_lo
	v_cmpx_eq_u16_e64 v30, v31
	s_cbranch_execz .LBB627_1129
; %bb.1131:                             ;   in Loop: Header=BB627_1130 Depth=1
	s_add_nc_u64 s[8:9], s[8:9], -1
	v_add_nc_u64_e32 v[8:9], 2, v[8:9]
	s_cmp_eq_u64 s[8:9], 0
	v_add_nc_u64_e32 v[26:27], 2, v[26:27]
	s_cselect_b32 s30, -1, 0
	s_and_not1_b32 s28, s28, exec_lo
	s_and_b32 s30, s30, exec_lo
	s_and_not1_b32 s29, s29, exec_lo
	s_or_b32 s28, s28, s30
                                        ; implicit-def: $sgpr30
	s_branch .LBB627_1129
.LBB627_1132:
	s_or_b32 exec_lo, exec_lo, s23
	s_xor_b32 s7, s27, -1
	s_branch .LBB627_1134
.LBB627_1133:
	s_mov_b32 s7, -1
.LBB627_1134:
	s_delay_alu instid0(SALU_CYCLE_1)
	s_and_b32 s7, s7, exec_lo
.LBB627_1135:
	s_or_b32 exec_lo, exec_lo, s15
	s_delay_alu instid0(SALU_CYCLE_1)
	s_or_not1_b32 s15, s7, exec_lo
.LBB627_1136:
	s_or_b32 exec_lo, exec_lo, s22
	v_cndmask_b32_e64 v8, v28, v29, s15
	v_cndmask_b32_e64 v9, v48, v47, s15
	s_mov_b32 s22, -1
	s_mov_b32 s23, -1
	s_mov_b32 s27, exec_lo
	v_add_nc_u32_e32 v8, 1, v8
	s_delay_alu instid0(VALU_DEP_1) | instskip(NEXT) | instid1(VALU_DEP_1)
	v_add_min_u32_e64 v9, v9, -1, v8
	v_lshl_add_u32 v9, v9, 3, v43
	ds_load_b64 v[26:27], v9
	v_cndmask_b32_e64 v32, v8, v28, s15
	s_wait_dscnt 0x0
	v_dual_cndmask_b32 v33, v29, v8, s15 :: v_dual_cndmask_b32 v9, v27, v7, s15
	v_dual_cndmask_b32 v8, v26, v6, s15 :: v_dual_cndmask_b32 v27, v25, v27, s15
	v_cndmask_b32_e64 v26, v24, v26, s15
	v_cmpx_lt_u32_e64 v32, v48
	s_cbranch_execz .LBB627_1147
; %bb.1137:
	s_mov_b32 s7, 0
	s_mov_b32 s23, exec_lo
	v_cmpx_lt_u32_e64 v33, v47
	s_cbranch_execz .LBB627_1146
; %bb.1138:
	s_and_not1_b32 vcc_lo, exec_lo, s26
	s_cbranch_vccnz .LBB627_1144
; %bb.1139:
	v_mul_u64_e32 v[28:29], s[16:17], v[8:9]
	v_mul_u64_e32 v[30:31], s[16:17], v[26:27]
	s_mov_b32 s28, 0
	s_mov_b64 s[8:9], s[16:17]
                                        ; implicit-def: $sgpr29
                                        ; implicit-def: $sgpr30
                                        ; implicit-def: $sgpr31
                                        ; implicit-def: $sgpr33
	s_delay_alu instid0(VALU_DEP_2) | instskip(NEXT) | instid1(VALU_DEP_2)
	v_lshl_add_u64 v[28:29], v[28:29], 1, s[18:19]
	v_lshl_add_u64 v[30:31], v[30:31], 1, s[18:19]
	s_branch .LBB627_1141
.LBB627_1140:                           ;   in Loop: Header=BB627_1141 Depth=1
	s_or_b32 exec_lo, exec_lo, s34
	s_delay_alu instid0(SALU_CYCLE_1) | instskip(NEXT) | instid1(SALU_CYCLE_1)
	s_and_b32 s34, exec_lo, s30
	s_or_b32 s28, s34, s28
	s_and_not1_b32 s33, s33, exec_lo
	s_and_b32 s7, s7, exec_lo
	s_and_not1_b32 s29, s29, exec_lo
	s_and_b32 s34, s31, exec_lo
	s_or_b32 s33, s33, s7
	s_or_b32 s29, s29, s34
	s_and_not1_b32 exec_lo, exec_lo, s28
	s_cbranch_execz .LBB627_1143
.LBB627_1141:                           ; =>This Inner Loop Header: Depth=1
	global_load_u16 v34, v[28:29], off
	global_load_u16 v35, v[30:31], off
	s_and_not1_b32 s31, s31, exec_lo
	s_or_b32 s30, s30, exec_lo
	s_wait_loadcnt 0x0
	v_cmp_le_i16_e32 vcc_lo, v34, v35
	v_cmp_lt_i16_e64 s7, v34, v35
	s_and_b32 s34, vcc_lo, s33
	s_delay_alu instid0(SALU_CYCLE_1) | instskip(NEXT) | instid1(SALU_CYCLE_1)
	s_or_b32 s7, s7, s34
	s_and_b32 s34, s7, exec_lo
	s_delay_alu instid0(SALU_CYCLE_1)
	s_or_b32 s31, s31, s34
	s_mov_b32 s34, exec_lo
	v_cmpx_eq_u16_e64 v34, v35
	s_cbranch_execz .LBB627_1140
; %bb.1142:                             ;   in Loop: Header=BB627_1141 Depth=1
	s_add_nc_u64 s[8:9], s[8:9], -1
	v_add_nc_u64_e32 v[28:29], 2, v[28:29]
	s_cmp_eq_u64 s[8:9], 0
	v_add_nc_u64_e32 v[30:31], 2, v[30:31]
	s_cselect_b32 s33, -1, 0
	s_and_not1_b32 s30, s30, exec_lo
	s_and_b32 s33, s33, exec_lo
	s_and_not1_b32 s31, s31, exec_lo
	s_or_b32 s30, s30, s33
                                        ; implicit-def: $sgpr33
	s_branch .LBB627_1140
.LBB627_1143:
	s_or_b32 exec_lo, exec_lo, s28
	s_xor_b32 s7, s29, -1
	s_branch .LBB627_1145
.LBB627_1144:
	s_mov_b32 s7, -1
.LBB627_1145:
	s_delay_alu instid0(SALU_CYCLE_1)
	s_and_b32 s7, s7, exec_lo
.LBB627_1146:
	s_or_b32 exec_lo, exec_lo, s23
	s_delay_alu instid0(SALU_CYCLE_1)
	s_or_not1_b32 s23, s7, exec_lo
.LBB627_1147:
	s_or_b32 exec_lo, exec_lo, s27
	v_cndmask_b32_e64 v28, v32, v33, s23
	v_cndmask_b32_e64 v29, v48, v47, s23
	s_mov_b32 s27, exec_lo
	s_delay_alu instid0(VALU_DEP_2) | instskip(NEXT) | instid1(VALU_DEP_1)
	v_add_nc_u32_e32 v28, 1, v28
	v_add_min_u32_e64 v29, v29, -1, v28
	s_delay_alu instid0(VALU_DEP_1)
	v_lshl_add_u32 v29, v29, 3, v43
	ds_load_b64 v[30:31], v29
	v_cndmask_b32_e64 v50, v28, v32, s23
	s_wait_dscnt 0x0
	v_dual_cndmask_b32 v49, v33, v28, s23 :: v_dual_cndmask_b32 v29, v31, v9, s23
	v_dual_cndmask_b32 v28, v30, v8, s23 :: v_dual_cndmask_b32 v31, v27, v31, s23
	v_cndmask_b32_e64 v30, v26, v30, s23
	v_cmpx_lt_u32_e64 v50, v48
	s_cbranch_execz .LBB627_1158
; %bb.1148:
	s_mov_b32 s7, 0
	s_mov_b32 s22, exec_lo
	v_cmpx_lt_u32_e64 v49, v47
	s_cbranch_execz .LBB627_1157
; %bb.1149:
	s_and_not1_b32 vcc_lo, exec_lo, s26
	s_cbranch_vccnz .LBB627_1155
; %bb.1150:
	v_mul_u64_e32 v[32:33], s[16:17], v[28:29]
	v_mul_u64_e32 v[34:35], s[16:17], v[30:31]
	s_mov_b32 s28, 0
	s_mov_b64 s[8:9], s[16:17]
                                        ; implicit-def: $sgpr29
                                        ; implicit-def: $sgpr30
                                        ; implicit-def: $sgpr31
                                        ; implicit-def: $sgpr33
	s_delay_alu instid0(VALU_DEP_2) | instskip(NEXT) | instid1(VALU_DEP_2)
	v_lshl_add_u64 v[32:33], v[32:33], 1, s[18:19]
	v_lshl_add_u64 v[34:35], v[34:35], 1, s[18:19]
	s_branch .LBB627_1152
.LBB627_1151:                           ;   in Loop: Header=BB627_1152 Depth=1
	s_or_b32 exec_lo, exec_lo, s34
	s_delay_alu instid0(SALU_CYCLE_1) | instskip(NEXT) | instid1(SALU_CYCLE_1)
	s_and_b32 s34, exec_lo, s30
	s_or_b32 s28, s34, s28
	s_and_not1_b32 s33, s33, exec_lo
	s_and_b32 s7, s7, exec_lo
	s_and_not1_b32 s29, s29, exec_lo
	s_and_b32 s34, s31, exec_lo
	s_or_b32 s33, s33, s7
	s_or_b32 s29, s29, s34
	s_and_not1_b32 exec_lo, exec_lo, s28
	s_cbranch_execz .LBB627_1154
.LBB627_1152:                           ; =>This Inner Loop Header: Depth=1
	global_load_u16 v51, v[32:33], off
	global_load_u16 v52, v[34:35], off
	s_and_not1_b32 s31, s31, exec_lo
	s_or_b32 s30, s30, exec_lo
	s_wait_loadcnt 0x0
	v_cmp_le_i16_e32 vcc_lo, v51, v52
	v_cmp_lt_i16_e64 s7, v51, v52
	s_and_b32 s34, vcc_lo, s33
	s_delay_alu instid0(SALU_CYCLE_1) | instskip(NEXT) | instid1(SALU_CYCLE_1)
	s_or_b32 s7, s7, s34
	s_and_b32 s34, s7, exec_lo
	s_delay_alu instid0(SALU_CYCLE_1)
	s_or_b32 s31, s31, s34
	s_mov_b32 s34, exec_lo
	v_cmpx_eq_u16_e64 v51, v52
	s_cbranch_execz .LBB627_1151
; %bb.1153:                             ;   in Loop: Header=BB627_1152 Depth=1
	s_add_nc_u64 s[8:9], s[8:9], -1
	v_add_nc_u64_e32 v[32:33], 2, v[32:33]
	s_cmp_eq_u64 s[8:9], 0
	v_add_nc_u64_e32 v[34:35], 2, v[34:35]
	s_cselect_b32 s33, -1, 0
	s_and_not1_b32 s30, s30, exec_lo
	s_and_b32 s33, s33, exec_lo
	s_and_not1_b32 s31, s31, exec_lo
	s_or_b32 s30, s30, s33
                                        ; implicit-def: $sgpr33
	s_branch .LBB627_1151
.LBB627_1154:
	s_or_b32 exec_lo, exec_lo, s28
	s_xor_b32 s7, s29, -1
	s_branch .LBB627_1156
.LBB627_1155:
	s_mov_b32 s7, -1
.LBB627_1156:
	s_delay_alu instid0(SALU_CYCLE_1)
	s_and_b32 s7, s7, exec_lo
.LBB627_1157:
	s_or_b32 exec_lo, exec_lo, s22
	s_delay_alu instid0(SALU_CYCLE_1)
	s_or_not1_b32 s22, s7, exec_lo
.LBB627_1158:
	s_or_b32 exec_lo, exec_lo, s27
	v_dual_cndmask_b32 v32, v50, v49, s22 :: v_dual_cndmask_b32 v33, v48, v47, s22
	v_dual_cndmask_b32 v8, v8, v26, s23 :: v_dual_cndmask_b32 v7, v7, v25, s15
	;; [unrolled: 1-line block ×3, first 2 shown]
	s_delay_alu instid0(VALU_DEP_3) | instskip(SKIP_2) | instid1(VALU_DEP_3)
	v_dual_add_nc_u32 v34, 1, v32 :: v_dual_cndmask_b32 v9, v9, v27, s23
	v_dual_cndmask_b32 v12, v12, v22, s14 :: v_dual_cndmask_b32 v11, v11, v17, s13
	v_dual_cndmask_b32 v10, v10, v16, s13 :: v_dual_cndmask_b32 v17, v5, v15, s12
	v_add_min_u32_e64 v32, v33, -1, v34
	v_dual_cndmask_b32 v16, v4, v14, s12 :: v_dual_cndmask_b32 v15, v3, v1, s11
	v_dual_cndmask_b32 v14, v2, v0, s11 :: v_dual_cndmask_b32 v3, v29, v31, s22
	s_delay_alu instid0(VALU_DEP_3)
	v_lshl_add_u32 v32, v32, 3, v43
	s_mov_b32 s11, exec_lo
	ds_load_b64 v[32:33], v32
	v_cndmask_b32_e64 v0, v34, v50, s22
	s_wait_dscnt 0x0
	v_dual_cndmask_b32 v2, v28, v30, s22 :: v_dual_cndmask_b32 v4, v30, v32, s22
	v_cndmask_b32_e64 v5, v31, v33, s22
	s_delay_alu instid0(VALU_DEP_3)
	v_cmpx_lt_u32_e64 v0, v48
	s_cbranch_execz .LBB627_1168
; %bb.1159:
	v_dual_cndmask_b32 v22, v49, v34, s22 :: v_dual_cndmask_b32 v0, v32, v28, s22
	v_cndmask_b32_e64 v1, v33, v29, s22
	s_mov_b32 s12, exec_lo
	s_delay_alu instid0(VALU_DEP_2)
	v_cmpx_lt_u32_e64 v22, v47
	s_cbranch_execz .LBB627_1167
; %bb.1160:
	s_and_not1_b32 vcc_lo, exec_lo, s26
	s_cbranch_vccnz .LBB627_1166
; %bb.1161:
	v_mul_u64_e32 v[22:23], s[16:17], v[0:1]
	v_mul_u64_e32 v[24:25], s[16:17], v[4:5]
	s_mov_b32 s13, 0
	s_mov_b64 s[8:9], s[16:17]
                                        ; implicit-def: $sgpr14
                                        ; implicit-def: $sgpr15
                                        ; implicit-def: $sgpr22
                                        ; implicit-def: $sgpr23
	s_delay_alu instid0(VALU_DEP_2) | instskip(NEXT) | instid1(VALU_DEP_2)
	v_lshl_add_u64 v[22:23], v[22:23], 1, s[18:19]
	v_lshl_add_u64 v[24:25], v[24:25], 1, s[18:19]
	s_branch .LBB627_1163
.LBB627_1162:                           ;   in Loop: Header=BB627_1163 Depth=1
	s_or_b32 exec_lo, exec_lo, s27
	s_delay_alu instid0(SALU_CYCLE_1) | instskip(NEXT) | instid1(SALU_CYCLE_1)
	s_and_b32 s27, exec_lo, s15
	s_or_b32 s13, s27, s13
	s_and_not1_b32 s23, s23, exec_lo
	s_and_b32 s7, s7, exec_lo
	s_and_not1_b32 s14, s14, exec_lo
	s_and_b32 s27, s22, exec_lo
	s_or_b32 s23, s23, s7
	s_or_b32 s14, s14, s27
	s_and_not1_b32 exec_lo, exec_lo, s13
	s_cbranch_execz .LBB627_1165
.LBB627_1163:                           ; =>This Inner Loop Header: Depth=1
	global_load_u16 v26, v[22:23], off
	global_load_u16 v27, v[24:25], off
	s_and_not1_b32 s22, s22, exec_lo
	s_or_b32 s15, s15, exec_lo
	s_wait_loadcnt 0x0
	v_cmp_le_i16_e32 vcc_lo, v26, v27
	v_cmp_lt_i16_e64 s7, v26, v27
	s_and_b32 s27, vcc_lo, s23
	s_delay_alu instid0(SALU_CYCLE_1) | instskip(NEXT) | instid1(SALU_CYCLE_1)
	s_or_b32 s7, s7, s27
	s_and_b32 s27, s7, exec_lo
	s_delay_alu instid0(SALU_CYCLE_1)
	s_or_b32 s22, s22, s27
	s_mov_b32 s27, exec_lo
	v_cmpx_eq_u16_e64 v26, v27
	s_cbranch_execz .LBB627_1162
; %bb.1164:                             ;   in Loop: Header=BB627_1163 Depth=1
	s_add_nc_u64 s[8:9], s[8:9], -1
	v_add_nc_u64_e32 v[22:23], 2, v[22:23]
	s_cmp_eq_u64 s[8:9], 0
	v_add_nc_u64_e32 v[24:25], 2, v[24:25]
	s_cselect_b32 s23, -1, 0
	s_and_not1_b32 s15, s15, exec_lo
	s_and_b32 s23, s23, exec_lo
	s_and_not1_b32 s22, s22, exec_lo
	s_or_b32 s15, s15, s23
                                        ; implicit-def: $sgpr23
	s_branch .LBB627_1162
.LBB627_1165:
	s_or_b32 exec_lo, exec_lo, s13
	v_dual_cndmask_b32 v5, v5, v1, s14 :: v_dual_cndmask_b32 v4, v4, v0, s14
.LBB627_1166:
	s_delay_alu instid0(VALU_DEP_1)
	v_mov_b64_e32 v[0:1], v[4:5]
.LBB627_1167:
	s_or_b32 exec_lo, exec_lo, s12
	s_delay_alu instid0(VALU_DEP_1)
	v_mov_b64_e32 v[4:5], v[0:1]
.LBB627_1168:
	s_or_b32 exec_lo, exec_lo, s11
.LBB627_1169:
	s_delay_alu instid0(SALU_CYCLE_1)
	s_or_b32 exec_lo, exec_lo, s10
	v_and_b32_e32 v26, 0xc0, v45
	s_mov_b32 s12, exec_lo
	; wave barrier
	ds_store_b128 v46, v[14:17]
	ds_store_b128 v46, v[10:13] offset:16
	v_or_b32_e32 v0, 32, v26
	v_lshl_add_u32 v25, v26, 3, v43
	ds_store_b128 v46, v[6:9] offset:32
	ds_store_b128 v46, v[2:5] offset:48
	; wave barrier
	v_min_u32_e32 v47, v44, v0
	v_and_b32_e32 v0, 56, v45
	s_delay_alu instid0(VALU_DEP_2) | instskip(NEXT) | instid1(VALU_DEP_2)
	v_add_min_u32_e64 v48, v47, 32, v44
	v_min_u32_e32 v27, v44, v0
	s_delay_alu instid0(VALU_DEP_2) | instskip(NEXT) | instid1(VALU_DEP_1)
	v_dual_sub_nc_u32 v1, v47, v26 :: v_dual_sub_nc_u32 v0, v48, v47
	v_min_u32_e32 v28, v27, v1
	s_delay_alu instid0(VALU_DEP_2) | instskip(NEXT) | instid1(VALU_DEP_1)
	v_sub_nc_u32_e64 v24, v27, v0 clamp
	v_cmpx_lt_u32_e64 v24, v28
	s_cbranch_execz .LBB627_1179
; %bb.1170:
	v_lshlrev_b32_e32 v0, 3, v47
	v_lshlrev_b32_e32 v1, 3, v27
	s_lshl_b64 s[8:9], s[16:17], 1
	s_mov_b32 s13, 0
	s_delay_alu instid0(VALU_DEP_1)
	v_add3_u32 v29, v43, v0, v1
	s_branch .LBB627_1173
.LBB627_1171:                           ;   in Loop: Header=BB627_1173 Depth=1
	s_or_b32 exec_lo, exec_lo, s15
.LBB627_1172:                           ;   in Loop: Header=BB627_1173 Depth=1
	s_delay_alu instid0(VALU_DEP_1) | instskip(NEXT) | instid1(VALU_DEP_1)
	v_dual_add_nc_u32 v0, 1, v30 :: v_dual_cndmask_b32 v28, v28, v30, s14
	v_cndmask_b32_e64 v24, v0, v24, s14
	s_delay_alu instid0(VALU_DEP_1) | instskip(SKIP_1) | instid1(SALU_CYCLE_1)
	v_cmp_ge_u32_e32 vcc_lo, v24, v28
	s_or_b32 s13, vcc_lo, s13
	s_and_not1_b32 exec_lo, exec_lo, s13
	s_cbranch_execz .LBB627_1178
.LBB627_1173:                           ; =>This Loop Header: Depth=1
                                        ;     Child Loop BB627_1176 Depth 2
	v_add_nc_u32_e32 v0, v28, v24
	s_and_not1_b32 vcc_lo, exec_lo, s26
	s_mov_b32 s14, 0
	s_delay_alu instid0(VALU_DEP_1)
	v_lshrrev_b32_e32 v30, 1, v0
	s_cbranch_vccnz .LBB627_1172
; %bb.1174:                             ;   in Loop: Header=BB627_1173 Depth=1
	s_delay_alu instid0(VALU_DEP_1) | instskip(SKIP_3) | instid1(VALU_DEP_2)
	v_not_b32_e32 v0, v30
	v_lshl_add_u32 v1, v30, 3, v25
	s_mov_b32 s15, 0
	s_mov_b64 s[10:11], s[16:17]
                                        ; implicit-def: $sgpr14
                                        ; implicit-def: $sgpr22
                                        ; implicit-def: $sgpr23
                                        ; implicit-def: $sgpr27
	v_lshl_add_u32 v0, v0, 3, v29
	ds_load_b64 v[32:33], v0
	ds_load_b64 v[34:35], v1
	s_wait_dscnt 0x1
	v_mad_nc_u64_u32 v[0:1], s8, v32, s[18:19]
	s_wait_dscnt 0x0
	v_mad_nc_u64_u32 v[22:23], s8, v34, s[18:19]
	s_delay_alu instid0(VALU_DEP_2) | instskip(NEXT) | instid1(VALU_DEP_2)
	v_mad_u32 v1, s9, v32, v1
	v_mad_u32 v23, s9, v34, v23
	s_delay_alu instid0(VALU_DEP_2) | instskip(NEXT) | instid1(VALU_DEP_2)
	v_mad_u32 v1, s8, v33, v1
	v_mad_u32 v23, s8, v35, v23
	s_branch .LBB627_1176
.LBB627_1175:                           ;   in Loop: Header=BB627_1176 Depth=2
	s_or_b32 exec_lo, exec_lo, s28
	s_delay_alu instid0(SALU_CYCLE_1) | instskip(NEXT) | instid1(SALU_CYCLE_1)
	s_and_b32 s28, exec_lo, s22
	s_or_b32 s15, s28, s15
	s_and_not1_b32 s27, s27, exec_lo
	s_and_b32 s7, s7, exec_lo
	s_and_not1_b32 s14, s14, exec_lo
	s_and_b32 s28, s23, exec_lo
	s_or_b32 s27, s27, s7
	s_or_b32 s14, s14, s28
	s_and_not1_b32 exec_lo, exec_lo, s15
	s_cbranch_execz .LBB627_1171
.LBB627_1176:                           ;   Parent Loop BB627_1173 Depth=1
                                        ; =>  This Inner Loop Header: Depth=2
	global_load_u16 v31, v[0:1], off
	global_load_u16 v32, v[22:23], off
	s_and_not1_b32 s23, s23, exec_lo
	s_or_b32 s22, s22, exec_lo
	s_wait_loadcnt 0x0
	v_cmp_le_i16_e32 vcc_lo, v31, v32
	v_cmp_lt_i16_e64 s7, v31, v32
	s_and_b32 s28, vcc_lo, s27
	s_delay_alu instid0(SALU_CYCLE_1) | instskip(NEXT) | instid1(SALU_CYCLE_1)
	s_or_b32 s7, s7, s28
	s_and_b32 s28, s7, exec_lo
	s_delay_alu instid0(SALU_CYCLE_1)
	s_or_b32 s23, s23, s28
	s_mov_b32 s28, exec_lo
	v_cmpx_eq_u16_e64 v31, v32
	s_cbranch_execz .LBB627_1175
; %bb.1177:                             ;   in Loop: Header=BB627_1176 Depth=2
	s_add_nc_u64 s[10:11], s[10:11], -1
	v_add_nc_u64_e32 v[0:1], 2, v[0:1]
	s_cmp_eq_u64 s[10:11], 0
	v_add_nc_u64_e32 v[22:23], 2, v[22:23]
	s_cselect_b32 s27, -1, 0
	s_and_not1_b32 s22, s22, exec_lo
	s_and_b32 s27, s27, exec_lo
	s_and_not1_b32 s23, s23, exec_lo
	s_or_b32 s22, s22, s27
                                        ; implicit-def: $sgpr27
	s_branch .LBB627_1175
.LBB627_1178:
	s_or_b32 exec_lo, exec_lo, s13
.LBB627_1179:
	s_delay_alu instid0(SALU_CYCLE_1) | instskip(SKIP_1) | instid1(VALU_DEP_1)
	s_or_b32 exec_lo, exec_lo, s12
	v_dual_add_nc_u32 v0, v47, v27 :: v_dual_add_nc_u32 v22, v24, v26
	v_sub_nc_u32_e32 v23, v0, v24
	s_delay_alu instid0(VALU_DEP_2) | instskip(NEXT) | instid1(VALU_DEP_2)
	v_cmp_le_u32_e32 vcc_lo, v22, v47
	v_cmp_le_u32_e64 s7, v23, v48
	s_or_b32 s7, vcc_lo, s7
	s_delay_alu instid0(SALU_CYCLE_1)
	s_and_saveexec_b32 s10, s7
	s_cbranch_execz .LBB627_1270
; %bb.1180:
	s_mov_b32 s8, exec_lo
	v_cmp_ge_u32_e32 vcc_lo, v22, v47
                                        ; implicit-def: $vgpr0_vgpr1
	v_cmpx_lt_u32_e64 v22, v47
; %bb.1181:
	v_lshl_add_u32 v0, v24, 3, v25
	ds_load_b64 v[0:1], v0
; %bb.1182:
	s_or_b32 exec_lo, exec_lo, s8
	v_cmp_ge_u32_e64 s11, v23, v48
	s_mov_b32 s8, exec_lo
                                        ; implicit-def: $vgpr2_vgpr3
	v_cmpx_lt_u32_e64 v23, v48
; %bb.1183:
	v_lshl_add_u32 v2, v23, 3, v43
	ds_load_b64 v[2:3], v2
; %bb.1184:
	s_or_b32 exec_lo, exec_lo, s8
	s_nor_b32 s7, vcc_lo, s11
	s_delay_alu instid0(SALU_CYCLE_1)
	s_and_saveexec_b32 s12, s7
	s_cbranch_execz .LBB627_1193
; %bb.1185:
	s_and_not1_b32 vcc_lo, exec_lo, s26
	s_cbranch_vccnz .LBB627_1191
; %bb.1186:
	s_wait_dscnt 0x0
	v_mul_u64_e32 v[4:5], s[16:17], v[2:3]
	v_mul_u64_e32 v[6:7], s[16:17], v[0:1]
	s_mov_b32 s13, 0
	s_mov_b64 s[8:9], s[16:17]
                                        ; implicit-def: $sgpr14
                                        ; implicit-def: $sgpr15
                                        ; implicit-def: $sgpr22
                                        ; implicit-def: $sgpr23
	s_delay_alu instid0(VALU_DEP_2) | instskip(NEXT) | instid1(VALU_DEP_2)
	v_lshl_add_u64 v[4:5], v[4:5], 1, s[18:19]
	v_lshl_add_u64 v[6:7], v[6:7], 1, s[18:19]
	s_branch .LBB627_1188
.LBB627_1187:                           ;   in Loop: Header=BB627_1188 Depth=1
	s_or_b32 exec_lo, exec_lo, s27
	s_delay_alu instid0(SALU_CYCLE_1) | instskip(NEXT) | instid1(SALU_CYCLE_1)
	s_and_b32 s27, exec_lo, s15
	s_or_b32 s13, s27, s13
	s_and_not1_b32 s23, s23, exec_lo
	s_and_b32 s7, s7, exec_lo
	s_and_not1_b32 s14, s14, exec_lo
	s_and_b32 s27, s22, exec_lo
	s_or_b32 s23, s23, s7
	s_or_b32 s14, s14, s27
	s_and_not1_b32 exec_lo, exec_lo, s13
	s_cbranch_execz .LBB627_1190
.LBB627_1188:                           ; =>This Inner Loop Header: Depth=1
	global_load_u16 v8, v[4:5], off
	global_load_u16 v9, v[6:7], off
	s_and_not1_b32 s22, s22, exec_lo
	s_or_b32 s15, s15, exec_lo
	s_wait_loadcnt 0x0
	v_cmp_le_i16_e32 vcc_lo, v8, v9
	v_cmp_lt_i16_e64 s7, v8, v9
	s_and_b32 s27, vcc_lo, s23
	s_delay_alu instid0(SALU_CYCLE_1) | instskip(NEXT) | instid1(SALU_CYCLE_1)
	s_or_b32 s7, s7, s27
	s_and_b32 s27, s7, exec_lo
	s_delay_alu instid0(SALU_CYCLE_1)
	s_or_b32 s22, s22, s27
	s_mov_b32 s27, exec_lo
	v_cmpx_eq_u16_e64 v8, v9
	s_cbranch_execz .LBB627_1187
; %bb.1189:                             ;   in Loop: Header=BB627_1188 Depth=1
	s_add_nc_u64 s[8:9], s[8:9], -1
	v_add_nc_u64_e32 v[4:5], 2, v[4:5]
	s_cmp_eq_u64 s[8:9], 0
	v_add_nc_u64_e32 v[6:7], 2, v[6:7]
	s_cselect_b32 s23, -1, 0
	s_and_not1_b32 s15, s15, exec_lo
	s_and_b32 s23, s23, exec_lo
	s_and_not1_b32 s22, s22, exec_lo
	s_or_b32 s15, s15, s23
                                        ; implicit-def: $sgpr23
	s_branch .LBB627_1187
.LBB627_1190:
	s_or_b32 exec_lo, exec_lo, s13
	s_xor_b32 s7, s14, -1
	s_branch .LBB627_1192
.LBB627_1191:
	s_mov_b32 s7, -1
.LBB627_1192:
	s_and_not1_b32 s8, s11, exec_lo
	s_and_b32 s7, s7, exec_lo
	s_delay_alu instid0(SALU_CYCLE_1)
	s_or_b32 s11, s8, s7
.LBB627_1193:
	s_or_b32 exec_lo, exec_lo, s12
	v_dual_cndmask_b32 v4, v23, v22, s11 :: v_dual_cndmask_b32 v5, v48, v47, s11
	s_mov_b32 s13, -1
	s_mov_b32 s12, -1
	s_mov_b32 s14, exec_lo
	s_delay_alu instid0(VALU_DEP_1) | instskip(NEXT) | instid1(VALU_DEP_1)
	v_add_nc_u32_e32 v4, 1, v4
	v_add_min_u32_e64 v5, v5, -1, v4
	s_delay_alu instid0(VALU_DEP_1)
	v_lshl_add_u32 v5, v5, 3, v43
	ds_load_b64 v[6:7], v5
	s_wait_dscnt 0x0
	v_cndmask_b32_e64 v5, v7, v3, s11
	v_dual_cndmask_b32 v10, v4, v23, s11 :: v_dual_cndmask_b32 v11, v22, v4, s11
	v_dual_cndmask_b32 v4, v6, v2, s11 :: v_dual_cndmask_b32 v15, v1, v7, s11
	v_cndmask_b32_e64 v14, v0, v6, s11
	s_delay_alu instid0(VALU_DEP_3)
	v_cmpx_lt_u32_e64 v10, v48
	s_cbranch_execz .LBB627_1204
; %bb.1194:
	s_mov_b32 s7, 0
	s_mov_b32 s12, exec_lo
	v_cmpx_lt_u32_e64 v11, v47
	s_cbranch_execz .LBB627_1203
; %bb.1195:
	s_and_not1_b32 vcc_lo, exec_lo, s26
	s_cbranch_vccnz .LBB627_1201
; %bb.1196:
	v_mul_u64_e32 v[6:7], s[16:17], v[4:5]
	v_mul_u64_e32 v[8:9], s[16:17], v[14:15]
	s_mov_b32 s15, 0
	s_mov_b64 s[8:9], s[16:17]
                                        ; implicit-def: $sgpr22
                                        ; implicit-def: $sgpr23
                                        ; implicit-def: $sgpr27
                                        ; implicit-def: $sgpr28
	s_delay_alu instid0(VALU_DEP_2) | instskip(NEXT) | instid1(VALU_DEP_2)
	v_lshl_add_u64 v[6:7], v[6:7], 1, s[18:19]
	v_lshl_add_u64 v[8:9], v[8:9], 1, s[18:19]
	s_branch .LBB627_1198
.LBB627_1197:                           ;   in Loop: Header=BB627_1198 Depth=1
	s_or_b32 exec_lo, exec_lo, s29
	s_delay_alu instid0(SALU_CYCLE_1) | instskip(NEXT) | instid1(SALU_CYCLE_1)
	s_and_b32 s29, exec_lo, s23
	s_or_b32 s15, s29, s15
	s_and_not1_b32 s28, s28, exec_lo
	s_and_b32 s7, s7, exec_lo
	s_and_not1_b32 s22, s22, exec_lo
	s_and_b32 s29, s27, exec_lo
	s_or_b32 s28, s28, s7
	s_or_b32 s22, s22, s29
	s_and_not1_b32 exec_lo, exec_lo, s15
	s_cbranch_execz .LBB627_1200
.LBB627_1198:                           ; =>This Inner Loop Header: Depth=1
	global_load_u16 v12, v[6:7], off
	global_load_u16 v13, v[8:9], off
	s_and_not1_b32 s27, s27, exec_lo
	s_or_b32 s23, s23, exec_lo
	s_wait_loadcnt 0x0
	v_cmp_le_i16_e32 vcc_lo, v12, v13
	v_cmp_lt_i16_e64 s7, v12, v13
	s_and_b32 s29, vcc_lo, s28
	s_delay_alu instid0(SALU_CYCLE_1) | instskip(NEXT) | instid1(SALU_CYCLE_1)
	s_or_b32 s7, s7, s29
	s_and_b32 s29, s7, exec_lo
	s_delay_alu instid0(SALU_CYCLE_1)
	s_or_b32 s27, s27, s29
	s_mov_b32 s29, exec_lo
	v_cmpx_eq_u16_e64 v12, v13
	s_cbranch_execz .LBB627_1197
; %bb.1199:                             ;   in Loop: Header=BB627_1198 Depth=1
	s_add_nc_u64 s[8:9], s[8:9], -1
	v_add_nc_u64_e32 v[6:7], 2, v[6:7]
	s_cmp_eq_u64 s[8:9], 0
	v_add_nc_u64_e32 v[8:9], 2, v[8:9]
	s_cselect_b32 s28, -1, 0
	s_and_not1_b32 s23, s23, exec_lo
	s_and_b32 s28, s28, exec_lo
	s_and_not1_b32 s27, s27, exec_lo
	s_or_b32 s23, s23, s28
                                        ; implicit-def: $sgpr28
	s_branch .LBB627_1197
.LBB627_1200:
	s_or_b32 exec_lo, exec_lo, s15
	s_xor_b32 s7, s22, -1
	s_branch .LBB627_1202
.LBB627_1201:
	s_mov_b32 s7, -1
.LBB627_1202:
	s_delay_alu instid0(SALU_CYCLE_1)
	s_and_b32 s7, s7, exec_lo
.LBB627_1203:
	s_or_b32 exec_lo, exec_lo, s12
	s_delay_alu instid0(SALU_CYCLE_1)
	s_or_not1_b32 s12, s7, exec_lo
.LBB627_1204:
	s_or_b32 exec_lo, exec_lo, s14
	v_cndmask_b32_e64 v6, v10, v11, s12
	v_cndmask_b32_e64 v7, v48, v47, s12
	s_mov_b32 s14, exec_lo
	s_delay_alu instid0(VALU_DEP_2) | instskip(NEXT) | instid1(VALU_DEP_1)
	v_add_nc_u32_e32 v8, 1, v6
	v_add_min_u32_e64 v6, v7, -1, v8
	v_cndmask_b32_e64 v12, v8, v10, s12
	s_delay_alu instid0(VALU_DEP_2)
	v_lshl_add_u32 v6, v6, 3, v43
	ds_load_b64 v[6:7], v6
	s_wait_dscnt 0x0
	v_dual_cndmask_b32 v13, v11, v8, s12 :: v_dual_cndmask_b32 v16, v14, v6, s12
	v_dual_cndmask_b32 v11, v7, v5, s12 :: v_dual_cndmask_b32 v10, v6, v4, s12
	v_cndmask_b32_e64 v17, v15, v7, s12
	v_cmpx_lt_u32_e64 v12, v48
	s_cbranch_execz .LBB627_1215
; %bb.1205:
	s_mov_b32 s7, 0
	s_mov_b32 s13, exec_lo
	v_cmpx_lt_u32_e64 v13, v47
	s_cbranch_execz .LBB627_1214
; %bb.1206:
	s_and_not1_b32 vcc_lo, exec_lo, s26
	s_cbranch_vccnz .LBB627_1212
; %bb.1207:
	v_mul_u64_e32 v[6:7], s[16:17], v[10:11]
	v_mul_u64_e32 v[8:9], s[16:17], v[16:17]
	s_mov_b32 s15, 0
	s_mov_b64 s[8:9], s[16:17]
                                        ; implicit-def: $sgpr22
                                        ; implicit-def: $sgpr23
                                        ; implicit-def: $sgpr27
                                        ; implicit-def: $sgpr28
	s_delay_alu instid0(VALU_DEP_2) | instskip(NEXT) | instid1(VALU_DEP_2)
	v_lshl_add_u64 v[6:7], v[6:7], 1, s[18:19]
	v_lshl_add_u64 v[8:9], v[8:9], 1, s[18:19]
	s_branch .LBB627_1209
.LBB627_1208:                           ;   in Loop: Header=BB627_1209 Depth=1
	s_or_b32 exec_lo, exec_lo, s29
	s_delay_alu instid0(SALU_CYCLE_1) | instskip(NEXT) | instid1(SALU_CYCLE_1)
	s_and_b32 s29, exec_lo, s23
	s_or_b32 s15, s29, s15
	s_and_not1_b32 s28, s28, exec_lo
	s_and_b32 s7, s7, exec_lo
	s_and_not1_b32 s22, s22, exec_lo
	s_and_b32 s29, s27, exec_lo
	s_or_b32 s28, s28, s7
	s_or_b32 s22, s22, s29
	s_and_not1_b32 exec_lo, exec_lo, s15
	s_cbranch_execz .LBB627_1211
.LBB627_1209:                           ; =>This Inner Loop Header: Depth=1
	global_load_u16 v22, v[6:7], off
	global_load_u16 v23, v[8:9], off
	s_and_not1_b32 s27, s27, exec_lo
	s_or_b32 s23, s23, exec_lo
	s_wait_loadcnt 0x0
	v_cmp_le_i16_e32 vcc_lo, v22, v23
	v_cmp_lt_i16_e64 s7, v22, v23
	s_and_b32 s29, vcc_lo, s28
	s_delay_alu instid0(SALU_CYCLE_1) | instskip(NEXT) | instid1(SALU_CYCLE_1)
	s_or_b32 s7, s7, s29
	s_and_b32 s29, s7, exec_lo
	s_delay_alu instid0(SALU_CYCLE_1)
	s_or_b32 s27, s27, s29
	s_mov_b32 s29, exec_lo
	v_cmpx_eq_u16_e64 v22, v23
	s_cbranch_execz .LBB627_1208
; %bb.1210:                             ;   in Loop: Header=BB627_1209 Depth=1
	s_add_nc_u64 s[8:9], s[8:9], -1
	v_add_nc_u64_e32 v[6:7], 2, v[6:7]
	s_cmp_eq_u64 s[8:9], 0
	v_add_nc_u64_e32 v[8:9], 2, v[8:9]
	s_cselect_b32 s28, -1, 0
	s_and_not1_b32 s23, s23, exec_lo
	s_and_b32 s28, s28, exec_lo
	s_and_not1_b32 s27, s27, exec_lo
	s_or_b32 s23, s23, s28
                                        ; implicit-def: $sgpr28
	s_branch .LBB627_1208
.LBB627_1211:
	s_or_b32 exec_lo, exec_lo, s15
	s_xor_b32 s7, s22, -1
	s_branch .LBB627_1213
.LBB627_1212:
	s_mov_b32 s7, -1
.LBB627_1213:
	s_delay_alu instid0(SALU_CYCLE_1)
	s_and_b32 s7, s7, exec_lo
.LBB627_1214:
	s_or_b32 exec_lo, exec_lo, s13
	s_delay_alu instid0(SALU_CYCLE_1)
	s_or_not1_b32 s13, s7, exec_lo
.LBB627_1215:
	s_or_b32 exec_lo, exec_lo, s14
	v_cndmask_b32_e64 v6, v12, v13, s13
	v_cndmask_b32_e64 v7, v48, v47, s13
	s_mov_b32 s15, -1
	s_mov_b32 s14, -1
	s_mov_b32 s22, exec_lo
	v_add_nc_u32_e32 v8, 1, v6
	s_delay_alu instid0(VALU_DEP_1) | instskip(SKIP_1) | instid1(VALU_DEP_2)
	v_add_min_u32_e64 v6, v7, -1, v8
	v_cndmask_b32_e64 v25, v13, v8, s13
	v_lshl_add_u32 v6, v6, 3, v43
	ds_load_b64 v[6:7], v6
	s_wait_dscnt 0x0
	v_dual_cndmask_b32 v24, v8, v12, s13 :: v_dual_cndmask_b32 v13, v7, v11, s13
	v_dual_cndmask_b32 v12, v6, v10, s13 :: v_dual_cndmask_b32 v23, v17, v7, s13
	v_cndmask_b32_e64 v22, v16, v6, s13
	s_delay_alu instid0(VALU_DEP_3)
	v_cmpx_lt_u32_e64 v24, v48
	s_cbranch_execz .LBB627_1226
; %bb.1216:
	s_mov_b32 s7, 0
	s_mov_b32 s14, exec_lo
	v_cmpx_lt_u32_e64 v25, v47
	s_cbranch_execz .LBB627_1225
; %bb.1217:
	s_and_not1_b32 vcc_lo, exec_lo, s26
	s_cbranch_vccnz .LBB627_1223
; %bb.1218:
	v_mul_u64_e32 v[6:7], s[16:17], v[12:13]
	v_mul_u64_e32 v[8:9], s[16:17], v[22:23]
	s_mov_b32 s23, 0
	s_mov_b64 s[8:9], s[16:17]
                                        ; implicit-def: $sgpr27
                                        ; implicit-def: $sgpr28
                                        ; implicit-def: $sgpr29
                                        ; implicit-def: $sgpr30
	s_delay_alu instid0(VALU_DEP_2) | instskip(NEXT) | instid1(VALU_DEP_2)
	v_lshl_add_u64 v[6:7], v[6:7], 1, s[18:19]
	v_lshl_add_u64 v[8:9], v[8:9], 1, s[18:19]
	s_branch .LBB627_1220
.LBB627_1219:                           ;   in Loop: Header=BB627_1220 Depth=1
	s_or_b32 exec_lo, exec_lo, s31
	s_delay_alu instid0(SALU_CYCLE_1) | instskip(NEXT) | instid1(SALU_CYCLE_1)
	s_and_b32 s31, exec_lo, s28
	s_or_b32 s23, s31, s23
	s_and_not1_b32 s30, s30, exec_lo
	s_and_b32 s7, s7, exec_lo
	s_and_not1_b32 s27, s27, exec_lo
	s_and_b32 s31, s29, exec_lo
	s_or_b32 s30, s30, s7
	s_or_b32 s27, s27, s31
	s_and_not1_b32 exec_lo, exec_lo, s23
	s_cbranch_execz .LBB627_1222
.LBB627_1220:                           ; =>This Inner Loop Header: Depth=1
	global_load_u16 v26, v[6:7], off
	global_load_u16 v27, v[8:9], off
	s_and_not1_b32 s29, s29, exec_lo
	s_or_b32 s28, s28, exec_lo
	s_wait_loadcnt 0x0
	v_cmp_le_i16_e32 vcc_lo, v26, v27
	v_cmp_lt_i16_e64 s7, v26, v27
	s_and_b32 s31, vcc_lo, s30
	s_delay_alu instid0(SALU_CYCLE_1) | instskip(NEXT) | instid1(SALU_CYCLE_1)
	s_or_b32 s7, s7, s31
	s_and_b32 s31, s7, exec_lo
	s_delay_alu instid0(SALU_CYCLE_1)
	s_or_b32 s29, s29, s31
	s_mov_b32 s31, exec_lo
	v_cmpx_eq_u16_e64 v26, v27
	s_cbranch_execz .LBB627_1219
; %bb.1221:                             ;   in Loop: Header=BB627_1220 Depth=1
	s_add_nc_u64 s[8:9], s[8:9], -1
	v_add_nc_u64_e32 v[6:7], 2, v[6:7]
	s_cmp_eq_u64 s[8:9], 0
	v_add_nc_u64_e32 v[8:9], 2, v[8:9]
	s_cselect_b32 s30, -1, 0
	s_and_not1_b32 s28, s28, exec_lo
	s_and_b32 s30, s30, exec_lo
	s_and_not1_b32 s29, s29, exec_lo
	s_or_b32 s28, s28, s30
                                        ; implicit-def: $sgpr30
	s_branch .LBB627_1219
.LBB627_1222:
	s_or_b32 exec_lo, exec_lo, s23
	s_xor_b32 s7, s27, -1
	s_branch .LBB627_1224
.LBB627_1223:
	s_mov_b32 s7, -1
.LBB627_1224:
	s_delay_alu instid0(SALU_CYCLE_1)
	s_and_b32 s7, s7, exec_lo
.LBB627_1225:
	s_or_b32 exec_lo, exec_lo, s14
	s_delay_alu instid0(SALU_CYCLE_1)
	s_or_not1_b32 s14, s7, exec_lo
.LBB627_1226:
	s_or_b32 exec_lo, exec_lo, s22
	v_cndmask_b32_e64 v6, v24, v25, s14
	v_cndmask_b32_e64 v7, v48, v47, s14
	s_mov_b32 s22, exec_lo
	s_delay_alu instid0(VALU_DEP_2) | instskip(NEXT) | instid1(VALU_DEP_1)
	v_add_nc_u32_e32 v6, 1, v6
	v_add_min_u32_e64 v7, v7, -1, v6
	v_dual_cndmask_b32 v28, v6, v24, s14 :: v_dual_cndmask_b32 v29, v25, v6, s14
	s_delay_alu instid0(VALU_DEP_2)
	v_lshl_add_u32 v7, v7, 3, v43
	ds_load_b64 v[8:9], v7
	s_wait_dscnt 0x0
	v_dual_cndmask_b32 v7, v9, v13, s14 :: v_dual_cndmask_b32 v6, v8, v12, s14
	v_dual_cndmask_b32 v25, v23, v9, s14 :: v_dual_cndmask_b32 v24, v22, v8, s14
	v_cmpx_lt_u32_e64 v28, v48
	s_cbranch_execz .LBB627_1237
; %bb.1227:
	s_mov_b32 s7, 0
	s_mov_b32 s15, exec_lo
	v_cmpx_lt_u32_e64 v29, v47
	s_cbranch_execz .LBB627_1236
; %bb.1228:
	s_and_not1_b32 vcc_lo, exec_lo, s26
	s_cbranch_vccnz .LBB627_1234
; %bb.1229:
	v_mul_u64_e32 v[8:9], s[16:17], v[6:7]
	v_mul_u64_e32 v[26:27], s[16:17], v[24:25]
	s_mov_b32 s23, 0
	s_mov_b64 s[8:9], s[16:17]
                                        ; implicit-def: $sgpr27
                                        ; implicit-def: $sgpr28
                                        ; implicit-def: $sgpr29
                                        ; implicit-def: $sgpr30
	s_delay_alu instid0(VALU_DEP_2) | instskip(NEXT) | instid1(VALU_DEP_2)
	v_lshl_add_u64 v[8:9], v[8:9], 1, s[18:19]
	v_lshl_add_u64 v[26:27], v[26:27], 1, s[18:19]
	s_branch .LBB627_1231
.LBB627_1230:                           ;   in Loop: Header=BB627_1231 Depth=1
	s_or_b32 exec_lo, exec_lo, s31
	s_delay_alu instid0(SALU_CYCLE_1) | instskip(NEXT) | instid1(SALU_CYCLE_1)
	s_and_b32 s31, exec_lo, s28
	s_or_b32 s23, s31, s23
	s_and_not1_b32 s30, s30, exec_lo
	s_and_b32 s7, s7, exec_lo
	s_and_not1_b32 s27, s27, exec_lo
	s_and_b32 s31, s29, exec_lo
	s_or_b32 s30, s30, s7
	s_or_b32 s27, s27, s31
	s_and_not1_b32 exec_lo, exec_lo, s23
	s_cbranch_execz .LBB627_1233
.LBB627_1231:                           ; =>This Inner Loop Header: Depth=1
	global_load_u16 v30, v[8:9], off
	global_load_u16 v31, v[26:27], off
	s_and_not1_b32 s29, s29, exec_lo
	s_or_b32 s28, s28, exec_lo
	s_wait_loadcnt 0x0
	v_cmp_le_i16_e32 vcc_lo, v30, v31
	v_cmp_lt_i16_e64 s7, v30, v31
	s_and_b32 s31, vcc_lo, s30
	s_delay_alu instid0(SALU_CYCLE_1) | instskip(NEXT) | instid1(SALU_CYCLE_1)
	s_or_b32 s7, s7, s31
	s_and_b32 s31, s7, exec_lo
	s_delay_alu instid0(SALU_CYCLE_1)
	s_or_b32 s29, s29, s31
	s_mov_b32 s31, exec_lo
	v_cmpx_eq_u16_e64 v30, v31
	s_cbranch_execz .LBB627_1230
; %bb.1232:                             ;   in Loop: Header=BB627_1231 Depth=1
	s_add_nc_u64 s[8:9], s[8:9], -1
	v_add_nc_u64_e32 v[8:9], 2, v[8:9]
	s_cmp_eq_u64 s[8:9], 0
	v_add_nc_u64_e32 v[26:27], 2, v[26:27]
	s_cselect_b32 s30, -1, 0
	s_and_not1_b32 s28, s28, exec_lo
	s_and_b32 s30, s30, exec_lo
	s_and_not1_b32 s29, s29, exec_lo
	s_or_b32 s28, s28, s30
                                        ; implicit-def: $sgpr30
	s_branch .LBB627_1230
.LBB627_1233:
	s_or_b32 exec_lo, exec_lo, s23
	s_xor_b32 s7, s27, -1
	s_branch .LBB627_1235
.LBB627_1234:
	s_mov_b32 s7, -1
.LBB627_1235:
	s_delay_alu instid0(SALU_CYCLE_1)
	s_and_b32 s7, s7, exec_lo
.LBB627_1236:
	s_or_b32 exec_lo, exec_lo, s15
	s_delay_alu instid0(SALU_CYCLE_1)
	s_or_not1_b32 s15, s7, exec_lo
.LBB627_1237:
	s_or_b32 exec_lo, exec_lo, s22
	v_cndmask_b32_e64 v8, v28, v29, s15
	v_cndmask_b32_e64 v9, v48, v47, s15
	s_mov_b32 s22, -1
	s_mov_b32 s23, -1
	s_mov_b32 s27, exec_lo
	v_add_nc_u32_e32 v8, 1, v8
	s_delay_alu instid0(VALU_DEP_1) | instskip(NEXT) | instid1(VALU_DEP_1)
	v_add_min_u32_e64 v9, v9, -1, v8
	v_lshl_add_u32 v9, v9, 3, v43
	ds_load_b64 v[26:27], v9
	v_cndmask_b32_e64 v32, v8, v28, s15
	s_wait_dscnt 0x0
	v_dual_cndmask_b32 v33, v29, v8, s15 :: v_dual_cndmask_b32 v9, v27, v7, s15
	v_dual_cndmask_b32 v8, v26, v6, s15 :: v_dual_cndmask_b32 v27, v25, v27, s15
	v_cndmask_b32_e64 v26, v24, v26, s15
	v_cmpx_lt_u32_e64 v32, v48
	s_cbranch_execz .LBB627_1248
; %bb.1238:
	s_mov_b32 s7, 0
	s_mov_b32 s23, exec_lo
	v_cmpx_lt_u32_e64 v33, v47
	s_cbranch_execz .LBB627_1247
; %bb.1239:
	s_and_not1_b32 vcc_lo, exec_lo, s26
	s_cbranch_vccnz .LBB627_1245
; %bb.1240:
	v_mul_u64_e32 v[28:29], s[16:17], v[8:9]
	v_mul_u64_e32 v[30:31], s[16:17], v[26:27]
	s_mov_b32 s28, 0
	s_mov_b64 s[8:9], s[16:17]
                                        ; implicit-def: $sgpr29
                                        ; implicit-def: $sgpr30
                                        ; implicit-def: $sgpr31
                                        ; implicit-def: $sgpr33
	s_delay_alu instid0(VALU_DEP_2) | instskip(NEXT) | instid1(VALU_DEP_2)
	v_lshl_add_u64 v[28:29], v[28:29], 1, s[18:19]
	v_lshl_add_u64 v[30:31], v[30:31], 1, s[18:19]
	s_branch .LBB627_1242
.LBB627_1241:                           ;   in Loop: Header=BB627_1242 Depth=1
	s_or_b32 exec_lo, exec_lo, s34
	s_delay_alu instid0(SALU_CYCLE_1) | instskip(NEXT) | instid1(SALU_CYCLE_1)
	s_and_b32 s34, exec_lo, s30
	s_or_b32 s28, s34, s28
	s_and_not1_b32 s33, s33, exec_lo
	s_and_b32 s7, s7, exec_lo
	s_and_not1_b32 s29, s29, exec_lo
	s_and_b32 s34, s31, exec_lo
	s_or_b32 s33, s33, s7
	s_or_b32 s29, s29, s34
	s_and_not1_b32 exec_lo, exec_lo, s28
	s_cbranch_execz .LBB627_1244
.LBB627_1242:                           ; =>This Inner Loop Header: Depth=1
	global_load_u16 v34, v[28:29], off
	global_load_u16 v35, v[30:31], off
	s_and_not1_b32 s31, s31, exec_lo
	s_or_b32 s30, s30, exec_lo
	s_wait_loadcnt 0x0
	v_cmp_le_i16_e32 vcc_lo, v34, v35
	v_cmp_lt_i16_e64 s7, v34, v35
	s_and_b32 s34, vcc_lo, s33
	s_delay_alu instid0(SALU_CYCLE_1) | instskip(NEXT) | instid1(SALU_CYCLE_1)
	s_or_b32 s7, s7, s34
	s_and_b32 s34, s7, exec_lo
	s_delay_alu instid0(SALU_CYCLE_1)
	s_or_b32 s31, s31, s34
	s_mov_b32 s34, exec_lo
	v_cmpx_eq_u16_e64 v34, v35
	s_cbranch_execz .LBB627_1241
; %bb.1243:                             ;   in Loop: Header=BB627_1242 Depth=1
	s_add_nc_u64 s[8:9], s[8:9], -1
	v_add_nc_u64_e32 v[28:29], 2, v[28:29]
	s_cmp_eq_u64 s[8:9], 0
	v_add_nc_u64_e32 v[30:31], 2, v[30:31]
	s_cselect_b32 s33, -1, 0
	s_and_not1_b32 s30, s30, exec_lo
	s_and_b32 s33, s33, exec_lo
	s_and_not1_b32 s31, s31, exec_lo
	s_or_b32 s30, s30, s33
                                        ; implicit-def: $sgpr33
	s_branch .LBB627_1241
.LBB627_1244:
	s_or_b32 exec_lo, exec_lo, s28
	s_xor_b32 s7, s29, -1
	s_branch .LBB627_1246
.LBB627_1245:
	s_mov_b32 s7, -1
.LBB627_1246:
	s_delay_alu instid0(SALU_CYCLE_1)
	s_and_b32 s7, s7, exec_lo
.LBB627_1247:
	s_or_b32 exec_lo, exec_lo, s23
	s_delay_alu instid0(SALU_CYCLE_1)
	s_or_not1_b32 s23, s7, exec_lo
.LBB627_1248:
	s_or_b32 exec_lo, exec_lo, s27
	v_cndmask_b32_e64 v28, v32, v33, s23
	v_cndmask_b32_e64 v29, v48, v47, s23
	s_mov_b32 s27, exec_lo
	s_delay_alu instid0(VALU_DEP_2) | instskip(NEXT) | instid1(VALU_DEP_1)
	v_add_nc_u32_e32 v28, 1, v28
	v_add_min_u32_e64 v29, v29, -1, v28
	s_delay_alu instid0(VALU_DEP_1)
	v_lshl_add_u32 v29, v29, 3, v43
	ds_load_b64 v[30:31], v29
	v_cndmask_b32_e64 v50, v28, v32, s23
	s_wait_dscnt 0x0
	v_dual_cndmask_b32 v49, v33, v28, s23 :: v_dual_cndmask_b32 v29, v31, v9, s23
	v_dual_cndmask_b32 v28, v30, v8, s23 :: v_dual_cndmask_b32 v31, v27, v31, s23
	v_cndmask_b32_e64 v30, v26, v30, s23
	v_cmpx_lt_u32_e64 v50, v48
	s_cbranch_execz .LBB627_1259
; %bb.1249:
	s_mov_b32 s7, 0
	s_mov_b32 s22, exec_lo
	v_cmpx_lt_u32_e64 v49, v47
	s_cbranch_execz .LBB627_1258
; %bb.1250:
	s_and_not1_b32 vcc_lo, exec_lo, s26
	s_cbranch_vccnz .LBB627_1256
; %bb.1251:
	v_mul_u64_e32 v[32:33], s[16:17], v[28:29]
	v_mul_u64_e32 v[34:35], s[16:17], v[30:31]
	s_mov_b32 s28, 0
	s_mov_b64 s[8:9], s[16:17]
                                        ; implicit-def: $sgpr29
                                        ; implicit-def: $sgpr30
                                        ; implicit-def: $sgpr31
                                        ; implicit-def: $sgpr33
	s_delay_alu instid0(VALU_DEP_2) | instskip(NEXT) | instid1(VALU_DEP_2)
	v_lshl_add_u64 v[32:33], v[32:33], 1, s[18:19]
	v_lshl_add_u64 v[34:35], v[34:35], 1, s[18:19]
	s_branch .LBB627_1253
.LBB627_1252:                           ;   in Loop: Header=BB627_1253 Depth=1
	s_or_b32 exec_lo, exec_lo, s34
	s_delay_alu instid0(SALU_CYCLE_1) | instskip(NEXT) | instid1(SALU_CYCLE_1)
	s_and_b32 s34, exec_lo, s30
	s_or_b32 s28, s34, s28
	s_and_not1_b32 s33, s33, exec_lo
	s_and_b32 s7, s7, exec_lo
	s_and_not1_b32 s29, s29, exec_lo
	s_and_b32 s34, s31, exec_lo
	s_or_b32 s33, s33, s7
	s_or_b32 s29, s29, s34
	s_and_not1_b32 exec_lo, exec_lo, s28
	s_cbranch_execz .LBB627_1255
.LBB627_1253:                           ; =>This Inner Loop Header: Depth=1
	global_load_u16 v51, v[32:33], off
	global_load_u16 v52, v[34:35], off
	s_and_not1_b32 s31, s31, exec_lo
	s_or_b32 s30, s30, exec_lo
	s_wait_loadcnt 0x0
	v_cmp_le_i16_e32 vcc_lo, v51, v52
	v_cmp_lt_i16_e64 s7, v51, v52
	s_and_b32 s34, vcc_lo, s33
	s_delay_alu instid0(SALU_CYCLE_1) | instskip(NEXT) | instid1(SALU_CYCLE_1)
	s_or_b32 s7, s7, s34
	s_and_b32 s34, s7, exec_lo
	s_delay_alu instid0(SALU_CYCLE_1)
	s_or_b32 s31, s31, s34
	s_mov_b32 s34, exec_lo
	v_cmpx_eq_u16_e64 v51, v52
	s_cbranch_execz .LBB627_1252
; %bb.1254:                             ;   in Loop: Header=BB627_1253 Depth=1
	s_add_nc_u64 s[8:9], s[8:9], -1
	v_add_nc_u64_e32 v[32:33], 2, v[32:33]
	s_cmp_eq_u64 s[8:9], 0
	v_add_nc_u64_e32 v[34:35], 2, v[34:35]
	s_cselect_b32 s33, -1, 0
	s_and_not1_b32 s30, s30, exec_lo
	s_and_b32 s33, s33, exec_lo
	s_and_not1_b32 s31, s31, exec_lo
	s_or_b32 s30, s30, s33
                                        ; implicit-def: $sgpr33
	s_branch .LBB627_1252
.LBB627_1255:
	s_or_b32 exec_lo, exec_lo, s28
	s_xor_b32 s7, s29, -1
	s_branch .LBB627_1257
.LBB627_1256:
	s_mov_b32 s7, -1
.LBB627_1257:
	s_delay_alu instid0(SALU_CYCLE_1)
	s_and_b32 s7, s7, exec_lo
.LBB627_1258:
	s_or_b32 exec_lo, exec_lo, s22
	s_delay_alu instid0(SALU_CYCLE_1)
	s_or_not1_b32 s22, s7, exec_lo
.LBB627_1259:
	s_or_b32 exec_lo, exec_lo, s27
	v_dual_cndmask_b32 v32, v50, v49, s22 :: v_dual_cndmask_b32 v33, v48, v47, s22
	v_dual_cndmask_b32 v8, v8, v26, s23 :: v_dual_cndmask_b32 v7, v7, v25, s15
	;; [unrolled: 1-line block ×3, first 2 shown]
	s_delay_alu instid0(VALU_DEP_3) | instskip(SKIP_2) | instid1(VALU_DEP_3)
	v_dual_add_nc_u32 v34, 1, v32 :: v_dual_cndmask_b32 v9, v9, v27, s23
	v_dual_cndmask_b32 v12, v12, v22, s14 :: v_dual_cndmask_b32 v11, v11, v17, s13
	v_dual_cndmask_b32 v10, v10, v16, s13 :: v_dual_cndmask_b32 v17, v5, v15, s12
	v_add_min_u32_e64 v32, v33, -1, v34
	v_dual_cndmask_b32 v16, v4, v14, s12 :: v_dual_cndmask_b32 v15, v3, v1, s11
	v_dual_cndmask_b32 v14, v2, v0, s11 :: v_dual_cndmask_b32 v3, v29, v31, s22
	s_delay_alu instid0(VALU_DEP_3)
	v_lshl_add_u32 v32, v32, 3, v43
	s_mov_b32 s11, exec_lo
	ds_load_b64 v[32:33], v32
	v_cndmask_b32_e64 v0, v34, v50, s22
	s_wait_dscnt 0x0
	v_dual_cndmask_b32 v2, v28, v30, s22 :: v_dual_cndmask_b32 v4, v30, v32, s22
	v_cndmask_b32_e64 v5, v31, v33, s22
	s_delay_alu instid0(VALU_DEP_3)
	v_cmpx_lt_u32_e64 v0, v48
	s_cbranch_execz .LBB627_1269
; %bb.1260:
	v_dual_cndmask_b32 v22, v49, v34, s22 :: v_dual_cndmask_b32 v0, v32, v28, s22
	v_cndmask_b32_e64 v1, v33, v29, s22
	s_mov_b32 s12, exec_lo
	s_delay_alu instid0(VALU_DEP_2)
	v_cmpx_lt_u32_e64 v22, v47
	s_cbranch_execz .LBB627_1268
; %bb.1261:
	s_and_not1_b32 vcc_lo, exec_lo, s26
	s_cbranch_vccnz .LBB627_1267
; %bb.1262:
	v_mul_u64_e32 v[22:23], s[16:17], v[0:1]
	v_mul_u64_e32 v[24:25], s[16:17], v[4:5]
	s_mov_b32 s13, 0
	s_mov_b64 s[8:9], s[16:17]
                                        ; implicit-def: $sgpr14
                                        ; implicit-def: $sgpr15
                                        ; implicit-def: $sgpr22
                                        ; implicit-def: $sgpr23
	s_delay_alu instid0(VALU_DEP_2) | instskip(NEXT) | instid1(VALU_DEP_2)
	v_lshl_add_u64 v[22:23], v[22:23], 1, s[18:19]
	v_lshl_add_u64 v[24:25], v[24:25], 1, s[18:19]
	s_branch .LBB627_1264
.LBB627_1263:                           ;   in Loop: Header=BB627_1264 Depth=1
	s_or_b32 exec_lo, exec_lo, s27
	s_delay_alu instid0(SALU_CYCLE_1) | instskip(NEXT) | instid1(SALU_CYCLE_1)
	s_and_b32 s27, exec_lo, s15
	s_or_b32 s13, s27, s13
	s_and_not1_b32 s23, s23, exec_lo
	s_and_b32 s7, s7, exec_lo
	s_and_not1_b32 s14, s14, exec_lo
	s_and_b32 s27, s22, exec_lo
	s_or_b32 s23, s23, s7
	s_or_b32 s14, s14, s27
	s_and_not1_b32 exec_lo, exec_lo, s13
	s_cbranch_execz .LBB627_1266
.LBB627_1264:                           ; =>This Inner Loop Header: Depth=1
	global_load_u16 v26, v[22:23], off
	global_load_u16 v27, v[24:25], off
	s_and_not1_b32 s22, s22, exec_lo
	s_or_b32 s15, s15, exec_lo
	s_wait_loadcnt 0x0
	v_cmp_le_i16_e32 vcc_lo, v26, v27
	v_cmp_lt_i16_e64 s7, v26, v27
	s_and_b32 s27, vcc_lo, s23
	s_delay_alu instid0(SALU_CYCLE_1) | instskip(NEXT) | instid1(SALU_CYCLE_1)
	s_or_b32 s7, s7, s27
	s_and_b32 s27, s7, exec_lo
	s_delay_alu instid0(SALU_CYCLE_1)
	s_or_b32 s22, s22, s27
	s_mov_b32 s27, exec_lo
	v_cmpx_eq_u16_e64 v26, v27
	s_cbranch_execz .LBB627_1263
; %bb.1265:                             ;   in Loop: Header=BB627_1264 Depth=1
	s_add_nc_u64 s[8:9], s[8:9], -1
	v_add_nc_u64_e32 v[22:23], 2, v[22:23]
	s_cmp_eq_u64 s[8:9], 0
	v_add_nc_u64_e32 v[24:25], 2, v[24:25]
	s_cselect_b32 s23, -1, 0
	s_and_not1_b32 s15, s15, exec_lo
	s_and_b32 s23, s23, exec_lo
	s_and_not1_b32 s22, s22, exec_lo
	s_or_b32 s15, s15, s23
                                        ; implicit-def: $sgpr23
	s_branch .LBB627_1263
.LBB627_1266:
	s_or_b32 exec_lo, exec_lo, s13
	v_dual_cndmask_b32 v5, v5, v1, s14 :: v_dual_cndmask_b32 v4, v4, v0, s14
.LBB627_1267:
	s_delay_alu instid0(VALU_DEP_1)
	v_mov_b64_e32 v[0:1], v[4:5]
.LBB627_1268:
	s_or_b32 exec_lo, exec_lo, s12
	s_delay_alu instid0(VALU_DEP_1)
	v_mov_b64_e32 v[4:5], v[0:1]
.LBB627_1269:
	s_or_b32 exec_lo, exec_lo, s11
.LBB627_1270:
	s_delay_alu instid0(SALU_CYCLE_1)
	s_or_b32 exec_lo, exec_lo, s10
	v_and_b32_e32 v26, 0x80, v45
	s_mov_b32 s12, exec_lo
	; wave barrier
	ds_store_b128 v46, v[14:17]
	ds_store_b128 v46, v[10:13] offset:16
	v_or_b32_e32 v0, 64, v26
	v_lshl_add_u32 v25, v26, 3, v43
	ds_store_b128 v46, v[6:9] offset:32
	ds_store_b128 v46, v[2:5] offset:48
	; wave barrier
	v_min_u32_e32 v47, v44, v0
	v_and_b32_e32 v0, 0x78, v45
	s_delay_alu instid0(VALU_DEP_2) | instskip(NEXT) | instid1(VALU_DEP_2)
	v_add_min_u32_e64 v45, v47, 64, v44
	v_min_u32_e32 v27, v44, v0
	s_delay_alu instid0(VALU_DEP_2) | instskip(NEXT) | instid1(VALU_DEP_1)
	v_dual_sub_nc_u32 v1, v47, v26 :: v_dual_sub_nc_u32 v0, v45, v47
	v_min_u32_e32 v28, v27, v1
	s_delay_alu instid0(VALU_DEP_2) | instskip(NEXT) | instid1(VALU_DEP_1)
	v_sub_nc_u32_e64 v24, v27, v0 clamp
	v_cmpx_lt_u32_e64 v24, v28
	s_cbranch_execz .LBB627_1280
; %bb.1271:
	v_lshlrev_b32_e32 v0, 3, v47
	v_lshlrev_b32_e32 v1, 3, v27
	s_lshl_b64 s[8:9], s[16:17], 1
	s_mov_b32 s13, 0
	s_delay_alu instid0(VALU_DEP_1)
	v_add3_u32 v29, v43, v0, v1
	s_branch .LBB627_1274
.LBB627_1272:                           ;   in Loop: Header=BB627_1274 Depth=1
	s_or_b32 exec_lo, exec_lo, s15
.LBB627_1273:                           ;   in Loop: Header=BB627_1274 Depth=1
	s_delay_alu instid0(VALU_DEP_1) | instskip(NEXT) | instid1(VALU_DEP_1)
	v_dual_add_nc_u32 v0, 1, v30 :: v_dual_cndmask_b32 v28, v28, v30, s14
	v_cndmask_b32_e64 v24, v0, v24, s14
	s_delay_alu instid0(VALU_DEP_1) | instskip(SKIP_1) | instid1(SALU_CYCLE_1)
	v_cmp_ge_u32_e32 vcc_lo, v24, v28
	s_or_b32 s13, vcc_lo, s13
	s_and_not1_b32 exec_lo, exec_lo, s13
	s_cbranch_execz .LBB627_1279
.LBB627_1274:                           ; =>This Loop Header: Depth=1
                                        ;     Child Loop BB627_1277 Depth 2
	v_add_nc_u32_e32 v0, v28, v24
	s_and_not1_b32 vcc_lo, exec_lo, s26
	s_mov_b32 s14, 0
	s_delay_alu instid0(VALU_DEP_1)
	v_lshrrev_b32_e32 v30, 1, v0
	s_cbranch_vccnz .LBB627_1273
; %bb.1275:                             ;   in Loop: Header=BB627_1274 Depth=1
	s_delay_alu instid0(VALU_DEP_1) | instskip(SKIP_3) | instid1(VALU_DEP_2)
	v_not_b32_e32 v0, v30
	v_lshl_add_u32 v1, v30, 3, v25
	s_mov_b32 s15, 0
	s_mov_b64 s[10:11], s[16:17]
                                        ; implicit-def: $sgpr14
                                        ; implicit-def: $sgpr22
                                        ; implicit-def: $sgpr23
                                        ; implicit-def: $sgpr27
	v_lshl_add_u32 v0, v0, 3, v29
	ds_load_b64 v[32:33], v0
	ds_load_b64 v[34:35], v1
	s_wait_dscnt 0x1
	v_mad_nc_u64_u32 v[0:1], s8, v32, s[18:19]
	s_wait_dscnt 0x0
	v_mad_nc_u64_u32 v[22:23], s8, v34, s[18:19]
	s_delay_alu instid0(VALU_DEP_2) | instskip(NEXT) | instid1(VALU_DEP_2)
	v_mad_u32 v1, s9, v32, v1
	v_mad_u32 v23, s9, v34, v23
	s_delay_alu instid0(VALU_DEP_2) | instskip(NEXT) | instid1(VALU_DEP_2)
	v_mad_u32 v1, s8, v33, v1
	v_mad_u32 v23, s8, v35, v23
	s_branch .LBB627_1277
.LBB627_1276:                           ;   in Loop: Header=BB627_1277 Depth=2
	s_or_b32 exec_lo, exec_lo, s28
	s_delay_alu instid0(SALU_CYCLE_1) | instskip(NEXT) | instid1(SALU_CYCLE_1)
	s_and_b32 s28, exec_lo, s22
	s_or_b32 s15, s28, s15
	s_and_not1_b32 s27, s27, exec_lo
	s_and_b32 s7, s7, exec_lo
	s_and_not1_b32 s14, s14, exec_lo
	s_and_b32 s28, s23, exec_lo
	s_or_b32 s27, s27, s7
	s_or_b32 s14, s14, s28
	s_and_not1_b32 exec_lo, exec_lo, s15
	s_cbranch_execz .LBB627_1272
.LBB627_1277:                           ;   Parent Loop BB627_1274 Depth=1
                                        ; =>  This Inner Loop Header: Depth=2
	global_load_u16 v31, v[0:1], off
	global_load_u16 v32, v[22:23], off
	s_and_not1_b32 s23, s23, exec_lo
	s_or_b32 s22, s22, exec_lo
	s_wait_loadcnt 0x0
	v_cmp_le_i16_e32 vcc_lo, v31, v32
	v_cmp_lt_i16_e64 s7, v31, v32
	s_and_b32 s28, vcc_lo, s27
	s_delay_alu instid0(SALU_CYCLE_1) | instskip(NEXT) | instid1(SALU_CYCLE_1)
	s_or_b32 s7, s7, s28
	s_and_b32 s28, s7, exec_lo
	s_delay_alu instid0(SALU_CYCLE_1)
	s_or_b32 s23, s23, s28
	s_mov_b32 s28, exec_lo
	v_cmpx_eq_u16_e64 v31, v32
	s_cbranch_execz .LBB627_1276
; %bb.1278:                             ;   in Loop: Header=BB627_1277 Depth=2
	s_add_nc_u64 s[10:11], s[10:11], -1
	v_add_nc_u64_e32 v[0:1], 2, v[0:1]
	s_cmp_eq_u64 s[10:11], 0
	v_add_nc_u64_e32 v[22:23], 2, v[22:23]
	s_cselect_b32 s27, -1, 0
	s_and_not1_b32 s22, s22, exec_lo
	s_and_b32 s27, s27, exec_lo
	s_and_not1_b32 s23, s23, exec_lo
	s_or_b32 s22, s22, s27
                                        ; implicit-def: $sgpr27
	s_branch .LBB627_1276
.LBB627_1279:
	s_or_b32 exec_lo, exec_lo, s13
.LBB627_1280:
	s_delay_alu instid0(SALU_CYCLE_1) | instskip(SKIP_1) | instid1(VALU_DEP_1)
	s_or_b32 exec_lo, exec_lo, s12
	v_dual_add_nc_u32 v0, v47, v27 :: v_dual_add_nc_u32 v22, v24, v26
	v_sub_nc_u32_e32 v23, v0, v24
	s_delay_alu instid0(VALU_DEP_2) | instskip(NEXT) | instid1(VALU_DEP_2)
	v_cmp_le_u32_e32 vcc_lo, v22, v47
	v_cmp_le_u32_e64 s7, v23, v45
	s_or_b32 s7, vcc_lo, s7
	s_delay_alu instid0(SALU_CYCLE_1)
	s_and_saveexec_b32 s10, s7
	s_cbranch_execz .LBB627_1371
; %bb.1281:
	s_mov_b32 s8, exec_lo
	v_cmp_ge_u32_e32 vcc_lo, v22, v47
                                        ; implicit-def: $vgpr0_vgpr1
	v_cmpx_lt_u32_e64 v22, v47
; %bb.1282:
	v_lshl_add_u32 v0, v24, 3, v25
	ds_load_b64 v[0:1], v0
; %bb.1283:
	s_or_b32 exec_lo, exec_lo, s8
	v_cmp_ge_u32_e64 s11, v23, v45
	s_mov_b32 s8, exec_lo
                                        ; implicit-def: $vgpr2_vgpr3
	v_cmpx_lt_u32_e64 v23, v45
; %bb.1284:
	v_lshl_add_u32 v2, v23, 3, v43
	ds_load_b64 v[2:3], v2
; %bb.1285:
	s_or_b32 exec_lo, exec_lo, s8
	s_nor_b32 s7, vcc_lo, s11
	s_delay_alu instid0(SALU_CYCLE_1)
	s_and_saveexec_b32 s12, s7
	s_cbranch_execz .LBB627_1294
; %bb.1286:
	s_and_not1_b32 vcc_lo, exec_lo, s26
	s_cbranch_vccnz .LBB627_1292
; %bb.1287:
	s_wait_dscnt 0x0
	v_mul_u64_e32 v[4:5], s[16:17], v[2:3]
	v_mul_u64_e32 v[6:7], s[16:17], v[0:1]
	s_mov_b32 s13, 0
	s_mov_b64 s[8:9], s[16:17]
                                        ; implicit-def: $sgpr14
                                        ; implicit-def: $sgpr15
                                        ; implicit-def: $sgpr22
                                        ; implicit-def: $sgpr23
	s_delay_alu instid0(VALU_DEP_2) | instskip(NEXT) | instid1(VALU_DEP_2)
	v_lshl_add_u64 v[4:5], v[4:5], 1, s[18:19]
	v_lshl_add_u64 v[6:7], v[6:7], 1, s[18:19]
	s_branch .LBB627_1289
.LBB627_1288:                           ;   in Loop: Header=BB627_1289 Depth=1
	s_or_b32 exec_lo, exec_lo, s27
	s_delay_alu instid0(SALU_CYCLE_1) | instskip(NEXT) | instid1(SALU_CYCLE_1)
	s_and_b32 s27, exec_lo, s15
	s_or_b32 s13, s27, s13
	s_and_not1_b32 s23, s23, exec_lo
	s_and_b32 s7, s7, exec_lo
	s_and_not1_b32 s14, s14, exec_lo
	s_and_b32 s27, s22, exec_lo
	s_or_b32 s23, s23, s7
	s_or_b32 s14, s14, s27
	s_and_not1_b32 exec_lo, exec_lo, s13
	s_cbranch_execz .LBB627_1291
.LBB627_1289:                           ; =>This Inner Loop Header: Depth=1
	global_load_u16 v8, v[4:5], off
	global_load_u16 v9, v[6:7], off
	s_and_not1_b32 s22, s22, exec_lo
	s_or_b32 s15, s15, exec_lo
	s_wait_loadcnt 0x0
	v_cmp_le_i16_e32 vcc_lo, v8, v9
	v_cmp_lt_i16_e64 s7, v8, v9
	s_and_b32 s27, vcc_lo, s23
	s_delay_alu instid0(SALU_CYCLE_1) | instskip(NEXT) | instid1(SALU_CYCLE_1)
	s_or_b32 s7, s7, s27
	s_and_b32 s27, s7, exec_lo
	s_delay_alu instid0(SALU_CYCLE_1)
	s_or_b32 s22, s22, s27
	s_mov_b32 s27, exec_lo
	v_cmpx_eq_u16_e64 v8, v9
	s_cbranch_execz .LBB627_1288
; %bb.1290:                             ;   in Loop: Header=BB627_1289 Depth=1
	s_add_nc_u64 s[8:9], s[8:9], -1
	v_add_nc_u64_e32 v[4:5], 2, v[4:5]
	s_cmp_eq_u64 s[8:9], 0
	v_add_nc_u64_e32 v[6:7], 2, v[6:7]
	s_cselect_b32 s23, -1, 0
	s_and_not1_b32 s15, s15, exec_lo
	s_and_b32 s23, s23, exec_lo
	s_and_not1_b32 s22, s22, exec_lo
	s_or_b32 s15, s15, s23
                                        ; implicit-def: $sgpr23
	s_branch .LBB627_1288
.LBB627_1291:
	s_or_b32 exec_lo, exec_lo, s13
	s_xor_b32 s7, s14, -1
	s_branch .LBB627_1293
.LBB627_1292:
	s_mov_b32 s7, -1
.LBB627_1293:
	s_and_not1_b32 s8, s11, exec_lo
	s_and_b32 s7, s7, exec_lo
	s_delay_alu instid0(SALU_CYCLE_1)
	s_or_b32 s11, s8, s7
.LBB627_1294:
	s_or_b32 exec_lo, exec_lo, s12
	v_dual_cndmask_b32 v4, v23, v22, s11 :: v_dual_cndmask_b32 v5, v45, v47, s11
	s_mov_b32 s13, -1
	s_mov_b32 s12, -1
	s_mov_b32 s14, exec_lo
	s_delay_alu instid0(VALU_DEP_1) | instskip(NEXT) | instid1(VALU_DEP_1)
	v_add_nc_u32_e32 v4, 1, v4
	v_add_min_u32_e64 v5, v5, -1, v4
	s_delay_alu instid0(VALU_DEP_1)
	v_lshl_add_u32 v5, v5, 3, v43
	ds_load_b64 v[6:7], v5
	s_wait_dscnt 0x0
	v_cndmask_b32_e64 v5, v7, v3, s11
	v_dual_cndmask_b32 v10, v4, v23, s11 :: v_dual_cndmask_b32 v11, v22, v4, s11
	v_dual_cndmask_b32 v4, v6, v2, s11 :: v_dual_cndmask_b32 v15, v1, v7, s11
	v_cndmask_b32_e64 v14, v0, v6, s11
	s_delay_alu instid0(VALU_DEP_3)
	v_cmpx_lt_u32_e64 v10, v45
	s_cbranch_execz .LBB627_1305
; %bb.1295:
	s_mov_b32 s7, 0
	s_mov_b32 s12, exec_lo
	v_cmpx_lt_u32_e64 v11, v47
	s_cbranch_execz .LBB627_1304
; %bb.1296:
	s_and_not1_b32 vcc_lo, exec_lo, s26
	s_cbranch_vccnz .LBB627_1302
; %bb.1297:
	v_mul_u64_e32 v[6:7], s[16:17], v[4:5]
	v_mul_u64_e32 v[8:9], s[16:17], v[14:15]
	s_mov_b32 s15, 0
	s_mov_b64 s[8:9], s[16:17]
                                        ; implicit-def: $sgpr22
                                        ; implicit-def: $sgpr23
                                        ; implicit-def: $sgpr27
                                        ; implicit-def: $sgpr28
	s_delay_alu instid0(VALU_DEP_2) | instskip(NEXT) | instid1(VALU_DEP_2)
	v_lshl_add_u64 v[6:7], v[6:7], 1, s[18:19]
	v_lshl_add_u64 v[8:9], v[8:9], 1, s[18:19]
	s_branch .LBB627_1299
.LBB627_1298:                           ;   in Loop: Header=BB627_1299 Depth=1
	s_or_b32 exec_lo, exec_lo, s29
	s_delay_alu instid0(SALU_CYCLE_1) | instskip(NEXT) | instid1(SALU_CYCLE_1)
	s_and_b32 s29, exec_lo, s23
	s_or_b32 s15, s29, s15
	s_and_not1_b32 s28, s28, exec_lo
	s_and_b32 s7, s7, exec_lo
	s_and_not1_b32 s22, s22, exec_lo
	s_and_b32 s29, s27, exec_lo
	s_or_b32 s28, s28, s7
	s_or_b32 s22, s22, s29
	s_and_not1_b32 exec_lo, exec_lo, s15
	s_cbranch_execz .LBB627_1301
.LBB627_1299:                           ; =>This Inner Loop Header: Depth=1
	global_load_u16 v12, v[6:7], off
	global_load_u16 v13, v[8:9], off
	s_and_not1_b32 s27, s27, exec_lo
	s_or_b32 s23, s23, exec_lo
	s_wait_loadcnt 0x0
	v_cmp_le_i16_e32 vcc_lo, v12, v13
	v_cmp_lt_i16_e64 s7, v12, v13
	s_and_b32 s29, vcc_lo, s28
	s_delay_alu instid0(SALU_CYCLE_1) | instskip(NEXT) | instid1(SALU_CYCLE_1)
	s_or_b32 s7, s7, s29
	s_and_b32 s29, s7, exec_lo
	s_delay_alu instid0(SALU_CYCLE_1)
	s_or_b32 s27, s27, s29
	s_mov_b32 s29, exec_lo
	v_cmpx_eq_u16_e64 v12, v13
	s_cbranch_execz .LBB627_1298
; %bb.1300:                             ;   in Loop: Header=BB627_1299 Depth=1
	s_add_nc_u64 s[8:9], s[8:9], -1
	v_add_nc_u64_e32 v[6:7], 2, v[6:7]
	s_cmp_eq_u64 s[8:9], 0
	v_add_nc_u64_e32 v[8:9], 2, v[8:9]
	s_cselect_b32 s28, -1, 0
	s_and_not1_b32 s23, s23, exec_lo
	s_and_b32 s28, s28, exec_lo
	s_and_not1_b32 s27, s27, exec_lo
	s_or_b32 s23, s23, s28
                                        ; implicit-def: $sgpr28
	s_branch .LBB627_1298
.LBB627_1301:
	s_or_b32 exec_lo, exec_lo, s15
	s_xor_b32 s7, s22, -1
	s_branch .LBB627_1303
.LBB627_1302:
	s_mov_b32 s7, -1
.LBB627_1303:
	s_delay_alu instid0(SALU_CYCLE_1)
	s_and_b32 s7, s7, exec_lo
.LBB627_1304:
	s_or_b32 exec_lo, exec_lo, s12
	s_delay_alu instid0(SALU_CYCLE_1)
	s_or_not1_b32 s12, s7, exec_lo
.LBB627_1305:
	s_or_b32 exec_lo, exec_lo, s14
	v_cndmask_b32_e64 v6, v10, v11, s12
	v_cndmask_b32_e64 v7, v45, v47, s12
	s_mov_b32 s14, exec_lo
	s_delay_alu instid0(VALU_DEP_2) | instskip(NEXT) | instid1(VALU_DEP_1)
	v_add_nc_u32_e32 v8, 1, v6
	v_add_min_u32_e64 v6, v7, -1, v8
	v_cndmask_b32_e64 v12, v8, v10, s12
	s_delay_alu instid0(VALU_DEP_2)
	v_lshl_add_u32 v6, v6, 3, v43
	ds_load_b64 v[6:7], v6
	s_wait_dscnt 0x0
	v_dual_cndmask_b32 v13, v11, v8, s12 :: v_dual_cndmask_b32 v16, v14, v6, s12
	v_dual_cndmask_b32 v11, v7, v5, s12 :: v_dual_cndmask_b32 v10, v6, v4, s12
	v_cndmask_b32_e64 v17, v15, v7, s12
	v_cmpx_lt_u32_e64 v12, v45
	s_cbranch_execz .LBB627_1316
; %bb.1306:
	s_mov_b32 s7, 0
	s_mov_b32 s13, exec_lo
	v_cmpx_lt_u32_e64 v13, v47
	s_cbranch_execz .LBB627_1315
; %bb.1307:
	s_and_not1_b32 vcc_lo, exec_lo, s26
	s_cbranch_vccnz .LBB627_1313
; %bb.1308:
	v_mul_u64_e32 v[6:7], s[16:17], v[10:11]
	v_mul_u64_e32 v[8:9], s[16:17], v[16:17]
	s_mov_b32 s15, 0
	s_mov_b64 s[8:9], s[16:17]
                                        ; implicit-def: $sgpr22
                                        ; implicit-def: $sgpr23
                                        ; implicit-def: $sgpr27
                                        ; implicit-def: $sgpr28
	s_delay_alu instid0(VALU_DEP_2) | instskip(NEXT) | instid1(VALU_DEP_2)
	v_lshl_add_u64 v[6:7], v[6:7], 1, s[18:19]
	v_lshl_add_u64 v[8:9], v[8:9], 1, s[18:19]
	s_branch .LBB627_1310
.LBB627_1309:                           ;   in Loop: Header=BB627_1310 Depth=1
	s_or_b32 exec_lo, exec_lo, s29
	s_delay_alu instid0(SALU_CYCLE_1) | instskip(NEXT) | instid1(SALU_CYCLE_1)
	s_and_b32 s29, exec_lo, s23
	s_or_b32 s15, s29, s15
	s_and_not1_b32 s28, s28, exec_lo
	s_and_b32 s7, s7, exec_lo
	s_and_not1_b32 s22, s22, exec_lo
	s_and_b32 s29, s27, exec_lo
	s_or_b32 s28, s28, s7
	s_or_b32 s22, s22, s29
	s_and_not1_b32 exec_lo, exec_lo, s15
	s_cbranch_execz .LBB627_1312
.LBB627_1310:                           ; =>This Inner Loop Header: Depth=1
	global_load_u16 v22, v[6:7], off
	global_load_u16 v23, v[8:9], off
	s_and_not1_b32 s27, s27, exec_lo
	s_or_b32 s23, s23, exec_lo
	s_wait_loadcnt 0x0
	v_cmp_le_i16_e32 vcc_lo, v22, v23
	v_cmp_lt_i16_e64 s7, v22, v23
	s_and_b32 s29, vcc_lo, s28
	s_delay_alu instid0(SALU_CYCLE_1) | instskip(NEXT) | instid1(SALU_CYCLE_1)
	s_or_b32 s7, s7, s29
	s_and_b32 s29, s7, exec_lo
	s_delay_alu instid0(SALU_CYCLE_1)
	s_or_b32 s27, s27, s29
	s_mov_b32 s29, exec_lo
	v_cmpx_eq_u16_e64 v22, v23
	s_cbranch_execz .LBB627_1309
; %bb.1311:                             ;   in Loop: Header=BB627_1310 Depth=1
	s_add_nc_u64 s[8:9], s[8:9], -1
	v_add_nc_u64_e32 v[6:7], 2, v[6:7]
	s_cmp_eq_u64 s[8:9], 0
	v_add_nc_u64_e32 v[8:9], 2, v[8:9]
	s_cselect_b32 s28, -1, 0
	s_and_not1_b32 s23, s23, exec_lo
	s_and_b32 s28, s28, exec_lo
	s_and_not1_b32 s27, s27, exec_lo
	s_or_b32 s23, s23, s28
                                        ; implicit-def: $sgpr28
	s_branch .LBB627_1309
.LBB627_1312:
	s_or_b32 exec_lo, exec_lo, s15
	s_xor_b32 s7, s22, -1
	s_branch .LBB627_1314
.LBB627_1313:
	s_mov_b32 s7, -1
.LBB627_1314:
	s_delay_alu instid0(SALU_CYCLE_1)
	s_and_b32 s7, s7, exec_lo
.LBB627_1315:
	s_or_b32 exec_lo, exec_lo, s13
	s_delay_alu instid0(SALU_CYCLE_1)
	s_or_not1_b32 s13, s7, exec_lo
.LBB627_1316:
	s_or_b32 exec_lo, exec_lo, s14
	v_dual_cndmask_b32 v6, v12, v13, s13 :: v_dual_cndmask_b32 v7, v45, v47, s13
	s_mov_b32 s15, -1
	s_mov_b32 s14, -1
	s_mov_b32 s22, exec_lo
	s_delay_alu instid0(VALU_DEP_1) | instskip(NEXT) | instid1(VALU_DEP_1)
	v_add_nc_u32_e32 v8, 1, v6
	v_add_min_u32_e64 v6, v7, -1, v8
	s_delay_alu instid0(VALU_DEP_1)
	v_lshl_add_u32 v6, v6, 3, v43
	ds_load_b64 v[6:7], v6
	s_wait_dscnt 0x0
	v_dual_cndmask_b32 v25, v13, v8, s13 :: v_dual_cndmask_b32 v22, v16, v6, s13
	v_dual_cndmask_b32 v13, v7, v11, s13 :: v_dual_cndmask_b32 v24, v8, v12, s13
	;; [unrolled: 1-line block ×3, first 2 shown]
	s_delay_alu instid0(VALU_DEP_2)
	v_cmpx_lt_u32_e64 v24, v45
	s_cbranch_execz .LBB627_1327
; %bb.1317:
	s_mov_b32 s7, 0
	s_mov_b32 s14, exec_lo
	v_cmpx_lt_u32_e64 v25, v47
	s_cbranch_execz .LBB627_1326
; %bb.1318:
	s_and_not1_b32 vcc_lo, exec_lo, s26
	s_cbranch_vccnz .LBB627_1324
; %bb.1319:
	v_mul_u64_e32 v[6:7], s[16:17], v[12:13]
	v_mul_u64_e32 v[8:9], s[16:17], v[22:23]
	s_mov_b32 s23, 0
	s_mov_b64 s[8:9], s[16:17]
                                        ; implicit-def: $sgpr27
                                        ; implicit-def: $sgpr28
                                        ; implicit-def: $sgpr29
                                        ; implicit-def: $sgpr30
	s_delay_alu instid0(VALU_DEP_2) | instskip(NEXT) | instid1(VALU_DEP_2)
	v_lshl_add_u64 v[6:7], v[6:7], 1, s[18:19]
	v_lshl_add_u64 v[8:9], v[8:9], 1, s[18:19]
	s_branch .LBB627_1321
.LBB627_1320:                           ;   in Loop: Header=BB627_1321 Depth=1
	s_or_b32 exec_lo, exec_lo, s31
	s_delay_alu instid0(SALU_CYCLE_1) | instskip(NEXT) | instid1(SALU_CYCLE_1)
	s_and_b32 s31, exec_lo, s28
	s_or_b32 s23, s31, s23
	s_and_not1_b32 s30, s30, exec_lo
	s_and_b32 s7, s7, exec_lo
	s_and_not1_b32 s27, s27, exec_lo
	s_and_b32 s31, s29, exec_lo
	s_or_b32 s30, s30, s7
	s_or_b32 s27, s27, s31
	s_and_not1_b32 exec_lo, exec_lo, s23
	s_cbranch_execz .LBB627_1323
.LBB627_1321:                           ; =>This Inner Loop Header: Depth=1
	global_load_u16 v26, v[6:7], off
	global_load_u16 v27, v[8:9], off
	s_and_not1_b32 s29, s29, exec_lo
	s_or_b32 s28, s28, exec_lo
	s_wait_loadcnt 0x0
	v_cmp_le_i16_e32 vcc_lo, v26, v27
	v_cmp_lt_i16_e64 s7, v26, v27
	s_and_b32 s31, vcc_lo, s30
	s_delay_alu instid0(SALU_CYCLE_1) | instskip(NEXT) | instid1(SALU_CYCLE_1)
	s_or_b32 s7, s7, s31
	s_and_b32 s31, s7, exec_lo
	s_delay_alu instid0(SALU_CYCLE_1)
	s_or_b32 s29, s29, s31
	s_mov_b32 s31, exec_lo
	v_cmpx_eq_u16_e64 v26, v27
	s_cbranch_execz .LBB627_1320
; %bb.1322:                             ;   in Loop: Header=BB627_1321 Depth=1
	s_add_nc_u64 s[8:9], s[8:9], -1
	v_add_nc_u64_e32 v[6:7], 2, v[6:7]
	s_cmp_eq_u64 s[8:9], 0
	v_add_nc_u64_e32 v[8:9], 2, v[8:9]
	s_cselect_b32 s30, -1, 0
	s_and_not1_b32 s28, s28, exec_lo
	s_and_b32 s30, s30, exec_lo
	s_and_not1_b32 s29, s29, exec_lo
	s_or_b32 s28, s28, s30
                                        ; implicit-def: $sgpr30
	s_branch .LBB627_1320
.LBB627_1323:
	s_or_b32 exec_lo, exec_lo, s23
	s_xor_b32 s7, s27, -1
	s_branch .LBB627_1325
.LBB627_1324:
	s_mov_b32 s7, -1
.LBB627_1325:
	s_delay_alu instid0(SALU_CYCLE_1)
	s_and_b32 s7, s7, exec_lo
.LBB627_1326:
	s_or_b32 exec_lo, exec_lo, s14
	s_delay_alu instid0(SALU_CYCLE_1)
	s_or_not1_b32 s14, s7, exec_lo
.LBB627_1327:
	s_or_b32 exec_lo, exec_lo, s22
	v_dual_cndmask_b32 v6, v24, v25, s14 :: v_dual_cndmask_b32 v7, v45, v47, s14
	s_mov_b32 s22, exec_lo
	s_delay_alu instid0(VALU_DEP_1) | instskip(NEXT) | instid1(VALU_DEP_1)
	v_add_nc_u32_e32 v6, 1, v6
	v_add_min_u32_e64 v7, v7, -1, v6
	s_delay_alu instid0(VALU_DEP_1)
	v_lshl_add_u32 v7, v7, 3, v43
	ds_load_b64 v[8:9], v7
	s_wait_dscnt 0x0
	v_dual_cndmask_b32 v7, v9, v13, s14 :: v_dual_cndmask_b32 v28, v6, v24, s14
	v_dual_cndmask_b32 v29, v25, v6, s14 :: v_dual_cndmask_b32 v6, v8, v12, s14
	;; [unrolled: 1-line block ×3, first 2 shown]
	s_delay_alu instid0(VALU_DEP_3)
	v_cmpx_lt_u32_e64 v28, v45
	s_cbranch_execz .LBB627_1338
; %bb.1328:
	s_mov_b32 s7, 0
	s_mov_b32 s15, exec_lo
	v_cmpx_lt_u32_e64 v29, v47
	s_cbranch_execz .LBB627_1337
; %bb.1329:
	s_and_not1_b32 vcc_lo, exec_lo, s26
	s_cbranch_vccnz .LBB627_1335
; %bb.1330:
	v_mul_u64_e32 v[8:9], s[16:17], v[6:7]
	v_mul_u64_e32 v[26:27], s[16:17], v[24:25]
	s_mov_b32 s23, 0
	s_mov_b64 s[8:9], s[16:17]
                                        ; implicit-def: $sgpr27
                                        ; implicit-def: $sgpr28
                                        ; implicit-def: $sgpr29
                                        ; implicit-def: $sgpr30
	s_delay_alu instid0(VALU_DEP_2) | instskip(NEXT) | instid1(VALU_DEP_2)
	v_lshl_add_u64 v[8:9], v[8:9], 1, s[18:19]
	v_lshl_add_u64 v[26:27], v[26:27], 1, s[18:19]
	s_branch .LBB627_1332
.LBB627_1331:                           ;   in Loop: Header=BB627_1332 Depth=1
	s_or_b32 exec_lo, exec_lo, s31
	s_delay_alu instid0(SALU_CYCLE_1) | instskip(NEXT) | instid1(SALU_CYCLE_1)
	s_and_b32 s31, exec_lo, s28
	s_or_b32 s23, s31, s23
	s_and_not1_b32 s30, s30, exec_lo
	s_and_b32 s7, s7, exec_lo
	s_and_not1_b32 s27, s27, exec_lo
	s_and_b32 s31, s29, exec_lo
	s_or_b32 s30, s30, s7
	s_or_b32 s27, s27, s31
	s_and_not1_b32 exec_lo, exec_lo, s23
	s_cbranch_execz .LBB627_1334
.LBB627_1332:                           ; =>This Inner Loop Header: Depth=1
	global_load_u16 v30, v[8:9], off
	global_load_u16 v31, v[26:27], off
	s_and_not1_b32 s29, s29, exec_lo
	s_or_b32 s28, s28, exec_lo
	s_wait_loadcnt 0x0
	v_cmp_le_i16_e32 vcc_lo, v30, v31
	v_cmp_lt_i16_e64 s7, v30, v31
	s_and_b32 s31, vcc_lo, s30
	s_delay_alu instid0(SALU_CYCLE_1) | instskip(NEXT) | instid1(SALU_CYCLE_1)
	s_or_b32 s7, s7, s31
	s_and_b32 s31, s7, exec_lo
	s_delay_alu instid0(SALU_CYCLE_1)
	s_or_b32 s29, s29, s31
	s_mov_b32 s31, exec_lo
	v_cmpx_eq_u16_e64 v30, v31
	s_cbranch_execz .LBB627_1331
; %bb.1333:                             ;   in Loop: Header=BB627_1332 Depth=1
	s_add_nc_u64 s[8:9], s[8:9], -1
	v_add_nc_u64_e32 v[8:9], 2, v[8:9]
	s_cmp_eq_u64 s[8:9], 0
	v_add_nc_u64_e32 v[26:27], 2, v[26:27]
	s_cselect_b32 s30, -1, 0
	s_and_not1_b32 s28, s28, exec_lo
	s_and_b32 s30, s30, exec_lo
	s_and_not1_b32 s29, s29, exec_lo
	s_or_b32 s28, s28, s30
                                        ; implicit-def: $sgpr30
	s_branch .LBB627_1331
.LBB627_1334:
	s_or_b32 exec_lo, exec_lo, s23
	s_xor_b32 s7, s27, -1
	s_branch .LBB627_1336
.LBB627_1335:
	s_mov_b32 s7, -1
.LBB627_1336:
	s_delay_alu instid0(SALU_CYCLE_1)
	s_and_b32 s7, s7, exec_lo
.LBB627_1337:
	s_or_b32 exec_lo, exec_lo, s15
	s_delay_alu instid0(SALU_CYCLE_1)
	s_or_not1_b32 s15, s7, exec_lo
.LBB627_1338:
	s_or_b32 exec_lo, exec_lo, s22
	v_dual_cndmask_b32 v8, v28, v29, s15 :: v_dual_cndmask_b32 v9, v45, v47, s15
	s_mov_b32 s22, -1
	s_mov_b32 s23, -1
	s_mov_b32 s27, exec_lo
	s_delay_alu instid0(VALU_DEP_1) | instskip(NEXT) | instid1(VALU_DEP_1)
	v_add_nc_u32_e32 v8, 1, v8
	v_add_min_u32_e64 v9, v9, -1, v8
	s_delay_alu instid0(VALU_DEP_1)
	v_lshl_add_u32 v9, v9, 3, v43
	ds_load_b64 v[26:27], v9
	s_wait_dscnt 0x0
	v_dual_cndmask_b32 v9, v27, v7, s15 :: v_dual_cndmask_b32 v32, v8, v28, s15
	v_dual_cndmask_b32 v33, v29, v8, s15 :: v_dual_cndmask_b32 v8, v26, v6, s15
	;; [unrolled: 1-line block ×3, first 2 shown]
	s_delay_alu instid0(VALU_DEP_3)
	v_cmpx_lt_u32_e64 v32, v45
	s_cbranch_execz .LBB627_1349
; %bb.1339:
	s_mov_b32 s7, 0
	s_mov_b32 s23, exec_lo
	v_cmpx_lt_u32_e64 v33, v47
	s_cbranch_execz .LBB627_1348
; %bb.1340:
	s_and_not1_b32 vcc_lo, exec_lo, s26
	s_cbranch_vccnz .LBB627_1346
; %bb.1341:
	v_mul_u64_e32 v[28:29], s[16:17], v[8:9]
	v_mul_u64_e32 v[30:31], s[16:17], v[26:27]
	s_mov_b32 s28, 0
	s_mov_b64 s[8:9], s[16:17]
                                        ; implicit-def: $sgpr29
                                        ; implicit-def: $sgpr30
                                        ; implicit-def: $sgpr31
                                        ; implicit-def: $sgpr33
	s_delay_alu instid0(VALU_DEP_2) | instskip(NEXT) | instid1(VALU_DEP_2)
	v_lshl_add_u64 v[28:29], v[28:29], 1, s[18:19]
	v_lshl_add_u64 v[30:31], v[30:31], 1, s[18:19]
	s_branch .LBB627_1343
.LBB627_1342:                           ;   in Loop: Header=BB627_1343 Depth=1
	s_or_b32 exec_lo, exec_lo, s34
	s_delay_alu instid0(SALU_CYCLE_1) | instskip(NEXT) | instid1(SALU_CYCLE_1)
	s_and_b32 s34, exec_lo, s30
	s_or_b32 s28, s34, s28
	s_and_not1_b32 s33, s33, exec_lo
	s_and_b32 s7, s7, exec_lo
	s_and_not1_b32 s29, s29, exec_lo
	s_and_b32 s34, s31, exec_lo
	s_or_b32 s33, s33, s7
	s_or_b32 s29, s29, s34
	s_and_not1_b32 exec_lo, exec_lo, s28
	s_cbranch_execz .LBB627_1345
.LBB627_1343:                           ; =>This Inner Loop Header: Depth=1
	global_load_u16 v34, v[28:29], off
	global_load_u16 v35, v[30:31], off
	s_and_not1_b32 s31, s31, exec_lo
	s_or_b32 s30, s30, exec_lo
	s_wait_loadcnt 0x0
	v_cmp_le_i16_e32 vcc_lo, v34, v35
	v_cmp_lt_i16_e64 s7, v34, v35
	s_and_b32 s34, vcc_lo, s33
	s_delay_alu instid0(SALU_CYCLE_1) | instskip(NEXT) | instid1(SALU_CYCLE_1)
	s_or_b32 s7, s7, s34
	s_and_b32 s34, s7, exec_lo
	s_delay_alu instid0(SALU_CYCLE_1)
	s_or_b32 s31, s31, s34
	s_mov_b32 s34, exec_lo
	v_cmpx_eq_u16_e64 v34, v35
	s_cbranch_execz .LBB627_1342
; %bb.1344:                             ;   in Loop: Header=BB627_1343 Depth=1
	s_add_nc_u64 s[8:9], s[8:9], -1
	v_add_nc_u64_e32 v[28:29], 2, v[28:29]
	s_cmp_eq_u64 s[8:9], 0
	v_add_nc_u64_e32 v[30:31], 2, v[30:31]
	s_cselect_b32 s33, -1, 0
	s_and_not1_b32 s30, s30, exec_lo
	s_and_b32 s33, s33, exec_lo
	s_and_not1_b32 s31, s31, exec_lo
	s_or_b32 s30, s30, s33
                                        ; implicit-def: $sgpr33
	s_branch .LBB627_1342
.LBB627_1345:
	s_or_b32 exec_lo, exec_lo, s28
	s_xor_b32 s7, s29, -1
	s_branch .LBB627_1347
.LBB627_1346:
	s_mov_b32 s7, -1
.LBB627_1347:
	s_delay_alu instid0(SALU_CYCLE_1)
	s_and_b32 s7, s7, exec_lo
.LBB627_1348:
	s_or_b32 exec_lo, exec_lo, s23
	s_delay_alu instid0(SALU_CYCLE_1)
	s_or_not1_b32 s23, s7, exec_lo
.LBB627_1349:
	s_or_b32 exec_lo, exec_lo, s27
	v_dual_cndmask_b32 v28, v32, v33, s23 :: v_dual_cndmask_b32 v29, v45, v47, s23
	s_mov_b32 s27, exec_lo
	s_delay_alu instid0(VALU_DEP_1) | instskip(NEXT) | instid1(VALU_DEP_1)
	v_add_nc_u32_e32 v28, 1, v28
	v_add_min_u32_e64 v29, v29, -1, v28
	s_delay_alu instid0(VALU_DEP_1)
	v_lshl_add_u32 v29, v29, 3, v43
	ds_load_b64 v[30:31], v29
	s_wait_dscnt 0x0
	v_dual_cndmask_b32 v29, v31, v9, s23 :: v_dual_cndmask_b32 v46, v28, v32, s23
	v_dual_cndmask_b32 v31, v27, v31, s23 :: v_dual_cndmask_b32 v44, v33, v28, s23
	v_cndmask_b32_e64 v28, v30, v8, s23
	v_cndmask_b32_e64 v30, v26, v30, s23
	s_delay_alu instid0(VALU_DEP_4)
	v_cmpx_lt_u32_e64 v46, v45
	s_cbranch_execz .LBB627_1360
; %bb.1350:
	s_mov_b32 s7, 0
	s_mov_b32 s22, exec_lo
	v_cmpx_lt_u32_e64 v44, v47
	s_cbranch_execz .LBB627_1359
; %bb.1351:
	s_and_not1_b32 vcc_lo, exec_lo, s26
	s_cbranch_vccnz .LBB627_1357
; %bb.1352:
	v_mul_u64_e32 v[32:33], s[16:17], v[28:29]
	v_mul_u64_e32 v[34:35], s[16:17], v[30:31]
	s_mov_b32 s28, 0
	s_mov_b64 s[8:9], s[16:17]
                                        ; implicit-def: $sgpr29
                                        ; implicit-def: $sgpr30
                                        ; implicit-def: $sgpr31
                                        ; implicit-def: $sgpr33
	s_delay_alu instid0(VALU_DEP_2) | instskip(NEXT) | instid1(VALU_DEP_2)
	v_lshl_add_u64 v[32:33], v[32:33], 1, s[18:19]
	v_lshl_add_u64 v[34:35], v[34:35], 1, s[18:19]
	s_branch .LBB627_1354
.LBB627_1353:                           ;   in Loop: Header=BB627_1354 Depth=1
	s_or_b32 exec_lo, exec_lo, s34
	s_delay_alu instid0(SALU_CYCLE_1) | instskip(NEXT) | instid1(SALU_CYCLE_1)
	s_and_b32 s34, exec_lo, s30
	s_or_b32 s28, s34, s28
	s_and_not1_b32 s33, s33, exec_lo
	s_and_b32 s7, s7, exec_lo
	s_and_not1_b32 s29, s29, exec_lo
	s_and_b32 s34, s31, exec_lo
	s_or_b32 s33, s33, s7
	s_or_b32 s29, s29, s34
	s_and_not1_b32 exec_lo, exec_lo, s28
	s_cbranch_execz .LBB627_1356
.LBB627_1354:                           ; =>This Inner Loop Header: Depth=1
	global_load_u16 v48, v[32:33], off
	global_load_u16 v49, v[34:35], off
	s_and_not1_b32 s31, s31, exec_lo
	s_or_b32 s30, s30, exec_lo
	s_wait_loadcnt 0x0
	v_cmp_le_i16_e32 vcc_lo, v48, v49
	v_cmp_lt_i16_e64 s7, v48, v49
	s_and_b32 s34, vcc_lo, s33
	s_delay_alu instid0(SALU_CYCLE_1) | instskip(NEXT) | instid1(SALU_CYCLE_1)
	s_or_b32 s7, s7, s34
	s_and_b32 s34, s7, exec_lo
	s_delay_alu instid0(SALU_CYCLE_1)
	s_or_b32 s31, s31, s34
	s_mov_b32 s34, exec_lo
	v_cmpx_eq_u16_e64 v48, v49
	s_cbranch_execz .LBB627_1353
; %bb.1355:                             ;   in Loop: Header=BB627_1354 Depth=1
	s_add_nc_u64 s[8:9], s[8:9], -1
	v_add_nc_u64_e32 v[32:33], 2, v[32:33]
	s_cmp_eq_u64 s[8:9], 0
	v_add_nc_u64_e32 v[34:35], 2, v[34:35]
	s_cselect_b32 s33, -1, 0
	s_and_not1_b32 s30, s30, exec_lo
	s_and_b32 s33, s33, exec_lo
	s_and_not1_b32 s31, s31, exec_lo
	s_or_b32 s30, s30, s33
                                        ; implicit-def: $sgpr33
	s_branch .LBB627_1353
.LBB627_1356:
	s_or_b32 exec_lo, exec_lo, s28
	s_xor_b32 s7, s29, -1
	s_branch .LBB627_1358
.LBB627_1357:
	s_mov_b32 s7, -1
.LBB627_1358:
	s_delay_alu instid0(SALU_CYCLE_1)
	s_and_b32 s7, s7, exec_lo
.LBB627_1359:
	s_or_b32 exec_lo, exec_lo, s22
	s_delay_alu instid0(SALU_CYCLE_1)
	s_or_not1_b32 s22, s7, exec_lo
.LBB627_1360:
	s_or_b32 exec_lo, exec_lo, s27
	v_dual_cndmask_b32 v32, v46, v44, s22 :: v_dual_cndmask_b32 v33, v45, v47, s22
	v_dual_cndmask_b32 v8, v8, v26, s23 :: v_dual_cndmask_b32 v7, v7, v25, s15
	v_dual_cndmask_b32 v6, v6, v24, s15 :: v_dual_cndmask_b32 v13, v13, v23, s14
	s_delay_alu instid0(VALU_DEP_3) | instskip(SKIP_2) | instid1(VALU_DEP_3)
	v_dual_add_nc_u32 v34, 1, v32 :: v_dual_cndmask_b32 v9, v9, v27, s23
	v_dual_cndmask_b32 v12, v12, v22, s14 :: v_dual_cndmask_b32 v11, v11, v17, s13
	v_dual_cndmask_b32 v10, v10, v16, s13 :: v_dual_cndmask_b32 v17, v5, v15, s12
	v_add_min_u32_e64 v32, v33, -1, v34
	v_dual_cndmask_b32 v16, v4, v14, s12 :: v_dual_cndmask_b32 v15, v3, v1, s11
	v_dual_cndmask_b32 v14, v2, v0, s11 :: v_dual_cndmask_b32 v3, v29, v31, s22
	s_delay_alu instid0(VALU_DEP_3)
	v_lshl_add_u32 v32, v32, 3, v43
	s_mov_b32 s11, exec_lo
	ds_load_b64 v[32:33], v32
	v_cndmask_b32_e64 v0, v34, v46, s22
	s_wait_dscnt 0x0
	v_dual_cndmask_b32 v2, v28, v30, s22 :: v_dual_cndmask_b32 v4, v30, v32, s22
	v_cndmask_b32_e64 v5, v31, v33, s22
	s_delay_alu instid0(VALU_DEP_3)
	v_cmpx_lt_u32_e64 v0, v45
	s_cbranch_execz .LBB627_1370
; %bb.1361:
	v_dual_cndmask_b32 v22, v44, v34, s22 :: v_dual_cndmask_b32 v1, v33, v29, s22
	v_cndmask_b32_e64 v0, v32, v28, s22
	s_mov_b32 s12, exec_lo
	s_delay_alu instid0(VALU_DEP_2)
	v_cmpx_lt_u32_e64 v22, v47
	s_cbranch_execz .LBB627_1369
; %bb.1362:
	s_and_not1_b32 vcc_lo, exec_lo, s26
	s_cbranch_vccnz .LBB627_1368
; %bb.1363:
	v_mul_u64_e32 v[22:23], s[16:17], v[0:1]
	v_mul_u64_e32 v[24:25], s[16:17], v[4:5]
	s_mov_b32 s13, 0
	s_mov_b64 s[8:9], s[16:17]
                                        ; implicit-def: $sgpr14
                                        ; implicit-def: $sgpr15
                                        ; implicit-def: $sgpr22
                                        ; implicit-def: $sgpr23
	s_delay_alu instid0(VALU_DEP_2) | instskip(NEXT) | instid1(VALU_DEP_2)
	v_lshl_add_u64 v[22:23], v[22:23], 1, s[18:19]
	v_lshl_add_u64 v[24:25], v[24:25], 1, s[18:19]
	s_branch .LBB627_1365
.LBB627_1364:                           ;   in Loop: Header=BB627_1365 Depth=1
	s_or_b32 exec_lo, exec_lo, s27
	s_delay_alu instid0(SALU_CYCLE_1) | instskip(NEXT) | instid1(SALU_CYCLE_1)
	s_and_b32 s27, exec_lo, s15
	s_or_b32 s13, s27, s13
	s_and_not1_b32 s23, s23, exec_lo
	s_and_b32 s7, s7, exec_lo
	s_and_not1_b32 s14, s14, exec_lo
	s_and_b32 s27, s22, exec_lo
	s_or_b32 s23, s23, s7
	s_or_b32 s14, s14, s27
	s_and_not1_b32 exec_lo, exec_lo, s13
	s_cbranch_execz .LBB627_1367
.LBB627_1365:                           ; =>This Inner Loop Header: Depth=1
	global_load_u16 v26, v[22:23], off
	global_load_u16 v27, v[24:25], off
	s_and_not1_b32 s22, s22, exec_lo
	s_or_b32 s15, s15, exec_lo
	s_wait_loadcnt 0x0
	v_cmp_le_i16_e32 vcc_lo, v26, v27
	v_cmp_lt_i16_e64 s7, v26, v27
	s_and_b32 s27, vcc_lo, s23
	s_delay_alu instid0(SALU_CYCLE_1) | instskip(NEXT) | instid1(SALU_CYCLE_1)
	s_or_b32 s7, s7, s27
	s_and_b32 s27, s7, exec_lo
	s_delay_alu instid0(SALU_CYCLE_1)
	s_or_b32 s22, s22, s27
	s_mov_b32 s27, exec_lo
	v_cmpx_eq_u16_e64 v26, v27
	s_cbranch_execz .LBB627_1364
; %bb.1366:                             ;   in Loop: Header=BB627_1365 Depth=1
	s_add_nc_u64 s[8:9], s[8:9], -1
	v_add_nc_u64_e32 v[22:23], 2, v[22:23]
	s_cmp_eq_u64 s[8:9], 0
	v_add_nc_u64_e32 v[24:25], 2, v[24:25]
	s_cselect_b32 s23, -1, 0
	s_and_not1_b32 s15, s15, exec_lo
	s_and_b32 s23, s23, exec_lo
	s_and_not1_b32 s22, s22, exec_lo
	s_or_b32 s15, s15, s23
                                        ; implicit-def: $sgpr23
	s_branch .LBB627_1364
.LBB627_1367:
	s_or_b32 exec_lo, exec_lo, s13
	v_dual_cndmask_b32 v5, v5, v1, s14 :: v_dual_cndmask_b32 v4, v4, v0, s14
.LBB627_1368:
	s_delay_alu instid0(VALU_DEP_1)
	v_mov_b64_e32 v[0:1], v[4:5]
.LBB627_1369:
	s_or_b32 exec_lo, exec_lo, s12
	s_delay_alu instid0(VALU_DEP_1)
	v_mov_b64_e32 v[4:5], v[0:1]
.LBB627_1370:
	s_or_b32 exec_lo, exec_lo, s11
.LBB627_1371:
	s_delay_alu instid0(SALU_CYCLE_1)
	s_or_b32 exec_lo, exec_lo, s10
	s_cmp_lt_u32 s25, 0x81
	; wave barrier
	s_wait_dscnt 0x0
	s_barrier_signal -1
	s_barrier_wait -1
	s_cbranch_scc1 .LBB627_1475
; %bb.1372:
	v_lshlrev_b32_e32 v24, 3, v20
	s_lshl_b64 s[8:9], s[16:17], 1
	s_movk_i32 s12, 0x80
	s_branch .LBB627_1378
.LBB627_1373:                           ;   in Loop: Header=BB627_1378 Depth=1
	s_or_b32 exec_lo, exec_lo, s33
	v_dual_cndmask_b32 v5, v5, v7, s34 :: v_dual_cndmask_b32 v4, v4, v6, s34
.LBB627_1374:                           ;   in Loop: Header=BB627_1378 Depth=1
	s_delay_alu instid0(VALU_DEP_1)
	v_mov_b64_e32 v[6:7], v[4:5]
.LBB627_1375:                           ;   in Loop: Header=BB627_1378 Depth=1
	s_or_b32 exec_lo, exec_lo, s31
	s_delay_alu instid0(VALU_DEP_1)
	v_mov_b64_e32 v[4:5], v[6:7]
.LBB627_1376:                           ;   in Loop: Header=BB627_1378 Depth=1
	s_or_b32 exec_lo, exec_lo, s30
	v_dual_cndmask_b32 v9, v35, v44, s29 :: v_dual_cndmask_b32 v6, v32, v34, s27
	v_cndmask_b32_e64 v8, v43, v45, s29
	v_dual_cndmask_b32 v7, v31, v33, s27 :: v_dual_cndmask_b32 v11, v17, v27, s22
	v_dual_cndmask_b32 v13, v12, v13, s23 :: v_dual_cndmask_b32 v10, v23, v28, s22
	;; [unrolled: 1-line block ×3, first 2 shown]
	v_cndmask_b32_e64 v16, v15, v22, s15
	v_dual_cndmask_b32 v15, v3, v1, s14 :: v_dual_cndmask_b32 v14, v2, v0, s14
	v_dual_cndmask_b32 v3, v46, v48, s28 :: v_dual_cndmask_b32 v2, v47, v49, s28
.LBB627_1377:                           ;   in Loop: Header=BB627_1378 Depth=1
	s_or_b32 exec_lo, exec_lo, s13
	s_cmp_lt_u32 s12, s25
	s_barrier_signal -1
	s_barrier_wait -1
	s_cbranch_scc0 .LBB627_1475
.LBB627_1378:                           ; =>This Loop Header: Depth=1
                                        ;     Child Loop BB627_1382 Depth 2
                                        ;       Child Loop BB627_1385 Depth 3
                                        ;     Child Loop BB627_1397 Depth 2
                                        ;     Child Loop BB627_1407 Depth 2
	;; [unrolled: 1-line block ×8, first 2 shown]
	s_mov_b32 s7, s12
	s_lshl_b32 s12, s12, 1
	s_mov_b32 s13, exec_lo
	s_sub_co_i32 s10, 0, s12
	ds_store_b128 v24, v[14:17]
	ds_store_b128 v24, v[10:13] offset:16
	ds_store_b128 v24, v[6:9] offset:32
	;; [unrolled: 1-line block ×3, first 2 shown]
	v_and_b32_e32 v29, s10, v20
	s_add_co_i32 s10, s12, -1
	s_wait_dscnt 0x0
	s_barrier_signal -1
	s_barrier_wait -1
	v_add_min_u32_e64 v25, v29, s7, s25
	s_delay_alu instid0(VALU_DEP_1) | instskip(NEXT) | instid1(VALU_DEP_1)
	v_add_min_u32_e64 v26, v25, s7, s25
	v_dual_sub_nc_u32 v1, v26, v25 :: v_dual_bitop2_b32 v0, s10, v20 bitop3:0x40
	v_lshlrev_b32_e32 v28, 3, v29
	s_delay_alu instid0(VALU_DEP_2) | instskip(SKIP_1) | instid1(VALU_DEP_2)
	v_min_u32_e32 v30, s25, v0
	v_sub_nc_u32_e32 v0, v25, v29
	v_sub_nc_u32_e64 v27, v30, v1 clamp
	s_delay_alu instid0(VALU_DEP_2) | instskip(NEXT) | instid1(VALU_DEP_1)
	v_min_u32_e32 v31, v30, v0
	v_cmpx_lt_u32_e64 v27, v31
	s_cbranch_execz .LBB627_1388
; %bb.1379:                             ;   in Loop: Header=BB627_1378 Depth=1
	v_lshlrev_b32_e32 v0, 3, v30
	s_mov_b32 s14, 0
	s_delay_alu instid0(VALU_DEP_1)
	v_lshl_add_u32 v32, v25, 3, v0
	s_branch .LBB627_1382
.LBB627_1380:                           ;   in Loop: Header=BB627_1382 Depth=2
	s_or_b32 exec_lo, exec_lo, s22
.LBB627_1381:                           ;   in Loop: Header=BB627_1382 Depth=2
	s_delay_alu instid0(VALU_DEP_1) | instskip(NEXT) | instid1(VALU_DEP_1)
	v_dual_add_nc_u32 v0, 1, v33 :: v_dual_cndmask_b32 v31, v31, v33, s15
	v_cndmask_b32_e64 v27, v0, v27, s15
	s_delay_alu instid0(VALU_DEP_1) | instskip(SKIP_1) | instid1(SALU_CYCLE_1)
	v_cmp_ge_u32_e32 vcc_lo, v27, v31
	s_or_b32 s14, vcc_lo, s14
	s_and_not1_b32 exec_lo, exec_lo, s14
	s_cbranch_execz .LBB627_1387
.LBB627_1382:                           ;   Parent Loop BB627_1378 Depth=1
                                        ; =>  This Loop Header: Depth=2
                                        ;       Child Loop BB627_1385 Depth 3
	v_add_nc_u32_e32 v0, v31, v27
	s_and_not1_b32 vcc_lo, exec_lo, s26
	s_mov_b32 s15, 0
	s_delay_alu instid0(VALU_DEP_1)
	v_lshrrev_b32_e32 v33, 1, v0
	s_cbranch_vccnz .LBB627_1381
; %bb.1383:                             ;   in Loop: Header=BB627_1382 Depth=2
	s_delay_alu instid0(VALU_DEP_1) | instskip(SKIP_3) | instid1(VALU_DEP_2)
	v_not_b32_e32 v0, v33
	v_lshl_add_u32 v1, v33, 3, v28
	s_mov_b32 s22, 0
	s_mov_b64 s[10:11], s[16:17]
                                        ; implicit-def: $sgpr15
                                        ; implicit-def: $sgpr23
                                        ; implicit-def: $sgpr27
                                        ; implicit-def: $sgpr28
	v_lshl_add_u32 v0, v0, 3, v32
	ds_load_b64 v[34:35], v0
	ds_load_b64 v[44:45], v1
	s_wait_dscnt 0x1
	v_mad_nc_u64_u32 v[0:1], s8, v34, s[18:19]
	s_wait_dscnt 0x0
	v_mad_nc_u64_u32 v[22:23], s8, v44, s[18:19]
	s_delay_alu instid0(VALU_DEP_2) | instskip(NEXT) | instid1(VALU_DEP_2)
	v_mad_u32 v1, s9, v34, v1
	v_mad_u32 v23, s9, v44, v23
	s_delay_alu instid0(VALU_DEP_2) | instskip(NEXT) | instid1(VALU_DEP_2)
	v_mad_u32 v1, s8, v35, v1
	v_mad_u32 v23, s8, v45, v23
	s_branch .LBB627_1385
.LBB627_1384:                           ;   in Loop: Header=BB627_1385 Depth=3
	s_or_b32 exec_lo, exec_lo, s29
	s_delay_alu instid0(SALU_CYCLE_1) | instskip(NEXT) | instid1(SALU_CYCLE_1)
	s_and_b32 s29, exec_lo, s23
	s_or_b32 s22, s29, s22
	s_and_not1_b32 s28, s28, exec_lo
	s_and_b32 s7, s7, exec_lo
	s_and_not1_b32 s15, s15, exec_lo
	s_and_b32 s29, s27, exec_lo
	s_or_b32 s28, s28, s7
	s_or_b32 s15, s15, s29
	s_and_not1_b32 exec_lo, exec_lo, s22
	s_cbranch_execz .LBB627_1380
.LBB627_1385:                           ;   Parent Loop BB627_1378 Depth=1
                                        ;     Parent Loop BB627_1382 Depth=2
                                        ; =>    This Inner Loop Header: Depth=3
	global_load_u16 v34, v[0:1], off
	global_load_u16 v35, v[22:23], off
	s_and_not1_b32 s27, s27, exec_lo
	s_or_b32 s23, s23, exec_lo
	s_wait_loadcnt 0x0
	v_cmp_le_i16_e32 vcc_lo, v34, v35
	v_cmp_lt_i16_e64 s7, v34, v35
	s_and_b32 s29, vcc_lo, s28
	s_delay_alu instid0(SALU_CYCLE_1) | instskip(NEXT) | instid1(SALU_CYCLE_1)
	s_or_b32 s7, s7, s29
	s_and_b32 s29, s7, exec_lo
	s_delay_alu instid0(SALU_CYCLE_1)
	s_or_b32 s27, s27, s29
	s_mov_b32 s29, exec_lo
	v_cmpx_eq_u16_e64 v34, v35
	s_cbranch_execz .LBB627_1384
; %bb.1386:                             ;   in Loop: Header=BB627_1385 Depth=3
	s_add_nc_u64 s[10:11], s[10:11], -1
	v_add_nc_u64_e32 v[0:1], 2, v[0:1]
	s_cmp_eq_u64 s[10:11], 0
	v_add_nc_u64_e32 v[22:23], 2, v[22:23]
	s_cselect_b32 s28, -1, 0
	s_and_not1_b32 s23, s23, exec_lo
	s_and_b32 s28, s28, exec_lo
	s_and_not1_b32 s27, s27, exec_lo
	s_or_b32 s23, s23, s28
                                        ; implicit-def: $sgpr28
	s_branch .LBB627_1384
.LBB627_1387:                           ;   in Loop: Header=BB627_1378 Depth=1
	s_or_b32 exec_lo, exec_lo, s14
.LBB627_1388:                           ;   in Loop: Header=BB627_1378 Depth=1
	s_delay_alu instid0(SALU_CYCLE_1) | instskip(SKIP_1) | instid1(VALU_DEP_1)
	s_or_b32 exec_lo, exec_lo, s13
	v_dual_sub_nc_u32 v0, v30, v27 :: v_dual_add_nc_u32 v22, v27, v29
	v_add_nc_u32_e32 v23, v0, v25
	s_delay_alu instid0(VALU_DEP_2) | instskip(NEXT) | instid1(VALU_DEP_2)
	v_cmp_le_u32_e32 vcc_lo, v22, v25
	v_cmp_le_u32_e64 s7, v23, v26
	s_or_b32 s7, vcc_lo, s7
	s_delay_alu instid0(SALU_CYCLE_1)
	s_and_saveexec_b32 s13, s7
	s_cbranch_execz .LBB627_1377
; %bb.1389:                             ;   in Loop: Header=BB627_1378 Depth=1
	s_mov_b32 s10, exec_lo
	v_cmp_ge_u32_e32 vcc_lo, v22, v25
                                        ; implicit-def: $vgpr0_vgpr1
	v_cmpx_lt_u32_e64 v22, v25
; %bb.1390:                             ;   in Loop: Header=BB627_1378 Depth=1
	v_lshl_add_u32 v0, v27, 3, v28
	ds_load_b64 v[0:1], v0
; %bb.1391:                             ;   in Loop: Header=BB627_1378 Depth=1
	s_or_b32 exec_lo, exec_lo, s10
	v_cmp_ge_u32_e64 s14, v23, v26
	s_mov_b32 s10, exec_lo
                                        ; implicit-def: $vgpr2_vgpr3
	v_cmpx_lt_u32_e64 v23, v26
; %bb.1392:                             ;   in Loop: Header=BB627_1378 Depth=1
	v_lshlrev_b32_e32 v2, 3, v23
	ds_load_b64 v[2:3], v2
; %bb.1393:                             ;   in Loop: Header=BB627_1378 Depth=1
	s_or_b32 exec_lo, exec_lo, s10
	s_nor_b32 s7, vcc_lo, s14
	s_delay_alu instid0(SALU_CYCLE_1)
	s_and_saveexec_b32 s15, s7
	s_cbranch_execz .LBB627_1402
; %bb.1394:                             ;   in Loop: Header=BB627_1378 Depth=1
	s_and_not1_b32 vcc_lo, exec_lo, s26
	s_cbranch_vccnz .LBB627_1400
; %bb.1395:                             ;   in Loop: Header=BB627_1378 Depth=1
	s_wait_dscnt 0x0
	v_mad_nc_u64_u32 v[4:5], s8, v2, s[18:19]
	v_mad_nc_u64_u32 v[6:7], s8, v0, s[18:19]
	s_mov_b32 s22, 0
	s_mov_b64 s[10:11], s[16:17]
                                        ; implicit-def: $sgpr23
                                        ; implicit-def: $sgpr27
                                        ; implicit-def: $sgpr28
                                        ; implicit-def: $sgpr29
	s_delay_alu instid0(VALU_DEP_2) | instskip(NEXT) | instid1(VALU_DEP_2)
	v_mad_u32 v5, s9, v2, v5
	v_mad_u32 v7, s9, v0, v7
	s_delay_alu instid0(VALU_DEP_2) | instskip(NEXT) | instid1(VALU_DEP_2)
	v_mad_u32 v5, s8, v3, v5
	v_mad_u32 v7, s8, v1, v7
	s_branch .LBB627_1397
.LBB627_1396:                           ;   in Loop: Header=BB627_1397 Depth=2
	s_or_b32 exec_lo, exec_lo, s30
	s_delay_alu instid0(SALU_CYCLE_1) | instskip(NEXT) | instid1(SALU_CYCLE_1)
	s_and_b32 s30, exec_lo, s27
	s_or_b32 s22, s30, s22
	s_and_not1_b32 s29, s29, exec_lo
	s_and_b32 s7, s7, exec_lo
	s_and_not1_b32 s23, s23, exec_lo
	s_and_b32 s30, s28, exec_lo
	s_or_b32 s29, s29, s7
	s_or_b32 s23, s23, s30
	s_and_not1_b32 exec_lo, exec_lo, s22
	s_cbranch_execz .LBB627_1399
.LBB627_1397:                           ;   Parent Loop BB627_1378 Depth=1
                                        ; =>  This Inner Loop Header: Depth=2
	global_load_u16 v8, v[4:5], off
	global_load_u16 v9, v[6:7], off
	s_and_not1_b32 s28, s28, exec_lo
	s_or_b32 s27, s27, exec_lo
	s_wait_loadcnt 0x0
	v_cmp_le_i16_e32 vcc_lo, v8, v9
	v_cmp_lt_i16_e64 s7, v8, v9
	s_and_b32 s30, vcc_lo, s29
	s_delay_alu instid0(SALU_CYCLE_1) | instskip(NEXT) | instid1(SALU_CYCLE_1)
	s_or_b32 s7, s7, s30
	s_and_b32 s30, s7, exec_lo
	s_delay_alu instid0(SALU_CYCLE_1)
	s_or_b32 s28, s28, s30
	s_mov_b32 s30, exec_lo
	v_cmpx_eq_u16_e64 v8, v9
	s_cbranch_execz .LBB627_1396
; %bb.1398:                             ;   in Loop: Header=BB627_1397 Depth=2
	s_add_nc_u64 s[10:11], s[10:11], -1
	v_add_nc_u64_e32 v[4:5], 2, v[4:5]
	s_cmp_eq_u64 s[10:11], 0
	v_add_nc_u64_e32 v[6:7], 2, v[6:7]
	s_cselect_b32 s29, -1, 0
	s_and_not1_b32 s27, s27, exec_lo
	s_and_b32 s29, s29, exec_lo
	s_and_not1_b32 s28, s28, exec_lo
	s_or_b32 s27, s27, s29
                                        ; implicit-def: $sgpr29
	s_branch .LBB627_1396
.LBB627_1399:                           ;   in Loop: Header=BB627_1378 Depth=1
	s_or_b32 exec_lo, exec_lo, s22
	s_xor_b32 s7, s23, -1
	s_branch .LBB627_1401
.LBB627_1400:                           ;   in Loop: Header=BB627_1378 Depth=1
	s_mov_b32 s7, -1
.LBB627_1401:                           ;   in Loop: Header=BB627_1378 Depth=1
	s_and_not1_b32 s10, s14, exec_lo
	s_and_b32 s7, s7, exec_lo
	s_delay_alu instid0(SALU_CYCLE_1)
	s_or_b32 s14, s10, s7
.LBB627_1402:                           ;   in Loop: Header=BB627_1378 Depth=1
	s_or_b32 exec_lo, exec_lo, s15
	v_dual_cndmask_b32 v4, v23, v22, s14 :: v_dual_cndmask_b32 v5, v26, v25, s14
	s_mov_b32 s22, -1
	s_mov_b32 s15, -1
	s_mov_b32 s23, exec_lo
	s_delay_alu instid0(VALU_DEP_1) | instskip(NEXT) | instid1(VALU_DEP_1)
	v_add_nc_u32_e32 v6, 1, v4
	v_add_min_u32_e64 v4, v5, -1, v6
	s_delay_alu instid0(VALU_DEP_1)
	v_lshlrev_b32_e32 v4, 3, v4
	ds_load_b64 v[4:5], v4
	v_cndmask_b32_e64 v8, v6, v23, s14
	s_wait_dscnt 0x0
	v_dual_cndmask_b32 v9, v22, v6, s14 :: v_dual_cndmask_b32 v14, v5, v3, s14
	v_dual_cndmask_b32 v15, v4, v2, s14 :: v_dual_cndmask_b32 v16, v1, v5, s14
	v_cndmask_b32_e64 v22, v0, v4, s14
	v_cmpx_lt_u32_e64 v8, v26
	s_cbranch_execz .LBB627_1413
; %bb.1403:                             ;   in Loop: Header=BB627_1378 Depth=1
	s_mov_b32 s7, 0
	s_mov_b32 s15, exec_lo
	v_cmpx_lt_u32_e64 v9, v25
	s_cbranch_execz .LBB627_1412
; %bb.1404:                             ;   in Loop: Header=BB627_1378 Depth=1
	s_and_not1_b32 vcc_lo, exec_lo, s26
	s_cbranch_vccnz .LBB627_1410
; %bb.1405:                             ;   in Loop: Header=BB627_1378 Depth=1
	v_mad_nc_u64_u32 v[4:5], s8, v15, s[18:19]
	v_mad_nc_u64_u32 v[6:7], s8, v22, s[18:19]
	s_mov_b32 s27, 0
	s_mov_b64 s[10:11], s[16:17]
                                        ; implicit-def: $sgpr28
                                        ; implicit-def: $sgpr29
                                        ; implicit-def: $sgpr30
                                        ; implicit-def: $sgpr31
	s_delay_alu instid0(VALU_DEP_2) | instskip(NEXT) | instid1(VALU_DEP_2)
	v_mad_u32 v5, s9, v15, v5
	v_mad_u32 v7, s9, v22, v7
	s_delay_alu instid0(VALU_DEP_2) | instskip(NEXT) | instid1(VALU_DEP_2)
	v_mad_u32 v5, s8, v14, v5
	v_mad_u32 v7, s8, v16, v7
	s_branch .LBB627_1407
.LBB627_1406:                           ;   in Loop: Header=BB627_1407 Depth=2
	s_or_b32 exec_lo, exec_lo, s33
	s_delay_alu instid0(SALU_CYCLE_1) | instskip(NEXT) | instid1(SALU_CYCLE_1)
	s_and_b32 s33, exec_lo, s29
	s_or_b32 s27, s33, s27
	s_and_not1_b32 s31, s31, exec_lo
	s_and_b32 s7, s7, exec_lo
	s_and_not1_b32 s28, s28, exec_lo
	s_and_b32 s33, s30, exec_lo
	s_or_b32 s31, s31, s7
	s_or_b32 s28, s28, s33
	s_and_not1_b32 exec_lo, exec_lo, s27
	s_cbranch_execz .LBB627_1409
.LBB627_1407:                           ;   Parent Loop BB627_1378 Depth=1
                                        ; =>  This Inner Loop Header: Depth=2
	global_load_u16 v10, v[4:5], off
	global_load_u16 v11, v[6:7], off
	s_and_not1_b32 s30, s30, exec_lo
	s_or_b32 s29, s29, exec_lo
	s_wait_loadcnt 0x0
	v_cmp_le_i16_e32 vcc_lo, v10, v11
	v_cmp_lt_i16_e64 s7, v10, v11
	s_and_b32 s33, vcc_lo, s31
	s_delay_alu instid0(SALU_CYCLE_1) | instskip(NEXT) | instid1(SALU_CYCLE_1)
	s_or_b32 s7, s7, s33
	s_and_b32 s33, s7, exec_lo
	s_delay_alu instid0(SALU_CYCLE_1)
	s_or_b32 s30, s30, s33
	s_mov_b32 s33, exec_lo
	v_cmpx_eq_u16_e64 v10, v11
	s_cbranch_execz .LBB627_1406
; %bb.1408:                             ;   in Loop: Header=BB627_1407 Depth=2
	s_add_nc_u64 s[10:11], s[10:11], -1
	v_add_nc_u64_e32 v[4:5], 2, v[4:5]
	s_cmp_eq_u64 s[10:11], 0
	v_add_nc_u64_e32 v[6:7], 2, v[6:7]
	s_cselect_b32 s31, -1, 0
	s_and_not1_b32 s29, s29, exec_lo
	s_and_b32 s31, s31, exec_lo
	s_and_not1_b32 s30, s30, exec_lo
	s_or_b32 s29, s29, s31
                                        ; implicit-def: $sgpr31
	s_branch .LBB627_1406
.LBB627_1409:                           ;   in Loop: Header=BB627_1378 Depth=1
	s_or_b32 exec_lo, exec_lo, s27
	s_xor_b32 s7, s28, -1
	s_branch .LBB627_1411
.LBB627_1410:                           ;   in Loop: Header=BB627_1378 Depth=1
	s_mov_b32 s7, -1
.LBB627_1411:                           ;   in Loop: Header=BB627_1378 Depth=1
	s_delay_alu instid0(SALU_CYCLE_1)
	s_and_b32 s7, s7, exec_lo
.LBB627_1412:                           ;   in Loop: Header=BB627_1378 Depth=1
	s_or_b32 exec_lo, exec_lo, s15
	s_delay_alu instid0(SALU_CYCLE_1)
	s_or_not1_b32 s15, s7, exec_lo
.LBB627_1413:                           ;   in Loop: Header=BB627_1378 Depth=1
	s_or_b32 exec_lo, exec_lo, s23
	v_cndmask_b32_e64 v4, v8, v9, s15
	v_cndmask_b32_e64 v5, v26, v25, s15
	s_mov_b32 s23, exec_lo
	s_delay_alu instid0(VALU_DEP_2) | instskip(NEXT) | instid1(VALU_DEP_1)
	v_add_nc_u32_e32 v6, 1, v4
	v_add_min_u32_e64 v4, v5, -1, v6
	v_dual_cndmask_b32 v8, v6, v8, s15 :: v_dual_cndmask_b32 v9, v9, v6, s15
	s_delay_alu instid0(VALU_DEP_2)
	v_lshlrev_b32_e32 v4, 3, v4
	ds_load_b64 v[4:5], v4
	s_wait_dscnt 0x0
	v_dual_cndmask_b32 v17, v5, v14, s15 :: v_dual_cndmask_b32 v23, v4, v15, s15
	v_dual_cndmask_b32 v27, v16, v5, s15 :: v_dual_cndmask_b32 v28, v22, v4, s15
	v_cmpx_lt_u32_e64 v8, v26
	s_cbranch_execz .LBB627_1424
; %bb.1414:                             ;   in Loop: Header=BB627_1378 Depth=1
	s_mov_b32 s7, 0
	s_mov_b32 s22, exec_lo
	v_cmpx_lt_u32_e64 v9, v25
	s_cbranch_execz .LBB627_1423
; %bb.1415:                             ;   in Loop: Header=BB627_1378 Depth=1
	s_and_not1_b32 vcc_lo, exec_lo, s26
	s_cbranch_vccnz .LBB627_1421
; %bb.1416:                             ;   in Loop: Header=BB627_1378 Depth=1
	v_mad_nc_u64_u32 v[4:5], s8, v23, s[18:19]
	v_mad_nc_u64_u32 v[6:7], s8, v28, s[18:19]
	s_mov_b32 s27, 0
	s_mov_b64 s[10:11], s[16:17]
                                        ; implicit-def: $sgpr28
                                        ; implicit-def: $sgpr29
                                        ; implicit-def: $sgpr30
                                        ; implicit-def: $sgpr31
	s_delay_alu instid0(VALU_DEP_2) | instskip(NEXT) | instid1(VALU_DEP_2)
	v_mad_u32 v5, s9, v23, v5
	v_mad_u32 v7, s9, v28, v7
	s_delay_alu instid0(VALU_DEP_2) | instskip(NEXT) | instid1(VALU_DEP_2)
	v_mad_u32 v5, s8, v17, v5
	v_mad_u32 v7, s8, v27, v7
	s_branch .LBB627_1418
.LBB627_1417:                           ;   in Loop: Header=BB627_1418 Depth=2
	s_or_b32 exec_lo, exec_lo, s33
	s_delay_alu instid0(SALU_CYCLE_1) | instskip(NEXT) | instid1(SALU_CYCLE_1)
	s_and_b32 s33, exec_lo, s29
	s_or_b32 s27, s33, s27
	s_and_not1_b32 s31, s31, exec_lo
	s_and_b32 s7, s7, exec_lo
	s_and_not1_b32 s28, s28, exec_lo
	s_and_b32 s33, s30, exec_lo
	s_or_b32 s31, s31, s7
	s_or_b32 s28, s28, s33
	s_and_not1_b32 exec_lo, exec_lo, s27
	s_cbranch_execz .LBB627_1420
.LBB627_1418:                           ;   Parent Loop BB627_1378 Depth=1
                                        ; =>  This Inner Loop Header: Depth=2
	global_load_u16 v10, v[4:5], off
	global_load_u16 v11, v[6:7], off
	s_and_not1_b32 s30, s30, exec_lo
	s_or_b32 s29, s29, exec_lo
	s_wait_loadcnt 0x0
	v_cmp_le_i16_e32 vcc_lo, v10, v11
	v_cmp_lt_i16_e64 s7, v10, v11
	s_and_b32 s33, vcc_lo, s31
	s_delay_alu instid0(SALU_CYCLE_1) | instskip(NEXT) | instid1(SALU_CYCLE_1)
	s_or_b32 s7, s7, s33
	s_and_b32 s33, s7, exec_lo
	s_delay_alu instid0(SALU_CYCLE_1)
	s_or_b32 s30, s30, s33
	s_mov_b32 s33, exec_lo
	v_cmpx_eq_u16_e64 v10, v11
	s_cbranch_execz .LBB627_1417
; %bb.1419:                             ;   in Loop: Header=BB627_1418 Depth=2
	s_add_nc_u64 s[10:11], s[10:11], -1
	v_add_nc_u64_e32 v[4:5], 2, v[4:5]
	s_cmp_eq_u64 s[10:11], 0
	v_add_nc_u64_e32 v[6:7], 2, v[6:7]
	s_cselect_b32 s31, -1, 0
	s_and_not1_b32 s29, s29, exec_lo
	s_and_b32 s31, s31, exec_lo
	s_and_not1_b32 s30, s30, exec_lo
	s_or_b32 s29, s29, s31
                                        ; implicit-def: $sgpr31
	s_branch .LBB627_1417
.LBB627_1420:                           ;   in Loop: Header=BB627_1378 Depth=1
	s_or_b32 exec_lo, exec_lo, s27
	s_xor_b32 s7, s28, -1
	s_branch .LBB627_1422
.LBB627_1421:                           ;   in Loop: Header=BB627_1378 Depth=1
	s_mov_b32 s7, -1
.LBB627_1422:                           ;   in Loop: Header=BB627_1378 Depth=1
	s_delay_alu instid0(SALU_CYCLE_1)
	s_and_b32 s7, s7, exec_lo
.LBB627_1423:                           ;   in Loop: Header=BB627_1378 Depth=1
	s_or_b32 exec_lo, exec_lo, s22
	s_delay_alu instid0(SALU_CYCLE_1)
	s_or_not1_b32 s22, s7, exec_lo
.LBB627_1424:                           ;   in Loop: Header=BB627_1378 Depth=1
	s_or_b32 exec_lo, exec_lo, s23
	v_cndmask_b32_e64 v4, v8, v9, s22
	v_cndmask_b32_e64 v5, v26, v25, s22
	s_mov_b32 s27, -1
	s_mov_b32 s23, -1
	s_mov_b32 s28, exec_lo
	v_add_nc_u32_e32 v6, 1, v4
	s_delay_alu instid0(VALU_DEP_1) | instskip(SKIP_1) | instid1(VALU_DEP_2)
	v_add_min_u32_e64 v4, v5, -1, v6
	v_dual_cndmask_b32 v8, v6, v8, s22 :: v_dual_cndmask_b32 v9, v9, v6, s22
	v_lshlrev_b32_e32 v4, 3, v4
	ds_load_b64 v[4:5], v4
	s_wait_dscnt 0x0
	v_dual_cndmask_b32 v12, v5, v17, s22 :: v_dual_cndmask_b32 v29, v4, v23, s22
	v_dual_cndmask_b32 v13, v27, v5, s22 :: v_dual_cndmask_b32 v30, v28, v4, s22
	v_cmpx_lt_u32_e64 v8, v26
	s_cbranch_execz .LBB627_1435
; %bb.1425:                             ;   in Loop: Header=BB627_1378 Depth=1
	s_mov_b32 s7, 0
	s_mov_b32 s23, exec_lo
	v_cmpx_lt_u32_e64 v9, v25
	s_cbranch_execz .LBB627_1434
; %bb.1426:                             ;   in Loop: Header=BB627_1378 Depth=1
	s_and_not1_b32 vcc_lo, exec_lo, s26
	s_cbranch_vccnz .LBB627_1432
; %bb.1427:                             ;   in Loop: Header=BB627_1378 Depth=1
	v_mad_nc_u64_u32 v[4:5], s8, v29, s[18:19]
	v_mad_nc_u64_u32 v[6:7], s8, v30, s[18:19]
	s_mov_b32 s29, 0
	s_mov_b64 s[10:11], s[16:17]
                                        ; implicit-def: $sgpr30
                                        ; implicit-def: $sgpr31
                                        ; implicit-def: $sgpr33
                                        ; implicit-def: $sgpr34
	s_delay_alu instid0(VALU_DEP_2) | instskip(NEXT) | instid1(VALU_DEP_2)
	v_mad_u32 v5, s9, v29, v5
	v_mad_u32 v7, s9, v30, v7
	s_delay_alu instid0(VALU_DEP_2) | instskip(NEXT) | instid1(VALU_DEP_2)
	v_mad_u32 v5, s8, v12, v5
	v_mad_u32 v7, s8, v13, v7
	s_branch .LBB627_1429
.LBB627_1428:                           ;   in Loop: Header=BB627_1429 Depth=2
	s_or_b32 exec_lo, exec_lo, s35
	s_delay_alu instid0(SALU_CYCLE_1) | instskip(NEXT) | instid1(SALU_CYCLE_1)
	s_and_b32 s35, exec_lo, s31
	s_or_b32 s29, s35, s29
	s_and_not1_b32 s34, s34, exec_lo
	s_and_b32 s7, s7, exec_lo
	s_and_not1_b32 s30, s30, exec_lo
	s_and_b32 s35, s33, exec_lo
	s_or_b32 s34, s34, s7
	s_or_b32 s30, s30, s35
	s_and_not1_b32 exec_lo, exec_lo, s29
	s_cbranch_execz .LBB627_1431
.LBB627_1429:                           ;   Parent Loop BB627_1378 Depth=1
                                        ; =>  This Inner Loop Header: Depth=2
	global_load_u16 v10, v[4:5], off
	global_load_u16 v11, v[6:7], off
	s_and_not1_b32 s33, s33, exec_lo
	s_or_b32 s31, s31, exec_lo
	s_wait_loadcnt 0x0
	v_cmp_le_i16_e32 vcc_lo, v10, v11
	v_cmp_lt_i16_e64 s7, v10, v11
	s_and_b32 s35, vcc_lo, s34
	s_delay_alu instid0(SALU_CYCLE_1) | instskip(NEXT) | instid1(SALU_CYCLE_1)
	s_or_b32 s7, s7, s35
	s_and_b32 s35, s7, exec_lo
	s_delay_alu instid0(SALU_CYCLE_1)
	s_or_b32 s33, s33, s35
	s_mov_b32 s35, exec_lo
	v_cmpx_eq_u16_e64 v10, v11
	s_cbranch_execz .LBB627_1428
; %bb.1430:                             ;   in Loop: Header=BB627_1429 Depth=2
	s_add_nc_u64 s[10:11], s[10:11], -1
	v_add_nc_u64_e32 v[4:5], 2, v[4:5]
	s_cmp_eq_u64 s[10:11], 0
	v_add_nc_u64_e32 v[6:7], 2, v[6:7]
	s_cselect_b32 s34, -1, 0
	s_and_not1_b32 s31, s31, exec_lo
	s_and_b32 s34, s34, exec_lo
	s_and_not1_b32 s33, s33, exec_lo
	s_or_b32 s31, s31, s34
                                        ; implicit-def: $sgpr34
	s_branch .LBB627_1428
.LBB627_1431:                           ;   in Loop: Header=BB627_1378 Depth=1
	s_or_b32 exec_lo, exec_lo, s29
	s_xor_b32 s7, s30, -1
	s_branch .LBB627_1433
.LBB627_1432:                           ;   in Loop: Header=BB627_1378 Depth=1
	s_mov_b32 s7, -1
.LBB627_1433:                           ;   in Loop: Header=BB627_1378 Depth=1
	s_delay_alu instid0(SALU_CYCLE_1)
	s_and_b32 s7, s7, exec_lo
.LBB627_1434:                           ;   in Loop: Header=BB627_1378 Depth=1
	s_or_b32 exec_lo, exec_lo, s23
	s_delay_alu instid0(SALU_CYCLE_1)
	s_or_not1_b32 s23, s7, exec_lo
.LBB627_1435:                           ;   in Loop: Header=BB627_1378 Depth=1
	s_or_b32 exec_lo, exec_lo, s28
	v_cndmask_b32_e64 v4, v8, v9, s23
	v_cndmask_b32_e64 v5, v26, v25, s23
	s_mov_b32 s28, exec_lo
	s_delay_alu instid0(VALU_DEP_2) | instskip(NEXT) | instid1(VALU_DEP_1)
	v_add_nc_u32_e32 v6, 1, v4
	v_add_min_u32_e64 v4, v5, -1, v6
	v_dual_cndmask_b32 v8, v6, v8, s23 :: v_dual_cndmask_b32 v9, v9, v6, s23
	s_delay_alu instid0(VALU_DEP_2)
	v_lshlrev_b32_e32 v4, 3, v4
	ds_load_b64 v[4:5], v4
	s_wait_dscnt 0x0
	v_dual_cndmask_b32 v31, v5, v12, s23 :: v_dual_cndmask_b32 v32, v4, v29, s23
	v_dual_cndmask_b32 v33, v13, v5, s23 :: v_dual_cndmask_b32 v34, v30, v4, s23
	v_cmpx_lt_u32_e64 v8, v26
	s_cbranch_execz .LBB627_1446
; %bb.1436:                             ;   in Loop: Header=BB627_1378 Depth=1
	s_mov_b32 s7, 0
	s_mov_b32 s27, exec_lo
	v_cmpx_lt_u32_e64 v9, v25
	s_cbranch_execz .LBB627_1445
; %bb.1437:                             ;   in Loop: Header=BB627_1378 Depth=1
	s_and_not1_b32 vcc_lo, exec_lo, s26
	s_cbranch_vccnz .LBB627_1443
; %bb.1438:                             ;   in Loop: Header=BB627_1378 Depth=1
	v_mad_nc_u64_u32 v[4:5], s8, v32, s[18:19]
	v_mad_nc_u64_u32 v[6:7], s8, v34, s[18:19]
	s_mov_b32 s29, 0
	s_mov_b64 s[10:11], s[16:17]
                                        ; implicit-def: $sgpr30
                                        ; implicit-def: $sgpr31
                                        ; implicit-def: $sgpr33
                                        ; implicit-def: $sgpr34
	s_delay_alu instid0(VALU_DEP_2) | instskip(NEXT) | instid1(VALU_DEP_2)
	v_mad_u32 v5, s9, v32, v5
	v_mad_u32 v7, s9, v34, v7
	s_delay_alu instid0(VALU_DEP_2) | instskip(NEXT) | instid1(VALU_DEP_2)
	v_mad_u32 v5, s8, v31, v5
	v_mad_u32 v7, s8, v33, v7
	s_branch .LBB627_1440
.LBB627_1439:                           ;   in Loop: Header=BB627_1440 Depth=2
	s_or_b32 exec_lo, exec_lo, s35
	s_delay_alu instid0(SALU_CYCLE_1) | instskip(NEXT) | instid1(SALU_CYCLE_1)
	s_and_b32 s35, exec_lo, s31
	s_or_b32 s29, s35, s29
	s_and_not1_b32 s34, s34, exec_lo
	s_and_b32 s7, s7, exec_lo
	s_and_not1_b32 s30, s30, exec_lo
	s_and_b32 s35, s33, exec_lo
	s_or_b32 s34, s34, s7
	s_or_b32 s30, s30, s35
	s_and_not1_b32 exec_lo, exec_lo, s29
	s_cbranch_execz .LBB627_1442
.LBB627_1440:                           ;   Parent Loop BB627_1378 Depth=1
                                        ; =>  This Inner Loop Header: Depth=2
	global_load_u16 v10, v[4:5], off
	global_load_u16 v11, v[6:7], off
	s_and_not1_b32 s33, s33, exec_lo
	s_or_b32 s31, s31, exec_lo
	s_wait_loadcnt 0x0
	v_cmp_le_i16_e32 vcc_lo, v10, v11
	v_cmp_lt_i16_e64 s7, v10, v11
	s_and_b32 s35, vcc_lo, s34
	s_delay_alu instid0(SALU_CYCLE_1) | instskip(NEXT) | instid1(SALU_CYCLE_1)
	s_or_b32 s7, s7, s35
	s_and_b32 s35, s7, exec_lo
	s_delay_alu instid0(SALU_CYCLE_1)
	s_or_b32 s33, s33, s35
	s_mov_b32 s35, exec_lo
	v_cmpx_eq_u16_e64 v10, v11
	s_cbranch_execz .LBB627_1439
; %bb.1441:                             ;   in Loop: Header=BB627_1440 Depth=2
	s_add_nc_u64 s[10:11], s[10:11], -1
	v_add_nc_u64_e32 v[4:5], 2, v[4:5]
	s_cmp_eq_u64 s[10:11], 0
	v_add_nc_u64_e32 v[6:7], 2, v[6:7]
	s_cselect_b32 s34, -1, 0
	s_and_not1_b32 s31, s31, exec_lo
	s_and_b32 s34, s34, exec_lo
	s_and_not1_b32 s33, s33, exec_lo
	s_or_b32 s31, s31, s34
                                        ; implicit-def: $sgpr34
	s_branch .LBB627_1439
.LBB627_1442:                           ;   in Loop: Header=BB627_1378 Depth=1
	s_or_b32 exec_lo, exec_lo, s29
	s_xor_b32 s7, s30, -1
	s_branch .LBB627_1444
.LBB627_1443:                           ;   in Loop: Header=BB627_1378 Depth=1
	s_mov_b32 s7, -1
.LBB627_1444:                           ;   in Loop: Header=BB627_1378 Depth=1
	s_delay_alu instid0(SALU_CYCLE_1)
	s_and_b32 s7, s7, exec_lo
.LBB627_1445:                           ;   in Loop: Header=BB627_1378 Depth=1
	s_or_b32 exec_lo, exec_lo, s27
	s_delay_alu instid0(SALU_CYCLE_1)
	s_or_not1_b32 s27, s7, exec_lo
.LBB627_1446:                           ;   in Loop: Header=BB627_1378 Depth=1
	s_or_b32 exec_lo, exec_lo, s28
	v_cndmask_b32_e64 v4, v8, v9, s27
	v_cndmask_b32_e64 v5, v26, v25, s27
	s_mov_b32 s28, -1
	s_mov_b32 s29, -1
	s_mov_b32 s30, exec_lo
	v_add_nc_u32_e32 v6, 1, v4
	s_delay_alu instid0(VALU_DEP_1) | instskip(SKIP_1) | instid1(VALU_DEP_2)
	v_add_min_u32_e64 v4, v5, -1, v6
	v_dual_cndmask_b32 v8, v6, v8, s27 :: v_dual_cndmask_b32 v9, v9, v6, s27
	v_lshlrev_b32_e32 v4, 3, v4
	ds_load_b64 v[4:5], v4
	s_wait_dscnt 0x0
	v_dual_cndmask_b32 v35, v5, v31, s27 :: v_dual_cndmask_b32 v43, v4, v32, s27
	v_dual_cndmask_b32 v44, v33, v5, s27 :: v_dual_cndmask_b32 v45, v34, v4, s27
	v_cmpx_lt_u32_e64 v8, v26
	s_cbranch_execz .LBB627_1457
; %bb.1447:                             ;   in Loop: Header=BB627_1378 Depth=1
	s_mov_b32 s7, 0
	s_mov_b32 s29, exec_lo
	v_cmpx_lt_u32_e64 v9, v25
	s_cbranch_execz .LBB627_1456
; %bb.1448:                             ;   in Loop: Header=BB627_1378 Depth=1
	s_and_not1_b32 vcc_lo, exec_lo, s26
	s_cbranch_vccnz .LBB627_1454
; %bb.1449:                             ;   in Loop: Header=BB627_1378 Depth=1
	v_mad_nc_u64_u32 v[4:5], s8, v43, s[18:19]
	v_mad_nc_u64_u32 v[6:7], s8, v45, s[18:19]
	s_mov_b32 s31, 0
	s_mov_b64 s[10:11], s[16:17]
                                        ; implicit-def: $sgpr33
                                        ; implicit-def: $sgpr34
                                        ; implicit-def: $sgpr35
                                        ; implicit-def: $sgpr36
	s_delay_alu instid0(VALU_DEP_2) | instskip(NEXT) | instid1(VALU_DEP_2)
	v_mad_u32 v5, s9, v43, v5
	v_mad_u32 v7, s9, v45, v7
	s_delay_alu instid0(VALU_DEP_2) | instskip(NEXT) | instid1(VALU_DEP_2)
	v_mad_u32 v5, s8, v35, v5
	v_mad_u32 v7, s8, v44, v7
	s_branch .LBB627_1451
.LBB627_1450:                           ;   in Loop: Header=BB627_1451 Depth=2
	s_or_b32 exec_lo, exec_lo, s37
	s_delay_alu instid0(SALU_CYCLE_1) | instskip(NEXT) | instid1(SALU_CYCLE_1)
	s_and_b32 s37, exec_lo, s34
	s_or_b32 s31, s37, s31
	s_and_not1_b32 s36, s36, exec_lo
	s_and_b32 s7, s7, exec_lo
	s_and_not1_b32 s33, s33, exec_lo
	s_and_b32 s37, s35, exec_lo
	s_or_b32 s36, s36, s7
	s_or_b32 s33, s33, s37
	s_and_not1_b32 exec_lo, exec_lo, s31
	s_cbranch_execz .LBB627_1453
.LBB627_1451:                           ;   Parent Loop BB627_1378 Depth=1
                                        ; =>  This Inner Loop Header: Depth=2
	global_load_u16 v10, v[4:5], off
	global_load_u16 v11, v[6:7], off
	s_and_not1_b32 s35, s35, exec_lo
	s_or_b32 s34, s34, exec_lo
	s_wait_loadcnt 0x0
	v_cmp_le_i16_e32 vcc_lo, v10, v11
	v_cmp_lt_i16_e64 s7, v10, v11
	s_and_b32 s37, vcc_lo, s36
	s_delay_alu instid0(SALU_CYCLE_1) | instskip(NEXT) | instid1(SALU_CYCLE_1)
	s_or_b32 s7, s7, s37
	s_and_b32 s37, s7, exec_lo
	s_delay_alu instid0(SALU_CYCLE_1)
	s_or_b32 s35, s35, s37
	s_mov_b32 s37, exec_lo
	v_cmpx_eq_u16_e64 v10, v11
	s_cbranch_execz .LBB627_1450
; %bb.1452:                             ;   in Loop: Header=BB627_1451 Depth=2
	s_add_nc_u64 s[10:11], s[10:11], -1
	v_add_nc_u64_e32 v[4:5], 2, v[4:5]
	s_cmp_eq_u64 s[10:11], 0
	v_add_nc_u64_e32 v[6:7], 2, v[6:7]
	s_cselect_b32 s36, -1, 0
	s_and_not1_b32 s34, s34, exec_lo
	s_and_b32 s36, s36, exec_lo
	s_and_not1_b32 s35, s35, exec_lo
	s_or_b32 s34, s34, s36
                                        ; implicit-def: $sgpr36
	s_branch .LBB627_1450
.LBB627_1453:                           ;   in Loop: Header=BB627_1378 Depth=1
	s_or_b32 exec_lo, exec_lo, s31
	s_xor_b32 s7, s33, -1
	s_branch .LBB627_1455
.LBB627_1454:                           ;   in Loop: Header=BB627_1378 Depth=1
	s_mov_b32 s7, -1
.LBB627_1455:                           ;   in Loop: Header=BB627_1378 Depth=1
	s_delay_alu instid0(SALU_CYCLE_1)
	s_and_b32 s7, s7, exec_lo
.LBB627_1456:                           ;   in Loop: Header=BB627_1378 Depth=1
	s_or_b32 exec_lo, exec_lo, s29
	s_delay_alu instid0(SALU_CYCLE_1)
	s_or_not1_b32 s29, s7, exec_lo
.LBB627_1457:                           ;   in Loop: Header=BB627_1378 Depth=1
	s_or_b32 exec_lo, exec_lo, s30
	v_cndmask_b32_e64 v4, v8, v9, s29
	v_cndmask_b32_e64 v5, v26, v25, s29
	s_mov_b32 s30, exec_lo
	s_delay_alu instid0(VALU_DEP_2) | instskip(NEXT) | instid1(VALU_DEP_1)
	v_add_nc_u32_e32 v6, 1, v4
	v_add_min_u32_e64 v4, v5, -1, v6
	v_dual_cndmask_b32 v10, v6, v8, s29 :: v_dual_cndmask_b32 v8, v9, v6, s29
	s_delay_alu instid0(VALU_DEP_2)
	v_lshlrev_b32_e32 v4, 3, v4
	ds_load_b64 v[4:5], v4
	s_wait_dscnt 0x0
	v_dual_cndmask_b32 v46, v5, v35, s29 :: v_dual_cndmask_b32 v48, v44, v5, s29
	v_dual_cndmask_b32 v47, v4, v43, s29 :: v_dual_cndmask_b32 v49, v45, v4, s29
	v_cmpx_lt_u32_e64 v10, v26
	s_cbranch_execz .LBB627_1468
; %bb.1458:                             ;   in Loop: Header=BB627_1378 Depth=1
	s_mov_b32 s7, 0
	s_mov_b32 s28, exec_lo
	v_cmpx_lt_u32_e64 v8, v25
	s_cbranch_execz .LBB627_1467
; %bb.1459:                             ;   in Loop: Header=BB627_1378 Depth=1
	s_and_not1_b32 vcc_lo, exec_lo, s26
	s_cbranch_vccnz .LBB627_1465
; %bb.1460:                             ;   in Loop: Header=BB627_1378 Depth=1
	v_mad_nc_u64_u32 v[4:5], s8, v47, s[18:19]
	v_mad_nc_u64_u32 v[6:7], s8, v49, s[18:19]
	s_mov_b32 s31, 0
	s_mov_b64 s[10:11], s[16:17]
                                        ; implicit-def: $sgpr33
                                        ; implicit-def: $sgpr34
                                        ; implicit-def: $sgpr35
                                        ; implicit-def: $sgpr36
	s_delay_alu instid0(VALU_DEP_2) | instskip(NEXT) | instid1(VALU_DEP_2)
	v_mad_u32 v5, s9, v47, v5
	v_mad_u32 v7, s9, v49, v7
	s_delay_alu instid0(VALU_DEP_2) | instskip(NEXT) | instid1(VALU_DEP_2)
	v_mad_u32 v5, s8, v46, v5
	v_mad_u32 v7, s8, v48, v7
	s_branch .LBB627_1462
.LBB627_1461:                           ;   in Loop: Header=BB627_1462 Depth=2
	s_or_b32 exec_lo, exec_lo, s37
	s_delay_alu instid0(SALU_CYCLE_1) | instskip(NEXT) | instid1(SALU_CYCLE_1)
	s_and_b32 s37, exec_lo, s34
	s_or_b32 s31, s37, s31
	s_and_not1_b32 s36, s36, exec_lo
	s_and_b32 s7, s7, exec_lo
	s_and_not1_b32 s33, s33, exec_lo
	s_and_b32 s37, s35, exec_lo
	s_or_b32 s36, s36, s7
	s_or_b32 s33, s33, s37
	s_and_not1_b32 exec_lo, exec_lo, s31
	s_cbranch_execz .LBB627_1464
.LBB627_1462:                           ;   Parent Loop BB627_1378 Depth=1
                                        ; =>  This Inner Loop Header: Depth=2
	global_load_u16 v9, v[4:5], off
	global_load_u16 v11, v[6:7], off
	s_and_not1_b32 s35, s35, exec_lo
	s_or_b32 s34, s34, exec_lo
	s_wait_loadcnt 0x0
	v_cmp_le_i16_e32 vcc_lo, v9, v11
	v_cmp_lt_i16_e64 s7, v9, v11
	s_and_b32 s37, vcc_lo, s36
	s_delay_alu instid0(SALU_CYCLE_1) | instskip(NEXT) | instid1(SALU_CYCLE_1)
	s_or_b32 s7, s7, s37
	s_and_b32 s37, s7, exec_lo
	s_delay_alu instid0(SALU_CYCLE_1)
	s_or_b32 s35, s35, s37
	s_mov_b32 s37, exec_lo
	v_cmpx_eq_u16_e64 v9, v11
	s_cbranch_execz .LBB627_1461
; %bb.1463:                             ;   in Loop: Header=BB627_1462 Depth=2
	s_add_nc_u64 s[10:11], s[10:11], -1
	v_add_nc_u64_e32 v[4:5], 2, v[4:5]
	s_cmp_eq_u64 s[10:11], 0
	v_add_nc_u64_e32 v[6:7], 2, v[6:7]
	s_cselect_b32 s36, -1, 0
	s_and_not1_b32 s34, s34, exec_lo
	s_and_b32 s36, s36, exec_lo
	s_and_not1_b32 s35, s35, exec_lo
	s_or_b32 s34, s34, s36
                                        ; implicit-def: $sgpr36
	s_branch .LBB627_1461
.LBB627_1464:                           ;   in Loop: Header=BB627_1378 Depth=1
	s_or_b32 exec_lo, exec_lo, s31
	s_xor_b32 s7, s33, -1
	s_branch .LBB627_1466
.LBB627_1465:                           ;   in Loop: Header=BB627_1378 Depth=1
	s_mov_b32 s7, -1
.LBB627_1466:                           ;   in Loop: Header=BB627_1378 Depth=1
	s_delay_alu instid0(SALU_CYCLE_1)
	s_and_b32 s7, s7, exec_lo
.LBB627_1467:                           ;   in Loop: Header=BB627_1378 Depth=1
	s_or_b32 exec_lo, exec_lo, s28
	s_delay_alu instid0(SALU_CYCLE_1)
	s_or_not1_b32 s28, s7, exec_lo
.LBB627_1468:                           ;   in Loop: Header=BB627_1378 Depth=1
	s_or_b32 exec_lo, exec_lo, s30
	v_cndmask_b32_e64 v4, v10, v8, s28
	v_cndmask_b32_e64 v5, v26, v25, s28
	s_mov_b32 s30, exec_lo
	s_delay_alu instid0(VALU_DEP_2) | instskip(NEXT) | instid1(VALU_DEP_1)
	v_add_nc_u32_e32 v9, 1, v4
	v_add_min_u32_e64 v4, v5, -1, v9
	s_delay_alu instid0(VALU_DEP_1)
	v_dual_cndmask_b32 v10, v9, v10, s28 :: v_dual_lshlrev_b32 v4, 3, v4
	ds_load_b64 v[6:7], v4
	s_wait_dscnt 0x0
	v_dual_cndmask_b32 v5, v48, v7, s28 :: v_dual_cndmask_b32 v4, v49, v6, s28
	v_cmpx_lt_u32_e64 v10, v26
	s_cbranch_execz .LBB627_1376
; %bb.1469:                             ;   in Loop: Header=BB627_1378 Depth=1
	v_dual_cndmask_b32 v8, v8, v9, s28 :: v_dual_cndmask_b32 v7, v7, v46, s28
	v_cndmask_b32_e64 v6, v6, v47, s28
	s_mov_b32 s31, exec_lo
	s_delay_alu instid0(VALU_DEP_2)
	v_cmpx_lt_u32_e64 v8, v25
	s_cbranch_execz .LBB627_1375
; %bb.1470:                             ;   in Loop: Header=BB627_1378 Depth=1
	s_and_not1_b32 vcc_lo, exec_lo, s26
	s_cbranch_vccnz .LBB627_1374
; %bb.1471:                             ;   in Loop: Header=BB627_1378 Depth=1
	v_mad_nc_u64_u32 v[8:9], s8, v6, s[18:19]
	v_mad_nc_u64_u32 v[10:11], s8, v4, s[18:19]
	s_mov_b32 s33, 0
	s_mov_b64 s[10:11], s[16:17]
                                        ; implicit-def: $sgpr34
                                        ; implicit-def: $sgpr35
                                        ; implicit-def: $sgpr36
                                        ; implicit-def: $sgpr37
	s_delay_alu instid0(VALU_DEP_2) | instskip(NEXT) | instid1(VALU_DEP_2)
	v_mad_u32 v9, s9, v6, v9
	v_mad_u32 v11, s9, v4, v11
	s_delay_alu instid0(VALU_DEP_2) | instskip(NEXT) | instid1(VALU_DEP_2)
	v_mad_u32 v9, s8, v7, v9
	v_mad_u32 v11, s8, v5, v11
	s_branch .LBB627_1473
.LBB627_1472:                           ;   in Loop: Header=BB627_1473 Depth=2
	s_or_b32 exec_lo, exec_lo, s38
	s_delay_alu instid0(SALU_CYCLE_1) | instskip(NEXT) | instid1(SALU_CYCLE_1)
	s_and_b32 s38, exec_lo, s35
	s_or_b32 s33, s38, s33
	s_and_not1_b32 s37, s37, exec_lo
	s_and_b32 s7, s7, exec_lo
	s_and_not1_b32 s34, s34, exec_lo
	s_and_b32 s38, s36, exec_lo
	s_or_b32 s37, s37, s7
	s_or_b32 s34, s34, s38
	s_and_not1_b32 exec_lo, exec_lo, s33
	s_cbranch_execz .LBB627_1373
.LBB627_1473:                           ;   Parent Loop BB627_1378 Depth=1
                                        ; =>  This Inner Loop Header: Depth=2
	global_load_u16 v25, v[8:9], off
	global_load_u16 v26, v[10:11], off
	s_and_not1_b32 s36, s36, exec_lo
	s_or_b32 s35, s35, exec_lo
	s_wait_loadcnt 0x0
	v_cmp_le_i16_e32 vcc_lo, v25, v26
	v_cmp_lt_i16_e64 s7, v25, v26
	s_and_b32 s38, vcc_lo, s37
	s_delay_alu instid0(SALU_CYCLE_1) | instskip(NEXT) | instid1(SALU_CYCLE_1)
	s_or_b32 s7, s7, s38
	s_and_b32 s38, s7, exec_lo
	s_delay_alu instid0(SALU_CYCLE_1)
	s_or_b32 s36, s36, s38
	s_mov_b32 s38, exec_lo
	v_cmpx_eq_u16_e64 v25, v26
	s_cbranch_execz .LBB627_1472
; %bb.1474:                             ;   in Loop: Header=BB627_1473 Depth=2
	s_add_nc_u64 s[10:11], s[10:11], -1
	v_add_nc_u64_e32 v[8:9], 2, v[8:9]
	s_cmp_eq_u64 s[10:11], 0
	v_add_nc_u64_e32 v[10:11], 2, v[10:11]
	s_cselect_b32 s37, -1, 0
	s_and_not1_b32 s35, s35, exec_lo
	s_and_b32 s37, s37, exec_lo
	s_and_not1_b32 s36, s36, exec_lo
	s_or_b32 s35, s35, s37
                                        ; implicit-def: $sgpr37
	s_branch .LBB627_1472
.LBB627_1475:
	s_barrier_signal -1
	s_barrier_wait -1
	ds_store_2addr_b64 v42, v[14:15], v[16:17] offset1:1
	ds_store_2addr_b64 v42, v[10:11], v[12:13] offset0:2 offset1:3
	ds_store_2addr_b64 v42, v[6:7], v[8:9] offset0:4 offset1:5
	;; [unrolled: 1-line block ×3, first 2 shown]
	s_wait_dscnt 0x0
	s_barrier_signal -1
	s_barrier_wait -1
	ds_load_b64 v[14:15], v21 offset:2048
	ds_load_b64 v[12:13], v36 offset:4096
	;; [unrolled: 1-line block ×7, first 2 shown]
	v_mov_b32_e32 v21, 0
	s_delay_alu instid0(VALU_DEP_1)
	v_add_nc_u64_e32 v[4:5], s[20:21], v[20:21]
	s_and_saveexec_b32 s7, s0
	s_cbranch_execnz .LBB627_1487
; %bb.1476:
	s_or_b32 exec_lo, exec_lo, s7
	s_and_saveexec_b32 s0, s1
	s_cbranch_execnz .LBB627_1488
.LBB627_1477:
	s_or_b32 exec_lo, exec_lo, s0
	s_and_saveexec_b32 s0, s2
	s_cbranch_execnz .LBB627_1489
.LBB627_1478:
	s_or_b32 exec_lo, exec_lo, s0
	s_and_saveexec_b32 s0, s3
	s_cbranch_execnz .LBB627_1490
.LBB627_1479:
	s_or_b32 exec_lo, exec_lo, s0
	s_and_saveexec_b32 s0, s4
	s_cbranch_execnz .LBB627_1491
.LBB627_1480:
	s_or_b32 exec_lo, exec_lo, s0
	s_and_saveexec_b32 s0, s5
	s_cbranch_execnz .LBB627_1492
.LBB627_1481:
	s_or_b32 exec_lo, exec_lo, s0
	s_and_saveexec_b32 s0, s6
	s_cbranch_execz .LBB627_1483
.LBB627_1482:
	s_wait_dscnt 0x1
	global_store_b64 v[4:5], v[0:1], off offset:12288
.LBB627_1483:
	s_wait_xcnt 0x0
	s_or_b32 exec_lo, exec_lo, s0
	v_mov_b32_e32 v19, v21
.LBB627_1484:
	s_wait_xcnt 0x0
	s_and_saveexec_b32 s0, s24
	s_cbranch_execz .LBB627_1486
; %bb.1485:
	s_wait_dscnt 0x1
	v_lshl_add_u64 v[0:1], v[18:19], 3, s[20:21]
	s_wait_dscnt 0x0
	global_store_b64 v[0:1], v[2:3], off offset:14336
.LBB627_1486:
	s_endpgm
.LBB627_1487:
	ds_load_b64 v[16:17], v19
	s_wait_dscnt 0x0
	global_store_b64 v[4:5], v[16:17], off
	s_wait_xcnt 0x0
	s_or_b32 exec_lo, exec_lo, s7
	s_and_saveexec_b32 s0, s1
	s_cbranch_execz .LBB627_1477
.LBB627_1488:
	s_wait_dscnt 0x6
	global_store_b64 v[4:5], v[14:15], off offset:2048
	s_wait_xcnt 0x0
	s_or_b32 exec_lo, exec_lo, s0
	s_and_saveexec_b32 s0, s2
	s_cbranch_execz .LBB627_1478
.LBB627_1489:
	s_wait_dscnt 0x5
	global_store_b64 v[4:5], v[12:13], off offset:4096
	s_wait_xcnt 0x0
	s_or_b32 exec_lo, exec_lo, s0
	s_and_saveexec_b32 s0, s3
	s_cbranch_execz .LBB627_1479
.LBB627_1490:
	s_wait_dscnt 0x4
	global_store_b64 v[4:5], v[10:11], off offset:6144
	s_wait_xcnt 0x0
	s_or_b32 exec_lo, exec_lo, s0
	s_and_saveexec_b32 s0, s4
	s_cbranch_execz .LBB627_1480
.LBB627_1491:
	s_wait_dscnt 0x3
	global_store_b64 v[4:5], v[8:9], off offset:8192
	s_wait_xcnt 0x0
	s_or_b32 exec_lo, exec_lo, s0
	s_and_saveexec_b32 s0, s5
	s_cbranch_execz .LBB627_1481
.LBB627_1492:
	s_wait_dscnt 0x2
	global_store_b64 v[4:5], v[6:7], off offset:10240
	s_wait_xcnt 0x0
	s_or_b32 exec_lo, exec_lo, s0
	s_and_saveexec_b32 s0, s6
	s_cbranch_execnz .LBB627_1482
	s_branch .LBB627_1483
	.section	.rodata,"a",@progbits
	.p2align	6, 0x0
	.amdhsa_kernel _ZN7rocprim17ROCPRIM_400000_NS6detail17trampoline_kernelINS0_14default_configENS1_37merge_sort_block_sort_config_selectorIlNS0_10empty_typeEEEZNS1_21merge_sort_block_sortIS3_PlS8_PS5_S9_ZN2at6native12_GLOBAL__N_124unique_dim_cuda_templateIsEESt5tupleIJNSA_6TensorESF_SF_EERKSF_lbbbEUlllE_EE10hipError_tT0_T1_T2_T3_mRjT4_P12ihipStream_tbNS1_7vsmem_tEEUlT_E_NS1_11comp_targetILNS1_3genE0ELNS1_11target_archE4294967295ELNS1_3gpuE0ELNS1_3repE0EEENS1_30default_config_static_selectorELNS0_4arch9wavefront6targetE0EEEvSM_
		.amdhsa_group_segment_fixed_size 16896
		.amdhsa_private_segment_fixed_size 0
		.amdhsa_kernarg_size 328
		.amdhsa_user_sgpr_count 2
		.amdhsa_user_sgpr_dispatch_ptr 0
		.amdhsa_user_sgpr_queue_ptr 0
		.amdhsa_user_sgpr_kernarg_segment_ptr 1
		.amdhsa_user_sgpr_dispatch_id 0
		.amdhsa_user_sgpr_kernarg_preload_length 0
		.amdhsa_user_sgpr_kernarg_preload_offset 0
		.amdhsa_user_sgpr_private_segment_size 0
		.amdhsa_wavefront_size32 1
		.amdhsa_uses_dynamic_stack 0
		.amdhsa_enable_private_segment 0
		.amdhsa_system_sgpr_workgroup_id_x 1
		.amdhsa_system_sgpr_workgroup_id_y 1
		.amdhsa_system_sgpr_workgroup_id_z 1
		.amdhsa_system_sgpr_workgroup_info 0
		.amdhsa_system_vgpr_workitem_id 2
		.amdhsa_next_free_vgpr 56
		.amdhsa_next_free_sgpr 39
		.amdhsa_named_barrier_count 0
		.amdhsa_reserve_vcc 1
		.amdhsa_float_round_mode_32 0
		.amdhsa_float_round_mode_16_64 0
		.amdhsa_float_denorm_mode_32 3
		.amdhsa_float_denorm_mode_16_64 3
		.amdhsa_fp16_overflow 0
		.amdhsa_memory_ordered 1
		.amdhsa_forward_progress 1
		.amdhsa_inst_pref_size 255
		.amdhsa_round_robin_scheduling 0
		.amdhsa_exception_fp_ieee_invalid_op 0
		.amdhsa_exception_fp_denorm_src 0
		.amdhsa_exception_fp_ieee_div_zero 0
		.amdhsa_exception_fp_ieee_overflow 0
		.amdhsa_exception_fp_ieee_underflow 0
		.amdhsa_exception_fp_ieee_inexact 0
		.amdhsa_exception_int_div_zero 0
	.end_amdhsa_kernel
	.section	.text._ZN7rocprim17ROCPRIM_400000_NS6detail17trampoline_kernelINS0_14default_configENS1_37merge_sort_block_sort_config_selectorIlNS0_10empty_typeEEEZNS1_21merge_sort_block_sortIS3_PlS8_PS5_S9_ZN2at6native12_GLOBAL__N_124unique_dim_cuda_templateIsEESt5tupleIJNSA_6TensorESF_SF_EERKSF_lbbbEUlllE_EE10hipError_tT0_T1_T2_T3_mRjT4_P12ihipStream_tbNS1_7vsmem_tEEUlT_E_NS1_11comp_targetILNS1_3genE0ELNS1_11target_archE4294967295ELNS1_3gpuE0ELNS1_3repE0EEENS1_30default_config_static_selectorELNS0_4arch9wavefront6targetE0EEEvSM_,"axG",@progbits,_ZN7rocprim17ROCPRIM_400000_NS6detail17trampoline_kernelINS0_14default_configENS1_37merge_sort_block_sort_config_selectorIlNS0_10empty_typeEEEZNS1_21merge_sort_block_sortIS3_PlS8_PS5_S9_ZN2at6native12_GLOBAL__N_124unique_dim_cuda_templateIsEESt5tupleIJNSA_6TensorESF_SF_EERKSF_lbbbEUlllE_EE10hipError_tT0_T1_T2_T3_mRjT4_P12ihipStream_tbNS1_7vsmem_tEEUlT_E_NS1_11comp_targetILNS1_3genE0ELNS1_11target_archE4294967295ELNS1_3gpuE0ELNS1_3repE0EEENS1_30default_config_static_selectorELNS0_4arch9wavefront6targetE0EEEvSM_,comdat
.Lfunc_end627:
	.size	_ZN7rocprim17ROCPRIM_400000_NS6detail17trampoline_kernelINS0_14default_configENS1_37merge_sort_block_sort_config_selectorIlNS0_10empty_typeEEEZNS1_21merge_sort_block_sortIS3_PlS8_PS5_S9_ZN2at6native12_GLOBAL__N_124unique_dim_cuda_templateIsEESt5tupleIJNSA_6TensorESF_SF_EERKSF_lbbbEUlllE_EE10hipError_tT0_T1_T2_T3_mRjT4_P12ihipStream_tbNS1_7vsmem_tEEUlT_E_NS1_11comp_targetILNS1_3genE0ELNS1_11target_archE4294967295ELNS1_3gpuE0ELNS1_3repE0EEENS1_30default_config_static_selectorELNS0_4arch9wavefront6targetE0EEEvSM_, .Lfunc_end627-_ZN7rocprim17ROCPRIM_400000_NS6detail17trampoline_kernelINS0_14default_configENS1_37merge_sort_block_sort_config_selectorIlNS0_10empty_typeEEEZNS1_21merge_sort_block_sortIS3_PlS8_PS5_S9_ZN2at6native12_GLOBAL__N_124unique_dim_cuda_templateIsEESt5tupleIJNSA_6TensorESF_SF_EERKSF_lbbbEUlllE_EE10hipError_tT0_T1_T2_T3_mRjT4_P12ihipStream_tbNS1_7vsmem_tEEUlT_E_NS1_11comp_targetILNS1_3genE0ELNS1_11target_archE4294967295ELNS1_3gpuE0ELNS1_3repE0EEENS1_30default_config_static_selectorELNS0_4arch9wavefront6targetE0EEEvSM_
                                        ; -- End function
	.set _ZN7rocprim17ROCPRIM_400000_NS6detail17trampoline_kernelINS0_14default_configENS1_37merge_sort_block_sort_config_selectorIlNS0_10empty_typeEEEZNS1_21merge_sort_block_sortIS3_PlS8_PS5_S9_ZN2at6native12_GLOBAL__N_124unique_dim_cuda_templateIsEESt5tupleIJNSA_6TensorESF_SF_EERKSF_lbbbEUlllE_EE10hipError_tT0_T1_T2_T3_mRjT4_P12ihipStream_tbNS1_7vsmem_tEEUlT_E_NS1_11comp_targetILNS1_3genE0ELNS1_11target_archE4294967295ELNS1_3gpuE0ELNS1_3repE0EEENS1_30default_config_static_selectorELNS0_4arch9wavefront6targetE0EEEvSM_.num_vgpr, 56
	.set _ZN7rocprim17ROCPRIM_400000_NS6detail17trampoline_kernelINS0_14default_configENS1_37merge_sort_block_sort_config_selectorIlNS0_10empty_typeEEEZNS1_21merge_sort_block_sortIS3_PlS8_PS5_S9_ZN2at6native12_GLOBAL__N_124unique_dim_cuda_templateIsEESt5tupleIJNSA_6TensorESF_SF_EERKSF_lbbbEUlllE_EE10hipError_tT0_T1_T2_T3_mRjT4_P12ihipStream_tbNS1_7vsmem_tEEUlT_E_NS1_11comp_targetILNS1_3genE0ELNS1_11target_archE4294967295ELNS1_3gpuE0ELNS1_3repE0EEENS1_30default_config_static_selectorELNS0_4arch9wavefront6targetE0EEEvSM_.num_agpr, 0
	.set _ZN7rocprim17ROCPRIM_400000_NS6detail17trampoline_kernelINS0_14default_configENS1_37merge_sort_block_sort_config_selectorIlNS0_10empty_typeEEEZNS1_21merge_sort_block_sortIS3_PlS8_PS5_S9_ZN2at6native12_GLOBAL__N_124unique_dim_cuda_templateIsEESt5tupleIJNSA_6TensorESF_SF_EERKSF_lbbbEUlllE_EE10hipError_tT0_T1_T2_T3_mRjT4_P12ihipStream_tbNS1_7vsmem_tEEUlT_E_NS1_11comp_targetILNS1_3genE0ELNS1_11target_archE4294967295ELNS1_3gpuE0ELNS1_3repE0EEENS1_30default_config_static_selectorELNS0_4arch9wavefront6targetE0EEEvSM_.numbered_sgpr, 39
	.set _ZN7rocprim17ROCPRIM_400000_NS6detail17trampoline_kernelINS0_14default_configENS1_37merge_sort_block_sort_config_selectorIlNS0_10empty_typeEEEZNS1_21merge_sort_block_sortIS3_PlS8_PS5_S9_ZN2at6native12_GLOBAL__N_124unique_dim_cuda_templateIsEESt5tupleIJNSA_6TensorESF_SF_EERKSF_lbbbEUlllE_EE10hipError_tT0_T1_T2_T3_mRjT4_P12ihipStream_tbNS1_7vsmem_tEEUlT_E_NS1_11comp_targetILNS1_3genE0ELNS1_11target_archE4294967295ELNS1_3gpuE0ELNS1_3repE0EEENS1_30default_config_static_selectorELNS0_4arch9wavefront6targetE0EEEvSM_.num_named_barrier, 0
	.set _ZN7rocprim17ROCPRIM_400000_NS6detail17trampoline_kernelINS0_14default_configENS1_37merge_sort_block_sort_config_selectorIlNS0_10empty_typeEEEZNS1_21merge_sort_block_sortIS3_PlS8_PS5_S9_ZN2at6native12_GLOBAL__N_124unique_dim_cuda_templateIsEESt5tupleIJNSA_6TensorESF_SF_EERKSF_lbbbEUlllE_EE10hipError_tT0_T1_T2_T3_mRjT4_P12ihipStream_tbNS1_7vsmem_tEEUlT_E_NS1_11comp_targetILNS1_3genE0ELNS1_11target_archE4294967295ELNS1_3gpuE0ELNS1_3repE0EEENS1_30default_config_static_selectorELNS0_4arch9wavefront6targetE0EEEvSM_.private_seg_size, 0
	.set _ZN7rocprim17ROCPRIM_400000_NS6detail17trampoline_kernelINS0_14default_configENS1_37merge_sort_block_sort_config_selectorIlNS0_10empty_typeEEEZNS1_21merge_sort_block_sortIS3_PlS8_PS5_S9_ZN2at6native12_GLOBAL__N_124unique_dim_cuda_templateIsEESt5tupleIJNSA_6TensorESF_SF_EERKSF_lbbbEUlllE_EE10hipError_tT0_T1_T2_T3_mRjT4_P12ihipStream_tbNS1_7vsmem_tEEUlT_E_NS1_11comp_targetILNS1_3genE0ELNS1_11target_archE4294967295ELNS1_3gpuE0ELNS1_3repE0EEENS1_30default_config_static_selectorELNS0_4arch9wavefront6targetE0EEEvSM_.uses_vcc, 1
	.set _ZN7rocprim17ROCPRIM_400000_NS6detail17trampoline_kernelINS0_14default_configENS1_37merge_sort_block_sort_config_selectorIlNS0_10empty_typeEEEZNS1_21merge_sort_block_sortIS3_PlS8_PS5_S9_ZN2at6native12_GLOBAL__N_124unique_dim_cuda_templateIsEESt5tupleIJNSA_6TensorESF_SF_EERKSF_lbbbEUlllE_EE10hipError_tT0_T1_T2_T3_mRjT4_P12ihipStream_tbNS1_7vsmem_tEEUlT_E_NS1_11comp_targetILNS1_3genE0ELNS1_11target_archE4294967295ELNS1_3gpuE0ELNS1_3repE0EEENS1_30default_config_static_selectorELNS0_4arch9wavefront6targetE0EEEvSM_.uses_flat_scratch, 0
	.set _ZN7rocprim17ROCPRIM_400000_NS6detail17trampoline_kernelINS0_14default_configENS1_37merge_sort_block_sort_config_selectorIlNS0_10empty_typeEEEZNS1_21merge_sort_block_sortIS3_PlS8_PS5_S9_ZN2at6native12_GLOBAL__N_124unique_dim_cuda_templateIsEESt5tupleIJNSA_6TensorESF_SF_EERKSF_lbbbEUlllE_EE10hipError_tT0_T1_T2_T3_mRjT4_P12ihipStream_tbNS1_7vsmem_tEEUlT_E_NS1_11comp_targetILNS1_3genE0ELNS1_11target_archE4294967295ELNS1_3gpuE0ELNS1_3repE0EEENS1_30default_config_static_selectorELNS0_4arch9wavefront6targetE0EEEvSM_.has_dyn_sized_stack, 0
	.set _ZN7rocprim17ROCPRIM_400000_NS6detail17trampoline_kernelINS0_14default_configENS1_37merge_sort_block_sort_config_selectorIlNS0_10empty_typeEEEZNS1_21merge_sort_block_sortIS3_PlS8_PS5_S9_ZN2at6native12_GLOBAL__N_124unique_dim_cuda_templateIsEESt5tupleIJNSA_6TensorESF_SF_EERKSF_lbbbEUlllE_EE10hipError_tT0_T1_T2_T3_mRjT4_P12ihipStream_tbNS1_7vsmem_tEEUlT_E_NS1_11comp_targetILNS1_3genE0ELNS1_11target_archE4294967295ELNS1_3gpuE0ELNS1_3repE0EEENS1_30default_config_static_selectorELNS0_4arch9wavefront6targetE0EEEvSM_.has_recursion, 0
	.set _ZN7rocprim17ROCPRIM_400000_NS6detail17trampoline_kernelINS0_14default_configENS1_37merge_sort_block_sort_config_selectorIlNS0_10empty_typeEEEZNS1_21merge_sort_block_sortIS3_PlS8_PS5_S9_ZN2at6native12_GLOBAL__N_124unique_dim_cuda_templateIsEESt5tupleIJNSA_6TensorESF_SF_EERKSF_lbbbEUlllE_EE10hipError_tT0_T1_T2_T3_mRjT4_P12ihipStream_tbNS1_7vsmem_tEEUlT_E_NS1_11comp_targetILNS1_3genE0ELNS1_11target_archE4294967295ELNS1_3gpuE0ELNS1_3repE0EEENS1_30default_config_static_selectorELNS0_4arch9wavefront6targetE0EEEvSM_.has_indirect_call, 0
	.section	.AMDGPU.csdata,"",@progbits
; Kernel info:
; codeLenInByte = 56504
; TotalNumSgprs: 41
; NumVgprs: 56
; ScratchSize: 0
; MemoryBound: 0
; FloatMode: 240
; IeeeMode: 1
; LDSByteSize: 16896 bytes/workgroup (compile time only)
; SGPRBlocks: 0
; VGPRBlocks: 3
; NumSGPRsForWavesPerEU: 41
; NumVGPRsForWavesPerEU: 56
; NamedBarCnt: 0
; Occupancy: 16
; WaveLimiterHint : 1
; COMPUTE_PGM_RSRC2:SCRATCH_EN: 0
; COMPUTE_PGM_RSRC2:USER_SGPR: 2
; COMPUTE_PGM_RSRC2:TRAP_HANDLER: 0
; COMPUTE_PGM_RSRC2:TGID_X_EN: 1
; COMPUTE_PGM_RSRC2:TGID_Y_EN: 1
; COMPUTE_PGM_RSRC2:TGID_Z_EN: 1
; COMPUTE_PGM_RSRC2:TIDIG_COMP_CNT: 2
	.section	.text._ZN7rocprim17ROCPRIM_400000_NS6detail17trampoline_kernelINS0_14default_configENS1_37merge_sort_block_sort_config_selectorIlNS0_10empty_typeEEEZNS1_21merge_sort_block_sortIS3_PlS8_PS5_S9_ZN2at6native12_GLOBAL__N_124unique_dim_cuda_templateIsEESt5tupleIJNSA_6TensorESF_SF_EERKSF_lbbbEUlllE_EE10hipError_tT0_T1_T2_T3_mRjT4_P12ihipStream_tbNS1_7vsmem_tEEUlT_E_NS1_11comp_targetILNS1_3genE5ELNS1_11target_archE942ELNS1_3gpuE9ELNS1_3repE0EEENS1_30default_config_static_selectorELNS0_4arch9wavefront6targetE0EEEvSM_,"axG",@progbits,_ZN7rocprim17ROCPRIM_400000_NS6detail17trampoline_kernelINS0_14default_configENS1_37merge_sort_block_sort_config_selectorIlNS0_10empty_typeEEEZNS1_21merge_sort_block_sortIS3_PlS8_PS5_S9_ZN2at6native12_GLOBAL__N_124unique_dim_cuda_templateIsEESt5tupleIJNSA_6TensorESF_SF_EERKSF_lbbbEUlllE_EE10hipError_tT0_T1_T2_T3_mRjT4_P12ihipStream_tbNS1_7vsmem_tEEUlT_E_NS1_11comp_targetILNS1_3genE5ELNS1_11target_archE942ELNS1_3gpuE9ELNS1_3repE0EEENS1_30default_config_static_selectorELNS0_4arch9wavefront6targetE0EEEvSM_,comdat
	.globl	_ZN7rocprim17ROCPRIM_400000_NS6detail17trampoline_kernelINS0_14default_configENS1_37merge_sort_block_sort_config_selectorIlNS0_10empty_typeEEEZNS1_21merge_sort_block_sortIS3_PlS8_PS5_S9_ZN2at6native12_GLOBAL__N_124unique_dim_cuda_templateIsEESt5tupleIJNSA_6TensorESF_SF_EERKSF_lbbbEUlllE_EE10hipError_tT0_T1_T2_T3_mRjT4_P12ihipStream_tbNS1_7vsmem_tEEUlT_E_NS1_11comp_targetILNS1_3genE5ELNS1_11target_archE942ELNS1_3gpuE9ELNS1_3repE0EEENS1_30default_config_static_selectorELNS0_4arch9wavefront6targetE0EEEvSM_ ; -- Begin function _ZN7rocprim17ROCPRIM_400000_NS6detail17trampoline_kernelINS0_14default_configENS1_37merge_sort_block_sort_config_selectorIlNS0_10empty_typeEEEZNS1_21merge_sort_block_sortIS3_PlS8_PS5_S9_ZN2at6native12_GLOBAL__N_124unique_dim_cuda_templateIsEESt5tupleIJNSA_6TensorESF_SF_EERKSF_lbbbEUlllE_EE10hipError_tT0_T1_T2_T3_mRjT4_P12ihipStream_tbNS1_7vsmem_tEEUlT_E_NS1_11comp_targetILNS1_3genE5ELNS1_11target_archE942ELNS1_3gpuE9ELNS1_3repE0EEENS1_30default_config_static_selectorELNS0_4arch9wavefront6targetE0EEEvSM_
	.p2align	8
	.type	_ZN7rocprim17ROCPRIM_400000_NS6detail17trampoline_kernelINS0_14default_configENS1_37merge_sort_block_sort_config_selectorIlNS0_10empty_typeEEEZNS1_21merge_sort_block_sortIS3_PlS8_PS5_S9_ZN2at6native12_GLOBAL__N_124unique_dim_cuda_templateIsEESt5tupleIJNSA_6TensorESF_SF_EERKSF_lbbbEUlllE_EE10hipError_tT0_T1_T2_T3_mRjT4_P12ihipStream_tbNS1_7vsmem_tEEUlT_E_NS1_11comp_targetILNS1_3genE5ELNS1_11target_archE942ELNS1_3gpuE9ELNS1_3repE0EEENS1_30default_config_static_selectorELNS0_4arch9wavefront6targetE0EEEvSM_,@function
_ZN7rocprim17ROCPRIM_400000_NS6detail17trampoline_kernelINS0_14default_configENS1_37merge_sort_block_sort_config_selectorIlNS0_10empty_typeEEEZNS1_21merge_sort_block_sortIS3_PlS8_PS5_S9_ZN2at6native12_GLOBAL__N_124unique_dim_cuda_templateIsEESt5tupleIJNSA_6TensorESF_SF_EERKSF_lbbbEUlllE_EE10hipError_tT0_T1_T2_T3_mRjT4_P12ihipStream_tbNS1_7vsmem_tEEUlT_E_NS1_11comp_targetILNS1_3genE5ELNS1_11target_archE942ELNS1_3gpuE9ELNS1_3repE0EEENS1_30default_config_static_selectorELNS0_4arch9wavefront6targetE0EEEvSM_: ; @_ZN7rocprim17ROCPRIM_400000_NS6detail17trampoline_kernelINS0_14default_configENS1_37merge_sort_block_sort_config_selectorIlNS0_10empty_typeEEEZNS1_21merge_sort_block_sortIS3_PlS8_PS5_S9_ZN2at6native12_GLOBAL__N_124unique_dim_cuda_templateIsEESt5tupleIJNSA_6TensorESF_SF_EERKSF_lbbbEUlllE_EE10hipError_tT0_T1_T2_T3_mRjT4_P12ihipStream_tbNS1_7vsmem_tEEUlT_E_NS1_11comp_targetILNS1_3genE5ELNS1_11target_archE942ELNS1_3gpuE9ELNS1_3repE0EEENS1_30default_config_static_selectorELNS0_4arch9wavefront6targetE0EEEvSM_
; %bb.0:
	.section	.rodata,"a",@progbits
	.p2align	6, 0x0
	.amdhsa_kernel _ZN7rocprim17ROCPRIM_400000_NS6detail17trampoline_kernelINS0_14default_configENS1_37merge_sort_block_sort_config_selectorIlNS0_10empty_typeEEEZNS1_21merge_sort_block_sortIS3_PlS8_PS5_S9_ZN2at6native12_GLOBAL__N_124unique_dim_cuda_templateIsEESt5tupleIJNSA_6TensorESF_SF_EERKSF_lbbbEUlllE_EE10hipError_tT0_T1_T2_T3_mRjT4_P12ihipStream_tbNS1_7vsmem_tEEUlT_E_NS1_11comp_targetILNS1_3genE5ELNS1_11target_archE942ELNS1_3gpuE9ELNS1_3repE0EEENS1_30default_config_static_selectorELNS0_4arch9wavefront6targetE0EEEvSM_
		.amdhsa_group_segment_fixed_size 0
		.amdhsa_private_segment_fixed_size 0
		.amdhsa_kernarg_size 72
		.amdhsa_user_sgpr_count 2
		.amdhsa_user_sgpr_dispatch_ptr 0
		.amdhsa_user_sgpr_queue_ptr 0
		.amdhsa_user_sgpr_kernarg_segment_ptr 1
		.amdhsa_user_sgpr_dispatch_id 0
		.amdhsa_user_sgpr_kernarg_preload_length 0
		.amdhsa_user_sgpr_kernarg_preload_offset 0
		.amdhsa_user_sgpr_private_segment_size 0
		.amdhsa_wavefront_size32 1
		.amdhsa_uses_dynamic_stack 0
		.amdhsa_enable_private_segment 0
		.amdhsa_system_sgpr_workgroup_id_x 1
		.amdhsa_system_sgpr_workgroup_id_y 0
		.amdhsa_system_sgpr_workgroup_id_z 0
		.amdhsa_system_sgpr_workgroup_info 0
		.amdhsa_system_vgpr_workitem_id 0
		.amdhsa_next_free_vgpr 1
		.amdhsa_next_free_sgpr 1
		.amdhsa_named_barrier_count 0
		.amdhsa_reserve_vcc 0
		.amdhsa_float_round_mode_32 0
		.amdhsa_float_round_mode_16_64 0
		.amdhsa_float_denorm_mode_32 3
		.amdhsa_float_denorm_mode_16_64 3
		.amdhsa_fp16_overflow 0
		.amdhsa_memory_ordered 1
		.amdhsa_forward_progress 1
		.amdhsa_inst_pref_size 0
		.amdhsa_round_robin_scheduling 0
		.amdhsa_exception_fp_ieee_invalid_op 0
		.amdhsa_exception_fp_denorm_src 0
		.amdhsa_exception_fp_ieee_div_zero 0
		.amdhsa_exception_fp_ieee_overflow 0
		.amdhsa_exception_fp_ieee_underflow 0
		.amdhsa_exception_fp_ieee_inexact 0
		.amdhsa_exception_int_div_zero 0
	.end_amdhsa_kernel
	.section	.text._ZN7rocprim17ROCPRIM_400000_NS6detail17trampoline_kernelINS0_14default_configENS1_37merge_sort_block_sort_config_selectorIlNS0_10empty_typeEEEZNS1_21merge_sort_block_sortIS3_PlS8_PS5_S9_ZN2at6native12_GLOBAL__N_124unique_dim_cuda_templateIsEESt5tupleIJNSA_6TensorESF_SF_EERKSF_lbbbEUlllE_EE10hipError_tT0_T1_T2_T3_mRjT4_P12ihipStream_tbNS1_7vsmem_tEEUlT_E_NS1_11comp_targetILNS1_3genE5ELNS1_11target_archE942ELNS1_3gpuE9ELNS1_3repE0EEENS1_30default_config_static_selectorELNS0_4arch9wavefront6targetE0EEEvSM_,"axG",@progbits,_ZN7rocprim17ROCPRIM_400000_NS6detail17trampoline_kernelINS0_14default_configENS1_37merge_sort_block_sort_config_selectorIlNS0_10empty_typeEEEZNS1_21merge_sort_block_sortIS3_PlS8_PS5_S9_ZN2at6native12_GLOBAL__N_124unique_dim_cuda_templateIsEESt5tupleIJNSA_6TensorESF_SF_EERKSF_lbbbEUlllE_EE10hipError_tT0_T1_T2_T3_mRjT4_P12ihipStream_tbNS1_7vsmem_tEEUlT_E_NS1_11comp_targetILNS1_3genE5ELNS1_11target_archE942ELNS1_3gpuE9ELNS1_3repE0EEENS1_30default_config_static_selectorELNS0_4arch9wavefront6targetE0EEEvSM_,comdat
.Lfunc_end628:
	.size	_ZN7rocprim17ROCPRIM_400000_NS6detail17trampoline_kernelINS0_14default_configENS1_37merge_sort_block_sort_config_selectorIlNS0_10empty_typeEEEZNS1_21merge_sort_block_sortIS3_PlS8_PS5_S9_ZN2at6native12_GLOBAL__N_124unique_dim_cuda_templateIsEESt5tupleIJNSA_6TensorESF_SF_EERKSF_lbbbEUlllE_EE10hipError_tT0_T1_T2_T3_mRjT4_P12ihipStream_tbNS1_7vsmem_tEEUlT_E_NS1_11comp_targetILNS1_3genE5ELNS1_11target_archE942ELNS1_3gpuE9ELNS1_3repE0EEENS1_30default_config_static_selectorELNS0_4arch9wavefront6targetE0EEEvSM_, .Lfunc_end628-_ZN7rocprim17ROCPRIM_400000_NS6detail17trampoline_kernelINS0_14default_configENS1_37merge_sort_block_sort_config_selectorIlNS0_10empty_typeEEEZNS1_21merge_sort_block_sortIS3_PlS8_PS5_S9_ZN2at6native12_GLOBAL__N_124unique_dim_cuda_templateIsEESt5tupleIJNSA_6TensorESF_SF_EERKSF_lbbbEUlllE_EE10hipError_tT0_T1_T2_T3_mRjT4_P12ihipStream_tbNS1_7vsmem_tEEUlT_E_NS1_11comp_targetILNS1_3genE5ELNS1_11target_archE942ELNS1_3gpuE9ELNS1_3repE0EEENS1_30default_config_static_selectorELNS0_4arch9wavefront6targetE0EEEvSM_
                                        ; -- End function
	.set _ZN7rocprim17ROCPRIM_400000_NS6detail17trampoline_kernelINS0_14default_configENS1_37merge_sort_block_sort_config_selectorIlNS0_10empty_typeEEEZNS1_21merge_sort_block_sortIS3_PlS8_PS5_S9_ZN2at6native12_GLOBAL__N_124unique_dim_cuda_templateIsEESt5tupleIJNSA_6TensorESF_SF_EERKSF_lbbbEUlllE_EE10hipError_tT0_T1_T2_T3_mRjT4_P12ihipStream_tbNS1_7vsmem_tEEUlT_E_NS1_11comp_targetILNS1_3genE5ELNS1_11target_archE942ELNS1_3gpuE9ELNS1_3repE0EEENS1_30default_config_static_selectorELNS0_4arch9wavefront6targetE0EEEvSM_.num_vgpr, 0
	.set _ZN7rocprim17ROCPRIM_400000_NS6detail17trampoline_kernelINS0_14default_configENS1_37merge_sort_block_sort_config_selectorIlNS0_10empty_typeEEEZNS1_21merge_sort_block_sortIS3_PlS8_PS5_S9_ZN2at6native12_GLOBAL__N_124unique_dim_cuda_templateIsEESt5tupleIJNSA_6TensorESF_SF_EERKSF_lbbbEUlllE_EE10hipError_tT0_T1_T2_T3_mRjT4_P12ihipStream_tbNS1_7vsmem_tEEUlT_E_NS1_11comp_targetILNS1_3genE5ELNS1_11target_archE942ELNS1_3gpuE9ELNS1_3repE0EEENS1_30default_config_static_selectorELNS0_4arch9wavefront6targetE0EEEvSM_.num_agpr, 0
	.set _ZN7rocprim17ROCPRIM_400000_NS6detail17trampoline_kernelINS0_14default_configENS1_37merge_sort_block_sort_config_selectorIlNS0_10empty_typeEEEZNS1_21merge_sort_block_sortIS3_PlS8_PS5_S9_ZN2at6native12_GLOBAL__N_124unique_dim_cuda_templateIsEESt5tupleIJNSA_6TensorESF_SF_EERKSF_lbbbEUlllE_EE10hipError_tT0_T1_T2_T3_mRjT4_P12ihipStream_tbNS1_7vsmem_tEEUlT_E_NS1_11comp_targetILNS1_3genE5ELNS1_11target_archE942ELNS1_3gpuE9ELNS1_3repE0EEENS1_30default_config_static_selectorELNS0_4arch9wavefront6targetE0EEEvSM_.numbered_sgpr, 0
	.set _ZN7rocprim17ROCPRIM_400000_NS6detail17trampoline_kernelINS0_14default_configENS1_37merge_sort_block_sort_config_selectorIlNS0_10empty_typeEEEZNS1_21merge_sort_block_sortIS3_PlS8_PS5_S9_ZN2at6native12_GLOBAL__N_124unique_dim_cuda_templateIsEESt5tupleIJNSA_6TensorESF_SF_EERKSF_lbbbEUlllE_EE10hipError_tT0_T1_T2_T3_mRjT4_P12ihipStream_tbNS1_7vsmem_tEEUlT_E_NS1_11comp_targetILNS1_3genE5ELNS1_11target_archE942ELNS1_3gpuE9ELNS1_3repE0EEENS1_30default_config_static_selectorELNS0_4arch9wavefront6targetE0EEEvSM_.num_named_barrier, 0
	.set _ZN7rocprim17ROCPRIM_400000_NS6detail17trampoline_kernelINS0_14default_configENS1_37merge_sort_block_sort_config_selectorIlNS0_10empty_typeEEEZNS1_21merge_sort_block_sortIS3_PlS8_PS5_S9_ZN2at6native12_GLOBAL__N_124unique_dim_cuda_templateIsEESt5tupleIJNSA_6TensorESF_SF_EERKSF_lbbbEUlllE_EE10hipError_tT0_T1_T2_T3_mRjT4_P12ihipStream_tbNS1_7vsmem_tEEUlT_E_NS1_11comp_targetILNS1_3genE5ELNS1_11target_archE942ELNS1_3gpuE9ELNS1_3repE0EEENS1_30default_config_static_selectorELNS0_4arch9wavefront6targetE0EEEvSM_.private_seg_size, 0
	.set _ZN7rocprim17ROCPRIM_400000_NS6detail17trampoline_kernelINS0_14default_configENS1_37merge_sort_block_sort_config_selectorIlNS0_10empty_typeEEEZNS1_21merge_sort_block_sortIS3_PlS8_PS5_S9_ZN2at6native12_GLOBAL__N_124unique_dim_cuda_templateIsEESt5tupleIJNSA_6TensorESF_SF_EERKSF_lbbbEUlllE_EE10hipError_tT0_T1_T2_T3_mRjT4_P12ihipStream_tbNS1_7vsmem_tEEUlT_E_NS1_11comp_targetILNS1_3genE5ELNS1_11target_archE942ELNS1_3gpuE9ELNS1_3repE0EEENS1_30default_config_static_selectorELNS0_4arch9wavefront6targetE0EEEvSM_.uses_vcc, 0
	.set _ZN7rocprim17ROCPRIM_400000_NS6detail17trampoline_kernelINS0_14default_configENS1_37merge_sort_block_sort_config_selectorIlNS0_10empty_typeEEEZNS1_21merge_sort_block_sortIS3_PlS8_PS5_S9_ZN2at6native12_GLOBAL__N_124unique_dim_cuda_templateIsEESt5tupleIJNSA_6TensorESF_SF_EERKSF_lbbbEUlllE_EE10hipError_tT0_T1_T2_T3_mRjT4_P12ihipStream_tbNS1_7vsmem_tEEUlT_E_NS1_11comp_targetILNS1_3genE5ELNS1_11target_archE942ELNS1_3gpuE9ELNS1_3repE0EEENS1_30default_config_static_selectorELNS0_4arch9wavefront6targetE0EEEvSM_.uses_flat_scratch, 0
	.set _ZN7rocprim17ROCPRIM_400000_NS6detail17trampoline_kernelINS0_14default_configENS1_37merge_sort_block_sort_config_selectorIlNS0_10empty_typeEEEZNS1_21merge_sort_block_sortIS3_PlS8_PS5_S9_ZN2at6native12_GLOBAL__N_124unique_dim_cuda_templateIsEESt5tupleIJNSA_6TensorESF_SF_EERKSF_lbbbEUlllE_EE10hipError_tT0_T1_T2_T3_mRjT4_P12ihipStream_tbNS1_7vsmem_tEEUlT_E_NS1_11comp_targetILNS1_3genE5ELNS1_11target_archE942ELNS1_3gpuE9ELNS1_3repE0EEENS1_30default_config_static_selectorELNS0_4arch9wavefront6targetE0EEEvSM_.has_dyn_sized_stack, 0
	.set _ZN7rocprim17ROCPRIM_400000_NS6detail17trampoline_kernelINS0_14default_configENS1_37merge_sort_block_sort_config_selectorIlNS0_10empty_typeEEEZNS1_21merge_sort_block_sortIS3_PlS8_PS5_S9_ZN2at6native12_GLOBAL__N_124unique_dim_cuda_templateIsEESt5tupleIJNSA_6TensorESF_SF_EERKSF_lbbbEUlllE_EE10hipError_tT0_T1_T2_T3_mRjT4_P12ihipStream_tbNS1_7vsmem_tEEUlT_E_NS1_11comp_targetILNS1_3genE5ELNS1_11target_archE942ELNS1_3gpuE9ELNS1_3repE0EEENS1_30default_config_static_selectorELNS0_4arch9wavefront6targetE0EEEvSM_.has_recursion, 0
	.set _ZN7rocprim17ROCPRIM_400000_NS6detail17trampoline_kernelINS0_14default_configENS1_37merge_sort_block_sort_config_selectorIlNS0_10empty_typeEEEZNS1_21merge_sort_block_sortIS3_PlS8_PS5_S9_ZN2at6native12_GLOBAL__N_124unique_dim_cuda_templateIsEESt5tupleIJNSA_6TensorESF_SF_EERKSF_lbbbEUlllE_EE10hipError_tT0_T1_T2_T3_mRjT4_P12ihipStream_tbNS1_7vsmem_tEEUlT_E_NS1_11comp_targetILNS1_3genE5ELNS1_11target_archE942ELNS1_3gpuE9ELNS1_3repE0EEENS1_30default_config_static_selectorELNS0_4arch9wavefront6targetE0EEEvSM_.has_indirect_call, 0
	.section	.AMDGPU.csdata,"",@progbits
; Kernel info:
; codeLenInByte = 0
; TotalNumSgprs: 0
; NumVgprs: 0
; ScratchSize: 0
; MemoryBound: 0
; FloatMode: 240
; IeeeMode: 1
; LDSByteSize: 0 bytes/workgroup (compile time only)
; SGPRBlocks: 0
; VGPRBlocks: 0
; NumSGPRsForWavesPerEU: 1
; NumVGPRsForWavesPerEU: 1
; NamedBarCnt: 0
; Occupancy: 16
; WaveLimiterHint : 0
; COMPUTE_PGM_RSRC2:SCRATCH_EN: 0
; COMPUTE_PGM_RSRC2:USER_SGPR: 2
; COMPUTE_PGM_RSRC2:TRAP_HANDLER: 0
; COMPUTE_PGM_RSRC2:TGID_X_EN: 1
; COMPUTE_PGM_RSRC2:TGID_Y_EN: 0
; COMPUTE_PGM_RSRC2:TGID_Z_EN: 0
; COMPUTE_PGM_RSRC2:TIDIG_COMP_CNT: 0
	.section	.text._ZN7rocprim17ROCPRIM_400000_NS6detail17trampoline_kernelINS0_14default_configENS1_37merge_sort_block_sort_config_selectorIlNS0_10empty_typeEEEZNS1_21merge_sort_block_sortIS3_PlS8_PS5_S9_ZN2at6native12_GLOBAL__N_124unique_dim_cuda_templateIsEESt5tupleIJNSA_6TensorESF_SF_EERKSF_lbbbEUlllE_EE10hipError_tT0_T1_T2_T3_mRjT4_P12ihipStream_tbNS1_7vsmem_tEEUlT_E_NS1_11comp_targetILNS1_3genE4ELNS1_11target_archE910ELNS1_3gpuE8ELNS1_3repE0EEENS1_30default_config_static_selectorELNS0_4arch9wavefront6targetE0EEEvSM_,"axG",@progbits,_ZN7rocprim17ROCPRIM_400000_NS6detail17trampoline_kernelINS0_14default_configENS1_37merge_sort_block_sort_config_selectorIlNS0_10empty_typeEEEZNS1_21merge_sort_block_sortIS3_PlS8_PS5_S9_ZN2at6native12_GLOBAL__N_124unique_dim_cuda_templateIsEESt5tupleIJNSA_6TensorESF_SF_EERKSF_lbbbEUlllE_EE10hipError_tT0_T1_T2_T3_mRjT4_P12ihipStream_tbNS1_7vsmem_tEEUlT_E_NS1_11comp_targetILNS1_3genE4ELNS1_11target_archE910ELNS1_3gpuE8ELNS1_3repE0EEENS1_30default_config_static_selectorELNS0_4arch9wavefront6targetE0EEEvSM_,comdat
	.globl	_ZN7rocprim17ROCPRIM_400000_NS6detail17trampoline_kernelINS0_14default_configENS1_37merge_sort_block_sort_config_selectorIlNS0_10empty_typeEEEZNS1_21merge_sort_block_sortIS3_PlS8_PS5_S9_ZN2at6native12_GLOBAL__N_124unique_dim_cuda_templateIsEESt5tupleIJNSA_6TensorESF_SF_EERKSF_lbbbEUlllE_EE10hipError_tT0_T1_T2_T3_mRjT4_P12ihipStream_tbNS1_7vsmem_tEEUlT_E_NS1_11comp_targetILNS1_3genE4ELNS1_11target_archE910ELNS1_3gpuE8ELNS1_3repE0EEENS1_30default_config_static_selectorELNS0_4arch9wavefront6targetE0EEEvSM_ ; -- Begin function _ZN7rocprim17ROCPRIM_400000_NS6detail17trampoline_kernelINS0_14default_configENS1_37merge_sort_block_sort_config_selectorIlNS0_10empty_typeEEEZNS1_21merge_sort_block_sortIS3_PlS8_PS5_S9_ZN2at6native12_GLOBAL__N_124unique_dim_cuda_templateIsEESt5tupleIJNSA_6TensorESF_SF_EERKSF_lbbbEUlllE_EE10hipError_tT0_T1_T2_T3_mRjT4_P12ihipStream_tbNS1_7vsmem_tEEUlT_E_NS1_11comp_targetILNS1_3genE4ELNS1_11target_archE910ELNS1_3gpuE8ELNS1_3repE0EEENS1_30default_config_static_selectorELNS0_4arch9wavefront6targetE0EEEvSM_
	.p2align	8
	.type	_ZN7rocprim17ROCPRIM_400000_NS6detail17trampoline_kernelINS0_14default_configENS1_37merge_sort_block_sort_config_selectorIlNS0_10empty_typeEEEZNS1_21merge_sort_block_sortIS3_PlS8_PS5_S9_ZN2at6native12_GLOBAL__N_124unique_dim_cuda_templateIsEESt5tupleIJNSA_6TensorESF_SF_EERKSF_lbbbEUlllE_EE10hipError_tT0_T1_T2_T3_mRjT4_P12ihipStream_tbNS1_7vsmem_tEEUlT_E_NS1_11comp_targetILNS1_3genE4ELNS1_11target_archE910ELNS1_3gpuE8ELNS1_3repE0EEENS1_30default_config_static_selectorELNS0_4arch9wavefront6targetE0EEEvSM_,@function
_ZN7rocprim17ROCPRIM_400000_NS6detail17trampoline_kernelINS0_14default_configENS1_37merge_sort_block_sort_config_selectorIlNS0_10empty_typeEEEZNS1_21merge_sort_block_sortIS3_PlS8_PS5_S9_ZN2at6native12_GLOBAL__N_124unique_dim_cuda_templateIsEESt5tupleIJNSA_6TensorESF_SF_EERKSF_lbbbEUlllE_EE10hipError_tT0_T1_T2_T3_mRjT4_P12ihipStream_tbNS1_7vsmem_tEEUlT_E_NS1_11comp_targetILNS1_3genE4ELNS1_11target_archE910ELNS1_3gpuE8ELNS1_3repE0EEENS1_30default_config_static_selectorELNS0_4arch9wavefront6targetE0EEEvSM_: ; @_ZN7rocprim17ROCPRIM_400000_NS6detail17trampoline_kernelINS0_14default_configENS1_37merge_sort_block_sort_config_selectorIlNS0_10empty_typeEEEZNS1_21merge_sort_block_sortIS3_PlS8_PS5_S9_ZN2at6native12_GLOBAL__N_124unique_dim_cuda_templateIsEESt5tupleIJNSA_6TensorESF_SF_EERKSF_lbbbEUlllE_EE10hipError_tT0_T1_T2_T3_mRjT4_P12ihipStream_tbNS1_7vsmem_tEEUlT_E_NS1_11comp_targetILNS1_3genE4ELNS1_11target_archE910ELNS1_3gpuE8ELNS1_3repE0EEENS1_30default_config_static_selectorELNS0_4arch9wavefront6targetE0EEEvSM_
; %bb.0:
	.section	.rodata,"a",@progbits
	.p2align	6, 0x0
	.amdhsa_kernel _ZN7rocprim17ROCPRIM_400000_NS6detail17trampoline_kernelINS0_14default_configENS1_37merge_sort_block_sort_config_selectorIlNS0_10empty_typeEEEZNS1_21merge_sort_block_sortIS3_PlS8_PS5_S9_ZN2at6native12_GLOBAL__N_124unique_dim_cuda_templateIsEESt5tupleIJNSA_6TensorESF_SF_EERKSF_lbbbEUlllE_EE10hipError_tT0_T1_T2_T3_mRjT4_P12ihipStream_tbNS1_7vsmem_tEEUlT_E_NS1_11comp_targetILNS1_3genE4ELNS1_11target_archE910ELNS1_3gpuE8ELNS1_3repE0EEENS1_30default_config_static_selectorELNS0_4arch9wavefront6targetE0EEEvSM_
		.amdhsa_group_segment_fixed_size 0
		.amdhsa_private_segment_fixed_size 0
		.amdhsa_kernarg_size 72
		.amdhsa_user_sgpr_count 2
		.amdhsa_user_sgpr_dispatch_ptr 0
		.amdhsa_user_sgpr_queue_ptr 0
		.amdhsa_user_sgpr_kernarg_segment_ptr 1
		.amdhsa_user_sgpr_dispatch_id 0
		.amdhsa_user_sgpr_kernarg_preload_length 0
		.amdhsa_user_sgpr_kernarg_preload_offset 0
		.amdhsa_user_sgpr_private_segment_size 0
		.amdhsa_wavefront_size32 1
		.amdhsa_uses_dynamic_stack 0
		.amdhsa_enable_private_segment 0
		.amdhsa_system_sgpr_workgroup_id_x 1
		.amdhsa_system_sgpr_workgroup_id_y 0
		.amdhsa_system_sgpr_workgroup_id_z 0
		.amdhsa_system_sgpr_workgroup_info 0
		.amdhsa_system_vgpr_workitem_id 0
		.amdhsa_next_free_vgpr 1
		.amdhsa_next_free_sgpr 1
		.amdhsa_named_barrier_count 0
		.amdhsa_reserve_vcc 0
		.amdhsa_float_round_mode_32 0
		.amdhsa_float_round_mode_16_64 0
		.amdhsa_float_denorm_mode_32 3
		.amdhsa_float_denorm_mode_16_64 3
		.amdhsa_fp16_overflow 0
		.amdhsa_memory_ordered 1
		.amdhsa_forward_progress 1
		.amdhsa_inst_pref_size 0
		.amdhsa_round_robin_scheduling 0
		.amdhsa_exception_fp_ieee_invalid_op 0
		.amdhsa_exception_fp_denorm_src 0
		.amdhsa_exception_fp_ieee_div_zero 0
		.amdhsa_exception_fp_ieee_overflow 0
		.amdhsa_exception_fp_ieee_underflow 0
		.amdhsa_exception_fp_ieee_inexact 0
		.amdhsa_exception_int_div_zero 0
	.end_amdhsa_kernel
	.section	.text._ZN7rocprim17ROCPRIM_400000_NS6detail17trampoline_kernelINS0_14default_configENS1_37merge_sort_block_sort_config_selectorIlNS0_10empty_typeEEEZNS1_21merge_sort_block_sortIS3_PlS8_PS5_S9_ZN2at6native12_GLOBAL__N_124unique_dim_cuda_templateIsEESt5tupleIJNSA_6TensorESF_SF_EERKSF_lbbbEUlllE_EE10hipError_tT0_T1_T2_T3_mRjT4_P12ihipStream_tbNS1_7vsmem_tEEUlT_E_NS1_11comp_targetILNS1_3genE4ELNS1_11target_archE910ELNS1_3gpuE8ELNS1_3repE0EEENS1_30default_config_static_selectorELNS0_4arch9wavefront6targetE0EEEvSM_,"axG",@progbits,_ZN7rocprim17ROCPRIM_400000_NS6detail17trampoline_kernelINS0_14default_configENS1_37merge_sort_block_sort_config_selectorIlNS0_10empty_typeEEEZNS1_21merge_sort_block_sortIS3_PlS8_PS5_S9_ZN2at6native12_GLOBAL__N_124unique_dim_cuda_templateIsEESt5tupleIJNSA_6TensorESF_SF_EERKSF_lbbbEUlllE_EE10hipError_tT0_T1_T2_T3_mRjT4_P12ihipStream_tbNS1_7vsmem_tEEUlT_E_NS1_11comp_targetILNS1_3genE4ELNS1_11target_archE910ELNS1_3gpuE8ELNS1_3repE0EEENS1_30default_config_static_selectorELNS0_4arch9wavefront6targetE0EEEvSM_,comdat
.Lfunc_end629:
	.size	_ZN7rocprim17ROCPRIM_400000_NS6detail17trampoline_kernelINS0_14default_configENS1_37merge_sort_block_sort_config_selectorIlNS0_10empty_typeEEEZNS1_21merge_sort_block_sortIS3_PlS8_PS5_S9_ZN2at6native12_GLOBAL__N_124unique_dim_cuda_templateIsEESt5tupleIJNSA_6TensorESF_SF_EERKSF_lbbbEUlllE_EE10hipError_tT0_T1_T2_T3_mRjT4_P12ihipStream_tbNS1_7vsmem_tEEUlT_E_NS1_11comp_targetILNS1_3genE4ELNS1_11target_archE910ELNS1_3gpuE8ELNS1_3repE0EEENS1_30default_config_static_selectorELNS0_4arch9wavefront6targetE0EEEvSM_, .Lfunc_end629-_ZN7rocprim17ROCPRIM_400000_NS6detail17trampoline_kernelINS0_14default_configENS1_37merge_sort_block_sort_config_selectorIlNS0_10empty_typeEEEZNS1_21merge_sort_block_sortIS3_PlS8_PS5_S9_ZN2at6native12_GLOBAL__N_124unique_dim_cuda_templateIsEESt5tupleIJNSA_6TensorESF_SF_EERKSF_lbbbEUlllE_EE10hipError_tT0_T1_T2_T3_mRjT4_P12ihipStream_tbNS1_7vsmem_tEEUlT_E_NS1_11comp_targetILNS1_3genE4ELNS1_11target_archE910ELNS1_3gpuE8ELNS1_3repE0EEENS1_30default_config_static_selectorELNS0_4arch9wavefront6targetE0EEEvSM_
                                        ; -- End function
	.set _ZN7rocprim17ROCPRIM_400000_NS6detail17trampoline_kernelINS0_14default_configENS1_37merge_sort_block_sort_config_selectorIlNS0_10empty_typeEEEZNS1_21merge_sort_block_sortIS3_PlS8_PS5_S9_ZN2at6native12_GLOBAL__N_124unique_dim_cuda_templateIsEESt5tupleIJNSA_6TensorESF_SF_EERKSF_lbbbEUlllE_EE10hipError_tT0_T1_T2_T3_mRjT4_P12ihipStream_tbNS1_7vsmem_tEEUlT_E_NS1_11comp_targetILNS1_3genE4ELNS1_11target_archE910ELNS1_3gpuE8ELNS1_3repE0EEENS1_30default_config_static_selectorELNS0_4arch9wavefront6targetE0EEEvSM_.num_vgpr, 0
	.set _ZN7rocprim17ROCPRIM_400000_NS6detail17trampoline_kernelINS0_14default_configENS1_37merge_sort_block_sort_config_selectorIlNS0_10empty_typeEEEZNS1_21merge_sort_block_sortIS3_PlS8_PS5_S9_ZN2at6native12_GLOBAL__N_124unique_dim_cuda_templateIsEESt5tupleIJNSA_6TensorESF_SF_EERKSF_lbbbEUlllE_EE10hipError_tT0_T1_T2_T3_mRjT4_P12ihipStream_tbNS1_7vsmem_tEEUlT_E_NS1_11comp_targetILNS1_3genE4ELNS1_11target_archE910ELNS1_3gpuE8ELNS1_3repE0EEENS1_30default_config_static_selectorELNS0_4arch9wavefront6targetE0EEEvSM_.num_agpr, 0
	.set _ZN7rocprim17ROCPRIM_400000_NS6detail17trampoline_kernelINS0_14default_configENS1_37merge_sort_block_sort_config_selectorIlNS0_10empty_typeEEEZNS1_21merge_sort_block_sortIS3_PlS8_PS5_S9_ZN2at6native12_GLOBAL__N_124unique_dim_cuda_templateIsEESt5tupleIJNSA_6TensorESF_SF_EERKSF_lbbbEUlllE_EE10hipError_tT0_T1_T2_T3_mRjT4_P12ihipStream_tbNS1_7vsmem_tEEUlT_E_NS1_11comp_targetILNS1_3genE4ELNS1_11target_archE910ELNS1_3gpuE8ELNS1_3repE0EEENS1_30default_config_static_selectorELNS0_4arch9wavefront6targetE0EEEvSM_.numbered_sgpr, 0
	.set _ZN7rocprim17ROCPRIM_400000_NS6detail17trampoline_kernelINS0_14default_configENS1_37merge_sort_block_sort_config_selectorIlNS0_10empty_typeEEEZNS1_21merge_sort_block_sortIS3_PlS8_PS5_S9_ZN2at6native12_GLOBAL__N_124unique_dim_cuda_templateIsEESt5tupleIJNSA_6TensorESF_SF_EERKSF_lbbbEUlllE_EE10hipError_tT0_T1_T2_T3_mRjT4_P12ihipStream_tbNS1_7vsmem_tEEUlT_E_NS1_11comp_targetILNS1_3genE4ELNS1_11target_archE910ELNS1_3gpuE8ELNS1_3repE0EEENS1_30default_config_static_selectorELNS0_4arch9wavefront6targetE0EEEvSM_.num_named_barrier, 0
	.set _ZN7rocprim17ROCPRIM_400000_NS6detail17trampoline_kernelINS0_14default_configENS1_37merge_sort_block_sort_config_selectorIlNS0_10empty_typeEEEZNS1_21merge_sort_block_sortIS3_PlS8_PS5_S9_ZN2at6native12_GLOBAL__N_124unique_dim_cuda_templateIsEESt5tupleIJNSA_6TensorESF_SF_EERKSF_lbbbEUlllE_EE10hipError_tT0_T1_T2_T3_mRjT4_P12ihipStream_tbNS1_7vsmem_tEEUlT_E_NS1_11comp_targetILNS1_3genE4ELNS1_11target_archE910ELNS1_3gpuE8ELNS1_3repE0EEENS1_30default_config_static_selectorELNS0_4arch9wavefront6targetE0EEEvSM_.private_seg_size, 0
	.set _ZN7rocprim17ROCPRIM_400000_NS6detail17trampoline_kernelINS0_14default_configENS1_37merge_sort_block_sort_config_selectorIlNS0_10empty_typeEEEZNS1_21merge_sort_block_sortIS3_PlS8_PS5_S9_ZN2at6native12_GLOBAL__N_124unique_dim_cuda_templateIsEESt5tupleIJNSA_6TensorESF_SF_EERKSF_lbbbEUlllE_EE10hipError_tT0_T1_T2_T3_mRjT4_P12ihipStream_tbNS1_7vsmem_tEEUlT_E_NS1_11comp_targetILNS1_3genE4ELNS1_11target_archE910ELNS1_3gpuE8ELNS1_3repE0EEENS1_30default_config_static_selectorELNS0_4arch9wavefront6targetE0EEEvSM_.uses_vcc, 0
	.set _ZN7rocprim17ROCPRIM_400000_NS6detail17trampoline_kernelINS0_14default_configENS1_37merge_sort_block_sort_config_selectorIlNS0_10empty_typeEEEZNS1_21merge_sort_block_sortIS3_PlS8_PS5_S9_ZN2at6native12_GLOBAL__N_124unique_dim_cuda_templateIsEESt5tupleIJNSA_6TensorESF_SF_EERKSF_lbbbEUlllE_EE10hipError_tT0_T1_T2_T3_mRjT4_P12ihipStream_tbNS1_7vsmem_tEEUlT_E_NS1_11comp_targetILNS1_3genE4ELNS1_11target_archE910ELNS1_3gpuE8ELNS1_3repE0EEENS1_30default_config_static_selectorELNS0_4arch9wavefront6targetE0EEEvSM_.uses_flat_scratch, 0
	.set _ZN7rocprim17ROCPRIM_400000_NS6detail17trampoline_kernelINS0_14default_configENS1_37merge_sort_block_sort_config_selectorIlNS0_10empty_typeEEEZNS1_21merge_sort_block_sortIS3_PlS8_PS5_S9_ZN2at6native12_GLOBAL__N_124unique_dim_cuda_templateIsEESt5tupleIJNSA_6TensorESF_SF_EERKSF_lbbbEUlllE_EE10hipError_tT0_T1_T2_T3_mRjT4_P12ihipStream_tbNS1_7vsmem_tEEUlT_E_NS1_11comp_targetILNS1_3genE4ELNS1_11target_archE910ELNS1_3gpuE8ELNS1_3repE0EEENS1_30default_config_static_selectorELNS0_4arch9wavefront6targetE0EEEvSM_.has_dyn_sized_stack, 0
	.set _ZN7rocprim17ROCPRIM_400000_NS6detail17trampoline_kernelINS0_14default_configENS1_37merge_sort_block_sort_config_selectorIlNS0_10empty_typeEEEZNS1_21merge_sort_block_sortIS3_PlS8_PS5_S9_ZN2at6native12_GLOBAL__N_124unique_dim_cuda_templateIsEESt5tupleIJNSA_6TensorESF_SF_EERKSF_lbbbEUlllE_EE10hipError_tT0_T1_T2_T3_mRjT4_P12ihipStream_tbNS1_7vsmem_tEEUlT_E_NS1_11comp_targetILNS1_3genE4ELNS1_11target_archE910ELNS1_3gpuE8ELNS1_3repE0EEENS1_30default_config_static_selectorELNS0_4arch9wavefront6targetE0EEEvSM_.has_recursion, 0
	.set _ZN7rocprim17ROCPRIM_400000_NS6detail17trampoline_kernelINS0_14default_configENS1_37merge_sort_block_sort_config_selectorIlNS0_10empty_typeEEEZNS1_21merge_sort_block_sortIS3_PlS8_PS5_S9_ZN2at6native12_GLOBAL__N_124unique_dim_cuda_templateIsEESt5tupleIJNSA_6TensorESF_SF_EERKSF_lbbbEUlllE_EE10hipError_tT0_T1_T2_T3_mRjT4_P12ihipStream_tbNS1_7vsmem_tEEUlT_E_NS1_11comp_targetILNS1_3genE4ELNS1_11target_archE910ELNS1_3gpuE8ELNS1_3repE0EEENS1_30default_config_static_selectorELNS0_4arch9wavefront6targetE0EEEvSM_.has_indirect_call, 0
	.section	.AMDGPU.csdata,"",@progbits
; Kernel info:
; codeLenInByte = 0
; TotalNumSgprs: 0
; NumVgprs: 0
; ScratchSize: 0
; MemoryBound: 0
; FloatMode: 240
; IeeeMode: 1
; LDSByteSize: 0 bytes/workgroup (compile time only)
; SGPRBlocks: 0
; VGPRBlocks: 0
; NumSGPRsForWavesPerEU: 1
; NumVGPRsForWavesPerEU: 1
; NamedBarCnt: 0
; Occupancy: 16
; WaveLimiterHint : 0
; COMPUTE_PGM_RSRC2:SCRATCH_EN: 0
; COMPUTE_PGM_RSRC2:USER_SGPR: 2
; COMPUTE_PGM_RSRC2:TRAP_HANDLER: 0
; COMPUTE_PGM_RSRC2:TGID_X_EN: 1
; COMPUTE_PGM_RSRC2:TGID_Y_EN: 0
; COMPUTE_PGM_RSRC2:TGID_Z_EN: 0
; COMPUTE_PGM_RSRC2:TIDIG_COMP_CNT: 0
	.section	.text._ZN7rocprim17ROCPRIM_400000_NS6detail17trampoline_kernelINS0_14default_configENS1_37merge_sort_block_sort_config_selectorIlNS0_10empty_typeEEEZNS1_21merge_sort_block_sortIS3_PlS8_PS5_S9_ZN2at6native12_GLOBAL__N_124unique_dim_cuda_templateIsEESt5tupleIJNSA_6TensorESF_SF_EERKSF_lbbbEUlllE_EE10hipError_tT0_T1_T2_T3_mRjT4_P12ihipStream_tbNS1_7vsmem_tEEUlT_E_NS1_11comp_targetILNS1_3genE3ELNS1_11target_archE908ELNS1_3gpuE7ELNS1_3repE0EEENS1_30default_config_static_selectorELNS0_4arch9wavefront6targetE0EEEvSM_,"axG",@progbits,_ZN7rocprim17ROCPRIM_400000_NS6detail17trampoline_kernelINS0_14default_configENS1_37merge_sort_block_sort_config_selectorIlNS0_10empty_typeEEEZNS1_21merge_sort_block_sortIS3_PlS8_PS5_S9_ZN2at6native12_GLOBAL__N_124unique_dim_cuda_templateIsEESt5tupleIJNSA_6TensorESF_SF_EERKSF_lbbbEUlllE_EE10hipError_tT0_T1_T2_T3_mRjT4_P12ihipStream_tbNS1_7vsmem_tEEUlT_E_NS1_11comp_targetILNS1_3genE3ELNS1_11target_archE908ELNS1_3gpuE7ELNS1_3repE0EEENS1_30default_config_static_selectorELNS0_4arch9wavefront6targetE0EEEvSM_,comdat
	.globl	_ZN7rocprim17ROCPRIM_400000_NS6detail17trampoline_kernelINS0_14default_configENS1_37merge_sort_block_sort_config_selectorIlNS0_10empty_typeEEEZNS1_21merge_sort_block_sortIS3_PlS8_PS5_S9_ZN2at6native12_GLOBAL__N_124unique_dim_cuda_templateIsEESt5tupleIJNSA_6TensorESF_SF_EERKSF_lbbbEUlllE_EE10hipError_tT0_T1_T2_T3_mRjT4_P12ihipStream_tbNS1_7vsmem_tEEUlT_E_NS1_11comp_targetILNS1_3genE3ELNS1_11target_archE908ELNS1_3gpuE7ELNS1_3repE0EEENS1_30default_config_static_selectorELNS0_4arch9wavefront6targetE0EEEvSM_ ; -- Begin function _ZN7rocprim17ROCPRIM_400000_NS6detail17trampoline_kernelINS0_14default_configENS1_37merge_sort_block_sort_config_selectorIlNS0_10empty_typeEEEZNS1_21merge_sort_block_sortIS3_PlS8_PS5_S9_ZN2at6native12_GLOBAL__N_124unique_dim_cuda_templateIsEESt5tupleIJNSA_6TensorESF_SF_EERKSF_lbbbEUlllE_EE10hipError_tT0_T1_T2_T3_mRjT4_P12ihipStream_tbNS1_7vsmem_tEEUlT_E_NS1_11comp_targetILNS1_3genE3ELNS1_11target_archE908ELNS1_3gpuE7ELNS1_3repE0EEENS1_30default_config_static_selectorELNS0_4arch9wavefront6targetE0EEEvSM_
	.p2align	8
	.type	_ZN7rocprim17ROCPRIM_400000_NS6detail17trampoline_kernelINS0_14default_configENS1_37merge_sort_block_sort_config_selectorIlNS0_10empty_typeEEEZNS1_21merge_sort_block_sortIS3_PlS8_PS5_S9_ZN2at6native12_GLOBAL__N_124unique_dim_cuda_templateIsEESt5tupleIJNSA_6TensorESF_SF_EERKSF_lbbbEUlllE_EE10hipError_tT0_T1_T2_T3_mRjT4_P12ihipStream_tbNS1_7vsmem_tEEUlT_E_NS1_11comp_targetILNS1_3genE3ELNS1_11target_archE908ELNS1_3gpuE7ELNS1_3repE0EEENS1_30default_config_static_selectorELNS0_4arch9wavefront6targetE0EEEvSM_,@function
_ZN7rocprim17ROCPRIM_400000_NS6detail17trampoline_kernelINS0_14default_configENS1_37merge_sort_block_sort_config_selectorIlNS0_10empty_typeEEEZNS1_21merge_sort_block_sortIS3_PlS8_PS5_S9_ZN2at6native12_GLOBAL__N_124unique_dim_cuda_templateIsEESt5tupleIJNSA_6TensorESF_SF_EERKSF_lbbbEUlllE_EE10hipError_tT0_T1_T2_T3_mRjT4_P12ihipStream_tbNS1_7vsmem_tEEUlT_E_NS1_11comp_targetILNS1_3genE3ELNS1_11target_archE908ELNS1_3gpuE7ELNS1_3repE0EEENS1_30default_config_static_selectorELNS0_4arch9wavefront6targetE0EEEvSM_: ; @_ZN7rocprim17ROCPRIM_400000_NS6detail17trampoline_kernelINS0_14default_configENS1_37merge_sort_block_sort_config_selectorIlNS0_10empty_typeEEEZNS1_21merge_sort_block_sortIS3_PlS8_PS5_S9_ZN2at6native12_GLOBAL__N_124unique_dim_cuda_templateIsEESt5tupleIJNSA_6TensorESF_SF_EERKSF_lbbbEUlllE_EE10hipError_tT0_T1_T2_T3_mRjT4_P12ihipStream_tbNS1_7vsmem_tEEUlT_E_NS1_11comp_targetILNS1_3genE3ELNS1_11target_archE908ELNS1_3gpuE7ELNS1_3repE0EEENS1_30default_config_static_selectorELNS0_4arch9wavefront6targetE0EEEvSM_
; %bb.0:
	.section	.rodata,"a",@progbits
	.p2align	6, 0x0
	.amdhsa_kernel _ZN7rocprim17ROCPRIM_400000_NS6detail17trampoline_kernelINS0_14default_configENS1_37merge_sort_block_sort_config_selectorIlNS0_10empty_typeEEEZNS1_21merge_sort_block_sortIS3_PlS8_PS5_S9_ZN2at6native12_GLOBAL__N_124unique_dim_cuda_templateIsEESt5tupleIJNSA_6TensorESF_SF_EERKSF_lbbbEUlllE_EE10hipError_tT0_T1_T2_T3_mRjT4_P12ihipStream_tbNS1_7vsmem_tEEUlT_E_NS1_11comp_targetILNS1_3genE3ELNS1_11target_archE908ELNS1_3gpuE7ELNS1_3repE0EEENS1_30default_config_static_selectorELNS0_4arch9wavefront6targetE0EEEvSM_
		.amdhsa_group_segment_fixed_size 0
		.amdhsa_private_segment_fixed_size 0
		.amdhsa_kernarg_size 72
		.amdhsa_user_sgpr_count 2
		.amdhsa_user_sgpr_dispatch_ptr 0
		.amdhsa_user_sgpr_queue_ptr 0
		.amdhsa_user_sgpr_kernarg_segment_ptr 1
		.amdhsa_user_sgpr_dispatch_id 0
		.amdhsa_user_sgpr_kernarg_preload_length 0
		.amdhsa_user_sgpr_kernarg_preload_offset 0
		.amdhsa_user_sgpr_private_segment_size 0
		.amdhsa_wavefront_size32 1
		.amdhsa_uses_dynamic_stack 0
		.amdhsa_enable_private_segment 0
		.amdhsa_system_sgpr_workgroup_id_x 1
		.amdhsa_system_sgpr_workgroup_id_y 0
		.amdhsa_system_sgpr_workgroup_id_z 0
		.amdhsa_system_sgpr_workgroup_info 0
		.amdhsa_system_vgpr_workitem_id 0
		.amdhsa_next_free_vgpr 1
		.amdhsa_next_free_sgpr 1
		.amdhsa_named_barrier_count 0
		.amdhsa_reserve_vcc 0
		.amdhsa_float_round_mode_32 0
		.amdhsa_float_round_mode_16_64 0
		.amdhsa_float_denorm_mode_32 3
		.amdhsa_float_denorm_mode_16_64 3
		.amdhsa_fp16_overflow 0
		.amdhsa_memory_ordered 1
		.amdhsa_forward_progress 1
		.amdhsa_inst_pref_size 0
		.amdhsa_round_robin_scheduling 0
		.amdhsa_exception_fp_ieee_invalid_op 0
		.amdhsa_exception_fp_denorm_src 0
		.amdhsa_exception_fp_ieee_div_zero 0
		.amdhsa_exception_fp_ieee_overflow 0
		.amdhsa_exception_fp_ieee_underflow 0
		.amdhsa_exception_fp_ieee_inexact 0
		.amdhsa_exception_int_div_zero 0
	.end_amdhsa_kernel
	.section	.text._ZN7rocprim17ROCPRIM_400000_NS6detail17trampoline_kernelINS0_14default_configENS1_37merge_sort_block_sort_config_selectorIlNS0_10empty_typeEEEZNS1_21merge_sort_block_sortIS3_PlS8_PS5_S9_ZN2at6native12_GLOBAL__N_124unique_dim_cuda_templateIsEESt5tupleIJNSA_6TensorESF_SF_EERKSF_lbbbEUlllE_EE10hipError_tT0_T1_T2_T3_mRjT4_P12ihipStream_tbNS1_7vsmem_tEEUlT_E_NS1_11comp_targetILNS1_3genE3ELNS1_11target_archE908ELNS1_3gpuE7ELNS1_3repE0EEENS1_30default_config_static_selectorELNS0_4arch9wavefront6targetE0EEEvSM_,"axG",@progbits,_ZN7rocprim17ROCPRIM_400000_NS6detail17trampoline_kernelINS0_14default_configENS1_37merge_sort_block_sort_config_selectorIlNS0_10empty_typeEEEZNS1_21merge_sort_block_sortIS3_PlS8_PS5_S9_ZN2at6native12_GLOBAL__N_124unique_dim_cuda_templateIsEESt5tupleIJNSA_6TensorESF_SF_EERKSF_lbbbEUlllE_EE10hipError_tT0_T1_T2_T3_mRjT4_P12ihipStream_tbNS1_7vsmem_tEEUlT_E_NS1_11comp_targetILNS1_3genE3ELNS1_11target_archE908ELNS1_3gpuE7ELNS1_3repE0EEENS1_30default_config_static_selectorELNS0_4arch9wavefront6targetE0EEEvSM_,comdat
.Lfunc_end630:
	.size	_ZN7rocprim17ROCPRIM_400000_NS6detail17trampoline_kernelINS0_14default_configENS1_37merge_sort_block_sort_config_selectorIlNS0_10empty_typeEEEZNS1_21merge_sort_block_sortIS3_PlS8_PS5_S9_ZN2at6native12_GLOBAL__N_124unique_dim_cuda_templateIsEESt5tupleIJNSA_6TensorESF_SF_EERKSF_lbbbEUlllE_EE10hipError_tT0_T1_T2_T3_mRjT4_P12ihipStream_tbNS1_7vsmem_tEEUlT_E_NS1_11comp_targetILNS1_3genE3ELNS1_11target_archE908ELNS1_3gpuE7ELNS1_3repE0EEENS1_30default_config_static_selectorELNS0_4arch9wavefront6targetE0EEEvSM_, .Lfunc_end630-_ZN7rocprim17ROCPRIM_400000_NS6detail17trampoline_kernelINS0_14default_configENS1_37merge_sort_block_sort_config_selectorIlNS0_10empty_typeEEEZNS1_21merge_sort_block_sortIS3_PlS8_PS5_S9_ZN2at6native12_GLOBAL__N_124unique_dim_cuda_templateIsEESt5tupleIJNSA_6TensorESF_SF_EERKSF_lbbbEUlllE_EE10hipError_tT0_T1_T2_T3_mRjT4_P12ihipStream_tbNS1_7vsmem_tEEUlT_E_NS1_11comp_targetILNS1_3genE3ELNS1_11target_archE908ELNS1_3gpuE7ELNS1_3repE0EEENS1_30default_config_static_selectorELNS0_4arch9wavefront6targetE0EEEvSM_
                                        ; -- End function
	.set _ZN7rocprim17ROCPRIM_400000_NS6detail17trampoline_kernelINS0_14default_configENS1_37merge_sort_block_sort_config_selectorIlNS0_10empty_typeEEEZNS1_21merge_sort_block_sortIS3_PlS8_PS5_S9_ZN2at6native12_GLOBAL__N_124unique_dim_cuda_templateIsEESt5tupleIJNSA_6TensorESF_SF_EERKSF_lbbbEUlllE_EE10hipError_tT0_T1_T2_T3_mRjT4_P12ihipStream_tbNS1_7vsmem_tEEUlT_E_NS1_11comp_targetILNS1_3genE3ELNS1_11target_archE908ELNS1_3gpuE7ELNS1_3repE0EEENS1_30default_config_static_selectorELNS0_4arch9wavefront6targetE0EEEvSM_.num_vgpr, 0
	.set _ZN7rocprim17ROCPRIM_400000_NS6detail17trampoline_kernelINS0_14default_configENS1_37merge_sort_block_sort_config_selectorIlNS0_10empty_typeEEEZNS1_21merge_sort_block_sortIS3_PlS8_PS5_S9_ZN2at6native12_GLOBAL__N_124unique_dim_cuda_templateIsEESt5tupleIJNSA_6TensorESF_SF_EERKSF_lbbbEUlllE_EE10hipError_tT0_T1_T2_T3_mRjT4_P12ihipStream_tbNS1_7vsmem_tEEUlT_E_NS1_11comp_targetILNS1_3genE3ELNS1_11target_archE908ELNS1_3gpuE7ELNS1_3repE0EEENS1_30default_config_static_selectorELNS0_4arch9wavefront6targetE0EEEvSM_.num_agpr, 0
	.set _ZN7rocprim17ROCPRIM_400000_NS6detail17trampoline_kernelINS0_14default_configENS1_37merge_sort_block_sort_config_selectorIlNS0_10empty_typeEEEZNS1_21merge_sort_block_sortIS3_PlS8_PS5_S9_ZN2at6native12_GLOBAL__N_124unique_dim_cuda_templateIsEESt5tupleIJNSA_6TensorESF_SF_EERKSF_lbbbEUlllE_EE10hipError_tT0_T1_T2_T3_mRjT4_P12ihipStream_tbNS1_7vsmem_tEEUlT_E_NS1_11comp_targetILNS1_3genE3ELNS1_11target_archE908ELNS1_3gpuE7ELNS1_3repE0EEENS1_30default_config_static_selectorELNS0_4arch9wavefront6targetE0EEEvSM_.numbered_sgpr, 0
	.set _ZN7rocprim17ROCPRIM_400000_NS6detail17trampoline_kernelINS0_14default_configENS1_37merge_sort_block_sort_config_selectorIlNS0_10empty_typeEEEZNS1_21merge_sort_block_sortIS3_PlS8_PS5_S9_ZN2at6native12_GLOBAL__N_124unique_dim_cuda_templateIsEESt5tupleIJNSA_6TensorESF_SF_EERKSF_lbbbEUlllE_EE10hipError_tT0_T1_T2_T3_mRjT4_P12ihipStream_tbNS1_7vsmem_tEEUlT_E_NS1_11comp_targetILNS1_3genE3ELNS1_11target_archE908ELNS1_3gpuE7ELNS1_3repE0EEENS1_30default_config_static_selectorELNS0_4arch9wavefront6targetE0EEEvSM_.num_named_barrier, 0
	.set _ZN7rocprim17ROCPRIM_400000_NS6detail17trampoline_kernelINS0_14default_configENS1_37merge_sort_block_sort_config_selectorIlNS0_10empty_typeEEEZNS1_21merge_sort_block_sortIS3_PlS8_PS5_S9_ZN2at6native12_GLOBAL__N_124unique_dim_cuda_templateIsEESt5tupleIJNSA_6TensorESF_SF_EERKSF_lbbbEUlllE_EE10hipError_tT0_T1_T2_T3_mRjT4_P12ihipStream_tbNS1_7vsmem_tEEUlT_E_NS1_11comp_targetILNS1_3genE3ELNS1_11target_archE908ELNS1_3gpuE7ELNS1_3repE0EEENS1_30default_config_static_selectorELNS0_4arch9wavefront6targetE0EEEvSM_.private_seg_size, 0
	.set _ZN7rocprim17ROCPRIM_400000_NS6detail17trampoline_kernelINS0_14default_configENS1_37merge_sort_block_sort_config_selectorIlNS0_10empty_typeEEEZNS1_21merge_sort_block_sortIS3_PlS8_PS5_S9_ZN2at6native12_GLOBAL__N_124unique_dim_cuda_templateIsEESt5tupleIJNSA_6TensorESF_SF_EERKSF_lbbbEUlllE_EE10hipError_tT0_T1_T2_T3_mRjT4_P12ihipStream_tbNS1_7vsmem_tEEUlT_E_NS1_11comp_targetILNS1_3genE3ELNS1_11target_archE908ELNS1_3gpuE7ELNS1_3repE0EEENS1_30default_config_static_selectorELNS0_4arch9wavefront6targetE0EEEvSM_.uses_vcc, 0
	.set _ZN7rocprim17ROCPRIM_400000_NS6detail17trampoline_kernelINS0_14default_configENS1_37merge_sort_block_sort_config_selectorIlNS0_10empty_typeEEEZNS1_21merge_sort_block_sortIS3_PlS8_PS5_S9_ZN2at6native12_GLOBAL__N_124unique_dim_cuda_templateIsEESt5tupleIJNSA_6TensorESF_SF_EERKSF_lbbbEUlllE_EE10hipError_tT0_T1_T2_T3_mRjT4_P12ihipStream_tbNS1_7vsmem_tEEUlT_E_NS1_11comp_targetILNS1_3genE3ELNS1_11target_archE908ELNS1_3gpuE7ELNS1_3repE0EEENS1_30default_config_static_selectorELNS0_4arch9wavefront6targetE0EEEvSM_.uses_flat_scratch, 0
	.set _ZN7rocprim17ROCPRIM_400000_NS6detail17trampoline_kernelINS0_14default_configENS1_37merge_sort_block_sort_config_selectorIlNS0_10empty_typeEEEZNS1_21merge_sort_block_sortIS3_PlS8_PS5_S9_ZN2at6native12_GLOBAL__N_124unique_dim_cuda_templateIsEESt5tupleIJNSA_6TensorESF_SF_EERKSF_lbbbEUlllE_EE10hipError_tT0_T1_T2_T3_mRjT4_P12ihipStream_tbNS1_7vsmem_tEEUlT_E_NS1_11comp_targetILNS1_3genE3ELNS1_11target_archE908ELNS1_3gpuE7ELNS1_3repE0EEENS1_30default_config_static_selectorELNS0_4arch9wavefront6targetE0EEEvSM_.has_dyn_sized_stack, 0
	.set _ZN7rocprim17ROCPRIM_400000_NS6detail17trampoline_kernelINS0_14default_configENS1_37merge_sort_block_sort_config_selectorIlNS0_10empty_typeEEEZNS1_21merge_sort_block_sortIS3_PlS8_PS5_S9_ZN2at6native12_GLOBAL__N_124unique_dim_cuda_templateIsEESt5tupleIJNSA_6TensorESF_SF_EERKSF_lbbbEUlllE_EE10hipError_tT0_T1_T2_T3_mRjT4_P12ihipStream_tbNS1_7vsmem_tEEUlT_E_NS1_11comp_targetILNS1_3genE3ELNS1_11target_archE908ELNS1_3gpuE7ELNS1_3repE0EEENS1_30default_config_static_selectorELNS0_4arch9wavefront6targetE0EEEvSM_.has_recursion, 0
	.set _ZN7rocprim17ROCPRIM_400000_NS6detail17trampoline_kernelINS0_14default_configENS1_37merge_sort_block_sort_config_selectorIlNS0_10empty_typeEEEZNS1_21merge_sort_block_sortIS3_PlS8_PS5_S9_ZN2at6native12_GLOBAL__N_124unique_dim_cuda_templateIsEESt5tupleIJNSA_6TensorESF_SF_EERKSF_lbbbEUlllE_EE10hipError_tT0_T1_T2_T3_mRjT4_P12ihipStream_tbNS1_7vsmem_tEEUlT_E_NS1_11comp_targetILNS1_3genE3ELNS1_11target_archE908ELNS1_3gpuE7ELNS1_3repE0EEENS1_30default_config_static_selectorELNS0_4arch9wavefront6targetE0EEEvSM_.has_indirect_call, 0
	.section	.AMDGPU.csdata,"",@progbits
; Kernel info:
; codeLenInByte = 0
; TotalNumSgprs: 0
; NumVgprs: 0
; ScratchSize: 0
; MemoryBound: 0
; FloatMode: 240
; IeeeMode: 1
; LDSByteSize: 0 bytes/workgroup (compile time only)
; SGPRBlocks: 0
; VGPRBlocks: 0
; NumSGPRsForWavesPerEU: 1
; NumVGPRsForWavesPerEU: 1
; NamedBarCnt: 0
; Occupancy: 16
; WaveLimiterHint : 0
; COMPUTE_PGM_RSRC2:SCRATCH_EN: 0
; COMPUTE_PGM_RSRC2:USER_SGPR: 2
; COMPUTE_PGM_RSRC2:TRAP_HANDLER: 0
; COMPUTE_PGM_RSRC2:TGID_X_EN: 1
; COMPUTE_PGM_RSRC2:TGID_Y_EN: 0
; COMPUTE_PGM_RSRC2:TGID_Z_EN: 0
; COMPUTE_PGM_RSRC2:TIDIG_COMP_CNT: 0
	.section	.text._ZN7rocprim17ROCPRIM_400000_NS6detail17trampoline_kernelINS0_14default_configENS1_37merge_sort_block_sort_config_selectorIlNS0_10empty_typeEEEZNS1_21merge_sort_block_sortIS3_PlS8_PS5_S9_ZN2at6native12_GLOBAL__N_124unique_dim_cuda_templateIsEESt5tupleIJNSA_6TensorESF_SF_EERKSF_lbbbEUlllE_EE10hipError_tT0_T1_T2_T3_mRjT4_P12ihipStream_tbNS1_7vsmem_tEEUlT_E_NS1_11comp_targetILNS1_3genE2ELNS1_11target_archE906ELNS1_3gpuE6ELNS1_3repE0EEENS1_30default_config_static_selectorELNS0_4arch9wavefront6targetE0EEEvSM_,"axG",@progbits,_ZN7rocprim17ROCPRIM_400000_NS6detail17trampoline_kernelINS0_14default_configENS1_37merge_sort_block_sort_config_selectorIlNS0_10empty_typeEEEZNS1_21merge_sort_block_sortIS3_PlS8_PS5_S9_ZN2at6native12_GLOBAL__N_124unique_dim_cuda_templateIsEESt5tupleIJNSA_6TensorESF_SF_EERKSF_lbbbEUlllE_EE10hipError_tT0_T1_T2_T3_mRjT4_P12ihipStream_tbNS1_7vsmem_tEEUlT_E_NS1_11comp_targetILNS1_3genE2ELNS1_11target_archE906ELNS1_3gpuE6ELNS1_3repE0EEENS1_30default_config_static_selectorELNS0_4arch9wavefront6targetE0EEEvSM_,comdat
	.globl	_ZN7rocprim17ROCPRIM_400000_NS6detail17trampoline_kernelINS0_14default_configENS1_37merge_sort_block_sort_config_selectorIlNS0_10empty_typeEEEZNS1_21merge_sort_block_sortIS3_PlS8_PS5_S9_ZN2at6native12_GLOBAL__N_124unique_dim_cuda_templateIsEESt5tupleIJNSA_6TensorESF_SF_EERKSF_lbbbEUlllE_EE10hipError_tT0_T1_T2_T3_mRjT4_P12ihipStream_tbNS1_7vsmem_tEEUlT_E_NS1_11comp_targetILNS1_3genE2ELNS1_11target_archE906ELNS1_3gpuE6ELNS1_3repE0EEENS1_30default_config_static_selectorELNS0_4arch9wavefront6targetE0EEEvSM_ ; -- Begin function _ZN7rocprim17ROCPRIM_400000_NS6detail17trampoline_kernelINS0_14default_configENS1_37merge_sort_block_sort_config_selectorIlNS0_10empty_typeEEEZNS1_21merge_sort_block_sortIS3_PlS8_PS5_S9_ZN2at6native12_GLOBAL__N_124unique_dim_cuda_templateIsEESt5tupleIJNSA_6TensorESF_SF_EERKSF_lbbbEUlllE_EE10hipError_tT0_T1_T2_T3_mRjT4_P12ihipStream_tbNS1_7vsmem_tEEUlT_E_NS1_11comp_targetILNS1_3genE2ELNS1_11target_archE906ELNS1_3gpuE6ELNS1_3repE0EEENS1_30default_config_static_selectorELNS0_4arch9wavefront6targetE0EEEvSM_
	.p2align	8
	.type	_ZN7rocprim17ROCPRIM_400000_NS6detail17trampoline_kernelINS0_14default_configENS1_37merge_sort_block_sort_config_selectorIlNS0_10empty_typeEEEZNS1_21merge_sort_block_sortIS3_PlS8_PS5_S9_ZN2at6native12_GLOBAL__N_124unique_dim_cuda_templateIsEESt5tupleIJNSA_6TensorESF_SF_EERKSF_lbbbEUlllE_EE10hipError_tT0_T1_T2_T3_mRjT4_P12ihipStream_tbNS1_7vsmem_tEEUlT_E_NS1_11comp_targetILNS1_3genE2ELNS1_11target_archE906ELNS1_3gpuE6ELNS1_3repE0EEENS1_30default_config_static_selectorELNS0_4arch9wavefront6targetE0EEEvSM_,@function
_ZN7rocprim17ROCPRIM_400000_NS6detail17trampoline_kernelINS0_14default_configENS1_37merge_sort_block_sort_config_selectorIlNS0_10empty_typeEEEZNS1_21merge_sort_block_sortIS3_PlS8_PS5_S9_ZN2at6native12_GLOBAL__N_124unique_dim_cuda_templateIsEESt5tupleIJNSA_6TensorESF_SF_EERKSF_lbbbEUlllE_EE10hipError_tT0_T1_T2_T3_mRjT4_P12ihipStream_tbNS1_7vsmem_tEEUlT_E_NS1_11comp_targetILNS1_3genE2ELNS1_11target_archE906ELNS1_3gpuE6ELNS1_3repE0EEENS1_30default_config_static_selectorELNS0_4arch9wavefront6targetE0EEEvSM_: ; @_ZN7rocprim17ROCPRIM_400000_NS6detail17trampoline_kernelINS0_14default_configENS1_37merge_sort_block_sort_config_selectorIlNS0_10empty_typeEEEZNS1_21merge_sort_block_sortIS3_PlS8_PS5_S9_ZN2at6native12_GLOBAL__N_124unique_dim_cuda_templateIsEESt5tupleIJNSA_6TensorESF_SF_EERKSF_lbbbEUlllE_EE10hipError_tT0_T1_T2_T3_mRjT4_P12ihipStream_tbNS1_7vsmem_tEEUlT_E_NS1_11comp_targetILNS1_3genE2ELNS1_11target_archE906ELNS1_3gpuE6ELNS1_3repE0EEENS1_30default_config_static_selectorELNS0_4arch9wavefront6targetE0EEEvSM_
; %bb.0:
	.section	.rodata,"a",@progbits
	.p2align	6, 0x0
	.amdhsa_kernel _ZN7rocprim17ROCPRIM_400000_NS6detail17trampoline_kernelINS0_14default_configENS1_37merge_sort_block_sort_config_selectorIlNS0_10empty_typeEEEZNS1_21merge_sort_block_sortIS3_PlS8_PS5_S9_ZN2at6native12_GLOBAL__N_124unique_dim_cuda_templateIsEESt5tupleIJNSA_6TensorESF_SF_EERKSF_lbbbEUlllE_EE10hipError_tT0_T1_T2_T3_mRjT4_P12ihipStream_tbNS1_7vsmem_tEEUlT_E_NS1_11comp_targetILNS1_3genE2ELNS1_11target_archE906ELNS1_3gpuE6ELNS1_3repE0EEENS1_30default_config_static_selectorELNS0_4arch9wavefront6targetE0EEEvSM_
		.amdhsa_group_segment_fixed_size 0
		.amdhsa_private_segment_fixed_size 0
		.amdhsa_kernarg_size 72
		.amdhsa_user_sgpr_count 2
		.amdhsa_user_sgpr_dispatch_ptr 0
		.amdhsa_user_sgpr_queue_ptr 0
		.amdhsa_user_sgpr_kernarg_segment_ptr 1
		.amdhsa_user_sgpr_dispatch_id 0
		.amdhsa_user_sgpr_kernarg_preload_length 0
		.amdhsa_user_sgpr_kernarg_preload_offset 0
		.amdhsa_user_sgpr_private_segment_size 0
		.amdhsa_wavefront_size32 1
		.amdhsa_uses_dynamic_stack 0
		.amdhsa_enable_private_segment 0
		.amdhsa_system_sgpr_workgroup_id_x 1
		.amdhsa_system_sgpr_workgroup_id_y 0
		.amdhsa_system_sgpr_workgroup_id_z 0
		.amdhsa_system_sgpr_workgroup_info 0
		.amdhsa_system_vgpr_workitem_id 0
		.amdhsa_next_free_vgpr 1
		.amdhsa_next_free_sgpr 1
		.amdhsa_named_barrier_count 0
		.amdhsa_reserve_vcc 0
		.amdhsa_float_round_mode_32 0
		.amdhsa_float_round_mode_16_64 0
		.amdhsa_float_denorm_mode_32 3
		.amdhsa_float_denorm_mode_16_64 3
		.amdhsa_fp16_overflow 0
		.amdhsa_memory_ordered 1
		.amdhsa_forward_progress 1
		.amdhsa_inst_pref_size 0
		.amdhsa_round_robin_scheduling 0
		.amdhsa_exception_fp_ieee_invalid_op 0
		.amdhsa_exception_fp_denorm_src 0
		.amdhsa_exception_fp_ieee_div_zero 0
		.amdhsa_exception_fp_ieee_overflow 0
		.amdhsa_exception_fp_ieee_underflow 0
		.amdhsa_exception_fp_ieee_inexact 0
		.amdhsa_exception_int_div_zero 0
	.end_amdhsa_kernel
	.section	.text._ZN7rocprim17ROCPRIM_400000_NS6detail17trampoline_kernelINS0_14default_configENS1_37merge_sort_block_sort_config_selectorIlNS0_10empty_typeEEEZNS1_21merge_sort_block_sortIS3_PlS8_PS5_S9_ZN2at6native12_GLOBAL__N_124unique_dim_cuda_templateIsEESt5tupleIJNSA_6TensorESF_SF_EERKSF_lbbbEUlllE_EE10hipError_tT0_T1_T2_T3_mRjT4_P12ihipStream_tbNS1_7vsmem_tEEUlT_E_NS1_11comp_targetILNS1_3genE2ELNS1_11target_archE906ELNS1_3gpuE6ELNS1_3repE0EEENS1_30default_config_static_selectorELNS0_4arch9wavefront6targetE0EEEvSM_,"axG",@progbits,_ZN7rocprim17ROCPRIM_400000_NS6detail17trampoline_kernelINS0_14default_configENS1_37merge_sort_block_sort_config_selectorIlNS0_10empty_typeEEEZNS1_21merge_sort_block_sortIS3_PlS8_PS5_S9_ZN2at6native12_GLOBAL__N_124unique_dim_cuda_templateIsEESt5tupleIJNSA_6TensorESF_SF_EERKSF_lbbbEUlllE_EE10hipError_tT0_T1_T2_T3_mRjT4_P12ihipStream_tbNS1_7vsmem_tEEUlT_E_NS1_11comp_targetILNS1_3genE2ELNS1_11target_archE906ELNS1_3gpuE6ELNS1_3repE0EEENS1_30default_config_static_selectorELNS0_4arch9wavefront6targetE0EEEvSM_,comdat
.Lfunc_end631:
	.size	_ZN7rocprim17ROCPRIM_400000_NS6detail17trampoline_kernelINS0_14default_configENS1_37merge_sort_block_sort_config_selectorIlNS0_10empty_typeEEEZNS1_21merge_sort_block_sortIS3_PlS8_PS5_S9_ZN2at6native12_GLOBAL__N_124unique_dim_cuda_templateIsEESt5tupleIJNSA_6TensorESF_SF_EERKSF_lbbbEUlllE_EE10hipError_tT0_T1_T2_T3_mRjT4_P12ihipStream_tbNS1_7vsmem_tEEUlT_E_NS1_11comp_targetILNS1_3genE2ELNS1_11target_archE906ELNS1_3gpuE6ELNS1_3repE0EEENS1_30default_config_static_selectorELNS0_4arch9wavefront6targetE0EEEvSM_, .Lfunc_end631-_ZN7rocprim17ROCPRIM_400000_NS6detail17trampoline_kernelINS0_14default_configENS1_37merge_sort_block_sort_config_selectorIlNS0_10empty_typeEEEZNS1_21merge_sort_block_sortIS3_PlS8_PS5_S9_ZN2at6native12_GLOBAL__N_124unique_dim_cuda_templateIsEESt5tupleIJNSA_6TensorESF_SF_EERKSF_lbbbEUlllE_EE10hipError_tT0_T1_T2_T3_mRjT4_P12ihipStream_tbNS1_7vsmem_tEEUlT_E_NS1_11comp_targetILNS1_3genE2ELNS1_11target_archE906ELNS1_3gpuE6ELNS1_3repE0EEENS1_30default_config_static_selectorELNS0_4arch9wavefront6targetE0EEEvSM_
                                        ; -- End function
	.set _ZN7rocprim17ROCPRIM_400000_NS6detail17trampoline_kernelINS0_14default_configENS1_37merge_sort_block_sort_config_selectorIlNS0_10empty_typeEEEZNS1_21merge_sort_block_sortIS3_PlS8_PS5_S9_ZN2at6native12_GLOBAL__N_124unique_dim_cuda_templateIsEESt5tupleIJNSA_6TensorESF_SF_EERKSF_lbbbEUlllE_EE10hipError_tT0_T1_T2_T3_mRjT4_P12ihipStream_tbNS1_7vsmem_tEEUlT_E_NS1_11comp_targetILNS1_3genE2ELNS1_11target_archE906ELNS1_3gpuE6ELNS1_3repE0EEENS1_30default_config_static_selectorELNS0_4arch9wavefront6targetE0EEEvSM_.num_vgpr, 0
	.set _ZN7rocprim17ROCPRIM_400000_NS6detail17trampoline_kernelINS0_14default_configENS1_37merge_sort_block_sort_config_selectorIlNS0_10empty_typeEEEZNS1_21merge_sort_block_sortIS3_PlS8_PS5_S9_ZN2at6native12_GLOBAL__N_124unique_dim_cuda_templateIsEESt5tupleIJNSA_6TensorESF_SF_EERKSF_lbbbEUlllE_EE10hipError_tT0_T1_T2_T3_mRjT4_P12ihipStream_tbNS1_7vsmem_tEEUlT_E_NS1_11comp_targetILNS1_3genE2ELNS1_11target_archE906ELNS1_3gpuE6ELNS1_3repE0EEENS1_30default_config_static_selectorELNS0_4arch9wavefront6targetE0EEEvSM_.num_agpr, 0
	.set _ZN7rocprim17ROCPRIM_400000_NS6detail17trampoline_kernelINS0_14default_configENS1_37merge_sort_block_sort_config_selectorIlNS0_10empty_typeEEEZNS1_21merge_sort_block_sortIS3_PlS8_PS5_S9_ZN2at6native12_GLOBAL__N_124unique_dim_cuda_templateIsEESt5tupleIJNSA_6TensorESF_SF_EERKSF_lbbbEUlllE_EE10hipError_tT0_T1_T2_T3_mRjT4_P12ihipStream_tbNS1_7vsmem_tEEUlT_E_NS1_11comp_targetILNS1_3genE2ELNS1_11target_archE906ELNS1_3gpuE6ELNS1_3repE0EEENS1_30default_config_static_selectorELNS0_4arch9wavefront6targetE0EEEvSM_.numbered_sgpr, 0
	.set _ZN7rocprim17ROCPRIM_400000_NS6detail17trampoline_kernelINS0_14default_configENS1_37merge_sort_block_sort_config_selectorIlNS0_10empty_typeEEEZNS1_21merge_sort_block_sortIS3_PlS8_PS5_S9_ZN2at6native12_GLOBAL__N_124unique_dim_cuda_templateIsEESt5tupleIJNSA_6TensorESF_SF_EERKSF_lbbbEUlllE_EE10hipError_tT0_T1_T2_T3_mRjT4_P12ihipStream_tbNS1_7vsmem_tEEUlT_E_NS1_11comp_targetILNS1_3genE2ELNS1_11target_archE906ELNS1_3gpuE6ELNS1_3repE0EEENS1_30default_config_static_selectorELNS0_4arch9wavefront6targetE0EEEvSM_.num_named_barrier, 0
	.set _ZN7rocprim17ROCPRIM_400000_NS6detail17trampoline_kernelINS0_14default_configENS1_37merge_sort_block_sort_config_selectorIlNS0_10empty_typeEEEZNS1_21merge_sort_block_sortIS3_PlS8_PS5_S9_ZN2at6native12_GLOBAL__N_124unique_dim_cuda_templateIsEESt5tupleIJNSA_6TensorESF_SF_EERKSF_lbbbEUlllE_EE10hipError_tT0_T1_T2_T3_mRjT4_P12ihipStream_tbNS1_7vsmem_tEEUlT_E_NS1_11comp_targetILNS1_3genE2ELNS1_11target_archE906ELNS1_3gpuE6ELNS1_3repE0EEENS1_30default_config_static_selectorELNS0_4arch9wavefront6targetE0EEEvSM_.private_seg_size, 0
	.set _ZN7rocprim17ROCPRIM_400000_NS6detail17trampoline_kernelINS0_14default_configENS1_37merge_sort_block_sort_config_selectorIlNS0_10empty_typeEEEZNS1_21merge_sort_block_sortIS3_PlS8_PS5_S9_ZN2at6native12_GLOBAL__N_124unique_dim_cuda_templateIsEESt5tupleIJNSA_6TensorESF_SF_EERKSF_lbbbEUlllE_EE10hipError_tT0_T1_T2_T3_mRjT4_P12ihipStream_tbNS1_7vsmem_tEEUlT_E_NS1_11comp_targetILNS1_3genE2ELNS1_11target_archE906ELNS1_3gpuE6ELNS1_3repE0EEENS1_30default_config_static_selectorELNS0_4arch9wavefront6targetE0EEEvSM_.uses_vcc, 0
	.set _ZN7rocprim17ROCPRIM_400000_NS6detail17trampoline_kernelINS0_14default_configENS1_37merge_sort_block_sort_config_selectorIlNS0_10empty_typeEEEZNS1_21merge_sort_block_sortIS3_PlS8_PS5_S9_ZN2at6native12_GLOBAL__N_124unique_dim_cuda_templateIsEESt5tupleIJNSA_6TensorESF_SF_EERKSF_lbbbEUlllE_EE10hipError_tT0_T1_T2_T3_mRjT4_P12ihipStream_tbNS1_7vsmem_tEEUlT_E_NS1_11comp_targetILNS1_3genE2ELNS1_11target_archE906ELNS1_3gpuE6ELNS1_3repE0EEENS1_30default_config_static_selectorELNS0_4arch9wavefront6targetE0EEEvSM_.uses_flat_scratch, 0
	.set _ZN7rocprim17ROCPRIM_400000_NS6detail17trampoline_kernelINS0_14default_configENS1_37merge_sort_block_sort_config_selectorIlNS0_10empty_typeEEEZNS1_21merge_sort_block_sortIS3_PlS8_PS5_S9_ZN2at6native12_GLOBAL__N_124unique_dim_cuda_templateIsEESt5tupleIJNSA_6TensorESF_SF_EERKSF_lbbbEUlllE_EE10hipError_tT0_T1_T2_T3_mRjT4_P12ihipStream_tbNS1_7vsmem_tEEUlT_E_NS1_11comp_targetILNS1_3genE2ELNS1_11target_archE906ELNS1_3gpuE6ELNS1_3repE0EEENS1_30default_config_static_selectorELNS0_4arch9wavefront6targetE0EEEvSM_.has_dyn_sized_stack, 0
	.set _ZN7rocprim17ROCPRIM_400000_NS6detail17trampoline_kernelINS0_14default_configENS1_37merge_sort_block_sort_config_selectorIlNS0_10empty_typeEEEZNS1_21merge_sort_block_sortIS3_PlS8_PS5_S9_ZN2at6native12_GLOBAL__N_124unique_dim_cuda_templateIsEESt5tupleIJNSA_6TensorESF_SF_EERKSF_lbbbEUlllE_EE10hipError_tT0_T1_T2_T3_mRjT4_P12ihipStream_tbNS1_7vsmem_tEEUlT_E_NS1_11comp_targetILNS1_3genE2ELNS1_11target_archE906ELNS1_3gpuE6ELNS1_3repE0EEENS1_30default_config_static_selectorELNS0_4arch9wavefront6targetE0EEEvSM_.has_recursion, 0
	.set _ZN7rocprim17ROCPRIM_400000_NS6detail17trampoline_kernelINS0_14default_configENS1_37merge_sort_block_sort_config_selectorIlNS0_10empty_typeEEEZNS1_21merge_sort_block_sortIS3_PlS8_PS5_S9_ZN2at6native12_GLOBAL__N_124unique_dim_cuda_templateIsEESt5tupleIJNSA_6TensorESF_SF_EERKSF_lbbbEUlllE_EE10hipError_tT0_T1_T2_T3_mRjT4_P12ihipStream_tbNS1_7vsmem_tEEUlT_E_NS1_11comp_targetILNS1_3genE2ELNS1_11target_archE906ELNS1_3gpuE6ELNS1_3repE0EEENS1_30default_config_static_selectorELNS0_4arch9wavefront6targetE0EEEvSM_.has_indirect_call, 0
	.section	.AMDGPU.csdata,"",@progbits
; Kernel info:
; codeLenInByte = 0
; TotalNumSgprs: 0
; NumVgprs: 0
; ScratchSize: 0
; MemoryBound: 0
; FloatMode: 240
; IeeeMode: 1
; LDSByteSize: 0 bytes/workgroup (compile time only)
; SGPRBlocks: 0
; VGPRBlocks: 0
; NumSGPRsForWavesPerEU: 1
; NumVGPRsForWavesPerEU: 1
; NamedBarCnt: 0
; Occupancy: 16
; WaveLimiterHint : 0
; COMPUTE_PGM_RSRC2:SCRATCH_EN: 0
; COMPUTE_PGM_RSRC2:USER_SGPR: 2
; COMPUTE_PGM_RSRC2:TRAP_HANDLER: 0
; COMPUTE_PGM_RSRC2:TGID_X_EN: 1
; COMPUTE_PGM_RSRC2:TGID_Y_EN: 0
; COMPUTE_PGM_RSRC2:TGID_Z_EN: 0
; COMPUTE_PGM_RSRC2:TIDIG_COMP_CNT: 0
	.section	.text._ZN7rocprim17ROCPRIM_400000_NS6detail17trampoline_kernelINS0_14default_configENS1_37merge_sort_block_sort_config_selectorIlNS0_10empty_typeEEEZNS1_21merge_sort_block_sortIS3_PlS8_PS5_S9_ZN2at6native12_GLOBAL__N_124unique_dim_cuda_templateIsEESt5tupleIJNSA_6TensorESF_SF_EERKSF_lbbbEUlllE_EE10hipError_tT0_T1_T2_T3_mRjT4_P12ihipStream_tbNS1_7vsmem_tEEUlT_E_NS1_11comp_targetILNS1_3genE10ELNS1_11target_archE1201ELNS1_3gpuE5ELNS1_3repE0EEENS1_30default_config_static_selectorELNS0_4arch9wavefront6targetE0EEEvSM_,"axG",@progbits,_ZN7rocprim17ROCPRIM_400000_NS6detail17trampoline_kernelINS0_14default_configENS1_37merge_sort_block_sort_config_selectorIlNS0_10empty_typeEEEZNS1_21merge_sort_block_sortIS3_PlS8_PS5_S9_ZN2at6native12_GLOBAL__N_124unique_dim_cuda_templateIsEESt5tupleIJNSA_6TensorESF_SF_EERKSF_lbbbEUlllE_EE10hipError_tT0_T1_T2_T3_mRjT4_P12ihipStream_tbNS1_7vsmem_tEEUlT_E_NS1_11comp_targetILNS1_3genE10ELNS1_11target_archE1201ELNS1_3gpuE5ELNS1_3repE0EEENS1_30default_config_static_selectorELNS0_4arch9wavefront6targetE0EEEvSM_,comdat
	.globl	_ZN7rocprim17ROCPRIM_400000_NS6detail17trampoline_kernelINS0_14default_configENS1_37merge_sort_block_sort_config_selectorIlNS0_10empty_typeEEEZNS1_21merge_sort_block_sortIS3_PlS8_PS5_S9_ZN2at6native12_GLOBAL__N_124unique_dim_cuda_templateIsEESt5tupleIJNSA_6TensorESF_SF_EERKSF_lbbbEUlllE_EE10hipError_tT0_T1_T2_T3_mRjT4_P12ihipStream_tbNS1_7vsmem_tEEUlT_E_NS1_11comp_targetILNS1_3genE10ELNS1_11target_archE1201ELNS1_3gpuE5ELNS1_3repE0EEENS1_30default_config_static_selectorELNS0_4arch9wavefront6targetE0EEEvSM_ ; -- Begin function _ZN7rocprim17ROCPRIM_400000_NS6detail17trampoline_kernelINS0_14default_configENS1_37merge_sort_block_sort_config_selectorIlNS0_10empty_typeEEEZNS1_21merge_sort_block_sortIS3_PlS8_PS5_S9_ZN2at6native12_GLOBAL__N_124unique_dim_cuda_templateIsEESt5tupleIJNSA_6TensorESF_SF_EERKSF_lbbbEUlllE_EE10hipError_tT0_T1_T2_T3_mRjT4_P12ihipStream_tbNS1_7vsmem_tEEUlT_E_NS1_11comp_targetILNS1_3genE10ELNS1_11target_archE1201ELNS1_3gpuE5ELNS1_3repE0EEENS1_30default_config_static_selectorELNS0_4arch9wavefront6targetE0EEEvSM_
	.p2align	8
	.type	_ZN7rocprim17ROCPRIM_400000_NS6detail17trampoline_kernelINS0_14default_configENS1_37merge_sort_block_sort_config_selectorIlNS0_10empty_typeEEEZNS1_21merge_sort_block_sortIS3_PlS8_PS5_S9_ZN2at6native12_GLOBAL__N_124unique_dim_cuda_templateIsEESt5tupleIJNSA_6TensorESF_SF_EERKSF_lbbbEUlllE_EE10hipError_tT0_T1_T2_T3_mRjT4_P12ihipStream_tbNS1_7vsmem_tEEUlT_E_NS1_11comp_targetILNS1_3genE10ELNS1_11target_archE1201ELNS1_3gpuE5ELNS1_3repE0EEENS1_30default_config_static_selectorELNS0_4arch9wavefront6targetE0EEEvSM_,@function
_ZN7rocprim17ROCPRIM_400000_NS6detail17trampoline_kernelINS0_14default_configENS1_37merge_sort_block_sort_config_selectorIlNS0_10empty_typeEEEZNS1_21merge_sort_block_sortIS3_PlS8_PS5_S9_ZN2at6native12_GLOBAL__N_124unique_dim_cuda_templateIsEESt5tupleIJNSA_6TensorESF_SF_EERKSF_lbbbEUlllE_EE10hipError_tT0_T1_T2_T3_mRjT4_P12ihipStream_tbNS1_7vsmem_tEEUlT_E_NS1_11comp_targetILNS1_3genE10ELNS1_11target_archE1201ELNS1_3gpuE5ELNS1_3repE0EEENS1_30default_config_static_selectorELNS0_4arch9wavefront6targetE0EEEvSM_: ; @_ZN7rocprim17ROCPRIM_400000_NS6detail17trampoline_kernelINS0_14default_configENS1_37merge_sort_block_sort_config_selectorIlNS0_10empty_typeEEEZNS1_21merge_sort_block_sortIS3_PlS8_PS5_S9_ZN2at6native12_GLOBAL__N_124unique_dim_cuda_templateIsEESt5tupleIJNSA_6TensorESF_SF_EERKSF_lbbbEUlllE_EE10hipError_tT0_T1_T2_T3_mRjT4_P12ihipStream_tbNS1_7vsmem_tEEUlT_E_NS1_11comp_targetILNS1_3genE10ELNS1_11target_archE1201ELNS1_3gpuE5ELNS1_3repE0EEENS1_30default_config_static_selectorELNS0_4arch9wavefront6targetE0EEEvSM_
; %bb.0:
	.section	.rodata,"a",@progbits
	.p2align	6, 0x0
	.amdhsa_kernel _ZN7rocprim17ROCPRIM_400000_NS6detail17trampoline_kernelINS0_14default_configENS1_37merge_sort_block_sort_config_selectorIlNS0_10empty_typeEEEZNS1_21merge_sort_block_sortIS3_PlS8_PS5_S9_ZN2at6native12_GLOBAL__N_124unique_dim_cuda_templateIsEESt5tupleIJNSA_6TensorESF_SF_EERKSF_lbbbEUlllE_EE10hipError_tT0_T1_T2_T3_mRjT4_P12ihipStream_tbNS1_7vsmem_tEEUlT_E_NS1_11comp_targetILNS1_3genE10ELNS1_11target_archE1201ELNS1_3gpuE5ELNS1_3repE0EEENS1_30default_config_static_selectorELNS0_4arch9wavefront6targetE0EEEvSM_
		.amdhsa_group_segment_fixed_size 0
		.amdhsa_private_segment_fixed_size 0
		.amdhsa_kernarg_size 72
		.amdhsa_user_sgpr_count 2
		.amdhsa_user_sgpr_dispatch_ptr 0
		.amdhsa_user_sgpr_queue_ptr 0
		.amdhsa_user_sgpr_kernarg_segment_ptr 1
		.amdhsa_user_sgpr_dispatch_id 0
		.amdhsa_user_sgpr_kernarg_preload_length 0
		.amdhsa_user_sgpr_kernarg_preload_offset 0
		.amdhsa_user_sgpr_private_segment_size 0
		.amdhsa_wavefront_size32 1
		.amdhsa_uses_dynamic_stack 0
		.amdhsa_enable_private_segment 0
		.amdhsa_system_sgpr_workgroup_id_x 1
		.amdhsa_system_sgpr_workgroup_id_y 0
		.amdhsa_system_sgpr_workgroup_id_z 0
		.amdhsa_system_sgpr_workgroup_info 0
		.amdhsa_system_vgpr_workitem_id 0
		.amdhsa_next_free_vgpr 1
		.amdhsa_next_free_sgpr 1
		.amdhsa_named_barrier_count 0
		.amdhsa_reserve_vcc 0
		.amdhsa_float_round_mode_32 0
		.amdhsa_float_round_mode_16_64 0
		.amdhsa_float_denorm_mode_32 3
		.amdhsa_float_denorm_mode_16_64 3
		.amdhsa_fp16_overflow 0
		.amdhsa_memory_ordered 1
		.amdhsa_forward_progress 1
		.amdhsa_inst_pref_size 0
		.amdhsa_round_robin_scheduling 0
		.amdhsa_exception_fp_ieee_invalid_op 0
		.amdhsa_exception_fp_denorm_src 0
		.amdhsa_exception_fp_ieee_div_zero 0
		.amdhsa_exception_fp_ieee_overflow 0
		.amdhsa_exception_fp_ieee_underflow 0
		.amdhsa_exception_fp_ieee_inexact 0
		.amdhsa_exception_int_div_zero 0
	.end_amdhsa_kernel
	.section	.text._ZN7rocprim17ROCPRIM_400000_NS6detail17trampoline_kernelINS0_14default_configENS1_37merge_sort_block_sort_config_selectorIlNS0_10empty_typeEEEZNS1_21merge_sort_block_sortIS3_PlS8_PS5_S9_ZN2at6native12_GLOBAL__N_124unique_dim_cuda_templateIsEESt5tupleIJNSA_6TensorESF_SF_EERKSF_lbbbEUlllE_EE10hipError_tT0_T1_T2_T3_mRjT4_P12ihipStream_tbNS1_7vsmem_tEEUlT_E_NS1_11comp_targetILNS1_3genE10ELNS1_11target_archE1201ELNS1_3gpuE5ELNS1_3repE0EEENS1_30default_config_static_selectorELNS0_4arch9wavefront6targetE0EEEvSM_,"axG",@progbits,_ZN7rocprim17ROCPRIM_400000_NS6detail17trampoline_kernelINS0_14default_configENS1_37merge_sort_block_sort_config_selectorIlNS0_10empty_typeEEEZNS1_21merge_sort_block_sortIS3_PlS8_PS5_S9_ZN2at6native12_GLOBAL__N_124unique_dim_cuda_templateIsEESt5tupleIJNSA_6TensorESF_SF_EERKSF_lbbbEUlllE_EE10hipError_tT0_T1_T2_T3_mRjT4_P12ihipStream_tbNS1_7vsmem_tEEUlT_E_NS1_11comp_targetILNS1_3genE10ELNS1_11target_archE1201ELNS1_3gpuE5ELNS1_3repE0EEENS1_30default_config_static_selectorELNS0_4arch9wavefront6targetE0EEEvSM_,comdat
.Lfunc_end632:
	.size	_ZN7rocprim17ROCPRIM_400000_NS6detail17trampoline_kernelINS0_14default_configENS1_37merge_sort_block_sort_config_selectorIlNS0_10empty_typeEEEZNS1_21merge_sort_block_sortIS3_PlS8_PS5_S9_ZN2at6native12_GLOBAL__N_124unique_dim_cuda_templateIsEESt5tupleIJNSA_6TensorESF_SF_EERKSF_lbbbEUlllE_EE10hipError_tT0_T1_T2_T3_mRjT4_P12ihipStream_tbNS1_7vsmem_tEEUlT_E_NS1_11comp_targetILNS1_3genE10ELNS1_11target_archE1201ELNS1_3gpuE5ELNS1_3repE0EEENS1_30default_config_static_selectorELNS0_4arch9wavefront6targetE0EEEvSM_, .Lfunc_end632-_ZN7rocprim17ROCPRIM_400000_NS6detail17trampoline_kernelINS0_14default_configENS1_37merge_sort_block_sort_config_selectorIlNS0_10empty_typeEEEZNS1_21merge_sort_block_sortIS3_PlS8_PS5_S9_ZN2at6native12_GLOBAL__N_124unique_dim_cuda_templateIsEESt5tupleIJNSA_6TensorESF_SF_EERKSF_lbbbEUlllE_EE10hipError_tT0_T1_T2_T3_mRjT4_P12ihipStream_tbNS1_7vsmem_tEEUlT_E_NS1_11comp_targetILNS1_3genE10ELNS1_11target_archE1201ELNS1_3gpuE5ELNS1_3repE0EEENS1_30default_config_static_selectorELNS0_4arch9wavefront6targetE0EEEvSM_
                                        ; -- End function
	.set _ZN7rocprim17ROCPRIM_400000_NS6detail17trampoline_kernelINS0_14default_configENS1_37merge_sort_block_sort_config_selectorIlNS0_10empty_typeEEEZNS1_21merge_sort_block_sortIS3_PlS8_PS5_S9_ZN2at6native12_GLOBAL__N_124unique_dim_cuda_templateIsEESt5tupleIJNSA_6TensorESF_SF_EERKSF_lbbbEUlllE_EE10hipError_tT0_T1_T2_T3_mRjT4_P12ihipStream_tbNS1_7vsmem_tEEUlT_E_NS1_11comp_targetILNS1_3genE10ELNS1_11target_archE1201ELNS1_3gpuE5ELNS1_3repE0EEENS1_30default_config_static_selectorELNS0_4arch9wavefront6targetE0EEEvSM_.num_vgpr, 0
	.set _ZN7rocprim17ROCPRIM_400000_NS6detail17trampoline_kernelINS0_14default_configENS1_37merge_sort_block_sort_config_selectorIlNS0_10empty_typeEEEZNS1_21merge_sort_block_sortIS3_PlS8_PS5_S9_ZN2at6native12_GLOBAL__N_124unique_dim_cuda_templateIsEESt5tupleIJNSA_6TensorESF_SF_EERKSF_lbbbEUlllE_EE10hipError_tT0_T1_T2_T3_mRjT4_P12ihipStream_tbNS1_7vsmem_tEEUlT_E_NS1_11comp_targetILNS1_3genE10ELNS1_11target_archE1201ELNS1_3gpuE5ELNS1_3repE0EEENS1_30default_config_static_selectorELNS0_4arch9wavefront6targetE0EEEvSM_.num_agpr, 0
	.set _ZN7rocprim17ROCPRIM_400000_NS6detail17trampoline_kernelINS0_14default_configENS1_37merge_sort_block_sort_config_selectorIlNS0_10empty_typeEEEZNS1_21merge_sort_block_sortIS3_PlS8_PS5_S9_ZN2at6native12_GLOBAL__N_124unique_dim_cuda_templateIsEESt5tupleIJNSA_6TensorESF_SF_EERKSF_lbbbEUlllE_EE10hipError_tT0_T1_T2_T3_mRjT4_P12ihipStream_tbNS1_7vsmem_tEEUlT_E_NS1_11comp_targetILNS1_3genE10ELNS1_11target_archE1201ELNS1_3gpuE5ELNS1_3repE0EEENS1_30default_config_static_selectorELNS0_4arch9wavefront6targetE0EEEvSM_.numbered_sgpr, 0
	.set _ZN7rocprim17ROCPRIM_400000_NS6detail17trampoline_kernelINS0_14default_configENS1_37merge_sort_block_sort_config_selectorIlNS0_10empty_typeEEEZNS1_21merge_sort_block_sortIS3_PlS8_PS5_S9_ZN2at6native12_GLOBAL__N_124unique_dim_cuda_templateIsEESt5tupleIJNSA_6TensorESF_SF_EERKSF_lbbbEUlllE_EE10hipError_tT0_T1_T2_T3_mRjT4_P12ihipStream_tbNS1_7vsmem_tEEUlT_E_NS1_11comp_targetILNS1_3genE10ELNS1_11target_archE1201ELNS1_3gpuE5ELNS1_3repE0EEENS1_30default_config_static_selectorELNS0_4arch9wavefront6targetE0EEEvSM_.num_named_barrier, 0
	.set _ZN7rocprim17ROCPRIM_400000_NS6detail17trampoline_kernelINS0_14default_configENS1_37merge_sort_block_sort_config_selectorIlNS0_10empty_typeEEEZNS1_21merge_sort_block_sortIS3_PlS8_PS5_S9_ZN2at6native12_GLOBAL__N_124unique_dim_cuda_templateIsEESt5tupleIJNSA_6TensorESF_SF_EERKSF_lbbbEUlllE_EE10hipError_tT0_T1_T2_T3_mRjT4_P12ihipStream_tbNS1_7vsmem_tEEUlT_E_NS1_11comp_targetILNS1_3genE10ELNS1_11target_archE1201ELNS1_3gpuE5ELNS1_3repE0EEENS1_30default_config_static_selectorELNS0_4arch9wavefront6targetE0EEEvSM_.private_seg_size, 0
	.set _ZN7rocprim17ROCPRIM_400000_NS6detail17trampoline_kernelINS0_14default_configENS1_37merge_sort_block_sort_config_selectorIlNS0_10empty_typeEEEZNS1_21merge_sort_block_sortIS3_PlS8_PS5_S9_ZN2at6native12_GLOBAL__N_124unique_dim_cuda_templateIsEESt5tupleIJNSA_6TensorESF_SF_EERKSF_lbbbEUlllE_EE10hipError_tT0_T1_T2_T3_mRjT4_P12ihipStream_tbNS1_7vsmem_tEEUlT_E_NS1_11comp_targetILNS1_3genE10ELNS1_11target_archE1201ELNS1_3gpuE5ELNS1_3repE0EEENS1_30default_config_static_selectorELNS0_4arch9wavefront6targetE0EEEvSM_.uses_vcc, 0
	.set _ZN7rocprim17ROCPRIM_400000_NS6detail17trampoline_kernelINS0_14default_configENS1_37merge_sort_block_sort_config_selectorIlNS0_10empty_typeEEEZNS1_21merge_sort_block_sortIS3_PlS8_PS5_S9_ZN2at6native12_GLOBAL__N_124unique_dim_cuda_templateIsEESt5tupleIJNSA_6TensorESF_SF_EERKSF_lbbbEUlllE_EE10hipError_tT0_T1_T2_T3_mRjT4_P12ihipStream_tbNS1_7vsmem_tEEUlT_E_NS1_11comp_targetILNS1_3genE10ELNS1_11target_archE1201ELNS1_3gpuE5ELNS1_3repE0EEENS1_30default_config_static_selectorELNS0_4arch9wavefront6targetE0EEEvSM_.uses_flat_scratch, 0
	.set _ZN7rocprim17ROCPRIM_400000_NS6detail17trampoline_kernelINS0_14default_configENS1_37merge_sort_block_sort_config_selectorIlNS0_10empty_typeEEEZNS1_21merge_sort_block_sortIS3_PlS8_PS5_S9_ZN2at6native12_GLOBAL__N_124unique_dim_cuda_templateIsEESt5tupleIJNSA_6TensorESF_SF_EERKSF_lbbbEUlllE_EE10hipError_tT0_T1_T2_T3_mRjT4_P12ihipStream_tbNS1_7vsmem_tEEUlT_E_NS1_11comp_targetILNS1_3genE10ELNS1_11target_archE1201ELNS1_3gpuE5ELNS1_3repE0EEENS1_30default_config_static_selectorELNS0_4arch9wavefront6targetE0EEEvSM_.has_dyn_sized_stack, 0
	.set _ZN7rocprim17ROCPRIM_400000_NS6detail17trampoline_kernelINS0_14default_configENS1_37merge_sort_block_sort_config_selectorIlNS0_10empty_typeEEEZNS1_21merge_sort_block_sortIS3_PlS8_PS5_S9_ZN2at6native12_GLOBAL__N_124unique_dim_cuda_templateIsEESt5tupleIJNSA_6TensorESF_SF_EERKSF_lbbbEUlllE_EE10hipError_tT0_T1_T2_T3_mRjT4_P12ihipStream_tbNS1_7vsmem_tEEUlT_E_NS1_11comp_targetILNS1_3genE10ELNS1_11target_archE1201ELNS1_3gpuE5ELNS1_3repE0EEENS1_30default_config_static_selectorELNS0_4arch9wavefront6targetE0EEEvSM_.has_recursion, 0
	.set _ZN7rocprim17ROCPRIM_400000_NS6detail17trampoline_kernelINS0_14default_configENS1_37merge_sort_block_sort_config_selectorIlNS0_10empty_typeEEEZNS1_21merge_sort_block_sortIS3_PlS8_PS5_S9_ZN2at6native12_GLOBAL__N_124unique_dim_cuda_templateIsEESt5tupleIJNSA_6TensorESF_SF_EERKSF_lbbbEUlllE_EE10hipError_tT0_T1_T2_T3_mRjT4_P12ihipStream_tbNS1_7vsmem_tEEUlT_E_NS1_11comp_targetILNS1_3genE10ELNS1_11target_archE1201ELNS1_3gpuE5ELNS1_3repE0EEENS1_30default_config_static_selectorELNS0_4arch9wavefront6targetE0EEEvSM_.has_indirect_call, 0
	.section	.AMDGPU.csdata,"",@progbits
; Kernel info:
; codeLenInByte = 0
; TotalNumSgprs: 0
; NumVgprs: 0
; ScratchSize: 0
; MemoryBound: 0
; FloatMode: 240
; IeeeMode: 1
; LDSByteSize: 0 bytes/workgroup (compile time only)
; SGPRBlocks: 0
; VGPRBlocks: 0
; NumSGPRsForWavesPerEU: 1
; NumVGPRsForWavesPerEU: 1
; NamedBarCnt: 0
; Occupancy: 16
; WaveLimiterHint : 0
; COMPUTE_PGM_RSRC2:SCRATCH_EN: 0
; COMPUTE_PGM_RSRC2:USER_SGPR: 2
; COMPUTE_PGM_RSRC2:TRAP_HANDLER: 0
; COMPUTE_PGM_RSRC2:TGID_X_EN: 1
; COMPUTE_PGM_RSRC2:TGID_Y_EN: 0
; COMPUTE_PGM_RSRC2:TGID_Z_EN: 0
; COMPUTE_PGM_RSRC2:TIDIG_COMP_CNT: 0
	.section	.text._ZN7rocprim17ROCPRIM_400000_NS6detail17trampoline_kernelINS0_14default_configENS1_37merge_sort_block_sort_config_selectorIlNS0_10empty_typeEEEZNS1_21merge_sort_block_sortIS3_PlS8_PS5_S9_ZN2at6native12_GLOBAL__N_124unique_dim_cuda_templateIsEESt5tupleIJNSA_6TensorESF_SF_EERKSF_lbbbEUlllE_EE10hipError_tT0_T1_T2_T3_mRjT4_P12ihipStream_tbNS1_7vsmem_tEEUlT_E_NS1_11comp_targetILNS1_3genE10ELNS1_11target_archE1200ELNS1_3gpuE4ELNS1_3repE0EEENS1_30default_config_static_selectorELNS0_4arch9wavefront6targetE0EEEvSM_,"axG",@progbits,_ZN7rocprim17ROCPRIM_400000_NS6detail17trampoline_kernelINS0_14default_configENS1_37merge_sort_block_sort_config_selectorIlNS0_10empty_typeEEEZNS1_21merge_sort_block_sortIS3_PlS8_PS5_S9_ZN2at6native12_GLOBAL__N_124unique_dim_cuda_templateIsEESt5tupleIJNSA_6TensorESF_SF_EERKSF_lbbbEUlllE_EE10hipError_tT0_T1_T2_T3_mRjT4_P12ihipStream_tbNS1_7vsmem_tEEUlT_E_NS1_11comp_targetILNS1_3genE10ELNS1_11target_archE1200ELNS1_3gpuE4ELNS1_3repE0EEENS1_30default_config_static_selectorELNS0_4arch9wavefront6targetE0EEEvSM_,comdat
	.globl	_ZN7rocprim17ROCPRIM_400000_NS6detail17trampoline_kernelINS0_14default_configENS1_37merge_sort_block_sort_config_selectorIlNS0_10empty_typeEEEZNS1_21merge_sort_block_sortIS3_PlS8_PS5_S9_ZN2at6native12_GLOBAL__N_124unique_dim_cuda_templateIsEESt5tupleIJNSA_6TensorESF_SF_EERKSF_lbbbEUlllE_EE10hipError_tT0_T1_T2_T3_mRjT4_P12ihipStream_tbNS1_7vsmem_tEEUlT_E_NS1_11comp_targetILNS1_3genE10ELNS1_11target_archE1200ELNS1_3gpuE4ELNS1_3repE0EEENS1_30default_config_static_selectorELNS0_4arch9wavefront6targetE0EEEvSM_ ; -- Begin function _ZN7rocprim17ROCPRIM_400000_NS6detail17trampoline_kernelINS0_14default_configENS1_37merge_sort_block_sort_config_selectorIlNS0_10empty_typeEEEZNS1_21merge_sort_block_sortIS3_PlS8_PS5_S9_ZN2at6native12_GLOBAL__N_124unique_dim_cuda_templateIsEESt5tupleIJNSA_6TensorESF_SF_EERKSF_lbbbEUlllE_EE10hipError_tT0_T1_T2_T3_mRjT4_P12ihipStream_tbNS1_7vsmem_tEEUlT_E_NS1_11comp_targetILNS1_3genE10ELNS1_11target_archE1200ELNS1_3gpuE4ELNS1_3repE0EEENS1_30default_config_static_selectorELNS0_4arch9wavefront6targetE0EEEvSM_
	.p2align	8
	.type	_ZN7rocprim17ROCPRIM_400000_NS6detail17trampoline_kernelINS0_14default_configENS1_37merge_sort_block_sort_config_selectorIlNS0_10empty_typeEEEZNS1_21merge_sort_block_sortIS3_PlS8_PS5_S9_ZN2at6native12_GLOBAL__N_124unique_dim_cuda_templateIsEESt5tupleIJNSA_6TensorESF_SF_EERKSF_lbbbEUlllE_EE10hipError_tT0_T1_T2_T3_mRjT4_P12ihipStream_tbNS1_7vsmem_tEEUlT_E_NS1_11comp_targetILNS1_3genE10ELNS1_11target_archE1200ELNS1_3gpuE4ELNS1_3repE0EEENS1_30default_config_static_selectorELNS0_4arch9wavefront6targetE0EEEvSM_,@function
_ZN7rocprim17ROCPRIM_400000_NS6detail17trampoline_kernelINS0_14default_configENS1_37merge_sort_block_sort_config_selectorIlNS0_10empty_typeEEEZNS1_21merge_sort_block_sortIS3_PlS8_PS5_S9_ZN2at6native12_GLOBAL__N_124unique_dim_cuda_templateIsEESt5tupleIJNSA_6TensorESF_SF_EERKSF_lbbbEUlllE_EE10hipError_tT0_T1_T2_T3_mRjT4_P12ihipStream_tbNS1_7vsmem_tEEUlT_E_NS1_11comp_targetILNS1_3genE10ELNS1_11target_archE1200ELNS1_3gpuE4ELNS1_3repE0EEENS1_30default_config_static_selectorELNS0_4arch9wavefront6targetE0EEEvSM_: ; @_ZN7rocprim17ROCPRIM_400000_NS6detail17trampoline_kernelINS0_14default_configENS1_37merge_sort_block_sort_config_selectorIlNS0_10empty_typeEEEZNS1_21merge_sort_block_sortIS3_PlS8_PS5_S9_ZN2at6native12_GLOBAL__N_124unique_dim_cuda_templateIsEESt5tupleIJNSA_6TensorESF_SF_EERKSF_lbbbEUlllE_EE10hipError_tT0_T1_T2_T3_mRjT4_P12ihipStream_tbNS1_7vsmem_tEEUlT_E_NS1_11comp_targetILNS1_3genE10ELNS1_11target_archE1200ELNS1_3gpuE4ELNS1_3repE0EEENS1_30default_config_static_selectorELNS0_4arch9wavefront6targetE0EEEvSM_
; %bb.0:
	.section	.rodata,"a",@progbits
	.p2align	6, 0x0
	.amdhsa_kernel _ZN7rocprim17ROCPRIM_400000_NS6detail17trampoline_kernelINS0_14default_configENS1_37merge_sort_block_sort_config_selectorIlNS0_10empty_typeEEEZNS1_21merge_sort_block_sortIS3_PlS8_PS5_S9_ZN2at6native12_GLOBAL__N_124unique_dim_cuda_templateIsEESt5tupleIJNSA_6TensorESF_SF_EERKSF_lbbbEUlllE_EE10hipError_tT0_T1_T2_T3_mRjT4_P12ihipStream_tbNS1_7vsmem_tEEUlT_E_NS1_11comp_targetILNS1_3genE10ELNS1_11target_archE1200ELNS1_3gpuE4ELNS1_3repE0EEENS1_30default_config_static_selectorELNS0_4arch9wavefront6targetE0EEEvSM_
		.amdhsa_group_segment_fixed_size 0
		.amdhsa_private_segment_fixed_size 0
		.amdhsa_kernarg_size 72
		.amdhsa_user_sgpr_count 2
		.amdhsa_user_sgpr_dispatch_ptr 0
		.amdhsa_user_sgpr_queue_ptr 0
		.amdhsa_user_sgpr_kernarg_segment_ptr 1
		.amdhsa_user_sgpr_dispatch_id 0
		.amdhsa_user_sgpr_kernarg_preload_length 0
		.amdhsa_user_sgpr_kernarg_preload_offset 0
		.amdhsa_user_sgpr_private_segment_size 0
		.amdhsa_wavefront_size32 1
		.amdhsa_uses_dynamic_stack 0
		.amdhsa_enable_private_segment 0
		.amdhsa_system_sgpr_workgroup_id_x 1
		.amdhsa_system_sgpr_workgroup_id_y 0
		.amdhsa_system_sgpr_workgroup_id_z 0
		.amdhsa_system_sgpr_workgroup_info 0
		.amdhsa_system_vgpr_workitem_id 0
		.amdhsa_next_free_vgpr 1
		.amdhsa_next_free_sgpr 1
		.amdhsa_named_barrier_count 0
		.amdhsa_reserve_vcc 0
		.amdhsa_float_round_mode_32 0
		.amdhsa_float_round_mode_16_64 0
		.amdhsa_float_denorm_mode_32 3
		.amdhsa_float_denorm_mode_16_64 3
		.amdhsa_fp16_overflow 0
		.amdhsa_memory_ordered 1
		.amdhsa_forward_progress 1
		.amdhsa_inst_pref_size 0
		.amdhsa_round_robin_scheduling 0
		.amdhsa_exception_fp_ieee_invalid_op 0
		.amdhsa_exception_fp_denorm_src 0
		.amdhsa_exception_fp_ieee_div_zero 0
		.amdhsa_exception_fp_ieee_overflow 0
		.amdhsa_exception_fp_ieee_underflow 0
		.amdhsa_exception_fp_ieee_inexact 0
		.amdhsa_exception_int_div_zero 0
	.end_amdhsa_kernel
	.section	.text._ZN7rocprim17ROCPRIM_400000_NS6detail17trampoline_kernelINS0_14default_configENS1_37merge_sort_block_sort_config_selectorIlNS0_10empty_typeEEEZNS1_21merge_sort_block_sortIS3_PlS8_PS5_S9_ZN2at6native12_GLOBAL__N_124unique_dim_cuda_templateIsEESt5tupleIJNSA_6TensorESF_SF_EERKSF_lbbbEUlllE_EE10hipError_tT0_T1_T2_T3_mRjT4_P12ihipStream_tbNS1_7vsmem_tEEUlT_E_NS1_11comp_targetILNS1_3genE10ELNS1_11target_archE1200ELNS1_3gpuE4ELNS1_3repE0EEENS1_30default_config_static_selectorELNS0_4arch9wavefront6targetE0EEEvSM_,"axG",@progbits,_ZN7rocprim17ROCPRIM_400000_NS6detail17trampoline_kernelINS0_14default_configENS1_37merge_sort_block_sort_config_selectorIlNS0_10empty_typeEEEZNS1_21merge_sort_block_sortIS3_PlS8_PS5_S9_ZN2at6native12_GLOBAL__N_124unique_dim_cuda_templateIsEESt5tupleIJNSA_6TensorESF_SF_EERKSF_lbbbEUlllE_EE10hipError_tT0_T1_T2_T3_mRjT4_P12ihipStream_tbNS1_7vsmem_tEEUlT_E_NS1_11comp_targetILNS1_3genE10ELNS1_11target_archE1200ELNS1_3gpuE4ELNS1_3repE0EEENS1_30default_config_static_selectorELNS0_4arch9wavefront6targetE0EEEvSM_,comdat
.Lfunc_end633:
	.size	_ZN7rocprim17ROCPRIM_400000_NS6detail17trampoline_kernelINS0_14default_configENS1_37merge_sort_block_sort_config_selectorIlNS0_10empty_typeEEEZNS1_21merge_sort_block_sortIS3_PlS8_PS5_S9_ZN2at6native12_GLOBAL__N_124unique_dim_cuda_templateIsEESt5tupleIJNSA_6TensorESF_SF_EERKSF_lbbbEUlllE_EE10hipError_tT0_T1_T2_T3_mRjT4_P12ihipStream_tbNS1_7vsmem_tEEUlT_E_NS1_11comp_targetILNS1_3genE10ELNS1_11target_archE1200ELNS1_3gpuE4ELNS1_3repE0EEENS1_30default_config_static_selectorELNS0_4arch9wavefront6targetE0EEEvSM_, .Lfunc_end633-_ZN7rocprim17ROCPRIM_400000_NS6detail17trampoline_kernelINS0_14default_configENS1_37merge_sort_block_sort_config_selectorIlNS0_10empty_typeEEEZNS1_21merge_sort_block_sortIS3_PlS8_PS5_S9_ZN2at6native12_GLOBAL__N_124unique_dim_cuda_templateIsEESt5tupleIJNSA_6TensorESF_SF_EERKSF_lbbbEUlllE_EE10hipError_tT0_T1_T2_T3_mRjT4_P12ihipStream_tbNS1_7vsmem_tEEUlT_E_NS1_11comp_targetILNS1_3genE10ELNS1_11target_archE1200ELNS1_3gpuE4ELNS1_3repE0EEENS1_30default_config_static_selectorELNS0_4arch9wavefront6targetE0EEEvSM_
                                        ; -- End function
	.set _ZN7rocprim17ROCPRIM_400000_NS6detail17trampoline_kernelINS0_14default_configENS1_37merge_sort_block_sort_config_selectorIlNS0_10empty_typeEEEZNS1_21merge_sort_block_sortIS3_PlS8_PS5_S9_ZN2at6native12_GLOBAL__N_124unique_dim_cuda_templateIsEESt5tupleIJNSA_6TensorESF_SF_EERKSF_lbbbEUlllE_EE10hipError_tT0_T1_T2_T3_mRjT4_P12ihipStream_tbNS1_7vsmem_tEEUlT_E_NS1_11comp_targetILNS1_3genE10ELNS1_11target_archE1200ELNS1_3gpuE4ELNS1_3repE0EEENS1_30default_config_static_selectorELNS0_4arch9wavefront6targetE0EEEvSM_.num_vgpr, 0
	.set _ZN7rocprim17ROCPRIM_400000_NS6detail17trampoline_kernelINS0_14default_configENS1_37merge_sort_block_sort_config_selectorIlNS0_10empty_typeEEEZNS1_21merge_sort_block_sortIS3_PlS8_PS5_S9_ZN2at6native12_GLOBAL__N_124unique_dim_cuda_templateIsEESt5tupleIJNSA_6TensorESF_SF_EERKSF_lbbbEUlllE_EE10hipError_tT0_T1_T2_T3_mRjT4_P12ihipStream_tbNS1_7vsmem_tEEUlT_E_NS1_11comp_targetILNS1_3genE10ELNS1_11target_archE1200ELNS1_3gpuE4ELNS1_3repE0EEENS1_30default_config_static_selectorELNS0_4arch9wavefront6targetE0EEEvSM_.num_agpr, 0
	.set _ZN7rocprim17ROCPRIM_400000_NS6detail17trampoline_kernelINS0_14default_configENS1_37merge_sort_block_sort_config_selectorIlNS0_10empty_typeEEEZNS1_21merge_sort_block_sortIS3_PlS8_PS5_S9_ZN2at6native12_GLOBAL__N_124unique_dim_cuda_templateIsEESt5tupleIJNSA_6TensorESF_SF_EERKSF_lbbbEUlllE_EE10hipError_tT0_T1_T2_T3_mRjT4_P12ihipStream_tbNS1_7vsmem_tEEUlT_E_NS1_11comp_targetILNS1_3genE10ELNS1_11target_archE1200ELNS1_3gpuE4ELNS1_3repE0EEENS1_30default_config_static_selectorELNS0_4arch9wavefront6targetE0EEEvSM_.numbered_sgpr, 0
	.set _ZN7rocprim17ROCPRIM_400000_NS6detail17trampoline_kernelINS0_14default_configENS1_37merge_sort_block_sort_config_selectorIlNS0_10empty_typeEEEZNS1_21merge_sort_block_sortIS3_PlS8_PS5_S9_ZN2at6native12_GLOBAL__N_124unique_dim_cuda_templateIsEESt5tupleIJNSA_6TensorESF_SF_EERKSF_lbbbEUlllE_EE10hipError_tT0_T1_T2_T3_mRjT4_P12ihipStream_tbNS1_7vsmem_tEEUlT_E_NS1_11comp_targetILNS1_3genE10ELNS1_11target_archE1200ELNS1_3gpuE4ELNS1_3repE0EEENS1_30default_config_static_selectorELNS0_4arch9wavefront6targetE0EEEvSM_.num_named_barrier, 0
	.set _ZN7rocprim17ROCPRIM_400000_NS6detail17trampoline_kernelINS0_14default_configENS1_37merge_sort_block_sort_config_selectorIlNS0_10empty_typeEEEZNS1_21merge_sort_block_sortIS3_PlS8_PS5_S9_ZN2at6native12_GLOBAL__N_124unique_dim_cuda_templateIsEESt5tupleIJNSA_6TensorESF_SF_EERKSF_lbbbEUlllE_EE10hipError_tT0_T1_T2_T3_mRjT4_P12ihipStream_tbNS1_7vsmem_tEEUlT_E_NS1_11comp_targetILNS1_3genE10ELNS1_11target_archE1200ELNS1_3gpuE4ELNS1_3repE0EEENS1_30default_config_static_selectorELNS0_4arch9wavefront6targetE0EEEvSM_.private_seg_size, 0
	.set _ZN7rocprim17ROCPRIM_400000_NS6detail17trampoline_kernelINS0_14default_configENS1_37merge_sort_block_sort_config_selectorIlNS0_10empty_typeEEEZNS1_21merge_sort_block_sortIS3_PlS8_PS5_S9_ZN2at6native12_GLOBAL__N_124unique_dim_cuda_templateIsEESt5tupleIJNSA_6TensorESF_SF_EERKSF_lbbbEUlllE_EE10hipError_tT0_T1_T2_T3_mRjT4_P12ihipStream_tbNS1_7vsmem_tEEUlT_E_NS1_11comp_targetILNS1_3genE10ELNS1_11target_archE1200ELNS1_3gpuE4ELNS1_3repE0EEENS1_30default_config_static_selectorELNS0_4arch9wavefront6targetE0EEEvSM_.uses_vcc, 0
	.set _ZN7rocprim17ROCPRIM_400000_NS6detail17trampoline_kernelINS0_14default_configENS1_37merge_sort_block_sort_config_selectorIlNS0_10empty_typeEEEZNS1_21merge_sort_block_sortIS3_PlS8_PS5_S9_ZN2at6native12_GLOBAL__N_124unique_dim_cuda_templateIsEESt5tupleIJNSA_6TensorESF_SF_EERKSF_lbbbEUlllE_EE10hipError_tT0_T1_T2_T3_mRjT4_P12ihipStream_tbNS1_7vsmem_tEEUlT_E_NS1_11comp_targetILNS1_3genE10ELNS1_11target_archE1200ELNS1_3gpuE4ELNS1_3repE0EEENS1_30default_config_static_selectorELNS0_4arch9wavefront6targetE0EEEvSM_.uses_flat_scratch, 0
	.set _ZN7rocprim17ROCPRIM_400000_NS6detail17trampoline_kernelINS0_14default_configENS1_37merge_sort_block_sort_config_selectorIlNS0_10empty_typeEEEZNS1_21merge_sort_block_sortIS3_PlS8_PS5_S9_ZN2at6native12_GLOBAL__N_124unique_dim_cuda_templateIsEESt5tupleIJNSA_6TensorESF_SF_EERKSF_lbbbEUlllE_EE10hipError_tT0_T1_T2_T3_mRjT4_P12ihipStream_tbNS1_7vsmem_tEEUlT_E_NS1_11comp_targetILNS1_3genE10ELNS1_11target_archE1200ELNS1_3gpuE4ELNS1_3repE0EEENS1_30default_config_static_selectorELNS0_4arch9wavefront6targetE0EEEvSM_.has_dyn_sized_stack, 0
	.set _ZN7rocprim17ROCPRIM_400000_NS6detail17trampoline_kernelINS0_14default_configENS1_37merge_sort_block_sort_config_selectorIlNS0_10empty_typeEEEZNS1_21merge_sort_block_sortIS3_PlS8_PS5_S9_ZN2at6native12_GLOBAL__N_124unique_dim_cuda_templateIsEESt5tupleIJNSA_6TensorESF_SF_EERKSF_lbbbEUlllE_EE10hipError_tT0_T1_T2_T3_mRjT4_P12ihipStream_tbNS1_7vsmem_tEEUlT_E_NS1_11comp_targetILNS1_3genE10ELNS1_11target_archE1200ELNS1_3gpuE4ELNS1_3repE0EEENS1_30default_config_static_selectorELNS0_4arch9wavefront6targetE0EEEvSM_.has_recursion, 0
	.set _ZN7rocprim17ROCPRIM_400000_NS6detail17trampoline_kernelINS0_14default_configENS1_37merge_sort_block_sort_config_selectorIlNS0_10empty_typeEEEZNS1_21merge_sort_block_sortIS3_PlS8_PS5_S9_ZN2at6native12_GLOBAL__N_124unique_dim_cuda_templateIsEESt5tupleIJNSA_6TensorESF_SF_EERKSF_lbbbEUlllE_EE10hipError_tT0_T1_T2_T3_mRjT4_P12ihipStream_tbNS1_7vsmem_tEEUlT_E_NS1_11comp_targetILNS1_3genE10ELNS1_11target_archE1200ELNS1_3gpuE4ELNS1_3repE0EEENS1_30default_config_static_selectorELNS0_4arch9wavefront6targetE0EEEvSM_.has_indirect_call, 0
	.section	.AMDGPU.csdata,"",@progbits
; Kernel info:
; codeLenInByte = 0
; TotalNumSgprs: 0
; NumVgprs: 0
; ScratchSize: 0
; MemoryBound: 0
; FloatMode: 240
; IeeeMode: 1
; LDSByteSize: 0 bytes/workgroup (compile time only)
; SGPRBlocks: 0
; VGPRBlocks: 0
; NumSGPRsForWavesPerEU: 1
; NumVGPRsForWavesPerEU: 1
; NamedBarCnt: 0
; Occupancy: 16
; WaveLimiterHint : 0
; COMPUTE_PGM_RSRC2:SCRATCH_EN: 0
; COMPUTE_PGM_RSRC2:USER_SGPR: 2
; COMPUTE_PGM_RSRC2:TRAP_HANDLER: 0
; COMPUTE_PGM_RSRC2:TGID_X_EN: 1
; COMPUTE_PGM_RSRC2:TGID_Y_EN: 0
; COMPUTE_PGM_RSRC2:TGID_Z_EN: 0
; COMPUTE_PGM_RSRC2:TIDIG_COMP_CNT: 0
	.section	.text._ZN7rocprim17ROCPRIM_400000_NS6detail17trampoline_kernelINS0_14default_configENS1_37merge_sort_block_sort_config_selectorIlNS0_10empty_typeEEEZNS1_21merge_sort_block_sortIS3_PlS8_PS5_S9_ZN2at6native12_GLOBAL__N_124unique_dim_cuda_templateIsEESt5tupleIJNSA_6TensorESF_SF_EERKSF_lbbbEUlllE_EE10hipError_tT0_T1_T2_T3_mRjT4_P12ihipStream_tbNS1_7vsmem_tEEUlT_E_NS1_11comp_targetILNS1_3genE9ELNS1_11target_archE1100ELNS1_3gpuE3ELNS1_3repE0EEENS1_30default_config_static_selectorELNS0_4arch9wavefront6targetE0EEEvSM_,"axG",@progbits,_ZN7rocprim17ROCPRIM_400000_NS6detail17trampoline_kernelINS0_14default_configENS1_37merge_sort_block_sort_config_selectorIlNS0_10empty_typeEEEZNS1_21merge_sort_block_sortIS3_PlS8_PS5_S9_ZN2at6native12_GLOBAL__N_124unique_dim_cuda_templateIsEESt5tupleIJNSA_6TensorESF_SF_EERKSF_lbbbEUlllE_EE10hipError_tT0_T1_T2_T3_mRjT4_P12ihipStream_tbNS1_7vsmem_tEEUlT_E_NS1_11comp_targetILNS1_3genE9ELNS1_11target_archE1100ELNS1_3gpuE3ELNS1_3repE0EEENS1_30default_config_static_selectorELNS0_4arch9wavefront6targetE0EEEvSM_,comdat
	.globl	_ZN7rocprim17ROCPRIM_400000_NS6detail17trampoline_kernelINS0_14default_configENS1_37merge_sort_block_sort_config_selectorIlNS0_10empty_typeEEEZNS1_21merge_sort_block_sortIS3_PlS8_PS5_S9_ZN2at6native12_GLOBAL__N_124unique_dim_cuda_templateIsEESt5tupleIJNSA_6TensorESF_SF_EERKSF_lbbbEUlllE_EE10hipError_tT0_T1_T2_T3_mRjT4_P12ihipStream_tbNS1_7vsmem_tEEUlT_E_NS1_11comp_targetILNS1_3genE9ELNS1_11target_archE1100ELNS1_3gpuE3ELNS1_3repE0EEENS1_30default_config_static_selectorELNS0_4arch9wavefront6targetE0EEEvSM_ ; -- Begin function _ZN7rocprim17ROCPRIM_400000_NS6detail17trampoline_kernelINS0_14default_configENS1_37merge_sort_block_sort_config_selectorIlNS0_10empty_typeEEEZNS1_21merge_sort_block_sortIS3_PlS8_PS5_S9_ZN2at6native12_GLOBAL__N_124unique_dim_cuda_templateIsEESt5tupleIJNSA_6TensorESF_SF_EERKSF_lbbbEUlllE_EE10hipError_tT0_T1_T2_T3_mRjT4_P12ihipStream_tbNS1_7vsmem_tEEUlT_E_NS1_11comp_targetILNS1_3genE9ELNS1_11target_archE1100ELNS1_3gpuE3ELNS1_3repE0EEENS1_30default_config_static_selectorELNS0_4arch9wavefront6targetE0EEEvSM_
	.p2align	8
	.type	_ZN7rocprim17ROCPRIM_400000_NS6detail17trampoline_kernelINS0_14default_configENS1_37merge_sort_block_sort_config_selectorIlNS0_10empty_typeEEEZNS1_21merge_sort_block_sortIS3_PlS8_PS5_S9_ZN2at6native12_GLOBAL__N_124unique_dim_cuda_templateIsEESt5tupleIJNSA_6TensorESF_SF_EERKSF_lbbbEUlllE_EE10hipError_tT0_T1_T2_T3_mRjT4_P12ihipStream_tbNS1_7vsmem_tEEUlT_E_NS1_11comp_targetILNS1_3genE9ELNS1_11target_archE1100ELNS1_3gpuE3ELNS1_3repE0EEENS1_30default_config_static_selectorELNS0_4arch9wavefront6targetE0EEEvSM_,@function
_ZN7rocprim17ROCPRIM_400000_NS6detail17trampoline_kernelINS0_14default_configENS1_37merge_sort_block_sort_config_selectorIlNS0_10empty_typeEEEZNS1_21merge_sort_block_sortIS3_PlS8_PS5_S9_ZN2at6native12_GLOBAL__N_124unique_dim_cuda_templateIsEESt5tupleIJNSA_6TensorESF_SF_EERKSF_lbbbEUlllE_EE10hipError_tT0_T1_T2_T3_mRjT4_P12ihipStream_tbNS1_7vsmem_tEEUlT_E_NS1_11comp_targetILNS1_3genE9ELNS1_11target_archE1100ELNS1_3gpuE3ELNS1_3repE0EEENS1_30default_config_static_selectorELNS0_4arch9wavefront6targetE0EEEvSM_: ; @_ZN7rocprim17ROCPRIM_400000_NS6detail17trampoline_kernelINS0_14default_configENS1_37merge_sort_block_sort_config_selectorIlNS0_10empty_typeEEEZNS1_21merge_sort_block_sortIS3_PlS8_PS5_S9_ZN2at6native12_GLOBAL__N_124unique_dim_cuda_templateIsEESt5tupleIJNSA_6TensorESF_SF_EERKSF_lbbbEUlllE_EE10hipError_tT0_T1_T2_T3_mRjT4_P12ihipStream_tbNS1_7vsmem_tEEUlT_E_NS1_11comp_targetILNS1_3genE9ELNS1_11target_archE1100ELNS1_3gpuE3ELNS1_3repE0EEENS1_30default_config_static_selectorELNS0_4arch9wavefront6targetE0EEEvSM_
; %bb.0:
	.section	.rodata,"a",@progbits
	.p2align	6, 0x0
	.amdhsa_kernel _ZN7rocprim17ROCPRIM_400000_NS6detail17trampoline_kernelINS0_14default_configENS1_37merge_sort_block_sort_config_selectorIlNS0_10empty_typeEEEZNS1_21merge_sort_block_sortIS3_PlS8_PS5_S9_ZN2at6native12_GLOBAL__N_124unique_dim_cuda_templateIsEESt5tupleIJNSA_6TensorESF_SF_EERKSF_lbbbEUlllE_EE10hipError_tT0_T1_T2_T3_mRjT4_P12ihipStream_tbNS1_7vsmem_tEEUlT_E_NS1_11comp_targetILNS1_3genE9ELNS1_11target_archE1100ELNS1_3gpuE3ELNS1_3repE0EEENS1_30default_config_static_selectorELNS0_4arch9wavefront6targetE0EEEvSM_
		.amdhsa_group_segment_fixed_size 0
		.amdhsa_private_segment_fixed_size 0
		.amdhsa_kernarg_size 72
		.amdhsa_user_sgpr_count 2
		.amdhsa_user_sgpr_dispatch_ptr 0
		.amdhsa_user_sgpr_queue_ptr 0
		.amdhsa_user_sgpr_kernarg_segment_ptr 1
		.amdhsa_user_sgpr_dispatch_id 0
		.amdhsa_user_sgpr_kernarg_preload_length 0
		.amdhsa_user_sgpr_kernarg_preload_offset 0
		.amdhsa_user_sgpr_private_segment_size 0
		.amdhsa_wavefront_size32 1
		.amdhsa_uses_dynamic_stack 0
		.amdhsa_enable_private_segment 0
		.amdhsa_system_sgpr_workgroup_id_x 1
		.amdhsa_system_sgpr_workgroup_id_y 0
		.amdhsa_system_sgpr_workgroup_id_z 0
		.amdhsa_system_sgpr_workgroup_info 0
		.amdhsa_system_vgpr_workitem_id 0
		.amdhsa_next_free_vgpr 1
		.amdhsa_next_free_sgpr 1
		.amdhsa_named_barrier_count 0
		.amdhsa_reserve_vcc 0
		.amdhsa_float_round_mode_32 0
		.amdhsa_float_round_mode_16_64 0
		.amdhsa_float_denorm_mode_32 3
		.amdhsa_float_denorm_mode_16_64 3
		.amdhsa_fp16_overflow 0
		.amdhsa_memory_ordered 1
		.amdhsa_forward_progress 1
		.amdhsa_inst_pref_size 0
		.amdhsa_round_robin_scheduling 0
		.amdhsa_exception_fp_ieee_invalid_op 0
		.amdhsa_exception_fp_denorm_src 0
		.amdhsa_exception_fp_ieee_div_zero 0
		.amdhsa_exception_fp_ieee_overflow 0
		.amdhsa_exception_fp_ieee_underflow 0
		.amdhsa_exception_fp_ieee_inexact 0
		.amdhsa_exception_int_div_zero 0
	.end_amdhsa_kernel
	.section	.text._ZN7rocprim17ROCPRIM_400000_NS6detail17trampoline_kernelINS0_14default_configENS1_37merge_sort_block_sort_config_selectorIlNS0_10empty_typeEEEZNS1_21merge_sort_block_sortIS3_PlS8_PS5_S9_ZN2at6native12_GLOBAL__N_124unique_dim_cuda_templateIsEESt5tupleIJNSA_6TensorESF_SF_EERKSF_lbbbEUlllE_EE10hipError_tT0_T1_T2_T3_mRjT4_P12ihipStream_tbNS1_7vsmem_tEEUlT_E_NS1_11comp_targetILNS1_3genE9ELNS1_11target_archE1100ELNS1_3gpuE3ELNS1_3repE0EEENS1_30default_config_static_selectorELNS0_4arch9wavefront6targetE0EEEvSM_,"axG",@progbits,_ZN7rocprim17ROCPRIM_400000_NS6detail17trampoline_kernelINS0_14default_configENS1_37merge_sort_block_sort_config_selectorIlNS0_10empty_typeEEEZNS1_21merge_sort_block_sortIS3_PlS8_PS5_S9_ZN2at6native12_GLOBAL__N_124unique_dim_cuda_templateIsEESt5tupleIJNSA_6TensorESF_SF_EERKSF_lbbbEUlllE_EE10hipError_tT0_T1_T2_T3_mRjT4_P12ihipStream_tbNS1_7vsmem_tEEUlT_E_NS1_11comp_targetILNS1_3genE9ELNS1_11target_archE1100ELNS1_3gpuE3ELNS1_3repE0EEENS1_30default_config_static_selectorELNS0_4arch9wavefront6targetE0EEEvSM_,comdat
.Lfunc_end634:
	.size	_ZN7rocprim17ROCPRIM_400000_NS6detail17trampoline_kernelINS0_14default_configENS1_37merge_sort_block_sort_config_selectorIlNS0_10empty_typeEEEZNS1_21merge_sort_block_sortIS3_PlS8_PS5_S9_ZN2at6native12_GLOBAL__N_124unique_dim_cuda_templateIsEESt5tupleIJNSA_6TensorESF_SF_EERKSF_lbbbEUlllE_EE10hipError_tT0_T1_T2_T3_mRjT4_P12ihipStream_tbNS1_7vsmem_tEEUlT_E_NS1_11comp_targetILNS1_3genE9ELNS1_11target_archE1100ELNS1_3gpuE3ELNS1_3repE0EEENS1_30default_config_static_selectorELNS0_4arch9wavefront6targetE0EEEvSM_, .Lfunc_end634-_ZN7rocprim17ROCPRIM_400000_NS6detail17trampoline_kernelINS0_14default_configENS1_37merge_sort_block_sort_config_selectorIlNS0_10empty_typeEEEZNS1_21merge_sort_block_sortIS3_PlS8_PS5_S9_ZN2at6native12_GLOBAL__N_124unique_dim_cuda_templateIsEESt5tupleIJNSA_6TensorESF_SF_EERKSF_lbbbEUlllE_EE10hipError_tT0_T1_T2_T3_mRjT4_P12ihipStream_tbNS1_7vsmem_tEEUlT_E_NS1_11comp_targetILNS1_3genE9ELNS1_11target_archE1100ELNS1_3gpuE3ELNS1_3repE0EEENS1_30default_config_static_selectorELNS0_4arch9wavefront6targetE0EEEvSM_
                                        ; -- End function
	.set _ZN7rocprim17ROCPRIM_400000_NS6detail17trampoline_kernelINS0_14default_configENS1_37merge_sort_block_sort_config_selectorIlNS0_10empty_typeEEEZNS1_21merge_sort_block_sortIS3_PlS8_PS5_S9_ZN2at6native12_GLOBAL__N_124unique_dim_cuda_templateIsEESt5tupleIJNSA_6TensorESF_SF_EERKSF_lbbbEUlllE_EE10hipError_tT0_T1_T2_T3_mRjT4_P12ihipStream_tbNS1_7vsmem_tEEUlT_E_NS1_11comp_targetILNS1_3genE9ELNS1_11target_archE1100ELNS1_3gpuE3ELNS1_3repE0EEENS1_30default_config_static_selectorELNS0_4arch9wavefront6targetE0EEEvSM_.num_vgpr, 0
	.set _ZN7rocprim17ROCPRIM_400000_NS6detail17trampoline_kernelINS0_14default_configENS1_37merge_sort_block_sort_config_selectorIlNS0_10empty_typeEEEZNS1_21merge_sort_block_sortIS3_PlS8_PS5_S9_ZN2at6native12_GLOBAL__N_124unique_dim_cuda_templateIsEESt5tupleIJNSA_6TensorESF_SF_EERKSF_lbbbEUlllE_EE10hipError_tT0_T1_T2_T3_mRjT4_P12ihipStream_tbNS1_7vsmem_tEEUlT_E_NS1_11comp_targetILNS1_3genE9ELNS1_11target_archE1100ELNS1_3gpuE3ELNS1_3repE0EEENS1_30default_config_static_selectorELNS0_4arch9wavefront6targetE0EEEvSM_.num_agpr, 0
	.set _ZN7rocprim17ROCPRIM_400000_NS6detail17trampoline_kernelINS0_14default_configENS1_37merge_sort_block_sort_config_selectorIlNS0_10empty_typeEEEZNS1_21merge_sort_block_sortIS3_PlS8_PS5_S9_ZN2at6native12_GLOBAL__N_124unique_dim_cuda_templateIsEESt5tupleIJNSA_6TensorESF_SF_EERKSF_lbbbEUlllE_EE10hipError_tT0_T1_T2_T3_mRjT4_P12ihipStream_tbNS1_7vsmem_tEEUlT_E_NS1_11comp_targetILNS1_3genE9ELNS1_11target_archE1100ELNS1_3gpuE3ELNS1_3repE0EEENS1_30default_config_static_selectorELNS0_4arch9wavefront6targetE0EEEvSM_.numbered_sgpr, 0
	.set _ZN7rocprim17ROCPRIM_400000_NS6detail17trampoline_kernelINS0_14default_configENS1_37merge_sort_block_sort_config_selectorIlNS0_10empty_typeEEEZNS1_21merge_sort_block_sortIS3_PlS8_PS5_S9_ZN2at6native12_GLOBAL__N_124unique_dim_cuda_templateIsEESt5tupleIJNSA_6TensorESF_SF_EERKSF_lbbbEUlllE_EE10hipError_tT0_T1_T2_T3_mRjT4_P12ihipStream_tbNS1_7vsmem_tEEUlT_E_NS1_11comp_targetILNS1_3genE9ELNS1_11target_archE1100ELNS1_3gpuE3ELNS1_3repE0EEENS1_30default_config_static_selectorELNS0_4arch9wavefront6targetE0EEEvSM_.num_named_barrier, 0
	.set _ZN7rocprim17ROCPRIM_400000_NS6detail17trampoline_kernelINS0_14default_configENS1_37merge_sort_block_sort_config_selectorIlNS0_10empty_typeEEEZNS1_21merge_sort_block_sortIS3_PlS8_PS5_S9_ZN2at6native12_GLOBAL__N_124unique_dim_cuda_templateIsEESt5tupleIJNSA_6TensorESF_SF_EERKSF_lbbbEUlllE_EE10hipError_tT0_T1_T2_T3_mRjT4_P12ihipStream_tbNS1_7vsmem_tEEUlT_E_NS1_11comp_targetILNS1_3genE9ELNS1_11target_archE1100ELNS1_3gpuE3ELNS1_3repE0EEENS1_30default_config_static_selectorELNS0_4arch9wavefront6targetE0EEEvSM_.private_seg_size, 0
	.set _ZN7rocprim17ROCPRIM_400000_NS6detail17trampoline_kernelINS0_14default_configENS1_37merge_sort_block_sort_config_selectorIlNS0_10empty_typeEEEZNS1_21merge_sort_block_sortIS3_PlS8_PS5_S9_ZN2at6native12_GLOBAL__N_124unique_dim_cuda_templateIsEESt5tupleIJNSA_6TensorESF_SF_EERKSF_lbbbEUlllE_EE10hipError_tT0_T1_T2_T3_mRjT4_P12ihipStream_tbNS1_7vsmem_tEEUlT_E_NS1_11comp_targetILNS1_3genE9ELNS1_11target_archE1100ELNS1_3gpuE3ELNS1_3repE0EEENS1_30default_config_static_selectorELNS0_4arch9wavefront6targetE0EEEvSM_.uses_vcc, 0
	.set _ZN7rocprim17ROCPRIM_400000_NS6detail17trampoline_kernelINS0_14default_configENS1_37merge_sort_block_sort_config_selectorIlNS0_10empty_typeEEEZNS1_21merge_sort_block_sortIS3_PlS8_PS5_S9_ZN2at6native12_GLOBAL__N_124unique_dim_cuda_templateIsEESt5tupleIJNSA_6TensorESF_SF_EERKSF_lbbbEUlllE_EE10hipError_tT0_T1_T2_T3_mRjT4_P12ihipStream_tbNS1_7vsmem_tEEUlT_E_NS1_11comp_targetILNS1_3genE9ELNS1_11target_archE1100ELNS1_3gpuE3ELNS1_3repE0EEENS1_30default_config_static_selectorELNS0_4arch9wavefront6targetE0EEEvSM_.uses_flat_scratch, 0
	.set _ZN7rocprim17ROCPRIM_400000_NS6detail17trampoline_kernelINS0_14default_configENS1_37merge_sort_block_sort_config_selectorIlNS0_10empty_typeEEEZNS1_21merge_sort_block_sortIS3_PlS8_PS5_S9_ZN2at6native12_GLOBAL__N_124unique_dim_cuda_templateIsEESt5tupleIJNSA_6TensorESF_SF_EERKSF_lbbbEUlllE_EE10hipError_tT0_T1_T2_T3_mRjT4_P12ihipStream_tbNS1_7vsmem_tEEUlT_E_NS1_11comp_targetILNS1_3genE9ELNS1_11target_archE1100ELNS1_3gpuE3ELNS1_3repE0EEENS1_30default_config_static_selectorELNS0_4arch9wavefront6targetE0EEEvSM_.has_dyn_sized_stack, 0
	.set _ZN7rocprim17ROCPRIM_400000_NS6detail17trampoline_kernelINS0_14default_configENS1_37merge_sort_block_sort_config_selectorIlNS0_10empty_typeEEEZNS1_21merge_sort_block_sortIS3_PlS8_PS5_S9_ZN2at6native12_GLOBAL__N_124unique_dim_cuda_templateIsEESt5tupleIJNSA_6TensorESF_SF_EERKSF_lbbbEUlllE_EE10hipError_tT0_T1_T2_T3_mRjT4_P12ihipStream_tbNS1_7vsmem_tEEUlT_E_NS1_11comp_targetILNS1_3genE9ELNS1_11target_archE1100ELNS1_3gpuE3ELNS1_3repE0EEENS1_30default_config_static_selectorELNS0_4arch9wavefront6targetE0EEEvSM_.has_recursion, 0
	.set _ZN7rocprim17ROCPRIM_400000_NS6detail17trampoline_kernelINS0_14default_configENS1_37merge_sort_block_sort_config_selectorIlNS0_10empty_typeEEEZNS1_21merge_sort_block_sortIS3_PlS8_PS5_S9_ZN2at6native12_GLOBAL__N_124unique_dim_cuda_templateIsEESt5tupleIJNSA_6TensorESF_SF_EERKSF_lbbbEUlllE_EE10hipError_tT0_T1_T2_T3_mRjT4_P12ihipStream_tbNS1_7vsmem_tEEUlT_E_NS1_11comp_targetILNS1_3genE9ELNS1_11target_archE1100ELNS1_3gpuE3ELNS1_3repE0EEENS1_30default_config_static_selectorELNS0_4arch9wavefront6targetE0EEEvSM_.has_indirect_call, 0
	.section	.AMDGPU.csdata,"",@progbits
; Kernel info:
; codeLenInByte = 0
; TotalNumSgprs: 0
; NumVgprs: 0
; ScratchSize: 0
; MemoryBound: 0
; FloatMode: 240
; IeeeMode: 1
; LDSByteSize: 0 bytes/workgroup (compile time only)
; SGPRBlocks: 0
; VGPRBlocks: 0
; NumSGPRsForWavesPerEU: 1
; NumVGPRsForWavesPerEU: 1
; NamedBarCnt: 0
; Occupancy: 16
; WaveLimiterHint : 0
; COMPUTE_PGM_RSRC2:SCRATCH_EN: 0
; COMPUTE_PGM_RSRC2:USER_SGPR: 2
; COMPUTE_PGM_RSRC2:TRAP_HANDLER: 0
; COMPUTE_PGM_RSRC2:TGID_X_EN: 1
; COMPUTE_PGM_RSRC2:TGID_Y_EN: 0
; COMPUTE_PGM_RSRC2:TGID_Z_EN: 0
; COMPUTE_PGM_RSRC2:TIDIG_COMP_CNT: 0
	.section	.text._ZN7rocprim17ROCPRIM_400000_NS6detail17trampoline_kernelINS0_14default_configENS1_37merge_sort_block_sort_config_selectorIlNS0_10empty_typeEEEZNS1_21merge_sort_block_sortIS3_PlS8_PS5_S9_ZN2at6native12_GLOBAL__N_124unique_dim_cuda_templateIsEESt5tupleIJNSA_6TensorESF_SF_EERKSF_lbbbEUlllE_EE10hipError_tT0_T1_T2_T3_mRjT4_P12ihipStream_tbNS1_7vsmem_tEEUlT_E_NS1_11comp_targetILNS1_3genE8ELNS1_11target_archE1030ELNS1_3gpuE2ELNS1_3repE0EEENS1_30default_config_static_selectorELNS0_4arch9wavefront6targetE0EEEvSM_,"axG",@progbits,_ZN7rocprim17ROCPRIM_400000_NS6detail17trampoline_kernelINS0_14default_configENS1_37merge_sort_block_sort_config_selectorIlNS0_10empty_typeEEEZNS1_21merge_sort_block_sortIS3_PlS8_PS5_S9_ZN2at6native12_GLOBAL__N_124unique_dim_cuda_templateIsEESt5tupleIJNSA_6TensorESF_SF_EERKSF_lbbbEUlllE_EE10hipError_tT0_T1_T2_T3_mRjT4_P12ihipStream_tbNS1_7vsmem_tEEUlT_E_NS1_11comp_targetILNS1_3genE8ELNS1_11target_archE1030ELNS1_3gpuE2ELNS1_3repE0EEENS1_30default_config_static_selectorELNS0_4arch9wavefront6targetE0EEEvSM_,comdat
	.globl	_ZN7rocprim17ROCPRIM_400000_NS6detail17trampoline_kernelINS0_14default_configENS1_37merge_sort_block_sort_config_selectorIlNS0_10empty_typeEEEZNS1_21merge_sort_block_sortIS3_PlS8_PS5_S9_ZN2at6native12_GLOBAL__N_124unique_dim_cuda_templateIsEESt5tupleIJNSA_6TensorESF_SF_EERKSF_lbbbEUlllE_EE10hipError_tT0_T1_T2_T3_mRjT4_P12ihipStream_tbNS1_7vsmem_tEEUlT_E_NS1_11comp_targetILNS1_3genE8ELNS1_11target_archE1030ELNS1_3gpuE2ELNS1_3repE0EEENS1_30default_config_static_selectorELNS0_4arch9wavefront6targetE0EEEvSM_ ; -- Begin function _ZN7rocprim17ROCPRIM_400000_NS6detail17trampoline_kernelINS0_14default_configENS1_37merge_sort_block_sort_config_selectorIlNS0_10empty_typeEEEZNS1_21merge_sort_block_sortIS3_PlS8_PS5_S9_ZN2at6native12_GLOBAL__N_124unique_dim_cuda_templateIsEESt5tupleIJNSA_6TensorESF_SF_EERKSF_lbbbEUlllE_EE10hipError_tT0_T1_T2_T3_mRjT4_P12ihipStream_tbNS1_7vsmem_tEEUlT_E_NS1_11comp_targetILNS1_3genE8ELNS1_11target_archE1030ELNS1_3gpuE2ELNS1_3repE0EEENS1_30default_config_static_selectorELNS0_4arch9wavefront6targetE0EEEvSM_
	.p2align	8
	.type	_ZN7rocprim17ROCPRIM_400000_NS6detail17trampoline_kernelINS0_14default_configENS1_37merge_sort_block_sort_config_selectorIlNS0_10empty_typeEEEZNS1_21merge_sort_block_sortIS3_PlS8_PS5_S9_ZN2at6native12_GLOBAL__N_124unique_dim_cuda_templateIsEESt5tupleIJNSA_6TensorESF_SF_EERKSF_lbbbEUlllE_EE10hipError_tT0_T1_T2_T3_mRjT4_P12ihipStream_tbNS1_7vsmem_tEEUlT_E_NS1_11comp_targetILNS1_3genE8ELNS1_11target_archE1030ELNS1_3gpuE2ELNS1_3repE0EEENS1_30default_config_static_selectorELNS0_4arch9wavefront6targetE0EEEvSM_,@function
_ZN7rocprim17ROCPRIM_400000_NS6detail17trampoline_kernelINS0_14default_configENS1_37merge_sort_block_sort_config_selectorIlNS0_10empty_typeEEEZNS1_21merge_sort_block_sortIS3_PlS8_PS5_S9_ZN2at6native12_GLOBAL__N_124unique_dim_cuda_templateIsEESt5tupleIJNSA_6TensorESF_SF_EERKSF_lbbbEUlllE_EE10hipError_tT0_T1_T2_T3_mRjT4_P12ihipStream_tbNS1_7vsmem_tEEUlT_E_NS1_11comp_targetILNS1_3genE8ELNS1_11target_archE1030ELNS1_3gpuE2ELNS1_3repE0EEENS1_30default_config_static_selectorELNS0_4arch9wavefront6targetE0EEEvSM_: ; @_ZN7rocprim17ROCPRIM_400000_NS6detail17trampoline_kernelINS0_14default_configENS1_37merge_sort_block_sort_config_selectorIlNS0_10empty_typeEEEZNS1_21merge_sort_block_sortIS3_PlS8_PS5_S9_ZN2at6native12_GLOBAL__N_124unique_dim_cuda_templateIsEESt5tupleIJNSA_6TensorESF_SF_EERKSF_lbbbEUlllE_EE10hipError_tT0_T1_T2_T3_mRjT4_P12ihipStream_tbNS1_7vsmem_tEEUlT_E_NS1_11comp_targetILNS1_3genE8ELNS1_11target_archE1030ELNS1_3gpuE2ELNS1_3repE0EEENS1_30default_config_static_selectorELNS0_4arch9wavefront6targetE0EEEvSM_
; %bb.0:
	.section	.rodata,"a",@progbits
	.p2align	6, 0x0
	.amdhsa_kernel _ZN7rocprim17ROCPRIM_400000_NS6detail17trampoline_kernelINS0_14default_configENS1_37merge_sort_block_sort_config_selectorIlNS0_10empty_typeEEEZNS1_21merge_sort_block_sortIS3_PlS8_PS5_S9_ZN2at6native12_GLOBAL__N_124unique_dim_cuda_templateIsEESt5tupleIJNSA_6TensorESF_SF_EERKSF_lbbbEUlllE_EE10hipError_tT0_T1_T2_T3_mRjT4_P12ihipStream_tbNS1_7vsmem_tEEUlT_E_NS1_11comp_targetILNS1_3genE8ELNS1_11target_archE1030ELNS1_3gpuE2ELNS1_3repE0EEENS1_30default_config_static_selectorELNS0_4arch9wavefront6targetE0EEEvSM_
		.amdhsa_group_segment_fixed_size 0
		.amdhsa_private_segment_fixed_size 0
		.amdhsa_kernarg_size 72
		.amdhsa_user_sgpr_count 2
		.amdhsa_user_sgpr_dispatch_ptr 0
		.amdhsa_user_sgpr_queue_ptr 0
		.amdhsa_user_sgpr_kernarg_segment_ptr 1
		.amdhsa_user_sgpr_dispatch_id 0
		.amdhsa_user_sgpr_kernarg_preload_length 0
		.amdhsa_user_sgpr_kernarg_preload_offset 0
		.amdhsa_user_sgpr_private_segment_size 0
		.amdhsa_wavefront_size32 1
		.amdhsa_uses_dynamic_stack 0
		.amdhsa_enable_private_segment 0
		.amdhsa_system_sgpr_workgroup_id_x 1
		.amdhsa_system_sgpr_workgroup_id_y 0
		.amdhsa_system_sgpr_workgroup_id_z 0
		.amdhsa_system_sgpr_workgroup_info 0
		.amdhsa_system_vgpr_workitem_id 0
		.amdhsa_next_free_vgpr 1
		.amdhsa_next_free_sgpr 1
		.amdhsa_named_barrier_count 0
		.amdhsa_reserve_vcc 0
		.amdhsa_float_round_mode_32 0
		.amdhsa_float_round_mode_16_64 0
		.amdhsa_float_denorm_mode_32 3
		.amdhsa_float_denorm_mode_16_64 3
		.amdhsa_fp16_overflow 0
		.amdhsa_memory_ordered 1
		.amdhsa_forward_progress 1
		.amdhsa_inst_pref_size 0
		.amdhsa_round_robin_scheduling 0
		.amdhsa_exception_fp_ieee_invalid_op 0
		.amdhsa_exception_fp_denorm_src 0
		.amdhsa_exception_fp_ieee_div_zero 0
		.amdhsa_exception_fp_ieee_overflow 0
		.amdhsa_exception_fp_ieee_underflow 0
		.amdhsa_exception_fp_ieee_inexact 0
		.amdhsa_exception_int_div_zero 0
	.end_amdhsa_kernel
	.section	.text._ZN7rocprim17ROCPRIM_400000_NS6detail17trampoline_kernelINS0_14default_configENS1_37merge_sort_block_sort_config_selectorIlNS0_10empty_typeEEEZNS1_21merge_sort_block_sortIS3_PlS8_PS5_S9_ZN2at6native12_GLOBAL__N_124unique_dim_cuda_templateIsEESt5tupleIJNSA_6TensorESF_SF_EERKSF_lbbbEUlllE_EE10hipError_tT0_T1_T2_T3_mRjT4_P12ihipStream_tbNS1_7vsmem_tEEUlT_E_NS1_11comp_targetILNS1_3genE8ELNS1_11target_archE1030ELNS1_3gpuE2ELNS1_3repE0EEENS1_30default_config_static_selectorELNS0_4arch9wavefront6targetE0EEEvSM_,"axG",@progbits,_ZN7rocprim17ROCPRIM_400000_NS6detail17trampoline_kernelINS0_14default_configENS1_37merge_sort_block_sort_config_selectorIlNS0_10empty_typeEEEZNS1_21merge_sort_block_sortIS3_PlS8_PS5_S9_ZN2at6native12_GLOBAL__N_124unique_dim_cuda_templateIsEESt5tupleIJNSA_6TensorESF_SF_EERKSF_lbbbEUlllE_EE10hipError_tT0_T1_T2_T3_mRjT4_P12ihipStream_tbNS1_7vsmem_tEEUlT_E_NS1_11comp_targetILNS1_3genE8ELNS1_11target_archE1030ELNS1_3gpuE2ELNS1_3repE0EEENS1_30default_config_static_selectorELNS0_4arch9wavefront6targetE0EEEvSM_,comdat
.Lfunc_end635:
	.size	_ZN7rocprim17ROCPRIM_400000_NS6detail17trampoline_kernelINS0_14default_configENS1_37merge_sort_block_sort_config_selectorIlNS0_10empty_typeEEEZNS1_21merge_sort_block_sortIS3_PlS8_PS5_S9_ZN2at6native12_GLOBAL__N_124unique_dim_cuda_templateIsEESt5tupleIJNSA_6TensorESF_SF_EERKSF_lbbbEUlllE_EE10hipError_tT0_T1_T2_T3_mRjT4_P12ihipStream_tbNS1_7vsmem_tEEUlT_E_NS1_11comp_targetILNS1_3genE8ELNS1_11target_archE1030ELNS1_3gpuE2ELNS1_3repE0EEENS1_30default_config_static_selectorELNS0_4arch9wavefront6targetE0EEEvSM_, .Lfunc_end635-_ZN7rocprim17ROCPRIM_400000_NS6detail17trampoline_kernelINS0_14default_configENS1_37merge_sort_block_sort_config_selectorIlNS0_10empty_typeEEEZNS1_21merge_sort_block_sortIS3_PlS8_PS5_S9_ZN2at6native12_GLOBAL__N_124unique_dim_cuda_templateIsEESt5tupleIJNSA_6TensorESF_SF_EERKSF_lbbbEUlllE_EE10hipError_tT0_T1_T2_T3_mRjT4_P12ihipStream_tbNS1_7vsmem_tEEUlT_E_NS1_11comp_targetILNS1_3genE8ELNS1_11target_archE1030ELNS1_3gpuE2ELNS1_3repE0EEENS1_30default_config_static_selectorELNS0_4arch9wavefront6targetE0EEEvSM_
                                        ; -- End function
	.set _ZN7rocprim17ROCPRIM_400000_NS6detail17trampoline_kernelINS0_14default_configENS1_37merge_sort_block_sort_config_selectorIlNS0_10empty_typeEEEZNS1_21merge_sort_block_sortIS3_PlS8_PS5_S9_ZN2at6native12_GLOBAL__N_124unique_dim_cuda_templateIsEESt5tupleIJNSA_6TensorESF_SF_EERKSF_lbbbEUlllE_EE10hipError_tT0_T1_T2_T3_mRjT4_P12ihipStream_tbNS1_7vsmem_tEEUlT_E_NS1_11comp_targetILNS1_3genE8ELNS1_11target_archE1030ELNS1_3gpuE2ELNS1_3repE0EEENS1_30default_config_static_selectorELNS0_4arch9wavefront6targetE0EEEvSM_.num_vgpr, 0
	.set _ZN7rocprim17ROCPRIM_400000_NS6detail17trampoline_kernelINS0_14default_configENS1_37merge_sort_block_sort_config_selectorIlNS0_10empty_typeEEEZNS1_21merge_sort_block_sortIS3_PlS8_PS5_S9_ZN2at6native12_GLOBAL__N_124unique_dim_cuda_templateIsEESt5tupleIJNSA_6TensorESF_SF_EERKSF_lbbbEUlllE_EE10hipError_tT0_T1_T2_T3_mRjT4_P12ihipStream_tbNS1_7vsmem_tEEUlT_E_NS1_11comp_targetILNS1_3genE8ELNS1_11target_archE1030ELNS1_3gpuE2ELNS1_3repE0EEENS1_30default_config_static_selectorELNS0_4arch9wavefront6targetE0EEEvSM_.num_agpr, 0
	.set _ZN7rocprim17ROCPRIM_400000_NS6detail17trampoline_kernelINS0_14default_configENS1_37merge_sort_block_sort_config_selectorIlNS0_10empty_typeEEEZNS1_21merge_sort_block_sortIS3_PlS8_PS5_S9_ZN2at6native12_GLOBAL__N_124unique_dim_cuda_templateIsEESt5tupleIJNSA_6TensorESF_SF_EERKSF_lbbbEUlllE_EE10hipError_tT0_T1_T2_T3_mRjT4_P12ihipStream_tbNS1_7vsmem_tEEUlT_E_NS1_11comp_targetILNS1_3genE8ELNS1_11target_archE1030ELNS1_3gpuE2ELNS1_3repE0EEENS1_30default_config_static_selectorELNS0_4arch9wavefront6targetE0EEEvSM_.numbered_sgpr, 0
	.set _ZN7rocprim17ROCPRIM_400000_NS6detail17trampoline_kernelINS0_14default_configENS1_37merge_sort_block_sort_config_selectorIlNS0_10empty_typeEEEZNS1_21merge_sort_block_sortIS3_PlS8_PS5_S9_ZN2at6native12_GLOBAL__N_124unique_dim_cuda_templateIsEESt5tupleIJNSA_6TensorESF_SF_EERKSF_lbbbEUlllE_EE10hipError_tT0_T1_T2_T3_mRjT4_P12ihipStream_tbNS1_7vsmem_tEEUlT_E_NS1_11comp_targetILNS1_3genE8ELNS1_11target_archE1030ELNS1_3gpuE2ELNS1_3repE0EEENS1_30default_config_static_selectorELNS0_4arch9wavefront6targetE0EEEvSM_.num_named_barrier, 0
	.set _ZN7rocprim17ROCPRIM_400000_NS6detail17trampoline_kernelINS0_14default_configENS1_37merge_sort_block_sort_config_selectorIlNS0_10empty_typeEEEZNS1_21merge_sort_block_sortIS3_PlS8_PS5_S9_ZN2at6native12_GLOBAL__N_124unique_dim_cuda_templateIsEESt5tupleIJNSA_6TensorESF_SF_EERKSF_lbbbEUlllE_EE10hipError_tT0_T1_T2_T3_mRjT4_P12ihipStream_tbNS1_7vsmem_tEEUlT_E_NS1_11comp_targetILNS1_3genE8ELNS1_11target_archE1030ELNS1_3gpuE2ELNS1_3repE0EEENS1_30default_config_static_selectorELNS0_4arch9wavefront6targetE0EEEvSM_.private_seg_size, 0
	.set _ZN7rocprim17ROCPRIM_400000_NS6detail17trampoline_kernelINS0_14default_configENS1_37merge_sort_block_sort_config_selectorIlNS0_10empty_typeEEEZNS1_21merge_sort_block_sortIS3_PlS8_PS5_S9_ZN2at6native12_GLOBAL__N_124unique_dim_cuda_templateIsEESt5tupleIJNSA_6TensorESF_SF_EERKSF_lbbbEUlllE_EE10hipError_tT0_T1_T2_T3_mRjT4_P12ihipStream_tbNS1_7vsmem_tEEUlT_E_NS1_11comp_targetILNS1_3genE8ELNS1_11target_archE1030ELNS1_3gpuE2ELNS1_3repE0EEENS1_30default_config_static_selectorELNS0_4arch9wavefront6targetE0EEEvSM_.uses_vcc, 0
	.set _ZN7rocprim17ROCPRIM_400000_NS6detail17trampoline_kernelINS0_14default_configENS1_37merge_sort_block_sort_config_selectorIlNS0_10empty_typeEEEZNS1_21merge_sort_block_sortIS3_PlS8_PS5_S9_ZN2at6native12_GLOBAL__N_124unique_dim_cuda_templateIsEESt5tupleIJNSA_6TensorESF_SF_EERKSF_lbbbEUlllE_EE10hipError_tT0_T1_T2_T3_mRjT4_P12ihipStream_tbNS1_7vsmem_tEEUlT_E_NS1_11comp_targetILNS1_3genE8ELNS1_11target_archE1030ELNS1_3gpuE2ELNS1_3repE0EEENS1_30default_config_static_selectorELNS0_4arch9wavefront6targetE0EEEvSM_.uses_flat_scratch, 0
	.set _ZN7rocprim17ROCPRIM_400000_NS6detail17trampoline_kernelINS0_14default_configENS1_37merge_sort_block_sort_config_selectorIlNS0_10empty_typeEEEZNS1_21merge_sort_block_sortIS3_PlS8_PS5_S9_ZN2at6native12_GLOBAL__N_124unique_dim_cuda_templateIsEESt5tupleIJNSA_6TensorESF_SF_EERKSF_lbbbEUlllE_EE10hipError_tT0_T1_T2_T3_mRjT4_P12ihipStream_tbNS1_7vsmem_tEEUlT_E_NS1_11comp_targetILNS1_3genE8ELNS1_11target_archE1030ELNS1_3gpuE2ELNS1_3repE0EEENS1_30default_config_static_selectorELNS0_4arch9wavefront6targetE0EEEvSM_.has_dyn_sized_stack, 0
	.set _ZN7rocprim17ROCPRIM_400000_NS6detail17trampoline_kernelINS0_14default_configENS1_37merge_sort_block_sort_config_selectorIlNS0_10empty_typeEEEZNS1_21merge_sort_block_sortIS3_PlS8_PS5_S9_ZN2at6native12_GLOBAL__N_124unique_dim_cuda_templateIsEESt5tupleIJNSA_6TensorESF_SF_EERKSF_lbbbEUlllE_EE10hipError_tT0_T1_T2_T3_mRjT4_P12ihipStream_tbNS1_7vsmem_tEEUlT_E_NS1_11comp_targetILNS1_3genE8ELNS1_11target_archE1030ELNS1_3gpuE2ELNS1_3repE0EEENS1_30default_config_static_selectorELNS0_4arch9wavefront6targetE0EEEvSM_.has_recursion, 0
	.set _ZN7rocprim17ROCPRIM_400000_NS6detail17trampoline_kernelINS0_14default_configENS1_37merge_sort_block_sort_config_selectorIlNS0_10empty_typeEEEZNS1_21merge_sort_block_sortIS3_PlS8_PS5_S9_ZN2at6native12_GLOBAL__N_124unique_dim_cuda_templateIsEESt5tupleIJNSA_6TensorESF_SF_EERKSF_lbbbEUlllE_EE10hipError_tT0_T1_T2_T3_mRjT4_P12ihipStream_tbNS1_7vsmem_tEEUlT_E_NS1_11comp_targetILNS1_3genE8ELNS1_11target_archE1030ELNS1_3gpuE2ELNS1_3repE0EEENS1_30default_config_static_selectorELNS0_4arch9wavefront6targetE0EEEvSM_.has_indirect_call, 0
	.section	.AMDGPU.csdata,"",@progbits
; Kernel info:
; codeLenInByte = 0
; TotalNumSgprs: 0
; NumVgprs: 0
; ScratchSize: 0
; MemoryBound: 0
; FloatMode: 240
; IeeeMode: 1
; LDSByteSize: 0 bytes/workgroup (compile time only)
; SGPRBlocks: 0
; VGPRBlocks: 0
; NumSGPRsForWavesPerEU: 1
; NumVGPRsForWavesPerEU: 1
; NamedBarCnt: 0
; Occupancy: 16
; WaveLimiterHint : 0
; COMPUTE_PGM_RSRC2:SCRATCH_EN: 0
; COMPUTE_PGM_RSRC2:USER_SGPR: 2
; COMPUTE_PGM_RSRC2:TRAP_HANDLER: 0
; COMPUTE_PGM_RSRC2:TGID_X_EN: 1
; COMPUTE_PGM_RSRC2:TGID_Y_EN: 0
; COMPUTE_PGM_RSRC2:TGID_Z_EN: 0
; COMPUTE_PGM_RSRC2:TIDIG_COMP_CNT: 0
	.section	.text._ZN7rocprim17ROCPRIM_400000_NS6detail17trampoline_kernelINS0_14default_configENS1_38merge_sort_block_merge_config_selectorIlNS0_10empty_typeEEEZZNS1_27merge_sort_block_merge_implIS3_PlPS5_mZN2at6native12_GLOBAL__N_124unique_dim_cuda_templateIsEESt5tupleIJNSA_6TensorESF_SF_EERKSF_lbbbEUlllE_EE10hipError_tT0_T1_T2_jT3_P12ihipStream_tbPNSt15iterator_traitsISL_E10value_typeEPNSR_ISM_E10value_typeEPSN_NS1_7vsmem_tEENKUlT_SL_SM_SN_E_clIS8_S8_S9_S9_EESK_S10_SL_SM_SN_EUlS10_E_NS1_11comp_targetILNS1_3genE0ELNS1_11target_archE4294967295ELNS1_3gpuE0ELNS1_3repE0EEENS1_48merge_mergepath_partition_config_static_selectorELNS0_4arch9wavefront6targetE0EEEvSM_,"axG",@progbits,_ZN7rocprim17ROCPRIM_400000_NS6detail17trampoline_kernelINS0_14default_configENS1_38merge_sort_block_merge_config_selectorIlNS0_10empty_typeEEEZZNS1_27merge_sort_block_merge_implIS3_PlPS5_mZN2at6native12_GLOBAL__N_124unique_dim_cuda_templateIsEESt5tupleIJNSA_6TensorESF_SF_EERKSF_lbbbEUlllE_EE10hipError_tT0_T1_T2_jT3_P12ihipStream_tbPNSt15iterator_traitsISL_E10value_typeEPNSR_ISM_E10value_typeEPSN_NS1_7vsmem_tEENKUlT_SL_SM_SN_E_clIS8_S8_S9_S9_EESK_S10_SL_SM_SN_EUlS10_E_NS1_11comp_targetILNS1_3genE0ELNS1_11target_archE4294967295ELNS1_3gpuE0ELNS1_3repE0EEENS1_48merge_mergepath_partition_config_static_selectorELNS0_4arch9wavefront6targetE0EEEvSM_,comdat
	.globl	_ZN7rocprim17ROCPRIM_400000_NS6detail17trampoline_kernelINS0_14default_configENS1_38merge_sort_block_merge_config_selectorIlNS0_10empty_typeEEEZZNS1_27merge_sort_block_merge_implIS3_PlPS5_mZN2at6native12_GLOBAL__N_124unique_dim_cuda_templateIsEESt5tupleIJNSA_6TensorESF_SF_EERKSF_lbbbEUlllE_EE10hipError_tT0_T1_T2_jT3_P12ihipStream_tbPNSt15iterator_traitsISL_E10value_typeEPNSR_ISM_E10value_typeEPSN_NS1_7vsmem_tEENKUlT_SL_SM_SN_E_clIS8_S8_S9_S9_EESK_S10_SL_SM_SN_EUlS10_E_NS1_11comp_targetILNS1_3genE0ELNS1_11target_archE4294967295ELNS1_3gpuE0ELNS1_3repE0EEENS1_48merge_mergepath_partition_config_static_selectorELNS0_4arch9wavefront6targetE0EEEvSM_ ; -- Begin function _ZN7rocprim17ROCPRIM_400000_NS6detail17trampoline_kernelINS0_14default_configENS1_38merge_sort_block_merge_config_selectorIlNS0_10empty_typeEEEZZNS1_27merge_sort_block_merge_implIS3_PlPS5_mZN2at6native12_GLOBAL__N_124unique_dim_cuda_templateIsEESt5tupleIJNSA_6TensorESF_SF_EERKSF_lbbbEUlllE_EE10hipError_tT0_T1_T2_jT3_P12ihipStream_tbPNSt15iterator_traitsISL_E10value_typeEPNSR_ISM_E10value_typeEPSN_NS1_7vsmem_tEENKUlT_SL_SM_SN_E_clIS8_S8_S9_S9_EESK_S10_SL_SM_SN_EUlS10_E_NS1_11comp_targetILNS1_3genE0ELNS1_11target_archE4294967295ELNS1_3gpuE0ELNS1_3repE0EEENS1_48merge_mergepath_partition_config_static_selectorELNS0_4arch9wavefront6targetE0EEEvSM_
	.p2align	8
	.type	_ZN7rocprim17ROCPRIM_400000_NS6detail17trampoline_kernelINS0_14default_configENS1_38merge_sort_block_merge_config_selectorIlNS0_10empty_typeEEEZZNS1_27merge_sort_block_merge_implIS3_PlPS5_mZN2at6native12_GLOBAL__N_124unique_dim_cuda_templateIsEESt5tupleIJNSA_6TensorESF_SF_EERKSF_lbbbEUlllE_EE10hipError_tT0_T1_T2_jT3_P12ihipStream_tbPNSt15iterator_traitsISL_E10value_typeEPNSR_ISM_E10value_typeEPSN_NS1_7vsmem_tEENKUlT_SL_SM_SN_E_clIS8_S8_S9_S9_EESK_S10_SL_SM_SN_EUlS10_E_NS1_11comp_targetILNS1_3genE0ELNS1_11target_archE4294967295ELNS1_3gpuE0ELNS1_3repE0EEENS1_48merge_mergepath_partition_config_static_selectorELNS0_4arch9wavefront6targetE0EEEvSM_,@function
_ZN7rocprim17ROCPRIM_400000_NS6detail17trampoline_kernelINS0_14default_configENS1_38merge_sort_block_merge_config_selectorIlNS0_10empty_typeEEEZZNS1_27merge_sort_block_merge_implIS3_PlPS5_mZN2at6native12_GLOBAL__N_124unique_dim_cuda_templateIsEESt5tupleIJNSA_6TensorESF_SF_EERKSF_lbbbEUlllE_EE10hipError_tT0_T1_T2_jT3_P12ihipStream_tbPNSt15iterator_traitsISL_E10value_typeEPNSR_ISM_E10value_typeEPSN_NS1_7vsmem_tEENKUlT_SL_SM_SN_E_clIS8_S8_S9_S9_EESK_S10_SL_SM_SN_EUlS10_E_NS1_11comp_targetILNS1_3genE0ELNS1_11target_archE4294967295ELNS1_3gpuE0ELNS1_3repE0EEENS1_48merge_mergepath_partition_config_static_selectorELNS0_4arch9wavefront6targetE0EEEvSM_: ; @_ZN7rocprim17ROCPRIM_400000_NS6detail17trampoline_kernelINS0_14default_configENS1_38merge_sort_block_merge_config_selectorIlNS0_10empty_typeEEEZZNS1_27merge_sort_block_merge_implIS3_PlPS5_mZN2at6native12_GLOBAL__N_124unique_dim_cuda_templateIsEESt5tupleIJNSA_6TensorESF_SF_EERKSF_lbbbEUlllE_EE10hipError_tT0_T1_T2_jT3_P12ihipStream_tbPNSt15iterator_traitsISL_E10value_typeEPNSR_ISM_E10value_typeEPSN_NS1_7vsmem_tEENKUlT_SL_SM_SN_E_clIS8_S8_S9_S9_EESK_S10_SL_SM_SN_EUlS10_E_NS1_11comp_targetILNS1_3genE0ELNS1_11target_archE4294967295ELNS1_3gpuE0ELNS1_3repE0EEENS1_48merge_mergepath_partition_config_static_selectorELNS0_4arch9wavefront6targetE0EEEvSM_
; %bb.0:
	s_load_b32 s2, s[0:1], 0x0
	s_bfe_u32 s3, ttmp6, 0x4000c
	s_and_b32 s4, ttmp6, 15
	s_add_co_i32 s3, s3, 1
	s_getreg_b32 s5, hwreg(HW_REG_IB_STS2, 6, 4)
	s_mul_i32 s3, ttmp9, s3
	s_delay_alu instid0(SALU_CYCLE_1) | instskip(SKIP_2) | instid1(SALU_CYCLE_1)
	s_add_co_i32 s4, s4, s3
	s_cmp_eq_u32 s5, 0
	s_cselect_b32 s3, ttmp9, s4
	v_lshl_or_b32 v16, s3, 7, v0
	s_wait_kmcnt 0x0
	s_delay_alu instid0(VALU_DEP_1)
	v_cmp_gt_u32_e32 vcc_lo, s2, v16
	s_and_saveexec_b32 s2, vcc_lo
	s_cbranch_execz .LBB636_12
; %bb.1:
	s_load_b128 s[4:7], s[0:1], 0x8
	s_wait_kmcnt 0x0
	s_lshr_b64 s[2:3], s[4:5], 9
	s_delay_alu instid0(SALU_CYCLE_1) | instskip(NEXT) | instid1(SALU_CYCLE_1)
	s_and_b32 s2, s2, -2
	s_sub_co_i32 s3, 0, s2
	s_delay_alu instid0(SALU_CYCLE_1) | instskip(SKIP_1) | instid1(VALU_DEP_1)
	v_dual_mov_b32 v3, 0 :: v_dual_bitop2_b32 v2, s3, v16 bitop3:0x40
	s_add_co_i32 s2, s2, -1
	v_lshlrev_b64_e32 v[0:1], 10, v[2:3]
	v_and_b32_e32 v2, s2, v16
	s_delay_alu instid0(VALU_DEP_1) | instskip(NEXT) | instid1(VALU_DEP_3)
	v_lshlrev_b64_e32 v[2:3], 10, v[2:3]
	v_add_nc_u64_e32 v[4:5], s[4:5], v[0:1]
	v_min_u64 v[0:1], s[6:7], v[0:1]
	s_delay_alu instid0(VALU_DEP_2) | instskip(NEXT) | instid1(VALU_DEP_1)
	v_min_u64 v[6:7], s[6:7], v[4:5]
	v_add_nc_u64_e32 v[4:5], s[4:5], v[6:7]
	s_delay_alu instid0(VALU_DEP_1) | instskip(SKIP_3) | instid1(VALU_DEP_1)
	v_min_u64 v[4:5], s[6:7], v[4:5]
	s_load_b256 s[4:11], s[0:1], 0x18
	s_wait_xcnt 0x0
	s_mov_b32 s1, exec_lo
	v_sub_nc_u64_e32 v[8:9], v[4:5], v[0:1]
	s_delay_alu instid0(VALU_DEP_1) | instskip(SKIP_2) | instid1(VALU_DEP_2)
	v_min_u64 v[8:9], v[8:9], v[2:3]
	v_sub_nc_u64_e32 v[2:3], v[4:5], v[6:7]
	v_sub_nc_u64_e32 v[4:5], v[6:7], v[0:1]
	v_max_u64 v[10:11], v[8:9], v[2:3]
	s_delay_alu instid0(VALU_DEP_2) | instskip(NEXT) | instid1(VALU_DEP_2)
	v_min_u64 v[4:5], v[8:9], v[4:5]
	v_sub_nc_u64_e32 v[2:3], v[10:11], v[2:3]
	s_delay_alu instid0(VALU_DEP_1)
	v_cmpx_lt_u64_e64 v[2:3], v[4:5]
	s_cbranch_execz .LBB636_11
; %bb.2:
	s_wait_kmcnt 0x0
	v_lshl_add_u64 v[10:11], v[6:7], 3, s[4:5]
	v_cmp_gt_i64_e64 s12, s[6:7], 0
	v_lshl_add_u64 v[6:7], v[0:1], 3, s[4:5]
	s_lshl_b64 s[2:3], s[6:7], 1
	s_mov_b32 s13, 0
	v_lshl_add_u64 v[8:9], v[8:9], 3, v[10:11]
	s_branch .LBB636_5
.LBB636_3:                              ;   in Loop: Header=BB636_5 Depth=1
	s_or_b32 exec_lo, exec_lo, s15
.LBB636_4:                              ;   in Loop: Header=BB636_5 Depth=1
	s_delay_alu instid0(VALU_DEP_1) | instskip(SKIP_1) | instid1(VALU_DEP_2)
	v_add_nc_u64_e32 v[12:13], 1, v[10:11]
	v_dual_cndmask_b32 v5, v5, v11, s14 :: v_dual_cndmask_b32 v4, v4, v10, s14
	v_dual_cndmask_b32 v3, v13, v3, s14 :: v_dual_cndmask_b32 v2, v12, v2, s14
	s_delay_alu instid0(VALU_DEP_1) | instskip(SKIP_1) | instid1(SALU_CYCLE_1)
	v_cmp_ge_u64_e32 vcc_lo, v[2:3], v[4:5]
	s_or_b32 s13, vcc_lo, s13
	s_and_not1_b32 exec_lo, exec_lo, s13
	s_cbranch_execz .LBB636_10
.LBB636_5:                              ; =>This Loop Header: Depth=1
                                        ;     Child Loop BB636_8 Depth 2
	v_add_nc_u64_e32 v[10:11], v[4:5], v[2:3]
	s_and_not1_b32 vcc_lo, exec_lo, s12
	s_mov_b32 s14, 0
	s_delay_alu instid0(VALU_DEP_1)
	v_lshrrev_b64 v[10:11], 1, v[10:11]
	s_cbranch_vccnz .LBB636_4
; %bb.6:                                ;   in Loop: Header=BB636_5 Depth=1
	s_delay_alu instid0(VALU_DEP_1) | instskip(NEXT) | instid1(VALU_DEP_2)
	v_not_b32_e32 v13, v11
	v_not_b32_e32 v12, v10
	v_lshl_add_u64 v[14:15], v[10:11], 3, v[6:7]
	s_mov_b32 s15, 0
	s_mov_b64 s[4:5], s[6:7]
                                        ; implicit-def: $sgpr14
                                        ; implicit-def: $sgpr16
                                        ; implicit-def: $sgpr17
                                        ; implicit-def: $sgpr18
	s_delay_alu instid0(VALU_DEP_2)
	v_lshl_add_u64 v[12:13], v[12:13], 3, v[8:9]
	s_clause 0x1
	global_load_b64 v[18:19], v[12:13], off
	global_load_b64 v[20:21], v[14:15], off
	s_wait_loadcnt 0x1
	s_wait_xcnt 0x1
	v_mad_nc_u64_u32 v[12:13], s2, v18, s[8:9]
	s_wait_loadcnt 0x0
	v_mad_nc_u64_u32 v[14:15], s2, v20, s[8:9]
	s_delay_alu instid0(VALU_DEP_2) | instskip(NEXT) | instid1(VALU_DEP_2)
	v_mad_u32 v13, s3, v18, v13
	v_mad_u32 v15, s3, v20, v15
	s_delay_alu instid0(VALU_DEP_2) | instskip(NEXT) | instid1(VALU_DEP_2)
	v_mad_u32 v13, s2, v19, v13
	v_mad_u32 v15, s2, v21, v15
	s_branch .LBB636_8
.LBB636_7:                              ;   in Loop: Header=BB636_8 Depth=2
	s_or_b32 exec_lo, exec_lo, s19
	s_delay_alu instid0(SALU_CYCLE_1) | instskip(NEXT) | instid1(SALU_CYCLE_1)
	s_and_b32 s19, exec_lo, s16
	s_or_b32 s15, s19, s15
	s_and_not1_b32 s18, s18, exec_lo
	s_and_b32 s0, s0, exec_lo
	s_and_not1_b32 s14, s14, exec_lo
	s_and_b32 s19, s17, exec_lo
	s_or_b32 s18, s18, s0
	s_or_b32 s14, s14, s19
	s_and_not1_b32 exec_lo, exec_lo, s15
	s_cbranch_execz .LBB636_3
.LBB636_8:                              ;   Parent Loop BB636_5 Depth=1
                                        ; =>  This Inner Loop Header: Depth=2
	global_load_u16 v17, v[12:13], off
	global_load_u16 v18, v[14:15], off
	s_and_not1_b32 s17, s17, exec_lo
	s_or_b32 s16, s16, exec_lo
	s_wait_loadcnt 0x0
	v_cmp_le_i16_e32 vcc_lo, v17, v18
	v_cmp_lt_i16_e64 s0, v17, v18
	s_and_b32 s19, vcc_lo, s18
	s_delay_alu instid0(SALU_CYCLE_1) | instskip(NEXT) | instid1(SALU_CYCLE_1)
	s_or_b32 s0, s0, s19
	s_and_b32 s19, s0, exec_lo
	s_delay_alu instid0(SALU_CYCLE_1)
	s_or_b32 s17, s17, s19
	s_mov_b32 s19, exec_lo
	v_cmpx_eq_u16_e64 v17, v18
	s_cbranch_execz .LBB636_7
; %bb.9:                                ;   in Loop: Header=BB636_8 Depth=2
	s_add_nc_u64 s[4:5], s[4:5], -1
	v_add_nc_u64_e32 v[12:13], 2, v[12:13]
	s_cmp_eq_u64 s[4:5], 0
	v_add_nc_u64_e32 v[14:15], 2, v[14:15]
	s_cselect_b32 s18, -1, 0
	s_and_not1_b32 s16, s16, exec_lo
	s_and_b32 s18, s18, exec_lo
	s_and_not1_b32 s17, s17, exec_lo
	s_or_b32 s16, s16, s18
                                        ; implicit-def: $sgpr18
	s_branch .LBB636_7
.LBB636_10:
	s_or_b32 exec_lo, exec_lo, s13
.LBB636_11:
	s_delay_alu instid0(SALU_CYCLE_1)
	s_or_b32 exec_lo, exec_lo, s1
	v_add_nc_u64_e32 v[0:1], v[2:3], v[0:1]
	s_wait_kmcnt 0x0
	global_store_b64 v16, v[0:1], s[10:11] scale_offset
.LBB636_12:
	s_endpgm
	.section	.rodata,"a",@progbits
	.p2align	6, 0x0
	.amdhsa_kernel _ZN7rocprim17ROCPRIM_400000_NS6detail17trampoline_kernelINS0_14default_configENS1_38merge_sort_block_merge_config_selectorIlNS0_10empty_typeEEEZZNS1_27merge_sort_block_merge_implIS3_PlPS5_mZN2at6native12_GLOBAL__N_124unique_dim_cuda_templateIsEESt5tupleIJNSA_6TensorESF_SF_EERKSF_lbbbEUlllE_EE10hipError_tT0_T1_T2_jT3_P12ihipStream_tbPNSt15iterator_traitsISL_E10value_typeEPNSR_ISM_E10value_typeEPSN_NS1_7vsmem_tEENKUlT_SL_SM_SN_E_clIS8_S8_S9_S9_EESK_S10_SL_SM_SN_EUlS10_E_NS1_11comp_targetILNS1_3genE0ELNS1_11target_archE4294967295ELNS1_3gpuE0ELNS1_3repE0EEENS1_48merge_mergepath_partition_config_static_selectorELNS0_4arch9wavefront6targetE0EEEvSM_
		.amdhsa_group_segment_fixed_size 0
		.amdhsa_private_segment_fixed_size 0
		.amdhsa_kernarg_size 56
		.amdhsa_user_sgpr_count 2
		.amdhsa_user_sgpr_dispatch_ptr 0
		.amdhsa_user_sgpr_queue_ptr 0
		.amdhsa_user_sgpr_kernarg_segment_ptr 1
		.amdhsa_user_sgpr_dispatch_id 0
		.amdhsa_user_sgpr_kernarg_preload_length 0
		.amdhsa_user_sgpr_kernarg_preload_offset 0
		.amdhsa_user_sgpr_private_segment_size 0
		.amdhsa_wavefront_size32 1
		.amdhsa_uses_dynamic_stack 0
		.amdhsa_enable_private_segment 0
		.amdhsa_system_sgpr_workgroup_id_x 1
		.amdhsa_system_sgpr_workgroup_id_y 0
		.amdhsa_system_sgpr_workgroup_id_z 0
		.amdhsa_system_sgpr_workgroup_info 0
		.amdhsa_system_vgpr_workitem_id 0
		.amdhsa_next_free_vgpr 22
		.amdhsa_next_free_sgpr 20
		.amdhsa_named_barrier_count 0
		.amdhsa_reserve_vcc 1
		.amdhsa_float_round_mode_32 0
		.amdhsa_float_round_mode_16_64 0
		.amdhsa_float_denorm_mode_32 3
		.amdhsa_float_denorm_mode_16_64 3
		.amdhsa_fp16_overflow 0
		.amdhsa_memory_ordered 1
		.amdhsa_forward_progress 1
		.amdhsa_inst_pref_size 6
		.amdhsa_round_robin_scheduling 0
		.amdhsa_exception_fp_ieee_invalid_op 0
		.amdhsa_exception_fp_denorm_src 0
		.amdhsa_exception_fp_ieee_div_zero 0
		.amdhsa_exception_fp_ieee_overflow 0
		.amdhsa_exception_fp_ieee_underflow 0
		.amdhsa_exception_fp_ieee_inexact 0
		.amdhsa_exception_int_div_zero 0
	.end_amdhsa_kernel
	.section	.text._ZN7rocprim17ROCPRIM_400000_NS6detail17trampoline_kernelINS0_14default_configENS1_38merge_sort_block_merge_config_selectorIlNS0_10empty_typeEEEZZNS1_27merge_sort_block_merge_implIS3_PlPS5_mZN2at6native12_GLOBAL__N_124unique_dim_cuda_templateIsEESt5tupleIJNSA_6TensorESF_SF_EERKSF_lbbbEUlllE_EE10hipError_tT0_T1_T2_jT3_P12ihipStream_tbPNSt15iterator_traitsISL_E10value_typeEPNSR_ISM_E10value_typeEPSN_NS1_7vsmem_tEENKUlT_SL_SM_SN_E_clIS8_S8_S9_S9_EESK_S10_SL_SM_SN_EUlS10_E_NS1_11comp_targetILNS1_3genE0ELNS1_11target_archE4294967295ELNS1_3gpuE0ELNS1_3repE0EEENS1_48merge_mergepath_partition_config_static_selectorELNS0_4arch9wavefront6targetE0EEEvSM_,"axG",@progbits,_ZN7rocprim17ROCPRIM_400000_NS6detail17trampoline_kernelINS0_14default_configENS1_38merge_sort_block_merge_config_selectorIlNS0_10empty_typeEEEZZNS1_27merge_sort_block_merge_implIS3_PlPS5_mZN2at6native12_GLOBAL__N_124unique_dim_cuda_templateIsEESt5tupleIJNSA_6TensorESF_SF_EERKSF_lbbbEUlllE_EE10hipError_tT0_T1_T2_jT3_P12ihipStream_tbPNSt15iterator_traitsISL_E10value_typeEPNSR_ISM_E10value_typeEPSN_NS1_7vsmem_tEENKUlT_SL_SM_SN_E_clIS8_S8_S9_S9_EESK_S10_SL_SM_SN_EUlS10_E_NS1_11comp_targetILNS1_3genE0ELNS1_11target_archE4294967295ELNS1_3gpuE0ELNS1_3repE0EEENS1_48merge_mergepath_partition_config_static_selectorELNS0_4arch9wavefront6targetE0EEEvSM_,comdat
.Lfunc_end636:
	.size	_ZN7rocprim17ROCPRIM_400000_NS6detail17trampoline_kernelINS0_14default_configENS1_38merge_sort_block_merge_config_selectorIlNS0_10empty_typeEEEZZNS1_27merge_sort_block_merge_implIS3_PlPS5_mZN2at6native12_GLOBAL__N_124unique_dim_cuda_templateIsEESt5tupleIJNSA_6TensorESF_SF_EERKSF_lbbbEUlllE_EE10hipError_tT0_T1_T2_jT3_P12ihipStream_tbPNSt15iterator_traitsISL_E10value_typeEPNSR_ISM_E10value_typeEPSN_NS1_7vsmem_tEENKUlT_SL_SM_SN_E_clIS8_S8_S9_S9_EESK_S10_SL_SM_SN_EUlS10_E_NS1_11comp_targetILNS1_3genE0ELNS1_11target_archE4294967295ELNS1_3gpuE0ELNS1_3repE0EEENS1_48merge_mergepath_partition_config_static_selectorELNS0_4arch9wavefront6targetE0EEEvSM_, .Lfunc_end636-_ZN7rocprim17ROCPRIM_400000_NS6detail17trampoline_kernelINS0_14default_configENS1_38merge_sort_block_merge_config_selectorIlNS0_10empty_typeEEEZZNS1_27merge_sort_block_merge_implIS3_PlPS5_mZN2at6native12_GLOBAL__N_124unique_dim_cuda_templateIsEESt5tupleIJNSA_6TensorESF_SF_EERKSF_lbbbEUlllE_EE10hipError_tT0_T1_T2_jT3_P12ihipStream_tbPNSt15iterator_traitsISL_E10value_typeEPNSR_ISM_E10value_typeEPSN_NS1_7vsmem_tEENKUlT_SL_SM_SN_E_clIS8_S8_S9_S9_EESK_S10_SL_SM_SN_EUlS10_E_NS1_11comp_targetILNS1_3genE0ELNS1_11target_archE4294967295ELNS1_3gpuE0ELNS1_3repE0EEENS1_48merge_mergepath_partition_config_static_selectorELNS0_4arch9wavefront6targetE0EEEvSM_
                                        ; -- End function
	.set _ZN7rocprim17ROCPRIM_400000_NS6detail17trampoline_kernelINS0_14default_configENS1_38merge_sort_block_merge_config_selectorIlNS0_10empty_typeEEEZZNS1_27merge_sort_block_merge_implIS3_PlPS5_mZN2at6native12_GLOBAL__N_124unique_dim_cuda_templateIsEESt5tupleIJNSA_6TensorESF_SF_EERKSF_lbbbEUlllE_EE10hipError_tT0_T1_T2_jT3_P12ihipStream_tbPNSt15iterator_traitsISL_E10value_typeEPNSR_ISM_E10value_typeEPSN_NS1_7vsmem_tEENKUlT_SL_SM_SN_E_clIS8_S8_S9_S9_EESK_S10_SL_SM_SN_EUlS10_E_NS1_11comp_targetILNS1_3genE0ELNS1_11target_archE4294967295ELNS1_3gpuE0ELNS1_3repE0EEENS1_48merge_mergepath_partition_config_static_selectorELNS0_4arch9wavefront6targetE0EEEvSM_.num_vgpr, 22
	.set _ZN7rocprim17ROCPRIM_400000_NS6detail17trampoline_kernelINS0_14default_configENS1_38merge_sort_block_merge_config_selectorIlNS0_10empty_typeEEEZZNS1_27merge_sort_block_merge_implIS3_PlPS5_mZN2at6native12_GLOBAL__N_124unique_dim_cuda_templateIsEESt5tupleIJNSA_6TensorESF_SF_EERKSF_lbbbEUlllE_EE10hipError_tT0_T1_T2_jT3_P12ihipStream_tbPNSt15iterator_traitsISL_E10value_typeEPNSR_ISM_E10value_typeEPSN_NS1_7vsmem_tEENKUlT_SL_SM_SN_E_clIS8_S8_S9_S9_EESK_S10_SL_SM_SN_EUlS10_E_NS1_11comp_targetILNS1_3genE0ELNS1_11target_archE4294967295ELNS1_3gpuE0ELNS1_3repE0EEENS1_48merge_mergepath_partition_config_static_selectorELNS0_4arch9wavefront6targetE0EEEvSM_.num_agpr, 0
	.set _ZN7rocprim17ROCPRIM_400000_NS6detail17trampoline_kernelINS0_14default_configENS1_38merge_sort_block_merge_config_selectorIlNS0_10empty_typeEEEZZNS1_27merge_sort_block_merge_implIS3_PlPS5_mZN2at6native12_GLOBAL__N_124unique_dim_cuda_templateIsEESt5tupleIJNSA_6TensorESF_SF_EERKSF_lbbbEUlllE_EE10hipError_tT0_T1_T2_jT3_P12ihipStream_tbPNSt15iterator_traitsISL_E10value_typeEPNSR_ISM_E10value_typeEPSN_NS1_7vsmem_tEENKUlT_SL_SM_SN_E_clIS8_S8_S9_S9_EESK_S10_SL_SM_SN_EUlS10_E_NS1_11comp_targetILNS1_3genE0ELNS1_11target_archE4294967295ELNS1_3gpuE0ELNS1_3repE0EEENS1_48merge_mergepath_partition_config_static_selectorELNS0_4arch9wavefront6targetE0EEEvSM_.numbered_sgpr, 20
	.set _ZN7rocprim17ROCPRIM_400000_NS6detail17trampoline_kernelINS0_14default_configENS1_38merge_sort_block_merge_config_selectorIlNS0_10empty_typeEEEZZNS1_27merge_sort_block_merge_implIS3_PlPS5_mZN2at6native12_GLOBAL__N_124unique_dim_cuda_templateIsEESt5tupleIJNSA_6TensorESF_SF_EERKSF_lbbbEUlllE_EE10hipError_tT0_T1_T2_jT3_P12ihipStream_tbPNSt15iterator_traitsISL_E10value_typeEPNSR_ISM_E10value_typeEPSN_NS1_7vsmem_tEENKUlT_SL_SM_SN_E_clIS8_S8_S9_S9_EESK_S10_SL_SM_SN_EUlS10_E_NS1_11comp_targetILNS1_3genE0ELNS1_11target_archE4294967295ELNS1_3gpuE0ELNS1_3repE0EEENS1_48merge_mergepath_partition_config_static_selectorELNS0_4arch9wavefront6targetE0EEEvSM_.num_named_barrier, 0
	.set _ZN7rocprim17ROCPRIM_400000_NS6detail17trampoline_kernelINS0_14default_configENS1_38merge_sort_block_merge_config_selectorIlNS0_10empty_typeEEEZZNS1_27merge_sort_block_merge_implIS3_PlPS5_mZN2at6native12_GLOBAL__N_124unique_dim_cuda_templateIsEESt5tupleIJNSA_6TensorESF_SF_EERKSF_lbbbEUlllE_EE10hipError_tT0_T1_T2_jT3_P12ihipStream_tbPNSt15iterator_traitsISL_E10value_typeEPNSR_ISM_E10value_typeEPSN_NS1_7vsmem_tEENKUlT_SL_SM_SN_E_clIS8_S8_S9_S9_EESK_S10_SL_SM_SN_EUlS10_E_NS1_11comp_targetILNS1_3genE0ELNS1_11target_archE4294967295ELNS1_3gpuE0ELNS1_3repE0EEENS1_48merge_mergepath_partition_config_static_selectorELNS0_4arch9wavefront6targetE0EEEvSM_.private_seg_size, 0
	.set _ZN7rocprim17ROCPRIM_400000_NS6detail17trampoline_kernelINS0_14default_configENS1_38merge_sort_block_merge_config_selectorIlNS0_10empty_typeEEEZZNS1_27merge_sort_block_merge_implIS3_PlPS5_mZN2at6native12_GLOBAL__N_124unique_dim_cuda_templateIsEESt5tupleIJNSA_6TensorESF_SF_EERKSF_lbbbEUlllE_EE10hipError_tT0_T1_T2_jT3_P12ihipStream_tbPNSt15iterator_traitsISL_E10value_typeEPNSR_ISM_E10value_typeEPSN_NS1_7vsmem_tEENKUlT_SL_SM_SN_E_clIS8_S8_S9_S9_EESK_S10_SL_SM_SN_EUlS10_E_NS1_11comp_targetILNS1_3genE0ELNS1_11target_archE4294967295ELNS1_3gpuE0ELNS1_3repE0EEENS1_48merge_mergepath_partition_config_static_selectorELNS0_4arch9wavefront6targetE0EEEvSM_.uses_vcc, 1
	.set _ZN7rocprim17ROCPRIM_400000_NS6detail17trampoline_kernelINS0_14default_configENS1_38merge_sort_block_merge_config_selectorIlNS0_10empty_typeEEEZZNS1_27merge_sort_block_merge_implIS3_PlPS5_mZN2at6native12_GLOBAL__N_124unique_dim_cuda_templateIsEESt5tupleIJNSA_6TensorESF_SF_EERKSF_lbbbEUlllE_EE10hipError_tT0_T1_T2_jT3_P12ihipStream_tbPNSt15iterator_traitsISL_E10value_typeEPNSR_ISM_E10value_typeEPSN_NS1_7vsmem_tEENKUlT_SL_SM_SN_E_clIS8_S8_S9_S9_EESK_S10_SL_SM_SN_EUlS10_E_NS1_11comp_targetILNS1_3genE0ELNS1_11target_archE4294967295ELNS1_3gpuE0ELNS1_3repE0EEENS1_48merge_mergepath_partition_config_static_selectorELNS0_4arch9wavefront6targetE0EEEvSM_.uses_flat_scratch, 0
	.set _ZN7rocprim17ROCPRIM_400000_NS6detail17trampoline_kernelINS0_14default_configENS1_38merge_sort_block_merge_config_selectorIlNS0_10empty_typeEEEZZNS1_27merge_sort_block_merge_implIS3_PlPS5_mZN2at6native12_GLOBAL__N_124unique_dim_cuda_templateIsEESt5tupleIJNSA_6TensorESF_SF_EERKSF_lbbbEUlllE_EE10hipError_tT0_T1_T2_jT3_P12ihipStream_tbPNSt15iterator_traitsISL_E10value_typeEPNSR_ISM_E10value_typeEPSN_NS1_7vsmem_tEENKUlT_SL_SM_SN_E_clIS8_S8_S9_S9_EESK_S10_SL_SM_SN_EUlS10_E_NS1_11comp_targetILNS1_3genE0ELNS1_11target_archE4294967295ELNS1_3gpuE0ELNS1_3repE0EEENS1_48merge_mergepath_partition_config_static_selectorELNS0_4arch9wavefront6targetE0EEEvSM_.has_dyn_sized_stack, 0
	.set _ZN7rocprim17ROCPRIM_400000_NS6detail17trampoline_kernelINS0_14default_configENS1_38merge_sort_block_merge_config_selectorIlNS0_10empty_typeEEEZZNS1_27merge_sort_block_merge_implIS3_PlPS5_mZN2at6native12_GLOBAL__N_124unique_dim_cuda_templateIsEESt5tupleIJNSA_6TensorESF_SF_EERKSF_lbbbEUlllE_EE10hipError_tT0_T1_T2_jT3_P12ihipStream_tbPNSt15iterator_traitsISL_E10value_typeEPNSR_ISM_E10value_typeEPSN_NS1_7vsmem_tEENKUlT_SL_SM_SN_E_clIS8_S8_S9_S9_EESK_S10_SL_SM_SN_EUlS10_E_NS1_11comp_targetILNS1_3genE0ELNS1_11target_archE4294967295ELNS1_3gpuE0ELNS1_3repE0EEENS1_48merge_mergepath_partition_config_static_selectorELNS0_4arch9wavefront6targetE0EEEvSM_.has_recursion, 0
	.set _ZN7rocprim17ROCPRIM_400000_NS6detail17trampoline_kernelINS0_14default_configENS1_38merge_sort_block_merge_config_selectorIlNS0_10empty_typeEEEZZNS1_27merge_sort_block_merge_implIS3_PlPS5_mZN2at6native12_GLOBAL__N_124unique_dim_cuda_templateIsEESt5tupleIJNSA_6TensorESF_SF_EERKSF_lbbbEUlllE_EE10hipError_tT0_T1_T2_jT3_P12ihipStream_tbPNSt15iterator_traitsISL_E10value_typeEPNSR_ISM_E10value_typeEPSN_NS1_7vsmem_tEENKUlT_SL_SM_SN_E_clIS8_S8_S9_S9_EESK_S10_SL_SM_SN_EUlS10_E_NS1_11comp_targetILNS1_3genE0ELNS1_11target_archE4294967295ELNS1_3gpuE0ELNS1_3repE0EEENS1_48merge_mergepath_partition_config_static_selectorELNS0_4arch9wavefront6targetE0EEEvSM_.has_indirect_call, 0
	.section	.AMDGPU.csdata,"",@progbits
; Kernel info:
; codeLenInByte = 744
; TotalNumSgprs: 22
; NumVgprs: 22
; ScratchSize: 0
; MemoryBound: 0
; FloatMode: 240
; IeeeMode: 1
; LDSByteSize: 0 bytes/workgroup (compile time only)
; SGPRBlocks: 0
; VGPRBlocks: 1
; NumSGPRsForWavesPerEU: 22
; NumVGPRsForWavesPerEU: 22
; NamedBarCnt: 0
; Occupancy: 16
; WaveLimiterHint : 0
; COMPUTE_PGM_RSRC2:SCRATCH_EN: 0
; COMPUTE_PGM_RSRC2:USER_SGPR: 2
; COMPUTE_PGM_RSRC2:TRAP_HANDLER: 0
; COMPUTE_PGM_RSRC2:TGID_X_EN: 1
; COMPUTE_PGM_RSRC2:TGID_Y_EN: 0
; COMPUTE_PGM_RSRC2:TGID_Z_EN: 0
; COMPUTE_PGM_RSRC2:TIDIG_COMP_CNT: 0
	.section	.text._ZN7rocprim17ROCPRIM_400000_NS6detail17trampoline_kernelINS0_14default_configENS1_38merge_sort_block_merge_config_selectorIlNS0_10empty_typeEEEZZNS1_27merge_sort_block_merge_implIS3_PlPS5_mZN2at6native12_GLOBAL__N_124unique_dim_cuda_templateIsEESt5tupleIJNSA_6TensorESF_SF_EERKSF_lbbbEUlllE_EE10hipError_tT0_T1_T2_jT3_P12ihipStream_tbPNSt15iterator_traitsISL_E10value_typeEPNSR_ISM_E10value_typeEPSN_NS1_7vsmem_tEENKUlT_SL_SM_SN_E_clIS8_S8_S9_S9_EESK_S10_SL_SM_SN_EUlS10_E_NS1_11comp_targetILNS1_3genE10ELNS1_11target_archE1201ELNS1_3gpuE5ELNS1_3repE0EEENS1_48merge_mergepath_partition_config_static_selectorELNS0_4arch9wavefront6targetE0EEEvSM_,"axG",@progbits,_ZN7rocprim17ROCPRIM_400000_NS6detail17trampoline_kernelINS0_14default_configENS1_38merge_sort_block_merge_config_selectorIlNS0_10empty_typeEEEZZNS1_27merge_sort_block_merge_implIS3_PlPS5_mZN2at6native12_GLOBAL__N_124unique_dim_cuda_templateIsEESt5tupleIJNSA_6TensorESF_SF_EERKSF_lbbbEUlllE_EE10hipError_tT0_T1_T2_jT3_P12ihipStream_tbPNSt15iterator_traitsISL_E10value_typeEPNSR_ISM_E10value_typeEPSN_NS1_7vsmem_tEENKUlT_SL_SM_SN_E_clIS8_S8_S9_S9_EESK_S10_SL_SM_SN_EUlS10_E_NS1_11comp_targetILNS1_3genE10ELNS1_11target_archE1201ELNS1_3gpuE5ELNS1_3repE0EEENS1_48merge_mergepath_partition_config_static_selectorELNS0_4arch9wavefront6targetE0EEEvSM_,comdat
	.globl	_ZN7rocprim17ROCPRIM_400000_NS6detail17trampoline_kernelINS0_14default_configENS1_38merge_sort_block_merge_config_selectorIlNS0_10empty_typeEEEZZNS1_27merge_sort_block_merge_implIS3_PlPS5_mZN2at6native12_GLOBAL__N_124unique_dim_cuda_templateIsEESt5tupleIJNSA_6TensorESF_SF_EERKSF_lbbbEUlllE_EE10hipError_tT0_T1_T2_jT3_P12ihipStream_tbPNSt15iterator_traitsISL_E10value_typeEPNSR_ISM_E10value_typeEPSN_NS1_7vsmem_tEENKUlT_SL_SM_SN_E_clIS8_S8_S9_S9_EESK_S10_SL_SM_SN_EUlS10_E_NS1_11comp_targetILNS1_3genE10ELNS1_11target_archE1201ELNS1_3gpuE5ELNS1_3repE0EEENS1_48merge_mergepath_partition_config_static_selectorELNS0_4arch9wavefront6targetE0EEEvSM_ ; -- Begin function _ZN7rocprim17ROCPRIM_400000_NS6detail17trampoline_kernelINS0_14default_configENS1_38merge_sort_block_merge_config_selectorIlNS0_10empty_typeEEEZZNS1_27merge_sort_block_merge_implIS3_PlPS5_mZN2at6native12_GLOBAL__N_124unique_dim_cuda_templateIsEESt5tupleIJNSA_6TensorESF_SF_EERKSF_lbbbEUlllE_EE10hipError_tT0_T1_T2_jT3_P12ihipStream_tbPNSt15iterator_traitsISL_E10value_typeEPNSR_ISM_E10value_typeEPSN_NS1_7vsmem_tEENKUlT_SL_SM_SN_E_clIS8_S8_S9_S9_EESK_S10_SL_SM_SN_EUlS10_E_NS1_11comp_targetILNS1_3genE10ELNS1_11target_archE1201ELNS1_3gpuE5ELNS1_3repE0EEENS1_48merge_mergepath_partition_config_static_selectorELNS0_4arch9wavefront6targetE0EEEvSM_
	.p2align	8
	.type	_ZN7rocprim17ROCPRIM_400000_NS6detail17trampoline_kernelINS0_14default_configENS1_38merge_sort_block_merge_config_selectorIlNS0_10empty_typeEEEZZNS1_27merge_sort_block_merge_implIS3_PlPS5_mZN2at6native12_GLOBAL__N_124unique_dim_cuda_templateIsEESt5tupleIJNSA_6TensorESF_SF_EERKSF_lbbbEUlllE_EE10hipError_tT0_T1_T2_jT3_P12ihipStream_tbPNSt15iterator_traitsISL_E10value_typeEPNSR_ISM_E10value_typeEPSN_NS1_7vsmem_tEENKUlT_SL_SM_SN_E_clIS8_S8_S9_S9_EESK_S10_SL_SM_SN_EUlS10_E_NS1_11comp_targetILNS1_3genE10ELNS1_11target_archE1201ELNS1_3gpuE5ELNS1_3repE0EEENS1_48merge_mergepath_partition_config_static_selectorELNS0_4arch9wavefront6targetE0EEEvSM_,@function
_ZN7rocprim17ROCPRIM_400000_NS6detail17trampoline_kernelINS0_14default_configENS1_38merge_sort_block_merge_config_selectorIlNS0_10empty_typeEEEZZNS1_27merge_sort_block_merge_implIS3_PlPS5_mZN2at6native12_GLOBAL__N_124unique_dim_cuda_templateIsEESt5tupleIJNSA_6TensorESF_SF_EERKSF_lbbbEUlllE_EE10hipError_tT0_T1_T2_jT3_P12ihipStream_tbPNSt15iterator_traitsISL_E10value_typeEPNSR_ISM_E10value_typeEPSN_NS1_7vsmem_tEENKUlT_SL_SM_SN_E_clIS8_S8_S9_S9_EESK_S10_SL_SM_SN_EUlS10_E_NS1_11comp_targetILNS1_3genE10ELNS1_11target_archE1201ELNS1_3gpuE5ELNS1_3repE0EEENS1_48merge_mergepath_partition_config_static_selectorELNS0_4arch9wavefront6targetE0EEEvSM_: ; @_ZN7rocprim17ROCPRIM_400000_NS6detail17trampoline_kernelINS0_14default_configENS1_38merge_sort_block_merge_config_selectorIlNS0_10empty_typeEEEZZNS1_27merge_sort_block_merge_implIS3_PlPS5_mZN2at6native12_GLOBAL__N_124unique_dim_cuda_templateIsEESt5tupleIJNSA_6TensorESF_SF_EERKSF_lbbbEUlllE_EE10hipError_tT0_T1_T2_jT3_P12ihipStream_tbPNSt15iterator_traitsISL_E10value_typeEPNSR_ISM_E10value_typeEPSN_NS1_7vsmem_tEENKUlT_SL_SM_SN_E_clIS8_S8_S9_S9_EESK_S10_SL_SM_SN_EUlS10_E_NS1_11comp_targetILNS1_3genE10ELNS1_11target_archE1201ELNS1_3gpuE5ELNS1_3repE0EEENS1_48merge_mergepath_partition_config_static_selectorELNS0_4arch9wavefront6targetE0EEEvSM_
; %bb.0:
	.section	.rodata,"a",@progbits
	.p2align	6, 0x0
	.amdhsa_kernel _ZN7rocprim17ROCPRIM_400000_NS6detail17trampoline_kernelINS0_14default_configENS1_38merge_sort_block_merge_config_selectorIlNS0_10empty_typeEEEZZNS1_27merge_sort_block_merge_implIS3_PlPS5_mZN2at6native12_GLOBAL__N_124unique_dim_cuda_templateIsEESt5tupleIJNSA_6TensorESF_SF_EERKSF_lbbbEUlllE_EE10hipError_tT0_T1_T2_jT3_P12ihipStream_tbPNSt15iterator_traitsISL_E10value_typeEPNSR_ISM_E10value_typeEPSN_NS1_7vsmem_tEENKUlT_SL_SM_SN_E_clIS8_S8_S9_S9_EESK_S10_SL_SM_SN_EUlS10_E_NS1_11comp_targetILNS1_3genE10ELNS1_11target_archE1201ELNS1_3gpuE5ELNS1_3repE0EEENS1_48merge_mergepath_partition_config_static_selectorELNS0_4arch9wavefront6targetE0EEEvSM_
		.amdhsa_group_segment_fixed_size 0
		.amdhsa_private_segment_fixed_size 0
		.amdhsa_kernarg_size 56
		.amdhsa_user_sgpr_count 2
		.amdhsa_user_sgpr_dispatch_ptr 0
		.amdhsa_user_sgpr_queue_ptr 0
		.amdhsa_user_sgpr_kernarg_segment_ptr 1
		.amdhsa_user_sgpr_dispatch_id 0
		.amdhsa_user_sgpr_kernarg_preload_length 0
		.amdhsa_user_sgpr_kernarg_preload_offset 0
		.amdhsa_user_sgpr_private_segment_size 0
		.amdhsa_wavefront_size32 1
		.amdhsa_uses_dynamic_stack 0
		.amdhsa_enable_private_segment 0
		.amdhsa_system_sgpr_workgroup_id_x 1
		.amdhsa_system_sgpr_workgroup_id_y 0
		.amdhsa_system_sgpr_workgroup_id_z 0
		.amdhsa_system_sgpr_workgroup_info 0
		.amdhsa_system_vgpr_workitem_id 0
		.amdhsa_next_free_vgpr 1
		.amdhsa_next_free_sgpr 1
		.amdhsa_named_barrier_count 0
		.amdhsa_reserve_vcc 0
		.amdhsa_float_round_mode_32 0
		.amdhsa_float_round_mode_16_64 0
		.amdhsa_float_denorm_mode_32 3
		.amdhsa_float_denorm_mode_16_64 3
		.amdhsa_fp16_overflow 0
		.amdhsa_memory_ordered 1
		.amdhsa_forward_progress 1
		.amdhsa_inst_pref_size 0
		.amdhsa_round_robin_scheduling 0
		.amdhsa_exception_fp_ieee_invalid_op 0
		.amdhsa_exception_fp_denorm_src 0
		.amdhsa_exception_fp_ieee_div_zero 0
		.amdhsa_exception_fp_ieee_overflow 0
		.amdhsa_exception_fp_ieee_underflow 0
		.amdhsa_exception_fp_ieee_inexact 0
		.amdhsa_exception_int_div_zero 0
	.end_amdhsa_kernel
	.section	.text._ZN7rocprim17ROCPRIM_400000_NS6detail17trampoline_kernelINS0_14default_configENS1_38merge_sort_block_merge_config_selectorIlNS0_10empty_typeEEEZZNS1_27merge_sort_block_merge_implIS3_PlPS5_mZN2at6native12_GLOBAL__N_124unique_dim_cuda_templateIsEESt5tupleIJNSA_6TensorESF_SF_EERKSF_lbbbEUlllE_EE10hipError_tT0_T1_T2_jT3_P12ihipStream_tbPNSt15iterator_traitsISL_E10value_typeEPNSR_ISM_E10value_typeEPSN_NS1_7vsmem_tEENKUlT_SL_SM_SN_E_clIS8_S8_S9_S9_EESK_S10_SL_SM_SN_EUlS10_E_NS1_11comp_targetILNS1_3genE10ELNS1_11target_archE1201ELNS1_3gpuE5ELNS1_3repE0EEENS1_48merge_mergepath_partition_config_static_selectorELNS0_4arch9wavefront6targetE0EEEvSM_,"axG",@progbits,_ZN7rocprim17ROCPRIM_400000_NS6detail17trampoline_kernelINS0_14default_configENS1_38merge_sort_block_merge_config_selectorIlNS0_10empty_typeEEEZZNS1_27merge_sort_block_merge_implIS3_PlPS5_mZN2at6native12_GLOBAL__N_124unique_dim_cuda_templateIsEESt5tupleIJNSA_6TensorESF_SF_EERKSF_lbbbEUlllE_EE10hipError_tT0_T1_T2_jT3_P12ihipStream_tbPNSt15iterator_traitsISL_E10value_typeEPNSR_ISM_E10value_typeEPSN_NS1_7vsmem_tEENKUlT_SL_SM_SN_E_clIS8_S8_S9_S9_EESK_S10_SL_SM_SN_EUlS10_E_NS1_11comp_targetILNS1_3genE10ELNS1_11target_archE1201ELNS1_3gpuE5ELNS1_3repE0EEENS1_48merge_mergepath_partition_config_static_selectorELNS0_4arch9wavefront6targetE0EEEvSM_,comdat
.Lfunc_end637:
	.size	_ZN7rocprim17ROCPRIM_400000_NS6detail17trampoline_kernelINS0_14default_configENS1_38merge_sort_block_merge_config_selectorIlNS0_10empty_typeEEEZZNS1_27merge_sort_block_merge_implIS3_PlPS5_mZN2at6native12_GLOBAL__N_124unique_dim_cuda_templateIsEESt5tupleIJNSA_6TensorESF_SF_EERKSF_lbbbEUlllE_EE10hipError_tT0_T1_T2_jT3_P12ihipStream_tbPNSt15iterator_traitsISL_E10value_typeEPNSR_ISM_E10value_typeEPSN_NS1_7vsmem_tEENKUlT_SL_SM_SN_E_clIS8_S8_S9_S9_EESK_S10_SL_SM_SN_EUlS10_E_NS1_11comp_targetILNS1_3genE10ELNS1_11target_archE1201ELNS1_3gpuE5ELNS1_3repE0EEENS1_48merge_mergepath_partition_config_static_selectorELNS0_4arch9wavefront6targetE0EEEvSM_, .Lfunc_end637-_ZN7rocprim17ROCPRIM_400000_NS6detail17trampoline_kernelINS0_14default_configENS1_38merge_sort_block_merge_config_selectorIlNS0_10empty_typeEEEZZNS1_27merge_sort_block_merge_implIS3_PlPS5_mZN2at6native12_GLOBAL__N_124unique_dim_cuda_templateIsEESt5tupleIJNSA_6TensorESF_SF_EERKSF_lbbbEUlllE_EE10hipError_tT0_T1_T2_jT3_P12ihipStream_tbPNSt15iterator_traitsISL_E10value_typeEPNSR_ISM_E10value_typeEPSN_NS1_7vsmem_tEENKUlT_SL_SM_SN_E_clIS8_S8_S9_S9_EESK_S10_SL_SM_SN_EUlS10_E_NS1_11comp_targetILNS1_3genE10ELNS1_11target_archE1201ELNS1_3gpuE5ELNS1_3repE0EEENS1_48merge_mergepath_partition_config_static_selectorELNS0_4arch9wavefront6targetE0EEEvSM_
                                        ; -- End function
	.set _ZN7rocprim17ROCPRIM_400000_NS6detail17trampoline_kernelINS0_14default_configENS1_38merge_sort_block_merge_config_selectorIlNS0_10empty_typeEEEZZNS1_27merge_sort_block_merge_implIS3_PlPS5_mZN2at6native12_GLOBAL__N_124unique_dim_cuda_templateIsEESt5tupleIJNSA_6TensorESF_SF_EERKSF_lbbbEUlllE_EE10hipError_tT0_T1_T2_jT3_P12ihipStream_tbPNSt15iterator_traitsISL_E10value_typeEPNSR_ISM_E10value_typeEPSN_NS1_7vsmem_tEENKUlT_SL_SM_SN_E_clIS8_S8_S9_S9_EESK_S10_SL_SM_SN_EUlS10_E_NS1_11comp_targetILNS1_3genE10ELNS1_11target_archE1201ELNS1_3gpuE5ELNS1_3repE0EEENS1_48merge_mergepath_partition_config_static_selectorELNS0_4arch9wavefront6targetE0EEEvSM_.num_vgpr, 0
	.set _ZN7rocprim17ROCPRIM_400000_NS6detail17trampoline_kernelINS0_14default_configENS1_38merge_sort_block_merge_config_selectorIlNS0_10empty_typeEEEZZNS1_27merge_sort_block_merge_implIS3_PlPS5_mZN2at6native12_GLOBAL__N_124unique_dim_cuda_templateIsEESt5tupleIJNSA_6TensorESF_SF_EERKSF_lbbbEUlllE_EE10hipError_tT0_T1_T2_jT3_P12ihipStream_tbPNSt15iterator_traitsISL_E10value_typeEPNSR_ISM_E10value_typeEPSN_NS1_7vsmem_tEENKUlT_SL_SM_SN_E_clIS8_S8_S9_S9_EESK_S10_SL_SM_SN_EUlS10_E_NS1_11comp_targetILNS1_3genE10ELNS1_11target_archE1201ELNS1_3gpuE5ELNS1_3repE0EEENS1_48merge_mergepath_partition_config_static_selectorELNS0_4arch9wavefront6targetE0EEEvSM_.num_agpr, 0
	.set _ZN7rocprim17ROCPRIM_400000_NS6detail17trampoline_kernelINS0_14default_configENS1_38merge_sort_block_merge_config_selectorIlNS0_10empty_typeEEEZZNS1_27merge_sort_block_merge_implIS3_PlPS5_mZN2at6native12_GLOBAL__N_124unique_dim_cuda_templateIsEESt5tupleIJNSA_6TensorESF_SF_EERKSF_lbbbEUlllE_EE10hipError_tT0_T1_T2_jT3_P12ihipStream_tbPNSt15iterator_traitsISL_E10value_typeEPNSR_ISM_E10value_typeEPSN_NS1_7vsmem_tEENKUlT_SL_SM_SN_E_clIS8_S8_S9_S9_EESK_S10_SL_SM_SN_EUlS10_E_NS1_11comp_targetILNS1_3genE10ELNS1_11target_archE1201ELNS1_3gpuE5ELNS1_3repE0EEENS1_48merge_mergepath_partition_config_static_selectorELNS0_4arch9wavefront6targetE0EEEvSM_.numbered_sgpr, 0
	.set _ZN7rocprim17ROCPRIM_400000_NS6detail17trampoline_kernelINS0_14default_configENS1_38merge_sort_block_merge_config_selectorIlNS0_10empty_typeEEEZZNS1_27merge_sort_block_merge_implIS3_PlPS5_mZN2at6native12_GLOBAL__N_124unique_dim_cuda_templateIsEESt5tupleIJNSA_6TensorESF_SF_EERKSF_lbbbEUlllE_EE10hipError_tT0_T1_T2_jT3_P12ihipStream_tbPNSt15iterator_traitsISL_E10value_typeEPNSR_ISM_E10value_typeEPSN_NS1_7vsmem_tEENKUlT_SL_SM_SN_E_clIS8_S8_S9_S9_EESK_S10_SL_SM_SN_EUlS10_E_NS1_11comp_targetILNS1_3genE10ELNS1_11target_archE1201ELNS1_3gpuE5ELNS1_3repE0EEENS1_48merge_mergepath_partition_config_static_selectorELNS0_4arch9wavefront6targetE0EEEvSM_.num_named_barrier, 0
	.set _ZN7rocprim17ROCPRIM_400000_NS6detail17trampoline_kernelINS0_14default_configENS1_38merge_sort_block_merge_config_selectorIlNS0_10empty_typeEEEZZNS1_27merge_sort_block_merge_implIS3_PlPS5_mZN2at6native12_GLOBAL__N_124unique_dim_cuda_templateIsEESt5tupleIJNSA_6TensorESF_SF_EERKSF_lbbbEUlllE_EE10hipError_tT0_T1_T2_jT3_P12ihipStream_tbPNSt15iterator_traitsISL_E10value_typeEPNSR_ISM_E10value_typeEPSN_NS1_7vsmem_tEENKUlT_SL_SM_SN_E_clIS8_S8_S9_S9_EESK_S10_SL_SM_SN_EUlS10_E_NS1_11comp_targetILNS1_3genE10ELNS1_11target_archE1201ELNS1_3gpuE5ELNS1_3repE0EEENS1_48merge_mergepath_partition_config_static_selectorELNS0_4arch9wavefront6targetE0EEEvSM_.private_seg_size, 0
	.set _ZN7rocprim17ROCPRIM_400000_NS6detail17trampoline_kernelINS0_14default_configENS1_38merge_sort_block_merge_config_selectorIlNS0_10empty_typeEEEZZNS1_27merge_sort_block_merge_implIS3_PlPS5_mZN2at6native12_GLOBAL__N_124unique_dim_cuda_templateIsEESt5tupleIJNSA_6TensorESF_SF_EERKSF_lbbbEUlllE_EE10hipError_tT0_T1_T2_jT3_P12ihipStream_tbPNSt15iterator_traitsISL_E10value_typeEPNSR_ISM_E10value_typeEPSN_NS1_7vsmem_tEENKUlT_SL_SM_SN_E_clIS8_S8_S9_S9_EESK_S10_SL_SM_SN_EUlS10_E_NS1_11comp_targetILNS1_3genE10ELNS1_11target_archE1201ELNS1_3gpuE5ELNS1_3repE0EEENS1_48merge_mergepath_partition_config_static_selectorELNS0_4arch9wavefront6targetE0EEEvSM_.uses_vcc, 0
	.set _ZN7rocprim17ROCPRIM_400000_NS6detail17trampoline_kernelINS0_14default_configENS1_38merge_sort_block_merge_config_selectorIlNS0_10empty_typeEEEZZNS1_27merge_sort_block_merge_implIS3_PlPS5_mZN2at6native12_GLOBAL__N_124unique_dim_cuda_templateIsEESt5tupleIJNSA_6TensorESF_SF_EERKSF_lbbbEUlllE_EE10hipError_tT0_T1_T2_jT3_P12ihipStream_tbPNSt15iterator_traitsISL_E10value_typeEPNSR_ISM_E10value_typeEPSN_NS1_7vsmem_tEENKUlT_SL_SM_SN_E_clIS8_S8_S9_S9_EESK_S10_SL_SM_SN_EUlS10_E_NS1_11comp_targetILNS1_3genE10ELNS1_11target_archE1201ELNS1_3gpuE5ELNS1_3repE0EEENS1_48merge_mergepath_partition_config_static_selectorELNS0_4arch9wavefront6targetE0EEEvSM_.uses_flat_scratch, 0
	.set _ZN7rocprim17ROCPRIM_400000_NS6detail17trampoline_kernelINS0_14default_configENS1_38merge_sort_block_merge_config_selectorIlNS0_10empty_typeEEEZZNS1_27merge_sort_block_merge_implIS3_PlPS5_mZN2at6native12_GLOBAL__N_124unique_dim_cuda_templateIsEESt5tupleIJNSA_6TensorESF_SF_EERKSF_lbbbEUlllE_EE10hipError_tT0_T1_T2_jT3_P12ihipStream_tbPNSt15iterator_traitsISL_E10value_typeEPNSR_ISM_E10value_typeEPSN_NS1_7vsmem_tEENKUlT_SL_SM_SN_E_clIS8_S8_S9_S9_EESK_S10_SL_SM_SN_EUlS10_E_NS1_11comp_targetILNS1_3genE10ELNS1_11target_archE1201ELNS1_3gpuE5ELNS1_3repE0EEENS1_48merge_mergepath_partition_config_static_selectorELNS0_4arch9wavefront6targetE0EEEvSM_.has_dyn_sized_stack, 0
	.set _ZN7rocprim17ROCPRIM_400000_NS6detail17trampoline_kernelINS0_14default_configENS1_38merge_sort_block_merge_config_selectorIlNS0_10empty_typeEEEZZNS1_27merge_sort_block_merge_implIS3_PlPS5_mZN2at6native12_GLOBAL__N_124unique_dim_cuda_templateIsEESt5tupleIJNSA_6TensorESF_SF_EERKSF_lbbbEUlllE_EE10hipError_tT0_T1_T2_jT3_P12ihipStream_tbPNSt15iterator_traitsISL_E10value_typeEPNSR_ISM_E10value_typeEPSN_NS1_7vsmem_tEENKUlT_SL_SM_SN_E_clIS8_S8_S9_S9_EESK_S10_SL_SM_SN_EUlS10_E_NS1_11comp_targetILNS1_3genE10ELNS1_11target_archE1201ELNS1_3gpuE5ELNS1_3repE0EEENS1_48merge_mergepath_partition_config_static_selectorELNS0_4arch9wavefront6targetE0EEEvSM_.has_recursion, 0
	.set _ZN7rocprim17ROCPRIM_400000_NS6detail17trampoline_kernelINS0_14default_configENS1_38merge_sort_block_merge_config_selectorIlNS0_10empty_typeEEEZZNS1_27merge_sort_block_merge_implIS3_PlPS5_mZN2at6native12_GLOBAL__N_124unique_dim_cuda_templateIsEESt5tupleIJNSA_6TensorESF_SF_EERKSF_lbbbEUlllE_EE10hipError_tT0_T1_T2_jT3_P12ihipStream_tbPNSt15iterator_traitsISL_E10value_typeEPNSR_ISM_E10value_typeEPSN_NS1_7vsmem_tEENKUlT_SL_SM_SN_E_clIS8_S8_S9_S9_EESK_S10_SL_SM_SN_EUlS10_E_NS1_11comp_targetILNS1_3genE10ELNS1_11target_archE1201ELNS1_3gpuE5ELNS1_3repE0EEENS1_48merge_mergepath_partition_config_static_selectorELNS0_4arch9wavefront6targetE0EEEvSM_.has_indirect_call, 0
	.section	.AMDGPU.csdata,"",@progbits
; Kernel info:
; codeLenInByte = 0
; TotalNumSgprs: 0
; NumVgprs: 0
; ScratchSize: 0
; MemoryBound: 0
; FloatMode: 240
; IeeeMode: 1
; LDSByteSize: 0 bytes/workgroup (compile time only)
; SGPRBlocks: 0
; VGPRBlocks: 0
; NumSGPRsForWavesPerEU: 1
; NumVGPRsForWavesPerEU: 1
; NamedBarCnt: 0
; Occupancy: 16
; WaveLimiterHint : 0
; COMPUTE_PGM_RSRC2:SCRATCH_EN: 0
; COMPUTE_PGM_RSRC2:USER_SGPR: 2
; COMPUTE_PGM_RSRC2:TRAP_HANDLER: 0
; COMPUTE_PGM_RSRC2:TGID_X_EN: 1
; COMPUTE_PGM_RSRC2:TGID_Y_EN: 0
; COMPUTE_PGM_RSRC2:TGID_Z_EN: 0
; COMPUTE_PGM_RSRC2:TIDIG_COMP_CNT: 0
	.section	.text._ZN7rocprim17ROCPRIM_400000_NS6detail17trampoline_kernelINS0_14default_configENS1_38merge_sort_block_merge_config_selectorIlNS0_10empty_typeEEEZZNS1_27merge_sort_block_merge_implIS3_PlPS5_mZN2at6native12_GLOBAL__N_124unique_dim_cuda_templateIsEESt5tupleIJNSA_6TensorESF_SF_EERKSF_lbbbEUlllE_EE10hipError_tT0_T1_T2_jT3_P12ihipStream_tbPNSt15iterator_traitsISL_E10value_typeEPNSR_ISM_E10value_typeEPSN_NS1_7vsmem_tEENKUlT_SL_SM_SN_E_clIS8_S8_S9_S9_EESK_S10_SL_SM_SN_EUlS10_E_NS1_11comp_targetILNS1_3genE5ELNS1_11target_archE942ELNS1_3gpuE9ELNS1_3repE0EEENS1_48merge_mergepath_partition_config_static_selectorELNS0_4arch9wavefront6targetE0EEEvSM_,"axG",@progbits,_ZN7rocprim17ROCPRIM_400000_NS6detail17trampoline_kernelINS0_14default_configENS1_38merge_sort_block_merge_config_selectorIlNS0_10empty_typeEEEZZNS1_27merge_sort_block_merge_implIS3_PlPS5_mZN2at6native12_GLOBAL__N_124unique_dim_cuda_templateIsEESt5tupleIJNSA_6TensorESF_SF_EERKSF_lbbbEUlllE_EE10hipError_tT0_T1_T2_jT3_P12ihipStream_tbPNSt15iterator_traitsISL_E10value_typeEPNSR_ISM_E10value_typeEPSN_NS1_7vsmem_tEENKUlT_SL_SM_SN_E_clIS8_S8_S9_S9_EESK_S10_SL_SM_SN_EUlS10_E_NS1_11comp_targetILNS1_3genE5ELNS1_11target_archE942ELNS1_3gpuE9ELNS1_3repE0EEENS1_48merge_mergepath_partition_config_static_selectorELNS0_4arch9wavefront6targetE0EEEvSM_,comdat
	.globl	_ZN7rocprim17ROCPRIM_400000_NS6detail17trampoline_kernelINS0_14default_configENS1_38merge_sort_block_merge_config_selectorIlNS0_10empty_typeEEEZZNS1_27merge_sort_block_merge_implIS3_PlPS5_mZN2at6native12_GLOBAL__N_124unique_dim_cuda_templateIsEESt5tupleIJNSA_6TensorESF_SF_EERKSF_lbbbEUlllE_EE10hipError_tT0_T1_T2_jT3_P12ihipStream_tbPNSt15iterator_traitsISL_E10value_typeEPNSR_ISM_E10value_typeEPSN_NS1_7vsmem_tEENKUlT_SL_SM_SN_E_clIS8_S8_S9_S9_EESK_S10_SL_SM_SN_EUlS10_E_NS1_11comp_targetILNS1_3genE5ELNS1_11target_archE942ELNS1_3gpuE9ELNS1_3repE0EEENS1_48merge_mergepath_partition_config_static_selectorELNS0_4arch9wavefront6targetE0EEEvSM_ ; -- Begin function _ZN7rocprim17ROCPRIM_400000_NS6detail17trampoline_kernelINS0_14default_configENS1_38merge_sort_block_merge_config_selectorIlNS0_10empty_typeEEEZZNS1_27merge_sort_block_merge_implIS3_PlPS5_mZN2at6native12_GLOBAL__N_124unique_dim_cuda_templateIsEESt5tupleIJNSA_6TensorESF_SF_EERKSF_lbbbEUlllE_EE10hipError_tT0_T1_T2_jT3_P12ihipStream_tbPNSt15iterator_traitsISL_E10value_typeEPNSR_ISM_E10value_typeEPSN_NS1_7vsmem_tEENKUlT_SL_SM_SN_E_clIS8_S8_S9_S9_EESK_S10_SL_SM_SN_EUlS10_E_NS1_11comp_targetILNS1_3genE5ELNS1_11target_archE942ELNS1_3gpuE9ELNS1_3repE0EEENS1_48merge_mergepath_partition_config_static_selectorELNS0_4arch9wavefront6targetE0EEEvSM_
	.p2align	8
	.type	_ZN7rocprim17ROCPRIM_400000_NS6detail17trampoline_kernelINS0_14default_configENS1_38merge_sort_block_merge_config_selectorIlNS0_10empty_typeEEEZZNS1_27merge_sort_block_merge_implIS3_PlPS5_mZN2at6native12_GLOBAL__N_124unique_dim_cuda_templateIsEESt5tupleIJNSA_6TensorESF_SF_EERKSF_lbbbEUlllE_EE10hipError_tT0_T1_T2_jT3_P12ihipStream_tbPNSt15iterator_traitsISL_E10value_typeEPNSR_ISM_E10value_typeEPSN_NS1_7vsmem_tEENKUlT_SL_SM_SN_E_clIS8_S8_S9_S9_EESK_S10_SL_SM_SN_EUlS10_E_NS1_11comp_targetILNS1_3genE5ELNS1_11target_archE942ELNS1_3gpuE9ELNS1_3repE0EEENS1_48merge_mergepath_partition_config_static_selectorELNS0_4arch9wavefront6targetE0EEEvSM_,@function
_ZN7rocprim17ROCPRIM_400000_NS6detail17trampoline_kernelINS0_14default_configENS1_38merge_sort_block_merge_config_selectorIlNS0_10empty_typeEEEZZNS1_27merge_sort_block_merge_implIS3_PlPS5_mZN2at6native12_GLOBAL__N_124unique_dim_cuda_templateIsEESt5tupleIJNSA_6TensorESF_SF_EERKSF_lbbbEUlllE_EE10hipError_tT0_T1_T2_jT3_P12ihipStream_tbPNSt15iterator_traitsISL_E10value_typeEPNSR_ISM_E10value_typeEPSN_NS1_7vsmem_tEENKUlT_SL_SM_SN_E_clIS8_S8_S9_S9_EESK_S10_SL_SM_SN_EUlS10_E_NS1_11comp_targetILNS1_3genE5ELNS1_11target_archE942ELNS1_3gpuE9ELNS1_3repE0EEENS1_48merge_mergepath_partition_config_static_selectorELNS0_4arch9wavefront6targetE0EEEvSM_: ; @_ZN7rocprim17ROCPRIM_400000_NS6detail17trampoline_kernelINS0_14default_configENS1_38merge_sort_block_merge_config_selectorIlNS0_10empty_typeEEEZZNS1_27merge_sort_block_merge_implIS3_PlPS5_mZN2at6native12_GLOBAL__N_124unique_dim_cuda_templateIsEESt5tupleIJNSA_6TensorESF_SF_EERKSF_lbbbEUlllE_EE10hipError_tT0_T1_T2_jT3_P12ihipStream_tbPNSt15iterator_traitsISL_E10value_typeEPNSR_ISM_E10value_typeEPSN_NS1_7vsmem_tEENKUlT_SL_SM_SN_E_clIS8_S8_S9_S9_EESK_S10_SL_SM_SN_EUlS10_E_NS1_11comp_targetILNS1_3genE5ELNS1_11target_archE942ELNS1_3gpuE9ELNS1_3repE0EEENS1_48merge_mergepath_partition_config_static_selectorELNS0_4arch9wavefront6targetE0EEEvSM_
; %bb.0:
	.section	.rodata,"a",@progbits
	.p2align	6, 0x0
	.amdhsa_kernel _ZN7rocprim17ROCPRIM_400000_NS6detail17trampoline_kernelINS0_14default_configENS1_38merge_sort_block_merge_config_selectorIlNS0_10empty_typeEEEZZNS1_27merge_sort_block_merge_implIS3_PlPS5_mZN2at6native12_GLOBAL__N_124unique_dim_cuda_templateIsEESt5tupleIJNSA_6TensorESF_SF_EERKSF_lbbbEUlllE_EE10hipError_tT0_T1_T2_jT3_P12ihipStream_tbPNSt15iterator_traitsISL_E10value_typeEPNSR_ISM_E10value_typeEPSN_NS1_7vsmem_tEENKUlT_SL_SM_SN_E_clIS8_S8_S9_S9_EESK_S10_SL_SM_SN_EUlS10_E_NS1_11comp_targetILNS1_3genE5ELNS1_11target_archE942ELNS1_3gpuE9ELNS1_3repE0EEENS1_48merge_mergepath_partition_config_static_selectorELNS0_4arch9wavefront6targetE0EEEvSM_
		.amdhsa_group_segment_fixed_size 0
		.amdhsa_private_segment_fixed_size 0
		.amdhsa_kernarg_size 56
		.amdhsa_user_sgpr_count 2
		.amdhsa_user_sgpr_dispatch_ptr 0
		.amdhsa_user_sgpr_queue_ptr 0
		.amdhsa_user_sgpr_kernarg_segment_ptr 1
		.amdhsa_user_sgpr_dispatch_id 0
		.amdhsa_user_sgpr_kernarg_preload_length 0
		.amdhsa_user_sgpr_kernarg_preload_offset 0
		.amdhsa_user_sgpr_private_segment_size 0
		.amdhsa_wavefront_size32 1
		.amdhsa_uses_dynamic_stack 0
		.amdhsa_enable_private_segment 0
		.amdhsa_system_sgpr_workgroup_id_x 1
		.amdhsa_system_sgpr_workgroup_id_y 0
		.amdhsa_system_sgpr_workgroup_id_z 0
		.amdhsa_system_sgpr_workgroup_info 0
		.amdhsa_system_vgpr_workitem_id 0
		.amdhsa_next_free_vgpr 1
		.amdhsa_next_free_sgpr 1
		.amdhsa_named_barrier_count 0
		.amdhsa_reserve_vcc 0
		.amdhsa_float_round_mode_32 0
		.amdhsa_float_round_mode_16_64 0
		.amdhsa_float_denorm_mode_32 3
		.amdhsa_float_denorm_mode_16_64 3
		.amdhsa_fp16_overflow 0
		.amdhsa_memory_ordered 1
		.amdhsa_forward_progress 1
		.amdhsa_inst_pref_size 0
		.amdhsa_round_robin_scheduling 0
		.amdhsa_exception_fp_ieee_invalid_op 0
		.amdhsa_exception_fp_denorm_src 0
		.amdhsa_exception_fp_ieee_div_zero 0
		.amdhsa_exception_fp_ieee_overflow 0
		.amdhsa_exception_fp_ieee_underflow 0
		.amdhsa_exception_fp_ieee_inexact 0
		.amdhsa_exception_int_div_zero 0
	.end_amdhsa_kernel
	.section	.text._ZN7rocprim17ROCPRIM_400000_NS6detail17trampoline_kernelINS0_14default_configENS1_38merge_sort_block_merge_config_selectorIlNS0_10empty_typeEEEZZNS1_27merge_sort_block_merge_implIS3_PlPS5_mZN2at6native12_GLOBAL__N_124unique_dim_cuda_templateIsEESt5tupleIJNSA_6TensorESF_SF_EERKSF_lbbbEUlllE_EE10hipError_tT0_T1_T2_jT3_P12ihipStream_tbPNSt15iterator_traitsISL_E10value_typeEPNSR_ISM_E10value_typeEPSN_NS1_7vsmem_tEENKUlT_SL_SM_SN_E_clIS8_S8_S9_S9_EESK_S10_SL_SM_SN_EUlS10_E_NS1_11comp_targetILNS1_3genE5ELNS1_11target_archE942ELNS1_3gpuE9ELNS1_3repE0EEENS1_48merge_mergepath_partition_config_static_selectorELNS0_4arch9wavefront6targetE0EEEvSM_,"axG",@progbits,_ZN7rocprim17ROCPRIM_400000_NS6detail17trampoline_kernelINS0_14default_configENS1_38merge_sort_block_merge_config_selectorIlNS0_10empty_typeEEEZZNS1_27merge_sort_block_merge_implIS3_PlPS5_mZN2at6native12_GLOBAL__N_124unique_dim_cuda_templateIsEESt5tupleIJNSA_6TensorESF_SF_EERKSF_lbbbEUlllE_EE10hipError_tT0_T1_T2_jT3_P12ihipStream_tbPNSt15iterator_traitsISL_E10value_typeEPNSR_ISM_E10value_typeEPSN_NS1_7vsmem_tEENKUlT_SL_SM_SN_E_clIS8_S8_S9_S9_EESK_S10_SL_SM_SN_EUlS10_E_NS1_11comp_targetILNS1_3genE5ELNS1_11target_archE942ELNS1_3gpuE9ELNS1_3repE0EEENS1_48merge_mergepath_partition_config_static_selectorELNS0_4arch9wavefront6targetE0EEEvSM_,comdat
.Lfunc_end638:
	.size	_ZN7rocprim17ROCPRIM_400000_NS6detail17trampoline_kernelINS0_14default_configENS1_38merge_sort_block_merge_config_selectorIlNS0_10empty_typeEEEZZNS1_27merge_sort_block_merge_implIS3_PlPS5_mZN2at6native12_GLOBAL__N_124unique_dim_cuda_templateIsEESt5tupleIJNSA_6TensorESF_SF_EERKSF_lbbbEUlllE_EE10hipError_tT0_T1_T2_jT3_P12ihipStream_tbPNSt15iterator_traitsISL_E10value_typeEPNSR_ISM_E10value_typeEPSN_NS1_7vsmem_tEENKUlT_SL_SM_SN_E_clIS8_S8_S9_S9_EESK_S10_SL_SM_SN_EUlS10_E_NS1_11comp_targetILNS1_3genE5ELNS1_11target_archE942ELNS1_3gpuE9ELNS1_3repE0EEENS1_48merge_mergepath_partition_config_static_selectorELNS0_4arch9wavefront6targetE0EEEvSM_, .Lfunc_end638-_ZN7rocprim17ROCPRIM_400000_NS6detail17trampoline_kernelINS0_14default_configENS1_38merge_sort_block_merge_config_selectorIlNS0_10empty_typeEEEZZNS1_27merge_sort_block_merge_implIS3_PlPS5_mZN2at6native12_GLOBAL__N_124unique_dim_cuda_templateIsEESt5tupleIJNSA_6TensorESF_SF_EERKSF_lbbbEUlllE_EE10hipError_tT0_T1_T2_jT3_P12ihipStream_tbPNSt15iterator_traitsISL_E10value_typeEPNSR_ISM_E10value_typeEPSN_NS1_7vsmem_tEENKUlT_SL_SM_SN_E_clIS8_S8_S9_S9_EESK_S10_SL_SM_SN_EUlS10_E_NS1_11comp_targetILNS1_3genE5ELNS1_11target_archE942ELNS1_3gpuE9ELNS1_3repE0EEENS1_48merge_mergepath_partition_config_static_selectorELNS0_4arch9wavefront6targetE0EEEvSM_
                                        ; -- End function
	.set _ZN7rocprim17ROCPRIM_400000_NS6detail17trampoline_kernelINS0_14default_configENS1_38merge_sort_block_merge_config_selectorIlNS0_10empty_typeEEEZZNS1_27merge_sort_block_merge_implIS3_PlPS5_mZN2at6native12_GLOBAL__N_124unique_dim_cuda_templateIsEESt5tupleIJNSA_6TensorESF_SF_EERKSF_lbbbEUlllE_EE10hipError_tT0_T1_T2_jT3_P12ihipStream_tbPNSt15iterator_traitsISL_E10value_typeEPNSR_ISM_E10value_typeEPSN_NS1_7vsmem_tEENKUlT_SL_SM_SN_E_clIS8_S8_S9_S9_EESK_S10_SL_SM_SN_EUlS10_E_NS1_11comp_targetILNS1_3genE5ELNS1_11target_archE942ELNS1_3gpuE9ELNS1_3repE0EEENS1_48merge_mergepath_partition_config_static_selectorELNS0_4arch9wavefront6targetE0EEEvSM_.num_vgpr, 0
	.set _ZN7rocprim17ROCPRIM_400000_NS6detail17trampoline_kernelINS0_14default_configENS1_38merge_sort_block_merge_config_selectorIlNS0_10empty_typeEEEZZNS1_27merge_sort_block_merge_implIS3_PlPS5_mZN2at6native12_GLOBAL__N_124unique_dim_cuda_templateIsEESt5tupleIJNSA_6TensorESF_SF_EERKSF_lbbbEUlllE_EE10hipError_tT0_T1_T2_jT3_P12ihipStream_tbPNSt15iterator_traitsISL_E10value_typeEPNSR_ISM_E10value_typeEPSN_NS1_7vsmem_tEENKUlT_SL_SM_SN_E_clIS8_S8_S9_S9_EESK_S10_SL_SM_SN_EUlS10_E_NS1_11comp_targetILNS1_3genE5ELNS1_11target_archE942ELNS1_3gpuE9ELNS1_3repE0EEENS1_48merge_mergepath_partition_config_static_selectorELNS0_4arch9wavefront6targetE0EEEvSM_.num_agpr, 0
	.set _ZN7rocprim17ROCPRIM_400000_NS6detail17trampoline_kernelINS0_14default_configENS1_38merge_sort_block_merge_config_selectorIlNS0_10empty_typeEEEZZNS1_27merge_sort_block_merge_implIS3_PlPS5_mZN2at6native12_GLOBAL__N_124unique_dim_cuda_templateIsEESt5tupleIJNSA_6TensorESF_SF_EERKSF_lbbbEUlllE_EE10hipError_tT0_T1_T2_jT3_P12ihipStream_tbPNSt15iterator_traitsISL_E10value_typeEPNSR_ISM_E10value_typeEPSN_NS1_7vsmem_tEENKUlT_SL_SM_SN_E_clIS8_S8_S9_S9_EESK_S10_SL_SM_SN_EUlS10_E_NS1_11comp_targetILNS1_3genE5ELNS1_11target_archE942ELNS1_3gpuE9ELNS1_3repE0EEENS1_48merge_mergepath_partition_config_static_selectorELNS0_4arch9wavefront6targetE0EEEvSM_.numbered_sgpr, 0
	.set _ZN7rocprim17ROCPRIM_400000_NS6detail17trampoline_kernelINS0_14default_configENS1_38merge_sort_block_merge_config_selectorIlNS0_10empty_typeEEEZZNS1_27merge_sort_block_merge_implIS3_PlPS5_mZN2at6native12_GLOBAL__N_124unique_dim_cuda_templateIsEESt5tupleIJNSA_6TensorESF_SF_EERKSF_lbbbEUlllE_EE10hipError_tT0_T1_T2_jT3_P12ihipStream_tbPNSt15iterator_traitsISL_E10value_typeEPNSR_ISM_E10value_typeEPSN_NS1_7vsmem_tEENKUlT_SL_SM_SN_E_clIS8_S8_S9_S9_EESK_S10_SL_SM_SN_EUlS10_E_NS1_11comp_targetILNS1_3genE5ELNS1_11target_archE942ELNS1_3gpuE9ELNS1_3repE0EEENS1_48merge_mergepath_partition_config_static_selectorELNS0_4arch9wavefront6targetE0EEEvSM_.num_named_barrier, 0
	.set _ZN7rocprim17ROCPRIM_400000_NS6detail17trampoline_kernelINS0_14default_configENS1_38merge_sort_block_merge_config_selectorIlNS0_10empty_typeEEEZZNS1_27merge_sort_block_merge_implIS3_PlPS5_mZN2at6native12_GLOBAL__N_124unique_dim_cuda_templateIsEESt5tupleIJNSA_6TensorESF_SF_EERKSF_lbbbEUlllE_EE10hipError_tT0_T1_T2_jT3_P12ihipStream_tbPNSt15iterator_traitsISL_E10value_typeEPNSR_ISM_E10value_typeEPSN_NS1_7vsmem_tEENKUlT_SL_SM_SN_E_clIS8_S8_S9_S9_EESK_S10_SL_SM_SN_EUlS10_E_NS1_11comp_targetILNS1_3genE5ELNS1_11target_archE942ELNS1_3gpuE9ELNS1_3repE0EEENS1_48merge_mergepath_partition_config_static_selectorELNS0_4arch9wavefront6targetE0EEEvSM_.private_seg_size, 0
	.set _ZN7rocprim17ROCPRIM_400000_NS6detail17trampoline_kernelINS0_14default_configENS1_38merge_sort_block_merge_config_selectorIlNS0_10empty_typeEEEZZNS1_27merge_sort_block_merge_implIS3_PlPS5_mZN2at6native12_GLOBAL__N_124unique_dim_cuda_templateIsEESt5tupleIJNSA_6TensorESF_SF_EERKSF_lbbbEUlllE_EE10hipError_tT0_T1_T2_jT3_P12ihipStream_tbPNSt15iterator_traitsISL_E10value_typeEPNSR_ISM_E10value_typeEPSN_NS1_7vsmem_tEENKUlT_SL_SM_SN_E_clIS8_S8_S9_S9_EESK_S10_SL_SM_SN_EUlS10_E_NS1_11comp_targetILNS1_3genE5ELNS1_11target_archE942ELNS1_3gpuE9ELNS1_3repE0EEENS1_48merge_mergepath_partition_config_static_selectorELNS0_4arch9wavefront6targetE0EEEvSM_.uses_vcc, 0
	.set _ZN7rocprim17ROCPRIM_400000_NS6detail17trampoline_kernelINS0_14default_configENS1_38merge_sort_block_merge_config_selectorIlNS0_10empty_typeEEEZZNS1_27merge_sort_block_merge_implIS3_PlPS5_mZN2at6native12_GLOBAL__N_124unique_dim_cuda_templateIsEESt5tupleIJNSA_6TensorESF_SF_EERKSF_lbbbEUlllE_EE10hipError_tT0_T1_T2_jT3_P12ihipStream_tbPNSt15iterator_traitsISL_E10value_typeEPNSR_ISM_E10value_typeEPSN_NS1_7vsmem_tEENKUlT_SL_SM_SN_E_clIS8_S8_S9_S9_EESK_S10_SL_SM_SN_EUlS10_E_NS1_11comp_targetILNS1_3genE5ELNS1_11target_archE942ELNS1_3gpuE9ELNS1_3repE0EEENS1_48merge_mergepath_partition_config_static_selectorELNS0_4arch9wavefront6targetE0EEEvSM_.uses_flat_scratch, 0
	.set _ZN7rocprim17ROCPRIM_400000_NS6detail17trampoline_kernelINS0_14default_configENS1_38merge_sort_block_merge_config_selectorIlNS0_10empty_typeEEEZZNS1_27merge_sort_block_merge_implIS3_PlPS5_mZN2at6native12_GLOBAL__N_124unique_dim_cuda_templateIsEESt5tupleIJNSA_6TensorESF_SF_EERKSF_lbbbEUlllE_EE10hipError_tT0_T1_T2_jT3_P12ihipStream_tbPNSt15iterator_traitsISL_E10value_typeEPNSR_ISM_E10value_typeEPSN_NS1_7vsmem_tEENKUlT_SL_SM_SN_E_clIS8_S8_S9_S9_EESK_S10_SL_SM_SN_EUlS10_E_NS1_11comp_targetILNS1_3genE5ELNS1_11target_archE942ELNS1_3gpuE9ELNS1_3repE0EEENS1_48merge_mergepath_partition_config_static_selectorELNS0_4arch9wavefront6targetE0EEEvSM_.has_dyn_sized_stack, 0
	.set _ZN7rocprim17ROCPRIM_400000_NS6detail17trampoline_kernelINS0_14default_configENS1_38merge_sort_block_merge_config_selectorIlNS0_10empty_typeEEEZZNS1_27merge_sort_block_merge_implIS3_PlPS5_mZN2at6native12_GLOBAL__N_124unique_dim_cuda_templateIsEESt5tupleIJNSA_6TensorESF_SF_EERKSF_lbbbEUlllE_EE10hipError_tT0_T1_T2_jT3_P12ihipStream_tbPNSt15iterator_traitsISL_E10value_typeEPNSR_ISM_E10value_typeEPSN_NS1_7vsmem_tEENKUlT_SL_SM_SN_E_clIS8_S8_S9_S9_EESK_S10_SL_SM_SN_EUlS10_E_NS1_11comp_targetILNS1_3genE5ELNS1_11target_archE942ELNS1_3gpuE9ELNS1_3repE0EEENS1_48merge_mergepath_partition_config_static_selectorELNS0_4arch9wavefront6targetE0EEEvSM_.has_recursion, 0
	.set _ZN7rocprim17ROCPRIM_400000_NS6detail17trampoline_kernelINS0_14default_configENS1_38merge_sort_block_merge_config_selectorIlNS0_10empty_typeEEEZZNS1_27merge_sort_block_merge_implIS3_PlPS5_mZN2at6native12_GLOBAL__N_124unique_dim_cuda_templateIsEESt5tupleIJNSA_6TensorESF_SF_EERKSF_lbbbEUlllE_EE10hipError_tT0_T1_T2_jT3_P12ihipStream_tbPNSt15iterator_traitsISL_E10value_typeEPNSR_ISM_E10value_typeEPSN_NS1_7vsmem_tEENKUlT_SL_SM_SN_E_clIS8_S8_S9_S9_EESK_S10_SL_SM_SN_EUlS10_E_NS1_11comp_targetILNS1_3genE5ELNS1_11target_archE942ELNS1_3gpuE9ELNS1_3repE0EEENS1_48merge_mergepath_partition_config_static_selectorELNS0_4arch9wavefront6targetE0EEEvSM_.has_indirect_call, 0
	.section	.AMDGPU.csdata,"",@progbits
; Kernel info:
; codeLenInByte = 0
; TotalNumSgprs: 0
; NumVgprs: 0
; ScratchSize: 0
; MemoryBound: 0
; FloatMode: 240
; IeeeMode: 1
; LDSByteSize: 0 bytes/workgroup (compile time only)
; SGPRBlocks: 0
; VGPRBlocks: 0
; NumSGPRsForWavesPerEU: 1
; NumVGPRsForWavesPerEU: 1
; NamedBarCnt: 0
; Occupancy: 16
; WaveLimiterHint : 0
; COMPUTE_PGM_RSRC2:SCRATCH_EN: 0
; COMPUTE_PGM_RSRC2:USER_SGPR: 2
; COMPUTE_PGM_RSRC2:TRAP_HANDLER: 0
; COMPUTE_PGM_RSRC2:TGID_X_EN: 1
; COMPUTE_PGM_RSRC2:TGID_Y_EN: 0
; COMPUTE_PGM_RSRC2:TGID_Z_EN: 0
; COMPUTE_PGM_RSRC2:TIDIG_COMP_CNT: 0
	.section	.text._ZN7rocprim17ROCPRIM_400000_NS6detail17trampoline_kernelINS0_14default_configENS1_38merge_sort_block_merge_config_selectorIlNS0_10empty_typeEEEZZNS1_27merge_sort_block_merge_implIS3_PlPS5_mZN2at6native12_GLOBAL__N_124unique_dim_cuda_templateIsEESt5tupleIJNSA_6TensorESF_SF_EERKSF_lbbbEUlllE_EE10hipError_tT0_T1_T2_jT3_P12ihipStream_tbPNSt15iterator_traitsISL_E10value_typeEPNSR_ISM_E10value_typeEPSN_NS1_7vsmem_tEENKUlT_SL_SM_SN_E_clIS8_S8_S9_S9_EESK_S10_SL_SM_SN_EUlS10_E_NS1_11comp_targetILNS1_3genE4ELNS1_11target_archE910ELNS1_3gpuE8ELNS1_3repE0EEENS1_48merge_mergepath_partition_config_static_selectorELNS0_4arch9wavefront6targetE0EEEvSM_,"axG",@progbits,_ZN7rocprim17ROCPRIM_400000_NS6detail17trampoline_kernelINS0_14default_configENS1_38merge_sort_block_merge_config_selectorIlNS0_10empty_typeEEEZZNS1_27merge_sort_block_merge_implIS3_PlPS5_mZN2at6native12_GLOBAL__N_124unique_dim_cuda_templateIsEESt5tupleIJNSA_6TensorESF_SF_EERKSF_lbbbEUlllE_EE10hipError_tT0_T1_T2_jT3_P12ihipStream_tbPNSt15iterator_traitsISL_E10value_typeEPNSR_ISM_E10value_typeEPSN_NS1_7vsmem_tEENKUlT_SL_SM_SN_E_clIS8_S8_S9_S9_EESK_S10_SL_SM_SN_EUlS10_E_NS1_11comp_targetILNS1_3genE4ELNS1_11target_archE910ELNS1_3gpuE8ELNS1_3repE0EEENS1_48merge_mergepath_partition_config_static_selectorELNS0_4arch9wavefront6targetE0EEEvSM_,comdat
	.globl	_ZN7rocprim17ROCPRIM_400000_NS6detail17trampoline_kernelINS0_14default_configENS1_38merge_sort_block_merge_config_selectorIlNS0_10empty_typeEEEZZNS1_27merge_sort_block_merge_implIS3_PlPS5_mZN2at6native12_GLOBAL__N_124unique_dim_cuda_templateIsEESt5tupleIJNSA_6TensorESF_SF_EERKSF_lbbbEUlllE_EE10hipError_tT0_T1_T2_jT3_P12ihipStream_tbPNSt15iterator_traitsISL_E10value_typeEPNSR_ISM_E10value_typeEPSN_NS1_7vsmem_tEENKUlT_SL_SM_SN_E_clIS8_S8_S9_S9_EESK_S10_SL_SM_SN_EUlS10_E_NS1_11comp_targetILNS1_3genE4ELNS1_11target_archE910ELNS1_3gpuE8ELNS1_3repE0EEENS1_48merge_mergepath_partition_config_static_selectorELNS0_4arch9wavefront6targetE0EEEvSM_ ; -- Begin function _ZN7rocprim17ROCPRIM_400000_NS6detail17trampoline_kernelINS0_14default_configENS1_38merge_sort_block_merge_config_selectorIlNS0_10empty_typeEEEZZNS1_27merge_sort_block_merge_implIS3_PlPS5_mZN2at6native12_GLOBAL__N_124unique_dim_cuda_templateIsEESt5tupleIJNSA_6TensorESF_SF_EERKSF_lbbbEUlllE_EE10hipError_tT0_T1_T2_jT3_P12ihipStream_tbPNSt15iterator_traitsISL_E10value_typeEPNSR_ISM_E10value_typeEPSN_NS1_7vsmem_tEENKUlT_SL_SM_SN_E_clIS8_S8_S9_S9_EESK_S10_SL_SM_SN_EUlS10_E_NS1_11comp_targetILNS1_3genE4ELNS1_11target_archE910ELNS1_3gpuE8ELNS1_3repE0EEENS1_48merge_mergepath_partition_config_static_selectorELNS0_4arch9wavefront6targetE0EEEvSM_
	.p2align	8
	.type	_ZN7rocprim17ROCPRIM_400000_NS6detail17trampoline_kernelINS0_14default_configENS1_38merge_sort_block_merge_config_selectorIlNS0_10empty_typeEEEZZNS1_27merge_sort_block_merge_implIS3_PlPS5_mZN2at6native12_GLOBAL__N_124unique_dim_cuda_templateIsEESt5tupleIJNSA_6TensorESF_SF_EERKSF_lbbbEUlllE_EE10hipError_tT0_T1_T2_jT3_P12ihipStream_tbPNSt15iterator_traitsISL_E10value_typeEPNSR_ISM_E10value_typeEPSN_NS1_7vsmem_tEENKUlT_SL_SM_SN_E_clIS8_S8_S9_S9_EESK_S10_SL_SM_SN_EUlS10_E_NS1_11comp_targetILNS1_3genE4ELNS1_11target_archE910ELNS1_3gpuE8ELNS1_3repE0EEENS1_48merge_mergepath_partition_config_static_selectorELNS0_4arch9wavefront6targetE0EEEvSM_,@function
_ZN7rocprim17ROCPRIM_400000_NS6detail17trampoline_kernelINS0_14default_configENS1_38merge_sort_block_merge_config_selectorIlNS0_10empty_typeEEEZZNS1_27merge_sort_block_merge_implIS3_PlPS5_mZN2at6native12_GLOBAL__N_124unique_dim_cuda_templateIsEESt5tupleIJNSA_6TensorESF_SF_EERKSF_lbbbEUlllE_EE10hipError_tT0_T1_T2_jT3_P12ihipStream_tbPNSt15iterator_traitsISL_E10value_typeEPNSR_ISM_E10value_typeEPSN_NS1_7vsmem_tEENKUlT_SL_SM_SN_E_clIS8_S8_S9_S9_EESK_S10_SL_SM_SN_EUlS10_E_NS1_11comp_targetILNS1_3genE4ELNS1_11target_archE910ELNS1_3gpuE8ELNS1_3repE0EEENS1_48merge_mergepath_partition_config_static_selectorELNS0_4arch9wavefront6targetE0EEEvSM_: ; @_ZN7rocprim17ROCPRIM_400000_NS6detail17trampoline_kernelINS0_14default_configENS1_38merge_sort_block_merge_config_selectorIlNS0_10empty_typeEEEZZNS1_27merge_sort_block_merge_implIS3_PlPS5_mZN2at6native12_GLOBAL__N_124unique_dim_cuda_templateIsEESt5tupleIJNSA_6TensorESF_SF_EERKSF_lbbbEUlllE_EE10hipError_tT0_T1_T2_jT3_P12ihipStream_tbPNSt15iterator_traitsISL_E10value_typeEPNSR_ISM_E10value_typeEPSN_NS1_7vsmem_tEENKUlT_SL_SM_SN_E_clIS8_S8_S9_S9_EESK_S10_SL_SM_SN_EUlS10_E_NS1_11comp_targetILNS1_3genE4ELNS1_11target_archE910ELNS1_3gpuE8ELNS1_3repE0EEENS1_48merge_mergepath_partition_config_static_selectorELNS0_4arch9wavefront6targetE0EEEvSM_
; %bb.0:
	.section	.rodata,"a",@progbits
	.p2align	6, 0x0
	.amdhsa_kernel _ZN7rocprim17ROCPRIM_400000_NS6detail17trampoline_kernelINS0_14default_configENS1_38merge_sort_block_merge_config_selectorIlNS0_10empty_typeEEEZZNS1_27merge_sort_block_merge_implIS3_PlPS5_mZN2at6native12_GLOBAL__N_124unique_dim_cuda_templateIsEESt5tupleIJNSA_6TensorESF_SF_EERKSF_lbbbEUlllE_EE10hipError_tT0_T1_T2_jT3_P12ihipStream_tbPNSt15iterator_traitsISL_E10value_typeEPNSR_ISM_E10value_typeEPSN_NS1_7vsmem_tEENKUlT_SL_SM_SN_E_clIS8_S8_S9_S9_EESK_S10_SL_SM_SN_EUlS10_E_NS1_11comp_targetILNS1_3genE4ELNS1_11target_archE910ELNS1_3gpuE8ELNS1_3repE0EEENS1_48merge_mergepath_partition_config_static_selectorELNS0_4arch9wavefront6targetE0EEEvSM_
		.amdhsa_group_segment_fixed_size 0
		.amdhsa_private_segment_fixed_size 0
		.amdhsa_kernarg_size 56
		.amdhsa_user_sgpr_count 2
		.amdhsa_user_sgpr_dispatch_ptr 0
		.amdhsa_user_sgpr_queue_ptr 0
		.amdhsa_user_sgpr_kernarg_segment_ptr 1
		.amdhsa_user_sgpr_dispatch_id 0
		.amdhsa_user_sgpr_kernarg_preload_length 0
		.amdhsa_user_sgpr_kernarg_preload_offset 0
		.amdhsa_user_sgpr_private_segment_size 0
		.amdhsa_wavefront_size32 1
		.amdhsa_uses_dynamic_stack 0
		.amdhsa_enable_private_segment 0
		.amdhsa_system_sgpr_workgroup_id_x 1
		.amdhsa_system_sgpr_workgroup_id_y 0
		.amdhsa_system_sgpr_workgroup_id_z 0
		.amdhsa_system_sgpr_workgroup_info 0
		.amdhsa_system_vgpr_workitem_id 0
		.amdhsa_next_free_vgpr 1
		.amdhsa_next_free_sgpr 1
		.amdhsa_named_barrier_count 0
		.amdhsa_reserve_vcc 0
		.amdhsa_float_round_mode_32 0
		.amdhsa_float_round_mode_16_64 0
		.amdhsa_float_denorm_mode_32 3
		.amdhsa_float_denorm_mode_16_64 3
		.amdhsa_fp16_overflow 0
		.amdhsa_memory_ordered 1
		.amdhsa_forward_progress 1
		.amdhsa_inst_pref_size 0
		.amdhsa_round_robin_scheduling 0
		.amdhsa_exception_fp_ieee_invalid_op 0
		.amdhsa_exception_fp_denorm_src 0
		.amdhsa_exception_fp_ieee_div_zero 0
		.amdhsa_exception_fp_ieee_overflow 0
		.amdhsa_exception_fp_ieee_underflow 0
		.amdhsa_exception_fp_ieee_inexact 0
		.amdhsa_exception_int_div_zero 0
	.end_amdhsa_kernel
	.section	.text._ZN7rocprim17ROCPRIM_400000_NS6detail17trampoline_kernelINS0_14default_configENS1_38merge_sort_block_merge_config_selectorIlNS0_10empty_typeEEEZZNS1_27merge_sort_block_merge_implIS3_PlPS5_mZN2at6native12_GLOBAL__N_124unique_dim_cuda_templateIsEESt5tupleIJNSA_6TensorESF_SF_EERKSF_lbbbEUlllE_EE10hipError_tT0_T1_T2_jT3_P12ihipStream_tbPNSt15iterator_traitsISL_E10value_typeEPNSR_ISM_E10value_typeEPSN_NS1_7vsmem_tEENKUlT_SL_SM_SN_E_clIS8_S8_S9_S9_EESK_S10_SL_SM_SN_EUlS10_E_NS1_11comp_targetILNS1_3genE4ELNS1_11target_archE910ELNS1_3gpuE8ELNS1_3repE0EEENS1_48merge_mergepath_partition_config_static_selectorELNS0_4arch9wavefront6targetE0EEEvSM_,"axG",@progbits,_ZN7rocprim17ROCPRIM_400000_NS6detail17trampoline_kernelINS0_14default_configENS1_38merge_sort_block_merge_config_selectorIlNS0_10empty_typeEEEZZNS1_27merge_sort_block_merge_implIS3_PlPS5_mZN2at6native12_GLOBAL__N_124unique_dim_cuda_templateIsEESt5tupleIJNSA_6TensorESF_SF_EERKSF_lbbbEUlllE_EE10hipError_tT0_T1_T2_jT3_P12ihipStream_tbPNSt15iterator_traitsISL_E10value_typeEPNSR_ISM_E10value_typeEPSN_NS1_7vsmem_tEENKUlT_SL_SM_SN_E_clIS8_S8_S9_S9_EESK_S10_SL_SM_SN_EUlS10_E_NS1_11comp_targetILNS1_3genE4ELNS1_11target_archE910ELNS1_3gpuE8ELNS1_3repE0EEENS1_48merge_mergepath_partition_config_static_selectorELNS0_4arch9wavefront6targetE0EEEvSM_,comdat
.Lfunc_end639:
	.size	_ZN7rocprim17ROCPRIM_400000_NS6detail17trampoline_kernelINS0_14default_configENS1_38merge_sort_block_merge_config_selectorIlNS0_10empty_typeEEEZZNS1_27merge_sort_block_merge_implIS3_PlPS5_mZN2at6native12_GLOBAL__N_124unique_dim_cuda_templateIsEESt5tupleIJNSA_6TensorESF_SF_EERKSF_lbbbEUlllE_EE10hipError_tT0_T1_T2_jT3_P12ihipStream_tbPNSt15iterator_traitsISL_E10value_typeEPNSR_ISM_E10value_typeEPSN_NS1_7vsmem_tEENKUlT_SL_SM_SN_E_clIS8_S8_S9_S9_EESK_S10_SL_SM_SN_EUlS10_E_NS1_11comp_targetILNS1_3genE4ELNS1_11target_archE910ELNS1_3gpuE8ELNS1_3repE0EEENS1_48merge_mergepath_partition_config_static_selectorELNS0_4arch9wavefront6targetE0EEEvSM_, .Lfunc_end639-_ZN7rocprim17ROCPRIM_400000_NS6detail17trampoline_kernelINS0_14default_configENS1_38merge_sort_block_merge_config_selectorIlNS0_10empty_typeEEEZZNS1_27merge_sort_block_merge_implIS3_PlPS5_mZN2at6native12_GLOBAL__N_124unique_dim_cuda_templateIsEESt5tupleIJNSA_6TensorESF_SF_EERKSF_lbbbEUlllE_EE10hipError_tT0_T1_T2_jT3_P12ihipStream_tbPNSt15iterator_traitsISL_E10value_typeEPNSR_ISM_E10value_typeEPSN_NS1_7vsmem_tEENKUlT_SL_SM_SN_E_clIS8_S8_S9_S9_EESK_S10_SL_SM_SN_EUlS10_E_NS1_11comp_targetILNS1_3genE4ELNS1_11target_archE910ELNS1_3gpuE8ELNS1_3repE0EEENS1_48merge_mergepath_partition_config_static_selectorELNS0_4arch9wavefront6targetE0EEEvSM_
                                        ; -- End function
	.set _ZN7rocprim17ROCPRIM_400000_NS6detail17trampoline_kernelINS0_14default_configENS1_38merge_sort_block_merge_config_selectorIlNS0_10empty_typeEEEZZNS1_27merge_sort_block_merge_implIS3_PlPS5_mZN2at6native12_GLOBAL__N_124unique_dim_cuda_templateIsEESt5tupleIJNSA_6TensorESF_SF_EERKSF_lbbbEUlllE_EE10hipError_tT0_T1_T2_jT3_P12ihipStream_tbPNSt15iterator_traitsISL_E10value_typeEPNSR_ISM_E10value_typeEPSN_NS1_7vsmem_tEENKUlT_SL_SM_SN_E_clIS8_S8_S9_S9_EESK_S10_SL_SM_SN_EUlS10_E_NS1_11comp_targetILNS1_3genE4ELNS1_11target_archE910ELNS1_3gpuE8ELNS1_3repE0EEENS1_48merge_mergepath_partition_config_static_selectorELNS0_4arch9wavefront6targetE0EEEvSM_.num_vgpr, 0
	.set _ZN7rocprim17ROCPRIM_400000_NS6detail17trampoline_kernelINS0_14default_configENS1_38merge_sort_block_merge_config_selectorIlNS0_10empty_typeEEEZZNS1_27merge_sort_block_merge_implIS3_PlPS5_mZN2at6native12_GLOBAL__N_124unique_dim_cuda_templateIsEESt5tupleIJNSA_6TensorESF_SF_EERKSF_lbbbEUlllE_EE10hipError_tT0_T1_T2_jT3_P12ihipStream_tbPNSt15iterator_traitsISL_E10value_typeEPNSR_ISM_E10value_typeEPSN_NS1_7vsmem_tEENKUlT_SL_SM_SN_E_clIS8_S8_S9_S9_EESK_S10_SL_SM_SN_EUlS10_E_NS1_11comp_targetILNS1_3genE4ELNS1_11target_archE910ELNS1_3gpuE8ELNS1_3repE0EEENS1_48merge_mergepath_partition_config_static_selectorELNS0_4arch9wavefront6targetE0EEEvSM_.num_agpr, 0
	.set _ZN7rocprim17ROCPRIM_400000_NS6detail17trampoline_kernelINS0_14default_configENS1_38merge_sort_block_merge_config_selectorIlNS0_10empty_typeEEEZZNS1_27merge_sort_block_merge_implIS3_PlPS5_mZN2at6native12_GLOBAL__N_124unique_dim_cuda_templateIsEESt5tupleIJNSA_6TensorESF_SF_EERKSF_lbbbEUlllE_EE10hipError_tT0_T1_T2_jT3_P12ihipStream_tbPNSt15iterator_traitsISL_E10value_typeEPNSR_ISM_E10value_typeEPSN_NS1_7vsmem_tEENKUlT_SL_SM_SN_E_clIS8_S8_S9_S9_EESK_S10_SL_SM_SN_EUlS10_E_NS1_11comp_targetILNS1_3genE4ELNS1_11target_archE910ELNS1_3gpuE8ELNS1_3repE0EEENS1_48merge_mergepath_partition_config_static_selectorELNS0_4arch9wavefront6targetE0EEEvSM_.numbered_sgpr, 0
	.set _ZN7rocprim17ROCPRIM_400000_NS6detail17trampoline_kernelINS0_14default_configENS1_38merge_sort_block_merge_config_selectorIlNS0_10empty_typeEEEZZNS1_27merge_sort_block_merge_implIS3_PlPS5_mZN2at6native12_GLOBAL__N_124unique_dim_cuda_templateIsEESt5tupleIJNSA_6TensorESF_SF_EERKSF_lbbbEUlllE_EE10hipError_tT0_T1_T2_jT3_P12ihipStream_tbPNSt15iterator_traitsISL_E10value_typeEPNSR_ISM_E10value_typeEPSN_NS1_7vsmem_tEENKUlT_SL_SM_SN_E_clIS8_S8_S9_S9_EESK_S10_SL_SM_SN_EUlS10_E_NS1_11comp_targetILNS1_3genE4ELNS1_11target_archE910ELNS1_3gpuE8ELNS1_3repE0EEENS1_48merge_mergepath_partition_config_static_selectorELNS0_4arch9wavefront6targetE0EEEvSM_.num_named_barrier, 0
	.set _ZN7rocprim17ROCPRIM_400000_NS6detail17trampoline_kernelINS0_14default_configENS1_38merge_sort_block_merge_config_selectorIlNS0_10empty_typeEEEZZNS1_27merge_sort_block_merge_implIS3_PlPS5_mZN2at6native12_GLOBAL__N_124unique_dim_cuda_templateIsEESt5tupleIJNSA_6TensorESF_SF_EERKSF_lbbbEUlllE_EE10hipError_tT0_T1_T2_jT3_P12ihipStream_tbPNSt15iterator_traitsISL_E10value_typeEPNSR_ISM_E10value_typeEPSN_NS1_7vsmem_tEENKUlT_SL_SM_SN_E_clIS8_S8_S9_S9_EESK_S10_SL_SM_SN_EUlS10_E_NS1_11comp_targetILNS1_3genE4ELNS1_11target_archE910ELNS1_3gpuE8ELNS1_3repE0EEENS1_48merge_mergepath_partition_config_static_selectorELNS0_4arch9wavefront6targetE0EEEvSM_.private_seg_size, 0
	.set _ZN7rocprim17ROCPRIM_400000_NS6detail17trampoline_kernelINS0_14default_configENS1_38merge_sort_block_merge_config_selectorIlNS0_10empty_typeEEEZZNS1_27merge_sort_block_merge_implIS3_PlPS5_mZN2at6native12_GLOBAL__N_124unique_dim_cuda_templateIsEESt5tupleIJNSA_6TensorESF_SF_EERKSF_lbbbEUlllE_EE10hipError_tT0_T1_T2_jT3_P12ihipStream_tbPNSt15iterator_traitsISL_E10value_typeEPNSR_ISM_E10value_typeEPSN_NS1_7vsmem_tEENKUlT_SL_SM_SN_E_clIS8_S8_S9_S9_EESK_S10_SL_SM_SN_EUlS10_E_NS1_11comp_targetILNS1_3genE4ELNS1_11target_archE910ELNS1_3gpuE8ELNS1_3repE0EEENS1_48merge_mergepath_partition_config_static_selectorELNS0_4arch9wavefront6targetE0EEEvSM_.uses_vcc, 0
	.set _ZN7rocprim17ROCPRIM_400000_NS6detail17trampoline_kernelINS0_14default_configENS1_38merge_sort_block_merge_config_selectorIlNS0_10empty_typeEEEZZNS1_27merge_sort_block_merge_implIS3_PlPS5_mZN2at6native12_GLOBAL__N_124unique_dim_cuda_templateIsEESt5tupleIJNSA_6TensorESF_SF_EERKSF_lbbbEUlllE_EE10hipError_tT0_T1_T2_jT3_P12ihipStream_tbPNSt15iterator_traitsISL_E10value_typeEPNSR_ISM_E10value_typeEPSN_NS1_7vsmem_tEENKUlT_SL_SM_SN_E_clIS8_S8_S9_S9_EESK_S10_SL_SM_SN_EUlS10_E_NS1_11comp_targetILNS1_3genE4ELNS1_11target_archE910ELNS1_3gpuE8ELNS1_3repE0EEENS1_48merge_mergepath_partition_config_static_selectorELNS0_4arch9wavefront6targetE0EEEvSM_.uses_flat_scratch, 0
	.set _ZN7rocprim17ROCPRIM_400000_NS6detail17trampoline_kernelINS0_14default_configENS1_38merge_sort_block_merge_config_selectorIlNS0_10empty_typeEEEZZNS1_27merge_sort_block_merge_implIS3_PlPS5_mZN2at6native12_GLOBAL__N_124unique_dim_cuda_templateIsEESt5tupleIJNSA_6TensorESF_SF_EERKSF_lbbbEUlllE_EE10hipError_tT0_T1_T2_jT3_P12ihipStream_tbPNSt15iterator_traitsISL_E10value_typeEPNSR_ISM_E10value_typeEPSN_NS1_7vsmem_tEENKUlT_SL_SM_SN_E_clIS8_S8_S9_S9_EESK_S10_SL_SM_SN_EUlS10_E_NS1_11comp_targetILNS1_3genE4ELNS1_11target_archE910ELNS1_3gpuE8ELNS1_3repE0EEENS1_48merge_mergepath_partition_config_static_selectorELNS0_4arch9wavefront6targetE0EEEvSM_.has_dyn_sized_stack, 0
	.set _ZN7rocprim17ROCPRIM_400000_NS6detail17trampoline_kernelINS0_14default_configENS1_38merge_sort_block_merge_config_selectorIlNS0_10empty_typeEEEZZNS1_27merge_sort_block_merge_implIS3_PlPS5_mZN2at6native12_GLOBAL__N_124unique_dim_cuda_templateIsEESt5tupleIJNSA_6TensorESF_SF_EERKSF_lbbbEUlllE_EE10hipError_tT0_T1_T2_jT3_P12ihipStream_tbPNSt15iterator_traitsISL_E10value_typeEPNSR_ISM_E10value_typeEPSN_NS1_7vsmem_tEENKUlT_SL_SM_SN_E_clIS8_S8_S9_S9_EESK_S10_SL_SM_SN_EUlS10_E_NS1_11comp_targetILNS1_3genE4ELNS1_11target_archE910ELNS1_3gpuE8ELNS1_3repE0EEENS1_48merge_mergepath_partition_config_static_selectorELNS0_4arch9wavefront6targetE0EEEvSM_.has_recursion, 0
	.set _ZN7rocprim17ROCPRIM_400000_NS6detail17trampoline_kernelINS0_14default_configENS1_38merge_sort_block_merge_config_selectorIlNS0_10empty_typeEEEZZNS1_27merge_sort_block_merge_implIS3_PlPS5_mZN2at6native12_GLOBAL__N_124unique_dim_cuda_templateIsEESt5tupleIJNSA_6TensorESF_SF_EERKSF_lbbbEUlllE_EE10hipError_tT0_T1_T2_jT3_P12ihipStream_tbPNSt15iterator_traitsISL_E10value_typeEPNSR_ISM_E10value_typeEPSN_NS1_7vsmem_tEENKUlT_SL_SM_SN_E_clIS8_S8_S9_S9_EESK_S10_SL_SM_SN_EUlS10_E_NS1_11comp_targetILNS1_3genE4ELNS1_11target_archE910ELNS1_3gpuE8ELNS1_3repE0EEENS1_48merge_mergepath_partition_config_static_selectorELNS0_4arch9wavefront6targetE0EEEvSM_.has_indirect_call, 0
	.section	.AMDGPU.csdata,"",@progbits
; Kernel info:
; codeLenInByte = 0
; TotalNumSgprs: 0
; NumVgprs: 0
; ScratchSize: 0
; MemoryBound: 0
; FloatMode: 240
; IeeeMode: 1
; LDSByteSize: 0 bytes/workgroup (compile time only)
; SGPRBlocks: 0
; VGPRBlocks: 0
; NumSGPRsForWavesPerEU: 1
; NumVGPRsForWavesPerEU: 1
; NamedBarCnt: 0
; Occupancy: 16
; WaveLimiterHint : 0
; COMPUTE_PGM_RSRC2:SCRATCH_EN: 0
; COMPUTE_PGM_RSRC2:USER_SGPR: 2
; COMPUTE_PGM_RSRC2:TRAP_HANDLER: 0
; COMPUTE_PGM_RSRC2:TGID_X_EN: 1
; COMPUTE_PGM_RSRC2:TGID_Y_EN: 0
; COMPUTE_PGM_RSRC2:TGID_Z_EN: 0
; COMPUTE_PGM_RSRC2:TIDIG_COMP_CNT: 0
	.section	.text._ZN7rocprim17ROCPRIM_400000_NS6detail17trampoline_kernelINS0_14default_configENS1_38merge_sort_block_merge_config_selectorIlNS0_10empty_typeEEEZZNS1_27merge_sort_block_merge_implIS3_PlPS5_mZN2at6native12_GLOBAL__N_124unique_dim_cuda_templateIsEESt5tupleIJNSA_6TensorESF_SF_EERKSF_lbbbEUlllE_EE10hipError_tT0_T1_T2_jT3_P12ihipStream_tbPNSt15iterator_traitsISL_E10value_typeEPNSR_ISM_E10value_typeEPSN_NS1_7vsmem_tEENKUlT_SL_SM_SN_E_clIS8_S8_S9_S9_EESK_S10_SL_SM_SN_EUlS10_E_NS1_11comp_targetILNS1_3genE3ELNS1_11target_archE908ELNS1_3gpuE7ELNS1_3repE0EEENS1_48merge_mergepath_partition_config_static_selectorELNS0_4arch9wavefront6targetE0EEEvSM_,"axG",@progbits,_ZN7rocprim17ROCPRIM_400000_NS6detail17trampoline_kernelINS0_14default_configENS1_38merge_sort_block_merge_config_selectorIlNS0_10empty_typeEEEZZNS1_27merge_sort_block_merge_implIS3_PlPS5_mZN2at6native12_GLOBAL__N_124unique_dim_cuda_templateIsEESt5tupleIJNSA_6TensorESF_SF_EERKSF_lbbbEUlllE_EE10hipError_tT0_T1_T2_jT3_P12ihipStream_tbPNSt15iterator_traitsISL_E10value_typeEPNSR_ISM_E10value_typeEPSN_NS1_7vsmem_tEENKUlT_SL_SM_SN_E_clIS8_S8_S9_S9_EESK_S10_SL_SM_SN_EUlS10_E_NS1_11comp_targetILNS1_3genE3ELNS1_11target_archE908ELNS1_3gpuE7ELNS1_3repE0EEENS1_48merge_mergepath_partition_config_static_selectorELNS0_4arch9wavefront6targetE0EEEvSM_,comdat
	.globl	_ZN7rocprim17ROCPRIM_400000_NS6detail17trampoline_kernelINS0_14default_configENS1_38merge_sort_block_merge_config_selectorIlNS0_10empty_typeEEEZZNS1_27merge_sort_block_merge_implIS3_PlPS5_mZN2at6native12_GLOBAL__N_124unique_dim_cuda_templateIsEESt5tupleIJNSA_6TensorESF_SF_EERKSF_lbbbEUlllE_EE10hipError_tT0_T1_T2_jT3_P12ihipStream_tbPNSt15iterator_traitsISL_E10value_typeEPNSR_ISM_E10value_typeEPSN_NS1_7vsmem_tEENKUlT_SL_SM_SN_E_clIS8_S8_S9_S9_EESK_S10_SL_SM_SN_EUlS10_E_NS1_11comp_targetILNS1_3genE3ELNS1_11target_archE908ELNS1_3gpuE7ELNS1_3repE0EEENS1_48merge_mergepath_partition_config_static_selectorELNS0_4arch9wavefront6targetE0EEEvSM_ ; -- Begin function _ZN7rocprim17ROCPRIM_400000_NS6detail17trampoline_kernelINS0_14default_configENS1_38merge_sort_block_merge_config_selectorIlNS0_10empty_typeEEEZZNS1_27merge_sort_block_merge_implIS3_PlPS5_mZN2at6native12_GLOBAL__N_124unique_dim_cuda_templateIsEESt5tupleIJNSA_6TensorESF_SF_EERKSF_lbbbEUlllE_EE10hipError_tT0_T1_T2_jT3_P12ihipStream_tbPNSt15iterator_traitsISL_E10value_typeEPNSR_ISM_E10value_typeEPSN_NS1_7vsmem_tEENKUlT_SL_SM_SN_E_clIS8_S8_S9_S9_EESK_S10_SL_SM_SN_EUlS10_E_NS1_11comp_targetILNS1_3genE3ELNS1_11target_archE908ELNS1_3gpuE7ELNS1_3repE0EEENS1_48merge_mergepath_partition_config_static_selectorELNS0_4arch9wavefront6targetE0EEEvSM_
	.p2align	8
	.type	_ZN7rocprim17ROCPRIM_400000_NS6detail17trampoline_kernelINS0_14default_configENS1_38merge_sort_block_merge_config_selectorIlNS0_10empty_typeEEEZZNS1_27merge_sort_block_merge_implIS3_PlPS5_mZN2at6native12_GLOBAL__N_124unique_dim_cuda_templateIsEESt5tupleIJNSA_6TensorESF_SF_EERKSF_lbbbEUlllE_EE10hipError_tT0_T1_T2_jT3_P12ihipStream_tbPNSt15iterator_traitsISL_E10value_typeEPNSR_ISM_E10value_typeEPSN_NS1_7vsmem_tEENKUlT_SL_SM_SN_E_clIS8_S8_S9_S9_EESK_S10_SL_SM_SN_EUlS10_E_NS1_11comp_targetILNS1_3genE3ELNS1_11target_archE908ELNS1_3gpuE7ELNS1_3repE0EEENS1_48merge_mergepath_partition_config_static_selectorELNS0_4arch9wavefront6targetE0EEEvSM_,@function
_ZN7rocprim17ROCPRIM_400000_NS6detail17trampoline_kernelINS0_14default_configENS1_38merge_sort_block_merge_config_selectorIlNS0_10empty_typeEEEZZNS1_27merge_sort_block_merge_implIS3_PlPS5_mZN2at6native12_GLOBAL__N_124unique_dim_cuda_templateIsEESt5tupleIJNSA_6TensorESF_SF_EERKSF_lbbbEUlllE_EE10hipError_tT0_T1_T2_jT3_P12ihipStream_tbPNSt15iterator_traitsISL_E10value_typeEPNSR_ISM_E10value_typeEPSN_NS1_7vsmem_tEENKUlT_SL_SM_SN_E_clIS8_S8_S9_S9_EESK_S10_SL_SM_SN_EUlS10_E_NS1_11comp_targetILNS1_3genE3ELNS1_11target_archE908ELNS1_3gpuE7ELNS1_3repE0EEENS1_48merge_mergepath_partition_config_static_selectorELNS0_4arch9wavefront6targetE0EEEvSM_: ; @_ZN7rocprim17ROCPRIM_400000_NS6detail17trampoline_kernelINS0_14default_configENS1_38merge_sort_block_merge_config_selectorIlNS0_10empty_typeEEEZZNS1_27merge_sort_block_merge_implIS3_PlPS5_mZN2at6native12_GLOBAL__N_124unique_dim_cuda_templateIsEESt5tupleIJNSA_6TensorESF_SF_EERKSF_lbbbEUlllE_EE10hipError_tT0_T1_T2_jT3_P12ihipStream_tbPNSt15iterator_traitsISL_E10value_typeEPNSR_ISM_E10value_typeEPSN_NS1_7vsmem_tEENKUlT_SL_SM_SN_E_clIS8_S8_S9_S9_EESK_S10_SL_SM_SN_EUlS10_E_NS1_11comp_targetILNS1_3genE3ELNS1_11target_archE908ELNS1_3gpuE7ELNS1_3repE0EEENS1_48merge_mergepath_partition_config_static_selectorELNS0_4arch9wavefront6targetE0EEEvSM_
; %bb.0:
	.section	.rodata,"a",@progbits
	.p2align	6, 0x0
	.amdhsa_kernel _ZN7rocprim17ROCPRIM_400000_NS6detail17trampoline_kernelINS0_14default_configENS1_38merge_sort_block_merge_config_selectorIlNS0_10empty_typeEEEZZNS1_27merge_sort_block_merge_implIS3_PlPS5_mZN2at6native12_GLOBAL__N_124unique_dim_cuda_templateIsEESt5tupleIJNSA_6TensorESF_SF_EERKSF_lbbbEUlllE_EE10hipError_tT0_T1_T2_jT3_P12ihipStream_tbPNSt15iterator_traitsISL_E10value_typeEPNSR_ISM_E10value_typeEPSN_NS1_7vsmem_tEENKUlT_SL_SM_SN_E_clIS8_S8_S9_S9_EESK_S10_SL_SM_SN_EUlS10_E_NS1_11comp_targetILNS1_3genE3ELNS1_11target_archE908ELNS1_3gpuE7ELNS1_3repE0EEENS1_48merge_mergepath_partition_config_static_selectorELNS0_4arch9wavefront6targetE0EEEvSM_
		.amdhsa_group_segment_fixed_size 0
		.amdhsa_private_segment_fixed_size 0
		.amdhsa_kernarg_size 56
		.amdhsa_user_sgpr_count 2
		.amdhsa_user_sgpr_dispatch_ptr 0
		.amdhsa_user_sgpr_queue_ptr 0
		.amdhsa_user_sgpr_kernarg_segment_ptr 1
		.amdhsa_user_sgpr_dispatch_id 0
		.amdhsa_user_sgpr_kernarg_preload_length 0
		.amdhsa_user_sgpr_kernarg_preload_offset 0
		.amdhsa_user_sgpr_private_segment_size 0
		.amdhsa_wavefront_size32 1
		.amdhsa_uses_dynamic_stack 0
		.amdhsa_enable_private_segment 0
		.amdhsa_system_sgpr_workgroup_id_x 1
		.amdhsa_system_sgpr_workgroup_id_y 0
		.amdhsa_system_sgpr_workgroup_id_z 0
		.amdhsa_system_sgpr_workgroup_info 0
		.amdhsa_system_vgpr_workitem_id 0
		.amdhsa_next_free_vgpr 1
		.amdhsa_next_free_sgpr 1
		.amdhsa_named_barrier_count 0
		.amdhsa_reserve_vcc 0
		.amdhsa_float_round_mode_32 0
		.amdhsa_float_round_mode_16_64 0
		.amdhsa_float_denorm_mode_32 3
		.amdhsa_float_denorm_mode_16_64 3
		.amdhsa_fp16_overflow 0
		.amdhsa_memory_ordered 1
		.amdhsa_forward_progress 1
		.amdhsa_inst_pref_size 0
		.amdhsa_round_robin_scheduling 0
		.amdhsa_exception_fp_ieee_invalid_op 0
		.amdhsa_exception_fp_denorm_src 0
		.amdhsa_exception_fp_ieee_div_zero 0
		.amdhsa_exception_fp_ieee_overflow 0
		.amdhsa_exception_fp_ieee_underflow 0
		.amdhsa_exception_fp_ieee_inexact 0
		.amdhsa_exception_int_div_zero 0
	.end_amdhsa_kernel
	.section	.text._ZN7rocprim17ROCPRIM_400000_NS6detail17trampoline_kernelINS0_14default_configENS1_38merge_sort_block_merge_config_selectorIlNS0_10empty_typeEEEZZNS1_27merge_sort_block_merge_implIS3_PlPS5_mZN2at6native12_GLOBAL__N_124unique_dim_cuda_templateIsEESt5tupleIJNSA_6TensorESF_SF_EERKSF_lbbbEUlllE_EE10hipError_tT0_T1_T2_jT3_P12ihipStream_tbPNSt15iterator_traitsISL_E10value_typeEPNSR_ISM_E10value_typeEPSN_NS1_7vsmem_tEENKUlT_SL_SM_SN_E_clIS8_S8_S9_S9_EESK_S10_SL_SM_SN_EUlS10_E_NS1_11comp_targetILNS1_3genE3ELNS1_11target_archE908ELNS1_3gpuE7ELNS1_3repE0EEENS1_48merge_mergepath_partition_config_static_selectorELNS0_4arch9wavefront6targetE0EEEvSM_,"axG",@progbits,_ZN7rocprim17ROCPRIM_400000_NS6detail17trampoline_kernelINS0_14default_configENS1_38merge_sort_block_merge_config_selectorIlNS0_10empty_typeEEEZZNS1_27merge_sort_block_merge_implIS3_PlPS5_mZN2at6native12_GLOBAL__N_124unique_dim_cuda_templateIsEESt5tupleIJNSA_6TensorESF_SF_EERKSF_lbbbEUlllE_EE10hipError_tT0_T1_T2_jT3_P12ihipStream_tbPNSt15iterator_traitsISL_E10value_typeEPNSR_ISM_E10value_typeEPSN_NS1_7vsmem_tEENKUlT_SL_SM_SN_E_clIS8_S8_S9_S9_EESK_S10_SL_SM_SN_EUlS10_E_NS1_11comp_targetILNS1_3genE3ELNS1_11target_archE908ELNS1_3gpuE7ELNS1_3repE0EEENS1_48merge_mergepath_partition_config_static_selectorELNS0_4arch9wavefront6targetE0EEEvSM_,comdat
.Lfunc_end640:
	.size	_ZN7rocprim17ROCPRIM_400000_NS6detail17trampoline_kernelINS0_14default_configENS1_38merge_sort_block_merge_config_selectorIlNS0_10empty_typeEEEZZNS1_27merge_sort_block_merge_implIS3_PlPS5_mZN2at6native12_GLOBAL__N_124unique_dim_cuda_templateIsEESt5tupleIJNSA_6TensorESF_SF_EERKSF_lbbbEUlllE_EE10hipError_tT0_T1_T2_jT3_P12ihipStream_tbPNSt15iterator_traitsISL_E10value_typeEPNSR_ISM_E10value_typeEPSN_NS1_7vsmem_tEENKUlT_SL_SM_SN_E_clIS8_S8_S9_S9_EESK_S10_SL_SM_SN_EUlS10_E_NS1_11comp_targetILNS1_3genE3ELNS1_11target_archE908ELNS1_3gpuE7ELNS1_3repE0EEENS1_48merge_mergepath_partition_config_static_selectorELNS0_4arch9wavefront6targetE0EEEvSM_, .Lfunc_end640-_ZN7rocprim17ROCPRIM_400000_NS6detail17trampoline_kernelINS0_14default_configENS1_38merge_sort_block_merge_config_selectorIlNS0_10empty_typeEEEZZNS1_27merge_sort_block_merge_implIS3_PlPS5_mZN2at6native12_GLOBAL__N_124unique_dim_cuda_templateIsEESt5tupleIJNSA_6TensorESF_SF_EERKSF_lbbbEUlllE_EE10hipError_tT0_T1_T2_jT3_P12ihipStream_tbPNSt15iterator_traitsISL_E10value_typeEPNSR_ISM_E10value_typeEPSN_NS1_7vsmem_tEENKUlT_SL_SM_SN_E_clIS8_S8_S9_S9_EESK_S10_SL_SM_SN_EUlS10_E_NS1_11comp_targetILNS1_3genE3ELNS1_11target_archE908ELNS1_3gpuE7ELNS1_3repE0EEENS1_48merge_mergepath_partition_config_static_selectorELNS0_4arch9wavefront6targetE0EEEvSM_
                                        ; -- End function
	.set _ZN7rocprim17ROCPRIM_400000_NS6detail17trampoline_kernelINS0_14default_configENS1_38merge_sort_block_merge_config_selectorIlNS0_10empty_typeEEEZZNS1_27merge_sort_block_merge_implIS3_PlPS5_mZN2at6native12_GLOBAL__N_124unique_dim_cuda_templateIsEESt5tupleIJNSA_6TensorESF_SF_EERKSF_lbbbEUlllE_EE10hipError_tT0_T1_T2_jT3_P12ihipStream_tbPNSt15iterator_traitsISL_E10value_typeEPNSR_ISM_E10value_typeEPSN_NS1_7vsmem_tEENKUlT_SL_SM_SN_E_clIS8_S8_S9_S9_EESK_S10_SL_SM_SN_EUlS10_E_NS1_11comp_targetILNS1_3genE3ELNS1_11target_archE908ELNS1_3gpuE7ELNS1_3repE0EEENS1_48merge_mergepath_partition_config_static_selectorELNS0_4arch9wavefront6targetE0EEEvSM_.num_vgpr, 0
	.set _ZN7rocprim17ROCPRIM_400000_NS6detail17trampoline_kernelINS0_14default_configENS1_38merge_sort_block_merge_config_selectorIlNS0_10empty_typeEEEZZNS1_27merge_sort_block_merge_implIS3_PlPS5_mZN2at6native12_GLOBAL__N_124unique_dim_cuda_templateIsEESt5tupleIJNSA_6TensorESF_SF_EERKSF_lbbbEUlllE_EE10hipError_tT0_T1_T2_jT3_P12ihipStream_tbPNSt15iterator_traitsISL_E10value_typeEPNSR_ISM_E10value_typeEPSN_NS1_7vsmem_tEENKUlT_SL_SM_SN_E_clIS8_S8_S9_S9_EESK_S10_SL_SM_SN_EUlS10_E_NS1_11comp_targetILNS1_3genE3ELNS1_11target_archE908ELNS1_3gpuE7ELNS1_3repE0EEENS1_48merge_mergepath_partition_config_static_selectorELNS0_4arch9wavefront6targetE0EEEvSM_.num_agpr, 0
	.set _ZN7rocprim17ROCPRIM_400000_NS6detail17trampoline_kernelINS0_14default_configENS1_38merge_sort_block_merge_config_selectorIlNS0_10empty_typeEEEZZNS1_27merge_sort_block_merge_implIS3_PlPS5_mZN2at6native12_GLOBAL__N_124unique_dim_cuda_templateIsEESt5tupleIJNSA_6TensorESF_SF_EERKSF_lbbbEUlllE_EE10hipError_tT0_T1_T2_jT3_P12ihipStream_tbPNSt15iterator_traitsISL_E10value_typeEPNSR_ISM_E10value_typeEPSN_NS1_7vsmem_tEENKUlT_SL_SM_SN_E_clIS8_S8_S9_S9_EESK_S10_SL_SM_SN_EUlS10_E_NS1_11comp_targetILNS1_3genE3ELNS1_11target_archE908ELNS1_3gpuE7ELNS1_3repE0EEENS1_48merge_mergepath_partition_config_static_selectorELNS0_4arch9wavefront6targetE0EEEvSM_.numbered_sgpr, 0
	.set _ZN7rocprim17ROCPRIM_400000_NS6detail17trampoline_kernelINS0_14default_configENS1_38merge_sort_block_merge_config_selectorIlNS0_10empty_typeEEEZZNS1_27merge_sort_block_merge_implIS3_PlPS5_mZN2at6native12_GLOBAL__N_124unique_dim_cuda_templateIsEESt5tupleIJNSA_6TensorESF_SF_EERKSF_lbbbEUlllE_EE10hipError_tT0_T1_T2_jT3_P12ihipStream_tbPNSt15iterator_traitsISL_E10value_typeEPNSR_ISM_E10value_typeEPSN_NS1_7vsmem_tEENKUlT_SL_SM_SN_E_clIS8_S8_S9_S9_EESK_S10_SL_SM_SN_EUlS10_E_NS1_11comp_targetILNS1_3genE3ELNS1_11target_archE908ELNS1_3gpuE7ELNS1_3repE0EEENS1_48merge_mergepath_partition_config_static_selectorELNS0_4arch9wavefront6targetE0EEEvSM_.num_named_barrier, 0
	.set _ZN7rocprim17ROCPRIM_400000_NS6detail17trampoline_kernelINS0_14default_configENS1_38merge_sort_block_merge_config_selectorIlNS0_10empty_typeEEEZZNS1_27merge_sort_block_merge_implIS3_PlPS5_mZN2at6native12_GLOBAL__N_124unique_dim_cuda_templateIsEESt5tupleIJNSA_6TensorESF_SF_EERKSF_lbbbEUlllE_EE10hipError_tT0_T1_T2_jT3_P12ihipStream_tbPNSt15iterator_traitsISL_E10value_typeEPNSR_ISM_E10value_typeEPSN_NS1_7vsmem_tEENKUlT_SL_SM_SN_E_clIS8_S8_S9_S9_EESK_S10_SL_SM_SN_EUlS10_E_NS1_11comp_targetILNS1_3genE3ELNS1_11target_archE908ELNS1_3gpuE7ELNS1_3repE0EEENS1_48merge_mergepath_partition_config_static_selectorELNS0_4arch9wavefront6targetE0EEEvSM_.private_seg_size, 0
	.set _ZN7rocprim17ROCPRIM_400000_NS6detail17trampoline_kernelINS0_14default_configENS1_38merge_sort_block_merge_config_selectorIlNS0_10empty_typeEEEZZNS1_27merge_sort_block_merge_implIS3_PlPS5_mZN2at6native12_GLOBAL__N_124unique_dim_cuda_templateIsEESt5tupleIJNSA_6TensorESF_SF_EERKSF_lbbbEUlllE_EE10hipError_tT0_T1_T2_jT3_P12ihipStream_tbPNSt15iterator_traitsISL_E10value_typeEPNSR_ISM_E10value_typeEPSN_NS1_7vsmem_tEENKUlT_SL_SM_SN_E_clIS8_S8_S9_S9_EESK_S10_SL_SM_SN_EUlS10_E_NS1_11comp_targetILNS1_3genE3ELNS1_11target_archE908ELNS1_3gpuE7ELNS1_3repE0EEENS1_48merge_mergepath_partition_config_static_selectorELNS0_4arch9wavefront6targetE0EEEvSM_.uses_vcc, 0
	.set _ZN7rocprim17ROCPRIM_400000_NS6detail17trampoline_kernelINS0_14default_configENS1_38merge_sort_block_merge_config_selectorIlNS0_10empty_typeEEEZZNS1_27merge_sort_block_merge_implIS3_PlPS5_mZN2at6native12_GLOBAL__N_124unique_dim_cuda_templateIsEESt5tupleIJNSA_6TensorESF_SF_EERKSF_lbbbEUlllE_EE10hipError_tT0_T1_T2_jT3_P12ihipStream_tbPNSt15iterator_traitsISL_E10value_typeEPNSR_ISM_E10value_typeEPSN_NS1_7vsmem_tEENKUlT_SL_SM_SN_E_clIS8_S8_S9_S9_EESK_S10_SL_SM_SN_EUlS10_E_NS1_11comp_targetILNS1_3genE3ELNS1_11target_archE908ELNS1_3gpuE7ELNS1_3repE0EEENS1_48merge_mergepath_partition_config_static_selectorELNS0_4arch9wavefront6targetE0EEEvSM_.uses_flat_scratch, 0
	.set _ZN7rocprim17ROCPRIM_400000_NS6detail17trampoline_kernelINS0_14default_configENS1_38merge_sort_block_merge_config_selectorIlNS0_10empty_typeEEEZZNS1_27merge_sort_block_merge_implIS3_PlPS5_mZN2at6native12_GLOBAL__N_124unique_dim_cuda_templateIsEESt5tupleIJNSA_6TensorESF_SF_EERKSF_lbbbEUlllE_EE10hipError_tT0_T1_T2_jT3_P12ihipStream_tbPNSt15iterator_traitsISL_E10value_typeEPNSR_ISM_E10value_typeEPSN_NS1_7vsmem_tEENKUlT_SL_SM_SN_E_clIS8_S8_S9_S9_EESK_S10_SL_SM_SN_EUlS10_E_NS1_11comp_targetILNS1_3genE3ELNS1_11target_archE908ELNS1_3gpuE7ELNS1_3repE0EEENS1_48merge_mergepath_partition_config_static_selectorELNS0_4arch9wavefront6targetE0EEEvSM_.has_dyn_sized_stack, 0
	.set _ZN7rocprim17ROCPRIM_400000_NS6detail17trampoline_kernelINS0_14default_configENS1_38merge_sort_block_merge_config_selectorIlNS0_10empty_typeEEEZZNS1_27merge_sort_block_merge_implIS3_PlPS5_mZN2at6native12_GLOBAL__N_124unique_dim_cuda_templateIsEESt5tupleIJNSA_6TensorESF_SF_EERKSF_lbbbEUlllE_EE10hipError_tT0_T1_T2_jT3_P12ihipStream_tbPNSt15iterator_traitsISL_E10value_typeEPNSR_ISM_E10value_typeEPSN_NS1_7vsmem_tEENKUlT_SL_SM_SN_E_clIS8_S8_S9_S9_EESK_S10_SL_SM_SN_EUlS10_E_NS1_11comp_targetILNS1_3genE3ELNS1_11target_archE908ELNS1_3gpuE7ELNS1_3repE0EEENS1_48merge_mergepath_partition_config_static_selectorELNS0_4arch9wavefront6targetE0EEEvSM_.has_recursion, 0
	.set _ZN7rocprim17ROCPRIM_400000_NS6detail17trampoline_kernelINS0_14default_configENS1_38merge_sort_block_merge_config_selectorIlNS0_10empty_typeEEEZZNS1_27merge_sort_block_merge_implIS3_PlPS5_mZN2at6native12_GLOBAL__N_124unique_dim_cuda_templateIsEESt5tupleIJNSA_6TensorESF_SF_EERKSF_lbbbEUlllE_EE10hipError_tT0_T1_T2_jT3_P12ihipStream_tbPNSt15iterator_traitsISL_E10value_typeEPNSR_ISM_E10value_typeEPSN_NS1_7vsmem_tEENKUlT_SL_SM_SN_E_clIS8_S8_S9_S9_EESK_S10_SL_SM_SN_EUlS10_E_NS1_11comp_targetILNS1_3genE3ELNS1_11target_archE908ELNS1_3gpuE7ELNS1_3repE0EEENS1_48merge_mergepath_partition_config_static_selectorELNS0_4arch9wavefront6targetE0EEEvSM_.has_indirect_call, 0
	.section	.AMDGPU.csdata,"",@progbits
; Kernel info:
; codeLenInByte = 0
; TotalNumSgprs: 0
; NumVgprs: 0
; ScratchSize: 0
; MemoryBound: 0
; FloatMode: 240
; IeeeMode: 1
; LDSByteSize: 0 bytes/workgroup (compile time only)
; SGPRBlocks: 0
; VGPRBlocks: 0
; NumSGPRsForWavesPerEU: 1
; NumVGPRsForWavesPerEU: 1
; NamedBarCnt: 0
; Occupancy: 16
; WaveLimiterHint : 0
; COMPUTE_PGM_RSRC2:SCRATCH_EN: 0
; COMPUTE_PGM_RSRC2:USER_SGPR: 2
; COMPUTE_PGM_RSRC2:TRAP_HANDLER: 0
; COMPUTE_PGM_RSRC2:TGID_X_EN: 1
; COMPUTE_PGM_RSRC2:TGID_Y_EN: 0
; COMPUTE_PGM_RSRC2:TGID_Z_EN: 0
; COMPUTE_PGM_RSRC2:TIDIG_COMP_CNT: 0
	.section	.text._ZN7rocprim17ROCPRIM_400000_NS6detail17trampoline_kernelINS0_14default_configENS1_38merge_sort_block_merge_config_selectorIlNS0_10empty_typeEEEZZNS1_27merge_sort_block_merge_implIS3_PlPS5_mZN2at6native12_GLOBAL__N_124unique_dim_cuda_templateIsEESt5tupleIJNSA_6TensorESF_SF_EERKSF_lbbbEUlllE_EE10hipError_tT0_T1_T2_jT3_P12ihipStream_tbPNSt15iterator_traitsISL_E10value_typeEPNSR_ISM_E10value_typeEPSN_NS1_7vsmem_tEENKUlT_SL_SM_SN_E_clIS8_S8_S9_S9_EESK_S10_SL_SM_SN_EUlS10_E_NS1_11comp_targetILNS1_3genE2ELNS1_11target_archE906ELNS1_3gpuE6ELNS1_3repE0EEENS1_48merge_mergepath_partition_config_static_selectorELNS0_4arch9wavefront6targetE0EEEvSM_,"axG",@progbits,_ZN7rocprim17ROCPRIM_400000_NS6detail17trampoline_kernelINS0_14default_configENS1_38merge_sort_block_merge_config_selectorIlNS0_10empty_typeEEEZZNS1_27merge_sort_block_merge_implIS3_PlPS5_mZN2at6native12_GLOBAL__N_124unique_dim_cuda_templateIsEESt5tupleIJNSA_6TensorESF_SF_EERKSF_lbbbEUlllE_EE10hipError_tT0_T1_T2_jT3_P12ihipStream_tbPNSt15iterator_traitsISL_E10value_typeEPNSR_ISM_E10value_typeEPSN_NS1_7vsmem_tEENKUlT_SL_SM_SN_E_clIS8_S8_S9_S9_EESK_S10_SL_SM_SN_EUlS10_E_NS1_11comp_targetILNS1_3genE2ELNS1_11target_archE906ELNS1_3gpuE6ELNS1_3repE0EEENS1_48merge_mergepath_partition_config_static_selectorELNS0_4arch9wavefront6targetE0EEEvSM_,comdat
	.globl	_ZN7rocprim17ROCPRIM_400000_NS6detail17trampoline_kernelINS0_14default_configENS1_38merge_sort_block_merge_config_selectorIlNS0_10empty_typeEEEZZNS1_27merge_sort_block_merge_implIS3_PlPS5_mZN2at6native12_GLOBAL__N_124unique_dim_cuda_templateIsEESt5tupleIJNSA_6TensorESF_SF_EERKSF_lbbbEUlllE_EE10hipError_tT0_T1_T2_jT3_P12ihipStream_tbPNSt15iterator_traitsISL_E10value_typeEPNSR_ISM_E10value_typeEPSN_NS1_7vsmem_tEENKUlT_SL_SM_SN_E_clIS8_S8_S9_S9_EESK_S10_SL_SM_SN_EUlS10_E_NS1_11comp_targetILNS1_3genE2ELNS1_11target_archE906ELNS1_3gpuE6ELNS1_3repE0EEENS1_48merge_mergepath_partition_config_static_selectorELNS0_4arch9wavefront6targetE0EEEvSM_ ; -- Begin function _ZN7rocprim17ROCPRIM_400000_NS6detail17trampoline_kernelINS0_14default_configENS1_38merge_sort_block_merge_config_selectorIlNS0_10empty_typeEEEZZNS1_27merge_sort_block_merge_implIS3_PlPS5_mZN2at6native12_GLOBAL__N_124unique_dim_cuda_templateIsEESt5tupleIJNSA_6TensorESF_SF_EERKSF_lbbbEUlllE_EE10hipError_tT0_T1_T2_jT3_P12ihipStream_tbPNSt15iterator_traitsISL_E10value_typeEPNSR_ISM_E10value_typeEPSN_NS1_7vsmem_tEENKUlT_SL_SM_SN_E_clIS8_S8_S9_S9_EESK_S10_SL_SM_SN_EUlS10_E_NS1_11comp_targetILNS1_3genE2ELNS1_11target_archE906ELNS1_3gpuE6ELNS1_3repE0EEENS1_48merge_mergepath_partition_config_static_selectorELNS0_4arch9wavefront6targetE0EEEvSM_
	.p2align	8
	.type	_ZN7rocprim17ROCPRIM_400000_NS6detail17trampoline_kernelINS0_14default_configENS1_38merge_sort_block_merge_config_selectorIlNS0_10empty_typeEEEZZNS1_27merge_sort_block_merge_implIS3_PlPS5_mZN2at6native12_GLOBAL__N_124unique_dim_cuda_templateIsEESt5tupleIJNSA_6TensorESF_SF_EERKSF_lbbbEUlllE_EE10hipError_tT0_T1_T2_jT3_P12ihipStream_tbPNSt15iterator_traitsISL_E10value_typeEPNSR_ISM_E10value_typeEPSN_NS1_7vsmem_tEENKUlT_SL_SM_SN_E_clIS8_S8_S9_S9_EESK_S10_SL_SM_SN_EUlS10_E_NS1_11comp_targetILNS1_3genE2ELNS1_11target_archE906ELNS1_3gpuE6ELNS1_3repE0EEENS1_48merge_mergepath_partition_config_static_selectorELNS0_4arch9wavefront6targetE0EEEvSM_,@function
_ZN7rocprim17ROCPRIM_400000_NS6detail17trampoline_kernelINS0_14default_configENS1_38merge_sort_block_merge_config_selectorIlNS0_10empty_typeEEEZZNS1_27merge_sort_block_merge_implIS3_PlPS5_mZN2at6native12_GLOBAL__N_124unique_dim_cuda_templateIsEESt5tupleIJNSA_6TensorESF_SF_EERKSF_lbbbEUlllE_EE10hipError_tT0_T1_T2_jT3_P12ihipStream_tbPNSt15iterator_traitsISL_E10value_typeEPNSR_ISM_E10value_typeEPSN_NS1_7vsmem_tEENKUlT_SL_SM_SN_E_clIS8_S8_S9_S9_EESK_S10_SL_SM_SN_EUlS10_E_NS1_11comp_targetILNS1_3genE2ELNS1_11target_archE906ELNS1_3gpuE6ELNS1_3repE0EEENS1_48merge_mergepath_partition_config_static_selectorELNS0_4arch9wavefront6targetE0EEEvSM_: ; @_ZN7rocprim17ROCPRIM_400000_NS6detail17trampoline_kernelINS0_14default_configENS1_38merge_sort_block_merge_config_selectorIlNS0_10empty_typeEEEZZNS1_27merge_sort_block_merge_implIS3_PlPS5_mZN2at6native12_GLOBAL__N_124unique_dim_cuda_templateIsEESt5tupleIJNSA_6TensorESF_SF_EERKSF_lbbbEUlllE_EE10hipError_tT0_T1_T2_jT3_P12ihipStream_tbPNSt15iterator_traitsISL_E10value_typeEPNSR_ISM_E10value_typeEPSN_NS1_7vsmem_tEENKUlT_SL_SM_SN_E_clIS8_S8_S9_S9_EESK_S10_SL_SM_SN_EUlS10_E_NS1_11comp_targetILNS1_3genE2ELNS1_11target_archE906ELNS1_3gpuE6ELNS1_3repE0EEENS1_48merge_mergepath_partition_config_static_selectorELNS0_4arch9wavefront6targetE0EEEvSM_
; %bb.0:
	.section	.rodata,"a",@progbits
	.p2align	6, 0x0
	.amdhsa_kernel _ZN7rocprim17ROCPRIM_400000_NS6detail17trampoline_kernelINS0_14default_configENS1_38merge_sort_block_merge_config_selectorIlNS0_10empty_typeEEEZZNS1_27merge_sort_block_merge_implIS3_PlPS5_mZN2at6native12_GLOBAL__N_124unique_dim_cuda_templateIsEESt5tupleIJNSA_6TensorESF_SF_EERKSF_lbbbEUlllE_EE10hipError_tT0_T1_T2_jT3_P12ihipStream_tbPNSt15iterator_traitsISL_E10value_typeEPNSR_ISM_E10value_typeEPSN_NS1_7vsmem_tEENKUlT_SL_SM_SN_E_clIS8_S8_S9_S9_EESK_S10_SL_SM_SN_EUlS10_E_NS1_11comp_targetILNS1_3genE2ELNS1_11target_archE906ELNS1_3gpuE6ELNS1_3repE0EEENS1_48merge_mergepath_partition_config_static_selectorELNS0_4arch9wavefront6targetE0EEEvSM_
		.amdhsa_group_segment_fixed_size 0
		.amdhsa_private_segment_fixed_size 0
		.amdhsa_kernarg_size 56
		.amdhsa_user_sgpr_count 2
		.amdhsa_user_sgpr_dispatch_ptr 0
		.amdhsa_user_sgpr_queue_ptr 0
		.amdhsa_user_sgpr_kernarg_segment_ptr 1
		.amdhsa_user_sgpr_dispatch_id 0
		.amdhsa_user_sgpr_kernarg_preload_length 0
		.amdhsa_user_sgpr_kernarg_preload_offset 0
		.amdhsa_user_sgpr_private_segment_size 0
		.amdhsa_wavefront_size32 1
		.amdhsa_uses_dynamic_stack 0
		.amdhsa_enable_private_segment 0
		.amdhsa_system_sgpr_workgroup_id_x 1
		.amdhsa_system_sgpr_workgroup_id_y 0
		.amdhsa_system_sgpr_workgroup_id_z 0
		.amdhsa_system_sgpr_workgroup_info 0
		.amdhsa_system_vgpr_workitem_id 0
		.amdhsa_next_free_vgpr 1
		.amdhsa_next_free_sgpr 1
		.amdhsa_named_barrier_count 0
		.amdhsa_reserve_vcc 0
		.amdhsa_float_round_mode_32 0
		.amdhsa_float_round_mode_16_64 0
		.amdhsa_float_denorm_mode_32 3
		.amdhsa_float_denorm_mode_16_64 3
		.amdhsa_fp16_overflow 0
		.amdhsa_memory_ordered 1
		.amdhsa_forward_progress 1
		.amdhsa_inst_pref_size 0
		.amdhsa_round_robin_scheduling 0
		.amdhsa_exception_fp_ieee_invalid_op 0
		.amdhsa_exception_fp_denorm_src 0
		.amdhsa_exception_fp_ieee_div_zero 0
		.amdhsa_exception_fp_ieee_overflow 0
		.amdhsa_exception_fp_ieee_underflow 0
		.amdhsa_exception_fp_ieee_inexact 0
		.amdhsa_exception_int_div_zero 0
	.end_amdhsa_kernel
	.section	.text._ZN7rocprim17ROCPRIM_400000_NS6detail17trampoline_kernelINS0_14default_configENS1_38merge_sort_block_merge_config_selectorIlNS0_10empty_typeEEEZZNS1_27merge_sort_block_merge_implIS3_PlPS5_mZN2at6native12_GLOBAL__N_124unique_dim_cuda_templateIsEESt5tupleIJNSA_6TensorESF_SF_EERKSF_lbbbEUlllE_EE10hipError_tT0_T1_T2_jT3_P12ihipStream_tbPNSt15iterator_traitsISL_E10value_typeEPNSR_ISM_E10value_typeEPSN_NS1_7vsmem_tEENKUlT_SL_SM_SN_E_clIS8_S8_S9_S9_EESK_S10_SL_SM_SN_EUlS10_E_NS1_11comp_targetILNS1_3genE2ELNS1_11target_archE906ELNS1_3gpuE6ELNS1_3repE0EEENS1_48merge_mergepath_partition_config_static_selectorELNS0_4arch9wavefront6targetE0EEEvSM_,"axG",@progbits,_ZN7rocprim17ROCPRIM_400000_NS6detail17trampoline_kernelINS0_14default_configENS1_38merge_sort_block_merge_config_selectorIlNS0_10empty_typeEEEZZNS1_27merge_sort_block_merge_implIS3_PlPS5_mZN2at6native12_GLOBAL__N_124unique_dim_cuda_templateIsEESt5tupleIJNSA_6TensorESF_SF_EERKSF_lbbbEUlllE_EE10hipError_tT0_T1_T2_jT3_P12ihipStream_tbPNSt15iterator_traitsISL_E10value_typeEPNSR_ISM_E10value_typeEPSN_NS1_7vsmem_tEENKUlT_SL_SM_SN_E_clIS8_S8_S9_S9_EESK_S10_SL_SM_SN_EUlS10_E_NS1_11comp_targetILNS1_3genE2ELNS1_11target_archE906ELNS1_3gpuE6ELNS1_3repE0EEENS1_48merge_mergepath_partition_config_static_selectorELNS0_4arch9wavefront6targetE0EEEvSM_,comdat
.Lfunc_end641:
	.size	_ZN7rocprim17ROCPRIM_400000_NS6detail17trampoline_kernelINS0_14default_configENS1_38merge_sort_block_merge_config_selectorIlNS0_10empty_typeEEEZZNS1_27merge_sort_block_merge_implIS3_PlPS5_mZN2at6native12_GLOBAL__N_124unique_dim_cuda_templateIsEESt5tupleIJNSA_6TensorESF_SF_EERKSF_lbbbEUlllE_EE10hipError_tT0_T1_T2_jT3_P12ihipStream_tbPNSt15iterator_traitsISL_E10value_typeEPNSR_ISM_E10value_typeEPSN_NS1_7vsmem_tEENKUlT_SL_SM_SN_E_clIS8_S8_S9_S9_EESK_S10_SL_SM_SN_EUlS10_E_NS1_11comp_targetILNS1_3genE2ELNS1_11target_archE906ELNS1_3gpuE6ELNS1_3repE0EEENS1_48merge_mergepath_partition_config_static_selectorELNS0_4arch9wavefront6targetE0EEEvSM_, .Lfunc_end641-_ZN7rocprim17ROCPRIM_400000_NS6detail17trampoline_kernelINS0_14default_configENS1_38merge_sort_block_merge_config_selectorIlNS0_10empty_typeEEEZZNS1_27merge_sort_block_merge_implIS3_PlPS5_mZN2at6native12_GLOBAL__N_124unique_dim_cuda_templateIsEESt5tupleIJNSA_6TensorESF_SF_EERKSF_lbbbEUlllE_EE10hipError_tT0_T1_T2_jT3_P12ihipStream_tbPNSt15iterator_traitsISL_E10value_typeEPNSR_ISM_E10value_typeEPSN_NS1_7vsmem_tEENKUlT_SL_SM_SN_E_clIS8_S8_S9_S9_EESK_S10_SL_SM_SN_EUlS10_E_NS1_11comp_targetILNS1_3genE2ELNS1_11target_archE906ELNS1_3gpuE6ELNS1_3repE0EEENS1_48merge_mergepath_partition_config_static_selectorELNS0_4arch9wavefront6targetE0EEEvSM_
                                        ; -- End function
	.set _ZN7rocprim17ROCPRIM_400000_NS6detail17trampoline_kernelINS0_14default_configENS1_38merge_sort_block_merge_config_selectorIlNS0_10empty_typeEEEZZNS1_27merge_sort_block_merge_implIS3_PlPS5_mZN2at6native12_GLOBAL__N_124unique_dim_cuda_templateIsEESt5tupleIJNSA_6TensorESF_SF_EERKSF_lbbbEUlllE_EE10hipError_tT0_T1_T2_jT3_P12ihipStream_tbPNSt15iterator_traitsISL_E10value_typeEPNSR_ISM_E10value_typeEPSN_NS1_7vsmem_tEENKUlT_SL_SM_SN_E_clIS8_S8_S9_S9_EESK_S10_SL_SM_SN_EUlS10_E_NS1_11comp_targetILNS1_3genE2ELNS1_11target_archE906ELNS1_3gpuE6ELNS1_3repE0EEENS1_48merge_mergepath_partition_config_static_selectorELNS0_4arch9wavefront6targetE0EEEvSM_.num_vgpr, 0
	.set _ZN7rocprim17ROCPRIM_400000_NS6detail17trampoline_kernelINS0_14default_configENS1_38merge_sort_block_merge_config_selectorIlNS0_10empty_typeEEEZZNS1_27merge_sort_block_merge_implIS3_PlPS5_mZN2at6native12_GLOBAL__N_124unique_dim_cuda_templateIsEESt5tupleIJNSA_6TensorESF_SF_EERKSF_lbbbEUlllE_EE10hipError_tT0_T1_T2_jT3_P12ihipStream_tbPNSt15iterator_traitsISL_E10value_typeEPNSR_ISM_E10value_typeEPSN_NS1_7vsmem_tEENKUlT_SL_SM_SN_E_clIS8_S8_S9_S9_EESK_S10_SL_SM_SN_EUlS10_E_NS1_11comp_targetILNS1_3genE2ELNS1_11target_archE906ELNS1_3gpuE6ELNS1_3repE0EEENS1_48merge_mergepath_partition_config_static_selectorELNS0_4arch9wavefront6targetE0EEEvSM_.num_agpr, 0
	.set _ZN7rocprim17ROCPRIM_400000_NS6detail17trampoline_kernelINS0_14default_configENS1_38merge_sort_block_merge_config_selectorIlNS0_10empty_typeEEEZZNS1_27merge_sort_block_merge_implIS3_PlPS5_mZN2at6native12_GLOBAL__N_124unique_dim_cuda_templateIsEESt5tupleIJNSA_6TensorESF_SF_EERKSF_lbbbEUlllE_EE10hipError_tT0_T1_T2_jT3_P12ihipStream_tbPNSt15iterator_traitsISL_E10value_typeEPNSR_ISM_E10value_typeEPSN_NS1_7vsmem_tEENKUlT_SL_SM_SN_E_clIS8_S8_S9_S9_EESK_S10_SL_SM_SN_EUlS10_E_NS1_11comp_targetILNS1_3genE2ELNS1_11target_archE906ELNS1_3gpuE6ELNS1_3repE0EEENS1_48merge_mergepath_partition_config_static_selectorELNS0_4arch9wavefront6targetE0EEEvSM_.numbered_sgpr, 0
	.set _ZN7rocprim17ROCPRIM_400000_NS6detail17trampoline_kernelINS0_14default_configENS1_38merge_sort_block_merge_config_selectorIlNS0_10empty_typeEEEZZNS1_27merge_sort_block_merge_implIS3_PlPS5_mZN2at6native12_GLOBAL__N_124unique_dim_cuda_templateIsEESt5tupleIJNSA_6TensorESF_SF_EERKSF_lbbbEUlllE_EE10hipError_tT0_T1_T2_jT3_P12ihipStream_tbPNSt15iterator_traitsISL_E10value_typeEPNSR_ISM_E10value_typeEPSN_NS1_7vsmem_tEENKUlT_SL_SM_SN_E_clIS8_S8_S9_S9_EESK_S10_SL_SM_SN_EUlS10_E_NS1_11comp_targetILNS1_3genE2ELNS1_11target_archE906ELNS1_3gpuE6ELNS1_3repE0EEENS1_48merge_mergepath_partition_config_static_selectorELNS0_4arch9wavefront6targetE0EEEvSM_.num_named_barrier, 0
	.set _ZN7rocprim17ROCPRIM_400000_NS6detail17trampoline_kernelINS0_14default_configENS1_38merge_sort_block_merge_config_selectorIlNS0_10empty_typeEEEZZNS1_27merge_sort_block_merge_implIS3_PlPS5_mZN2at6native12_GLOBAL__N_124unique_dim_cuda_templateIsEESt5tupleIJNSA_6TensorESF_SF_EERKSF_lbbbEUlllE_EE10hipError_tT0_T1_T2_jT3_P12ihipStream_tbPNSt15iterator_traitsISL_E10value_typeEPNSR_ISM_E10value_typeEPSN_NS1_7vsmem_tEENKUlT_SL_SM_SN_E_clIS8_S8_S9_S9_EESK_S10_SL_SM_SN_EUlS10_E_NS1_11comp_targetILNS1_3genE2ELNS1_11target_archE906ELNS1_3gpuE6ELNS1_3repE0EEENS1_48merge_mergepath_partition_config_static_selectorELNS0_4arch9wavefront6targetE0EEEvSM_.private_seg_size, 0
	.set _ZN7rocprim17ROCPRIM_400000_NS6detail17trampoline_kernelINS0_14default_configENS1_38merge_sort_block_merge_config_selectorIlNS0_10empty_typeEEEZZNS1_27merge_sort_block_merge_implIS3_PlPS5_mZN2at6native12_GLOBAL__N_124unique_dim_cuda_templateIsEESt5tupleIJNSA_6TensorESF_SF_EERKSF_lbbbEUlllE_EE10hipError_tT0_T1_T2_jT3_P12ihipStream_tbPNSt15iterator_traitsISL_E10value_typeEPNSR_ISM_E10value_typeEPSN_NS1_7vsmem_tEENKUlT_SL_SM_SN_E_clIS8_S8_S9_S9_EESK_S10_SL_SM_SN_EUlS10_E_NS1_11comp_targetILNS1_3genE2ELNS1_11target_archE906ELNS1_3gpuE6ELNS1_3repE0EEENS1_48merge_mergepath_partition_config_static_selectorELNS0_4arch9wavefront6targetE0EEEvSM_.uses_vcc, 0
	.set _ZN7rocprim17ROCPRIM_400000_NS6detail17trampoline_kernelINS0_14default_configENS1_38merge_sort_block_merge_config_selectorIlNS0_10empty_typeEEEZZNS1_27merge_sort_block_merge_implIS3_PlPS5_mZN2at6native12_GLOBAL__N_124unique_dim_cuda_templateIsEESt5tupleIJNSA_6TensorESF_SF_EERKSF_lbbbEUlllE_EE10hipError_tT0_T1_T2_jT3_P12ihipStream_tbPNSt15iterator_traitsISL_E10value_typeEPNSR_ISM_E10value_typeEPSN_NS1_7vsmem_tEENKUlT_SL_SM_SN_E_clIS8_S8_S9_S9_EESK_S10_SL_SM_SN_EUlS10_E_NS1_11comp_targetILNS1_3genE2ELNS1_11target_archE906ELNS1_3gpuE6ELNS1_3repE0EEENS1_48merge_mergepath_partition_config_static_selectorELNS0_4arch9wavefront6targetE0EEEvSM_.uses_flat_scratch, 0
	.set _ZN7rocprim17ROCPRIM_400000_NS6detail17trampoline_kernelINS0_14default_configENS1_38merge_sort_block_merge_config_selectorIlNS0_10empty_typeEEEZZNS1_27merge_sort_block_merge_implIS3_PlPS5_mZN2at6native12_GLOBAL__N_124unique_dim_cuda_templateIsEESt5tupleIJNSA_6TensorESF_SF_EERKSF_lbbbEUlllE_EE10hipError_tT0_T1_T2_jT3_P12ihipStream_tbPNSt15iterator_traitsISL_E10value_typeEPNSR_ISM_E10value_typeEPSN_NS1_7vsmem_tEENKUlT_SL_SM_SN_E_clIS8_S8_S9_S9_EESK_S10_SL_SM_SN_EUlS10_E_NS1_11comp_targetILNS1_3genE2ELNS1_11target_archE906ELNS1_3gpuE6ELNS1_3repE0EEENS1_48merge_mergepath_partition_config_static_selectorELNS0_4arch9wavefront6targetE0EEEvSM_.has_dyn_sized_stack, 0
	.set _ZN7rocprim17ROCPRIM_400000_NS6detail17trampoline_kernelINS0_14default_configENS1_38merge_sort_block_merge_config_selectorIlNS0_10empty_typeEEEZZNS1_27merge_sort_block_merge_implIS3_PlPS5_mZN2at6native12_GLOBAL__N_124unique_dim_cuda_templateIsEESt5tupleIJNSA_6TensorESF_SF_EERKSF_lbbbEUlllE_EE10hipError_tT0_T1_T2_jT3_P12ihipStream_tbPNSt15iterator_traitsISL_E10value_typeEPNSR_ISM_E10value_typeEPSN_NS1_7vsmem_tEENKUlT_SL_SM_SN_E_clIS8_S8_S9_S9_EESK_S10_SL_SM_SN_EUlS10_E_NS1_11comp_targetILNS1_3genE2ELNS1_11target_archE906ELNS1_3gpuE6ELNS1_3repE0EEENS1_48merge_mergepath_partition_config_static_selectorELNS0_4arch9wavefront6targetE0EEEvSM_.has_recursion, 0
	.set _ZN7rocprim17ROCPRIM_400000_NS6detail17trampoline_kernelINS0_14default_configENS1_38merge_sort_block_merge_config_selectorIlNS0_10empty_typeEEEZZNS1_27merge_sort_block_merge_implIS3_PlPS5_mZN2at6native12_GLOBAL__N_124unique_dim_cuda_templateIsEESt5tupleIJNSA_6TensorESF_SF_EERKSF_lbbbEUlllE_EE10hipError_tT0_T1_T2_jT3_P12ihipStream_tbPNSt15iterator_traitsISL_E10value_typeEPNSR_ISM_E10value_typeEPSN_NS1_7vsmem_tEENKUlT_SL_SM_SN_E_clIS8_S8_S9_S9_EESK_S10_SL_SM_SN_EUlS10_E_NS1_11comp_targetILNS1_3genE2ELNS1_11target_archE906ELNS1_3gpuE6ELNS1_3repE0EEENS1_48merge_mergepath_partition_config_static_selectorELNS0_4arch9wavefront6targetE0EEEvSM_.has_indirect_call, 0
	.section	.AMDGPU.csdata,"",@progbits
; Kernel info:
; codeLenInByte = 0
; TotalNumSgprs: 0
; NumVgprs: 0
; ScratchSize: 0
; MemoryBound: 0
; FloatMode: 240
; IeeeMode: 1
; LDSByteSize: 0 bytes/workgroup (compile time only)
; SGPRBlocks: 0
; VGPRBlocks: 0
; NumSGPRsForWavesPerEU: 1
; NumVGPRsForWavesPerEU: 1
; NamedBarCnt: 0
; Occupancy: 16
; WaveLimiterHint : 0
; COMPUTE_PGM_RSRC2:SCRATCH_EN: 0
; COMPUTE_PGM_RSRC2:USER_SGPR: 2
; COMPUTE_PGM_RSRC2:TRAP_HANDLER: 0
; COMPUTE_PGM_RSRC2:TGID_X_EN: 1
; COMPUTE_PGM_RSRC2:TGID_Y_EN: 0
; COMPUTE_PGM_RSRC2:TGID_Z_EN: 0
; COMPUTE_PGM_RSRC2:TIDIG_COMP_CNT: 0
	.section	.text._ZN7rocprim17ROCPRIM_400000_NS6detail17trampoline_kernelINS0_14default_configENS1_38merge_sort_block_merge_config_selectorIlNS0_10empty_typeEEEZZNS1_27merge_sort_block_merge_implIS3_PlPS5_mZN2at6native12_GLOBAL__N_124unique_dim_cuda_templateIsEESt5tupleIJNSA_6TensorESF_SF_EERKSF_lbbbEUlllE_EE10hipError_tT0_T1_T2_jT3_P12ihipStream_tbPNSt15iterator_traitsISL_E10value_typeEPNSR_ISM_E10value_typeEPSN_NS1_7vsmem_tEENKUlT_SL_SM_SN_E_clIS8_S8_S9_S9_EESK_S10_SL_SM_SN_EUlS10_E_NS1_11comp_targetILNS1_3genE9ELNS1_11target_archE1100ELNS1_3gpuE3ELNS1_3repE0EEENS1_48merge_mergepath_partition_config_static_selectorELNS0_4arch9wavefront6targetE0EEEvSM_,"axG",@progbits,_ZN7rocprim17ROCPRIM_400000_NS6detail17trampoline_kernelINS0_14default_configENS1_38merge_sort_block_merge_config_selectorIlNS0_10empty_typeEEEZZNS1_27merge_sort_block_merge_implIS3_PlPS5_mZN2at6native12_GLOBAL__N_124unique_dim_cuda_templateIsEESt5tupleIJNSA_6TensorESF_SF_EERKSF_lbbbEUlllE_EE10hipError_tT0_T1_T2_jT3_P12ihipStream_tbPNSt15iterator_traitsISL_E10value_typeEPNSR_ISM_E10value_typeEPSN_NS1_7vsmem_tEENKUlT_SL_SM_SN_E_clIS8_S8_S9_S9_EESK_S10_SL_SM_SN_EUlS10_E_NS1_11comp_targetILNS1_3genE9ELNS1_11target_archE1100ELNS1_3gpuE3ELNS1_3repE0EEENS1_48merge_mergepath_partition_config_static_selectorELNS0_4arch9wavefront6targetE0EEEvSM_,comdat
	.globl	_ZN7rocprim17ROCPRIM_400000_NS6detail17trampoline_kernelINS0_14default_configENS1_38merge_sort_block_merge_config_selectorIlNS0_10empty_typeEEEZZNS1_27merge_sort_block_merge_implIS3_PlPS5_mZN2at6native12_GLOBAL__N_124unique_dim_cuda_templateIsEESt5tupleIJNSA_6TensorESF_SF_EERKSF_lbbbEUlllE_EE10hipError_tT0_T1_T2_jT3_P12ihipStream_tbPNSt15iterator_traitsISL_E10value_typeEPNSR_ISM_E10value_typeEPSN_NS1_7vsmem_tEENKUlT_SL_SM_SN_E_clIS8_S8_S9_S9_EESK_S10_SL_SM_SN_EUlS10_E_NS1_11comp_targetILNS1_3genE9ELNS1_11target_archE1100ELNS1_3gpuE3ELNS1_3repE0EEENS1_48merge_mergepath_partition_config_static_selectorELNS0_4arch9wavefront6targetE0EEEvSM_ ; -- Begin function _ZN7rocprim17ROCPRIM_400000_NS6detail17trampoline_kernelINS0_14default_configENS1_38merge_sort_block_merge_config_selectorIlNS0_10empty_typeEEEZZNS1_27merge_sort_block_merge_implIS3_PlPS5_mZN2at6native12_GLOBAL__N_124unique_dim_cuda_templateIsEESt5tupleIJNSA_6TensorESF_SF_EERKSF_lbbbEUlllE_EE10hipError_tT0_T1_T2_jT3_P12ihipStream_tbPNSt15iterator_traitsISL_E10value_typeEPNSR_ISM_E10value_typeEPSN_NS1_7vsmem_tEENKUlT_SL_SM_SN_E_clIS8_S8_S9_S9_EESK_S10_SL_SM_SN_EUlS10_E_NS1_11comp_targetILNS1_3genE9ELNS1_11target_archE1100ELNS1_3gpuE3ELNS1_3repE0EEENS1_48merge_mergepath_partition_config_static_selectorELNS0_4arch9wavefront6targetE0EEEvSM_
	.p2align	8
	.type	_ZN7rocprim17ROCPRIM_400000_NS6detail17trampoline_kernelINS0_14default_configENS1_38merge_sort_block_merge_config_selectorIlNS0_10empty_typeEEEZZNS1_27merge_sort_block_merge_implIS3_PlPS5_mZN2at6native12_GLOBAL__N_124unique_dim_cuda_templateIsEESt5tupleIJNSA_6TensorESF_SF_EERKSF_lbbbEUlllE_EE10hipError_tT0_T1_T2_jT3_P12ihipStream_tbPNSt15iterator_traitsISL_E10value_typeEPNSR_ISM_E10value_typeEPSN_NS1_7vsmem_tEENKUlT_SL_SM_SN_E_clIS8_S8_S9_S9_EESK_S10_SL_SM_SN_EUlS10_E_NS1_11comp_targetILNS1_3genE9ELNS1_11target_archE1100ELNS1_3gpuE3ELNS1_3repE0EEENS1_48merge_mergepath_partition_config_static_selectorELNS0_4arch9wavefront6targetE0EEEvSM_,@function
_ZN7rocprim17ROCPRIM_400000_NS6detail17trampoline_kernelINS0_14default_configENS1_38merge_sort_block_merge_config_selectorIlNS0_10empty_typeEEEZZNS1_27merge_sort_block_merge_implIS3_PlPS5_mZN2at6native12_GLOBAL__N_124unique_dim_cuda_templateIsEESt5tupleIJNSA_6TensorESF_SF_EERKSF_lbbbEUlllE_EE10hipError_tT0_T1_T2_jT3_P12ihipStream_tbPNSt15iterator_traitsISL_E10value_typeEPNSR_ISM_E10value_typeEPSN_NS1_7vsmem_tEENKUlT_SL_SM_SN_E_clIS8_S8_S9_S9_EESK_S10_SL_SM_SN_EUlS10_E_NS1_11comp_targetILNS1_3genE9ELNS1_11target_archE1100ELNS1_3gpuE3ELNS1_3repE0EEENS1_48merge_mergepath_partition_config_static_selectorELNS0_4arch9wavefront6targetE0EEEvSM_: ; @_ZN7rocprim17ROCPRIM_400000_NS6detail17trampoline_kernelINS0_14default_configENS1_38merge_sort_block_merge_config_selectorIlNS0_10empty_typeEEEZZNS1_27merge_sort_block_merge_implIS3_PlPS5_mZN2at6native12_GLOBAL__N_124unique_dim_cuda_templateIsEESt5tupleIJNSA_6TensorESF_SF_EERKSF_lbbbEUlllE_EE10hipError_tT0_T1_T2_jT3_P12ihipStream_tbPNSt15iterator_traitsISL_E10value_typeEPNSR_ISM_E10value_typeEPSN_NS1_7vsmem_tEENKUlT_SL_SM_SN_E_clIS8_S8_S9_S9_EESK_S10_SL_SM_SN_EUlS10_E_NS1_11comp_targetILNS1_3genE9ELNS1_11target_archE1100ELNS1_3gpuE3ELNS1_3repE0EEENS1_48merge_mergepath_partition_config_static_selectorELNS0_4arch9wavefront6targetE0EEEvSM_
; %bb.0:
	.section	.rodata,"a",@progbits
	.p2align	6, 0x0
	.amdhsa_kernel _ZN7rocprim17ROCPRIM_400000_NS6detail17trampoline_kernelINS0_14default_configENS1_38merge_sort_block_merge_config_selectorIlNS0_10empty_typeEEEZZNS1_27merge_sort_block_merge_implIS3_PlPS5_mZN2at6native12_GLOBAL__N_124unique_dim_cuda_templateIsEESt5tupleIJNSA_6TensorESF_SF_EERKSF_lbbbEUlllE_EE10hipError_tT0_T1_T2_jT3_P12ihipStream_tbPNSt15iterator_traitsISL_E10value_typeEPNSR_ISM_E10value_typeEPSN_NS1_7vsmem_tEENKUlT_SL_SM_SN_E_clIS8_S8_S9_S9_EESK_S10_SL_SM_SN_EUlS10_E_NS1_11comp_targetILNS1_3genE9ELNS1_11target_archE1100ELNS1_3gpuE3ELNS1_3repE0EEENS1_48merge_mergepath_partition_config_static_selectorELNS0_4arch9wavefront6targetE0EEEvSM_
		.amdhsa_group_segment_fixed_size 0
		.amdhsa_private_segment_fixed_size 0
		.amdhsa_kernarg_size 56
		.amdhsa_user_sgpr_count 2
		.amdhsa_user_sgpr_dispatch_ptr 0
		.amdhsa_user_sgpr_queue_ptr 0
		.amdhsa_user_sgpr_kernarg_segment_ptr 1
		.amdhsa_user_sgpr_dispatch_id 0
		.amdhsa_user_sgpr_kernarg_preload_length 0
		.amdhsa_user_sgpr_kernarg_preload_offset 0
		.amdhsa_user_sgpr_private_segment_size 0
		.amdhsa_wavefront_size32 1
		.amdhsa_uses_dynamic_stack 0
		.amdhsa_enable_private_segment 0
		.amdhsa_system_sgpr_workgroup_id_x 1
		.amdhsa_system_sgpr_workgroup_id_y 0
		.amdhsa_system_sgpr_workgroup_id_z 0
		.amdhsa_system_sgpr_workgroup_info 0
		.amdhsa_system_vgpr_workitem_id 0
		.amdhsa_next_free_vgpr 1
		.amdhsa_next_free_sgpr 1
		.amdhsa_named_barrier_count 0
		.amdhsa_reserve_vcc 0
		.amdhsa_float_round_mode_32 0
		.amdhsa_float_round_mode_16_64 0
		.amdhsa_float_denorm_mode_32 3
		.amdhsa_float_denorm_mode_16_64 3
		.amdhsa_fp16_overflow 0
		.amdhsa_memory_ordered 1
		.amdhsa_forward_progress 1
		.amdhsa_inst_pref_size 0
		.amdhsa_round_robin_scheduling 0
		.amdhsa_exception_fp_ieee_invalid_op 0
		.amdhsa_exception_fp_denorm_src 0
		.amdhsa_exception_fp_ieee_div_zero 0
		.amdhsa_exception_fp_ieee_overflow 0
		.amdhsa_exception_fp_ieee_underflow 0
		.amdhsa_exception_fp_ieee_inexact 0
		.amdhsa_exception_int_div_zero 0
	.end_amdhsa_kernel
	.section	.text._ZN7rocprim17ROCPRIM_400000_NS6detail17trampoline_kernelINS0_14default_configENS1_38merge_sort_block_merge_config_selectorIlNS0_10empty_typeEEEZZNS1_27merge_sort_block_merge_implIS3_PlPS5_mZN2at6native12_GLOBAL__N_124unique_dim_cuda_templateIsEESt5tupleIJNSA_6TensorESF_SF_EERKSF_lbbbEUlllE_EE10hipError_tT0_T1_T2_jT3_P12ihipStream_tbPNSt15iterator_traitsISL_E10value_typeEPNSR_ISM_E10value_typeEPSN_NS1_7vsmem_tEENKUlT_SL_SM_SN_E_clIS8_S8_S9_S9_EESK_S10_SL_SM_SN_EUlS10_E_NS1_11comp_targetILNS1_3genE9ELNS1_11target_archE1100ELNS1_3gpuE3ELNS1_3repE0EEENS1_48merge_mergepath_partition_config_static_selectorELNS0_4arch9wavefront6targetE0EEEvSM_,"axG",@progbits,_ZN7rocprim17ROCPRIM_400000_NS6detail17trampoline_kernelINS0_14default_configENS1_38merge_sort_block_merge_config_selectorIlNS0_10empty_typeEEEZZNS1_27merge_sort_block_merge_implIS3_PlPS5_mZN2at6native12_GLOBAL__N_124unique_dim_cuda_templateIsEESt5tupleIJNSA_6TensorESF_SF_EERKSF_lbbbEUlllE_EE10hipError_tT0_T1_T2_jT3_P12ihipStream_tbPNSt15iterator_traitsISL_E10value_typeEPNSR_ISM_E10value_typeEPSN_NS1_7vsmem_tEENKUlT_SL_SM_SN_E_clIS8_S8_S9_S9_EESK_S10_SL_SM_SN_EUlS10_E_NS1_11comp_targetILNS1_3genE9ELNS1_11target_archE1100ELNS1_3gpuE3ELNS1_3repE0EEENS1_48merge_mergepath_partition_config_static_selectorELNS0_4arch9wavefront6targetE0EEEvSM_,comdat
.Lfunc_end642:
	.size	_ZN7rocprim17ROCPRIM_400000_NS6detail17trampoline_kernelINS0_14default_configENS1_38merge_sort_block_merge_config_selectorIlNS0_10empty_typeEEEZZNS1_27merge_sort_block_merge_implIS3_PlPS5_mZN2at6native12_GLOBAL__N_124unique_dim_cuda_templateIsEESt5tupleIJNSA_6TensorESF_SF_EERKSF_lbbbEUlllE_EE10hipError_tT0_T1_T2_jT3_P12ihipStream_tbPNSt15iterator_traitsISL_E10value_typeEPNSR_ISM_E10value_typeEPSN_NS1_7vsmem_tEENKUlT_SL_SM_SN_E_clIS8_S8_S9_S9_EESK_S10_SL_SM_SN_EUlS10_E_NS1_11comp_targetILNS1_3genE9ELNS1_11target_archE1100ELNS1_3gpuE3ELNS1_3repE0EEENS1_48merge_mergepath_partition_config_static_selectorELNS0_4arch9wavefront6targetE0EEEvSM_, .Lfunc_end642-_ZN7rocprim17ROCPRIM_400000_NS6detail17trampoline_kernelINS0_14default_configENS1_38merge_sort_block_merge_config_selectorIlNS0_10empty_typeEEEZZNS1_27merge_sort_block_merge_implIS3_PlPS5_mZN2at6native12_GLOBAL__N_124unique_dim_cuda_templateIsEESt5tupleIJNSA_6TensorESF_SF_EERKSF_lbbbEUlllE_EE10hipError_tT0_T1_T2_jT3_P12ihipStream_tbPNSt15iterator_traitsISL_E10value_typeEPNSR_ISM_E10value_typeEPSN_NS1_7vsmem_tEENKUlT_SL_SM_SN_E_clIS8_S8_S9_S9_EESK_S10_SL_SM_SN_EUlS10_E_NS1_11comp_targetILNS1_3genE9ELNS1_11target_archE1100ELNS1_3gpuE3ELNS1_3repE0EEENS1_48merge_mergepath_partition_config_static_selectorELNS0_4arch9wavefront6targetE0EEEvSM_
                                        ; -- End function
	.set _ZN7rocprim17ROCPRIM_400000_NS6detail17trampoline_kernelINS0_14default_configENS1_38merge_sort_block_merge_config_selectorIlNS0_10empty_typeEEEZZNS1_27merge_sort_block_merge_implIS3_PlPS5_mZN2at6native12_GLOBAL__N_124unique_dim_cuda_templateIsEESt5tupleIJNSA_6TensorESF_SF_EERKSF_lbbbEUlllE_EE10hipError_tT0_T1_T2_jT3_P12ihipStream_tbPNSt15iterator_traitsISL_E10value_typeEPNSR_ISM_E10value_typeEPSN_NS1_7vsmem_tEENKUlT_SL_SM_SN_E_clIS8_S8_S9_S9_EESK_S10_SL_SM_SN_EUlS10_E_NS1_11comp_targetILNS1_3genE9ELNS1_11target_archE1100ELNS1_3gpuE3ELNS1_3repE0EEENS1_48merge_mergepath_partition_config_static_selectorELNS0_4arch9wavefront6targetE0EEEvSM_.num_vgpr, 0
	.set _ZN7rocprim17ROCPRIM_400000_NS6detail17trampoline_kernelINS0_14default_configENS1_38merge_sort_block_merge_config_selectorIlNS0_10empty_typeEEEZZNS1_27merge_sort_block_merge_implIS3_PlPS5_mZN2at6native12_GLOBAL__N_124unique_dim_cuda_templateIsEESt5tupleIJNSA_6TensorESF_SF_EERKSF_lbbbEUlllE_EE10hipError_tT0_T1_T2_jT3_P12ihipStream_tbPNSt15iterator_traitsISL_E10value_typeEPNSR_ISM_E10value_typeEPSN_NS1_7vsmem_tEENKUlT_SL_SM_SN_E_clIS8_S8_S9_S9_EESK_S10_SL_SM_SN_EUlS10_E_NS1_11comp_targetILNS1_3genE9ELNS1_11target_archE1100ELNS1_3gpuE3ELNS1_3repE0EEENS1_48merge_mergepath_partition_config_static_selectorELNS0_4arch9wavefront6targetE0EEEvSM_.num_agpr, 0
	.set _ZN7rocprim17ROCPRIM_400000_NS6detail17trampoline_kernelINS0_14default_configENS1_38merge_sort_block_merge_config_selectorIlNS0_10empty_typeEEEZZNS1_27merge_sort_block_merge_implIS3_PlPS5_mZN2at6native12_GLOBAL__N_124unique_dim_cuda_templateIsEESt5tupleIJNSA_6TensorESF_SF_EERKSF_lbbbEUlllE_EE10hipError_tT0_T1_T2_jT3_P12ihipStream_tbPNSt15iterator_traitsISL_E10value_typeEPNSR_ISM_E10value_typeEPSN_NS1_7vsmem_tEENKUlT_SL_SM_SN_E_clIS8_S8_S9_S9_EESK_S10_SL_SM_SN_EUlS10_E_NS1_11comp_targetILNS1_3genE9ELNS1_11target_archE1100ELNS1_3gpuE3ELNS1_3repE0EEENS1_48merge_mergepath_partition_config_static_selectorELNS0_4arch9wavefront6targetE0EEEvSM_.numbered_sgpr, 0
	.set _ZN7rocprim17ROCPRIM_400000_NS6detail17trampoline_kernelINS0_14default_configENS1_38merge_sort_block_merge_config_selectorIlNS0_10empty_typeEEEZZNS1_27merge_sort_block_merge_implIS3_PlPS5_mZN2at6native12_GLOBAL__N_124unique_dim_cuda_templateIsEESt5tupleIJNSA_6TensorESF_SF_EERKSF_lbbbEUlllE_EE10hipError_tT0_T1_T2_jT3_P12ihipStream_tbPNSt15iterator_traitsISL_E10value_typeEPNSR_ISM_E10value_typeEPSN_NS1_7vsmem_tEENKUlT_SL_SM_SN_E_clIS8_S8_S9_S9_EESK_S10_SL_SM_SN_EUlS10_E_NS1_11comp_targetILNS1_3genE9ELNS1_11target_archE1100ELNS1_3gpuE3ELNS1_3repE0EEENS1_48merge_mergepath_partition_config_static_selectorELNS0_4arch9wavefront6targetE0EEEvSM_.num_named_barrier, 0
	.set _ZN7rocprim17ROCPRIM_400000_NS6detail17trampoline_kernelINS0_14default_configENS1_38merge_sort_block_merge_config_selectorIlNS0_10empty_typeEEEZZNS1_27merge_sort_block_merge_implIS3_PlPS5_mZN2at6native12_GLOBAL__N_124unique_dim_cuda_templateIsEESt5tupleIJNSA_6TensorESF_SF_EERKSF_lbbbEUlllE_EE10hipError_tT0_T1_T2_jT3_P12ihipStream_tbPNSt15iterator_traitsISL_E10value_typeEPNSR_ISM_E10value_typeEPSN_NS1_7vsmem_tEENKUlT_SL_SM_SN_E_clIS8_S8_S9_S9_EESK_S10_SL_SM_SN_EUlS10_E_NS1_11comp_targetILNS1_3genE9ELNS1_11target_archE1100ELNS1_3gpuE3ELNS1_3repE0EEENS1_48merge_mergepath_partition_config_static_selectorELNS0_4arch9wavefront6targetE0EEEvSM_.private_seg_size, 0
	.set _ZN7rocprim17ROCPRIM_400000_NS6detail17trampoline_kernelINS0_14default_configENS1_38merge_sort_block_merge_config_selectorIlNS0_10empty_typeEEEZZNS1_27merge_sort_block_merge_implIS3_PlPS5_mZN2at6native12_GLOBAL__N_124unique_dim_cuda_templateIsEESt5tupleIJNSA_6TensorESF_SF_EERKSF_lbbbEUlllE_EE10hipError_tT0_T1_T2_jT3_P12ihipStream_tbPNSt15iterator_traitsISL_E10value_typeEPNSR_ISM_E10value_typeEPSN_NS1_7vsmem_tEENKUlT_SL_SM_SN_E_clIS8_S8_S9_S9_EESK_S10_SL_SM_SN_EUlS10_E_NS1_11comp_targetILNS1_3genE9ELNS1_11target_archE1100ELNS1_3gpuE3ELNS1_3repE0EEENS1_48merge_mergepath_partition_config_static_selectorELNS0_4arch9wavefront6targetE0EEEvSM_.uses_vcc, 0
	.set _ZN7rocprim17ROCPRIM_400000_NS6detail17trampoline_kernelINS0_14default_configENS1_38merge_sort_block_merge_config_selectorIlNS0_10empty_typeEEEZZNS1_27merge_sort_block_merge_implIS3_PlPS5_mZN2at6native12_GLOBAL__N_124unique_dim_cuda_templateIsEESt5tupleIJNSA_6TensorESF_SF_EERKSF_lbbbEUlllE_EE10hipError_tT0_T1_T2_jT3_P12ihipStream_tbPNSt15iterator_traitsISL_E10value_typeEPNSR_ISM_E10value_typeEPSN_NS1_7vsmem_tEENKUlT_SL_SM_SN_E_clIS8_S8_S9_S9_EESK_S10_SL_SM_SN_EUlS10_E_NS1_11comp_targetILNS1_3genE9ELNS1_11target_archE1100ELNS1_3gpuE3ELNS1_3repE0EEENS1_48merge_mergepath_partition_config_static_selectorELNS0_4arch9wavefront6targetE0EEEvSM_.uses_flat_scratch, 0
	.set _ZN7rocprim17ROCPRIM_400000_NS6detail17trampoline_kernelINS0_14default_configENS1_38merge_sort_block_merge_config_selectorIlNS0_10empty_typeEEEZZNS1_27merge_sort_block_merge_implIS3_PlPS5_mZN2at6native12_GLOBAL__N_124unique_dim_cuda_templateIsEESt5tupleIJNSA_6TensorESF_SF_EERKSF_lbbbEUlllE_EE10hipError_tT0_T1_T2_jT3_P12ihipStream_tbPNSt15iterator_traitsISL_E10value_typeEPNSR_ISM_E10value_typeEPSN_NS1_7vsmem_tEENKUlT_SL_SM_SN_E_clIS8_S8_S9_S9_EESK_S10_SL_SM_SN_EUlS10_E_NS1_11comp_targetILNS1_3genE9ELNS1_11target_archE1100ELNS1_3gpuE3ELNS1_3repE0EEENS1_48merge_mergepath_partition_config_static_selectorELNS0_4arch9wavefront6targetE0EEEvSM_.has_dyn_sized_stack, 0
	.set _ZN7rocprim17ROCPRIM_400000_NS6detail17trampoline_kernelINS0_14default_configENS1_38merge_sort_block_merge_config_selectorIlNS0_10empty_typeEEEZZNS1_27merge_sort_block_merge_implIS3_PlPS5_mZN2at6native12_GLOBAL__N_124unique_dim_cuda_templateIsEESt5tupleIJNSA_6TensorESF_SF_EERKSF_lbbbEUlllE_EE10hipError_tT0_T1_T2_jT3_P12ihipStream_tbPNSt15iterator_traitsISL_E10value_typeEPNSR_ISM_E10value_typeEPSN_NS1_7vsmem_tEENKUlT_SL_SM_SN_E_clIS8_S8_S9_S9_EESK_S10_SL_SM_SN_EUlS10_E_NS1_11comp_targetILNS1_3genE9ELNS1_11target_archE1100ELNS1_3gpuE3ELNS1_3repE0EEENS1_48merge_mergepath_partition_config_static_selectorELNS0_4arch9wavefront6targetE0EEEvSM_.has_recursion, 0
	.set _ZN7rocprim17ROCPRIM_400000_NS6detail17trampoline_kernelINS0_14default_configENS1_38merge_sort_block_merge_config_selectorIlNS0_10empty_typeEEEZZNS1_27merge_sort_block_merge_implIS3_PlPS5_mZN2at6native12_GLOBAL__N_124unique_dim_cuda_templateIsEESt5tupleIJNSA_6TensorESF_SF_EERKSF_lbbbEUlllE_EE10hipError_tT0_T1_T2_jT3_P12ihipStream_tbPNSt15iterator_traitsISL_E10value_typeEPNSR_ISM_E10value_typeEPSN_NS1_7vsmem_tEENKUlT_SL_SM_SN_E_clIS8_S8_S9_S9_EESK_S10_SL_SM_SN_EUlS10_E_NS1_11comp_targetILNS1_3genE9ELNS1_11target_archE1100ELNS1_3gpuE3ELNS1_3repE0EEENS1_48merge_mergepath_partition_config_static_selectorELNS0_4arch9wavefront6targetE0EEEvSM_.has_indirect_call, 0
	.section	.AMDGPU.csdata,"",@progbits
; Kernel info:
; codeLenInByte = 0
; TotalNumSgprs: 0
; NumVgprs: 0
; ScratchSize: 0
; MemoryBound: 0
; FloatMode: 240
; IeeeMode: 1
; LDSByteSize: 0 bytes/workgroup (compile time only)
; SGPRBlocks: 0
; VGPRBlocks: 0
; NumSGPRsForWavesPerEU: 1
; NumVGPRsForWavesPerEU: 1
; NamedBarCnt: 0
; Occupancy: 16
; WaveLimiterHint : 0
; COMPUTE_PGM_RSRC2:SCRATCH_EN: 0
; COMPUTE_PGM_RSRC2:USER_SGPR: 2
; COMPUTE_PGM_RSRC2:TRAP_HANDLER: 0
; COMPUTE_PGM_RSRC2:TGID_X_EN: 1
; COMPUTE_PGM_RSRC2:TGID_Y_EN: 0
; COMPUTE_PGM_RSRC2:TGID_Z_EN: 0
; COMPUTE_PGM_RSRC2:TIDIG_COMP_CNT: 0
	.section	.text._ZN7rocprim17ROCPRIM_400000_NS6detail17trampoline_kernelINS0_14default_configENS1_38merge_sort_block_merge_config_selectorIlNS0_10empty_typeEEEZZNS1_27merge_sort_block_merge_implIS3_PlPS5_mZN2at6native12_GLOBAL__N_124unique_dim_cuda_templateIsEESt5tupleIJNSA_6TensorESF_SF_EERKSF_lbbbEUlllE_EE10hipError_tT0_T1_T2_jT3_P12ihipStream_tbPNSt15iterator_traitsISL_E10value_typeEPNSR_ISM_E10value_typeEPSN_NS1_7vsmem_tEENKUlT_SL_SM_SN_E_clIS8_S8_S9_S9_EESK_S10_SL_SM_SN_EUlS10_E_NS1_11comp_targetILNS1_3genE8ELNS1_11target_archE1030ELNS1_3gpuE2ELNS1_3repE0EEENS1_48merge_mergepath_partition_config_static_selectorELNS0_4arch9wavefront6targetE0EEEvSM_,"axG",@progbits,_ZN7rocprim17ROCPRIM_400000_NS6detail17trampoline_kernelINS0_14default_configENS1_38merge_sort_block_merge_config_selectorIlNS0_10empty_typeEEEZZNS1_27merge_sort_block_merge_implIS3_PlPS5_mZN2at6native12_GLOBAL__N_124unique_dim_cuda_templateIsEESt5tupleIJNSA_6TensorESF_SF_EERKSF_lbbbEUlllE_EE10hipError_tT0_T1_T2_jT3_P12ihipStream_tbPNSt15iterator_traitsISL_E10value_typeEPNSR_ISM_E10value_typeEPSN_NS1_7vsmem_tEENKUlT_SL_SM_SN_E_clIS8_S8_S9_S9_EESK_S10_SL_SM_SN_EUlS10_E_NS1_11comp_targetILNS1_3genE8ELNS1_11target_archE1030ELNS1_3gpuE2ELNS1_3repE0EEENS1_48merge_mergepath_partition_config_static_selectorELNS0_4arch9wavefront6targetE0EEEvSM_,comdat
	.globl	_ZN7rocprim17ROCPRIM_400000_NS6detail17trampoline_kernelINS0_14default_configENS1_38merge_sort_block_merge_config_selectorIlNS0_10empty_typeEEEZZNS1_27merge_sort_block_merge_implIS3_PlPS5_mZN2at6native12_GLOBAL__N_124unique_dim_cuda_templateIsEESt5tupleIJNSA_6TensorESF_SF_EERKSF_lbbbEUlllE_EE10hipError_tT0_T1_T2_jT3_P12ihipStream_tbPNSt15iterator_traitsISL_E10value_typeEPNSR_ISM_E10value_typeEPSN_NS1_7vsmem_tEENKUlT_SL_SM_SN_E_clIS8_S8_S9_S9_EESK_S10_SL_SM_SN_EUlS10_E_NS1_11comp_targetILNS1_3genE8ELNS1_11target_archE1030ELNS1_3gpuE2ELNS1_3repE0EEENS1_48merge_mergepath_partition_config_static_selectorELNS0_4arch9wavefront6targetE0EEEvSM_ ; -- Begin function _ZN7rocprim17ROCPRIM_400000_NS6detail17trampoline_kernelINS0_14default_configENS1_38merge_sort_block_merge_config_selectorIlNS0_10empty_typeEEEZZNS1_27merge_sort_block_merge_implIS3_PlPS5_mZN2at6native12_GLOBAL__N_124unique_dim_cuda_templateIsEESt5tupleIJNSA_6TensorESF_SF_EERKSF_lbbbEUlllE_EE10hipError_tT0_T1_T2_jT3_P12ihipStream_tbPNSt15iterator_traitsISL_E10value_typeEPNSR_ISM_E10value_typeEPSN_NS1_7vsmem_tEENKUlT_SL_SM_SN_E_clIS8_S8_S9_S9_EESK_S10_SL_SM_SN_EUlS10_E_NS1_11comp_targetILNS1_3genE8ELNS1_11target_archE1030ELNS1_3gpuE2ELNS1_3repE0EEENS1_48merge_mergepath_partition_config_static_selectorELNS0_4arch9wavefront6targetE0EEEvSM_
	.p2align	8
	.type	_ZN7rocprim17ROCPRIM_400000_NS6detail17trampoline_kernelINS0_14default_configENS1_38merge_sort_block_merge_config_selectorIlNS0_10empty_typeEEEZZNS1_27merge_sort_block_merge_implIS3_PlPS5_mZN2at6native12_GLOBAL__N_124unique_dim_cuda_templateIsEESt5tupleIJNSA_6TensorESF_SF_EERKSF_lbbbEUlllE_EE10hipError_tT0_T1_T2_jT3_P12ihipStream_tbPNSt15iterator_traitsISL_E10value_typeEPNSR_ISM_E10value_typeEPSN_NS1_7vsmem_tEENKUlT_SL_SM_SN_E_clIS8_S8_S9_S9_EESK_S10_SL_SM_SN_EUlS10_E_NS1_11comp_targetILNS1_3genE8ELNS1_11target_archE1030ELNS1_3gpuE2ELNS1_3repE0EEENS1_48merge_mergepath_partition_config_static_selectorELNS0_4arch9wavefront6targetE0EEEvSM_,@function
_ZN7rocprim17ROCPRIM_400000_NS6detail17trampoline_kernelINS0_14default_configENS1_38merge_sort_block_merge_config_selectorIlNS0_10empty_typeEEEZZNS1_27merge_sort_block_merge_implIS3_PlPS5_mZN2at6native12_GLOBAL__N_124unique_dim_cuda_templateIsEESt5tupleIJNSA_6TensorESF_SF_EERKSF_lbbbEUlllE_EE10hipError_tT0_T1_T2_jT3_P12ihipStream_tbPNSt15iterator_traitsISL_E10value_typeEPNSR_ISM_E10value_typeEPSN_NS1_7vsmem_tEENKUlT_SL_SM_SN_E_clIS8_S8_S9_S9_EESK_S10_SL_SM_SN_EUlS10_E_NS1_11comp_targetILNS1_3genE8ELNS1_11target_archE1030ELNS1_3gpuE2ELNS1_3repE0EEENS1_48merge_mergepath_partition_config_static_selectorELNS0_4arch9wavefront6targetE0EEEvSM_: ; @_ZN7rocprim17ROCPRIM_400000_NS6detail17trampoline_kernelINS0_14default_configENS1_38merge_sort_block_merge_config_selectorIlNS0_10empty_typeEEEZZNS1_27merge_sort_block_merge_implIS3_PlPS5_mZN2at6native12_GLOBAL__N_124unique_dim_cuda_templateIsEESt5tupleIJNSA_6TensorESF_SF_EERKSF_lbbbEUlllE_EE10hipError_tT0_T1_T2_jT3_P12ihipStream_tbPNSt15iterator_traitsISL_E10value_typeEPNSR_ISM_E10value_typeEPSN_NS1_7vsmem_tEENKUlT_SL_SM_SN_E_clIS8_S8_S9_S9_EESK_S10_SL_SM_SN_EUlS10_E_NS1_11comp_targetILNS1_3genE8ELNS1_11target_archE1030ELNS1_3gpuE2ELNS1_3repE0EEENS1_48merge_mergepath_partition_config_static_selectorELNS0_4arch9wavefront6targetE0EEEvSM_
; %bb.0:
	.section	.rodata,"a",@progbits
	.p2align	6, 0x0
	.amdhsa_kernel _ZN7rocprim17ROCPRIM_400000_NS6detail17trampoline_kernelINS0_14default_configENS1_38merge_sort_block_merge_config_selectorIlNS0_10empty_typeEEEZZNS1_27merge_sort_block_merge_implIS3_PlPS5_mZN2at6native12_GLOBAL__N_124unique_dim_cuda_templateIsEESt5tupleIJNSA_6TensorESF_SF_EERKSF_lbbbEUlllE_EE10hipError_tT0_T1_T2_jT3_P12ihipStream_tbPNSt15iterator_traitsISL_E10value_typeEPNSR_ISM_E10value_typeEPSN_NS1_7vsmem_tEENKUlT_SL_SM_SN_E_clIS8_S8_S9_S9_EESK_S10_SL_SM_SN_EUlS10_E_NS1_11comp_targetILNS1_3genE8ELNS1_11target_archE1030ELNS1_3gpuE2ELNS1_3repE0EEENS1_48merge_mergepath_partition_config_static_selectorELNS0_4arch9wavefront6targetE0EEEvSM_
		.amdhsa_group_segment_fixed_size 0
		.amdhsa_private_segment_fixed_size 0
		.amdhsa_kernarg_size 56
		.amdhsa_user_sgpr_count 2
		.amdhsa_user_sgpr_dispatch_ptr 0
		.amdhsa_user_sgpr_queue_ptr 0
		.amdhsa_user_sgpr_kernarg_segment_ptr 1
		.amdhsa_user_sgpr_dispatch_id 0
		.amdhsa_user_sgpr_kernarg_preload_length 0
		.amdhsa_user_sgpr_kernarg_preload_offset 0
		.amdhsa_user_sgpr_private_segment_size 0
		.amdhsa_wavefront_size32 1
		.amdhsa_uses_dynamic_stack 0
		.amdhsa_enable_private_segment 0
		.amdhsa_system_sgpr_workgroup_id_x 1
		.amdhsa_system_sgpr_workgroup_id_y 0
		.amdhsa_system_sgpr_workgroup_id_z 0
		.amdhsa_system_sgpr_workgroup_info 0
		.amdhsa_system_vgpr_workitem_id 0
		.amdhsa_next_free_vgpr 1
		.amdhsa_next_free_sgpr 1
		.amdhsa_named_barrier_count 0
		.amdhsa_reserve_vcc 0
		.amdhsa_float_round_mode_32 0
		.amdhsa_float_round_mode_16_64 0
		.amdhsa_float_denorm_mode_32 3
		.amdhsa_float_denorm_mode_16_64 3
		.amdhsa_fp16_overflow 0
		.amdhsa_memory_ordered 1
		.amdhsa_forward_progress 1
		.amdhsa_inst_pref_size 0
		.amdhsa_round_robin_scheduling 0
		.amdhsa_exception_fp_ieee_invalid_op 0
		.amdhsa_exception_fp_denorm_src 0
		.amdhsa_exception_fp_ieee_div_zero 0
		.amdhsa_exception_fp_ieee_overflow 0
		.amdhsa_exception_fp_ieee_underflow 0
		.amdhsa_exception_fp_ieee_inexact 0
		.amdhsa_exception_int_div_zero 0
	.end_amdhsa_kernel
	.section	.text._ZN7rocprim17ROCPRIM_400000_NS6detail17trampoline_kernelINS0_14default_configENS1_38merge_sort_block_merge_config_selectorIlNS0_10empty_typeEEEZZNS1_27merge_sort_block_merge_implIS3_PlPS5_mZN2at6native12_GLOBAL__N_124unique_dim_cuda_templateIsEESt5tupleIJNSA_6TensorESF_SF_EERKSF_lbbbEUlllE_EE10hipError_tT0_T1_T2_jT3_P12ihipStream_tbPNSt15iterator_traitsISL_E10value_typeEPNSR_ISM_E10value_typeEPSN_NS1_7vsmem_tEENKUlT_SL_SM_SN_E_clIS8_S8_S9_S9_EESK_S10_SL_SM_SN_EUlS10_E_NS1_11comp_targetILNS1_3genE8ELNS1_11target_archE1030ELNS1_3gpuE2ELNS1_3repE0EEENS1_48merge_mergepath_partition_config_static_selectorELNS0_4arch9wavefront6targetE0EEEvSM_,"axG",@progbits,_ZN7rocprim17ROCPRIM_400000_NS6detail17trampoline_kernelINS0_14default_configENS1_38merge_sort_block_merge_config_selectorIlNS0_10empty_typeEEEZZNS1_27merge_sort_block_merge_implIS3_PlPS5_mZN2at6native12_GLOBAL__N_124unique_dim_cuda_templateIsEESt5tupleIJNSA_6TensorESF_SF_EERKSF_lbbbEUlllE_EE10hipError_tT0_T1_T2_jT3_P12ihipStream_tbPNSt15iterator_traitsISL_E10value_typeEPNSR_ISM_E10value_typeEPSN_NS1_7vsmem_tEENKUlT_SL_SM_SN_E_clIS8_S8_S9_S9_EESK_S10_SL_SM_SN_EUlS10_E_NS1_11comp_targetILNS1_3genE8ELNS1_11target_archE1030ELNS1_3gpuE2ELNS1_3repE0EEENS1_48merge_mergepath_partition_config_static_selectorELNS0_4arch9wavefront6targetE0EEEvSM_,comdat
.Lfunc_end643:
	.size	_ZN7rocprim17ROCPRIM_400000_NS6detail17trampoline_kernelINS0_14default_configENS1_38merge_sort_block_merge_config_selectorIlNS0_10empty_typeEEEZZNS1_27merge_sort_block_merge_implIS3_PlPS5_mZN2at6native12_GLOBAL__N_124unique_dim_cuda_templateIsEESt5tupleIJNSA_6TensorESF_SF_EERKSF_lbbbEUlllE_EE10hipError_tT0_T1_T2_jT3_P12ihipStream_tbPNSt15iterator_traitsISL_E10value_typeEPNSR_ISM_E10value_typeEPSN_NS1_7vsmem_tEENKUlT_SL_SM_SN_E_clIS8_S8_S9_S9_EESK_S10_SL_SM_SN_EUlS10_E_NS1_11comp_targetILNS1_3genE8ELNS1_11target_archE1030ELNS1_3gpuE2ELNS1_3repE0EEENS1_48merge_mergepath_partition_config_static_selectorELNS0_4arch9wavefront6targetE0EEEvSM_, .Lfunc_end643-_ZN7rocprim17ROCPRIM_400000_NS6detail17trampoline_kernelINS0_14default_configENS1_38merge_sort_block_merge_config_selectorIlNS0_10empty_typeEEEZZNS1_27merge_sort_block_merge_implIS3_PlPS5_mZN2at6native12_GLOBAL__N_124unique_dim_cuda_templateIsEESt5tupleIJNSA_6TensorESF_SF_EERKSF_lbbbEUlllE_EE10hipError_tT0_T1_T2_jT3_P12ihipStream_tbPNSt15iterator_traitsISL_E10value_typeEPNSR_ISM_E10value_typeEPSN_NS1_7vsmem_tEENKUlT_SL_SM_SN_E_clIS8_S8_S9_S9_EESK_S10_SL_SM_SN_EUlS10_E_NS1_11comp_targetILNS1_3genE8ELNS1_11target_archE1030ELNS1_3gpuE2ELNS1_3repE0EEENS1_48merge_mergepath_partition_config_static_selectorELNS0_4arch9wavefront6targetE0EEEvSM_
                                        ; -- End function
	.set _ZN7rocprim17ROCPRIM_400000_NS6detail17trampoline_kernelINS0_14default_configENS1_38merge_sort_block_merge_config_selectorIlNS0_10empty_typeEEEZZNS1_27merge_sort_block_merge_implIS3_PlPS5_mZN2at6native12_GLOBAL__N_124unique_dim_cuda_templateIsEESt5tupleIJNSA_6TensorESF_SF_EERKSF_lbbbEUlllE_EE10hipError_tT0_T1_T2_jT3_P12ihipStream_tbPNSt15iterator_traitsISL_E10value_typeEPNSR_ISM_E10value_typeEPSN_NS1_7vsmem_tEENKUlT_SL_SM_SN_E_clIS8_S8_S9_S9_EESK_S10_SL_SM_SN_EUlS10_E_NS1_11comp_targetILNS1_3genE8ELNS1_11target_archE1030ELNS1_3gpuE2ELNS1_3repE0EEENS1_48merge_mergepath_partition_config_static_selectorELNS0_4arch9wavefront6targetE0EEEvSM_.num_vgpr, 0
	.set _ZN7rocprim17ROCPRIM_400000_NS6detail17trampoline_kernelINS0_14default_configENS1_38merge_sort_block_merge_config_selectorIlNS0_10empty_typeEEEZZNS1_27merge_sort_block_merge_implIS3_PlPS5_mZN2at6native12_GLOBAL__N_124unique_dim_cuda_templateIsEESt5tupleIJNSA_6TensorESF_SF_EERKSF_lbbbEUlllE_EE10hipError_tT0_T1_T2_jT3_P12ihipStream_tbPNSt15iterator_traitsISL_E10value_typeEPNSR_ISM_E10value_typeEPSN_NS1_7vsmem_tEENKUlT_SL_SM_SN_E_clIS8_S8_S9_S9_EESK_S10_SL_SM_SN_EUlS10_E_NS1_11comp_targetILNS1_3genE8ELNS1_11target_archE1030ELNS1_3gpuE2ELNS1_3repE0EEENS1_48merge_mergepath_partition_config_static_selectorELNS0_4arch9wavefront6targetE0EEEvSM_.num_agpr, 0
	.set _ZN7rocprim17ROCPRIM_400000_NS6detail17trampoline_kernelINS0_14default_configENS1_38merge_sort_block_merge_config_selectorIlNS0_10empty_typeEEEZZNS1_27merge_sort_block_merge_implIS3_PlPS5_mZN2at6native12_GLOBAL__N_124unique_dim_cuda_templateIsEESt5tupleIJNSA_6TensorESF_SF_EERKSF_lbbbEUlllE_EE10hipError_tT0_T1_T2_jT3_P12ihipStream_tbPNSt15iterator_traitsISL_E10value_typeEPNSR_ISM_E10value_typeEPSN_NS1_7vsmem_tEENKUlT_SL_SM_SN_E_clIS8_S8_S9_S9_EESK_S10_SL_SM_SN_EUlS10_E_NS1_11comp_targetILNS1_3genE8ELNS1_11target_archE1030ELNS1_3gpuE2ELNS1_3repE0EEENS1_48merge_mergepath_partition_config_static_selectorELNS0_4arch9wavefront6targetE0EEEvSM_.numbered_sgpr, 0
	.set _ZN7rocprim17ROCPRIM_400000_NS6detail17trampoline_kernelINS0_14default_configENS1_38merge_sort_block_merge_config_selectorIlNS0_10empty_typeEEEZZNS1_27merge_sort_block_merge_implIS3_PlPS5_mZN2at6native12_GLOBAL__N_124unique_dim_cuda_templateIsEESt5tupleIJNSA_6TensorESF_SF_EERKSF_lbbbEUlllE_EE10hipError_tT0_T1_T2_jT3_P12ihipStream_tbPNSt15iterator_traitsISL_E10value_typeEPNSR_ISM_E10value_typeEPSN_NS1_7vsmem_tEENKUlT_SL_SM_SN_E_clIS8_S8_S9_S9_EESK_S10_SL_SM_SN_EUlS10_E_NS1_11comp_targetILNS1_3genE8ELNS1_11target_archE1030ELNS1_3gpuE2ELNS1_3repE0EEENS1_48merge_mergepath_partition_config_static_selectorELNS0_4arch9wavefront6targetE0EEEvSM_.num_named_barrier, 0
	.set _ZN7rocprim17ROCPRIM_400000_NS6detail17trampoline_kernelINS0_14default_configENS1_38merge_sort_block_merge_config_selectorIlNS0_10empty_typeEEEZZNS1_27merge_sort_block_merge_implIS3_PlPS5_mZN2at6native12_GLOBAL__N_124unique_dim_cuda_templateIsEESt5tupleIJNSA_6TensorESF_SF_EERKSF_lbbbEUlllE_EE10hipError_tT0_T1_T2_jT3_P12ihipStream_tbPNSt15iterator_traitsISL_E10value_typeEPNSR_ISM_E10value_typeEPSN_NS1_7vsmem_tEENKUlT_SL_SM_SN_E_clIS8_S8_S9_S9_EESK_S10_SL_SM_SN_EUlS10_E_NS1_11comp_targetILNS1_3genE8ELNS1_11target_archE1030ELNS1_3gpuE2ELNS1_3repE0EEENS1_48merge_mergepath_partition_config_static_selectorELNS0_4arch9wavefront6targetE0EEEvSM_.private_seg_size, 0
	.set _ZN7rocprim17ROCPRIM_400000_NS6detail17trampoline_kernelINS0_14default_configENS1_38merge_sort_block_merge_config_selectorIlNS0_10empty_typeEEEZZNS1_27merge_sort_block_merge_implIS3_PlPS5_mZN2at6native12_GLOBAL__N_124unique_dim_cuda_templateIsEESt5tupleIJNSA_6TensorESF_SF_EERKSF_lbbbEUlllE_EE10hipError_tT0_T1_T2_jT3_P12ihipStream_tbPNSt15iterator_traitsISL_E10value_typeEPNSR_ISM_E10value_typeEPSN_NS1_7vsmem_tEENKUlT_SL_SM_SN_E_clIS8_S8_S9_S9_EESK_S10_SL_SM_SN_EUlS10_E_NS1_11comp_targetILNS1_3genE8ELNS1_11target_archE1030ELNS1_3gpuE2ELNS1_3repE0EEENS1_48merge_mergepath_partition_config_static_selectorELNS0_4arch9wavefront6targetE0EEEvSM_.uses_vcc, 0
	.set _ZN7rocprim17ROCPRIM_400000_NS6detail17trampoline_kernelINS0_14default_configENS1_38merge_sort_block_merge_config_selectorIlNS0_10empty_typeEEEZZNS1_27merge_sort_block_merge_implIS3_PlPS5_mZN2at6native12_GLOBAL__N_124unique_dim_cuda_templateIsEESt5tupleIJNSA_6TensorESF_SF_EERKSF_lbbbEUlllE_EE10hipError_tT0_T1_T2_jT3_P12ihipStream_tbPNSt15iterator_traitsISL_E10value_typeEPNSR_ISM_E10value_typeEPSN_NS1_7vsmem_tEENKUlT_SL_SM_SN_E_clIS8_S8_S9_S9_EESK_S10_SL_SM_SN_EUlS10_E_NS1_11comp_targetILNS1_3genE8ELNS1_11target_archE1030ELNS1_3gpuE2ELNS1_3repE0EEENS1_48merge_mergepath_partition_config_static_selectorELNS0_4arch9wavefront6targetE0EEEvSM_.uses_flat_scratch, 0
	.set _ZN7rocprim17ROCPRIM_400000_NS6detail17trampoline_kernelINS0_14default_configENS1_38merge_sort_block_merge_config_selectorIlNS0_10empty_typeEEEZZNS1_27merge_sort_block_merge_implIS3_PlPS5_mZN2at6native12_GLOBAL__N_124unique_dim_cuda_templateIsEESt5tupleIJNSA_6TensorESF_SF_EERKSF_lbbbEUlllE_EE10hipError_tT0_T1_T2_jT3_P12ihipStream_tbPNSt15iterator_traitsISL_E10value_typeEPNSR_ISM_E10value_typeEPSN_NS1_7vsmem_tEENKUlT_SL_SM_SN_E_clIS8_S8_S9_S9_EESK_S10_SL_SM_SN_EUlS10_E_NS1_11comp_targetILNS1_3genE8ELNS1_11target_archE1030ELNS1_3gpuE2ELNS1_3repE0EEENS1_48merge_mergepath_partition_config_static_selectorELNS0_4arch9wavefront6targetE0EEEvSM_.has_dyn_sized_stack, 0
	.set _ZN7rocprim17ROCPRIM_400000_NS6detail17trampoline_kernelINS0_14default_configENS1_38merge_sort_block_merge_config_selectorIlNS0_10empty_typeEEEZZNS1_27merge_sort_block_merge_implIS3_PlPS5_mZN2at6native12_GLOBAL__N_124unique_dim_cuda_templateIsEESt5tupleIJNSA_6TensorESF_SF_EERKSF_lbbbEUlllE_EE10hipError_tT0_T1_T2_jT3_P12ihipStream_tbPNSt15iterator_traitsISL_E10value_typeEPNSR_ISM_E10value_typeEPSN_NS1_7vsmem_tEENKUlT_SL_SM_SN_E_clIS8_S8_S9_S9_EESK_S10_SL_SM_SN_EUlS10_E_NS1_11comp_targetILNS1_3genE8ELNS1_11target_archE1030ELNS1_3gpuE2ELNS1_3repE0EEENS1_48merge_mergepath_partition_config_static_selectorELNS0_4arch9wavefront6targetE0EEEvSM_.has_recursion, 0
	.set _ZN7rocprim17ROCPRIM_400000_NS6detail17trampoline_kernelINS0_14default_configENS1_38merge_sort_block_merge_config_selectorIlNS0_10empty_typeEEEZZNS1_27merge_sort_block_merge_implIS3_PlPS5_mZN2at6native12_GLOBAL__N_124unique_dim_cuda_templateIsEESt5tupleIJNSA_6TensorESF_SF_EERKSF_lbbbEUlllE_EE10hipError_tT0_T1_T2_jT3_P12ihipStream_tbPNSt15iterator_traitsISL_E10value_typeEPNSR_ISM_E10value_typeEPSN_NS1_7vsmem_tEENKUlT_SL_SM_SN_E_clIS8_S8_S9_S9_EESK_S10_SL_SM_SN_EUlS10_E_NS1_11comp_targetILNS1_3genE8ELNS1_11target_archE1030ELNS1_3gpuE2ELNS1_3repE0EEENS1_48merge_mergepath_partition_config_static_selectorELNS0_4arch9wavefront6targetE0EEEvSM_.has_indirect_call, 0
	.section	.AMDGPU.csdata,"",@progbits
; Kernel info:
; codeLenInByte = 0
; TotalNumSgprs: 0
; NumVgprs: 0
; ScratchSize: 0
; MemoryBound: 0
; FloatMode: 240
; IeeeMode: 1
; LDSByteSize: 0 bytes/workgroup (compile time only)
; SGPRBlocks: 0
; VGPRBlocks: 0
; NumSGPRsForWavesPerEU: 1
; NumVGPRsForWavesPerEU: 1
; NamedBarCnt: 0
; Occupancy: 16
; WaveLimiterHint : 0
; COMPUTE_PGM_RSRC2:SCRATCH_EN: 0
; COMPUTE_PGM_RSRC2:USER_SGPR: 2
; COMPUTE_PGM_RSRC2:TRAP_HANDLER: 0
; COMPUTE_PGM_RSRC2:TGID_X_EN: 1
; COMPUTE_PGM_RSRC2:TGID_Y_EN: 0
; COMPUTE_PGM_RSRC2:TGID_Z_EN: 0
; COMPUTE_PGM_RSRC2:TIDIG_COMP_CNT: 0
	.section	.text._ZN7rocprim17ROCPRIM_400000_NS6detail17trampoline_kernelINS0_14default_configENS1_38merge_sort_block_merge_config_selectorIlNS0_10empty_typeEEEZZNS1_27merge_sort_block_merge_implIS3_PlPS5_mZN2at6native12_GLOBAL__N_124unique_dim_cuda_templateIsEESt5tupleIJNSA_6TensorESF_SF_EERKSF_lbbbEUlllE_EE10hipError_tT0_T1_T2_jT3_P12ihipStream_tbPNSt15iterator_traitsISL_E10value_typeEPNSR_ISM_E10value_typeEPSN_NS1_7vsmem_tEENKUlT_SL_SM_SN_E_clIS8_S8_S9_S9_EESK_S10_SL_SM_SN_EUlS10_E0_NS1_11comp_targetILNS1_3genE0ELNS1_11target_archE4294967295ELNS1_3gpuE0ELNS1_3repE0EEENS1_38merge_mergepath_config_static_selectorELNS0_4arch9wavefront6targetE0EEEvSM_,"axG",@progbits,_ZN7rocprim17ROCPRIM_400000_NS6detail17trampoline_kernelINS0_14default_configENS1_38merge_sort_block_merge_config_selectorIlNS0_10empty_typeEEEZZNS1_27merge_sort_block_merge_implIS3_PlPS5_mZN2at6native12_GLOBAL__N_124unique_dim_cuda_templateIsEESt5tupleIJNSA_6TensorESF_SF_EERKSF_lbbbEUlllE_EE10hipError_tT0_T1_T2_jT3_P12ihipStream_tbPNSt15iterator_traitsISL_E10value_typeEPNSR_ISM_E10value_typeEPSN_NS1_7vsmem_tEENKUlT_SL_SM_SN_E_clIS8_S8_S9_S9_EESK_S10_SL_SM_SN_EUlS10_E0_NS1_11comp_targetILNS1_3genE0ELNS1_11target_archE4294967295ELNS1_3gpuE0ELNS1_3repE0EEENS1_38merge_mergepath_config_static_selectorELNS0_4arch9wavefront6targetE0EEEvSM_,comdat
	.globl	_ZN7rocprim17ROCPRIM_400000_NS6detail17trampoline_kernelINS0_14default_configENS1_38merge_sort_block_merge_config_selectorIlNS0_10empty_typeEEEZZNS1_27merge_sort_block_merge_implIS3_PlPS5_mZN2at6native12_GLOBAL__N_124unique_dim_cuda_templateIsEESt5tupleIJNSA_6TensorESF_SF_EERKSF_lbbbEUlllE_EE10hipError_tT0_T1_T2_jT3_P12ihipStream_tbPNSt15iterator_traitsISL_E10value_typeEPNSR_ISM_E10value_typeEPSN_NS1_7vsmem_tEENKUlT_SL_SM_SN_E_clIS8_S8_S9_S9_EESK_S10_SL_SM_SN_EUlS10_E0_NS1_11comp_targetILNS1_3genE0ELNS1_11target_archE4294967295ELNS1_3gpuE0ELNS1_3repE0EEENS1_38merge_mergepath_config_static_selectorELNS0_4arch9wavefront6targetE0EEEvSM_ ; -- Begin function _ZN7rocprim17ROCPRIM_400000_NS6detail17trampoline_kernelINS0_14default_configENS1_38merge_sort_block_merge_config_selectorIlNS0_10empty_typeEEEZZNS1_27merge_sort_block_merge_implIS3_PlPS5_mZN2at6native12_GLOBAL__N_124unique_dim_cuda_templateIsEESt5tupleIJNSA_6TensorESF_SF_EERKSF_lbbbEUlllE_EE10hipError_tT0_T1_T2_jT3_P12ihipStream_tbPNSt15iterator_traitsISL_E10value_typeEPNSR_ISM_E10value_typeEPSN_NS1_7vsmem_tEENKUlT_SL_SM_SN_E_clIS8_S8_S9_S9_EESK_S10_SL_SM_SN_EUlS10_E0_NS1_11comp_targetILNS1_3genE0ELNS1_11target_archE4294967295ELNS1_3gpuE0ELNS1_3repE0EEENS1_38merge_mergepath_config_static_selectorELNS0_4arch9wavefront6targetE0EEEvSM_
	.p2align	8
	.type	_ZN7rocprim17ROCPRIM_400000_NS6detail17trampoline_kernelINS0_14default_configENS1_38merge_sort_block_merge_config_selectorIlNS0_10empty_typeEEEZZNS1_27merge_sort_block_merge_implIS3_PlPS5_mZN2at6native12_GLOBAL__N_124unique_dim_cuda_templateIsEESt5tupleIJNSA_6TensorESF_SF_EERKSF_lbbbEUlllE_EE10hipError_tT0_T1_T2_jT3_P12ihipStream_tbPNSt15iterator_traitsISL_E10value_typeEPNSR_ISM_E10value_typeEPSN_NS1_7vsmem_tEENKUlT_SL_SM_SN_E_clIS8_S8_S9_S9_EESK_S10_SL_SM_SN_EUlS10_E0_NS1_11comp_targetILNS1_3genE0ELNS1_11target_archE4294967295ELNS1_3gpuE0ELNS1_3repE0EEENS1_38merge_mergepath_config_static_selectorELNS0_4arch9wavefront6targetE0EEEvSM_,@function
_ZN7rocprim17ROCPRIM_400000_NS6detail17trampoline_kernelINS0_14default_configENS1_38merge_sort_block_merge_config_selectorIlNS0_10empty_typeEEEZZNS1_27merge_sort_block_merge_implIS3_PlPS5_mZN2at6native12_GLOBAL__N_124unique_dim_cuda_templateIsEESt5tupleIJNSA_6TensorESF_SF_EERKSF_lbbbEUlllE_EE10hipError_tT0_T1_T2_jT3_P12ihipStream_tbPNSt15iterator_traitsISL_E10value_typeEPNSR_ISM_E10value_typeEPSN_NS1_7vsmem_tEENKUlT_SL_SM_SN_E_clIS8_S8_S9_S9_EESK_S10_SL_SM_SN_EUlS10_E0_NS1_11comp_targetILNS1_3genE0ELNS1_11target_archE4294967295ELNS1_3gpuE0ELNS1_3repE0EEENS1_38merge_mergepath_config_static_selectorELNS0_4arch9wavefront6targetE0EEEvSM_: ; @_ZN7rocprim17ROCPRIM_400000_NS6detail17trampoline_kernelINS0_14default_configENS1_38merge_sort_block_merge_config_selectorIlNS0_10empty_typeEEEZZNS1_27merge_sort_block_merge_implIS3_PlPS5_mZN2at6native12_GLOBAL__N_124unique_dim_cuda_templateIsEESt5tupleIJNSA_6TensorESF_SF_EERKSF_lbbbEUlllE_EE10hipError_tT0_T1_T2_jT3_P12ihipStream_tbPNSt15iterator_traitsISL_E10value_typeEPNSR_ISM_E10value_typeEPSN_NS1_7vsmem_tEENKUlT_SL_SM_SN_E_clIS8_S8_S9_S9_EESK_S10_SL_SM_SN_EUlS10_E0_NS1_11comp_targetILNS1_3genE0ELNS1_11target_archE4294967295ELNS1_3gpuE0ELNS1_3repE0EEENS1_38merge_mergepath_config_static_selectorELNS0_4arch9wavefront6targetE0EEEvSM_
; %bb.0:
	s_bfe_u32 s2, ttmp6, 0x40010
	s_and_b32 s4, ttmp7, 0xffff
	s_add_co_i32 s5, s2, 1
	s_clause 0x1
	s_load_b32 s6, s[0:1], 0x38
	s_load_b64 s[2:3], s[0:1], 0x58
	s_bfe_u32 s8, ttmp6, 0x4000c
	s_mul_i32 s5, s4, s5
	s_bfe_u32 s7, ttmp6, 0x40004
	s_add_co_i32 s8, s8, 1
	s_bfe_u32 s9, ttmp6, 0x40014
	s_add_co_i32 s7, s7, s5
	s_and_b32 s5, ttmp6, 15
	s_mul_i32 s8, ttmp9, s8
	s_lshr_b32 s10, ttmp7, 16
	s_add_co_i32 s9, s9, 1
	s_add_co_i32 s5, s5, s8
	s_mul_i32 s8, s10, s9
	s_bfe_u32 s9, ttmp6, 0x40008
	s_getreg_b32 s11, hwreg(HW_REG_IB_STS2, 6, 4)
	s_add_co_i32 s9, s9, s8
	s_cmp_eq_u32 s11, 0
	s_mov_b32 s19, 0
	s_cselect_b32 s8, s10, s9
	s_cselect_b32 s4, s4, s7
	s_wait_kmcnt 0x0
	s_mul_i32 s8, s3, s8
	s_cselect_b32 s3, ttmp9, s5
	s_add_co_i32 s4, s8, s4
	s_delay_alu instid0(SALU_CYCLE_1) | instskip(NEXT) | instid1(SALU_CYCLE_1)
	s_mul_i32 s4, s4, s2
	s_add_co_i32 s18, s4, s3
	s_delay_alu instid0(SALU_CYCLE_1)
	s_cmp_ge_u32 s18, s6
	s_cbranch_scc1 .LBB644_139
; %bb.1:
	s_clause 0x1
	s_load_b64 s[4:5], s[0:1], 0x50
	s_load_b128 s[8:11], s[0:1], 0x28
	s_lshl_b64 s[6:7], s[18:19], 3
	s_mov_b32 s23, s19
	s_add_nc_u64 s[20:21], s[0:1], 0x58
	s_wait_kmcnt 0x0
	s_add_nc_u64 s[16:17], s[4:5], s[6:7]
	s_load_b128 s[12:15], s[16:17], 0x0
	s_load_b128 s[4:7], s[0:1], 0x8
	s_wait_xcnt 0x0
	s_lshr_b64 s[16:17], s[10:11], 9
	s_delay_alu instid0(SALU_CYCLE_1) | instskip(NEXT) | instid1(SALU_CYCLE_1)
	s_and_b32 s16, s16, -2
	s_sub_co_i32 s30, 0, s16
	s_lshl_b64 s[16:17], s[18:19], 10
	s_and_b32 s22, s18, s30
	s_or_b32 s30, s18, s30
	s_lshl_b64 s[24:25], s[22:23], 10
	s_lshl_b64 s[22:23], s[22:23], 11
	s_sub_nc_u64 s[28:29], s[16:17], s[24:25]
	s_add_nc_u64 s[26:27], s[22:23], s[10:11]
	s_cmp_lg_u32 s30, -1
	s_add_nc_u64 s[22:23], s[26:27], s[28:29]
	s_mov_b32 s28, -1
	s_cbranch_scc0 .LBB644_3
; %bb.2:
	s_wait_kmcnt 0x0
	s_sub_nc_u64 s[10:11], s[22:23], s[14:15]
	v_mov_b64_e32 v[2:3], s[14:15]
	s_add_nc_u64 s[10:11], s[10:11], 0x400
	s_branch .LBB644_4
.LBB644_3:
	s_wait_kmcnt 0x0
	s_sub_nc_u64 s[14:15], s[26:27], s[24:25]
	s_delay_alu instid0(SALU_CYCLE_1)
	v_min_u64 v[2:3], s[8:9], s[14:15]
	s_add_nc_u64 s[10:11], s[14:15], s[10:11]
.LBB644_4:
	v_mov_b32_e32 v21, 0
	v_min_u64 v[4:5], s[8:9], s[10:11]
	s_sub_nc_u64 s[10:11], s[22:23], s[12:13]
	v_lshlrev_b32_e32 v20, 3, v0
	v_min_u64 v[6:7], s[8:9], s[10:11]
	global_load_b32 v1, v21, s[20:21] offset:14
	s_lshr_b64 s[10:11], s[8:9], 10
	s_delay_alu instid0(SALU_CYCLE_1)
	s_cmp_lg_u64 s[10:11], s[18:19]
	s_cselect_b32 s9, -1, 0
	s_lshl_b64 s[14:15], s[12:13], 3
	s_cmp_lt_u32 s3, s2
	s_mov_b32 s3, 0
	s_cselect_b32 s2, 12, 18
	s_cmp_eq_u64 s[10:11], s[18:19]
	s_add_nc_u64 s[2:3], s[20:21], s[2:3]
	s_add_nc_u64 s[10:11], s[4:5], s[14:15]
	s_load_u16 s2, s[2:3], 0x0
	v_lshlrev_b64_e32 v[8:9], 3, v[6:7]
	v_sub_nc_u32_e32 v24, v4, v6
	s_delay_alu instid0(VALU_DEP_2) | instskip(SKIP_3) | instid1(VALU_DEP_1)
	v_add_nc_u64_e32 v[22:23], s[4:5], v[8:9]
	s_wait_loadcnt 0x0
	v_lshrrev_b32_e32 v3, 16, v1
	v_and_b32_e32 v1, 0xffff, v1
	v_mul_lo_u32 v1, v1, v3
	s_wait_kmcnt 0x0
	s_delay_alu instid0(VALU_DEP_1)
	v_mul_lo_u32 v25, v1, s2
	v_subrev_nc_u32_e32 v1, s12, v2
	s_cbranch_scc1 .LBB644_6
; %bb.5:
	s_delay_alu instid0(VALU_DEP_1) | instskip(SKIP_3) | instid1(VALU_DEP_3)
	v_sub_co_u32 v4, vcc_lo, v0, v1
	v_dual_mov_b32 v5, v21 :: v_dual_mov_b32 v7, v21
	v_add_nc_u64_e32 v[2:3], s[10:11], v[20:21]
	v_dual_mov_b32 v17, v21 :: v_dual_mov_b32 v19, v21
	v_lshl_add_u64 v[4:5], v[4:5], 3, v[22:23]
	v_add_nc_u32_e32 v6, v25, v0
	s_delay_alu instid0(VALU_DEP_2) | instskip(NEXT) | instid1(VALU_DEP_2)
	v_dual_add_nc_u32 v36, v1, v24 :: v_dual_cndmask_b32 v2, v4, v2, vcc_lo
	v_lshl_add_u64 v[8:9], v[6:7], 3, s[10:11]
	v_sub_co_u32 v10, s2, v6, v1
	v_dual_mov_b32 v11, v21 :: v_dual_add_nc_u32 v6, v6, v25
	v_cndmask_b32_e32 v3, v5, v3, vcc_lo
	s_delay_alu instid0(VALU_DEP_2) | instskip(NEXT) | instid1(VALU_DEP_3)
	v_lshl_add_u64 v[4:5], v[10:11], 3, v[22:23]
	v_lshl_add_u64 v[10:11], v[6:7], 3, s[10:11]
	v_sub_co_u32 v12, vcc_lo, v6, v1
	s_delay_alu instid0(VALU_DEP_3) | instskip(SKIP_3) | instid1(VALU_DEP_4)
	v_dual_mov_b32 v13, v21 :: v_dual_cndmask_b32 v4, v4, v8, s2
	v_add_nc_u32_e32 v6, v6, v25
	v_cndmask_b32_e64 v5, v5, v9, s2
	v_mov_b32_e32 v15, v21
	v_lshl_add_u64 v[8:9], v[12:13], 3, v[22:23]
	global_load_b64 v[2:3], v[2:3], off
	v_lshl_add_u64 v[12:13], v[6:7], 3, s[10:11]
	v_sub_co_u32 v14, s2, v6, v1
	v_dual_cndmask_b32 v9, v9, v11 :: v_dual_add_nc_u32 v6, v6, v25
	v_cndmask_b32_e32 v8, v8, v10, vcc_lo
	s_delay_alu instid0(VALU_DEP_3) | instskip(SKIP_4) | instid1(VALU_DEP_3)
	v_lshl_add_u64 v[10:11], v[14:15], 3, v[22:23]
	global_load_b64 v[4:5], v[4:5], off
	v_add_nc_u32_e32 v18, v6, v25
	v_sub_co_u32 v16, vcc_lo, v6, v1
	v_dual_cndmask_b32 v27, v11, v13, s2 :: v_dual_cndmask_b32 v26, v10, v12, s2
	v_dual_mov_b32 v13, v21 :: v_dual_add_nc_u32 v12, v18, v25
	v_lshl_add_u64 v[14:15], v[6:7], 3, s[10:11]
	global_load_b64 v[6:7], v[8:9], off
	s_wait_xcnt 0x0
	v_lshl_add_u64 v[8:9], v[16:17], 3, v[22:23]
	v_lshl_add_u64 v[10:11], v[18:19], 3, s[10:11]
	v_sub_co_u32 v16, s2, v18, v1
	s_delay_alu instid0(VALU_DEP_3) | instskip(SKIP_2) | instid1(VALU_DEP_3)
	v_dual_cndmask_b32 v33, v9, v15 :: v_dual_add_nc_u32 v18, v12, v25
	v_lshl_add_u64 v[28:29], v[12:13], 3, s[10:11]
	v_sub_co_u32 v12, s3, v12, v1
	v_lshl_add_u64 v[30:31], v[18:19], 3, s[10:11]
	v_sub_co_u32 v18, s4, v18, v1
	v_lshl_add_u64 v[16:17], v[16:17], 3, v[22:23]
	s_delay_alu instid0(VALU_DEP_4) | instskip(SKIP_1) | instid1(VALU_DEP_4)
	v_lshl_add_u64 v[12:13], v[12:13], 3, v[22:23]
	v_cndmask_b32_e32 v32, v8, v14, vcc_lo
	v_lshl_add_u64 v[8:9], v[18:19], 3, v[22:23]
	s_delay_alu instid0(VALU_DEP_4) | instskip(NEXT) | instid1(VALU_DEP_4)
	v_dual_cndmask_b32 v19, v17, v11, s2 :: v_dual_cndmask_b32 v18, v16, v10, s2
	v_dual_cndmask_b32 v29, v13, v29, s3 :: v_dual_cndmask_b32 v28, v12, v28, s3
	s_delay_alu instid0(VALU_DEP_3)
	v_dual_cndmask_b32 v31, v9, v31, s4 :: v_dual_cndmask_b32 v30, v8, v30, s4
	global_load_b64 v[8:9], v[26:27], off
	global_load_b64 v[10:11], v[32:33], off
	;; [unrolled: 1-line block ×5, first 2 shown]
	s_cbranch_execz .LBB644_7
	s_branch .LBB644_24
.LBB644_6:
                                        ; implicit-def: $vgpr2_vgpr3_vgpr4_vgpr5_vgpr6_vgpr7_vgpr8_vgpr9_vgpr10_vgpr11_vgpr12_vgpr13_vgpr14_vgpr15_vgpr16_vgpr17
                                        ; implicit-def: $vgpr36
	s_and_not1_b32 vcc_lo, exec_lo, s28
	s_cbranch_vccnz .LBB644_24
.LBB644_7:
	s_wait_loadcnt 0x7
	v_dual_add_nc_u32 v36, v1, v24 :: v_dual_mov_b32 v2, 0
	s_mov_b32 s2, exec_lo
	s_wait_loadcnt 0x6
	s_delay_alu instid0(VALU_DEP_1)
	v_dual_mov_b32 v3, v2 :: v_dual_mov_b32 v4, v2
	s_wait_loadcnt 0x5
	v_dual_mov_b32 v5, v2 :: v_dual_mov_b32 v6, v2
	s_wait_loadcnt 0x4
	;; [unrolled: 2-line block ×6, first 2 shown]
	v_dual_mov_b32 v15, v2 :: v_dual_mov_b32 v16, v2
	v_mov_b32_e32 v17, v2
	v_cmpx_lt_u32_e64 v0, v36
	s_cbranch_execz .LBB644_9
; %bb.8:
	v_dual_mov_b32 v21, v2 :: v_dual_mov_b32 v5, v2
	v_sub_co_u32 v4, vcc_lo, v0, v1
	v_dual_mov_b32 v18, v2 :: v_dual_mov_b32 v19, v2
	s_delay_alu instid0(VALU_DEP_3) | instskip(NEXT) | instid1(VALU_DEP_3)
	v_add_nc_u64_e32 v[6:7], s[10:11], v[20:21]
	v_lshl_add_u64 v[4:5], v[4:5], 3, v[22:23]
	v_dual_mov_b32 v8, v2 :: v_dual_mov_b32 v9, v2
	v_dual_mov_b32 v10, v2 :: v_dual_mov_b32 v11, v2
	;; [unrolled: 1-line block ×3, first 2 shown]
	s_delay_alu instid0(VALU_DEP_4)
	v_dual_cndmask_b32 v5, v5, v7 :: v_dual_cndmask_b32 v4, v4, v6
	v_dual_mov_b32 v6, v2 :: v_dual_mov_b32 v7, v2
	v_dual_mov_b32 v14, v2 :: v_dual_mov_b32 v15, v2
	global_load_b64 v[4:5], v[4:5], off
	v_dual_mov_b32 v16, v2 :: v_dual_mov_b32 v17, v2
	s_wait_loadcnt 0x0
	v_mov_b64_e32 v[2:3], v[4:5]
	v_mov_b64_e32 v[4:5], v[6:7]
	;; [unrolled: 1-line block ×8, first 2 shown]
.LBB644_9:
	s_or_b32 exec_lo, exec_lo, s2
	v_add_nc_u32_e32 v18, v25, v0
	s_mov_b32 s2, exec_lo
	s_delay_alu instid0(VALU_DEP_1)
	v_cmpx_lt_u32_e64 v18, v36
	s_cbranch_execz .LBB644_11
; %bb.10:
	v_sub_co_u32 v26, vcc_lo, v18, v1
	v_mov_b32_e32 v19, 0
	s_delay_alu instid0(VALU_DEP_1) | instskip(SKIP_1) | instid1(VALU_DEP_1)
	v_lshl_add_u64 v[4:5], v[18:19], 3, s[10:11]
	v_mov_b32_e32 v27, v19
	v_lshl_add_u64 v[26:27], v[26:27], 3, v[22:23]
	s_delay_alu instid0(VALU_DEP_1)
	v_dual_cndmask_b32 v5, v27, v5 :: v_dual_cndmask_b32 v4, v26, v4
	global_load_b64 v[4:5], v[4:5], off
.LBB644_11:
	s_wait_xcnt 0x0
	s_or_b32 exec_lo, exec_lo, s2
	v_add_nc_u32_e32 v18, v18, v25
	s_mov_b32 s2, exec_lo
	s_delay_alu instid0(VALU_DEP_1)
	v_cmpx_lt_u32_e64 v18, v36
	s_cbranch_execz .LBB644_13
; %bb.12:
	v_sub_co_u32 v26, vcc_lo, v18, v1
	v_mov_b32_e32 v19, 0
	s_delay_alu instid0(VALU_DEP_1) | instskip(SKIP_1) | instid1(VALU_DEP_1)
	v_lshl_add_u64 v[6:7], v[18:19], 3, s[10:11]
	v_mov_b32_e32 v27, v19
	v_lshl_add_u64 v[26:27], v[26:27], 3, v[22:23]
	s_delay_alu instid0(VALU_DEP_1)
	v_dual_cndmask_b32 v7, v27, v7 :: v_dual_cndmask_b32 v6, v26, v6
	global_load_b64 v[6:7], v[6:7], off
.LBB644_13:
	s_wait_xcnt 0x0
	;; [unrolled: 18-line block ×6, first 2 shown]
	s_or_b32 exec_lo, exec_lo, s2
	v_add_nc_u32_e32 v18, v18, v25
	s_mov_b32 s2, exec_lo
	s_delay_alu instid0(VALU_DEP_1)
	v_cmpx_lt_u32_e64 v18, v36
	s_cbranch_execz .LBB644_23
; %bb.22:
	v_mov_b32_e32 v19, 0
	s_delay_alu instid0(VALU_DEP_1) | instskip(SKIP_1) | instid1(VALU_DEP_1)
	v_lshl_add_u64 v[16:17], v[18:19], 3, s[10:11]
	v_sub_co_u32 v18, vcc_lo, v18, v1
	v_lshl_add_u64 v[18:19], v[18:19], 3, v[22:23]
	s_delay_alu instid0(VALU_DEP_1)
	v_dual_cndmask_b32 v17, v19, v17 :: v_dual_cndmask_b32 v16, v18, v16
	global_load_b64 v[16:17], v[16:17], off
.LBB644_23:
	s_wait_xcnt 0x0
	s_or_b32 exec_lo, exec_lo, s2
.LBB644_24:
	s_load_b128 s[12:15], s[0:1], 0x40
	v_min_u32_e32 v25, v36, v20
	s_wait_xcnt 0x0
	s_mov_b32 s1, exec_lo
	s_wait_loadcnt 0x0
	ds_store_2addr_stride64_b64 v20, v[2:3], v[4:5] offset1:2
	ds_store_2addr_stride64_b64 v20, v[6:7], v[8:9] offset0:4 offset1:6
	ds_store_2addr_stride64_b64 v20, v[10:11], v[12:13] offset0:8 offset1:10
	;; [unrolled: 1-line block ×3, first 2 shown]
	s_wait_dscnt 0x0
	s_barrier_signal -1
	v_sub_nc_u32_e64 v21, v25, v24 clamp
	v_min_u32_e32 v24, v25, v1
	s_barrier_wait -1
	s_delay_alu instid0(VALU_DEP_1)
	v_cmpx_lt_u32_e64 v21, v24
	s_cbranch_execz .LBB644_34
; %bb.25:
	v_lshlrev_b32_e32 v18, 3, v25
	s_wait_kmcnt 0x0
	v_cmp_gt_i64_e64 s10, s[12:13], 0
	s_lshl_b64 s[2:3], s[12:13], 1
	s_mov_b32 s11, 0
	v_lshl_add_u32 v26, v1, 3, v18
	s_branch .LBB644_28
.LBB644_26:                             ;   in Loop: Header=BB644_28 Depth=1
	s_or_b32 exec_lo, exec_lo, s19
.LBB644_27:                             ;   in Loop: Header=BB644_28 Depth=1
	s_delay_alu instid0(VALU_DEP_1) | instskip(NEXT) | instid1(VALU_DEP_1)
	v_dual_add_nc_u32 v18, 1, v27 :: v_dual_cndmask_b32 v24, v24, v27, s18
	v_cndmask_b32_e64 v21, v18, v21, s18
	s_delay_alu instid0(VALU_DEP_1) | instskip(SKIP_1) | instid1(SALU_CYCLE_1)
	v_cmp_ge_u32_e32 vcc_lo, v21, v24
	s_or_b32 s11, vcc_lo, s11
	s_and_not1_b32 exec_lo, exec_lo, s11
	s_cbranch_execz .LBB644_33
.LBB644_28:                             ; =>This Loop Header: Depth=1
                                        ;     Child Loop BB644_31 Depth 2
	v_add_nc_u32_e32 v18, v24, v21
	s_and_not1_b32 vcc_lo, exec_lo, s10
	s_mov_b32 s18, 0
	s_delay_alu instid0(VALU_DEP_1)
	v_lshrrev_b32_e32 v27, 1, v18
	s_cbranch_vccnz .LBB644_27
; %bb.29:                               ;   in Loop: Header=BB644_28 Depth=1
	s_delay_alu instid0(VALU_DEP_1) | instskip(SKIP_3) | instid1(VALU_DEP_2)
	v_not_b32_e32 v18, v27
	v_lshlrev_b32_e32 v19, 3, v27
	s_mov_b32 s19, 0
	s_mov_b64 s[4:5], s[12:13]
                                        ; implicit-def: $sgpr18
                                        ; implicit-def: $sgpr20
                                        ; implicit-def: $sgpr21
                                        ; implicit-def: $sgpr22
	v_lshl_add_u32 v18, v18, 3, v26
	ds_load_b64 v[28:29], v18
	ds_load_b64 v[30:31], v19
	s_wait_dscnt 0x1
	v_mad_nc_u64_u32 v[18:19], s2, v28, s[14:15]
	s_wait_dscnt 0x0
	v_mad_nc_u64_u32 v[22:23], s2, v30, s[14:15]
	s_delay_alu instid0(VALU_DEP_2) | instskip(NEXT) | instid1(VALU_DEP_2)
	v_mad_u32 v19, s3, v28, v19
	v_mad_u32 v23, s3, v30, v23
	s_delay_alu instid0(VALU_DEP_2) | instskip(NEXT) | instid1(VALU_DEP_2)
	v_mad_u32 v19, s2, v29, v19
	v_mad_u32 v23, s2, v31, v23
	s_branch .LBB644_31
.LBB644_30:                             ;   in Loop: Header=BB644_31 Depth=2
	s_or_b32 exec_lo, exec_lo, s23
	s_delay_alu instid0(SALU_CYCLE_1) | instskip(NEXT) | instid1(SALU_CYCLE_1)
	s_and_b32 s23, exec_lo, s20
	s_or_b32 s19, s23, s19
	s_and_not1_b32 s22, s22, exec_lo
	s_and_b32 s0, s0, exec_lo
	s_and_not1_b32 s18, s18, exec_lo
	s_and_b32 s23, s21, exec_lo
	s_or_b32 s22, s22, s0
	s_or_b32 s18, s18, s23
	s_and_not1_b32 exec_lo, exec_lo, s19
	s_cbranch_execz .LBB644_26
.LBB644_31:                             ;   Parent Loop BB644_28 Depth=1
                                        ; =>  This Inner Loop Header: Depth=2
	global_load_u16 v28, v[18:19], off
	global_load_u16 v29, v[22:23], off
	s_and_not1_b32 s21, s21, exec_lo
	s_or_b32 s20, s20, exec_lo
	s_wait_loadcnt 0x0
	v_cmp_le_i16_e32 vcc_lo, v28, v29
	v_cmp_lt_i16_e64 s0, v28, v29
	s_and_b32 s23, vcc_lo, s22
	s_delay_alu instid0(SALU_CYCLE_1) | instskip(NEXT) | instid1(SALU_CYCLE_1)
	s_or_b32 s0, s0, s23
	s_and_b32 s23, s0, exec_lo
	s_delay_alu instid0(SALU_CYCLE_1)
	s_or_b32 s21, s21, s23
	s_mov_b32 s23, exec_lo
	v_cmpx_eq_u16_e64 v28, v29
	s_cbranch_execz .LBB644_30
; %bb.32:                               ;   in Loop: Header=BB644_31 Depth=2
	s_add_nc_u64 s[4:5], s[4:5], -1
	v_add_nc_u64_e32 v[18:19], 2, v[18:19]
	s_cmp_eq_u64 s[4:5], 0
	v_add_nc_u64_e32 v[22:23], 2, v[22:23]
	s_cselect_b32 s22, -1, 0
	s_and_not1_b32 s20, s20, exec_lo
	s_and_b32 s22, s22, exec_lo
	s_and_not1_b32 s21, s21, exec_lo
	s_or_b32 s20, s20, s22
                                        ; implicit-def: $sgpr22
	s_branch .LBB644_30
.LBB644_33:
	s_or_b32 exec_lo, exec_lo, s11
.LBB644_34:
	s_delay_alu instid0(SALU_CYCLE_1) | instskip(SKIP_2) | instid1(VALU_DEP_2)
	s_or_b32 exec_lo, exec_lo, s1
	v_sub_nc_u32_e32 v18, v25, v21
	v_cmp_le_u32_e32 vcc_lo, v21, v1
	v_add_nc_u32_e32 v18, v18, v1
	s_delay_alu instid0(VALU_DEP_1) | instskip(SKIP_1) | instid1(SALU_CYCLE_1)
	v_cmp_le_u32_e64 s0, v18, v36
	s_or_b32 s0, vcc_lo, s0
	s_and_saveexec_b32 s1, s0
	s_cbranch_execz .LBB644_125
; %bb.35:
	s_mov_b32 s2, exec_lo
	v_cmp_ge_u32_e32 vcc_lo, v21, v1
                                        ; implicit-def: $vgpr2_vgpr3
	v_cmpx_lt_u32_e64 v21, v1
; %bb.36:
	v_lshlrev_b32_e32 v2, 3, v21
	ds_load_b64 v[2:3], v2
; %bb.37:
	s_or_b32 exec_lo, exec_lo, s2
	v_cmp_ge_u32_e64 s5, v18, v36
	s_mov_b32 s2, exec_lo
                                        ; implicit-def: $vgpr14_vgpr15
	v_cmpx_lt_u32_e64 v18, v36
; %bb.38:
	v_lshlrev_b32_e32 v4, 3, v18
	ds_load_b64 v[14:15], v4
; %bb.39:
	s_or_b32 exec_lo, exec_lo, s2
	s_wait_kmcnt 0x0
	v_cmp_gt_i64_e64 s4, s[12:13], 0
	s_nor_b32 s0, vcc_lo, s5
	s_delay_alu instid0(SALU_CYCLE_1)
	s_and_saveexec_b32 s10, s0
	s_cbranch_execz .LBB644_48
; %bb.40:
	s_and_not1_b32 vcc_lo, exec_lo, s4
	s_cbranch_vccnz .LBB644_46
; %bb.41:
	s_wait_dscnt 0x0
	v_mul_u64_e32 v[4:5], s[12:13], v[14:15]
	v_mul_u64_e32 v[6:7], s[12:13], v[2:3]
	s_mov_b32 s11, 0
	s_mov_b64 s[2:3], s[12:13]
                                        ; implicit-def: $sgpr18
                                        ; implicit-def: $sgpr19
                                        ; implicit-def: $sgpr20
                                        ; implicit-def: $sgpr21
	s_delay_alu instid0(VALU_DEP_2) | instskip(NEXT) | instid1(VALU_DEP_2)
	v_lshl_add_u64 v[4:5], v[4:5], 1, s[14:15]
	v_lshl_add_u64 v[6:7], v[6:7], 1, s[14:15]
	s_branch .LBB644_43
.LBB644_42:                             ;   in Loop: Header=BB644_43 Depth=1
	s_or_b32 exec_lo, exec_lo, s22
	s_delay_alu instid0(SALU_CYCLE_1) | instskip(NEXT) | instid1(SALU_CYCLE_1)
	s_and_b32 s22, exec_lo, s19
	s_or_b32 s11, s22, s11
	s_and_not1_b32 s21, s21, exec_lo
	s_and_b32 s0, s0, exec_lo
	s_and_not1_b32 s18, s18, exec_lo
	s_and_b32 s22, s20, exec_lo
	s_or_b32 s21, s21, s0
	s_or_b32 s18, s18, s22
	s_and_not1_b32 exec_lo, exec_lo, s11
	s_cbranch_execz .LBB644_45
.LBB644_43:                             ; =>This Inner Loop Header: Depth=1
	global_load_u16 v8, v[4:5], off
	global_load_u16 v9, v[6:7], off
	s_and_not1_b32 s20, s20, exec_lo
	s_or_b32 s19, s19, exec_lo
	s_wait_loadcnt 0x0
	v_cmp_le_i16_e32 vcc_lo, v8, v9
	v_cmp_lt_i16_e64 s0, v8, v9
	s_and_b32 s22, vcc_lo, s21
	s_delay_alu instid0(SALU_CYCLE_1) | instskip(NEXT) | instid1(SALU_CYCLE_1)
	s_or_b32 s0, s0, s22
	s_and_b32 s22, s0, exec_lo
	s_delay_alu instid0(SALU_CYCLE_1)
	s_or_b32 s20, s20, s22
	s_mov_b32 s22, exec_lo
	v_cmpx_eq_u16_e64 v8, v9
	s_cbranch_execz .LBB644_42
; %bb.44:                               ;   in Loop: Header=BB644_43 Depth=1
	s_add_nc_u64 s[2:3], s[2:3], -1
	v_add_nc_u64_e32 v[4:5], 2, v[4:5]
	s_cmp_eq_u64 s[2:3], 0
	v_add_nc_u64_e32 v[6:7], 2, v[6:7]
	s_cselect_b32 s21, -1, 0
	s_and_not1_b32 s19, s19, exec_lo
	s_and_b32 s21, s21, exec_lo
	s_and_not1_b32 s20, s20, exec_lo
	s_or_b32 s19, s19, s21
                                        ; implicit-def: $sgpr21
	s_branch .LBB644_42
.LBB644_45:
	s_or_b32 exec_lo, exec_lo, s11
	s_xor_b32 s0, s18, -1
	s_branch .LBB644_47
.LBB644_46:
	s_mov_b32 s0, -1
.LBB644_47:
	s_and_not1_b32 s2, s5, exec_lo
	s_and_b32 s0, s0, exec_lo
	s_delay_alu instid0(SALU_CYCLE_1)
	s_or_b32 s5, s2, s0
.LBB644_48:
	s_or_b32 exec_lo, exec_lo, s10
	v_cndmask_b32_e64 v4, v18, v21, s5
	v_cndmask_b32_e64 v5, v36, v1, s5
	s_mov_b32 s11, -1
	s_mov_b32 s10, -1
	s_mov_b32 s18, exec_lo
	v_add_nc_u32_e32 v4, 1, v4
	s_delay_alu instid0(VALU_DEP_1) | instskip(NEXT) | instid1(VALU_DEP_1)
	v_add_min_u32_e64 v5, v5, -1, v4
	v_dual_cndmask_b32 v10, v4, v18, s5 :: v_dual_lshlrev_b32 v5, 3, v5
	ds_load_b64 v[6:7], v5
	s_wait_dscnt 0x0
	v_dual_cndmask_b32 v11, v21, v4, s5 :: v_dual_cndmask_b32 v4, v6, v14, s5
	v_cndmask_b32_e64 v5, v7, v15, s5
	v_dual_cndmask_b32 v17, v3, v7, s5 :: v_dual_cndmask_b32 v16, v2, v6, s5
	v_cmpx_lt_u32_e64 v10, v36
	s_cbranch_execz .LBB644_59
; %bb.49:
	s_mov_b32 s0, 0
	s_mov_b32 s10, exec_lo
	v_cmpx_lt_u32_e64 v11, v1
	s_cbranch_execz .LBB644_58
; %bb.50:
	s_and_not1_b32 vcc_lo, exec_lo, s4
	s_cbranch_vccnz .LBB644_56
; %bb.51:
	v_mul_u64_e32 v[6:7], s[12:13], v[4:5]
	v_mul_u64_e32 v[8:9], s[12:13], v[16:17]
	s_mov_b32 s19, 0
	s_mov_b64 s[2:3], s[12:13]
                                        ; implicit-def: $sgpr20
                                        ; implicit-def: $sgpr21
                                        ; implicit-def: $sgpr22
                                        ; implicit-def: $sgpr23
	s_delay_alu instid0(VALU_DEP_2) | instskip(NEXT) | instid1(VALU_DEP_2)
	v_lshl_add_u64 v[6:7], v[6:7], 1, s[14:15]
	v_lshl_add_u64 v[8:9], v[8:9], 1, s[14:15]
	s_branch .LBB644_53
.LBB644_52:                             ;   in Loop: Header=BB644_53 Depth=1
	s_or_b32 exec_lo, exec_lo, s24
	s_delay_alu instid0(SALU_CYCLE_1) | instskip(NEXT) | instid1(SALU_CYCLE_1)
	s_and_b32 s24, exec_lo, s21
	s_or_b32 s19, s24, s19
	s_and_not1_b32 s23, s23, exec_lo
	s_and_b32 s0, s0, exec_lo
	s_and_not1_b32 s20, s20, exec_lo
	s_and_b32 s24, s22, exec_lo
	s_or_b32 s23, s23, s0
	s_or_b32 s20, s20, s24
	s_and_not1_b32 exec_lo, exec_lo, s19
	s_cbranch_execz .LBB644_55
.LBB644_53:                             ; =>This Inner Loop Header: Depth=1
	global_load_u16 v12, v[6:7], off
	global_load_u16 v13, v[8:9], off
	s_and_not1_b32 s22, s22, exec_lo
	s_or_b32 s21, s21, exec_lo
	s_wait_loadcnt 0x0
	v_cmp_le_i16_e32 vcc_lo, v12, v13
	v_cmp_lt_i16_e64 s0, v12, v13
	s_and_b32 s24, vcc_lo, s23
	s_delay_alu instid0(SALU_CYCLE_1) | instskip(NEXT) | instid1(SALU_CYCLE_1)
	s_or_b32 s0, s0, s24
	s_and_b32 s24, s0, exec_lo
	s_delay_alu instid0(SALU_CYCLE_1)
	s_or_b32 s22, s22, s24
	s_mov_b32 s24, exec_lo
	v_cmpx_eq_u16_e64 v12, v13
	s_cbranch_execz .LBB644_52
; %bb.54:                               ;   in Loop: Header=BB644_53 Depth=1
	s_add_nc_u64 s[2:3], s[2:3], -1
	v_add_nc_u64_e32 v[6:7], 2, v[6:7]
	s_cmp_eq_u64 s[2:3], 0
	v_add_nc_u64_e32 v[8:9], 2, v[8:9]
	s_cselect_b32 s23, -1, 0
	s_and_not1_b32 s21, s21, exec_lo
	s_and_b32 s23, s23, exec_lo
	s_and_not1_b32 s22, s22, exec_lo
	s_or_b32 s21, s21, s23
                                        ; implicit-def: $sgpr23
	s_branch .LBB644_52
.LBB644_55:
	s_or_b32 exec_lo, exec_lo, s19
	s_xor_b32 s0, s20, -1
	s_branch .LBB644_57
.LBB644_56:
	s_mov_b32 s0, -1
.LBB644_57:
	s_delay_alu instid0(SALU_CYCLE_1)
	s_and_b32 s0, s0, exec_lo
.LBB644_58:
	s_or_b32 exec_lo, exec_lo, s10
	s_delay_alu instid0(SALU_CYCLE_1)
	s_or_not1_b32 s10, s0, exec_lo
.LBB644_59:
	s_or_b32 exec_lo, exec_lo, s18
	v_dual_cndmask_b32 v6, v10, v11, s10 :: v_dual_cndmask_b32 v7, v36, v1, s10
	s_mov_b32 s18, exec_lo
	s_delay_alu instid0(VALU_DEP_1) | instskip(NEXT) | instid1(VALU_DEP_1)
	v_add_nc_u32_e32 v6, 1, v6
	v_add_min_u32_e64 v7, v7, -1, v6
	s_delay_alu instid0(VALU_DEP_1)
	v_lshlrev_b32_e32 v7, 3, v7
	ds_load_b64 v[8:9], v7
	v_cndmask_b32_e64 v12, v6, v10, s10
	s_wait_dscnt 0x0
	v_dual_cndmask_b32 v13, v11, v6, s10 :: v_dual_cndmask_b32 v6, v8, v4, s10
	v_cndmask_b32_e64 v7, v9, v5, s10
	v_dual_cndmask_b32 v19, v17, v9, s10 :: v_dual_cndmask_b32 v18, v16, v8, s10
	v_cmpx_lt_u32_e64 v12, v36
	s_cbranch_execz .LBB644_70
; %bb.60:
	s_mov_b32 s0, 0
	s_mov_b32 s11, exec_lo
	v_cmpx_lt_u32_e64 v13, v1
	s_cbranch_execz .LBB644_69
; %bb.61:
	s_and_not1_b32 vcc_lo, exec_lo, s4
	s_cbranch_vccnz .LBB644_67
; %bb.62:
	v_mul_u64_e32 v[8:9], s[12:13], v[6:7]
	v_mul_u64_e32 v[10:11], s[12:13], v[18:19]
	s_mov_b32 s19, 0
	s_mov_b64 s[2:3], s[12:13]
                                        ; implicit-def: $sgpr20
                                        ; implicit-def: $sgpr21
                                        ; implicit-def: $sgpr22
                                        ; implicit-def: $sgpr23
	s_delay_alu instid0(VALU_DEP_2) | instskip(NEXT) | instid1(VALU_DEP_2)
	v_lshl_add_u64 v[8:9], v[8:9], 1, s[14:15]
	v_lshl_add_u64 v[10:11], v[10:11], 1, s[14:15]
	s_branch .LBB644_64
.LBB644_63:                             ;   in Loop: Header=BB644_64 Depth=1
	s_or_b32 exec_lo, exec_lo, s24
	s_delay_alu instid0(SALU_CYCLE_1) | instskip(NEXT) | instid1(SALU_CYCLE_1)
	s_and_b32 s24, exec_lo, s21
	s_or_b32 s19, s24, s19
	s_and_not1_b32 s23, s23, exec_lo
	s_and_b32 s0, s0, exec_lo
	s_and_not1_b32 s20, s20, exec_lo
	s_and_b32 s24, s22, exec_lo
	s_or_b32 s23, s23, s0
	s_or_b32 s20, s20, s24
	s_and_not1_b32 exec_lo, exec_lo, s19
	s_cbranch_execz .LBB644_66
.LBB644_64:                             ; =>This Inner Loop Header: Depth=1
	global_load_u16 v21, v[8:9], off
	global_load_u16 v22, v[10:11], off
	s_and_not1_b32 s22, s22, exec_lo
	s_or_b32 s21, s21, exec_lo
	s_wait_loadcnt 0x0
	v_cmp_le_i16_e32 vcc_lo, v21, v22
	v_cmp_lt_i16_e64 s0, v21, v22
	s_and_b32 s24, vcc_lo, s23
	s_delay_alu instid0(SALU_CYCLE_1) | instskip(NEXT) | instid1(SALU_CYCLE_1)
	s_or_b32 s0, s0, s24
	s_and_b32 s24, s0, exec_lo
	s_delay_alu instid0(SALU_CYCLE_1)
	s_or_b32 s22, s22, s24
	s_mov_b32 s24, exec_lo
	v_cmpx_eq_u16_e64 v21, v22
	s_cbranch_execz .LBB644_63
; %bb.65:                               ;   in Loop: Header=BB644_64 Depth=1
	s_add_nc_u64 s[2:3], s[2:3], -1
	v_add_nc_u64_e32 v[8:9], 2, v[8:9]
	s_cmp_eq_u64 s[2:3], 0
	v_add_nc_u64_e32 v[10:11], 2, v[10:11]
	s_cselect_b32 s23, -1, 0
	s_and_not1_b32 s21, s21, exec_lo
	s_and_b32 s23, s23, exec_lo
	s_and_not1_b32 s22, s22, exec_lo
	s_or_b32 s21, s21, s23
                                        ; implicit-def: $sgpr23
	s_branch .LBB644_63
.LBB644_66:
	s_or_b32 exec_lo, exec_lo, s19
	s_xor_b32 s0, s20, -1
	s_branch .LBB644_68
.LBB644_67:
	s_mov_b32 s0, -1
.LBB644_68:
	s_delay_alu instid0(SALU_CYCLE_1)
	s_and_b32 s0, s0, exec_lo
.LBB644_69:
	s_or_b32 exec_lo, exec_lo, s11
	s_delay_alu instid0(SALU_CYCLE_1)
	s_or_not1_b32 s11, s0, exec_lo
.LBB644_70:
	s_or_b32 exec_lo, exec_lo, s18
	v_cndmask_b32_e64 v8, v12, v13, s11
	v_cndmask_b32_e64 v9, v36, v1, s11
	s_mov_b32 s19, -1
	s_mov_b32 s18, -1
	s_mov_b32 s20, exec_lo
	v_add_nc_u32_e32 v8, 1, v8
	s_delay_alu instid0(VALU_DEP_1) | instskip(NEXT) | instid1(VALU_DEP_1)
	v_add_min_u32_e64 v9, v9, -1, v8
	v_dual_cndmask_b32 v21, v8, v12, s11 :: v_dual_lshlrev_b32 v9, 3, v9
	ds_load_b64 v[10:11], v9
	s_wait_dscnt 0x0
	v_dual_cndmask_b32 v24, v13, v8, s11 :: v_dual_cndmask_b32 v8, v10, v6, s11
	v_cndmask_b32_e64 v9, v11, v7, s11
	v_dual_cndmask_b32 v23, v19, v11, s11 :: v_dual_cndmask_b32 v22, v18, v10, s11
	v_cmpx_lt_u32_e64 v21, v36
	s_cbranch_execz .LBB644_81
; %bb.71:
	s_mov_b32 s0, 0
	s_mov_b32 s18, exec_lo
	v_cmpx_lt_u32_e64 v24, v1
	s_cbranch_execz .LBB644_80
; %bb.72:
	s_and_not1_b32 vcc_lo, exec_lo, s4
	s_cbranch_vccnz .LBB644_78
; %bb.73:
	v_mul_u64_e32 v[10:11], s[12:13], v[8:9]
	v_mul_u64_e32 v[12:13], s[12:13], v[22:23]
	s_mov_b32 s21, 0
	s_mov_b64 s[2:3], s[12:13]
                                        ; implicit-def: $sgpr22
                                        ; implicit-def: $sgpr23
                                        ; implicit-def: $sgpr24
                                        ; implicit-def: $sgpr25
	s_delay_alu instid0(VALU_DEP_2) | instskip(NEXT) | instid1(VALU_DEP_2)
	v_lshl_add_u64 v[10:11], v[10:11], 1, s[14:15]
	v_lshl_add_u64 v[12:13], v[12:13], 1, s[14:15]
	s_branch .LBB644_75
.LBB644_74:                             ;   in Loop: Header=BB644_75 Depth=1
	s_or_b32 exec_lo, exec_lo, s26
	s_delay_alu instid0(SALU_CYCLE_1) | instskip(NEXT) | instid1(SALU_CYCLE_1)
	s_and_b32 s26, exec_lo, s23
	s_or_b32 s21, s26, s21
	s_and_not1_b32 s25, s25, exec_lo
	s_and_b32 s0, s0, exec_lo
	s_and_not1_b32 s22, s22, exec_lo
	s_and_b32 s26, s24, exec_lo
	s_or_b32 s25, s25, s0
	s_or_b32 s22, s22, s26
	s_and_not1_b32 exec_lo, exec_lo, s21
	s_cbranch_execz .LBB644_77
.LBB644_75:                             ; =>This Inner Loop Header: Depth=1
	global_load_u16 v25, v[10:11], off
	global_load_u16 v26, v[12:13], off
	s_and_not1_b32 s24, s24, exec_lo
	s_or_b32 s23, s23, exec_lo
	s_wait_loadcnt 0x0
	v_cmp_le_i16_e32 vcc_lo, v25, v26
	v_cmp_lt_i16_e64 s0, v25, v26
	s_and_b32 s26, vcc_lo, s25
	s_delay_alu instid0(SALU_CYCLE_1) | instskip(NEXT) | instid1(SALU_CYCLE_1)
	s_or_b32 s0, s0, s26
	s_and_b32 s26, s0, exec_lo
	s_delay_alu instid0(SALU_CYCLE_1)
	s_or_b32 s24, s24, s26
	s_mov_b32 s26, exec_lo
	v_cmpx_eq_u16_e64 v25, v26
	s_cbranch_execz .LBB644_74
; %bb.76:                               ;   in Loop: Header=BB644_75 Depth=1
	s_add_nc_u64 s[2:3], s[2:3], -1
	v_add_nc_u64_e32 v[10:11], 2, v[10:11]
	s_cmp_eq_u64 s[2:3], 0
	v_add_nc_u64_e32 v[12:13], 2, v[12:13]
	s_cselect_b32 s25, -1, 0
	s_and_not1_b32 s23, s23, exec_lo
	s_and_b32 s25, s25, exec_lo
	s_and_not1_b32 s24, s24, exec_lo
	s_or_b32 s23, s23, s25
                                        ; implicit-def: $sgpr25
	s_branch .LBB644_74
.LBB644_77:
	s_or_b32 exec_lo, exec_lo, s21
	s_xor_b32 s0, s22, -1
	s_branch .LBB644_79
.LBB644_78:
	s_mov_b32 s0, -1
.LBB644_79:
	s_delay_alu instid0(SALU_CYCLE_1)
	s_and_b32 s0, s0, exec_lo
.LBB644_80:
	s_or_b32 exec_lo, exec_lo, s18
	s_delay_alu instid0(SALU_CYCLE_1)
	s_or_not1_b32 s18, s0, exec_lo
.LBB644_81:
	s_or_b32 exec_lo, exec_lo, s20
	v_dual_cndmask_b32 v10, v21, v24, s18 :: v_dual_cndmask_b32 v11, v36, v1, s18
	s_mov_b32 s20, exec_lo
	s_delay_alu instid0(VALU_DEP_1) | instskip(NEXT) | instid1(VALU_DEP_1)
	v_add_nc_u32_e32 v10, 1, v10
	v_add_min_u32_e64 v11, v11, -1, v10
	s_delay_alu instid0(VALU_DEP_1)
	v_dual_lshlrev_b32 v11, 3, v11 :: v_dual_cndmask_b32 v21, v10, v21, s18
	v_cndmask_b32_e64 v28, v24, v10, s18
	ds_load_b64 v[12:13], v11
	s_wait_dscnt 0x0
	v_dual_cndmask_b32 v11, v13, v9, s18 :: v_dual_cndmask_b32 v10, v12, v8, s18
	v_dual_cndmask_b32 v25, v23, v13, s18 :: v_dual_cndmask_b32 v24, v22, v12, s18
	v_cmpx_lt_u32_e64 v21, v36
	s_cbranch_execz .LBB644_92
; %bb.82:
	s_mov_b32 s0, 0
	s_mov_b32 s19, exec_lo
	v_cmpx_lt_u32_e64 v28, v1
	s_cbranch_execz .LBB644_91
; %bb.83:
	s_and_not1_b32 vcc_lo, exec_lo, s4
	s_cbranch_vccnz .LBB644_89
; %bb.84:
	v_mul_u64_e32 v[12:13], s[12:13], v[10:11]
	v_mul_u64_e32 v[26:27], s[12:13], v[24:25]
	s_mov_b32 s21, 0
	s_mov_b64 s[2:3], s[12:13]
                                        ; implicit-def: $sgpr22
                                        ; implicit-def: $sgpr23
                                        ; implicit-def: $sgpr24
                                        ; implicit-def: $sgpr25
	s_delay_alu instid0(VALU_DEP_2) | instskip(NEXT) | instid1(VALU_DEP_2)
	v_lshl_add_u64 v[12:13], v[12:13], 1, s[14:15]
	v_lshl_add_u64 v[26:27], v[26:27], 1, s[14:15]
	s_branch .LBB644_86
.LBB644_85:                             ;   in Loop: Header=BB644_86 Depth=1
	s_or_b32 exec_lo, exec_lo, s26
	s_delay_alu instid0(SALU_CYCLE_1) | instskip(NEXT) | instid1(SALU_CYCLE_1)
	s_and_b32 s26, exec_lo, s23
	s_or_b32 s21, s26, s21
	s_and_not1_b32 s25, s25, exec_lo
	s_and_b32 s0, s0, exec_lo
	s_and_not1_b32 s22, s22, exec_lo
	s_and_b32 s26, s24, exec_lo
	s_or_b32 s25, s25, s0
	s_or_b32 s22, s22, s26
	s_and_not1_b32 exec_lo, exec_lo, s21
	s_cbranch_execz .LBB644_88
.LBB644_86:                             ; =>This Inner Loop Header: Depth=1
	global_load_u16 v29, v[12:13], off
	global_load_u16 v30, v[26:27], off
	s_and_not1_b32 s24, s24, exec_lo
	s_or_b32 s23, s23, exec_lo
	s_wait_loadcnt 0x0
	v_cmp_le_i16_e32 vcc_lo, v29, v30
	v_cmp_lt_i16_e64 s0, v29, v30
	s_and_b32 s26, vcc_lo, s25
	s_delay_alu instid0(SALU_CYCLE_1) | instskip(NEXT) | instid1(SALU_CYCLE_1)
	s_or_b32 s0, s0, s26
	s_and_b32 s26, s0, exec_lo
	s_delay_alu instid0(SALU_CYCLE_1)
	s_or_b32 s24, s24, s26
	s_mov_b32 s26, exec_lo
	v_cmpx_eq_u16_e64 v29, v30
	s_cbranch_execz .LBB644_85
; %bb.87:                               ;   in Loop: Header=BB644_86 Depth=1
	s_add_nc_u64 s[2:3], s[2:3], -1
	v_add_nc_u64_e32 v[12:13], 2, v[12:13]
	s_cmp_eq_u64 s[2:3], 0
	v_add_nc_u64_e32 v[26:27], 2, v[26:27]
	s_cselect_b32 s25, -1, 0
	s_and_not1_b32 s23, s23, exec_lo
	s_and_b32 s25, s25, exec_lo
	s_and_not1_b32 s24, s24, exec_lo
	s_or_b32 s23, s23, s25
                                        ; implicit-def: $sgpr25
	s_branch .LBB644_85
.LBB644_88:
	s_or_b32 exec_lo, exec_lo, s21
	s_xor_b32 s0, s22, -1
	s_branch .LBB644_90
.LBB644_89:
	s_mov_b32 s0, -1
.LBB644_90:
	s_delay_alu instid0(SALU_CYCLE_1)
	s_and_b32 s0, s0, exec_lo
.LBB644_91:
	s_or_b32 exec_lo, exec_lo, s19
	s_delay_alu instid0(SALU_CYCLE_1)
	s_or_not1_b32 s19, s0, exec_lo
.LBB644_92:
	s_or_b32 exec_lo, exec_lo, s20
	v_dual_cndmask_b32 v12, v21, v28, s19 :: v_dual_cndmask_b32 v13, v36, v1, s19
	s_mov_b32 s20, -1
	s_mov_b32 s21, -1
	s_mov_b32 s22, exec_lo
	s_delay_alu instid0(VALU_DEP_1) | instskip(NEXT) | instid1(VALU_DEP_1)
	v_add_nc_u32_e32 v12, 1, v12
	v_add_min_u32_e64 v13, v13, -1, v12
	s_delay_alu instid0(VALU_DEP_1)
	v_lshlrev_b32_e32 v13, 3, v13
	ds_load_b64 v[26:27], v13
	v_cndmask_b32_e64 v21, v12, v21, s19
	s_wait_dscnt 0x0
	v_dual_cndmask_b32 v32, v28, v12, s19 :: v_dual_cndmask_b32 v12, v26, v10, s19
	v_cndmask_b32_e64 v13, v27, v11, s19
	v_dual_cndmask_b32 v27, v25, v27, s19 :: v_dual_cndmask_b32 v26, v24, v26, s19
	v_cmpx_lt_u32_e64 v21, v36
	s_cbranch_execz .LBB644_103
; %bb.93:
	s_mov_b32 s0, 0
	s_mov_b32 s21, exec_lo
	v_cmpx_lt_u32_e64 v32, v1
	s_cbranch_execz .LBB644_102
; %bb.94:
	s_and_not1_b32 vcc_lo, exec_lo, s4
	s_cbranch_vccnz .LBB644_100
; %bb.95:
	v_mul_u64_e32 v[28:29], s[12:13], v[12:13]
	v_mul_u64_e32 v[30:31], s[12:13], v[26:27]
	s_mov_b32 s23, 0
	s_mov_b64 s[2:3], s[12:13]
                                        ; implicit-def: $sgpr24
                                        ; implicit-def: $sgpr25
                                        ; implicit-def: $sgpr26
                                        ; implicit-def: $sgpr27
	s_delay_alu instid0(VALU_DEP_2) | instskip(NEXT) | instid1(VALU_DEP_2)
	v_lshl_add_u64 v[28:29], v[28:29], 1, s[14:15]
	v_lshl_add_u64 v[30:31], v[30:31], 1, s[14:15]
	s_branch .LBB644_97
.LBB644_96:                             ;   in Loop: Header=BB644_97 Depth=1
	s_or_b32 exec_lo, exec_lo, s28
	s_delay_alu instid0(SALU_CYCLE_1) | instskip(NEXT) | instid1(SALU_CYCLE_1)
	s_and_b32 s28, exec_lo, s25
	s_or_b32 s23, s28, s23
	s_and_not1_b32 s27, s27, exec_lo
	s_and_b32 s0, s0, exec_lo
	s_and_not1_b32 s24, s24, exec_lo
	s_and_b32 s28, s26, exec_lo
	s_or_b32 s27, s27, s0
	s_or_b32 s24, s24, s28
	s_and_not1_b32 exec_lo, exec_lo, s23
	s_cbranch_execz .LBB644_99
.LBB644_97:                             ; =>This Inner Loop Header: Depth=1
	global_load_u16 v33, v[28:29], off
	global_load_u16 v34, v[30:31], off
	s_and_not1_b32 s26, s26, exec_lo
	s_or_b32 s25, s25, exec_lo
	s_wait_loadcnt 0x0
	v_cmp_le_i16_e32 vcc_lo, v33, v34
	v_cmp_lt_i16_e64 s0, v33, v34
	s_and_b32 s28, vcc_lo, s27
	s_delay_alu instid0(SALU_CYCLE_1) | instskip(NEXT) | instid1(SALU_CYCLE_1)
	s_or_b32 s0, s0, s28
	s_and_b32 s28, s0, exec_lo
	s_delay_alu instid0(SALU_CYCLE_1)
	s_or_b32 s26, s26, s28
	s_mov_b32 s28, exec_lo
	v_cmpx_eq_u16_e64 v33, v34
	s_cbranch_execz .LBB644_96
; %bb.98:                               ;   in Loop: Header=BB644_97 Depth=1
	s_add_nc_u64 s[2:3], s[2:3], -1
	v_add_nc_u64_e32 v[28:29], 2, v[28:29]
	s_cmp_eq_u64 s[2:3], 0
	v_add_nc_u64_e32 v[30:31], 2, v[30:31]
	s_cselect_b32 s27, -1, 0
	s_and_not1_b32 s25, s25, exec_lo
	s_and_b32 s27, s27, exec_lo
	s_and_not1_b32 s26, s26, exec_lo
	s_or_b32 s25, s25, s27
                                        ; implicit-def: $sgpr27
	s_branch .LBB644_96
.LBB644_99:
	s_or_b32 exec_lo, exec_lo, s23
	s_xor_b32 s0, s24, -1
	s_branch .LBB644_101
.LBB644_100:
	s_mov_b32 s0, -1
.LBB644_101:
	s_delay_alu instid0(SALU_CYCLE_1)
	s_and_b32 s0, s0, exec_lo
.LBB644_102:
	s_or_b32 exec_lo, exec_lo, s21
	s_delay_alu instid0(SALU_CYCLE_1)
	s_or_not1_b32 s21, s0, exec_lo
.LBB644_103:
	s_or_b32 exec_lo, exec_lo, s22
	v_dual_cndmask_b32 v28, v21, v32, s21 :: v_dual_cndmask_b32 v29, v36, v1, s21
	s_mov_b32 s22, exec_lo
	s_delay_alu instid0(VALU_DEP_1) | instskip(NEXT) | instid1(VALU_DEP_1)
	v_add_nc_u32_e32 v28, 1, v28
	v_add_min_u32_e64 v29, v29, -1, v28
	s_delay_alu instid0(VALU_DEP_1)
	v_lshlrev_b32_e32 v29, 3, v29
	ds_load_b64 v[30:31], v29
	v_cndmask_b32_e64 v37, v28, v21, s21
	s_wait_dscnt 0x0
	v_dual_cndmask_b32 v21, v32, v28, s21 :: v_dual_cndmask_b32 v29, v31, v13, s21
	v_dual_cndmask_b32 v28, v30, v12, s21 :: v_dual_cndmask_b32 v31, v27, v31, s21
	v_cndmask_b32_e64 v30, v26, v30, s21
	v_cmpx_lt_u32_e64 v37, v36
	s_cbranch_execz .LBB644_114
; %bb.104:
	s_mov_b32 s0, 0
	s_mov_b32 s20, exec_lo
	v_cmpx_lt_u32_e64 v21, v1
	s_cbranch_execz .LBB644_113
; %bb.105:
	s_and_not1_b32 vcc_lo, exec_lo, s4
	s_cbranch_vccnz .LBB644_111
; %bb.106:
	v_mul_u64_e32 v[32:33], s[12:13], v[28:29]
	v_mul_u64_e32 v[34:35], s[12:13], v[30:31]
	s_mov_b32 s23, 0
	s_mov_b64 s[2:3], s[12:13]
                                        ; implicit-def: $sgpr24
                                        ; implicit-def: $sgpr25
                                        ; implicit-def: $sgpr26
                                        ; implicit-def: $sgpr27
	s_delay_alu instid0(VALU_DEP_2) | instskip(NEXT) | instid1(VALU_DEP_2)
	v_lshl_add_u64 v[32:33], v[32:33], 1, s[14:15]
	v_lshl_add_u64 v[34:35], v[34:35], 1, s[14:15]
	s_branch .LBB644_108
.LBB644_107:                            ;   in Loop: Header=BB644_108 Depth=1
	s_or_b32 exec_lo, exec_lo, s28
	s_delay_alu instid0(SALU_CYCLE_1) | instskip(NEXT) | instid1(SALU_CYCLE_1)
	s_and_b32 s28, exec_lo, s25
	s_or_b32 s23, s28, s23
	s_and_not1_b32 s27, s27, exec_lo
	s_and_b32 s0, s0, exec_lo
	s_and_not1_b32 s24, s24, exec_lo
	s_and_b32 s28, s26, exec_lo
	s_or_b32 s27, s27, s0
	s_or_b32 s24, s24, s28
	s_and_not1_b32 exec_lo, exec_lo, s23
	s_cbranch_execz .LBB644_110
.LBB644_108:                            ; =>This Inner Loop Header: Depth=1
	global_load_u16 v38, v[32:33], off
	global_load_u16 v39, v[34:35], off
	s_and_not1_b32 s26, s26, exec_lo
	s_or_b32 s25, s25, exec_lo
	s_wait_loadcnt 0x0
	v_cmp_le_i16_e32 vcc_lo, v38, v39
	v_cmp_lt_i16_e64 s0, v38, v39
	s_and_b32 s28, vcc_lo, s27
	s_delay_alu instid0(SALU_CYCLE_1) | instskip(NEXT) | instid1(SALU_CYCLE_1)
	s_or_b32 s0, s0, s28
	s_and_b32 s28, s0, exec_lo
	s_delay_alu instid0(SALU_CYCLE_1)
	s_or_b32 s26, s26, s28
	s_mov_b32 s28, exec_lo
	v_cmpx_eq_u16_e64 v38, v39
	s_cbranch_execz .LBB644_107
; %bb.109:                              ;   in Loop: Header=BB644_108 Depth=1
	s_add_nc_u64 s[2:3], s[2:3], -1
	v_add_nc_u64_e32 v[32:33], 2, v[32:33]
	s_cmp_eq_u64 s[2:3], 0
	v_add_nc_u64_e32 v[34:35], 2, v[34:35]
	s_cselect_b32 s27, -1, 0
	s_and_not1_b32 s25, s25, exec_lo
	s_and_b32 s27, s27, exec_lo
	s_and_not1_b32 s26, s26, exec_lo
	s_or_b32 s25, s25, s27
                                        ; implicit-def: $sgpr27
	s_branch .LBB644_107
.LBB644_110:
	s_or_b32 exec_lo, exec_lo, s23
	s_xor_b32 s0, s24, -1
	s_branch .LBB644_112
.LBB644_111:
	s_mov_b32 s0, -1
.LBB644_112:
	s_delay_alu instid0(SALU_CYCLE_1)
	s_and_b32 s0, s0, exec_lo
.LBB644_113:
	s_or_b32 exec_lo, exec_lo, s20
	s_delay_alu instid0(SALU_CYCLE_1)
	s_or_not1_b32 s20, s0, exec_lo
.LBB644_114:
	s_or_b32 exec_lo, exec_lo, s22
	v_dual_cndmask_b32 v32, v37, v21, s20 :: v_dual_cndmask_b32 v12, v12, v26, s21
	v_cndmask_b32_e64 v33, v36, v1, s20
	v_dual_cndmask_b32 v11, v11, v25, s19 :: v_dual_cndmask_b32 v10, v10, v24, s19
	s_delay_alu instid0(VALU_DEP_3) | instskip(SKIP_2) | instid1(VALU_DEP_3)
	v_dual_add_nc_u32 v34, 1, v32 :: v_dual_cndmask_b32 v9, v9, v23, s18
	v_dual_cndmask_b32 v8, v8, v22, s18 :: v_dual_cndmask_b32 v7, v7, v19, s11
	v_cndmask_b32_e64 v6, v6, v18, s11
	v_add_min_u32_e64 v32, v33, -1, v34
	v_dual_cndmask_b32 v5, v5, v17, s10 :: v_dual_cndmask_b32 v4, v4, v16, s10
	v_dual_cndmask_b32 v3, v15, v3, s5 :: v_dual_cndmask_b32 v2, v14, v2, s5
	s_delay_alu instid0(VALU_DEP_3)
	v_dual_lshlrev_b32 v32, 3, v32 :: v_dual_cndmask_b32 v13, v13, v27, s21
	v_dual_cndmask_b32 v18, v34, v37, s20 :: v_dual_cndmask_b32 v15, v29, v31, s20
	s_mov_b32 s2, exec_lo
	ds_load_b64 v[32:33], v32
	s_wait_dscnt 0x0
	v_dual_cndmask_b32 v14, v28, v30, s20 :: v_dual_cndmask_b32 v17, v31, v33, s20
	v_cndmask_b32_e64 v16, v30, v32, s20
	v_cmpx_lt_u32_e64 v18, v36
	s_cbranch_execz .LBB644_124
; %bb.115:
	v_dual_cndmask_b32 v21, v21, v34, s20 :: v_dual_cndmask_b32 v18, v32, v28, s20
	v_cndmask_b32_e64 v19, v33, v29, s20
	s_mov_b32 s3, exec_lo
	s_delay_alu instid0(VALU_DEP_2)
	v_cmpx_lt_u32_e64 v21, v1
	s_cbranch_execz .LBB644_123
; %bb.116:
	s_and_not1_b32 vcc_lo, exec_lo, s4
	s_cbranch_vccnz .LBB644_122
; %bb.117:
	v_mul_u64_e32 v[22:23], s[12:13], v[18:19]
	v_mul_u64_e32 v[24:25], s[12:13], v[16:17]
	s_mov_b32 s4, 0
                                        ; implicit-def: $sgpr5
                                        ; implicit-def: $sgpr10
                                        ; implicit-def: $sgpr11
	s_delay_alu instid0(VALU_DEP_2) | instskip(NEXT) | instid1(VALU_DEP_2)
	v_lshl_add_u64 v[22:23], v[22:23], 1, s[14:15]
	v_lshl_add_u64 v[24:25], v[24:25], 1, s[14:15]
                                        ; implicit-def: $sgpr14
	s_branch .LBB644_119
.LBB644_118:                            ;   in Loop: Header=BB644_119 Depth=1
	s_or_b32 exec_lo, exec_lo, s15
	s_delay_alu instid0(SALU_CYCLE_1) | instskip(NEXT) | instid1(SALU_CYCLE_1)
	s_and_b32 s15, exec_lo, s10
	s_or_b32 s4, s15, s4
	s_and_not1_b32 s14, s14, exec_lo
	s_and_b32 s0, s0, exec_lo
	s_and_not1_b32 s5, s5, exec_lo
	s_and_b32 s15, s11, exec_lo
	s_or_b32 s14, s14, s0
	s_or_b32 s5, s5, s15
	s_and_not1_b32 exec_lo, exec_lo, s4
	s_cbranch_execz .LBB644_121
.LBB644_119:                            ; =>This Inner Loop Header: Depth=1
	global_load_u16 v1, v[22:23], off
	global_load_u16 v21, v[24:25], off
	s_and_not1_b32 s11, s11, exec_lo
	s_or_b32 s10, s10, exec_lo
	s_wait_loadcnt 0x0
	v_cmp_le_i16_e32 vcc_lo, v1, v21
	v_cmp_lt_i16_e64 s0, v1, v21
	s_and_b32 s15, vcc_lo, s14
	s_delay_alu instid0(SALU_CYCLE_1) | instskip(NEXT) | instid1(SALU_CYCLE_1)
	s_or_b32 s0, s0, s15
	s_and_b32 s15, s0, exec_lo
	s_delay_alu instid0(SALU_CYCLE_1)
	s_or_b32 s11, s11, s15
	s_mov_b32 s15, exec_lo
	v_cmpx_eq_u16_e64 v1, v21
	s_cbranch_execz .LBB644_118
; %bb.120:                              ;   in Loop: Header=BB644_119 Depth=1
	s_add_nc_u64 s[12:13], s[12:13], -1
	v_add_nc_u64_e32 v[22:23], 2, v[22:23]
	s_cmp_eq_u64 s[12:13], 0
	v_add_nc_u64_e32 v[24:25], 2, v[24:25]
	s_cselect_b32 s14, -1, 0
	s_and_not1_b32 s10, s10, exec_lo
	s_and_b32 s14, s14, exec_lo
	s_and_not1_b32 s11, s11, exec_lo
	s_or_b32 s10, s10, s14
                                        ; implicit-def: $sgpr14
	s_branch .LBB644_118
.LBB644_121:
	s_or_b32 exec_lo, exec_lo, s4
	v_dual_cndmask_b32 v17, v17, v19, s5 :: v_dual_cndmask_b32 v16, v16, v18, s5
.LBB644_122:
	s_delay_alu instid0(VALU_DEP_1)
	v_mov_b64_e32 v[18:19], v[16:17]
.LBB644_123:
	s_or_b32 exec_lo, exec_lo, s3
	s_delay_alu instid0(VALU_DEP_1)
	v_mov_b64_e32 v[16:17], v[18:19]
.LBB644_124:
	s_or_b32 exec_lo, exec_lo, s2
.LBB644_125:
	s_delay_alu instid0(SALU_CYCLE_1) | instskip(SKIP_4) | instid1(VALU_DEP_4)
	s_or_b32 exec_lo, exec_lo, s1
	v_or_b32_e32 v25, 0x80, v0
	v_lshrrev_b32_e32 v1, 2, v0
	v_or_b32_e32 v22, 0x100, v0
	v_lshlrev_b32_e32 v18, 3, v20
	v_lshrrev_b32_e32 v19, 2, v25
	s_barrier_signal -1
	s_delay_alu instid0(VALU_DEP_3) | instskip(NEXT) | instid1(VALU_DEP_3)
	v_lshrrev_b32_e32 v21, 2, v22
	v_lshl_add_u32 v18, v1, 3, v18
	s_barrier_wait -1
	s_barrier_signal -1
	s_barrier_wait -1
	ds_store_2addr_b64 v18, v[2:3], v[4:5] offset1:1
	ds_store_2addr_b64 v18, v[6:7], v[8:9] offset0:2 offset1:3
	v_and_b32_e32 v2, 56, v19
	v_and_b32_e32 v1, 24, v1
	v_or_b32_e32 v24, 0x180, v0
	v_and_b32_e32 v3, 0x58, v21
	v_or_b32_e32 v23, 0x200, v0
	s_delay_alu instid0(VALU_DEP_4) | instskip(NEXT) | instid1(VALU_DEP_4)
	v_dual_add_nc_u32 v6, v2, v20 :: v_dual_add_nc_u32 v26, v1, v20
	v_lshrrev_b32_e32 v1, 2, v24
	ds_store_2addr_b64 v18, v[10:11], v[12:13] offset0:4 offset1:5
	ds_store_2addr_b64 v18, v[14:15], v[16:17] offset0:6 offset1:7
	v_or_b32_e32 v19, 0x280, v0
	v_add_nc_u32_e32 v7, v3, v20
	v_or_b32_e32 v18, 0x300, v0
	v_lshrrev_b32_e32 v3, 2, v23
	v_and_b32_e32 v2, 0x78, v1
	v_or_b32_e32 v1, 0x380, v0
	s_delay_alu instid0(VALU_DEP_4) | instskip(NEXT) | instid1(VALU_DEP_4)
	v_dual_lshrrev_b32 v4, 2, v19 :: v_dual_lshrrev_b32 v5, 2, v18
	v_and_b32_e32 v3, 0x98, v3
	s_delay_alu instid0(VALU_DEP_3)
	v_dual_add_nc_u32 v8, v2, v20 :: v_dual_lshrrev_b32 v2, 2, v1
	v_mov_b32_e32 v21, 0
	s_lshl_b64 s[0:1], s[16:17], 3
	v_and_b32_e32 v4, 0xb8, v4
	v_and_b32_e32 v5, 0xd8, v5
	;; [unrolled: 1-line block ×3, first 2 shown]
	s_add_nc_u64 s[0:1], s[6:7], s[0:1]
	s_delay_alu instid0(VALU_DEP_3) | instskip(SKIP_1) | instid1(VALU_DEP_3)
	v_dual_add_nc_u32 v9, v3, v20 :: v_dual_add_nc_u32 v27, v4, v20
	v_add_nc_u64_e32 v[2:3], s[0:1], v[20:21]
	v_dual_add_nc_u32 v28, v5, v20 :: v_dual_add_nc_u32 v20, v10, v20
	s_and_b32 vcc_lo, exec_lo, s9
	s_wait_dscnt 0x0
	s_cbranch_vccz .LBB644_127
; %bb.126:
	s_barrier_signal -1
	s_barrier_wait -1
	ds_load_b64 v[10:11], v26
	ds_load_b64 v[12:13], v6 offset:1024
	ds_load_b64 v[14:15], v7 offset:2048
	;; [unrolled: 1-line block ×7, first 2 shown]
	s_mov_b32 s0, -1
	s_wait_dscnt 0x7
	global_store_b64 v[2:3], v[10:11], off
	s_wait_dscnt 0x6
	global_store_b64 v[2:3], v[12:13], off offset:1024
	s_wait_dscnt 0x5
	global_store_b64 v[2:3], v[14:15], off offset:2048
	;; [unrolled: 2-line block ×6, first 2 shown]
	s_cbranch_execz .LBB644_128
	s_branch .LBB644_137
.LBB644_127:
	s_mov_b32 s0, 0
                                        ; implicit-def: $vgpr4_vgpr5
.LBB644_128:
	s_barrier_signal -1
	s_barrier_wait -1
	s_wait_storecnt_dscnt 0x0
	s_wait_xcnt 0x3
	ds_load_b64 v[16:17], v6 offset:1024
	ds_load_b64 v[14:15], v7 offset:2048
	;; [unrolled: 1-line block ×7, first 2 shown]
	s_sub_co_i32 s0, s8, s16
	s_mov_b32 s1, exec_lo
	s_wait_xcnt 0x0
	v_cmpx_gt_u32_e64 s0, v0
	s_cbranch_execnz .LBB644_140
; %bb.129:
	s_or_b32 exec_lo, exec_lo, s1
	s_delay_alu instid0(SALU_CYCLE_1)
	s_mov_b32 s1, exec_lo
	v_cmpx_gt_u32_e64 s0, v25
	s_cbranch_execnz .LBB644_141
.LBB644_130:
	s_or_b32 exec_lo, exec_lo, s1
	s_delay_alu instid0(SALU_CYCLE_1)
	s_mov_b32 s1, exec_lo
	v_cmpx_gt_u32_e64 s0, v22
	s_cbranch_execnz .LBB644_142
.LBB644_131:
	s_or_b32 exec_lo, exec_lo, s1
	s_delay_alu instid0(SALU_CYCLE_1)
	s_mov_b32 s1, exec_lo
	v_cmpx_gt_u32_e64 s0, v24
	s_cbranch_execnz .LBB644_143
.LBB644_132:
	s_or_b32 exec_lo, exec_lo, s1
	s_delay_alu instid0(SALU_CYCLE_1)
	s_mov_b32 s1, exec_lo
	v_cmpx_gt_u32_e64 s0, v23
	s_cbranch_execnz .LBB644_144
.LBB644_133:
	s_or_b32 exec_lo, exec_lo, s1
	s_delay_alu instid0(SALU_CYCLE_1)
	s_mov_b32 s1, exec_lo
	v_cmpx_gt_u32_e64 s0, v19
	s_cbranch_execnz .LBB644_145
.LBB644_134:
	s_or_b32 exec_lo, exec_lo, s1
	s_delay_alu instid0(SALU_CYCLE_1)
	s_mov_b32 s1, exec_lo
	v_cmpx_gt_u32_e64 s0, v18
	s_cbranch_execz .LBB644_136
.LBB644_135:
	s_wait_dscnt 0x1
	global_store_b64 v[2:3], v[6:7], off offset:6144
.LBB644_136:
	s_wait_xcnt 0x0
	s_or_b32 exec_lo, exec_lo, s1
	v_cmp_gt_u32_e64 s0, s0, v1
.LBB644_137:
	s_wait_xcnt 0x0
	s_delay_alu instid0(VALU_DEP_1)
	s_and_saveexec_b32 s1, s0
	s_cbranch_execz .LBB644_139
; %bb.138:
	s_wait_dscnt 0x0
	global_store_b64 v[2:3], v[4:5], off offset:7168
.LBB644_139:
	s_endpgm
.LBB644_140:
	ds_load_b64 v[20:21], v26
	s_wait_dscnt 0x0
	global_store_b64 v[2:3], v[20:21], off
	s_wait_xcnt 0x0
	s_or_b32 exec_lo, exec_lo, s1
	s_delay_alu instid0(SALU_CYCLE_1)
	s_mov_b32 s1, exec_lo
	v_cmpx_gt_u32_e64 s0, v25
	s_cbranch_execz .LBB644_130
.LBB644_141:
	s_wait_dscnt 0x6
	global_store_b64 v[2:3], v[16:17], off offset:1024
	s_wait_xcnt 0x0
	s_or_b32 exec_lo, exec_lo, s1
	s_delay_alu instid0(SALU_CYCLE_1)
	s_mov_b32 s1, exec_lo
	v_cmpx_gt_u32_e64 s0, v22
	s_cbranch_execz .LBB644_131
.LBB644_142:
	s_wait_dscnt 0x5
	global_store_b64 v[2:3], v[14:15], off offset:2048
	s_wait_xcnt 0x0
	s_or_b32 exec_lo, exec_lo, s1
	s_delay_alu instid0(SALU_CYCLE_1)
	s_mov_b32 s1, exec_lo
	v_cmpx_gt_u32_e64 s0, v24
	s_cbranch_execz .LBB644_132
.LBB644_143:
	s_wait_dscnt 0x4
	global_store_b64 v[2:3], v[12:13], off offset:3072
	s_wait_xcnt 0x0
	s_or_b32 exec_lo, exec_lo, s1
	s_delay_alu instid0(SALU_CYCLE_1)
	s_mov_b32 s1, exec_lo
	v_cmpx_gt_u32_e64 s0, v23
	s_cbranch_execz .LBB644_133
.LBB644_144:
	s_wait_dscnt 0x3
	global_store_b64 v[2:3], v[10:11], off offset:4096
	s_wait_xcnt 0x0
	s_or_b32 exec_lo, exec_lo, s1
	s_delay_alu instid0(SALU_CYCLE_1)
	s_mov_b32 s1, exec_lo
	v_cmpx_gt_u32_e64 s0, v19
	s_cbranch_execz .LBB644_134
.LBB644_145:
	s_wait_dscnt 0x2
	global_store_b64 v[2:3], v[8:9], off offset:5120
	s_wait_xcnt 0x0
	s_or_b32 exec_lo, exec_lo, s1
	s_delay_alu instid0(SALU_CYCLE_1)
	s_mov_b32 s1, exec_lo
	v_cmpx_gt_u32_e64 s0, v18
	s_cbranch_execnz .LBB644_135
	s_branch .LBB644_136
	.section	.rodata,"a",@progbits
	.p2align	6, 0x0
	.amdhsa_kernel _ZN7rocprim17ROCPRIM_400000_NS6detail17trampoline_kernelINS0_14default_configENS1_38merge_sort_block_merge_config_selectorIlNS0_10empty_typeEEEZZNS1_27merge_sort_block_merge_implIS3_PlPS5_mZN2at6native12_GLOBAL__N_124unique_dim_cuda_templateIsEESt5tupleIJNSA_6TensorESF_SF_EERKSF_lbbbEUlllE_EE10hipError_tT0_T1_T2_jT3_P12ihipStream_tbPNSt15iterator_traitsISL_E10value_typeEPNSR_ISM_E10value_typeEPSN_NS1_7vsmem_tEENKUlT_SL_SM_SN_E_clIS8_S8_S9_S9_EESK_S10_SL_SM_SN_EUlS10_E0_NS1_11comp_targetILNS1_3genE0ELNS1_11target_archE4294967295ELNS1_3gpuE0ELNS1_3repE0EEENS1_38merge_mergepath_config_static_selectorELNS0_4arch9wavefront6targetE0EEEvSM_
		.amdhsa_group_segment_fixed_size 8448
		.amdhsa_private_segment_fixed_size 0
		.amdhsa_kernarg_size 344
		.amdhsa_user_sgpr_count 2
		.amdhsa_user_sgpr_dispatch_ptr 0
		.amdhsa_user_sgpr_queue_ptr 0
		.amdhsa_user_sgpr_kernarg_segment_ptr 1
		.amdhsa_user_sgpr_dispatch_id 0
		.amdhsa_user_sgpr_kernarg_preload_length 0
		.amdhsa_user_sgpr_kernarg_preload_offset 0
		.amdhsa_user_sgpr_private_segment_size 0
		.amdhsa_wavefront_size32 1
		.amdhsa_uses_dynamic_stack 0
		.amdhsa_enable_private_segment 0
		.amdhsa_system_sgpr_workgroup_id_x 1
		.amdhsa_system_sgpr_workgroup_id_y 1
		.amdhsa_system_sgpr_workgroup_id_z 1
		.amdhsa_system_sgpr_workgroup_info 0
		.amdhsa_system_vgpr_workitem_id 0
		.amdhsa_next_free_vgpr 40
		.amdhsa_next_free_sgpr 31
		.amdhsa_named_barrier_count 0
		.amdhsa_reserve_vcc 1
		.amdhsa_float_round_mode_32 0
		.amdhsa_float_round_mode_16_64 0
		.amdhsa_float_denorm_mode_32 3
		.amdhsa_float_denorm_mode_16_64 3
		.amdhsa_fp16_overflow 0
		.amdhsa_memory_ordered 1
		.amdhsa_forward_progress 1
		.amdhsa_inst_pref_size 53
		.amdhsa_round_robin_scheduling 0
		.amdhsa_exception_fp_ieee_invalid_op 0
		.amdhsa_exception_fp_denorm_src 0
		.amdhsa_exception_fp_ieee_div_zero 0
		.amdhsa_exception_fp_ieee_overflow 0
		.amdhsa_exception_fp_ieee_underflow 0
		.amdhsa_exception_fp_ieee_inexact 0
		.amdhsa_exception_int_div_zero 0
	.end_amdhsa_kernel
	.section	.text._ZN7rocprim17ROCPRIM_400000_NS6detail17trampoline_kernelINS0_14default_configENS1_38merge_sort_block_merge_config_selectorIlNS0_10empty_typeEEEZZNS1_27merge_sort_block_merge_implIS3_PlPS5_mZN2at6native12_GLOBAL__N_124unique_dim_cuda_templateIsEESt5tupleIJNSA_6TensorESF_SF_EERKSF_lbbbEUlllE_EE10hipError_tT0_T1_T2_jT3_P12ihipStream_tbPNSt15iterator_traitsISL_E10value_typeEPNSR_ISM_E10value_typeEPSN_NS1_7vsmem_tEENKUlT_SL_SM_SN_E_clIS8_S8_S9_S9_EESK_S10_SL_SM_SN_EUlS10_E0_NS1_11comp_targetILNS1_3genE0ELNS1_11target_archE4294967295ELNS1_3gpuE0ELNS1_3repE0EEENS1_38merge_mergepath_config_static_selectorELNS0_4arch9wavefront6targetE0EEEvSM_,"axG",@progbits,_ZN7rocprim17ROCPRIM_400000_NS6detail17trampoline_kernelINS0_14default_configENS1_38merge_sort_block_merge_config_selectorIlNS0_10empty_typeEEEZZNS1_27merge_sort_block_merge_implIS3_PlPS5_mZN2at6native12_GLOBAL__N_124unique_dim_cuda_templateIsEESt5tupleIJNSA_6TensorESF_SF_EERKSF_lbbbEUlllE_EE10hipError_tT0_T1_T2_jT3_P12ihipStream_tbPNSt15iterator_traitsISL_E10value_typeEPNSR_ISM_E10value_typeEPSN_NS1_7vsmem_tEENKUlT_SL_SM_SN_E_clIS8_S8_S9_S9_EESK_S10_SL_SM_SN_EUlS10_E0_NS1_11comp_targetILNS1_3genE0ELNS1_11target_archE4294967295ELNS1_3gpuE0ELNS1_3repE0EEENS1_38merge_mergepath_config_static_selectorELNS0_4arch9wavefront6targetE0EEEvSM_,comdat
.Lfunc_end644:
	.size	_ZN7rocprim17ROCPRIM_400000_NS6detail17trampoline_kernelINS0_14default_configENS1_38merge_sort_block_merge_config_selectorIlNS0_10empty_typeEEEZZNS1_27merge_sort_block_merge_implIS3_PlPS5_mZN2at6native12_GLOBAL__N_124unique_dim_cuda_templateIsEESt5tupleIJNSA_6TensorESF_SF_EERKSF_lbbbEUlllE_EE10hipError_tT0_T1_T2_jT3_P12ihipStream_tbPNSt15iterator_traitsISL_E10value_typeEPNSR_ISM_E10value_typeEPSN_NS1_7vsmem_tEENKUlT_SL_SM_SN_E_clIS8_S8_S9_S9_EESK_S10_SL_SM_SN_EUlS10_E0_NS1_11comp_targetILNS1_3genE0ELNS1_11target_archE4294967295ELNS1_3gpuE0ELNS1_3repE0EEENS1_38merge_mergepath_config_static_selectorELNS0_4arch9wavefront6targetE0EEEvSM_, .Lfunc_end644-_ZN7rocprim17ROCPRIM_400000_NS6detail17trampoline_kernelINS0_14default_configENS1_38merge_sort_block_merge_config_selectorIlNS0_10empty_typeEEEZZNS1_27merge_sort_block_merge_implIS3_PlPS5_mZN2at6native12_GLOBAL__N_124unique_dim_cuda_templateIsEESt5tupleIJNSA_6TensorESF_SF_EERKSF_lbbbEUlllE_EE10hipError_tT0_T1_T2_jT3_P12ihipStream_tbPNSt15iterator_traitsISL_E10value_typeEPNSR_ISM_E10value_typeEPSN_NS1_7vsmem_tEENKUlT_SL_SM_SN_E_clIS8_S8_S9_S9_EESK_S10_SL_SM_SN_EUlS10_E0_NS1_11comp_targetILNS1_3genE0ELNS1_11target_archE4294967295ELNS1_3gpuE0ELNS1_3repE0EEENS1_38merge_mergepath_config_static_selectorELNS0_4arch9wavefront6targetE0EEEvSM_
                                        ; -- End function
	.set _ZN7rocprim17ROCPRIM_400000_NS6detail17trampoline_kernelINS0_14default_configENS1_38merge_sort_block_merge_config_selectorIlNS0_10empty_typeEEEZZNS1_27merge_sort_block_merge_implIS3_PlPS5_mZN2at6native12_GLOBAL__N_124unique_dim_cuda_templateIsEESt5tupleIJNSA_6TensorESF_SF_EERKSF_lbbbEUlllE_EE10hipError_tT0_T1_T2_jT3_P12ihipStream_tbPNSt15iterator_traitsISL_E10value_typeEPNSR_ISM_E10value_typeEPSN_NS1_7vsmem_tEENKUlT_SL_SM_SN_E_clIS8_S8_S9_S9_EESK_S10_SL_SM_SN_EUlS10_E0_NS1_11comp_targetILNS1_3genE0ELNS1_11target_archE4294967295ELNS1_3gpuE0ELNS1_3repE0EEENS1_38merge_mergepath_config_static_selectorELNS0_4arch9wavefront6targetE0EEEvSM_.num_vgpr, 40
	.set _ZN7rocprim17ROCPRIM_400000_NS6detail17trampoline_kernelINS0_14default_configENS1_38merge_sort_block_merge_config_selectorIlNS0_10empty_typeEEEZZNS1_27merge_sort_block_merge_implIS3_PlPS5_mZN2at6native12_GLOBAL__N_124unique_dim_cuda_templateIsEESt5tupleIJNSA_6TensorESF_SF_EERKSF_lbbbEUlllE_EE10hipError_tT0_T1_T2_jT3_P12ihipStream_tbPNSt15iterator_traitsISL_E10value_typeEPNSR_ISM_E10value_typeEPSN_NS1_7vsmem_tEENKUlT_SL_SM_SN_E_clIS8_S8_S9_S9_EESK_S10_SL_SM_SN_EUlS10_E0_NS1_11comp_targetILNS1_3genE0ELNS1_11target_archE4294967295ELNS1_3gpuE0ELNS1_3repE0EEENS1_38merge_mergepath_config_static_selectorELNS0_4arch9wavefront6targetE0EEEvSM_.num_agpr, 0
	.set _ZN7rocprim17ROCPRIM_400000_NS6detail17trampoline_kernelINS0_14default_configENS1_38merge_sort_block_merge_config_selectorIlNS0_10empty_typeEEEZZNS1_27merge_sort_block_merge_implIS3_PlPS5_mZN2at6native12_GLOBAL__N_124unique_dim_cuda_templateIsEESt5tupleIJNSA_6TensorESF_SF_EERKSF_lbbbEUlllE_EE10hipError_tT0_T1_T2_jT3_P12ihipStream_tbPNSt15iterator_traitsISL_E10value_typeEPNSR_ISM_E10value_typeEPSN_NS1_7vsmem_tEENKUlT_SL_SM_SN_E_clIS8_S8_S9_S9_EESK_S10_SL_SM_SN_EUlS10_E0_NS1_11comp_targetILNS1_3genE0ELNS1_11target_archE4294967295ELNS1_3gpuE0ELNS1_3repE0EEENS1_38merge_mergepath_config_static_selectorELNS0_4arch9wavefront6targetE0EEEvSM_.numbered_sgpr, 31
	.set _ZN7rocprim17ROCPRIM_400000_NS6detail17trampoline_kernelINS0_14default_configENS1_38merge_sort_block_merge_config_selectorIlNS0_10empty_typeEEEZZNS1_27merge_sort_block_merge_implIS3_PlPS5_mZN2at6native12_GLOBAL__N_124unique_dim_cuda_templateIsEESt5tupleIJNSA_6TensorESF_SF_EERKSF_lbbbEUlllE_EE10hipError_tT0_T1_T2_jT3_P12ihipStream_tbPNSt15iterator_traitsISL_E10value_typeEPNSR_ISM_E10value_typeEPSN_NS1_7vsmem_tEENKUlT_SL_SM_SN_E_clIS8_S8_S9_S9_EESK_S10_SL_SM_SN_EUlS10_E0_NS1_11comp_targetILNS1_3genE0ELNS1_11target_archE4294967295ELNS1_3gpuE0ELNS1_3repE0EEENS1_38merge_mergepath_config_static_selectorELNS0_4arch9wavefront6targetE0EEEvSM_.num_named_barrier, 0
	.set _ZN7rocprim17ROCPRIM_400000_NS6detail17trampoline_kernelINS0_14default_configENS1_38merge_sort_block_merge_config_selectorIlNS0_10empty_typeEEEZZNS1_27merge_sort_block_merge_implIS3_PlPS5_mZN2at6native12_GLOBAL__N_124unique_dim_cuda_templateIsEESt5tupleIJNSA_6TensorESF_SF_EERKSF_lbbbEUlllE_EE10hipError_tT0_T1_T2_jT3_P12ihipStream_tbPNSt15iterator_traitsISL_E10value_typeEPNSR_ISM_E10value_typeEPSN_NS1_7vsmem_tEENKUlT_SL_SM_SN_E_clIS8_S8_S9_S9_EESK_S10_SL_SM_SN_EUlS10_E0_NS1_11comp_targetILNS1_3genE0ELNS1_11target_archE4294967295ELNS1_3gpuE0ELNS1_3repE0EEENS1_38merge_mergepath_config_static_selectorELNS0_4arch9wavefront6targetE0EEEvSM_.private_seg_size, 0
	.set _ZN7rocprim17ROCPRIM_400000_NS6detail17trampoline_kernelINS0_14default_configENS1_38merge_sort_block_merge_config_selectorIlNS0_10empty_typeEEEZZNS1_27merge_sort_block_merge_implIS3_PlPS5_mZN2at6native12_GLOBAL__N_124unique_dim_cuda_templateIsEESt5tupleIJNSA_6TensorESF_SF_EERKSF_lbbbEUlllE_EE10hipError_tT0_T1_T2_jT3_P12ihipStream_tbPNSt15iterator_traitsISL_E10value_typeEPNSR_ISM_E10value_typeEPSN_NS1_7vsmem_tEENKUlT_SL_SM_SN_E_clIS8_S8_S9_S9_EESK_S10_SL_SM_SN_EUlS10_E0_NS1_11comp_targetILNS1_3genE0ELNS1_11target_archE4294967295ELNS1_3gpuE0ELNS1_3repE0EEENS1_38merge_mergepath_config_static_selectorELNS0_4arch9wavefront6targetE0EEEvSM_.uses_vcc, 1
	.set _ZN7rocprim17ROCPRIM_400000_NS6detail17trampoline_kernelINS0_14default_configENS1_38merge_sort_block_merge_config_selectorIlNS0_10empty_typeEEEZZNS1_27merge_sort_block_merge_implIS3_PlPS5_mZN2at6native12_GLOBAL__N_124unique_dim_cuda_templateIsEESt5tupleIJNSA_6TensorESF_SF_EERKSF_lbbbEUlllE_EE10hipError_tT0_T1_T2_jT3_P12ihipStream_tbPNSt15iterator_traitsISL_E10value_typeEPNSR_ISM_E10value_typeEPSN_NS1_7vsmem_tEENKUlT_SL_SM_SN_E_clIS8_S8_S9_S9_EESK_S10_SL_SM_SN_EUlS10_E0_NS1_11comp_targetILNS1_3genE0ELNS1_11target_archE4294967295ELNS1_3gpuE0ELNS1_3repE0EEENS1_38merge_mergepath_config_static_selectorELNS0_4arch9wavefront6targetE0EEEvSM_.uses_flat_scratch, 0
	.set _ZN7rocprim17ROCPRIM_400000_NS6detail17trampoline_kernelINS0_14default_configENS1_38merge_sort_block_merge_config_selectorIlNS0_10empty_typeEEEZZNS1_27merge_sort_block_merge_implIS3_PlPS5_mZN2at6native12_GLOBAL__N_124unique_dim_cuda_templateIsEESt5tupleIJNSA_6TensorESF_SF_EERKSF_lbbbEUlllE_EE10hipError_tT0_T1_T2_jT3_P12ihipStream_tbPNSt15iterator_traitsISL_E10value_typeEPNSR_ISM_E10value_typeEPSN_NS1_7vsmem_tEENKUlT_SL_SM_SN_E_clIS8_S8_S9_S9_EESK_S10_SL_SM_SN_EUlS10_E0_NS1_11comp_targetILNS1_3genE0ELNS1_11target_archE4294967295ELNS1_3gpuE0ELNS1_3repE0EEENS1_38merge_mergepath_config_static_selectorELNS0_4arch9wavefront6targetE0EEEvSM_.has_dyn_sized_stack, 0
	.set _ZN7rocprim17ROCPRIM_400000_NS6detail17trampoline_kernelINS0_14default_configENS1_38merge_sort_block_merge_config_selectorIlNS0_10empty_typeEEEZZNS1_27merge_sort_block_merge_implIS3_PlPS5_mZN2at6native12_GLOBAL__N_124unique_dim_cuda_templateIsEESt5tupleIJNSA_6TensorESF_SF_EERKSF_lbbbEUlllE_EE10hipError_tT0_T1_T2_jT3_P12ihipStream_tbPNSt15iterator_traitsISL_E10value_typeEPNSR_ISM_E10value_typeEPSN_NS1_7vsmem_tEENKUlT_SL_SM_SN_E_clIS8_S8_S9_S9_EESK_S10_SL_SM_SN_EUlS10_E0_NS1_11comp_targetILNS1_3genE0ELNS1_11target_archE4294967295ELNS1_3gpuE0ELNS1_3repE0EEENS1_38merge_mergepath_config_static_selectorELNS0_4arch9wavefront6targetE0EEEvSM_.has_recursion, 0
	.set _ZN7rocprim17ROCPRIM_400000_NS6detail17trampoline_kernelINS0_14default_configENS1_38merge_sort_block_merge_config_selectorIlNS0_10empty_typeEEEZZNS1_27merge_sort_block_merge_implIS3_PlPS5_mZN2at6native12_GLOBAL__N_124unique_dim_cuda_templateIsEESt5tupleIJNSA_6TensorESF_SF_EERKSF_lbbbEUlllE_EE10hipError_tT0_T1_T2_jT3_P12ihipStream_tbPNSt15iterator_traitsISL_E10value_typeEPNSR_ISM_E10value_typeEPSN_NS1_7vsmem_tEENKUlT_SL_SM_SN_E_clIS8_S8_S9_S9_EESK_S10_SL_SM_SN_EUlS10_E0_NS1_11comp_targetILNS1_3genE0ELNS1_11target_archE4294967295ELNS1_3gpuE0ELNS1_3repE0EEENS1_38merge_mergepath_config_static_selectorELNS0_4arch9wavefront6targetE0EEEvSM_.has_indirect_call, 0
	.section	.AMDGPU.csdata,"",@progbits
; Kernel info:
; codeLenInByte = 6748
; TotalNumSgprs: 33
; NumVgprs: 40
; ScratchSize: 0
; MemoryBound: 0
; FloatMode: 240
; IeeeMode: 1
; LDSByteSize: 8448 bytes/workgroup (compile time only)
; SGPRBlocks: 0
; VGPRBlocks: 2
; NumSGPRsForWavesPerEU: 33
; NumVGPRsForWavesPerEU: 40
; NamedBarCnt: 0
; Occupancy: 16
; WaveLimiterHint : 1
; COMPUTE_PGM_RSRC2:SCRATCH_EN: 0
; COMPUTE_PGM_RSRC2:USER_SGPR: 2
; COMPUTE_PGM_RSRC2:TRAP_HANDLER: 0
; COMPUTE_PGM_RSRC2:TGID_X_EN: 1
; COMPUTE_PGM_RSRC2:TGID_Y_EN: 1
; COMPUTE_PGM_RSRC2:TGID_Z_EN: 1
; COMPUTE_PGM_RSRC2:TIDIG_COMP_CNT: 0
	.section	.text._ZN7rocprim17ROCPRIM_400000_NS6detail17trampoline_kernelINS0_14default_configENS1_38merge_sort_block_merge_config_selectorIlNS0_10empty_typeEEEZZNS1_27merge_sort_block_merge_implIS3_PlPS5_mZN2at6native12_GLOBAL__N_124unique_dim_cuda_templateIsEESt5tupleIJNSA_6TensorESF_SF_EERKSF_lbbbEUlllE_EE10hipError_tT0_T1_T2_jT3_P12ihipStream_tbPNSt15iterator_traitsISL_E10value_typeEPNSR_ISM_E10value_typeEPSN_NS1_7vsmem_tEENKUlT_SL_SM_SN_E_clIS8_S8_S9_S9_EESK_S10_SL_SM_SN_EUlS10_E0_NS1_11comp_targetILNS1_3genE10ELNS1_11target_archE1201ELNS1_3gpuE5ELNS1_3repE0EEENS1_38merge_mergepath_config_static_selectorELNS0_4arch9wavefront6targetE0EEEvSM_,"axG",@progbits,_ZN7rocprim17ROCPRIM_400000_NS6detail17trampoline_kernelINS0_14default_configENS1_38merge_sort_block_merge_config_selectorIlNS0_10empty_typeEEEZZNS1_27merge_sort_block_merge_implIS3_PlPS5_mZN2at6native12_GLOBAL__N_124unique_dim_cuda_templateIsEESt5tupleIJNSA_6TensorESF_SF_EERKSF_lbbbEUlllE_EE10hipError_tT0_T1_T2_jT3_P12ihipStream_tbPNSt15iterator_traitsISL_E10value_typeEPNSR_ISM_E10value_typeEPSN_NS1_7vsmem_tEENKUlT_SL_SM_SN_E_clIS8_S8_S9_S9_EESK_S10_SL_SM_SN_EUlS10_E0_NS1_11comp_targetILNS1_3genE10ELNS1_11target_archE1201ELNS1_3gpuE5ELNS1_3repE0EEENS1_38merge_mergepath_config_static_selectorELNS0_4arch9wavefront6targetE0EEEvSM_,comdat
	.globl	_ZN7rocprim17ROCPRIM_400000_NS6detail17trampoline_kernelINS0_14default_configENS1_38merge_sort_block_merge_config_selectorIlNS0_10empty_typeEEEZZNS1_27merge_sort_block_merge_implIS3_PlPS5_mZN2at6native12_GLOBAL__N_124unique_dim_cuda_templateIsEESt5tupleIJNSA_6TensorESF_SF_EERKSF_lbbbEUlllE_EE10hipError_tT0_T1_T2_jT3_P12ihipStream_tbPNSt15iterator_traitsISL_E10value_typeEPNSR_ISM_E10value_typeEPSN_NS1_7vsmem_tEENKUlT_SL_SM_SN_E_clIS8_S8_S9_S9_EESK_S10_SL_SM_SN_EUlS10_E0_NS1_11comp_targetILNS1_3genE10ELNS1_11target_archE1201ELNS1_3gpuE5ELNS1_3repE0EEENS1_38merge_mergepath_config_static_selectorELNS0_4arch9wavefront6targetE0EEEvSM_ ; -- Begin function _ZN7rocprim17ROCPRIM_400000_NS6detail17trampoline_kernelINS0_14default_configENS1_38merge_sort_block_merge_config_selectorIlNS0_10empty_typeEEEZZNS1_27merge_sort_block_merge_implIS3_PlPS5_mZN2at6native12_GLOBAL__N_124unique_dim_cuda_templateIsEESt5tupleIJNSA_6TensorESF_SF_EERKSF_lbbbEUlllE_EE10hipError_tT0_T1_T2_jT3_P12ihipStream_tbPNSt15iterator_traitsISL_E10value_typeEPNSR_ISM_E10value_typeEPSN_NS1_7vsmem_tEENKUlT_SL_SM_SN_E_clIS8_S8_S9_S9_EESK_S10_SL_SM_SN_EUlS10_E0_NS1_11comp_targetILNS1_3genE10ELNS1_11target_archE1201ELNS1_3gpuE5ELNS1_3repE0EEENS1_38merge_mergepath_config_static_selectorELNS0_4arch9wavefront6targetE0EEEvSM_
	.p2align	8
	.type	_ZN7rocprim17ROCPRIM_400000_NS6detail17trampoline_kernelINS0_14default_configENS1_38merge_sort_block_merge_config_selectorIlNS0_10empty_typeEEEZZNS1_27merge_sort_block_merge_implIS3_PlPS5_mZN2at6native12_GLOBAL__N_124unique_dim_cuda_templateIsEESt5tupleIJNSA_6TensorESF_SF_EERKSF_lbbbEUlllE_EE10hipError_tT0_T1_T2_jT3_P12ihipStream_tbPNSt15iterator_traitsISL_E10value_typeEPNSR_ISM_E10value_typeEPSN_NS1_7vsmem_tEENKUlT_SL_SM_SN_E_clIS8_S8_S9_S9_EESK_S10_SL_SM_SN_EUlS10_E0_NS1_11comp_targetILNS1_3genE10ELNS1_11target_archE1201ELNS1_3gpuE5ELNS1_3repE0EEENS1_38merge_mergepath_config_static_selectorELNS0_4arch9wavefront6targetE0EEEvSM_,@function
_ZN7rocprim17ROCPRIM_400000_NS6detail17trampoline_kernelINS0_14default_configENS1_38merge_sort_block_merge_config_selectorIlNS0_10empty_typeEEEZZNS1_27merge_sort_block_merge_implIS3_PlPS5_mZN2at6native12_GLOBAL__N_124unique_dim_cuda_templateIsEESt5tupleIJNSA_6TensorESF_SF_EERKSF_lbbbEUlllE_EE10hipError_tT0_T1_T2_jT3_P12ihipStream_tbPNSt15iterator_traitsISL_E10value_typeEPNSR_ISM_E10value_typeEPSN_NS1_7vsmem_tEENKUlT_SL_SM_SN_E_clIS8_S8_S9_S9_EESK_S10_SL_SM_SN_EUlS10_E0_NS1_11comp_targetILNS1_3genE10ELNS1_11target_archE1201ELNS1_3gpuE5ELNS1_3repE0EEENS1_38merge_mergepath_config_static_selectorELNS0_4arch9wavefront6targetE0EEEvSM_: ; @_ZN7rocprim17ROCPRIM_400000_NS6detail17trampoline_kernelINS0_14default_configENS1_38merge_sort_block_merge_config_selectorIlNS0_10empty_typeEEEZZNS1_27merge_sort_block_merge_implIS3_PlPS5_mZN2at6native12_GLOBAL__N_124unique_dim_cuda_templateIsEESt5tupleIJNSA_6TensorESF_SF_EERKSF_lbbbEUlllE_EE10hipError_tT0_T1_T2_jT3_P12ihipStream_tbPNSt15iterator_traitsISL_E10value_typeEPNSR_ISM_E10value_typeEPSN_NS1_7vsmem_tEENKUlT_SL_SM_SN_E_clIS8_S8_S9_S9_EESK_S10_SL_SM_SN_EUlS10_E0_NS1_11comp_targetILNS1_3genE10ELNS1_11target_archE1201ELNS1_3gpuE5ELNS1_3repE0EEENS1_38merge_mergepath_config_static_selectorELNS0_4arch9wavefront6targetE0EEEvSM_
; %bb.0:
	.section	.rodata,"a",@progbits
	.p2align	6, 0x0
	.amdhsa_kernel _ZN7rocprim17ROCPRIM_400000_NS6detail17trampoline_kernelINS0_14default_configENS1_38merge_sort_block_merge_config_selectorIlNS0_10empty_typeEEEZZNS1_27merge_sort_block_merge_implIS3_PlPS5_mZN2at6native12_GLOBAL__N_124unique_dim_cuda_templateIsEESt5tupleIJNSA_6TensorESF_SF_EERKSF_lbbbEUlllE_EE10hipError_tT0_T1_T2_jT3_P12ihipStream_tbPNSt15iterator_traitsISL_E10value_typeEPNSR_ISM_E10value_typeEPSN_NS1_7vsmem_tEENKUlT_SL_SM_SN_E_clIS8_S8_S9_S9_EESK_S10_SL_SM_SN_EUlS10_E0_NS1_11comp_targetILNS1_3genE10ELNS1_11target_archE1201ELNS1_3gpuE5ELNS1_3repE0EEENS1_38merge_mergepath_config_static_selectorELNS0_4arch9wavefront6targetE0EEEvSM_
		.amdhsa_group_segment_fixed_size 0
		.amdhsa_private_segment_fixed_size 0
		.amdhsa_kernarg_size 88
		.amdhsa_user_sgpr_count 2
		.amdhsa_user_sgpr_dispatch_ptr 0
		.amdhsa_user_sgpr_queue_ptr 0
		.amdhsa_user_sgpr_kernarg_segment_ptr 1
		.amdhsa_user_sgpr_dispatch_id 0
		.amdhsa_user_sgpr_kernarg_preload_length 0
		.amdhsa_user_sgpr_kernarg_preload_offset 0
		.amdhsa_user_sgpr_private_segment_size 0
		.amdhsa_wavefront_size32 1
		.amdhsa_uses_dynamic_stack 0
		.amdhsa_enable_private_segment 0
		.amdhsa_system_sgpr_workgroup_id_x 1
		.amdhsa_system_sgpr_workgroup_id_y 0
		.amdhsa_system_sgpr_workgroup_id_z 0
		.amdhsa_system_sgpr_workgroup_info 0
		.amdhsa_system_vgpr_workitem_id 0
		.amdhsa_next_free_vgpr 1
		.amdhsa_next_free_sgpr 1
		.amdhsa_named_barrier_count 0
		.amdhsa_reserve_vcc 0
		.amdhsa_float_round_mode_32 0
		.amdhsa_float_round_mode_16_64 0
		.amdhsa_float_denorm_mode_32 3
		.amdhsa_float_denorm_mode_16_64 3
		.amdhsa_fp16_overflow 0
		.amdhsa_memory_ordered 1
		.amdhsa_forward_progress 1
		.amdhsa_inst_pref_size 0
		.amdhsa_round_robin_scheduling 0
		.amdhsa_exception_fp_ieee_invalid_op 0
		.amdhsa_exception_fp_denorm_src 0
		.amdhsa_exception_fp_ieee_div_zero 0
		.amdhsa_exception_fp_ieee_overflow 0
		.amdhsa_exception_fp_ieee_underflow 0
		.amdhsa_exception_fp_ieee_inexact 0
		.amdhsa_exception_int_div_zero 0
	.end_amdhsa_kernel
	.section	.text._ZN7rocprim17ROCPRIM_400000_NS6detail17trampoline_kernelINS0_14default_configENS1_38merge_sort_block_merge_config_selectorIlNS0_10empty_typeEEEZZNS1_27merge_sort_block_merge_implIS3_PlPS5_mZN2at6native12_GLOBAL__N_124unique_dim_cuda_templateIsEESt5tupleIJNSA_6TensorESF_SF_EERKSF_lbbbEUlllE_EE10hipError_tT0_T1_T2_jT3_P12ihipStream_tbPNSt15iterator_traitsISL_E10value_typeEPNSR_ISM_E10value_typeEPSN_NS1_7vsmem_tEENKUlT_SL_SM_SN_E_clIS8_S8_S9_S9_EESK_S10_SL_SM_SN_EUlS10_E0_NS1_11comp_targetILNS1_3genE10ELNS1_11target_archE1201ELNS1_3gpuE5ELNS1_3repE0EEENS1_38merge_mergepath_config_static_selectorELNS0_4arch9wavefront6targetE0EEEvSM_,"axG",@progbits,_ZN7rocprim17ROCPRIM_400000_NS6detail17trampoline_kernelINS0_14default_configENS1_38merge_sort_block_merge_config_selectorIlNS0_10empty_typeEEEZZNS1_27merge_sort_block_merge_implIS3_PlPS5_mZN2at6native12_GLOBAL__N_124unique_dim_cuda_templateIsEESt5tupleIJNSA_6TensorESF_SF_EERKSF_lbbbEUlllE_EE10hipError_tT0_T1_T2_jT3_P12ihipStream_tbPNSt15iterator_traitsISL_E10value_typeEPNSR_ISM_E10value_typeEPSN_NS1_7vsmem_tEENKUlT_SL_SM_SN_E_clIS8_S8_S9_S9_EESK_S10_SL_SM_SN_EUlS10_E0_NS1_11comp_targetILNS1_3genE10ELNS1_11target_archE1201ELNS1_3gpuE5ELNS1_3repE0EEENS1_38merge_mergepath_config_static_selectorELNS0_4arch9wavefront6targetE0EEEvSM_,comdat
.Lfunc_end645:
	.size	_ZN7rocprim17ROCPRIM_400000_NS6detail17trampoline_kernelINS0_14default_configENS1_38merge_sort_block_merge_config_selectorIlNS0_10empty_typeEEEZZNS1_27merge_sort_block_merge_implIS3_PlPS5_mZN2at6native12_GLOBAL__N_124unique_dim_cuda_templateIsEESt5tupleIJNSA_6TensorESF_SF_EERKSF_lbbbEUlllE_EE10hipError_tT0_T1_T2_jT3_P12ihipStream_tbPNSt15iterator_traitsISL_E10value_typeEPNSR_ISM_E10value_typeEPSN_NS1_7vsmem_tEENKUlT_SL_SM_SN_E_clIS8_S8_S9_S9_EESK_S10_SL_SM_SN_EUlS10_E0_NS1_11comp_targetILNS1_3genE10ELNS1_11target_archE1201ELNS1_3gpuE5ELNS1_3repE0EEENS1_38merge_mergepath_config_static_selectorELNS0_4arch9wavefront6targetE0EEEvSM_, .Lfunc_end645-_ZN7rocprim17ROCPRIM_400000_NS6detail17trampoline_kernelINS0_14default_configENS1_38merge_sort_block_merge_config_selectorIlNS0_10empty_typeEEEZZNS1_27merge_sort_block_merge_implIS3_PlPS5_mZN2at6native12_GLOBAL__N_124unique_dim_cuda_templateIsEESt5tupleIJNSA_6TensorESF_SF_EERKSF_lbbbEUlllE_EE10hipError_tT0_T1_T2_jT3_P12ihipStream_tbPNSt15iterator_traitsISL_E10value_typeEPNSR_ISM_E10value_typeEPSN_NS1_7vsmem_tEENKUlT_SL_SM_SN_E_clIS8_S8_S9_S9_EESK_S10_SL_SM_SN_EUlS10_E0_NS1_11comp_targetILNS1_3genE10ELNS1_11target_archE1201ELNS1_3gpuE5ELNS1_3repE0EEENS1_38merge_mergepath_config_static_selectorELNS0_4arch9wavefront6targetE0EEEvSM_
                                        ; -- End function
	.set _ZN7rocprim17ROCPRIM_400000_NS6detail17trampoline_kernelINS0_14default_configENS1_38merge_sort_block_merge_config_selectorIlNS0_10empty_typeEEEZZNS1_27merge_sort_block_merge_implIS3_PlPS5_mZN2at6native12_GLOBAL__N_124unique_dim_cuda_templateIsEESt5tupleIJNSA_6TensorESF_SF_EERKSF_lbbbEUlllE_EE10hipError_tT0_T1_T2_jT3_P12ihipStream_tbPNSt15iterator_traitsISL_E10value_typeEPNSR_ISM_E10value_typeEPSN_NS1_7vsmem_tEENKUlT_SL_SM_SN_E_clIS8_S8_S9_S9_EESK_S10_SL_SM_SN_EUlS10_E0_NS1_11comp_targetILNS1_3genE10ELNS1_11target_archE1201ELNS1_3gpuE5ELNS1_3repE0EEENS1_38merge_mergepath_config_static_selectorELNS0_4arch9wavefront6targetE0EEEvSM_.num_vgpr, 0
	.set _ZN7rocprim17ROCPRIM_400000_NS6detail17trampoline_kernelINS0_14default_configENS1_38merge_sort_block_merge_config_selectorIlNS0_10empty_typeEEEZZNS1_27merge_sort_block_merge_implIS3_PlPS5_mZN2at6native12_GLOBAL__N_124unique_dim_cuda_templateIsEESt5tupleIJNSA_6TensorESF_SF_EERKSF_lbbbEUlllE_EE10hipError_tT0_T1_T2_jT3_P12ihipStream_tbPNSt15iterator_traitsISL_E10value_typeEPNSR_ISM_E10value_typeEPSN_NS1_7vsmem_tEENKUlT_SL_SM_SN_E_clIS8_S8_S9_S9_EESK_S10_SL_SM_SN_EUlS10_E0_NS1_11comp_targetILNS1_3genE10ELNS1_11target_archE1201ELNS1_3gpuE5ELNS1_3repE0EEENS1_38merge_mergepath_config_static_selectorELNS0_4arch9wavefront6targetE0EEEvSM_.num_agpr, 0
	.set _ZN7rocprim17ROCPRIM_400000_NS6detail17trampoline_kernelINS0_14default_configENS1_38merge_sort_block_merge_config_selectorIlNS0_10empty_typeEEEZZNS1_27merge_sort_block_merge_implIS3_PlPS5_mZN2at6native12_GLOBAL__N_124unique_dim_cuda_templateIsEESt5tupleIJNSA_6TensorESF_SF_EERKSF_lbbbEUlllE_EE10hipError_tT0_T1_T2_jT3_P12ihipStream_tbPNSt15iterator_traitsISL_E10value_typeEPNSR_ISM_E10value_typeEPSN_NS1_7vsmem_tEENKUlT_SL_SM_SN_E_clIS8_S8_S9_S9_EESK_S10_SL_SM_SN_EUlS10_E0_NS1_11comp_targetILNS1_3genE10ELNS1_11target_archE1201ELNS1_3gpuE5ELNS1_3repE0EEENS1_38merge_mergepath_config_static_selectorELNS0_4arch9wavefront6targetE0EEEvSM_.numbered_sgpr, 0
	.set _ZN7rocprim17ROCPRIM_400000_NS6detail17trampoline_kernelINS0_14default_configENS1_38merge_sort_block_merge_config_selectorIlNS0_10empty_typeEEEZZNS1_27merge_sort_block_merge_implIS3_PlPS5_mZN2at6native12_GLOBAL__N_124unique_dim_cuda_templateIsEESt5tupleIJNSA_6TensorESF_SF_EERKSF_lbbbEUlllE_EE10hipError_tT0_T1_T2_jT3_P12ihipStream_tbPNSt15iterator_traitsISL_E10value_typeEPNSR_ISM_E10value_typeEPSN_NS1_7vsmem_tEENKUlT_SL_SM_SN_E_clIS8_S8_S9_S9_EESK_S10_SL_SM_SN_EUlS10_E0_NS1_11comp_targetILNS1_3genE10ELNS1_11target_archE1201ELNS1_3gpuE5ELNS1_3repE0EEENS1_38merge_mergepath_config_static_selectorELNS0_4arch9wavefront6targetE0EEEvSM_.num_named_barrier, 0
	.set _ZN7rocprim17ROCPRIM_400000_NS6detail17trampoline_kernelINS0_14default_configENS1_38merge_sort_block_merge_config_selectorIlNS0_10empty_typeEEEZZNS1_27merge_sort_block_merge_implIS3_PlPS5_mZN2at6native12_GLOBAL__N_124unique_dim_cuda_templateIsEESt5tupleIJNSA_6TensorESF_SF_EERKSF_lbbbEUlllE_EE10hipError_tT0_T1_T2_jT3_P12ihipStream_tbPNSt15iterator_traitsISL_E10value_typeEPNSR_ISM_E10value_typeEPSN_NS1_7vsmem_tEENKUlT_SL_SM_SN_E_clIS8_S8_S9_S9_EESK_S10_SL_SM_SN_EUlS10_E0_NS1_11comp_targetILNS1_3genE10ELNS1_11target_archE1201ELNS1_3gpuE5ELNS1_3repE0EEENS1_38merge_mergepath_config_static_selectorELNS0_4arch9wavefront6targetE0EEEvSM_.private_seg_size, 0
	.set _ZN7rocprim17ROCPRIM_400000_NS6detail17trampoline_kernelINS0_14default_configENS1_38merge_sort_block_merge_config_selectorIlNS0_10empty_typeEEEZZNS1_27merge_sort_block_merge_implIS3_PlPS5_mZN2at6native12_GLOBAL__N_124unique_dim_cuda_templateIsEESt5tupleIJNSA_6TensorESF_SF_EERKSF_lbbbEUlllE_EE10hipError_tT0_T1_T2_jT3_P12ihipStream_tbPNSt15iterator_traitsISL_E10value_typeEPNSR_ISM_E10value_typeEPSN_NS1_7vsmem_tEENKUlT_SL_SM_SN_E_clIS8_S8_S9_S9_EESK_S10_SL_SM_SN_EUlS10_E0_NS1_11comp_targetILNS1_3genE10ELNS1_11target_archE1201ELNS1_3gpuE5ELNS1_3repE0EEENS1_38merge_mergepath_config_static_selectorELNS0_4arch9wavefront6targetE0EEEvSM_.uses_vcc, 0
	.set _ZN7rocprim17ROCPRIM_400000_NS6detail17trampoline_kernelINS0_14default_configENS1_38merge_sort_block_merge_config_selectorIlNS0_10empty_typeEEEZZNS1_27merge_sort_block_merge_implIS3_PlPS5_mZN2at6native12_GLOBAL__N_124unique_dim_cuda_templateIsEESt5tupleIJNSA_6TensorESF_SF_EERKSF_lbbbEUlllE_EE10hipError_tT0_T1_T2_jT3_P12ihipStream_tbPNSt15iterator_traitsISL_E10value_typeEPNSR_ISM_E10value_typeEPSN_NS1_7vsmem_tEENKUlT_SL_SM_SN_E_clIS8_S8_S9_S9_EESK_S10_SL_SM_SN_EUlS10_E0_NS1_11comp_targetILNS1_3genE10ELNS1_11target_archE1201ELNS1_3gpuE5ELNS1_3repE0EEENS1_38merge_mergepath_config_static_selectorELNS0_4arch9wavefront6targetE0EEEvSM_.uses_flat_scratch, 0
	.set _ZN7rocprim17ROCPRIM_400000_NS6detail17trampoline_kernelINS0_14default_configENS1_38merge_sort_block_merge_config_selectorIlNS0_10empty_typeEEEZZNS1_27merge_sort_block_merge_implIS3_PlPS5_mZN2at6native12_GLOBAL__N_124unique_dim_cuda_templateIsEESt5tupleIJNSA_6TensorESF_SF_EERKSF_lbbbEUlllE_EE10hipError_tT0_T1_T2_jT3_P12ihipStream_tbPNSt15iterator_traitsISL_E10value_typeEPNSR_ISM_E10value_typeEPSN_NS1_7vsmem_tEENKUlT_SL_SM_SN_E_clIS8_S8_S9_S9_EESK_S10_SL_SM_SN_EUlS10_E0_NS1_11comp_targetILNS1_3genE10ELNS1_11target_archE1201ELNS1_3gpuE5ELNS1_3repE0EEENS1_38merge_mergepath_config_static_selectorELNS0_4arch9wavefront6targetE0EEEvSM_.has_dyn_sized_stack, 0
	.set _ZN7rocprim17ROCPRIM_400000_NS6detail17trampoline_kernelINS0_14default_configENS1_38merge_sort_block_merge_config_selectorIlNS0_10empty_typeEEEZZNS1_27merge_sort_block_merge_implIS3_PlPS5_mZN2at6native12_GLOBAL__N_124unique_dim_cuda_templateIsEESt5tupleIJNSA_6TensorESF_SF_EERKSF_lbbbEUlllE_EE10hipError_tT0_T1_T2_jT3_P12ihipStream_tbPNSt15iterator_traitsISL_E10value_typeEPNSR_ISM_E10value_typeEPSN_NS1_7vsmem_tEENKUlT_SL_SM_SN_E_clIS8_S8_S9_S9_EESK_S10_SL_SM_SN_EUlS10_E0_NS1_11comp_targetILNS1_3genE10ELNS1_11target_archE1201ELNS1_3gpuE5ELNS1_3repE0EEENS1_38merge_mergepath_config_static_selectorELNS0_4arch9wavefront6targetE0EEEvSM_.has_recursion, 0
	.set _ZN7rocprim17ROCPRIM_400000_NS6detail17trampoline_kernelINS0_14default_configENS1_38merge_sort_block_merge_config_selectorIlNS0_10empty_typeEEEZZNS1_27merge_sort_block_merge_implIS3_PlPS5_mZN2at6native12_GLOBAL__N_124unique_dim_cuda_templateIsEESt5tupleIJNSA_6TensorESF_SF_EERKSF_lbbbEUlllE_EE10hipError_tT0_T1_T2_jT3_P12ihipStream_tbPNSt15iterator_traitsISL_E10value_typeEPNSR_ISM_E10value_typeEPSN_NS1_7vsmem_tEENKUlT_SL_SM_SN_E_clIS8_S8_S9_S9_EESK_S10_SL_SM_SN_EUlS10_E0_NS1_11comp_targetILNS1_3genE10ELNS1_11target_archE1201ELNS1_3gpuE5ELNS1_3repE0EEENS1_38merge_mergepath_config_static_selectorELNS0_4arch9wavefront6targetE0EEEvSM_.has_indirect_call, 0
	.section	.AMDGPU.csdata,"",@progbits
; Kernel info:
; codeLenInByte = 0
; TotalNumSgprs: 0
; NumVgprs: 0
; ScratchSize: 0
; MemoryBound: 0
; FloatMode: 240
; IeeeMode: 1
; LDSByteSize: 0 bytes/workgroup (compile time only)
; SGPRBlocks: 0
; VGPRBlocks: 0
; NumSGPRsForWavesPerEU: 1
; NumVGPRsForWavesPerEU: 1
; NamedBarCnt: 0
; Occupancy: 16
; WaveLimiterHint : 0
; COMPUTE_PGM_RSRC2:SCRATCH_EN: 0
; COMPUTE_PGM_RSRC2:USER_SGPR: 2
; COMPUTE_PGM_RSRC2:TRAP_HANDLER: 0
; COMPUTE_PGM_RSRC2:TGID_X_EN: 1
; COMPUTE_PGM_RSRC2:TGID_Y_EN: 0
; COMPUTE_PGM_RSRC2:TGID_Z_EN: 0
; COMPUTE_PGM_RSRC2:TIDIG_COMP_CNT: 0
	.section	.text._ZN7rocprim17ROCPRIM_400000_NS6detail17trampoline_kernelINS0_14default_configENS1_38merge_sort_block_merge_config_selectorIlNS0_10empty_typeEEEZZNS1_27merge_sort_block_merge_implIS3_PlPS5_mZN2at6native12_GLOBAL__N_124unique_dim_cuda_templateIsEESt5tupleIJNSA_6TensorESF_SF_EERKSF_lbbbEUlllE_EE10hipError_tT0_T1_T2_jT3_P12ihipStream_tbPNSt15iterator_traitsISL_E10value_typeEPNSR_ISM_E10value_typeEPSN_NS1_7vsmem_tEENKUlT_SL_SM_SN_E_clIS8_S8_S9_S9_EESK_S10_SL_SM_SN_EUlS10_E0_NS1_11comp_targetILNS1_3genE5ELNS1_11target_archE942ELNS1_3gpuE9ELNS1_3repE0EEENS1_38merge_mergepath_config_static_selectorELNS0_4arch9wavefront6targetE0EEEvSM_,"axG",@progbits,_ZN7rocprim17ROCPRIM_400000_NS6detail17trampoline_kernelINS0_14default_configENS1_38merge_sort_block_merge_config_selectorIlNS0_10empty_typeEEEZZNS1_27merge_sort_block_merge_implIS3_PlPS5_mZN2at6native12_GLOBAL__N_124unique_dim_cuda_templateIsEESt5tupleIJNSA_6TensorESF_SF_EERKSF_lbbbEUlllE_EE10hipError_tT0_T1_T2_jT3_P12ihipStream_tbPNSt15iterator_traitsISL_E10value_typeEPNSR_ISM_E10value_typeEPSN_NS1_7vsmem_tEENKUlT_SL_SM_SN_E_clIS8_S8_S9_S9_EESK_S10_SL_SM_SN_EUlS10_E0_NS1_11comp_targetILNS1_3genE5ELNS1_11target_archE942ELNS1_3gpuE9ELNS1_3repE0EEENS1_38merge_mergepath_config_static_selectorELNS0_4arch9wavefront6targetE0EEEvSM_,comdat
	.globl	_ZN7rocprim17ROCPRIM_400000_NS6detail17trampoline_kernelINS0_14default_configENS1_38merge_sort_block_merge_config_selectorIlNS0_10empty_typeEEEZZNS1_27merge_sort_block_merge_implIS3_PlPS5_mZN2at6native12_GLOBAL__N_124unique_dim_cuda_templateIsEESt5tupleIJNSA_6TensorESF_SF_EERKSF_lbbbEUlllE_EE10hipError_tT0_T1_T2_jT3_P12ihipStream_tbPNSt15iterator_traitsISL_E10value_typeEPNSR_ISM_E10value_typeEPSN_NS1_7vsmem_tEENKUlT_SL_SM_SN_E_clIS8_S8_S9_S9_EESK_S10_SL_SM_SN_EUlS10_E0_NS1_11comp_targetILNS1_3genE5ELNS1_11target_archE942ELNS1_3gpuE9ELNS1_3repE0EEENS1_38merge_mergepath_config_static_selectorELNS0_4arch9wavefront6targetE0EEEvSM_ ; -- Begin function _ZN7rocprim17ROCPRIM_400000_NS6detail17trampoline_kernelINS0_14default_configENS1_38merge_sort_block_merge_config_selectorIlNS0_10empty_typeEEEZZNS1_27merge_sort_block_merge_implIS3_PlPS5_mZN2at6native12_GLOBAL__N_124unique_dim_cuda_templateIsEESt5tupleIJNSA_6TensorESF_SF_EERKSF_lbbbEUlllE_EE10hipError_tT0_T1_T2_jT3_P12ihipStream_tbPNSt15iterator_traitsISL_E10value_typeEPNSR_ISM_E10value_typeEPSN_NS1_7vsmem_tEENKUlT_SL_SM_SN_E_clIS8_S8_S9_S9_EESK_S10_SL_SM_SN_EUlS10_E0_NS1_11comp_targetILNS1_3genE5ELNS1_11target_archE942ELNS1_3gpuE9ELNS1_3repE0EEENS1_38merge_mergepath_config_static_selectorELNS0_4arch9wavefront6targetE0EEEvSM_
	.p2align	8
	.type	_ZN7rocprim17ROCPRIM_400000_NS6detail17trampoline_kernelINS0_14default_configENS1_38merge_sort_block_merge_config_selectorIlNS0_10empty_typeEEEZZNS1_27merge_sort_block_merge_implIS3_PlPS5_mZN2at6native12_GLOBAL__N_124unique_dim_cuda_templateIsEESt5tupleIJNSA_6TensorESF_SF_EERKSF_lbbbEUlllE_EE10hipError_tT0_T1_T2_jT3_P12ihipStream_tbPNSt15iterator_traitsISL_E10value_typeEPNSR_ISM_E10value_typeEPSN_NS1_7vsmem_tEENKUlT_SL_SM_SN_E_clIS8_S8_S9_S9_EESK_S10_SL_SM_SN_EUlS10_E0_NS1_11comp_targetILNS1_3genE5ELNS1_11target_archE942ELNS1_3gpuE9ELNS1_3repE0EEENS1_38merge_mergepath_config_static_selectorELNS0_4arch9wavefront6targetE0EEEvSM_,@function
_ZN7rocprim17ROCPRIM_400000_NS6detail17trampoline_kernelINS0_14default_configENS1_38merge_sort_block_merge_config_selectorIlNS0_10empty_typeEEEZZNS1_27merge_sort_block_merge_implIS3_PlPS5_mZN2at6native12_GLOBAL__N_124unique_dim_cuda_templateIsEESt5tupleIJNSA_6TensorESF_SF_EERKSF_lbbbEUlllE_EE10hipError_tT0_T1_T2_jT3_P12ihipStream_tbPNSt15iterator_traitsISL_E10value_typeEPNSR_ISM_E10value_typeEPSN_NS1_7vsmem_tEENKUlT_SL_SM_SN_E_clIS8_S8_S9_S9_EESK_S10_SL_SM_SN_EUlS10_E0_NS1_11comp_targetILNS1_3genE5ELNS1_11target_archE942ELNS1_3gpuE9ELNS1_3repE0EEENS1_38merge_mergepath_config_static_selectorELNS0_4arch9wavefront6targetE0EEEvSM_: ; @_ZN7rocprim17ROCPRIM_400000_NS6detail17trampoline_kernelINS0_14default_configENS1_38merge_sort_block_merge_config_selectorIlNS0_10empty_typeEEEZZNS1_27merge_sort_block_merge_implIS3_PlPS5_mZN2at6native12_GLOBAL__N_124unique_dim_cuda_templateIsEESt5tupleIJNSA_6TensorESF_SF_EERKSF_lbbbEUlllE_EE10hipError_tT0_T1_T2_jT3_P12ihipStream_tbPNSt15iterator_traitsISL_E10value_typeEPNSR_ISM_E10value_typeEPSN_NS1_7vsmem_tEENKUlT_SL_SM_SN_E_clIS8_S8_S9_S9_EESK_S10_SL_SM_SN_EUlS10_E0_NS1_11comp_targetILNS1_3genE5ELNS1_11target_archE942ELNS1_3gpuE9ELNS1_3repE0EEENS1_38merge_mergepath_config_static_selectorELNS0_4arch9wavefront6targetE0EEEvSM_
; %bb.0:
	.section	.rodata,"a",@progbits
	.p2align	6, 0x0
	.amdhsa_kernel _ZN7rocprim17ROCPRIM_400000_NS6detail17trampoline_kernelINS0_14default_configENS1_38merge_sort_block_merge_config_selectorIlNS0_10empty_typeEEEZZNS1_27merge_sort_block_merge_implIS3_PlPS5_mZN2at6native12_GLOBAL__N_124unique_dim_cuda_templateIsEESt5tupleIJNSA_6TensorESF_SF_EERKSF_lbbbEUlllE_EE10hipError_tT0_T1_T2_jT3_P12ihipStream_tbPNSt15iterator_traitsISL_E10value_typeEPNSR_ISM_E10value_typeEPSN_NS1_7vsmem_tEENKUlT_SL_SM_SN_E_clIS8_S8_S9_S9_EESK_S10_SL_SM_SN_EUlS10_E0_NS1_11comp_targetILNS1_3genE5ELNS1_11target_archE942ELNS1_3gpuE9ELNS1_3repE0EEENS1_38merge_mergepath_config_static_selectorELNS0_4arch9wavefront6targetE0EEEvSM_
		.amdhsa_group_segment_fixed_size 0
		.amdhsa_private_segment_fixed_size 0
		.amdhsa_kernarg_size 88
		.amdhsa_user_sgpr_count 2
		.amdhsa_user_sgpr_dispatch_ptr 0
		.amdhsa_user_sgpr_queue_ptr 0
		.amdhsa_user_sgpr_kernarg_segment_ptr 1
		.amdhsa_user_sgpr_dispatch_id 0
		.amdhsa_user_sgpr_kernarg_preload_length 0
		.amdhsa_user_sgpr_kernarg_preload_offset 0
		.amdhsa_user_sgpr_private_segment_size 0
		.amdhsa_wavefront_size32 1
		.amdhsa_uses_dynamic_stack 0
		.amdhsa_enable_private_segment 0
		.amdhsa_system_sgpr_workgroup_id_x 1
		.amdhsa_system_sgpr_workgroup_id_y 0
		.amdhsa_system_sgpr_workgroup_id_z 0
		.amdhsa_system_sgpr_workgroup_info 0
		.amdhsa_system_vgpr_workitem_id 0
		.amdhsa_next_free_vgpr 1
		.amdhsa_next_free_sgpr 1
		.amdhsa_named_barrier_count 0
		.amdhsa_reserve_vcc 0
		.amdhsa_float_round_mode_32 0
		.amdhsa_float_round_mode_16_64 0
		.amdhsa_float_denorm_mode_32 3
		.amdhsa_float_denorm_mode_16_64 3
		.amdhsa_fp16_overflow 0
		.amdhsa_memory_ordered 1
		.amdhsa_forward_progress 1
		.amdhsa_inst_pref_size 0
		.amdhsa_round_robin_scheduling 0
		.amdhsa_exception_fp_ieee_invalid_op 0
		.amdhsa_exception_fp_denorm_src 0
		.amdhsa_exception_fp_ieee_div_zero 0
		.amdhsa_exception_fp_ieee_overflow 0
		.amdhsa_exception_fp_ieee_underflow 0
		.amdhsa_exception_fp_ieee_inexact 0
		.amdhsa_exception_int_div_zero 0
	.end_amdhsa_kernel
	.section	.text._ZN7rocprim17ROCPRIM_400000_NS6detail17trampoline_kernelINS0_14default_configENS1_38merge_sort_block_merge_config_selectorIlNS0_10empty_typeEEEZZNS1_27merge_sort_block_merge_implIS3_PlPS5_mZN2at6native12_GLOBAL__N_124unique_dim_cuda_templateIsEESt5tupleIJNSA_6TensorESF_SF_EERKSF_lbbbEUlllE_EE10hipError_tT0_T1_T2_jT3_P12ihipStream_tbPNSt15iterator_traitsISL_E10value_typeEPNSR_ISM_E10value_typeEPSN_NS1_7vsmem_tEENKUlT_SL_SM_SN_E_clIS8_S8_S9_S9_EESK_S10_SL_SM_SN_EUlS10_E0_NS1_11comp_targetILNS1_3genE5ELNS1_11target_archE942ELNS1_3gpuE9ELNS1_3repE0EEENS1_38merge_mergepath_config_static_selectorELNS0_4arch9wavefront6targetE0EEEvSM_,"axG",@progbits,_ZN7rocprim17ROCPRIM_400000_NS6detail17trampoline_kernelINS0_14default_configENS1_38merge_sort_block_merge_config_selectorIlNS0_10empty_typeEEEZZNS1_27merge_sort_block_merge_implIS3_PlPS5_mZN2at6native12_GLOBAL__N_124unique_dim_cuda_templateIsEESt5tupleIJNSA_6TensorESF_SF_EERKSF_lbbbEUlllE_EE10hipError_tT0_T1_T2_jT3_P12ihipStream_tbPNSt15iterator_traitsISL_E10value_typeEPNSR_ISM_E10value_typeEPSN_NS1_7vsmem_tEENKUlT_SL_SM_SN_E_clIS8_S8_S9_S9_EESK_S10_SL_SM_SN_EUlS10_E0_NS1_11comp_targetILNS1_3genE5ELNS1_11target_archE942ELNS1_3gpuE9ELNS1_3repE0EEENS1_38merge_mergepath_config_static_selectorELNS0_4arch9wavefront6targetE0EEEvSM_,comdat
.Lfunc_end646:
	.size	_ZN7rocprim17ROCPRIM_400000_NS6detail17trampoline_kernelINS0_14default_configENS1_38merge_sort_block_merge_config_selectorIlNS0_10empty_typeEEEZZNS1_27merge_sort_block_merge_implIS3_PlPS5_mZN2at6native12_GLOBAL__N_124unique_dim_cuda_templateIsEESt5tupleIJNSA_6TensorESF_SF_EERKSF_lbbbEUlllE_EE10hipError_tT0_T1_T2_jT3_P12ihipStream_tbPNSt15iterator_traitsISL_E10value_typeEPNSR_ISM_E10value_typeEPSN_NS1_7vsmem_tEENKUlT_SL_SM_SN_E_clIS8_S8_S9_S9_EESK_S10_SL_SM_SN_EUlS10_E0_NS1_11comp_targetILNS1_3genE5ELNS1_11target_archE942ELNS1_3gpuE9ELNS1_3repE0EEENS1_38merge_mergepath_config_static_selectorELNS0_4arch9wavefront6targetE0EEEvSM_, .Lfunc_end646-_ZN7rocprim17ROCPRIM_400000_NS6detail17trampoline_kernelINS0_14default_configENS1_38merge_sort_block_merge_config_selectorIlNS0_10empty_typeEEEZZNS1_27merge_sort_block_merge_implIS3_PlPS5_mZN2at6native12_GLOBAL__N_124unique_dim_cuda_templateIsEESt5tupleIJNSA_6TensorESF_SF_EERKSF_lbbbEUlllE_EE10hipError_tT0_T1_T2_jT3_P12ihipStream_tbPNSt15iterator_traitsISL_E10value_typeEPNSR_ISM_E10value_typeEPSN_NS1_7vsmem_tEENKUlT_SL_SM_SN_E_clIS8_S8_S9_S9_EESK_S10_SL_SM_SN_EUlS10_E0_NS1_11comp_targetILNS1_3genE5ELNS1_11target_archE942ELNS1_3gpuE9ELNS1_3repE0EEENS1_38merge_mergepath_config_static_selectorELNS0_4arch9wavefront6targetE0EEEvSM_
                                        ; -- End function
	.set _ZN7rocprim17ROCPRIM_400000_NS6detail17trampoline_kernelINS0_14default_configENS1_38merge_sort_block_merge_config_selectorIlNS0_10empty_typeEEEZZNS1_27merge_sort_block_merge_implIS3_PlPS5_mZN2at6native12_GLOBAL__N_124unique_dim_cuda_templateIsEESt5tupleIJNSA_6TensorESF_SF_EERKSF_lbbbEUlllE_EE10hipError_tT0_T1_T2_jT3_P12ihipStream_tbPNSt15iterator_traitsISL_E10value_typeEPNSR_ISM_E10value_typeEPSN_NS1_7vsmem_tEENKUlT_SL_SM_SN_E_clIS8_S8_S9_S9_EESK_S10_SL_SM_SN_EUlS10_E0_NS1_11comp_targetILNS1_3genE5ELNS1_11target_archE942ELNS1_3gpuE9ELNS1_3repE0EEENS1_38merge_mergepath_config_static_selectorELNS0_4arch9wavefront6targetE0EEEvSM_.num_vgpr, 0
	.set _ZN7rocprim17ROCPRIM_400000_NS6detail17trampoline_kernelINS0_14default_configENS1_38merge_sort_block_merge_config_selectorIlNS0_10empty_typeEEEZZNS1_27merge_sort_block_merge_implIS3_PlPS5_mZN2at6native12_GLOBAL__N_124unique_dim_cuda_templateIsEESt5tupleIJNSA_6TensorESF_SF_EERKSF_lbbbEUlllE_EE10hipError_tT0_T1_T2_jT3_P12ihipStream_tbPNSt15iterator_traitsISL_E10value_typeEPNSR_ISM_E10value_typeEPSN_NS1_7vsmem_tEENKUlT_SL_SM_SN_E_clIS8_S8_S9_S9_EESK_S10_SL_SM_SN_EUlS10_E0_NS1_11comp_targetILNS1_3genE5ELNS1_11target_archE942ELNS1_3gpuE9ELNS1_3repE0EEENS1_38merge_mergepath_config_static_selectorELNS0_4arch9wavefront6targetE0EEEvSM_.num_agpr, 0
	.set _ZN7rocprim17ROCPRIM_400000_NS6detail17trampoline_kernelINS0_14default_configENS1_38merge_sort_block_merge_config_selectorIlNS0_10empty_typeEEEZZNS1_27merge_sort_block_merge_implIS3_PlPS5_mZN2at6native12_GLOBAL__N_124unique_dim_cuda_templateIsEESt5tupleIJNSA_6TensorESF_SF_EERKSF_lbbbEUlllE_EE10hipError_tT0_T1_T2_jT3_P12ihipStream_tbPNSt15iterator_traitsISL_E10value_typeEPNSR_ISM_E10value_typeEPSN_NS1_7vsmem_tEENKUlT_SL_SM_SN_E_clIS8_S8_S9_S9_EESK_S10_SL_SM_SN_EUlS10_E0_NS1_11comp_targetILNS1_3genE5ELNS1_11target_archE942ELNS1_3gpuE9ELNS1_3repE0EEENS1_38merge_mergepath_config_static_selectorELNS0_4arch9wavefront6targetE0EEEvSM_.numbered_sgpr, 0
	.set _ZN7rocprim17ROCPRIM_400000_NS6detail17trampoline_kernelINS0_14default_configENS1_38merge_sort_block_merge_config_selectorIlNS0_10empty_typeEEEZZNS1_27merge_sort_block_merge_implIS3_PlPS5_mZN2at6native12_GLOBAL__N_124unique_dim_cuda_templateIsEESt5tupleIJNSA_6TensorESF_SF_EERKSF_lbbbEUlllE_EE10hipError_tT0_T1_T2_jT3_P12ihipStream_tbPNSt15iterator_traitsISL_E10value_typeEPNSR_ISM_E10value_typeEPSN_NS1_7vsmem_tEENKUlT_SL_SM_SN_E_clIS8_S8_S9_S9_EESK_S10_SL_SM_SN_EUlS10_E0_NS1_11comp_targetILNS1_3genE5ELNS1_11target_archE942ELNS1_3gpuE9ELNS1_3repE0EEENS1_38merge_mergepath_config_static_selectorELNS0_4arch9wavefront6targetE0EEEvSM_.num_named_barrier, 0
	.set _ZN7rocprim17ROCPRIM_400000_NS6detail17trampoline_kernelINS0_14default_configENS1_38merge_sort_block_merge_config_selectorIlNS0_10empty_typeEEEZZNS1_27merge_sort_block_merge_implIS3_PlPS5_mZN2at6native12_GLOBAL__N_124unique_dim_cuda_templateIsEESt5tupleIJNSA_6TensorESF_SF_EERKSF_lbbbEUlllE_EE10hipError_tT0_T1_T2_jT3_P12ihipStream_tbPNSt15iterator_traitsISL_E10value_typeEPNSR_ISM_E10value_typeEPSN_NS1_7vsmem_tEENKUlT_SL_SM_SN_E_clIS8_S8_S9_S9_EESK_S10_SL_SM_SN_EUlS10_E0_NS1_11comp_targetILNS1_3genE5ELNS1_11target_archE942ELNS1_3gpuE9ELNS1_3repE0EEENS1_38merge_mergepath_config_static_selectorELNS0_4arch9wavefront6targetE0EEEvSM_.private_seg_size, 0
	.set _ZN7rocprim17ROCPRIM_400000_NS6detail17trampoline_kernelINS0_14default_configENS1_38merge_sort_block_merge_config_selectorIlNS0_10empty_typeEEEZZNS1_27merge_sort_block_merge_implIS3_PlPS5_mZN2at6native12_GLOBAL__N_124unique_dim_cuda_templateIsEESt5tupleIJNSA_6TensorESF_SF_EERKSF_lbbbEUlllE_EE10hipError_tT0_T1_T2_jT3_P12ihipStream_tbPNSt15iterator_traitsISL_E10value_typeEPNSR_ISM_E10value_typeEPSN_NS1_7vsmem_tEENKUlT_SL_SM_SN_E_clIS8_S8_S9_S9_EESK_S10_SL_SM_SN_EUlS10_E0_NS1_11comp_targetILNS1_3genE5ELNS1_11target_archE942ELNS1_3gpuE9ELNS1_3repE0EEENS1_38merge_mergepath_config_static_selectorELNS0_4arch9wavefront6targetE0EEEvSM_.uses_vcc, 0
	.set _ZN7rocprim17ROCPRIM_400000_NS6detail17trampoline_kernelINS0_14default_configENS1_38merge_sort_block_merge_config_selectorIlNS0_10empty_typeEEEZZNS1_27merge_sort_block_merge_implIS3_PlPS5_mZN2at6native12_GLOBAL__N_124unique_dim_cuda_templateIsEESt5tupleIJNSA_6TensorESF_SF_EERKSF_lbbbEUlllE_EE10hipError_tT0_T1_T2_jT3_P12ihipStream_tbPNSt15iterator_traitsISL_E10value_typeEPNSR_ISM_E10value_typeEPSN_NS1_7vsmem_tEENKUlT_SL_SM_SN_E_clIS8_S8_S9_S9_EESK_S10_SL_SM_SN_EUlS10_E0_NS1_11comp_targetILNS1_3genE5ELNS1_11target_archE942ELNS1_3gpuE9ELNS1_3repE0EEENS1_38merge_mergepath_config_static_selectorELNS0_4arch9wavefront6targetE0EEEvSM_.uses_flat_scratch, 0
	.set _ZN7rocprim17ROCPRIM_400000_NS6detail17trampoline_kernelINS0_14default_configENS1_38merge_sort_block_merge_config_selectorIlNS0_10empty_typeEEEZZNS1_27merge_sort_block_merge_implIS3_PlPS5_mZN2at6native12_GLOBAL__N_124unique_dim_cuda_templateIsEESt5tupleIJNSA_6TensorESF_SF_EERKSF_lbbbEUlllE_EE10hipError_tT0_T1_T2_jT3_P12ihipStream_tbPNSt15iterator_traitsISL_E10value_typeEPNSR_ISM_E10value_typeEPSN_NS1_7vsmem_tEENKUlT_SL_SM_SN_E_clIS8_S8_S9_S9_EESK_S10_SL_SM_SN_EUlS10_E0_NS1_11comp_targetILNS1_3genE5ELNS1_11target_archE942ELNS1_3gpuE9ELNS1_3repE0EEENS1_38merge_mergepath_config_static_selectorELNS0_4arch9wavefront6targetE0EEEvSM_.has_dyn_sized_stack, 0
	.set _ZN7rocprim17ROCPRIM_400000_NS6detail17trampoline_kernelINS0_14default_configENS1_38merge_sort_block_merge_config_selectorIlNS0_10empty_typeEEEZZNS1_27merge_sort_block_merge_implIS3_PlPS5_mZN2at6native12_GLOBAL__N_124unique_dim_cuda_templateIsEESt5tupleIJNSA_6TensorESF_SF_EERKSF_lbbbEUlllE_EE10hipError_tT0_T1_T2_jT3_P12ihipStream_tbPNSt15iterator_traitsISL_E10value_typeEPNSR_ISM_E10value_typeEPSN_NS1_7vsmem_tEENKUlT_SL_SM_SN_E_clIS8_S8_S9_S9_EESK_S10_SL_SM_SN_EUlS10_E0_NS1_11comp_targetILNS1_3genE5ELNS1_11target_archE942ELNS1_3gpuE9ELNS1_3repE0EEENS1_38merge_mergepath_config_static_selectorELNS0_4arch9wavefront6targetE0EEEvSM_.has_recursion, 0
	.set _ZN7rocprim17ROCPRIM_400000_NS6detail17trampoline_kernelINS0_14default_configENS1_38merge_sort_block_merge_config_selectorIlNS0_10empty_typeEEEZZNS1_27merge_sort_block_merge_implIS3_PlPS5_mZN2at6native12_GLOBAL__N_124unique_dim_cuda_templateIsEESt5tupleIJNSA_6TensorESF_SF_EERKSF_lbbbEUlllE_EE10hipError_tT0_T1_T2_jT3_P12ihipStream_tbPNSt15iterator_traitsISL_E10value_typeEPNSR_ISM_E10value_typeEPSN_NS1_7vsmem_tEENKUlT_SL_SM_SN_E_clIS8_S8_S9_S9_EESK_S10_SL_SM_SN_EUlS10_E0_NS1_11comp_targetILNS1_3genE5ELNS1_11target_archE942ELNS1_3gpuE9ELNS1_3repE0EEENS1_38merge_mergepath_config_static_selectorELNS0_4arch9wavefront6targetE0EEEvSM_.has_indirect_call, 0
	.section	.AMDGPU.csdata,"",@progbits
; Kernel info:
; codeLenInByte = 0
; TotalNumSgprs: 0
; NumVgprs: 0
; ScratchSize: 0
; MemoryBound: 0
; FloatMode: 240
; IeeeMode: 1
; LDSByteSize: 0 bytes/workgroup (compile time only)
; SGPRBlocks: 0
; VGPRBlocks: 0
; NumSGPRsForWavesPerEU: 1
; NumVGPRsForWavesPerEU: 1
; NamedBarCnt: 0
; Occupancy: 16
; WaveLimiterHint : 0
; COMPUTE_PGM_RSRC2:SCRATCH_EN: 0
; COMPUTE_PGM_RSRC2:USER_SGPR: 2
; COMPUTE_PGM_RSRC2:TRAP_HANDLER: 0
; COMPUTE_PGM_RSRC2:TGID_X_EN: 1
; COMPUTE_PGM_RSRC2:TGID_Y_EN: 0
; COMPUTE_PGM_RSRC2:TGID_Z_EN: 0
; COMPUTE_PGM_RSRC2:TIDIG_COMP_CNT: 0
	.section	.text._ZN7rocprim17ROCPRIM_400000_NS6detail17trampoline_kernelINS0_14default_configENS1_38merge_sort_block_merge_config_selectorIlNS0_10empty_typeEEEZZNS1_27merge_sort_block_merge_implIS3_PlPS5_mZN2at6native12_GLOBAL__N_124unique_dim_cuda_templateIsEESt5tupleIJNSA_6TensorESF_SF_EERKSF_lbbbEUlllE_EE10hipError_tT0_T1_T2_jT3_P12ihipStream_tbPNSt15iterator_traitsISL_E10value_typeEPNSR_ISM_E10value_typeEPSN_NS1_7vsmem_tEENKUlT_SL_SM_SN_E_clIS8_S8_S9_S9_EESK_S10_SL_SM_SN_EUlS10_E0_NS1_11comp_targetILNS1_3genE4ELNS1_11target_archE910ELNS1_3gpuE8ELNS1_3repE0EEENS1_38merge_mergepath_config_static_selectorELNS0_4arch9wavefront6targetE0EEEvSM_,"axG",@progbits,_ZN7rocprim17ROCPRIM_400000_NS6detail17trampoline_kernelINS0_14default_configENS1_38merge_sort_block_merge_config_selectorIlNS0_10empty_typeEEEZZNS1_27merge_sort_block_merge_implIS3_PlPS5_mZN2at6native12_GLOBAL__N_124unique_dim_cuda_templateIsEESt5tupleIJNSA_6TensorESF_SF_EERKSF_lbbbEUlllE_EE10hipError_tT0_T1_T2_jT3_P12ihipStream_tbPNSt15iterator_traitsISL_E10value_typeEPNSR_ISM_E10value_typeEPSN_NS1_7vsmem_tEENKUlT_SL_SM_SN_E_clIS8_S8_S9_S9_EESK_S10_SL_SM_SN_EUlS10_E0_NS1_11comp_targetILNS1_3genE4ELNS1_11target_archE910ELNS1_3gpuE8ELNS1_3repE0EEENS1_38merge_mergepath_config_static_selectorELNS0_4arch9wavefront6targetE0EEEvSM_,comdat
	.globl	_ZN7rocprim17ROCPRIM_400000_NS6detail17trampoline_kernelINS0_14default_configENS1_38merge_sort_block_merge_config_selectorIlNS0_10empty_typeEEEZZNS1_27merge_sort_block_merge_implIS3_PlPS5_mZN2at6native12_GLOBAL__N_124unique_dim_cuda_templateIsEESt5tupleIJNSA_6TensorESF_SF_EERKSF_lbbbEUlllE_EE10hipError_tT0_T1_T2_jT3_P12ihipStream_tbPNSt15iterator_traitsISL_E10value_typeEPNSR_ISM_E10value_typeEPSN_NS1_7vsmem_tEENKUlT_SL_SM_SN_E_clIS8_S8_S9_S9_EESK_S10_SL_SM_SN_EUlS10_E0_NS1_11comp_targetILNS1_3genE4ELNS1_11target_archE910ELNS1_3gpuE8ELNS1_3repE0EEENS1_38merge_mergepath_config_static_selectorELNS0_4arch9wavefront6targetE0EEEvSM_ ; -- Begin function _ZN7rocprim17ROCPRIM_400000_NS6detail17trampoline_kernelINS0_14default_configENS1_38merge_sort_block_merge_config_selectorIlNS0_10empty_typeEEEZZNS1_27merge_sort_block_merge_implIS3_PlPS5_mZN2at6native12_GLOBAL__N_124unique_dim_cuda_templateIsEESt5tupleIJNSA_6TensorESF_SF_EERKSF_lbbbEUlllE_EE10hipError_tT0_T1_T2_jT3_P12ihipStream_tbPNSt15iterator_traitsISL_E10value_typeEPNSR_ISM_E10value_typeEPSN_NS1_7vsmem_tEENKUlT_SL_SM_SN_E_clIS8_S8_S9_S9_EESK_S10_SL_SM_SN_EUlS10_E0_NS1_11comp_targetILNS1_3genE4ELNS1_11target_archE910ELNS1_3gpuE8ELNS1_3repE0EEENS1_38merge_mergepath_config_static_selectorELNS0_4arch9wavefront6targetE0EEEvSM_
	.p2align	8
	.type	_ZN7rocprim17ROCPRIM_400000_NS6detail17trampoline_kernelINS0_14default_configENS1_38merge_sort_block_merge_config_selectorIlNS0_10empty_typeEEEZZNS1_27merge_sort_block_merge_implIS3_PlPS5_mZN2at6native12_GLOBAL__N_124unique_dim_cuda_templateIsEESt5tupleIJNSA_6TensorESF_SF_EERKSF_lbbbEUlllE_EE10hipError_tT0_T1_T2_jT3_P12ihipStream_tbPNSt15iterator_traitsISL_E10value_typeEPNSR_ISM_E10value_typeEPSN_NS1_7vsmem_tEENKUlT_SL_SM_SN_E_clIS8_S8_S9_S9_EESK_S10_SL_SM_SN_EUlS10_E0_NS1_11comp_targetILNS1_3genE4ELNS1_11target_archE910ELNS1_3gpuE8ELNS1_3repE0EEENS1_38merge_mergepath_config_static_selectorELNS0_4arch9wavefront6targetE0EEEvSM_,@function
_ZN7rocprim17ROCPRIM_400000_NS6detail17trampoline_kernelINS0_14default_configENS1_38merge_sort_block_merge_config_selectorIlNS0_10empty_typeEEEZZNS1_27merge_sort_block_merge_implIS3_PlPS5_mZN2at6native12_GLOBAL__N_124unique_dim_cuda_templateIsEESt5tupleIJNSA_6TensorESF_SF_EERKSF_lbbbEUlllE_EE10hipError_tT0_T1_T2_jT3_P12ihipStream_tbPNSt15iterator_traitsISL_E10value_typeEPNSR_ISM_E10value_typeEPSN_NS1_7vsmem_tEENKUlT_SL_SM_SN_E_clIS8_S8_S9_S9_EESK_S10_SL_SM_SN_EUlS10_E0_NS1_11comp_targetILNS1_3genE4ELNS1_11target_archE910ELNS1_3gpuE8ELNS1_3repE0EEENS1_38merge_mergepath_config_static_selectorELNS0_4arch9wavefront6targetE0EEEvSM_: ; @_ZN7rocprim17ROCPRIM_400000_NS6detail17trampoline_kernelINS0_14default_configENS1_38merge_sort_block_merge_config_selectorIlNS0_10empty_typeEEEZZNS1_27merge_sort_block_merge_implIS3_PlPS5_mZN2at6native12_GLOBAL__N_124unique_dim_cuda_templateIsEESt5tupleIJNSA_6TensorESF_SF_EERKSF_lbbbEUlllE_EE10hipError_tT0_T1_T2_jT3_P12ihipStream_tbPNSt15iterator_traitsISL_E10value_typeEPNSR_ISM_E10value_typeEPSN_NS1_7vsmem_tEENKUlT_SL_SM_SN_E_clIS8_S8_S9_S9_EESK_S10_SL_SM_SN_EUlS10_E0_NS1_11comp_targetILNS1_3genE4ELNS1_11target_archE910ELNS1_3gpuE8ELNS1_3repE0EEENS1_38merge_mergepath_config_static_selectorELNS0_4arch9wavefront6targetE0EEEvSM_
; %bb.0:
	.section	.rodata,"a",@progbits
	.p2align	6, 0x0
	.amdhsa_kernel _ZN7rocprim17ROCPRIM_400000_NS6detail17trampoline_kernelINS0_14default_configENS1_38merge_sort_block_merge_config_selectorIlNS0_10empty_typeEEEZZNS1_27merge_sort_block_merge_implIS3_PlPS5_mZN2at6native12_GLOBAL__N_124unique_dim_cuda_templateIsEESt5tupleIJNSA_6TensorESF_SF_EERKSF_lbbbEUlllE_EE10hipError_tT0_T1_T2_jT3_P12ihipStream_tbPNSt15iterator_traitsISL_E10value_typeEPNSR_ISM_E10value_typeEPSN_NS1_7vsmem_tEENKUlT_SL_SM_SN_E_clIS8_S8_S9_S9_EESK_S10_SL_SM_SN_EUlS10_E0_NS1_11comp_targetILNS1_3genE4ELNS1_11target_archE910ELNS1_3gpuE8ELNS1_3repE0EEENS1_38merge_mergepath_config_static_selectorELNS0_4arch9wavefront6targetE0EEEvSM_
		.amdhsa_group_segment_fixed_size 0
		.amdhsa_private_segment_fixed_size 0
		.amdhsa_kernarg_size 88
		.amdhsa_user_sgpr_count 2
		.amdhsa_user_sgpr_dispatch_ptr 0
		.amdhsa_user_sgpr_queue_ptr 0
		.amdhsa_user_sgpr_kernarg_segment_ptr 1
		.amdhsa_user_sgpr_dispatch_id 0
		.amdhsa_user_sgpr_kernarg_preload_length 0
		.amdhsa_user_sgpr_kernarg_preload_offset 0
		.amdhsa_user_sgpr_private_segment_size 0
		.amdhsa_wavefront_size32 1
		.amdhsa_uses_dynamic_stack 0
		.amdhsa_enable_private_segment 0
		.amdhsa_system_sgpr_workgroup_id_x 1
		.amdhsa_system_sgpr_workgroup_id_y 0
		.amdhsa_system_sgpr_workgroup_id_z 0
		.amdhsa_system_sgpr_workgroup_info 0
		.amdhsa_system_vgpr_workitem_id 0
		.amdhsa_next_free_vgpr 1
		.amdhsa_next_free_sgpr 1
		.amdhsa_named_barrier_count 0
		.amdhsa_reserve_vcc 0
		.amdhsa_float_round_mode_32 0
		.amdhsa_float_round_mode_16_64 0
		.amdhsa_float_denorm_mode_32 3
		.amdhsa_float_denorm_mode_16_64 3
		.amdhsa_fp16_overflow 0
		.amdhsa_memory_ordered 1
		.amdhsa_forward_progress 1
		.amdhsa_inst_pref_size 0
		.amdhsa_round_robin_scheduling 0
		.amdhsa_exception_fp_ieee_invalid_op 0
		.amdhsa_exception_fp_denorm_src 0
		.amdhsa_exception_fp_ieee_div_zero 0
		.amdhsa_exception_fp_ieee_overflow 0
		.amdhsa_exception_fp_ieee_underflow 0
		.amdhsa_exception_fp_ieee_inexact 0
		.amdhsa_exception_int_div_zero 0
	.end_amdhsa_kernel
	.section	.text._ZN7rocprim17ROCPRIM_400000_NS6detail17trampoline_kernelINS0_14default_configENS1_38merge_sort_block_merge_config_selectorIlNS0_10empty_typeEEEZZNS1_27merge_sort_block_merge_implIS3_PlPS5_mZN2at6native12_GLOBAL__N_124unique_dim_cuda_templateIsEESt5tupleIJNSA_6TensorESF_SF_EERKSF_lbbbEUlllE_EE10hipError_tT0_T1_T2_jT3_P12ihipStream_tbPNSt15iterator_traitsISL_E10value_typeEPNSR_ISM_E10value_typeEPSN_NS1_7vsmem_tEENKUlT_SL_SM_SN_E_clIS8_S8_S9_S9_EESK_S10_SL_SM_SN_EUlS10_E0_NS1_11comp_targetILNS1_3genE4ELNS1_11target_archE910ELNS1_3gpuE8ELNS1_3repE0EEENS1_38merge_mergepath_config_static_selectorELNS0_4arch9wavefront6targetE0EEEvSM_,"axG",@progbits,_ZN7rocprim17ROCPRIM_400000_NS6detail17trampoline_kernelINS0_14default_configENS1_38merge_sort_block_merge_config_selectorIlNS0_10empty_typeEEEZZNS1_27merge_sort_block_merge_implIS3_PlPS5_mZN2at6native12_GLOBAL__N_124unique_dim_cuda_templateIsEESt5tupleIJNSA_6TensorESF_SF_EERKSF_lbbbEUlllE_EE10hipError_tT0_T1_T2_jT3_P12ihipStream_tbPNSt15iterator_traitsISL_E10value_typeEPNSR_ISM_E10value_typeEPSN_NS1_7vsmem_tEENKUlT_SL_SM_SN_E_clIS8_S8_S9_S9_EESK_S10_SL_SM_SN_EUlS10_E0_NS1_11comp_targetILNS1_3genE4ELNS1_11target_archE910ELNS1_3gpuE8ELNS1_3repE0EEENS1_38merge_mergepath_config_static_selectorELNS0_4arch9wavefront6targetE0EEEvSM_,comdat
.Lfunc_end647:
	.size	_ZN7rocprim17ROCPRIM_400000_NS6detail17trampoline_kernelINS0_14default_configENS1_38merge_sort_block_merge_config_selectorIlNS0_10empty_typeEEEZZNS1_27merge_sort_block_merge_implIS3_PlPS5_mZN2at6native12_GLOBAL__N_124unique_dim_cuda_templateIsEESt5tupleIJNSA_6TensorESF_SF_EERKSF_lbbbEUlllE_EE10hipError_tT0_T1_T2_jT3_P12ihipStream_tbPNSt15iterator_traitsISL_E10value_typeEPNSR_ISM_E10value_typeEPSN_NS1_7vsmem_tEENKUlT_SL_SM_SN_E_clIS8_S8_S9_S9_EESK_S10_SL_SM_SN_EUlS10_E0_NS1_11comp_targetILNS1_3genE4ELNS1_11target_archE910ELNS1_3gpuE8ELNS1_3repE0EEENS1_38merge_mergepath_config_static_selectorELNS0_4arch9wavefront6targetE0EEEvSM_, .Lfunc_end647-_ZN7rocprim17ROCPRIM_400000_NS6detail17trampoline_kernelINS0_14default_configENS1_38merge_sort_block_merge_config_selectorIlNS0_10empty_typeEEEZZNS1_27merge_sort_block_merge_implIS3_PlPS5_mZN2at6native12_GLOBAL__N_124unique_dim_cuda_templateIsEESt5tupleIJNSA_6TensorESF_SF_EERKSF_lbbbEUlllE_EE10hipError_tT0_T1_T2_jT3_P12ihipStream_tbPNSt15iterator_traitsISL_E10value_typeEPNSR_ISM_E10value_typeEPSN_NS1_7vsmem_tEENKUlT_SL_SM_SN_E_clIS8_S8_S9_S9_EESK_S10_SL_SM_SN_EUlS10_E0_NS1_11comp_targetILNS1_3genE4ELNS1_11target_archE910ELNS1_3gpuE8ELNS1_3repE0EEENS1_38merge_mergepath_config_static_selectorELNS0_4arch9wavefront6targetE0EEEvSM_
                                        ; -- End function
	.set _ZN7rocprim17ROCPRIM_400000_NS6detail17trampoline_kernelINS0_14default_configENS1_38merge_sort_block_merge_config_selectorIlNS0_10empty_typeEEEZZNS1_27merge_sort_block_merge_implIS3_PlPS5_mZN2at6native12_GLOBAL__N_124unique_dim_cuda_templateIsEESt5tupleIJNSA_6TensorESF_SF_EERKSF_lbbbEUlllE_EE10hipError_tT0_T1_T2_jT3_P12ihipStream_tbPNSt15iterator_traitsISL_E10value_typeEPNSR_ISM_E10value_typeEPSN_NS1_7vsmem_tEENKUlT_SL_SM_SN_E_clIS8_S8_S9_S9_EESK_S10_SL_SM_SN_EUlS10_E0_NS1_11comp_targetILNS1_3genE4ELNS1_11target_archE910ELNS1_3gpuE8ELNS1_3repE0EEENS1_38merge_mergepath_config_static_selectorELNS0_4arch9wavefront6targetE0EEEvSM_.num_vgpr, 0
	.set _ZN7rocprim17ROCPRIM_400000_NS6detail17trampoline_kernelINS0_14default_configENS1_38merge_sort_block_merge_config_selectorIlNS0_10empty_typeEEEZZNS1_27merge_sort_block_merge_implIS3_PlPS5_mZN2at6native12_GLOBAL__N_124unique_dim_cuda_templateIsEESt5tupleIJNSA_6TensorESF_SF_EERKSF_lbbbEUlllE_EE10hipError_tT0_T1_T2_jT3_P12ihipStream_tbPNSt15iterator_traitsISL_E10value_typeEPNSR_ISM_E10value_typeEPSN_NS1_7vsmem_tEENKUlT_SL_SM_SN_E_clIS8_S8_S9_S9_EESK_S10_SL_SM_SN_EUlS10_E0_NS1_11comp_targetILNS1_3genE4ELNS1_11target_archE910ELNS1_3gpuE8ELNS1_3repE0EEENS1_38merge_mergepath_config_static_selectorELNS0_4arch9wavefront6targetE0EEEvSM_.num_agpr, 0
	.set _ZN7rocprim17ROCPRIM_400000_NS6detail17trampoline_kernelINS0_14default_configENS1_38merge_sort_block_merge_config_selectorIlNS0_10empty_typeEEEZZNS1_27merge_sort_block_merge_implIS3_PlPS5_mZN2at6native12_GLOBAL__N_124unique_dim_cuda_templateIsEESt5tupleIJNSA_6TensorESF_SF_EERKSF_lbbbEUlllE_EE10hipError_tT0_T1_T2_jT3_P12ihipStream_tbPNSt15iterator_traitsISL_E10value_typeEPNSR_ISM_E10value_typeEPSN_NS1_7vsmem_tEENKUlT_SL_SM_SN_E_clIS8_S8_S9_S9_EESK_S10_SL_SM_SN_EUlS10_E0_NS1_11comp_targetILNS1_3genE4ELNS1_11target_archE910ELNS1_3gpuE8ELNS1_3repE0EEENS1_38merge_mergepath_config_static_selectorELNS0_4arch9wavefront6targetE0EEEvSM_.numbered_sgpr, 0
	.set _ZN7rocprim17ROCPRIM_400000_NS6detail17trampoline_kernelINS0_14default_configENS1_38merge_sort_block_merge_config_selectorIlNS0_10empty_typeEEEZZNS1_27merge_sort_block_merge_implIS3_PlPS5_mZN2at6native12_GLOBAL__N_124unique_dim_cuda_templateIsEESt5tupleIJNSA_6TensorESF_SF_EERKSF_lbbbEUlllE_EE10hipError_tT0_T1_T2_jT3_P12ihipStream_tbPNSt15iterator_traitsISL_E10value_typeEPNSR_ISM_E10value_typeEPSN_NS1_7vsmem_tEENKUlT_SL_SM_SN_E_clIS8_S8_S9_S9_EESK_S10_SL_SM_SN_EUlS10_E0_NS1_11comp_targetILNS1_3genE4ELNS1_11target_archE910ELNS1_3gpuE8ELNS1_3repE0EEENS1_38merge_mergepath_config_static_selectorELNS0_4arch9wavefront6targetE0EEEvSM_.num_named_barrier, 0
	.set _ZN7rocprim17ROCPRIM_400000_NS6detail17trampoline_kernelINS0_14default_configENS1_38merge_sort_block_merge_config_selectorIlNS0_10empty_typeEEEZZNS1_27merge_sort_block_merge_implIS3_PlPS5_mZN2at6native12_GLOBAL__N_124unique_dim_cuda_templateIsEESt5tupleIJNSA_6TensorESF_SF_EERKSF_lbbbEUlllE_EE10hipError_tT0_T1_T2_jT3_P12ihipStream_tbPNSt15iterator_traitsISL_E10value_typeEPNSR_ISM_E10value_typeEPSN_NS1_7vsmem_tEENKUlT_SL_SM_SN_E_clIS8_S8_S9_S9_EESK_S10_SL_SM_SN_EUlS10_E0_NS1_11comp_targetILNS1_3genE4ELNS1_11target_archE910ELNS1_3gpuE8ELNS1_3repE0EEENS1_38merge_mergepath_config_static_selectorELNS0_4arch9wavefront6targetE0EEEvSM_.private_seg_size, 0
	.set _ZN7rocprim17ROCPRIM_400000_NS6detail17trampoline_kernelINS0_14default_configENS1_38merge_sort_block_merge_config_selectorIlNS0_10empty_typeEEEZZNS1_27merge_sort_block_merge_implIS3_PlPS5_mZN2at6native12_GLOBAL__N_124unique_dim_cuda_templateIsEESt5tupleIJNSA_6TensorESF_SF_EERKSF_lbbbEUlllE_EE10hipError_tT0_T1_T2_jT3_P12ihipStream_tbPNSt15iterator_traitsISL_E10value_typeEPNSR_ISM_E10value_typeEPSN_NS1_7vsmem_tEENKUlT_SL_SM_SN_E_clIS8_S8_S9_S9_EESK_S10_SL_SM_SN_EUlS10_E0_NS1_11comp_targetILNS1_3genE4ELNS1_11target_archE910ELNS1_3gpuE8ELNS1_3repE0EEENS1_38merge_mergepath_config_static_selectorELNS0_4arch9wavefront6targetE0EEEvSM_.uses_vcc, 0
	.set _ZN7rocprim17ROCPRIM_400000_NS6detail17trampoline_kernelINS0_14default_configENS1_38merge_sort_block_merge_config_selectorIlNS0_10empty_typeEEEZZNS1_27merge_sort_block_merge_implIS3_PlPS5_mZN2at6native12_GLOBAL__N_124unique_dim_cuda_templateIsEESt5tupleIJNSA_6TensorESF_SF_EERKSF_lbbbEUlllE_EE10hipError_tT0_T1_T2_jT3_P12ihipStream_tbPNSt15iterator_traitsISL_E10value_typeEPNSR_ISM_E10value_typeEPSN_NS1_7vsmem_tEENKUlT_SL_SM_SN_E_clIS8_S8_S9_S9_EESK_S10_SL_SM_SN_EUlS10_E0_NS1_11comp_targetILNS1_3genE4ELNS1_11target_archE910ELNS1_3gpuE8ELNS1_3repE0EEENS1_38merge_mergepath_config_static_selectorELNS0_4arch9wavefront6targetE0EEEvSM_.uses_flat_scratch, 0
	.set _ZN7rocprim17ROCPRIM_400000_NS6detail17trampoline_kernelINS0_14default_configENS1_38merge_sort_block_merge_config_selectorIlNS0_10empty_typeEEEZZNS1_27merge_sort_block_merge_implIS3_PlPS5_mZN2at6native12_GLOBAL__N_124unique_dim_cuda_templateIsEESt5tupleIJNSA_6TensorESF_SF_EERKSF_lbbbEUlllE_EE10hipError_tT0_T1_T2_jT3_P12ihipStream_tbPNSt15iterator_traitsISL_E10value_typeEPNSR_ISM_E10value_typeEPSN_NS1_7vsmem_tEENKUlT_SL_SM_SN_E_clIS8_S8_S9_S9_EESK_S10_SL_SM_SN_EUlS10_E0_NS1_11comp_targetILNS1_3genE4ELNS1_11target_archE910ELNS1_3gpuE8ELNS1_3repE0EEENS1_38merge_mergepath_config_static_selectorELNS0_4arch9wavefront6targetE0EEEvSM_.has_dyn_sized_stack, 0
	.set _ZN7rocprim17ROCPRIM_400000_NS6detail17trampoline_kernelINS0_14default_configENS1_38merge_sort_block_merge_config_selectorIlNS0_10empty_typeEEEZZNS1_27merge_sort_block_merge_implIS3_PlPS5_mZN2at6native12_GLOBAL__N_124unique_dim_cuda_templateIsEESt5tupleIJNSA_6TensorESF_SF_EERKSF_lbbbEUlllE_EE10hipError_tT0_T1_T2_jT3_P12ihipStream_tbPNSt15iterator_traitsISL_E10value_typeEPNSR_ISM_E10value_typeEPSN_NS1_7vsmem_tEENKUlT_SL_SM_SN_E_clIS8_S8_S9_S9_EESK_S10_SL_SM_SN_EUlS10_E0_NS1_11comp_targetILNS1_3genE4ELNS1_11target_archE910ELNS1_3gpuE8ELNS1_3repE0EEENS1_38merge_mergepath_config_static_selectorELNS0_4arch9wavefront6targetE0EEEvSM_.has_recursion, 0
	.set _ZN7rocprim17ROCPRIM_400000_NS6detail17trampoline_kernelINS0_14default_configENS1_38merge_sort_block_merge_config_selectorIlNS0_10empty_typeEEEZZNS1_27merge_sort_block_merge_implIS3_PlPS5_mZN2at6native12_GLOBAL__N_124unique_dim_cuda_templateIsEESt5tupleIJNSA_6TensorESF_SF_EERKSF_lbbbEUlllE_EE10hipError_tT0_T1_T2_jT3_P12ihipStream_tbPNSt15iterator_traitsISL_E10value_typeEPNSR_ISM_E10value_typeEPSN_NS1_7vsmem_tEENKUlT_SL_SM_SN_E_clIS8_S8_S9_S9_EESK_S10_SL_SM_SN_EUlS10_E0_NS1_11comp_targetILNS1_3genE4ELNS1_11target_archE910ELNS1_3gpuE8ELNS1_3repE0EEENS1_38merge_mergepath_config_static_selectorELNS0_4arch9wavefront6targetE0EEEvSM_.has_indirect_call, 0
	.section	.AMDGPU.csdata,"",@progbits
; Kernel info:
; codeLenInByte = 0
; TotalNumSgprs: 0
; NumVgprs: 0
; ScratchSize: 0
; MemoryBound: 0
; FloatMode: 240
; IeeeMode: 1
; LDSByteSize: 0 bytes/workgroup (compile time only)
; SGPRBlocks: 0
; VGPRBlocks: 0
; NumSGPRsForWavesPerEU: 1
; NumVGPRsForWavesPerEU: 1
; NamedBarCnt: 0
; Occupancy: 16
; WaveLimiterHint : 0
; COMPUTE_PGM_RSRC2:SCRATCH_EN: 0
; COMPUTE_PGM_RSRC2:USER_SGPR: 2
; COMPUTE_PGM_RSRC2:TRAP_HANDLER: 0
; COMPUTE_PGM_RSRC2:TGID_X_EN: 1
; COMPUTE_PGM_RSRC2:TGID_Y_EN: 0
; COMPUTE_PGM_RSRC2:TGID_Z_EN: 0
; COMPUTE_PGM_RSRC2:TIDIG_COMP_CNT: 0
	.section	.text._ZN7rocprim17ROCPRIM_400000_NS6detail17trampoline_kernelINS0_14default_configENS1_38merge_sort_block_merge_config_selectorIlNS0_10empty_typeEEEZZNS1_27merge_sort_block_merge_implIS3_PlPS5_mZN2at6native12_GLOBAL__N_124unique_dim_cuda_templateIsEESt5tupleIJNSA_6TensorESF_SF_EERKSF_lbbbEUlllE_EE10hipError_tT0_T1_T2_jT3_P12ihipStream_tbPNSt15iterator_traitsISL_E10value_typeEPNSR_ISM_E10value_typeEPSN_NS1_7vsmem_tEENKUlT_SL_SM_SN_E_clIS8_S8_S9_S9_EESK_S10_SL_SM_SN_EUlS10_E0_NS1_11comp_targetILNS1_3genE3ELNS1_11target_archE908ELNS1_3gpuE7ELNS1_3repE0EEENS1_38merge_mergepath_config_static_selectorELNS0_4arch9wavefront6targetE0EEEvSM_,"axG",@progbits,_ZN7rocprim17ROCPRIM_400000_NS6detail17trampoline_kernelINS0_14default_configENS1_38merge_sort_block_merge_config_selectorIlNS0_10empty_typeEEEZZNS1_27merge_sort_block_merge_implIS3_PlPS5_mZN2at6native12_GLOBAL__N_124unique_dim_cuda_templateIsEESt5tupleIJNSA_6TensorESF_SF_EERKSF_lbbbEUlllE_EE10hipError_tT0_T1_T2_jT3_P12ihipStream_tbPNSt15iterator_traitsISL_E10value_typeEPNSR_ISM_E10value_typeEPSN_NS1_7vsmem_tEENKUlT_SL_SM_SN_E_clIS8_S8_S9_S9_EESK_S10_SL_SM_SN_EUlS10_E0_NS1_11comp_targetILNS1_3genE3ELNS1_11target_archE908ELNS1_3gpuE7ELNS1_3repE0EEENS1_38merge_mergepath_config_static_selectorELNS0_4arch9wavefront6targetE0EEEvSM_,comdat
	.globl	_ZN7rocprim17ROCPRIM_400000_NS6detail17trampoline_kernelINS0_14default_configENS1_38merge_sort_block_merge_config_selectorIlNS0_10empty_typeEEEZZNS1_27merge_sort_block_merge_implIS3_PlPS5_mZN2at6native12_GLOBAL__N_124unique_dim_cuda_templateIsEESt5tupleIJNSA_6TensorESF_SF_EERKSF_lbbbEUlllE_EE10hipError_tT0_T1_T2_jT3_P12ihipStream_tbPNSt15iterator_traitsISL_E10value_typeEPNSR_ISM_E10value_typeEPSN_NS1_7vsmem_tEENKUlT_SL_SM_SN_E_clIS8_S8_S9_S9_EESK_S10_SL_SM_SN_EUlS10_E0_NS1_11comp_targetILNS1_3genE3ELNS1_11target_archE908ELNS1_3gpuE7ELNS1_3repE0EEENS1_38merge_mergepath_config_static_selectorELNS0_4arch9wavefront6targetE0EEEvSM_ ; -- Begin function _ZN7rocprim17ROCPRIM_400000_NS6detail17trampoline_kernelINS0_14default_configENS1_38merge_sort_block_merge_config_selectorIlNS0_10empty_typeEEEZZNS1_27merge_sort_block_merge_implIS3_PlPS5_mZN2at6native12_GLOBAL__N_124unique_dim_cuda_templateIsEESt5tupleIJNSA_6TensorESF_SF_EERKSF_lbbbEUlllE_EE10hipError_tT0_T1_T2_jT3_P12ihipStream_tbPNSt15iterator_traitsISL_E10value_typeEPNSR_ISM_E10value_typeEPSN_NS1_7vsmem_tEENKUlT_SL_SM_SN_E_clIS8_S8_S9_S9_EESK_S10_SL_SM_SN_EUlS10_E0_NS1_11comp_targetILNS1_3genE3ELNS1_11target_archE908ELNS1_3gpuE7ELNS1_3repE0EEENS1_38merge_mergepath_config_static_selectorELNS0_4arch9wavefront6targetE0EEEvSM_
	.p2align	8
	.type	_ZN7rocprim17ROCPRIM_400000_NS6detail17trampoline_kernelINS0_14default_configENS1_38merge_sort_block_merge_config_selectorIlNS0_10empty_typeEEEZZNS1_27merge_sort_block_merge_implIS3_PlPS5_mZN2at6native12_GLOBAL__N_124unique_dim_cuda_templateIsEESt5tupleIJNSA_6TensorESF_SF_EERKSF_lbbbEUlllE_EE10hipError_tT0_T1_T2_jT3_P12ihipStream_tbPNSt15iterator_traitsISL_E10value_typeEPNSR_ISM_E10value_typeEPSN_NS1_7vsmem_tEENKUlT_SL_SM_SN_E_clIS8_S8_S9_S9_EESK_S10_SL_SM_SN_EUlS10_E0_NS1_11comp_targetILNS1_3genE3ELNS1_11target_archE908ELNS1_3gpuE7ELNS1_3repE0EEENS1_38merge_mergepath_config_static_selectorELNS0_4arch9wavefront6targetE0EEEvSM_,@function
_ZN7rocprim17ROCPRIM_400000_NS6detail17trampoline_kernelINS0_14default_configENS1_38merge_sort_block_merge_config_selectorIlNS0_10empty_typeEEEZZNS1_27merge_sort_block_merge_implIS3_PlPS5_mZN2at6native12_GLOBAL__N_124unique_dim_cuda_templateIsEESt5tupleIJNSA_6TensorESF_SF_EERKSF_lbbbEUlllE_EE10hipError_tT0_T1_T2_jT3_P12ihipStream_tbPNSt15iterator_traitsISL_E10value_typeEPNSR_ISM_E10value_typeEPSN_NS1_7vsmem_tEENKUlT_SL_SM_SN_E_clIS8_S8_S9_S9_EESK_S10_SL_SM_SN_EUlS10_E0_NS1_11comp_targetILNS1_3genE3ELNS1_11target_archE908ELNS1_3gpuE7ELNS1_3repE0EEENS1_38merge_mergepath_config_static_selectorELNS0_4arch9wavefront6targetE0EEEvSM_: ; @_ZN7rocprim17ROCPRIM_400000_NS6detail17trampoline_kernelINS0_14default_configENS1_38merge_sort_block_merge_config_selectorIlNS0_10empty_typeEEEZZNS1_27merge_sort_block_merge_implIS3_PlPS5_mZN2at6native12_GLOBAL__N_124unique_dim_cuda_templateIsEESt5tupleIJNSA_6TensorESF_SF_EERKSF_lbbbEUlllE_EE10hipError_tT0_T1_T2_jT3_P12ihipStream_tbPNSt15iterator_traitsISL_E10value_typeEPNSR_ISM_E10value_typeEPSN_NS1_7vsmem_tEENKUlT_SL_SM_SN_E_clIS8_S8_S9_S9_EESK_S10_SL_SM_SN_EUlS10_E0_NS1_11comp_targetILNS1_3genE3ELNS1_11target_archE908ELNS1_3gpuE7ELNS1_3repE0EEENS1_38merge_mergepath_config_static_selectorELNS0_4arch9wavefront6targetE0EEEvSM_
; %bb.0:
	.section	.rodata,"a",@progbits
	.p2align	6, 0x0
	.amdhsa_kernel _ZN7rocprim17ROCPRIM_400000_NS6detail17trampoline_kernelINS0_14default_configENS1_38merge_sort_block_merge_config_selectorIlNS0_10empty_typeEEEZZNS1_27merge_sort_block_merge_implIS3_PlPS5_mZN2at6native12_GLOBAL__N_124unique_dim_cuda_templateIsEESt5tupleIJNSA_6TensorESF_SF_EERKSF_lbbbEUlllE_EE10hipError_tT0_T1_T2_jT3_P12ihipStream_tbPNSt15iterator_traitsISL_E10value_typeEPNSR_ISM_E10value_typeEPSN_NS1_7vsmem_tEENKUlT_SL_SM_SN_E_clIS8_S8_S9_S9_EESK_S10_SL_SM_SN_EUlS10_E0_NS1_11comp_targetILNS1_3genE3ELNS1_11target_archE908ELNS1_3gpuE7ELNS1_3repE0EEENS1_38merge_mergepath_config_static_selectorELNS0_4arch9wavefront6targetE0EEEvSM_
		.amdhsa_group_segment_fixed_size 0
		.amdhsa_private_segment_fixed_size 0
		.amdhsa_kernarg_size 88
		.amdhsa_user_sgpr_count 2
		.amdhsa_user_sgpr_dispatch_ptr 0
		.amdhsa_user_sgpr_queue_ptr 0
		.amdhsa_user_sgpr_kernarg_segment_ptr 1
		.amdhsa_user_sgpr_dispatch_id 0
		.amdhsa_user_sgpr_kernarg_preload_length 0
		.amdhsa_user_sgpr_kernarg_preload_offset 0
		.amdhsa_user_sgpr_private_segment_size 0
		.amdhsa_wavefront_size32 1
		.amdhsa_uses_dynamic_stack 0
		.amdhsa_enable_private_segment 0
		.amdhsa_system_sgpr_workgroup_id_x 1
		.amdhsa_system_sgpr_workgroup_id_y 0
		.amdhsa_system_sgpr_workgroup_id_z 0
		.amdhsa_system_sgpr_workgroup_info 0
		.amdhsa_system_vgpr_workitem_id 0
		.amdhsa_next_free_vgpr 1
		.amdhsa_next_free_sgpr 1
		.amdhsa_named_barrier_count 0
		.amdhsa_reserve_vcc 0
		.amdhsa_float_round_mode_32 0
		.amdhsa_float_round_mode_16_64 0
		.amdhsa_float_denorm_mode_32 3
		.amdhsa_float_denorm_mode_16_64 3
		.amdhsa_fp16_overflow 0
		.amdhsa_memory_ordered 1
		.amdhsa_forward_progress 1
		.amdhsa_inst_pref_size 0
		.amdhsa_round_robin_scheduling 0
		.amdhsa_exception_fp_ieee_invalid_op 0
		.amdhsa_exception_fp_denorm_src 0
		.amdhsa_exception_fp_ieee_div_zero 0
		.amdhsa_exception_fp_ieee_overflow 0
		.amdhsa_exception_fp_ieee_underflow 0
		.amdhsa_exception_fp_ieee_inexact 0
		.amdhsa_exception_int_div_zero 0
	.end_amdhsa_kernel
	.section	.text._ZN7rocprim17ROCPRIM_400000_NS6detail17trampoline_kernelINS0_14default_configENS1_38merge_sort_block_merge_config_selectorIlNS0_10empty_typeEEEZZNS1_27merge_sort_block_merge_implIS3_PlPS5_mZN2at6native12_GLOBAL__N_124unique_dim_cuda_templateIsEESt5tupleIJNSA_6TensorESF_SF_EERKSF_lbbbEUlllE_EE10hipError_tT0_T1_T2_jT3_P12ihipStream_tbPNSt15iterator_traitsISL_E10value_typeEPNSR_ISM_E10value_typeEPSN_NS1_7vsmem_tEENKUlT_SL_SM_SN_E_clIS8_S8_S9_S9_EESK_S10_SL_SM_SN_EUlS10_E0_NS1_11comp_targetILNS1_3genE3ELNS1_11target_archE908ELNS1_3gpuE7ELNS1_3repE0EEENS1_38merge_mergepath_config_static_selectorELNS0_4arch9wavefront6targetE0EEEvSM_,"axG",@progbits,_ZN7rocprim17ROCPRIM_400000_NS6detail17trampoline_kernelINS0_14default_configENS1_38merge_sort_block_merge_config_selectorIlNS0_10empty_typeEEEZZNS1_27merge_sort_block_merge_implIS3_PlPS5_mZN2at6native12_GLOBAL__N_124unique_dim_cuda_templateIsEESt5tupleIJNSA_6TensorESF_SF_EERKSF_lbbbEUlllE_EE10hipError_tT0_T1_T2_jT3_P12ihipStream_tbPNSt15iterator_traitsISL_E10value_typeEPNSR_ISM_E10value_typeEPSN_NS1_7vsmem_tEENKUlT_SL_SM_SN_E_clIS8_S8_S9_S9_EESK_S10_SL_SM_SN_EUlS10_E0_NS1_11comp_targetILNS1_3genE3ELNS1_11target_archE908ELNS1_3gpuE7ELNS1_3repE0EEENS1_38merge_mergepath_config_static_selectorELNS0_4arch9wavefront6targetE0EEEvSM_,comdat
.Lfunc_end648:
	.size	_ZN7rocprim17ROCPRIM_400000_NS6detail17trampoline_kernelINS0_14default_configENS1_38merge_sort_block_merge_config_selectorIlNS0_10empty_typeEEEZZNS1_27merge_sort_block_merge_implIS3_PlPS5_mZN2at6native12_GLOBAL__N_124unique_dim_cuda_templateIsEESt5tupleIJNSA_6TensorESF_SF_EERKSF_lbbbEUlllE_EE10hipError_tT0_T1_T2_jT3_P12ihipStream_tbPNSt15iterator_traitsISL_E10value_typeEPNSR_ISM_E10value_typeEPSN_NS1_7vsmem_tEENKUlT_SL_SM_SN_E_clIS8_S8_S9_S9_EESK_S10_SL_SM_SN_EUlS10_E0_NS1_11comp_targetILNS1_3genE3ELNS1_11target_archE908ELNS1_3gpuE7ELNS1_3repE0EEENS1_38merge_mergepath_config_static_selectorELNS0_4arch9wavefront6targetE0EEEvSM_, .Lfunc_end648-_ZN7rocprim17ROCPRIM_400000_NS6detail17trampoline_kernelINS0_14default_configENS1_38merge_sort_block_merge_config_selectorIlNS0_10empty_typeEEEZZNS1_27merge_sort_block_merge_implIS3_PlPS5_mZN2at6native12_GLOBAL__N_124unique_dim_cuda_templateIsEESt5tupleIJNSA_6TensorESF_SF_EERKSF_lbbbEUlllE_EE10hipError_tT0_T1_T2_jT3_P12ihipStream_tbPNSt15iterator_traitsISL_E10value_typeEPNSR_ISM_E10value_typeEPSN_NS1_7vsmem_tEENKUlT_SL_SM_SN_E_clIS8_S8_S9_S9_EESK_S10_SL_SM_SN_EUlS10_E0_NS1_11comp_targetILNS1_3genE3ELNS1_11target_archE908ELNS1_3gpuE7ELNS1_3repE0EEENS1_38merge_mergepath_config_static_selectorELNS0_4arch9wavefront6targetE0EEEvSM_
                                        ; -- End function
	.set _ZN7rocprim17ROCPRIM_400000_NS6detail17trampoline_kernelINS0_14default_configENS1_38merge_sort_block_merge_config_selectorIlNS0_10empty_typeEEEZZNS1_27merge_sort_block_merge_implIS3_PlPS5_mZN2at6native12_GLOBAL__N_124unique_dim_cuda_templateIsEESt5tupleIJNSA_6TensorESF_SF_EERKSF_lbbbEUlllE_EE10hipError_tT0_T1_T2_jT3_P12ihipStream_tbPNSt15iterator_traitsISL_E10value_typeEPNSR_ISM_E10value_typeEPSN_NS1_7vsmem_tEENKUlT_SL_SM_SN_E_clIS8_S8_S9_S9_EESK_S10_SL_SM_SN_EUlS10_E0_NS1_11comp_targetILNS1_3genE3ELNS1_11target_archE908ELNS1_3gpuE7ELNS1_3repE0EEENS1_38merge_mergepath_config_static_selectorELNS0_4arch9wavefront6targetE0EEEvSM_.num_vgpr, 0
	.set _ZN7rocprim17ROCPRIM_400000_NS6detail17trampoline_kernelINS0_14default_configENS1_38merge_sort_block_merge_config_selectorIlNS0_10empty_typeEEEZZNS1_27merge_sort_block_merge_implIS3_PlPS5_mZN2at6native12_GLOBAL__N_124unique_dim_cuda_templateIsEESt5tupleIJNSA_6TensorESF_SF_EERKSF_lbbbEUlllE_EE10hipError_tT0_T1_T2_jT3_P12ihipStream_tbPNSt15iterator_traitsISL_E10value_typeEPNSR_ISM_E10value_typeEPSN_NS1_7vsmem_tEENKUlT_SL_SM_SN_E_clIS8_S8_S9_S9_EESK_S10_SL_SM_SN_EUlS10_E0_NS1_11comp_targetILNS1_3genE3ELNS1_11target_archE908ELNS1_3gpuE7ELNS1_3repE0EEENS1_38merge_mergepath_config_static_selectorELNS0_4arch9wavefront6targetE0EEEvSM_.num_agpr, 0
	.set _ZN7rocprim17ROCPRIM_400000_NS6detail17trampoline_kernelINS0_14default_configENS1_38merge_sort_block_merge_config_selectorIlNS0_10empty_typeEEEZZNS1_27merge_sort_block_merge_implIS3_PlPS5_mZN2at6native12_GLOBAL__N_124unique_dim_cuda_templateIsEESt5tupleIJNSA_6TensorESF_SF_EERKSF_lbbbEUlllE_EE10hipError_tT0_T1_T2_jT3_P12ihipStream_tbPNSt15iterator_traitsISL_E10value_typeEPNSR_ISM_E10value_typeEPSN_NS1_7vsmem_tEENKUlT_SL_SM_SN_E_clIS8_S8_S9_S9_EESK_S10_SL_SM_SN_EUlS10_E0_NS1_11comp_targetILNS1_3genE3ELNS1_11target_archE908ELNS1_3gpuE7ELNS1_3repE0EEENS1_38merge_mergepath_config_static_selectorELNS0_4arch9wavefront6targetE0EEEvSM_.numbered_sgpr, 0
	.set _ZN7rocprim17ROCPRIM_400000_NS6detail17trampoline_kernelINS0_14default_configENS1_38merge_sort_block_merge_config_selectorIlNS0_10empty_typeEEEZZNS1_27merge_sort_block_merge_implIS3_PlPS5_mZN2at6native12_GLOBAL__N_124unique_dim_cuda_templateIsEESt5tupleIJNSA_6TensorESF_SF_EERKSF_lbbbEUlllE_EE10hipError_tT0_T1_T2_jT3_P12ihipStream_tbPNSt15iterator_traitsISL_E10value_typeEPNSR_ISM_E10value_typeEPSN_NS1_7vsmem_tEENKUlT_SL_SM_SN_E_clIS8_S8_S9_S9_EESK_S10_SL_SM_SN_EUlS10_E0_NS1_11comp_targetILNS1_3genE3ELNS1_11target_archE908ELNS1_3gpuE7ELNS1_3repE0EEENS1_38merge_mergepath_config_static_selectorELNS0_4arch9wavefront6targetE0EEEvSM_.num_named_barrier, 0
	.set _ZN7rocprim17ROCPRIM_400000_NS6detail17trampoline_kernelINS0_14default_configENS1_38merge_sort_block_merge_config_selectorIlNS0_10empty_typeEEEZZNS1_27merge_sort_block_merge_implIS3_PlPS5_mZN2at6native12_GLOBAL__N_124unique_dim_cuda_templateIsEESt5tupleIJNSA_6TensorESF_SF_EERKSF_lbbbEUlllE_EE10hipError_tT0_T1_T2_jT3_P12ihipStream_tbPNSt15iterator_traitsISL_E10value_typeEPNSR_ISM_E10value_typeEPSN_NS1_7vsmem_tEENKUlT_SL_SM_SN_E_clIS8_S8_S9_S9_EESK_S10_SL_SM_SN_EUlS10_E0_NS1_11comp_targetILNS1_3genE3ELNS1_11target_archE908ELNS1_3gpuE7ELNS1_3repE0EEENS1_38merge_mergepath_config_static_selectorELNS0_4arch9wavefront6targetE0EEEvSM_.private_seg_size, 0
	.set _ZN7rocprim17ROCPRIM_400000_NS6detail17trampoline_kernelINS0_14default_configENS1_38merge_sort_block_merge_config_selectorIlNS0_10empty_typeEEEZZNS1_27merge_sort_block_merge_implIS3_PlPS5_mZN2at6native12_GLOBAL__N_124unique_dim_cuda_templateIsEESt5tupleIJNSA_6TensorESF_SF_EERKSF_lbbbEUlllE_EE10hipError_tT0_T1_T2_jT3_P12ihipStream_tbPNSt15iterator_traitsISL_E10value_typeEPNSR_ISM_E10value_typeEPSN_NS1_7vsmem_tEENKUlT_SL_SM_SN_E_clIS8_S8_S9_S9_EESK_S10_SL_SM_SN_EUlS10_E0_NS1_11comp_targetILNS1_3genE3ELNS1_11target_archE908ELNS1_3gpuE7ELNS1_3repE0EEENS1_38merge_mergepath_config_static_selectorELNS0_4arch9wavefront6targetE0EEEvSM_.uses_vcc, 0
	.set _ZN7rocprim17ROCPRIM_400000_NS6detail17trampoline_kernelINS0_14default_configENS1_38merge_sort_block_merge_config_selectorIlNS0_10empty_typeEEEZZNS1_27merge_sort_block_merge_implIS3_PlPS5_mZN2at6native12_GLOBAL__N_124unique_dim_cuda_templateIsEESt5tupleIJNSA_6TensorESF_SF_EERKSF_lbbbEUlllE_EE10hipError_tT0_T1_T2_jT3_P12ihipStream_tbPNSt15iterator_traitsISL_E10value_typeEPNSR_ISM_E10value_typeEPSN_NS1_7vsmem_tEENKUlT_SL_SM_SN_E_clIS8_S8_S9_S9_EESK_S10_SL_SM_SN_EUlS10_E0_NS1_11comp_targetILNS1_3genE3ELNS1_11target_archE908ELNS1_3gpuE7ELNS1_3repE0EEENS1_38merge_mergepath_config_static_selectorELNS0_4arch9wavefront6targetE0EEEvSM_.uses_flat_scratch, 0
	.set _ZN7rocprim17ROCPRIM_400000_NS6detail17trampoline_kernelINS0_14default_configENS1_38merge_sort_block_merge_config_selectorIlNS0_10empty_typeEEEZZNS1_27merge_sort_block_merge_implIS3_PlPS5_mZN2at6native12_GLOBAL__N_124unique_dim_cuda_templateIsEESt5tupleIJNSA_6TensorESF_SF_EERKSF_lbbbEUlllE_EE10hipError_tT0_T1_T2_jT3_P12ihipStream_tbPNSt15iterator_traitsISL_E10value_typeEPNSR_ISM_E10value_typeEPSN_NS1_7vsmem_tEENKUlT_SL_SM_SN_E_clIS8_S8_S9_S9_EESK_S10_SL_SM_SN_EUlS10_E0_NS1_11comp_targetILNS1_3genE3ELNS1_11target_archE908ELNS1_3gpuE7ELNS1_3repE0EEENS1_38merge_mergepath_config_static_selectorELNS0_4arch9wavefront6targetE0EEEvSM_.has_dyn_sized_stack, 0
	.set _ZN7rocprim17ROCPRIM_400000_NS6detail17trampoline_kernelINS0_14default_configENS1_38merge_sort_block_merge_config_selectorIlNS0_10empty_typeEEEZZNS1_27merge_sort_block_merge_implIS3_PlPS5_mZN2at6native12_GLOBAL__N_124unique_dim_cuda_templateIsEESt5tupleIJNSA_6TensorESF_SF_EERKSF_lbbbEUlllE_EE10hipError_tT0_T1_T2_jT3_P12ihipStream_tbPNSt15iterator_traitsISL_E10value_typeEPNSR_ISM_E10value_typeEPSN_NS1_7vsmem_tEENKUlT_SL_SM_SN_E_clIS8_S8_S9_S9_EESK_S10_SL_SM_SN_EUlS10_E0_NS1_11comp_targetILNS1_3genE3ELNS1_11target_archE908ELNS1_3gpuE7ELNS1_3repE0EEENS1_38merge_mergepath_config_static_selectorELNS0_4arch9wavefront6targetE0EEEvSM_.has_recursion, 0
	.set _ZN7rocprim17ROCPRIM_400000_NS6detail17trampoline_kernelINS0_14default_configENS1_38merge_sort_block_merge_config_selectorIlNS0_10empty_typeEEEZZNS1_27merge_sort_block_merge_implIS3_PlPS5_mZN2at6native12_GLOBAL__N_124unique_dim_cuda_templateIsEESt5tupleIJNSA_6TensorESF_SF_EERKSF_lbbbEUlllE_EE10hipError_tT0_T1_T2_jT3_P12ihipStream_tbPNSt15iterator_traitsISL_E10value_typeEPNSR_ISM_E10value_typeEPSN_NS1_7vsmem_tEENKUlT_SL_SM_SN_E_clIS8_S8_S9_S9_EESK_S10_SL_SM_SN_EUlS10_E0_NS1_11comp_targetILNS1_3genE3ELNS1_11target_archE908ELNS1_3gpuE7ELNS1_3repE0EEENS1_38merge_mergepath_config_static_selectorELNS0_4arch9wavefront6targetE0EEEvSM_.has_indirect_call, 0
	.section	.AMDGPU.csdata,"",@progbits
; Kernel info:
; codeLenInByte = 0
; TotalNumSgprs: 0
; NumVgprs: 0
; ScratchSize: 0
; MemoryBound: 0
; FloatMode: 240
; IeeeMode: 1
; LDSByteSize: 0 bytes/workgroup (compile time only)
; SGPRBlocks: 0
; VGPRBlocks: 0
; NumSGPRsForWavesPerEU: 1
; NumVGPRsForWavesPerEU: 1
; NamedBarCnt: 0
; Occupancy: 16
; WaveLimiterHint : 0
; COMPUTE_PGM_RSRC2:SCRATCH_EN: 0
; COMPUTE_PGM_RSRC2:USER_SGPR: 2
; COMPUTE_PGM_RSRC2:TRAP_HANDLER: 0
; COMPUTE_PGM_RSRC2:TGID_X_EN: 1
; COMPUTE_PGM_RSRC2:TGID_Y_EN: 0
; COMPUTE_PGM_RSRC2:TGID_Z_EN: 0
; COMPUTE_PGM_RSRC2:TIDIG_COMP_CNT: 0
	.section	.text._ZN7rocprim17ROCPRIM_400000_NS6detail17trampoline_kernelINS0_14default_configENS1_38merge_sort_block_merge_config_selectorIlNS0_10empty_typeEEEZZNS1_27merge_sort_block_merge_implIS3_PlPS5_mZN2at6native12_GLOBAL__N_124unique_dim_cuda_templateIsEESt5tupleIJNSA_6TensorESF_SF_EERKSF_lbbbEUlllE_EE10hipError_tT0_T1_T2_jT3_P12ihipStream_tbPNSt15iterator_traitsISL_E10value_typeEPNSR_ISM_E10value_typeEPSN_NS1_7vsmem_tEENKUlT_SL_SM_SN_E_clIS8_S8_S9_S9_EESK_S10_SL_SM_SN_EUlS10_E0_NS1_11comp_targetILNS1_3genE2ELNS1_11target_archE906ELNS1_3gpuE6ELNS1_3repE0EEENS1_38merge_mergepath_config_static_selectorELNS0_4arch9wavefront6targetE0EEEvSM_,"axG",@progbits,_ZN7rocprim17ROCPRIM_400000_NS6detail17trampoline_kernelINS0_14default_configENS1_38merge_sort_block_merge_config_selectorIlNS0_10empty_typeEEEZZNS1_27merge_sort_block_merge_implIS3_PlPS5_mZN2at6native12_GLOBAL__N_124unique_dim_cuda_templateIsEESt5tupleIJNSA_6TensorESF_SF_EERKSF_lbbbEUlllE_EE10hipError_tT0_T1_T2_jT3_P12ihipStream_tbPNSt15iterator_traitsISL_E10value_typeEPNSR_ISM_E10value_typeEPSN_NS1_7vsmem_tEENKUlT_SL_SM_SN_E_clIS8_S8_S9_S9_EESK_S10_SL_SM_SN_EUlS10_E0_NS1_11comp_targetILNS1_3genE2ELNS1_11target_archE906ELNS1_3gpuE6ELNS1_3repE0EEENS1_38merge_mergepath_config_static_selectorELNS0_4arch9wavefront6targetE0EEEvSM_,comdat
	.globl	_ZN7rocprim17ROCPRIM_400000_NS6detail17trampoline_kernelINS0_14default_configENS1_38merge_sort_block_merge_config_selectorIlNS0_10empty_typeEEEZZNS1_27merge_sort_block_merge_implIS3_PlPS5_mZN2at6native12_GLOBAL__N_124unique_dim_cuda_templateIsEESt5tupleIJNSA_6TensorESF_SF_EERKSF_lbbbEUlllE_EE10hipError_tT0_T1_T2_jT3_P12ihipStream_tbPNSt15iterator_traitsISL_E10value_typeEPNSR_ISM_E10value_typeEPSN_NS1_7vsmem_tEENKUlT_SL_SM_SN_E_clIS8_S8_S9_S9_EESK_S10_SL_SM_SN_EUlS10_E0_NS1_11comp_targetILNS1_3genE2ELNS1_11target_archE906ELNS1_3gpuE6ELNS1_3repE0EEENS1_38merge_mergepath_config_static_selectorELNS0_4arch9wavefront6targetE0EEEvSM_ ; -- Begin function _ZN7rocprim17ROCPRIM_400000_NS6detail17trampoline_kernelINS0_14default_configENS1_38merge_sort_block_merge_config_selectorIlNS0_10empty_typeEEEZZNS1_27merge_sort_block_merge_implIS3_PlPS5_mZN2at6native12_GLOBAL__N_124unique_dim_cuda_templateIsEESt5tupleIJNSA_6TensorESF_SF_EERKSF_lbbbEUlllE_EE10hipError_tT0_T1_T2_jT3_P12ihipStream_tbPNSt15iterator_traitsISL_E10value_typeEPNSR_ISM_E10value_typeEPSN_NS1_7vsmem_tEENKUlT_SL_SM_SN_E_clIS8_S8_S9_S9_EESK_S10_SL_SM_SN_EUlS10_E0_NS1_11comp_targetILNS1_3genE2ELNS1_11target_archE906ELNS1_3gpuE6ELNS1_3repE0EEENS1_38merge_mergepath_config_static_selectorELNS0_4arch9wavefront6targetE0EEEvSM_
	.p2align	8
	.type	_ZN7rocprim17ROCPRIM_400000_NS6detail17trampoline_kernelINS0_14default_configENS1_38merge_sort_block_merge_config_selectorIlNS0_10empty_typeEEEZZNS1_27merge_sort_block_merge_implIS3_PlPS5_mZN2at6native12_GLOBAL__N_124unique_dim_cuda_templateIsEESt5tupleIJNSA_6TensorESF_SF_EERKSF_lbbbEUlllE_EE10hipError_tT0_T1_T2_jT3_P12ihipStream_tbPNSt15iterator_traitsISL_E10value_typeEPNSR_ISM_E10value_typeEPSN_NS1_7vsmem_tEENKUlT_SL_SM_SN_E_clIS8_S8_S9_S9_EESK_S10_SL_SM_SN_EUlS10_E0_NS1_11comp_targetILNS1_3genE2ELNS1_11target_archE906ELNS1_3gpuE6ELNS1_3repE0EEENS1_38merge_mergepath_config_static_selectorELNS0_4arch9wavefront6targetE0EEEvSM_,@function
_ZN7rocprim17ROCPRIM_400000_NS6detail17trampoline_kernelINS0_14default_configENS1_38merge_sort_block_merge_config_selectorIlNS0_10empty_typeEEEZZNS1_27merge_sort_block_merge_implIS3_PlPS5_mZN2at6native12_GLOBAL__N_124unique_dim_cuda_templateIsEESt5tupleIJNSA_6TensorESF_SF_EERKSF_lbbbEUlllE_EE10hipError_tT0_T1_T2_jT3_P12ihipStream_tbPNSt15iterator_traitsISL_E10value_typeEPNSR_ISM_E10value_typeEPSN_NS1_7vsmem_tEENKUlT_SL_SM_SN_E_clIS8_S8_S9_S9_EESK_S10_SL_SM_SN_EUlS10_E0_NS1_11comp_targetILNS1_3genE2ELNS1_11target_archE906ELNS1_3gpuE6ELNS1_3repE0EEENS1_38merge_mergepath_config_static_selectorELNS0_4arch9wavefront6targetE0EEEvSM_: ; @_ZN7rocprim17ROCPRIM_400000_NS6detail17trampoline_kernelINS0_14default_configENS1_38merge_sort_block_merge_config_selectorIlNS0_10empty_typeEEEZZNS1_27merge_sort_block_merge_implIS3_PlPS5_mZN2at6native12_GLOBAL__N_124unique_dim_cuda_templateIsEESt5tupleIJNSA_6TensorESF_SF_EERKSF_lbbbEUlllE_EE10hipError_tT0_T1_T2_jT3_P12ihipStream_tbPNSt15iterator_traitsISL_E10value_typeEPNSR_ISM_E10value_typeEPSN_NS1_7vsmem_tEENKUlT_SL_SM_SN_E_clIS8_S8_S9_S9_EESK_S10_SL_SM_SN_EUlS10_E0_NS1_11comp_targetILNS1_3genE2ELNS1_11target_archE906ELNS1_3gpuE6ELNS1_3repE0EEENS1_38merge_mergepath_config_static_selectorELNS0_4arch9wavefront6targetE0EEEvSM_
; %bb.0:
	.section	.rodata,"a",@progbits
	.p2align	6, 0x0
	.amdhsa_kernel _ZN7rocprim17ROCPRIM_400000_NS6detail17trampoline_kernelINS0_14default_configENS1_38merge_sort_block_merge_config_selectorIlNS0_10empty_typeEEEZZNS1_27merge_sort_block_merge_implIS3_PlPS5_mZN2at6native12_GLOBAL__N_124unique_dim_cuda_templateIsEESt5tupleIJNSA_6TensorESF_SF_EERKSF_lbbbEUlllE_EE10hipError_tT0_T1_T2_jT3_P12ihipStream_tbPNSt15iterator_traitsISL_E10value_typeEPNSR_ISM_E10value_typeEPSN_NS1_7vsmem_tEENKUlT_SL_SM_SN_E_clIS8_S8_S9_S9_EESK_S10_SL_SM_SN_EUlS10_E0_NS1_11comp_targetILNS1_3genE2ELNS1_11target_archE906ELNS1_3gpuE6ELNS1_3repE0EEENS1_38merge_mergepath_config_static_selectorELNS0_4arch9wavefront6targetE0EEEvSM_
		.amdhsa_group_segment_fixed_size 0
		.amdhsa_private_segment_fixed_size 0
		.amdhsa_kernarg_size 88
		.amdhsa_user_sgpr_count 2
		.amdhsa_user_sgpr_dispatch_ptr 0
		.amdhsa_user_sgpr_queue_ptr 0
		.amdhsa_user_sgpr_kernarg_segment_ptr 1
		.amdhsa_user_sgpr_dispatch_id 0
		.amdhsa_user_sgpr_kernarg_preload_length 0
		.amdhsa_user_sgpr_kernarg_preload_offset 0
		.amdhsa_user_sgpr_private_segment_size 0
		.amdhsa_wavefront_size32 1
		.amdhsa_uses_dynamic_stack 0
		.amdhsa_enable_private_segment 0
		.amdhsa_system_sgpr_workgroup_id_x 1
		.amdhsa_system_sgpr_workgroup_id_y 0
		.amdhsa_system_sgpr_workgroup_id_z 0
		.amdhsa_system_sgpr_workgroup_info 0
		.amdhsa_system_vgpr_workitem_id 0
		.amdhsa_next_free_vgpr 1
		.amdhsa_next_free_sgpr 1
		.amdhsa_named_barrier_count 0
		.amdhsa_reserve_vcc 0
		.amdhsa_float_round_mode_32 0
		.amdhsa_float_round_mode_16_64 0
		.amdhsa_float_denorm_mode_32 3
		.amdhsa_float_denorm_mode_16_64 3
		.amdhsa_fp16_overflow 0
		.amdhsa_memory_ordered 1
		.amdhsa_forward_progress 1
		.amdhsa_inst_pref_size 0
		.amdhsa_round_robin_scheduling 0
		.amdhsa_exception_fp_ieee_invalid_op 0
		.amdhsa_exception_fp_denorm_src 0
		.amdhsa_exception_fp_ieee_div_zero 0
		.amdhsa_exception_fp_ieee_overflow 0
		.amdhsa_exception_fp_ieee_underflow 0
		.amdhsa_exception_fp_ieee_inexact 0
		.amdhsa_exception_int_div_zero 0
	.end_amdhsa_kernel
	.section	.text._ZN7rocprim17ROCPRIM_400000_NS6detail17trampoline_kernelINS0_14default_configENS1_38merge_sort_block_merge_config_selectorIlNS0_10empty_typeEEEZZNS1_27merge_sort_block_merge_implIS3_PlPS5_mZN2at6native12_GLOBAL__N_124unique_dim_cuda_templateIsEESt5tupleIJNSA_6TensorESF_SF_EERKSF_lbbbEUlllE_EE10hipError_tT0_T1_T2_jT3_P12ihipStream_tbPNSt15iterator_traitsISL_E10value_typeEPNSR_ISM_E10value_typeEPSN_NS1_7vsmem_tEENKUlT_SL_SM_SN_E_clIS8_S8_S9_S9_EESK_S10_SL_SM_SN_EUlS10_E0_NS1_11comp_targetILNS1_3genE2ELNS1_11target_archE906ELNS1_3gpuE6ELNS1_3repE0EEENS1_38merge_mergepath_config_static_selectorELNS0_4arch9wavefront6targetE0EEEvSM_,"axG",@progbits,_ZN7rocprim17ROCPRIM_400000_NS6detail17trampoline_kernelINS0_14default_configENS1_38merge_sort_block_merge_config_selectorIlNS0_10empty_typeEEEZZNS1_27merge_sort_block_merge_implIS3_PlPS5_mZN2at6native12_GLOBAL__N_124unique_dim_cuda_templateIsEESt5tupleIJNSA_6TensorESF_SF_EERKSF_lbbbEUlllE_EE10hipError_tT0_T1_T2_jT3_P12ihipStream_tbPNSt15iterator_traitsISL_E10value_typeEPNSR_ISM_E10value_typeEPSN_NS1_7vsmem_tEENKUlT_SL_SM_SN_E_clIS8_S8_S9_S9_EESK_S10_SL_SM_SN_EUlS10_E0_NS1_11comp_targetILNS1_3genE2ELNS1_11target_archE906ELNS1_3gpuE6ELNS1_3repE0EEENS1_38merge_mergepath_config_static_selectorELNS0_4arch9wavefront6targetE0EEEvSM_,comdat
.Lfunc_end649:
	.size	_ZN7rocprim17ROCPRIM_400000_NS6detail17trampoline_kernelINS0_14default_configENS1_38merge_sort_block_merge_config_selectorIlNS0_10empty_typeEEEZZNS1_27merge_sort_block_merge_implIS3_PlPS5_mZN2at6native12_GLOBAL__N_124unique_dim_cuda_templateIsEESt5tupleIJNSA_6TensorESF_SF_EERKSF_lbbbEUlllE_EE10hipError_tT0_T1_T2_jT3_P12ihipStream_tbPNSt15iterator_traitsISL_E10value_typeEPNSR_ISM_E10value_typeEPSN_NS1_7vsmem_tEENKUlT_SL_SM_SN_E_clIS8_S8_S9_S9_EESK_S10_SL_SM_SN_EUlS10_E0_NS1_11comp_targetILNS1_3genE2ELNS1_11target_archE906ELNS1_3gpuE6ELNS1_3repE0EEENS1_38merge_mergepath_config_static_selectorELNS0_4arch9wavefront6targetE0EEEvSM_, .Lfunc_end649-_ZN7rocprim17ROCPRIM_400000_NS6detail17trampoline_kernelINS0_14default_configENS1_38merge_sort_block_merge_config_selectorIlNS0_10empty_typeEEEZZNS1_27merge_sort_block_merge_implIS3_PlPS5_mZN2at6native12_GLOBAL__N_124unique_dim_cuda_templateIsEESt5tupleIJNSA_6TensorESF_SF_EERKSF_lbbbEUlllE_EE10hipError_tT0_T1_T2_jT3_P12ihipStream_tbPNSt15iterator_traitsISL_E10value_typeEPNSR_ISM_E10value_typeEPSN_NS1_7vsmem_tEENKUlT_SL_SM_SN_E_clIS8_S8_S9_S9_EESK_S10_SL_SM_SN_EUlS10_E0_NS1_11comp_targetILNS1_3genE2ELNS1_11target_archE906ELNS1_3gpuE6ELNS1_3repE0EEENS1_38merge_mergepath_config_static_selectorELNS0_4arch9wavefront6targetE0EEEvSM_
                                        ; -- End function
	.set _ZN7rocprim17ROCPRIM_400000_NS6detail17trampoline_kernelINS0_14default_configENS1_38merge_sort_block_merge_config_selectorIlNS0_10empty_typeEEEZZNS1_27merge_sort_block_merge_implIS3_PlPS5_mZN2at6native12_GLOBAL__N_124unique_dim_cuda_templateIsEESt5tupleIJNSA_6TensorESF_SF_EERKSF_lbbbEUlllE_EE10hipError_tT0_T1_T2_jT3_P12ihipStream_tbPNSt15iterator_traitsISL_E10value_typeEPNSR_ISM_E10value_typeEPSN_NS1_7vsmem_tEENKUlT_SL_SM_SN_E_clIS8_S8_S9_S9_EESK_S10_SL_SM_SN_EUlS10_E0_NS1_11comp_targetILNS1_3genE2ELNS1_11target_archE906ELNS1_3gpuE6ELNS1_3repE0EEENS1_38merge_mergepath_config_static_selectorELNS0_4arch9wavefront6targetE0EEEvSM_.num_vgpr, 0
	.set _ZN7rocprim17ROCPRIM_400000_NS6detail17trampoline_kernelINS0_14default_configENS1_38merge_sort_block_merge_config_selectorIlNS0_10empty_typeEEEZZNS1_27merge_sort_block_merge_implIS3_PlPS5_mZN2at6native12_GLOBAL__N_124unique_dim_cuda_templateIsEESt5tupleIJNSA_6TensorESF_SF_EERKSF_lbbbEUlllE_EE10hipError_tT0_T1_T2_jT3_P12ihipStream_tbPNSt15iterator_traitsISL_E10value_typeEPNSR_ISM_E10value_typeEPSN_NS1_7vsmem_tEENKUlT_SL_SM_SN_E_clIS8_S8_S9_S9_EESK_S10_SL_SM_SN_EUlS10_E0_NS1_11comp_targetILNS1_3genE2ELNS1_11target_archE906ELNS1_3gpuE6ELNS1_3repE0EEENS1_38merge_mergepath_config_static_selectorELNS0_4arch9wavefront6targetE0EEEvSM_.num_agpr, 0
	.set _ZN7rocprim17ROCPRIM_400000_NS6detail17trampoline_kernelINS0_14default_configENS1_38merge_sort_block_merge_config_selectorIlNS0_10empty_typeEEEZZNS1_27merge_sort_block_merge_implIS3_PlPS5_mZN2at6native12_GLOBAL__N_124unique_dim_cuda_templateIsEESt5tupleIJNSA_6TensorESF_SF_EERKSF_lbbbEUlllE_EE10hipError_tT0_T1_T2_jT3_P12ihipStream_tbPNSt15iterator_traitsISL_E10value_typeEPNSR_ISM_E10value_typeEPSN_NS1_7vsmem_tEENKUlT_SL_SM_SN_E_clIS8_S8_S9_S9_EESK_S10_SL_SM_SN_EUlS10_E0_NS1_11comp_targetILNS1_3genE2ELNS1_11target_archE906ELNS1_3gpuE6ELNS1_3repE0EEENS1_38merge_mergepath_config_static_selectorELNS0_4arch9wavefront6targetE0EEEvSM_.numbered_sgpr, 0
	.set _ZN7rocprim17ROCPRIM_400000_NS6detail17trampoline_kernelINS0_14default_configENS1_38merge_sort_block_merge_config_selectorIlNS0_10empty_typeEEEZZNS1_27merge_sort_block_merge_implIS3_PlPS5_mZN2at6native12_GLOBAL__N_124unique_dim_cuda_templateIsEESt5tupleIJNSA_6TensorESF_SF_EERKSF_lbbbEUlllE_EE10hipError_tT0_T1_T2_jT3_P12ihipStream_tbPNSt15iterator_traitsISL_E10value_typeEPNSR_ISM_E10value_typeEPSN_NS1_7vsmem_tEENKUlT_SL_SM_SN_E_clIS8_S8_S9_S9_EESK_S10_SL_SM_SN_EUlS10_E0_NS1_11comp_targetILNS1_3genE2ELNS1_11target_archE906ELNS1_3gpuE6ELNS1_3repE0EEENS1_38merge_mergepath_config_static_selectorELNS0_4arch9wavefront6targetE0EEEvSM_.num_named_barrier, 0
	.set _ZN7rocprim17ROCPRIM_400000_NS6detail17trampoline_kernelINS0_14default_configENS1_38merge_sort_block_merge_config_selectorIlNS0_10empty_typeEEEZZNS1_27merge_sort_block_merge_implIS3_PlPS5_mZN2at6native12_GLOBAL__N_124unique_dim_cuda_templateIsEESt5tupleIJNSA_6TensorESF_SF_EERKSF_lbbbEUlllE_EE10hipError_tT0_T1_T2_jT3_P12ihipStream_tbPNSt15iterator_traitsISL_E10value_typeEPNSR_ISM_E10value_typeEPSN_NS1_7vsmem_tEENKUlT_SL_SM_SN_E_clIS8_S8_S9_S9_EESK_S10_SL_SM_SN_EUlS10_E0_NS1_11comp_targetILNS1_3genE2ELNS1_11target_archE906ELNS1_3gpuE6ELNS1_3repE0EEENS1_38merge_mergepath_config_static_selectorELNS0_4arch9wavefront6targetE0EEEvSM_.private_seg_size, 0
	.set _ZN7rocprim17ROCPRIM_400000_NS6detail17trampoline_kernelINS0_14default_configENS1_38merge_sort_block_merge_config_selectorIlNS0_10empty_typeEEEZZNS1_27merge_sort_block_merge_implIS3_PlPS5_mZN2at6native12_GLOBAL__N_124unique_dim_cuda_templateIsEESt5tupleIJNSA_6TensorESF_SF_EERKSF_lbbbEUlllE_EE10hipError_tT0_T1_T2_jT3_P12ihipStream_tbPNSt15iterator_traitsISL_E10value_typeEPNSR_ISM_E10value_typeEPSN_NS1_7vsmem_tEENKUlT_SL_SM_SN_E_clIS8_S8_S9_S9_EESK_S10_SL_SM_SN_EUlS10_E0_NS1_11comp_targetILNS1_3genE2ELNS1_11target_archE906ELNS1_3gpuE6ELNS1_3repE0EEENS1_38merge_mergepath_config_static_selectorELNS0_4arch9wavefront6targetE0EEEvSM_.uses_vcc, 0
	.set _ZN7rocprim17ROCPRIM_400000_NS6detail17trampoline_kernelINS0_14default_configENS1_38merge_sort_block_merge_config_selectorIlNS0_10empty_typeEEEZZNS1_27merge_sort_block_merge_implIS3_PlPS5_mZN2at6native12_GLOBAL__N_124unique_dim_cuda_templateIsEESt5tupleIJNSA_6TensorESF_SF_EERKSF_lbbbEUlllE_EE10hipError_tT0_T1_T2_jT3_P12ihipStream_tbPNSt15iterator_traitsISL_E10value_typeEPNSR_ISM_E10value_typeEPSN_NS1_7vsmem_tEENKUlT_SL_SM_SN_E_clIS8_S8_S9_S9_EESK_S10_SL_SM_SN_EUlS10_E0_NS1_11comp_targetILNS1_3genE2ELNS1_11target_archE906ELNS1_3gpuE6ELNS1_3repE0EEENS1_38merge_mergepath_config_static_selectorELNS0_4arch9wavefront6targetE0EEEvSM_.uses_flat_scratch, 0
	.set _ZN7rocprim17ROCPRIM_400000_NS6detail17trampoline_kernelINS0_14default_configENS1_38merge_sort_block_merge_config_selectorIlNS0_10empty_typeEEEZZNS1_27merge_sort_block_merge_implIS3_PlPS5_mZN2at6native12_GLOBAL__N_124unique_dim_cuda_templateIsEESt5tupleIJNSA_6TensorESF_SF_EERKSF_lbbbEUlllE_EE10hipError_tT0_T1_T2_jT3_P12ihipStream_tbPNSt15iterator_traitsISL_E10value_typeEPNSR_ISM_E10value_typeEPSN_NS1_7vsmem_tEENKUlT_SL_SM_SN_E_clIS8_S8_S9_S9_EESK_S10_SL_SM_SN_EUlS10_E0_NS1_11comp_targetILNS1_3genE2ELNS1_11target_archE906ELNS1_3gpuE6ELNS1_3repE0EEENS1_38merge_mergepath_config_static_selectorELNS0_4arch9wavefront6targetE0EEEvSM_.has_dyn_sized_stack, 0
	.set _ZN7rocprim17ROCPRIM_400000_NS6detail17trampoline_kernelINS0_14default_configENS1_38merge_sort_block_merge_config_selectorIlNS0_10empty_typeEEEZZNS1_27merge_sort_block_merge_implIS3_PlPS5_mZN2at6native12_GLOBAL__N_124unique_dim_cuda_templateIsEESt5tupleIJNSA_6TensorESF_SF_EERKSF_lbbbEUlllE_EE10hipError_tT0_T1_T2_jT3_P12ihipStream_tbPNSt15iterator_traitsISL_E10value_typeEPNSR_ISM_E10value_typeEPSN_NS1_7vsmem_tEENKUlT_SL_SM_SN_E_clIS8_S8_S9_S9_EESK_S10_SL_SM_SN_EUlS10_E0_NS1_11comp_targetILNS1_3genE2ELNS1_11target_archE906ELNS1_3gpuE6ELNS1_3repE0EEENS1_38merge_mergepath_config_static_selectorELNS0_4arch9wavefront6targetE0EEEvSM_.has_recursion, 0
	.set _ZN7rocprim17ROCPRIM_400000_NS6detail17trampoline_kernelINS0_14default_configENS1_38merge_sort_block_merge_config_selectorIlNS0_10empty_typeEEEZZNS1_27merge_sort_block_merge_implIS3_PlPS5_mZN2at6native12_GLOBAL__N_124unique_dim_cuda_templateIsEESt5tupleIJNSA_6TensorESF_SF_EERKSF_lbbbEUlllE_EE10hipError_tT0_T1_T2_jT3_P12ihipStream_tbPNSt15iterator_traitsISL_E10value_typeEPNSR_ISM_E10value_typeEPSN_NS1_7vsmem_tEENKUlT_SL_SM_SN_E_clIS8_S8_S9_S9_EESK_S10_SL_SM_SN_EUlS10_E0_NS1_11comp_targetILNS1_3genE2ELNS1_11target_archE906ELNS1_3gpuE6ELNS1_3repE0EEENS1_38merge_mergepath_config_static_selectorELNS0_4arch9wavefront6targetE0EEEvSM_.has_indirect_call, 0
	.section	.AMDGPU.csdata,"",@progbits
; Kernel info:
; codeLenInByte = 0
; TotalNumSgprs: 0
; NumVgprs: 0
; ScratchSize: 0
; MemoryBound: 0
; FloatMode: 240
; IeeeMode: 1
; LDSByteSize: 0 bytes/workgroup (compile time only)
; SGPRBlocks: 0
; VGPRBlocks: 0
; NumSGPRsForWavesPerEU: 1
; NumVGPRsForWavesPerEU: 1
; NamedBarCnt: 0
; Occupancy: 16
; WaveLimiterHint : 0
; COMPUTE_PGM_RSRC2:SCRATCH_EN: 0
; COMPUTE_PGM_RSRC2:USER_SGPR: 2
; COMPUTE_PGM_RSRC2:TRAP_HANDLER: 0
; COMPUTE_PGM_RSRC2:TGID_X_EN: 1
; COMPUTE_PGM_RSRC2:TGID_Y_EN: 0
; COMPUTE_PGM_RSRC2:TGID_Z_EN: 0
; COMPUTE_PGM_RSRC2:TIDIG_COMP_CNT: 0
	.section	.text._ZN7rocprim17ROCPRIM_400000_NS6detail17trampoline_kernelINS0_14default_configENS1_38merge_sort_block_merge_config_selectorIlNS0_10empty_typeEEEZZNS1_27merge_sort_block_merge_implIS3_PlPS5_mZN2at6native12_GLOBAL__N_124unique_dim_cuda_templateIsEESt5tupleIJNSA_6TensorESF_SF_EERKSF_lbbbEUlllE_EE10hipError_tT0_T1_T2_jT3_P12ihipStream_tbPNSt15iterator_traitsISL_E10value_typeEPNSR_ISM_E10value_typeEPSN_NS1_7vsmem_tEENKUlT_SL_SM_SN_E_clIS8_S8_S9_S9_EESK_S10_SL_SM_SN_EUlS10_E0_NS1_11comp_targetILNS1_3genE9ELNS1_11target_archE1100ELNS1_3gpuE3ELNS1_3repE0EEENS1_38merge_mergepath_config_static_selectorELNS0_4arch9wavefront6targetE0EEEvSM_,"axG",@progbits,_ZN7rocprim17ROCPRIM_400000_NS6detail17trampoline_kernelINS0_14default_configENS1_38merge_sort_block_merge_config_selectorIlNS0_10empty_typeEEEZZNS1_27merge_sort_block_merge_implIS3_PlPS5_mZN2at6native12_GLOBAL__N_124unique_dim_cuda_templateIsEESt5tupleIJNSA_6TensorESF_SF_EERKSF_lbbbEUlllE_EE10hipError_tT0_T1_T2_jT3_P12ihipStream_tbPNSt15iterator_traitsISL_E10value_typeEPNSR_ISM_E10value_typeEPSN_NS1_7vsmem_tEENKUlT_SL_SM_SN_E_clIS8_S8_S9_S9_EESK_S10_SL_SM_SN_EUlS10_E0_NS1_11comp_targetILNS1_3genE9ELNS1_11target_archE1100ELNS1_3gpuE3ELNS1_3repE0EEENS1_38merge_mergepath_config_static_selectorELNS0_4arch9wavefront6targetE0EEEvSM_,comdat
	.globl	_ZN7rocprim17ROCPRIM_400000_NS6detail17trampoline_kernelINS0_14default_configENS1_38merge_sort_block_merge_config_selectorIlNS0_10empty_typeEEEZZNS1_27merge_sort_block_merge_implIS3_PlPS5_mZN2at6native12_GLOBAL__N_124unique_dim_cuda_templateIsEESt5tupleIJNSA_6TensorESF_SF_EERKSF_lbbbEUlllE_EE10hipError_tT0_T1_T2_jT3_P12ihipStream_tbPNSt15iterator_traitsISL_E10value_typeEPNSR_ISM_E10value_typeEPSN_NS1_7vsmem_tEENKUlT_SL_SM_SN_E_clIS8_S8_S9_S9_EESK_S10_SL_SM_SN_EUlS10_E0_NS1_11comp_targetILNS1_3genE9ELNS1_11target_archE1100ELNS1_3gpuE3ELNS1_3repE0EEENS1_38merge_mergepath_config_static_selectorELNS0_4arch9wavefront6targetE0EEEvSM_ ; -- Begin function _ZN7rocprim17ROCPRIM_400000_NS6detail17trampoline_kernelINS0_14default_configENS1_38merge_sort_block_merge_config_selectorIlNS0_10empty_typeEEEZZNS1_27merge_sort_block_merge_implIS3_PlPS5_mZN2at6native12_GLOBAL__N_124unique_dim_cuda_templateIsEESt5tupleIJNSA_6TensorESF_SF_EERKSF_lbbbEUlllE_EE10hipError_tT0_T1_T2_jT3_P12ihipStream_tbPNSt15iterator_traitsISL_E10value_typeEPNSR_ISM_E10value_typeEPSN_NS1_7vsmem_tEENKUlT_SL_SM_SN_E_clIS8_S8_S9_S9_EESK_S10_SL_SM_SN_EUlS10_E0_NS1_11comp_targetILNS1_3genE9ELNS1_11target_archE1100ELNS1_3gpuE3ELNS1_3repE0EEENS1_38merge_mergepath_config_static_selectorELNS0_4arch9wavefront6targetE0EEEvSM_
	.p2align	8
	.type	_ZN7rocprim17ROCPRIM_400000_NS6detail17trampoline_kernelINS0_14default_configENS1_38merge_sort_block_merge_config_selectorIlNS0_10empty_typeEEEZZNS1_27merge_sort_block_merge_implIS3_PlPS5_mZN2at6native12_GLOBAL__N_124unique_dim_cuda_templateIsEESt5tupleIJNSA_6TensorESF_SF_EERKSF_lbbbEUlllE_EE10hipError_tT0_T1_T2_jT3_P12ihipStream_tbPNSt15iterator_traitsISL_E10value_typeEPNSR_ISM_E10value_typeEPSN_NS1_7vsmem_tEENKUlT_SL_SM_SN_E_clIS8_S8_S9_S9_EESK_S10_SL_SM_SN_EUlS10_E0_NS1_11comp_targetILNS1_3genE9ELNS1_11target_archE1100ELNS1_3gpuE3ELNS1_3repE0EEENS1_38merge_mergepath_config_static_selectorELNS0_4arch9wavefront6targetE0EEEvSM_,@function
_ZN7rocprim17ROCPRIM_400000_NS6detail17trampoline_kernelINS0_14default_configENS1_38merge_sort_block_merge_config_selectorIlNS0_10empty_typeEEEZZNS1_27merge_sort_block_merge_implIS3_PlPS5_mZN2at6native12_GLOBAL__N_124unique_dim_cuda_templateIsEESt5tupleIJNSA_6TensorESF_SF_EERKSF_lbbbEUlllE_EE10hipError_tT0_T1_T2_jT3_P12ihipStream_tbPNSt15iterator_traitsISL_E10value_typeEPNSR_ISM_E10value_typeEPSN_NS1_7vsmem_tEENKUlT_SL_SM_SN_E_clIS8_S8_S9_S9_EESK_S10_SL_SM_SN_EUlS10_E0_NS1_11comp_targetILNS1_3genE9ELNS1_11target_archE1100ELNS1_3gpuE3ELNS1_3repE0EEENS1_38merge_mergepath_config_static_selectorELNS0_4arch9wavefront6targetE0EEEvSM_: ; @_ZN7rocprim17ROCPRIM_400000_NS6detail17trampoline_kernelINS0_14default_configENS1_38merge_sort_block_merge_config_selectorIlNS0_10empty_typeEEEZZNS1_27merge_sort_block_merge_implIS3_PlPS5_mZN2at6native12_GLOBAL__N_124unique_dim_cuda_templateIsEESt5tupleIJNSA_6TensorESF_SF_EERKSF_lbbbEUlllE_EE10hipError_tT0_T1_T2_jT3_P12ihipStream_tbPNSt15iterator_traitsISL_E10value_typeEPNSR_ISM_E10value_typeEPSN_NS1_7vsmem_tEENKUlT_SL_SM_SN_E_clIS8_S8_S9_S9_EESK_S10_SL_SM_SN_EUlS10_E0_NS1_11comp_targetILNS1_3genE9ELNS1_11target_archE1100ELNS1_3gpuE3ELNS1_3repE0EEENS1_38merge_mergepath_config_static_selectorELNS0_4arch9wavefront6targetE0EEEvSM_
; %bb.0:
	.section	.rodata,"a",@progbits
	.p2align	6, 0x0
	.amdhsa_kernel _ZN7rocprim17ROCPRIM_400000_NS6detail17trampoline_kernelINS0_14default_configENS1_38merge_sort_block_merge_config_selectorIlNS0_10empty_typeEEEZZNS1_27merge_sort_block_merge_implIS3_PlPS5_mZN2at6native12_GLOBAL__N_124unique_dim_cuda_templateIsEESt5tupleIJNSA_6TensorESF_SF_EERKSF_lbbbEUlllE_EE10hipError_tT0_T1_T2_jT3_P12ihipStream_tbPNSt15iterator_traitsISL_E10value_typeEPNSR_ISM_E10value_typeEPSN_NS1_7vsmem_tEENKUlT_SL_SM_SN_E_clIS8_S8_S9_S9_EESK_S10_SL_SM_SN_EUlS10_E0_NS1_11comp_targetILNS1_3genE9ELNS1_11target_archE1100ELNS1_3gpuE3ELNS1_3repE0EEENS1_38merge_mergepath_config_static_selectorELNS0_4arch9wavefront6targetE0EEEvSM_
		.amdhsa_group_segment_fixed_size 0
		.amdhsa_private_segment_fixed_size 0
		.amdhsa_kernarg_size 88
		.amdhsa_user_sgpr_count 2
		.amdhsa_user_sgpr_dispatch_ptr 0
		.amdhsa_user_sgpr_queue_ptr 0
		.amdhsa_user_sgpr_kernarg_segment_ptr 1
		.amdhsa_user_sgpr_dispatch_id 0
		.amdhsa_user_sgpr_kernarg_preload_length 0
		.amdhsa_user_sgpr_kernarg_preload_offset 0
		.amdhsa_user_sgpr_private_segment_size 0
		.amdhsa_wavefront_size32 1
		.amdhsa_uses_dynamic_stack 0
		.amdhsa_enable_private_segment 0
		.amdhsa_system_sgpr_workgroup_id_x 1
		.amdhsa_system_sgpr_workgroup_id_y 0
		.amdhsa_system_sgpr_workgroup_id_z 0
		.amdhsa_system_sgpr_workgroup_info 0
		.amdhsa_system_vgpr_workitem_id 0
		.amdhsa_next_free_vgpr 1
		.amdhsa_next_free_sgpr 1
		.amdhsa_named_barrier_count 0
		.amdhsa_reserve_vcc 0
		.amdhsa_float_round_mode_32 0
		.amdhsa_float_round_mode_16_64 0
		.amdhsa_float_denorm_mode_32 3
		.amdhsa_float_denorm_mode_16_64 3
		.amdhsa_fp16_overflow 0
		.amdhsa_memory_ordered 1
		.amdhsa_forward_progress 1
		.amdhsa_inst_pref_size 0
		.amdhsa_round_robin_scheduling 0
		.amdhsa_exception_fp_ieee_invalid_op 0
		.amdhsa_exception_fp_denorm_src 0
		.amdhsa_exception_fp_ieee_div_zero 0
		.amdhsa_exception_fp_ieee_overflow 0
		.amdhsa_exception_fp_ieee_underflow 0
		.amdhsa_exception_fp_ieee_inexact 0
		.amdhsa_exception_int_div_zero 0
	.end_amdhsa_kernel
	.section	.text._ZN7rocprim17ROCPRIM_400000_NS6detail17trampoline_kernelINS0_14default_configENS1_38merge_sort_block_merge_config_selectorIlNS0_10empty_typeEEEZZNS1_27merge_sort_block_merge_implIS3_PlPS5_mZN2at6native12_GLOBAL__N_124unique_dim_cuda_templateIsEESt5tupleIJNSA_6TensorESF_SF_EERKSF_lbbbEUlllE_EE10hipError_tT0_T1_T2_jT3_P12ihipStream_tbPNSt15iterator_traitsISL_E10value_typeEPNSR_ISM_E10value_typeEPSN_NS1_7vsmem_tEENKUlT_SL_SM_SN_E_clIS8_S8_S9_S9_EESK_S10_SL_SM_SN_EUlS10_E0_NS1_11comp_targetILNS1_3genE9ELNS1_11target_archE1100ELNS1_3gpuE3ELNS1_3repE0EEENS1_38merge_mergepath_config_static_selectorELNS0_4arch9wavefront6targetE0EEEvSM_,"axG",@progbits,_ZN7rocprim17ROCPRIM_400000_NS6detail17trampoline_kernelINS0_14default_configENS1_38merge_sort_block_merge_config_selectorIlNS0_10empty_typeEEEZZNS1_27merge_sort_block_merge_implIS3_PlPS5_mZN2at6native12_GLOBAL__N_124unique_dim_cuda_templateIsEESt5tupleIJNSA_6TensorESF_SF_EERKSF_lbbbEUlllE_EE10hipError_tT0_T1_T2_jT3_P12ihipStream_tbPNSt15iterator_traitsISL_E10value_typeEPNSR_ISM_E10value_typeEPSN_NS1_7vsmem_tEENKUlT_SL_SM_SN_E_clIS8_S8_S9_S9_EESK_S10_SL_SM_SN_EUlS10_E0_NS1_11comp_targetILNS1_3genE9ELNS1_11target_archE1100ELNS1_3gpuE3ELNS1_3repE0EEENS1_38merge_mergepath_config_static_selectorELNS0_4arch9wavefront6targetE0EEEvSM_,comdat
.Lfunc_end650:
	.size	_ZN7rocprim17ROCPRIM_400000_NS6detail17trampoline_kernelINS0_14default_configENS1_38merge_sort_block_merge_config_selectorIlNS0_10empty_typeEEEZZNS1_27merge_sort_block_merge_implIS3_PlPS5_mZN2at6native12_GLOBAL__N_124unique_dim_cuda_templateIsEESt5tupleIJNSA_6TensorESF_SF_EERKSF_lbbbEUlllE_EE10hipError_tT0_T1_T2_jT3_P12ihipStream_tbPNSt15iterator_traitsISL_E10value_typeEPNSR_ISM_E10value_typeEPSN_NS1_7vsmem_tEENKUlT_SL_SM_SN_E_clIS8_S8_S9_S9_EESK_S10_SL_SM_SN_EUlS10_E0_NS1_11comp_targetILNS1_3genE9ELNS1_11target_archE1100ELNS1_3gpuE3ELNS1_3repE0EEENS1_38merge_mergepath_config_static_selectorELNS0_4arch9wavefront6targetE0EEEvSM_, .Lfunc_end650-_ZN7rocprim17ROCPRIM_400000_NS6detail17trampoline_kernelINS0_14default_configENS1_38merge_sort_block_merge_config_selectorIlNS0_10empty_typeEEEZZNS1_27merge_sort_block_merge_implIS3_PlPS5_mZN2at6native12_GLOBAL__N_124unique_dim_cuda_templateIsEESt5tupleIJNSA_6TensorESF_SF_EERKSF_lbbbEUlllE_EE10hipError_tT0_T1_T2_jT3_P12ihipStream_tbPNSt15iterator_traitsISL_E10value_typeEPNSR_ISM_E10value_typeEPSN_NS1_7vsmem_tEENKUlT_SL_SM_SN_E_clIS8_S8_S9_S9_EESK_S10_SL_SM_SN_EUlS10_E0_NS1_11comp_targetILNS1_3genE9ELNS1_11target_archE1100ELNS1_3gpuE3ELNS1_3repE0EEENS1_38merge_mergepath_config_static_selectorELNS0_4arch9wavefront6targetE0EEEvSM_
                                        ; -- End function
	.set _ZN7rocprim17ROCPRIM_400000_NS6detail17trampoline_kernelINS0_14default_configENS1_38merge_sort_block_merge_config_selectorIlNS0_10empty_typeEEEZZNS1_27merge_sort_block_merge_implIS3_PlPS5_mZN2at6native12_GLOBAL__N_124unique_dim_cuda_templateIsEESt5tupleIJNSA_6TensorESF_SF_EERKSF_lbbbEUlllE_EE10hipError_tT0_T1_T2_jT3_P12ihipStream_tbPNSt15iterator_traitsISL_E10value_typeEPNSR_ISM_E10value_typeEPSN_NS1_7vsmem_tEENKUlT_SL_SM_SN_E_clIS8_S8_S9_S9_EESK_S10_SL_SM_SN_EUlS10_E0_NS1_11comp_targetILNS1_3genE9ELNS1_11target_archE1100ELNS1_3gpuE3ELNS1_3repE0EEENS1_38merge_mergepath_config_static_selectorELNS0_4arch9wavefront6targetE0EEEvSM_.num_vgpr, 0
	.set _ZN7rocprim17ROCPRIM_400000_NS6detail17trampoline_kernelINS0_14default_configENS1_38merge_sort_block_merge_config_selectorIlNS0_10empty_typeEEEZZNS1_27merge_sort_block_merge_implIS3_PlPS5_mZN2at6native12_GLOBAL__N_124unique_dim_cuda_templateIsEESt5tupleIJNSA_6TensorESF_SF_EERKSF_lbbbEUlllE_EE10hipError_tT0_T1_T2_jT3_P12ihipStream_tbPNSt15iterator_traitsISL_E10value_typeEPNSR_ISM_E10value_typeEPSN_NS1_7vsmem_tEENKUlT_SL_SM_SN_E_clIS8_S8_S9_S9_EESK_S10_SL_SM_SN_EUlS10_E0_NS1_11comp_targetILNS1_3genE9ELNS1_11target_archE1100ELNS1_3gpuE3ELNS1_3repE0EEENS1_38merge_mergepath_config_static_selectorELNS0_4arch9wavefront6targetE0EEEvSM_.num_agpr, 0
	.set _ZN7rocprim17ROCPRIM_400000_NS6detail17trampoline_kernelINS0_14default_configENS1_38merge_sort_block_merge_config_selectorIlNS0_10empty_typeEEEZZNS1_27merge_sort_block_merge_implIS3_PlPS5_mZN2at6native12_GLOBAL__N_124unique_dim_cuda_templateIsEESt5tupleIJNSA_6TensorESF_SF_EERKSF_lbbbEUlllE_EE10hipError_tT0_T1_T2_jT3_P12ihipStream_tbPNSt15iterator_traitsISL_E10value_typeEPNSR_ISM_E10value_typeEPSN_NS1_7vsmem_tEENKUlT_SL_SM_SN_E_clIS8_S8_S9_S9_EESK_S10_SL_SM_SN_EUlS10_E0_NS1_11comp_targetILNS1_3genE9ELNS1_11target_archE1100ELNS1_3gpuE3ELNS1_3repE0EEENS1_38merge_mergepath_config_static_selectorELNS0_4arch9wavefront6targetE0EEEvSM_.numbered_sgpr, 0
	.set _ZN7rocprim17ROCPRIM_400000_NS6detail17trampoline_kernelINS0_14default_configENS1_38merge_sort_block_merge_config_selectorIlNS0_10empty_typeEEEZZNS1_27merge_sort_block_merge_implIS3_PlPS5_mZN2at6native12_GLOBAL__N_124unique_dim_cuda_templateIsEESt5tupleIJNSA_6TensorESF_SF_EERKSF_lbbbEUlllE_EE10hipError_tT0_T1_T2_jT3_P12ihipStream_tbPNSt15iterator_traitsISL_E10value_typeEPNSR_ISM_E10value_typeEPSN_NS1_7vsmem_tEENKUlT_SL_SM_SN_E_clIS8_S8_S9_S9_EESK_S10_SL_SM_SN_EUlS10_E0_NS1_11comp_targetILNS1_3genE9ELNS1_11target_archE1100ELNS1_3gpuE3ELNS1_3repE0EEENS1_38merge_mergepath_config_static_selectorELNS0_4arch9wavefront6targetE0EEEvSM_.num_named_barrier, 0
	.set _ZN7rocprim17ROCPRIM_400000_NS6detail17trampoline_kernelINS0_14default_configENS1_38merge_sort_block_merge_config_selectorIlNS0_10empty_typeEEEZZNS1_27merge_sort_block_merge_implIS3_PlPS5_mZN2at6native12_GLOBAL__N_124unique_dim_cuda_templateIsEESt5tupleIJNSA_6TensorESF_SF_EERKSF_lbbbEUlllE_EE10hipError_tT0_T1_T2_jT3_P12ihipStream_tbPNSt15iterator_traitsISL_E10value_typeEPNSR_ISM_E10value_typeEPSN_NS1_7vsmem_tEENKUlT_SL_SM_SN_E_clIS8_S8_S9_S9_EESK_S10_SL_SM_SN_EUlS10_E0_NS1_11comp_targetILNS1_3genE9ELNS1_11target_archE1100ELNS1_3gpuE3ELNS1_3repE0EEENS1_38merge_mergepath_config_static_selectorELNS0_4arch9wavefront6targetE0EEEvSM_.private_seg_size, 0
	.set _ZN7rocprim17ROCPRIM_400000_NS6detail17trampoline_kernelINS0_14default_configENS1_38merge_sort_block_merge_config_selectorIlNS0_10empty_typeEEEZZNS1_27merge_sort_block_merge_implIS3_PlPS5_mZN2at6native12_GLOBAL__N_124unique_dim_cuda_templateIsEESt5tupleIJNSA_6TensorESF_SF_EERKSF_lbbbEUlllE_EE10hipError_tT0_T1_T2_jT3_P12ihipStream_tbPNSt15iterator_traitsISL_E10value_typeEPNSR_ISM_E10value_typeEPSN_NS1_7vsmem_tEENKUlT_SL_SM_SN_E_clIS8_S8_S9_S9_EESK_S10_SL_SM_SN_EUlS10_E0_NS1_11comp_targetILNS1_3genE9ELNS1_11target_archE1100ELNS1_3gpuE3ELNS1_3repE0EEENS1_38merge_mergepath_config_static_selectorELNS0_4arch9wavefront6targetE0EEEvSM_.uses_vcc, 0
	.set _ZN7rocprim17ROCPRIM_400000_NS6detail17trampoline_kernelINS0_14default_configENS1_38merge_sort_block_merge_config_selectorIlNS0_10empty_typeEEEZZNS1_27merge_sort_block_merge_implIS3_PlPS5_mZN2at6native12_GLOBAL__N_124unique_dim_cuda_templateIsEESt5tupleIJNSA_6TensorESF_SF_EERKSF_lbbbEUlllE_EE10hipError_tT0_T1_T2_jT3_P12ihipStream_tbPNSt15iterator_traitsISL_E10value_typeEPNSR_ISM_E10value_typeEPSN_NS1_7vsmem_tEENKUlT_SL_SM_SN_E_clIS8_S8_S9_S9_EESK_S10_SL_SM_SN_EUlS10_E0_NS1_11comp_targetILNS1_3genE9ELNS1_11target_archE1100ELNS1_3gpuE3ELNS1_3repE0EEENS1_38merge_mergepath_config_static_selectorELNS0_4arch9wavefront6targetE0EEEvSM_.uses_flat_scratch, 0
	.set _ZN7rocprim17ROCPRIM_400000_NS6detail17trampoline_kernelINS0_14default_configENS1_38merge_sort_block_merge_config_selectorIlNS0_10empty_typeEEEZZNS1_27merge_sort_block_merge_implIS3_PlPS5_mZN2at6native12_GLOBAL__N_124unique_dim_cuda_templateIsEESt5tupleIJNSA_6TensorESF_SF_EERKSF_lbbbEUlllE_EE10hipError_tT0_T1_T2_jT3_P12ihipStream_tbPNSt15iterator_traitsISL_E10value_typeEPNSR_ISM_E10value_typeEPSN_NS1_7vsmem_tEENKUlT_SL_SM_SN_E_clIS8_S8_S9_S9_EESK_S10_SL_SM_SN_EUlS10_E0_NS1_11comp_targetILNS1_3genE9ELNS1_11target_archE1100ELNS1_3gpuE3ELNS1_3repE0EEENS1_38merge_mergepath_config_static_selectorELNS0_4arch9wavefront6targetE0EEEvSM_.has_dyn_sized_stack, 0
	.set _ZN7rocprim17ROCPRIM_400000_NS6detail17trampoline_kernelINS0_14default_configENS1_38merge_sort_block_merge_config_selectorIlNS0_10empty_typeEEEZZNS1_27merge_sort_block_merge_implIS3_PlPS5_mZN2at6native12_GLOBAL__N_124unique_dim_cuda_templateIsEESt5tupleIJNSA_6TensorESF_SF_EERKSF_lbbbEUlllE_EE10hipError_tT0_T1_T2_jT3_P12ihipStream_tbPNSt15iterator_traitsISL_E10value_typeEPNSR_ISM_E10value_typeEPSN_NS1_7vsmem_tEENKUlT_SL_SM_SN_E_clIS8_S8_S9_S9_EESK_S10_SL_SM_SN_EUlS10_E0_NS1_11comp_targetILNS1_3genE9ELNS1_11target_archE1100ELNS1_3gpuE3ELNS1_3repE0EEENS1_38merge_mergepath_config_static_selectorELNS0_4arch9wavefront6targetE0EEEvSM_.has_recursion, 0
	.set _ZN7rocprim17ROCPRIM_400000_NS6detail17trampoline_kernelINS0_14default_configENS1_38merge_sort_block_merge_config_selectorIlNS0_10empty_typeEEEZZNS1_27merge_sort_block_merge_implIS3_PlPS5_mZN2at6native12_GLOBAL__N_124unique_dim_cuda_templateIsEESt5tupleIJNSA_6TensorESF_SF_EERKSF_lbbbEUlllE_EE10hipError_tT0_T1_T2_jT3_P12ihipStream_tbPNSt15iterator_traitsISL_E10value_typeEPNSR_ISM_E10value_typeEPSN_NS1_7vsmem_tEENKUlT_SL_SM_SN_E_clIS8_S8_S9_S9_EESK_S10_SL_SM_SN_EUlS10_E0_NS1_11comp_targetILNS1_3genE9ELNS1_11target_archE1100ELNS1_3gpuE3ELNS1_3repE0EEENS1_38merge_mergepath_config_static_selectorELNS0_4arch9wavefront6targetE0EEEvSM_.has_indirect_call, 0
	.section	.AMDGPU.csdata,"",@progbits
; Kernel info:
; codeLenInByte = 0
; TotalNumSgprs: 0
; NumVgprs: 0
; ScratchSize: 0
; MemoryBound: 0
; FloatMode: 240
; IeeeMode: 1
; LDSByteSize: 0 bytes/workgroup (compile time only)
; SGPRBlocks: 0
; VGPRBlocks: 0
; NumSGPRsForWavesPerEU: 1
; NumVGPRsForWavesPerEU: 1
; NamedBarCnt: 0
; Occupancy: 16
; WaveLimiterHint : 0
; COMPUTE_PGM_RSRC2:SCRATCH_EN: 0
; COMPUTE_PGM_RSRC2:USER_SGPR: 2
; COMPUTE_PGM_RSRC2:TRAP_HANDLER: 0
; COMPUTE_PGM_RSRC2:TGID_X_EN: 1
; COMPUTE_PGM_RSRC2:TGID_Y_EN: 0
; COMPUTE_PGM_RSRC2:TGID_Z_EN: 0
; COMPUTE_PGM_RSRC2:TIDIG_COMP_CNT: 0
	.section	.text._ZN7rocprim17ROCPRIM_400000_NS6detail17trampoline_kernelINS0_14default_configENS1_38merge_sort_block_merge_config_selectorIlNS0_10empty_typeEEEZZNS1_27merge_sort_block_merge_implIS3_PlPS5_mZN2at6native12_GLOBAL__N_124unique_dim_cuda_templateIsEESt5tupleIJNSA_6TensorESF_SF_EERKSF_lbbbEUlllE_EE10hipError_tT0_T1_T2_jT3_P12ihipStream_tbPNSt15iterator_traitsISL_E10value_typeEPNSR_ISM_E10value_typeEPSN_NS1_7vsmem_tEENKUlT_SL_SM_SN_E_clIS8_S8_S9_S9_EESK_S10_SL_SM_SN_EUlS10_E0_NS1_11comp_targetILNS1_3genE8ELNS1_11target_archE1030ELNS1_3gpuE2ELNS1_3repE0EEENS1_38merge_mergepath_config_static_selectorELNS0_4arch9wavefront6targetE0EEEvSM_,"axG",@progbits,_ZN7rocprim17ROCPRIM_400000_NS6detail17trampoline_kernelINS0_14default_configENS1_38merge_sort_block_merge_config_selectorIlNS0_10empty_typeEEEZZNS1_27merge_sort_block_merge_implIS3_PlPS5_mZN2at6native12_GLOBAL__N_124unique_dim_cuda_templateIsEESt5tupleIJNSA_6TensorESF_SF_EERKSF_lbbbEUlllE_EE10hipError_tT0_T1_T2_jT3_P12ihipStream_tbPNSt15iterator_traitsISL_E10value_typeEPNSR_ISM_E10value_typeEPSN_NS1_7vsmem_tEENKUlT_SL_SM_SN_E_clIS8_S8_S9_S9_EESK_S10_SL_SM_SN_EUlS10_E0_NS1_11comp_targetILNS1_3genE8ELNS1_11target_archE1030ELNS1_3gpuE2ELNS1_3repE0EEENS1_38merge_mergepath_config_static_selectorELNS0_4arch9wavefront6targetE0EEEvSM_,comdat
	.globl	_ZN7rocprim17ROCPRIM_400000_NS6detail17trampoline_kernelINS0_14default_configENS1_38merge_sort_block_merge_config_selectorIlNS0_10empty_typeEEEZZNS1_27merge_sort_block_merge_implIS3_PlPS5_mZN2at6native12_GLOBAL__N_124unique_dim_cuda_templateIsEESt5tupleIJNSA_6TensorESF_SF_EERKSF_lbbbEUlllE_EE10hipError_tT0_T1_T2_jT3_P12ihipStream_tbPNSt15iterator_traitsISL_E10value_typeEPNSR_ISM_E10value_typeEPSN_NS1_7vsmem_tEENKUlT_SL_SM_SN_E_clIS8_S8_S9_S9_EESK_S10_SL_SM_SN_EUlS10_E0_NS1_11comp_targetILNS1_3genE8ELNS1_11target_archE1030ELNS1_3gpuE2ELNS1_3repE0EEENS1_38merge_mergepath_config_static_selectorELNS0_4arch9wavefront6targetE0EEEvSM_ ; -- Begin function _ZN7rocprim17ROCPRIM_400000_NS6detail17trampoline_kernelINS0_14default_configENS1_38merge_sort_block_merge_config_selectorIlNS0_10empty_typeEEEZZNS1_27merge_sort_block_merge_implIS3_PlPS5_mZN2at6native12_GLOBAL__N_124unique_dim_cuda_templateIsEESt5tupleIJNSA_6TensorESF_SF_EERKSF_lbbbEUlllE_EE10hipError_tT0_T1_T2_jT3_P12ihipStream_tbPNSt15iterator_traitsISL_E10value_typeEPNSR_ISM_E10value_typeEPSN_NS1_7vsmem_tEENKUlT_SL_SM_SN_E_clIS8_S8_S9_S9_EESK_S10_SL_SM_SN_EUlS10_E0_NS1_11comp_targetILNS1_3genE8ELNS1_11target_archE1030ELNS1_3gpuE2ELNS1_3repE0EEENS1_38merge_mergepath_config_static_selectorELNS0_4arch9wavefront6targetE0EEEvSM_
	.p2align	8
	.type	_ZN7rocprim17ROCPRIM_400000_NS6detail17trampoline_kernelINS0_14default_configENS1_38merge_sort_block_merge_config_selectorIlNS0_10empty_typeEEEZZNS1_27merge_sort_block_merge_implIS3_PlPS5_mZN2at6native12_GLOBAL__N_124unique_dim_cuda_templateIsEESt5tupleIJNSA_6TensorESF_SF_EERKSF_lbbbEUlllE_EE10hipError_tT0_T1_T2_jT3_P12ihipStream_tbPNSt15iterator_traitsISL_E10value_typeEPNSR_ISM_E10value_typeEPSN_NS1_7vsmem_tEENKUlT_SL_SM_SN_E_clIS8_S8_S9_S9_EESK_S10_SL_SM_SN_EUlS10_E0_NS1_11comp_targetILNS1_3genE8ELNS1_11target_archE1030ELNS1_3gpuE2ELNS1_3repE0EEENS1_38merge_mergepath_config_static_selectorELNS0_4arch9wavefront6targetE0EEEvSM_,@function
_ZN7rocprim17ROCPRIM_400000_NS6detail17trampoline_kernelINS0_14default_configENS1_38merge_sort_block_merge_config_selectorIlNS0_10empty_typeEEEZZNS1_27merge_sort_block_merge_implIS3_PlPS5_mZN2at6native12_GLOBAL__N_124unique_dim_cuda_templateIsEESt5tupleIJNSA_6TensorESF_SF_EERKSF_lbbbEUlllE_EE10hipError_tT0_T1_T2_jT3_P12ihipStream_tbPNSt15iterator_traitsISL_E10value_typeEPNSR_ISM_E10value_typeEPSN_NS1_7vsmem_tEENKUlT_SL_SM_SN_E_clIS8_S8_S9_S9_EESK_S10_SL_SM_SN_EUlS10_E0_NS1_11comp_targetILNS1_3genE8ELNS1_11target_archE1030ELNS1_3gpuE2ELNS1_3repE0EEENS1_38merge_mergepath_config_static_selectorELNS0_4arch9wavefront6targetE0EEEvSM_: ; @_ZN7rocprim17ROCPRIM_400000_NS6detail17trampoline_kernelINS0_14default_configENS1_38merge_sort_block_merge_config_selectorIlNS0_10empty_typeEEEZZNS1_27merge_sort_block_merge_implIS3_PlPS5_mZN2at6native12_GLOBAL__N_124unique_dim_cuda_templateIsEESt5tupleIJNSA_6TensorESF_SF_EERKSF_lbbbEUlllE_EE10hipError_tT0_T1_T2_jT3_P12ihipStream_tbPNSt15iterator_traitsISL_E10value_typeEPNSR_ISM_E10value_typeEPSN_NS1_7vsmem_tEENKUlT_SL_SM_SN_E_clIS8_S8_S9_S9_EESK_S10_SL_SM_SN_EUlS10_E0_NS1_11comp_targetILNS1_3genE8ELNS1_11target_archE1030ELNS1_3gpuE2ELNS1_3repE0EEENS1_38merge_mergepath_config_static_selectorELNS0_4arch9wavefront6targetE0EEEvSM_
; %bb.0:
	.section	.rodata,"a",@progbits
	.p2align	6, 0x0
	.amdhsa_kernel _ZN7rocprim17ROCPRIM_400000_NS6detail17trampoline_kernelINS0_14default_configENS1_38merge_sort_block_merge_config_selectorIlNS0_10empty_typeEEEZZNS1_27merge_sort_block_merge_implIS3_PlPS5_mZN2at6native12_GLOBAL__N_124unique_dim_cuda_templateIsEESt5tupleIJNSA_6TensorESF_SF_EERKSF_lbbbEUlllE_EE10hipError_tT0_T1_T2_jT3_P12ihipStream_tbPNSt15iterator_traitsISL_E10value_typeEPNSR_ISM_E10value_typeEPSN_NS1_7vsmem_tEENKUlT_SL_SM_SN_E_clIS8_S8_S9_S9_EESK_S10_SL_SM_SN_EUlS10_E0_NS1_11comp_targetILNS1_3genE8ELNS1_11target_archE1030ELNS1_3gpuE2ELNS1_3repE0EEENS1_38merge_mergepath_config_static_selectorELNS0_4arch9wavefront6targetE0EEEvSM_
		.amdhsa_group_segment_fixed_size 0
		.amdhsa_private_segment_fixed_size 0
		.amdhsa_kernarg_size 88
		.amdhsa_user_sgpr_count 2
		.amdhsa_user_sgpr_dispatch_ptr 0
		.amdhsa_user_sgpr_queue_ptr 0
		.amdhsa_user_sgpr_kernarg_segment_ptr 1
		.amdhsa_user_sgpr_dispatch_id 0
		.amdhsa_user_sgpr_kernarg_preload_length 0
		.amdhsa_user_sgpr_kernarg_preload_offset 0
		.amdhsa_user_sgpr_private_segment_size 0
		.amdhsa_wavefront_size32 1
		.amdhsa_uses_dynamic_stack 0
		.amdhsa_enable_private_segment 0
		.amdhsa_system_sgpr_workgroup_id_x 1
		.amdhsa_system_sgpr_workgroup_id_y 0
		.amdhsa_system_sgpr_workgroup_id_z 0
		.amdhsa_system_sgpr_workgroup_info 0
		.amdhsa_system_vgpr_workitem_id 0
		.amdhsa_next_free_vgpr 1
		.amdhsa_next_free_sgpr 1
		.amdhsa_named_barrier_count 0
		.amdhsa_reserve_vcc 0
		.amdhsa_float_round_mode_32 0
		.amdhsa_float_round_mode_16_64 0
		.amdhsa_float_denorm_mode_32 3
		.amdhsa_float_denorm_mode_16_64 3
		.amdhsa_fp16_overflow 0
		.amdhsa_memory_ordered 1
		.amdhsa_forward_progress 1
		.amdhsa_inst_pref_size 0
		.amdhsa_round_robin_scheduling 0
		.amdhsa_exception_fp_ieee_invalid_op 0
		.amdhsa_exception_fp_denorm_src 0
		.amdhsa_exception_fp_ieee_div_zero 0
		.amdhsa_exception_fp_ieee_overflow 0
		.amdhsa_exception_fp_ieee_underflow 0
		.amdhsa_exception_fp_ieee_inexact 0
		.amdhsa_exception_int_div_zero 0
	.end_amdhsa_kernel
	.section	.text._ZN7rocprim17ROCPRIM_400000_NS6detail17trampoline_kernelINS0_14default_configENS1_38merge_sort_block_merge_config_selectorIlNS0_10empty_typeEEEZZNS1_27merge_sort_block_merge_implIS3_PlPS5_mZN2at6native12_GLOBAL__N_124unique_dim_cuda_templateIsEESt5tupleIJNSA_6TensorESF_SF_EERKSF_lbbbEUlllE_EE10hipError_tT0_T1_T2_jT3_P12ihipStream_tbPNSt15iterator_traitsISL_E10value_typeEPNSR_ISM_E10value_typeEPSN_NS1_7vsmem_tEENKUlT_SL_SM_SN_E_clIS8_S8_S9_S9_EESK_S10_SL_SM_SN_EUlS10_E0_NS1_11comp_targetILNS1_3genE8ELNS1_11target_archE1030ELNS1_3gpuE2ELNS1_3repE0EEENS1_38merge_mergepath_config_static_selectorELNS0_4arch9wavefront6targetE0EEEvSM_,"axG",@progbits,_ZN7rocprim17ROCPRIM_400000_NS6detail17trampoline_kernelINS0_14default_configENS1_38merge_sort_block_merge_config_selectorIlNS0_10empty_typeEEEZZNS1_27merge_sort_block_merge_implIS3_PlPS5_mZN2at6native12_GLOBAL__N_124unique_dim_cuda_templateIsEESt5tupleIJNSA_6TensorESF_SF_EERKSF_lbbbEUlllE_EE10hipError_tT0_T1_T2_jT3_P12ihipStream_tbPNSt15iterator_traitsISL_E10value_typeEPNSR_ISM_E10value_typeEPSN_NS1_7vsmem_tEENKUlT_SL_SM_SN_E_clIS8_S8_S9_S9_EESK_S10_SL_SM_SN_EUlS10_E0_NS1_11comp_targetILNS1_3genE8ELNS1_11target_archE1030ELNS1_3gpuE2ELNS1_3repE0EEENS1_38merge_mergepath_config_static_selectorELNS0_4arch9wavefront6targetE0EEEvSM_,comdat
.Lfunc_end651:
	.size	_ZN7rocprim17ROCPRIM_400000_NS6detail17trampoline_kernelINS0_14default_configENS1_38merge_sort_block_merge_config_selectorIlNS0_10empty_typeEEEZZNS1_27merge_sort_block_merge_implIS3_PlPS5_mZN2at6native12_GLOBAL__N_124unique_dim_cuda_templateIsEESt5tupleIJNSA_6TensorESF_SF_EERKSF_lbbbEUlllE_EE10hipError_tT0_T1_T2_jT3_P12ihipStream_tbPNSt15iterator_traitsISL_E10value_typeEPNSR_ISM_E10value_typeEPSN_NS1_7vsmem_tEENKUlT_SL_SM_SN_E_clIS8_S8_S9_S9_EESK_S10_SL_SM_SN_EUlS10_E0_NS1_11comp_targetILNS1_3genE8ELNS1_11target_archE1030ELNS1_3gpuE2ELNS1_3repE0EEENS1_38merge_mergepath_config_static_selectorELNS0_4arch9wavefront6targetE0EEEvSM_, .Lfunc_end651-_ZN7rocprim17ROCPRIM_400000_NS6detail17trampoline_kernelINS0_14default_configENS1_38merge_sort_block_merge_config_selectorIlNS0_10empty_typeEEEZZNS1_27merge_sort_block_merge_implIS3_PlPS5_mZN2at6native12_GLOBAL__N_124unique_dim_cuda_templateIsEESt5tupleIJNSA_6TensorESF_SF_EERKSF_lbbbEUlllE_EE10hipError_tT0_T1_T2_jT3_P12ihipStream_tbPNSt15iterator_traitsISL_E10value_typeEPNSR_ISM_E10value_typeEPSN_NS1_7vsmem_tEENKUlT_SL_SM_SN_E_clIS8_S8_S9_S9_EESK_S10_SL_SM_SN_EUlS10_E0_NS1_11comp_targetILNS1_3genE8ELNS1_11target_archE1030ELNS1_3gpuE2ELNS1_3repE0EEENS1_38merge_mergepath_config_static_selectorELNS0_4arch9wavefront6targetE0EEEvSM_
                                        ; -- End function
	.set _ZN7rocprim17ROCPRIM_400000_NS6detail17trampoline_kernelINS0_14default_configENS1_38merge_sort_block_merge_config_selectorIlNS0_10empty_typeEEEZZNS1_27merge_sort_block_merge_implIS3_PlPS5_mZN2at6native12_GLOBAL__N_124unique_dim_cuda_templateIsEESt5tupleIJNSA_6TensorESF_SF_EERKSF_lbbbEUlllE_EE10hipError_tT0_T1_T2_jT3_P12ihipStream_tbPNSt15iterator_traitsISL_E10value_typeEPNSR_ISM_E10value_typeEPSN_NS1_7vsmem_tEENKUlT_SL_SM_SN_E_clIS8_S8_S9_S9_EESK_S10_SL_SM_SN_EUlS10_E0_NS1_11comp_targetILNS1_3genE8ELNS1_11target_archE1030ELNS1_3gpuE2ELNS1_3repE0EEENS1_38merge_mergepath_config_static_selectorELNS0_4arch9wavefront6targetE0EEEvSM_.num_vgpr, 0
	.set _ZN7rocprim17ROCPRIM_400000_NS6detail17trampoline_kernelINS0_14default_configENS1_38merge_sort_block_merge_config_selectorIlNS0_10empty_typeEEEZZNS1_27merge_sort_block_merge_implIS3_PlPS5_mZN2at6native12_GLOBAL__N_124unique_dim_cuda_templateIsEESt5tupleIJNSA_6TensorESF_SF_EERKSF_lbbbEUlllE_EE10hipError_tT0_T1_T2_jT3_P12ihipStream_tbPNSt15iterator_traitsISL_E10value_typeEPNSR_ISM_E10value_typeEPSN_NS1_7vsmem_tEENKUlT_SL_SM_SN_E_clIS8_S8_S9_S9_EESK_S10_SL_SM_SN_EUlS10_E0_NS1_11comp_targetILNS1_3genE8ELNS1_11target_archE1030ELNS1_3gpuE2ELNS1_3repE0EEENS1_38merge_mergepath_config_static_selectorELNS0_4arch9wavefront6targetE0EEEvSM_.num_agpr, 0
	.set _ZN7rocprim17ROCPRIM_400000_NS6detail17trampoline_kernelINS0_14default_configENS1_38merge_sort_block_merge_config_selectorIlNS0_10empty_typeEEEZZNS1_27merge_sort_block_merge_implIS3_PlPS5_mZN2at6native12_GLOBAL__N_124unique_dim_cuda_templateIsEESt5tupleIJNSA_6TensorESF_SF_EERKSF_lbbbEUlllE_EE10hipError_tT0_T1_T2_jT3_P12ihipStream_tbPNSt15iterator_traitsISL_E10value_typeEPNSR_ISM_E10value_typeEPSN_NS1_7vsmem_tEENKUlT_SL_SM_SN_E_clIS8_S8_S9_S9_EESK_S10_SL_SM_SN_EUlS10_E0_NS1_11comp_targetILNS1_3genE8ELNS1_11target_archE1030ELNS1_3gpuE2ELNS1_3repE0EEENS1_38merge_mergepath_config_static_selectorELNS0_4arch9wavefront6targetE0EEEvSM_.numbered_sgpr, 0
	.set _ZN7rocprim17ROCPRIM_400000_NS6detail17trampoline_kernelINS0_14default_configENS1_38merge_sort_block_merge_config_selectorIlNS0_10empty_typeEEEZZNS1_27merge_sort_block_merge_implIS3_PlPS5_mZN2at6native12_GLOBAL__N_124unique_dim_cuda_templateIsEESt5tupleIJNSA_6TensorESF_SF_EERKSF_lbbbEUlllE_EE10hipError_tT0_T1_T2_jT3_P12ihipStream_tbPNSt15iterator_traitsISL_E10value_typeEPNSR_ISM_E10value_typeEPSN_NS1_7vsmem_tEENKUlT_SL_SM_SN_E_clIS8_S8_S9_S9_EESK_S10_SL_SM_SN_EUlS10_E0_NS1_11comp_targetILNS1_3genE8ELNS1_11target_archE1030ELNS1_3gpuE2ELNS1_3repE0EEENS1_38merge_mergepath_config_static_selectorELNS0_4arch9wavefront6targetE0EEEvSM_.num_named_barrier, 0
	.set _ZN7rocprim17ROCPRIM_400000_NS6detail17trampoline_kernelINS0_14default_configENS1_38merge_sort_block_merge_config_selectorIlNS0_10empty_typeEEEZZNS1_27merge_sort_block_merge_implIS3_PlPS5_mZN2at6native12_GLOBAL__N_124unique_dim_cuda_templateIsEESt5tupleIJNSA_6TensorESF_SF_EERKSF_lbbbEUlllE_EE10hipError_tT0_T1_T2_jT3_P12ihipStream_tbPNSt15iterator_traitsISL_E10value_typeEPNSR_ISM_E10value_typeEPSN_NS1_7vsmem_tEENKUlT_SL_SM_SN_E_clIS8_S8_S9_S9_EESK_S10_SL_SM_SN_EUlS10_E0_NS1_11comp_targetILNS1_3genE8ELNS1_11target_archE1030ELNS1_3gpuE2ELNS1_3repE0EEENS1_38merge_mergepath_config_static_selectorELNS0_4arch9wavefront6targetE0EEEvSM_.private_seg_size, 0
	.set _ZN7rocprim17ROCPRIM_400000_NS6detail17trampoline_kernelINS0_14default_configENS1_38merge_sort_block_merge_config_selectorIlNS0_10empty_typeEEEZZNS1_27merge_sort_block_merge_implIS3_PlPS5_mZN2at6native12_GLOBAL__N_124unique_dim_cuda_templateIsEESt5tupleIJNSA_6TensorESF_SF_EERKSF_lbbbEUlllE_EE10hipError_tT0_T1_T2_jT3_P12ihipStream_tbPNSt15iterator_traitsISL_E10value_typeEPNSR_ISM_E10value_typeEPSN_NS1_7vsmem_tEENKUlT_SL_SM_SN_E_clIS8_S8_S9_S9_EESK_S10_SL_SM_SN_EUlS10_E0_NS1_11comp_targetILNS1_3genE8ELNS1_11target_archE1030ELNS1_3gpuE2ELNS1_3repE0EEENS1_38merge_mergepath_config_static_selectorELNS0_4arch9wavefront6targetE0EEEvSM_.uses_vcc, 0
	.set _ZN7rocprim17ROCPRIM_400000_NS6detail17trampoline_kernelINS0_14default_configENS1_38merge_sort_block_merge_config_selectorIlNS0_10empty_typeEEEZZNS1_27merge_sort_block_merge_implIS3_PlPS5_mZN2at6native12_GLOBAL__N_124unique_dim_cuda_templateIsEESt5tupleIJNSA_6TensorESF_SF_EERKSF_lbbbEUlllE_EE10hipError_tT0_T1_T2_jT3_P12ihipStream_tbPNSt15iterator_traitsISL_E10value_typeEPNSR_ISM_E10value_typeEPSN_NS1_7vsmem_tEENKUlT_SL_SM_SN_E_clIS8_S8_S9_S9_EESK_S10_SL_SM_SN_EUlS10_E0_NS1_11comp_targetILNS1_3genE8ELNS1_11target_archE1030ELNS1_3gpuE2ELNS1_3repE0EEENS1_38merge_mergepath_config_static_selectorELNS0_4arch9wavefront6targetE0EEEvSM_.uses_flat_scratch, 0
	.set _ZN7rocprim17ROCPRIM_400000_NS6detail17trampoline_kernelINS0_14default_configENS1_38merge_sort_block_merge_config_selectorIlNS0_10empty_typeEEEZZNS1_27merge_sort_block_merge_implIS3_PlPS5_mZN2at6native12_GLOBAL__N_124unique_dim_cuda_templateIsEESt5tupleIJNSA_6TensorESF_SF_EERKSF_lbbbEUlllE_EE10hipError_tT0_T1_T2_jT3_P12ihipStream_tbPNSt15iterator_traitsISL_E10value_typeEPNSR_ISM_E10value_typeEPSN_NS1_7vsmem_tEENKUlT_SL_SM_SN_E_clIS8_S8_S9_S9_EESK_S10_SL_SM_SN_EUlS10_E0_NS1_11comp_targetILNS1_3genE8ELNS1_11target_archE1030ELNS1_3gpuE2ELNS1_3repE0EEENS1_38merge_mergepath_config_static_selectorELNS0_4arch9wavefront6targetE0EEEvSM_.has_dyn_sized_stack, 0
	.set _ZN7rocprim17ROCPRIM_400000_NS6detail17trampoline_kernelINS0_14default_configENS1_38merge_sort_block_merge_config_selectorIlNS0_10empty_typeEEEZZNS1_27merge_sort_block_merge_implIS3_PlPS5_mZN2at6native12_GLOBAL__N_124unique_dim_cuda_templateIsEESt5tupleIJNSA_6TensorESF_SF_EERKSF_lbbbEUlllE_EE10hipError_tT0_T1_T2_jT3_P12ihipStream_tbPNSt15iterator_traitsISL_E10value_typeEPNSR_ISM_E10value_typeEPSN_NS1_7vsmem_tEENKUlT_SL_SM_SN_E_clIS8_S8_S9_S9_EESK_S10_SL_SM_SN_EUlS10_E0_NS1_11comp_targetILNS1_3genE8ELNS1_11target_archE1030ELNS1_3gpuE2ELNS1_3repE0EEENS1_38merge_mergepath_config_static_selectorELNS0_4arch9wavefront6targetE0EEEvSM_.has_recursion, 0
	.set _ZN7rocprim17ROCPRIM_400000_NS6detail17trampoline_kernelINS0_14default_configENS1_38merge_sort_block_merge_config_selectorIlNS0_10empty_typeEEEZZNS1_27merge_sort_block_merge_implIS3_PlPS5_mZN2at6native12_GLOBAL__N_124unique_dim_cuda_templateIsEESt5tupleIJNSA_6TensorESF_SF_EERKSF_lbbbEUlllE_EE10hipError_tT0_T1_T2_jT3_P12ihipStream_tbPNSt15iterator_traitsISL_E10value_typeEPNSR_ISM_E10value_typeEPSN_NS1_7vsmem_tEENKUlT_SL_SM_SN_E_clIS8_S8_S9_S9_EESK_S10_SL_SM_SN_EUlS10_E0_NS1_11comp_targetILNS1_3genE8ELNS1_11target_archE1030ELNS1_3gpuE2ELNS1_3repE0EEENS1_38merge_mergepath_config_static_selectorELNS0_4arch9wavefront6targetE0EEEvSM_.has_indirect_call, 0
	.section	.AMDGPU.csdata,"",@progbits
; Kernel info:
; codeLenInByte = 0
; TotalNumSgprs: 0
; NumVgprs: 0
; ScratchSize: 0
; MemoryBound: 0
; FloatMode: 240
; IeeeMode: 1
; LDSByteSize: 0 bytes/workgroup (compile time only)
; SGPRBlocks: 0
; VGPRBlocks: 0
; NumSGPRsForWavesPerEU: 1
; NumVGPRsForWavesPerEU: 1
; NamedBarCnt: 0
; Occupancy: 16
; WaveLimiterHint : 0
; COMPUTE_PGM_RSRC2:SCRATCH_EN: 0
; COMPUTE_PGM_RSRC2:USER_SGPR: 2
; COMPUTE_PGM_RSRC2:TRAP_HANDLER: 0
; COMPUTE_PGM_RSRC2:TGID_X_EN: 1
; COMPUTE_PGM_RSRC2:TGID_Y_EN: 0
; COMPUTE_PGM_RSRC2:TGID_Z_EN: 0
; COMPUTE_PGM_RSRC2:TIDIG_COMP_CNT: 0
	.section	.text._ZN7rocprim17ROCPRIM_400000_NS6detail17trampoline_kernelINS0_14default_configENS1_38merge_sort_block_merge_config_selectorIlNS0_10empty_typeEEEZZNS1_27merge_sort_block_merge_implIS3_PlPS5_mZN2at6native12_GLOBAL__N_124unique_dim_cuda_templateIsEESt5tupleIJNSA_6TensorESF_SF_EERKSF_lbbbEUlllE_EE10hipError_tT0_T1_T2_jT3_P12ihipStream_tbPNSt15iterator_traitsISL_E10value_typeEPNSR_ISM_E10value_typeEPSN_NS1_7vsmem_tEENKUlT_SL_SM_SN_E_clIS8_S8_S9_S9_EESK_S10_SL_SM_SN_EUlS10_E1_NS1_11comp_targetILNS1_3genE0ELNS1_11target_archE4294967295ELNS1_3gpuE0ELNS1_3repE0EEENS1_36merge_oddeven_config_static_selectorELNS0_4arch9wavefront6targetE0EEEvSM_,"axG",@progbits,_ZN7rocprim17ROCPRIM_400000_NS6detail17trampoline_kernelINS0_14default_configENS1_38merge_sort_block_merge_config_selectorIlNS0_10empty_typeEEEZZNS1_27merge_sort_block_merge_implIS3_PlPS5_mZN2at6native12_GLOBAL__N_124unique_dim_cuda_templateIsEESt5tupleIJNSA_6TensorESF_SF_EERKSF_lbbbEUlllE_EE10hipError_tT0_T1_T2_jT3_P12ihipStream_tbPNSt15iterator_traitsISL_E10value_typeEPNSR_ISM_E10value_typeEPSN_NS1_7vsmem_tEENKUlT_SL_SM_SN_E_clIS8_S8_S9_S9_EESK_S10_SL_SM_SN_EUlS10_E1_NS1_11comp_targetILNS1_3genE0ELNS1_11target_archE4294967295ELNS1_3gpuE0ELNS1_3repE0EEENS1_36merge_oddeven_config_static_selectorELNS0_4arch9wavefront6targetE0EEEvSM_,comdat
	.globl	_ZN7rocprim17ROCPRIM_400000_NS6detail17trampoline_kernelINS0_14default_configENS1_38merge_sort_block_merge_config_selectorIlNS0_10empty_typeEEEZZNS1_27merge_sort_block_merge_implIS3_PlPS5_mZN2at6native12_GLOBAL__N_124unique_dim_cuda_templateIsEESt5tupleIJNSA_6TensorESF_SF_EERKSF_lbbbEUlllE_EE10hipError_tT0_T1_T2_jT3_P12ihipStream_tbPNSt15iterator_traitsISL_E10value_typeEPNSR_ISM_E10value_typeEPSN_NS1_7vsmem_tEENKUlT_SL_SM_SN_E_clIS8_S8_S9_S9_EESK_S10_SL_SM_SN_EUlS10_E1_NS1_11comp_targetILNS1_3genE0ELNS1_11target_archE4294967295ELNS1_3gpuE0ELNS1_3repE0EEENS1_36merge_oddeven_config_static_selectorELNS0_4arch9wavefront6targetE0EEEvSM_ ; -- Begin function _ZN7rocprim17ROCPRIM_400000_NS6detail17trampoline_kernelINS0_14default_configENS1_38merge_sort_block_merge_config_selectorIlNS0_10empty_typeEEEZZNS1_27merge_sort_block_merge_implIS3_PlPS5_mZN2at6native12_GLOBAL__N_124unique_dim_cuda_templateIsEESt5tupleIJNSA_6TensorESF_SF_EERKSF_lbbbEUlllE_EE10hipError_tT0_T1_T2_jT3_P12ihipStream_tbPNSt15iterator_traitsISL_E10value_typeEPNSR_ISM_E10value_typeEPSN_NS1_7vsmem_tEENKUlT_SL_SM_SN_E_clIS8_S8_S9_S9_EESK_S10_SL_SM_SN_EUlS10_E1_NS1_11comp_targetILNS1_3genE0ELNS1_11target_archE4294967295ELNS1_3gpuE0ELNS1_3repE0EEENS1_36merge_oddeven_config_static_selectorELNS0_4arch9wavefront6targetE0EEEvSM_
	.p2align	8
	.type	_ZN7rocprim17ROCPRIM_400000_NS6detail17trampoline_kernelINS0_14default_configENS1_38merge_sort_block_merge_config_selectorIlNS0_10empty_typeEEEZZNS1_27merge_sort_block_merge_implIS3_PlPS5_mZN2at6native12_GLOBAL__N_124unique_dim_cuda_templateIsEESt5tupleIJNSA_6TensorESF_SF_EERKSF_lbbbEUlllE_EE10hipError_tT0_T1_T2_jT3_P12ihipStream_tbPNSt15iterator_traitsISL_E10value_typeEPNSR_ISM_E10value_typeEPSN_NS1_7vsmem_tEENKUlT_SL_SM_SN_E_clIS8_S8_S9_S9_EESK_S10_SL_SM_SN_EUlS10_E1_NS1_11comp_targetILNS1_3genE0ELNS1_11target_archE4294967295ELNS1_3gpuE0ELNS1_3repE0EEENS1_36merge_oddeven_config_static_selectorELNS0_4arch9wavefront6targetE0EEEvSM_,@function
_ZN7rocprim17ROCPRIM_400000_NS6detail17trampoline_kernelINS0_14default_configENS1_38merge_sort_block_merge_config_selectorIlNS0_10empty_typeEEEZZNS1_27merge_sort_block_merge_implIS3_PlPS5_mZN2at6native12_GLOBAL__N_124unique_dim_cuda_templateIsEESt5tupleIJNSA_6TensorESF_SF_EERKSF_lbbbEUlllE_EE10hipError_tT0_T1_T2_jT3_P12ihipStream_tbPNSt15iterator_traitsISL_E10value_typeEPNSR_ISM_E10value_typeEPSN_NS1_7vsmem_tEENKUlT_SL_SM_SN_E_clIS8_S8_S9_S9_EESK_S10_SL_SM_SN_EUlS10_E1_NS1_11comp_targetILNS1_3genE0ELNS1_11target_archE4294967295ELNS1_3gpuE0ELNS1_3repE0EEENS1_36merge_oddeven_config_static_selectorELNS0_4arch9wavefront6targetE0EEEvSM_: ; @_ZN7rocprim17ROCPRIM_400000_NS6detail17trampoline_kernelINS0_14default_configENS1_38merge_sort_block_merge_config_selectorIlNS0_10empty_typeEEEZZNS1_27merge_sort_block_merge_implIS3_PlPS5_mZN2at6native12_GLOBAL__N_124unique_dim_cuda_templateIsEESt5tupleIJNSA_6TensorESF_SF_EERKSF_lbbbEUlllE_EE10hipError_tT0_T1_T2_jT3_P12ihipStream_tbPNSt15iterator_traitsISL_E10value_typeEPNSR_ISM_E10value_typeEPSN_NS1_7vsmem_tEENKUlT_SL_SM_SN_E_clIS8_S8_S9_S9_EESK_S10_SL_SM_SN_EUlS10_E1_NS1_11comp_targetILNS1_3genE0ELNS1_11target_archE4294967295ELNS1_3gpuE0ELNS1_3repE0EEENS1_36merge_oddeven_config_static_selectorELNS0_4arch9wavefront6targetE0EEEvSM_
; %bb.0:
	s_load_b32 s3, s[0:1], 0x20
	s_bfe_u32 s2, ttmp6, 0x4000c
	s_and_b32 s4, ttmp6, 15
	s_add_co_i32 s2, s2, 1
	s_getreg_b32 s5, hwreg(HW_REG_IB_STS2, 6, 4)
	s_mul_i32 s2, ttmp9, s2
	s_mov_b32 s13, 0
	s_add_co_i32 s4, s4, s2
	s_cmp_eq_u32 s5, 0
	s_cselect_b32 s9, ttmp9, s4
	s_wait_kmcnt 0x0
	s_lshr_b32 s2, s3, 8
	s_delay_alu instid0(SALU_CYCLE_1) | instskip(SKIP_4) | instid1(SALU_CYCLE_1)
	s_cmp_lg_u32 s9, s2
	s_cselect_b32 s8, -1, 0
	s_cmp_eq_u32 s9, s2
	s_cselect_b32 s14, -1, 0
	s_lshl_b32 s12, s9, 8
	s_sub_co_i32 s2, s3, s12
	s_delay_alu instid0(SALU_CYCLE_1) | instskip(SKIP_1) | instid1(SALU_CYCLE_1)
	v_cmp_gt_u32_e64 s2, s2, v0
	s_or_b32 s4, s8, s2
	s_and_saveexec_b32 s5, s4
	s_cbranch_execz .LBB652_54
; %bb.1:
	s_clause 0x1
	s_load_b128 s[4:7], s[0:1], 0x0
	s_load_b32 s15, s[0:1], 0x28
	s_lshl_b64 s[10:11], s[12:13], 3
	s_wait_kmcnt 0x0
	s_add_nc_u64 s[10:11], s[4:5], s[10:11]
	global_load_b64 v[2:3], v0, s[10:11] scale_offset
	s_wait_xcnt 0x0
	s_lshr_b32 s10, s15, 8
	s_delay_alu instid0(SALU_CYCLE_1) | instskip(NEXT) | instid1(SALU_CYCLE_1)
	s_sub_co_i32 s11, 0, s10
	s_and_b32 s9, s9, s11
	s_delay_alu instid0(SALU_CYCLE_1) | instskip(NEXT) | instid1(SALU_CYCLE_1)
	s_and_b32 s10, s9, s10
	s_cmp_lg_u32 s10, 0
	s_cselect_b32 s16, -1, 0
	s_lshl_b32 s18, s9, 8
	s_sub_co_i32 s9, 0, s15
	s_cmp_eq_u32 s10, 0
	s_cselect_b32 s17, s15, s9
	s_delay_alu instid0(SALU_CYCLE_1) | instskip(NEXT) | instid1(SALU_CYCLE_1)
	s_add_co_i32 s17, s17, s18
	s_cmp_lt_u32 s17, s3
	s_cbranch_scc1 .LBB652_3
; %bb.2:
	v_add_nc_u32_e32 v1, s12, v0
	s_delay_alu instid0(VALU_DEP_1) | instskip(SKIP_1) | instid1(SALU_CYCLE_1)
	v_cmp_gt_u32_e32 vcc_lo, s3, v1
	s_or_b32 s9, vcc_lo, s8
	s_and_b32 s13, s9, exec_lo
	s_cbranch_execz .LBB652_4
	s_branch .LBB652_52
.LBB652_3:
                                        ; implicit-def: $vgpr1
.LBB652_4:
	s_load_b128 s[8:11], s[0:1], 0x30
	v_add_nc_u32_e32 v0, s12, v0
	s_min_u32 s12, s17, s3
	s_and_b32 vcc_lo, exec_lo, s14
	s_wait_xcnt 0x0
	s_add_co_i32 s0, s18, s12
	s_delay_alu instid0(SALU_CYCLE_1) | instskip(SKIP_3) | instid1(VALU_DEP_1)
	v_subrev_nc_u32_e32 v0, s0, v0
	s_add_co_i32 s0, s12, s15
	s_min_u32 s15, s18, s12
	s_min_u32 s18, s0, s3
	v_add_nc_u32_e32 v10, s15, v0
	s_wait_kmcnt 0x0
	v_cmp_gt_i64_e64 s1, s[8:9], 0
	s_cbranch_vccz .LBB652_26
; %bb.5:
                                        ; implicit-def: $vgpr1
	s_and_saveexec_b32 s19, s2
	s_cbranch_execz .LBB652_29
; %bb.6:
	v_mov_b32_e32 v11, s12
	s_cmp_ge_u32 s17, s18
	s_cbranch_scc1 .LBB652_28
; %bb.7:
	s_wait_loadcnt 0x0
	v_mul_u64_e32 v[0:1], s[8:9], v[2:3]
	v_dual_mov_b32 v12, s18 :: v_dual_mov_b32 v11, s12
	s_lshl_b64 s[2:3], s[8:9], 1
	s_mov_b32 s20, 0
	s_delay_alu instid0(VALU_DEP_2)
	v_lshl_add_u64 v[0:1], v[0:1], 1, s[10:11]
	s_branch .LBB652_10
.LBB652_8:                              ;   in Loop: Header=BB652_10 Depth=1
	s_or_b32 exec_lo, exec_lo, s22
.LBB652_9:                              ;   in Loop: Header=BB652_10 Depth=1
	s_wait_loadcnt 0x0
	v_dual_add_nc_u32 v4, 1, v13 :: v_dual_cndmask_b32 v12, v13, v12, s21
	s_delay_alu instid0(VALU_DEP_1) | instskip(NEXT) | instid1(VALU_DEP_1)
	v_cndmask_b32_e64 v11, v11, v4, s21
	v_cmp_ge_u32_e32 vcc_lo, v11, v12
	s_or_b32 s20, vcc_lo, s20
	s_delay_alu instid0(SALU_CYCLE_1)
	s_and_not1_b32 exec_lo, exec_lo, s20
	s_cbranch_execz .LBB652_27
.LBB652_10:                             ; =>This Loop Header: Depth=1
                                        ;     Child Loop BB652_14 Depth 2
                                        ;     Child Loop BB652_23 Depth 2
	v_add_nc_u32_e32 v4, v11, v12
	s_and_not1_b32 vcc_lo, exec_lo, s16
	s_mov_b32 s0, -1
                                        ; implicit-def: $sgpr21
	s_delay_alu instid0(VALU_DEP_1)
	v_lshrrev_b32_e32 v13, 1, v4
	global_load_b64 v[4:5], v13, s[4:5] scale_offset
	s_cbranch_vccnz .LBB652_19
; %bb.11:                               ;   in Loop: Header=BB652_10 Depth=1
	s_and_not1_b32 vcc_lo, exec_lo, s1
	s_cbranch_vccnz .LBB652_17
; %bb.12:                               ;   in Loop: Header=BB652_10 Depth=1
	s_wait_loadcnt 0x0
	v_mad_nc_u64_u32 v[6:7], s2, v4, s[10:11]
	v_mov_b64_e32 v[8:9], v[0:1]
	s_mov_b32 s21, 0
	s_mov_b64 s[14:15], s[8:9]
                                        ; implicit-def: $sgpr22
                                        ; implicit-def: $sgpr23
                                        ; implicit-def: $sgpr24
                                        ; implicit-def: $sgpr25
	s_delay_alu instid0(VALU_DEP_2) | instskip(NEXT) | instid1(VALU_DEP_1)
	v_mad_u32 v7, s3, v4, v7
	v_mad_u32 v7, s2, v5, v7
	s_branch .LBB652_14
.LBB652_13:                             ;   in Loop: Header=BB652_14 Depth=2
	s_or_b32 exec_lo, exec_lo, s26
	s_delay_alu instid0(SALU_CYCLE_1) | instskip(NEXT) | instid1(SALU_CYCLE_1)
	s_and_b32 s26, exec_lo, s23
	s_or_b32 s21, s26, s21
	s_and_not1_b32 s25, s25, exec_lo
	s_and_b32 s0, s0, exec_lo
	s_and_not1_b32 s22, s22, exec_lo
	s_and_b32 s26, s24, exec_lo
	s_or_b32 s25, s25, s0
	s_or_b32 s22, s22, s26
	s_and_not1_b32 exec_lo, exec_lo, s21
	s_cbranch_execz .LBB652_16
.LBB652_14:                             ;   Parent Loop BB652_10 Depth=1
                                        ; =>  This Inner Loop Header: Depth=2
	global_load_u16 v14, v[8:9], off
	global_load_u16 v15, v[6:7], off
	s_and_not1_b32 s24, s24, exec_lo
	s_or_b32 s23, s23, exec_lo
	s_wait_loadcnt 0x0
	v_cmp_le_i16_e32 vcc_lo, v14, v15
	v_cmp_lt_i16_e64 s0, v14, v15
	s_and_b32 s26, vcc_lo, s25
	s_delay_alu instid0(SALU_CYCLE_1) | instskip(NEXT) | instid1(SALU_CYCLE_1)
	s_or_b32 s0, s0, s26
	s_and_b32 s26, s0, exec_lo
	s_delay_alu instid0(SALU_CYCLE_1)
	s_or_b32 s24, s24, s26
	s_mov_b32 s26, exec_lo
	v_cmpx_eq_u16_e64 v14, v15
	s_cbranch_execz .LBB652_13
; %bb.15:                               ;   in Loop: Header=BB652_14 Depth=2
	s_add_nc_u64 s[14:15], s[14:15], -1
	v_add_nc_u64_e32 v[8:9], 2, v[8:9]
	s_cmp_eq_u64 s[14:15], 0
	v_add_nc_u64_e32 v[6:7], 2, v[6:7]
	s_cselect_b32 s25, -1, 0
	s_and_not1_b32 s23, s23, exec_lo
	s_and_b32 s25, s25, exec_lo
	s_and_not1_b32 s24, s24, exec_lo
	s_or_b32 s23, s23, s25
                                        ; implicit-def: $sgpr25
	s_branch .LBB652_13
.LBB652_16:                             ;   in Loop: Header=BB652_10 Depth=1
	s_or_b32 exec_lo, exec_lo, s21
	s_xor_b32 s21, s22, -1
	s_branch .LBB652_18
.LBB652_17:                             ;   in Loop: Header=BB652_10 Depth=1
	s_mov_b32 s21, -1
.LBB652_18:                             ;   in Loop: Header=BB652_10 Depth=1
	s_mov_b32 s0, 0
.LBB652_19:                             ;   in Loop: Header=BB652_10 Depth=1
	s_delay_alu instid0(SALU_CYCLE_1)
	s_and_not1_b32 vcc_lo, exec_lo, s0
	s_cbranch_vccnz .LBB652_9
; %bb.20:                               ;   in Loop: Header=BB652_10 Depth=1
	s_and_not1_b32 vcc_lo, exec_lo, s1
	s_cbranch_vccnz .LBB652_25
; %bb.21:                               ;   in Loop: Header=BB652_10 Depth=1
	s_wait_loadcnt 0x0
	v_mad_nc_u64_u32 v[6:7], s2, v4, s[10:11]
	s_mov_b32 s22, 0
	s_mov_b64 s[14:15], s[8:9]
                                        ; implicit-def: $sgpr21
                                        ; implicit-def: $sgpr23
                                        ; implicit-def: $sgpr24
                                        ; implicit-def: $sgpr25
	s_delay_alu instid0(VALU_DEP_1) | instskip(NEXT) | instid1(VALU_DEP_1)
	v_mad_u32 v4, s3, v4, v7
	v_mad_u32 v7, s2, v5, v4
	v_mov_b64_e32 v[4:5], v[0:1]
	s_branch .LBB652_23
.LBB652_22:                             ;   in Loop: Header=BB652_23 Depth=2
	s_or_b32 exec_lo, exec_lo, s26
	s_delay_alu instid0(SALU_CYCLE_1) | instskip(NEXT) | instid1(SALU_CYCLE_1)
	s_and_b32 s26, exec_lo, s23
	s_or_b32 s22, s26, s22
	s_and_not1_b32 s25, s25, exec_lo
	s_and_b32 s0, s0, exec_lo
	s_and_not1_b32 s21, s21, exec_lo
	s_and_b32 s26, s24, exec_lo
	s_or_b32 s25, s25, s0
	s_or_b32 s21, s21, s26
	s_and_not1_b32 exec_lo, exec_lo, s22
	s_cbranch_execz .LBB652_8
.LBB652_23:                             ;   Parent Loop BB652_10 Depth=1
                                        ; =>  This Inner Loop Header: Depth=2
	global_load_u16 v8, v[6:7], off
	global_load_u16 v9, v[4:5], off
	s_and_not1_b32 s24, s24, exec_lo
	s_or_b32 s23, s23, exec_lo
	s_wait_loadcnt 0x0
	v_cmp_le_i16_e32 vcc_lo, v8, v9
	v_cmp_lt_i16_e64 s0, v8, v9
	s_and_b32 s26, vcc_lo, s25
	s_delay_alu instid0(SALU_CYCLE_1) | instskip(NEXT) | instid1(SALU_CYCLE_1)
	s_or_b32 s0, s0, s26
	s_and_b32 s26, s0, exec_lo
	s_delay_alu instid0(SALU_CYCLE_1)
	s_or_b32 s24, s24, s26
	s_mov_b32 s26, exec_lo
	v_cmpx_eq_u16_e64 v8, v9
	s_cbranch_execz .LBB652_22
; %bb.24:                               ;   in Loop: Header=BB652_23 Depth=2
	s_add_nc_u64 s[14:15], s[14:15], -1
	v_add_nc_u64_e32 v[6:7], 2, v[6:7]
	s_cmp_eq_u64 s[14:15], 0
	v_add_nc_u64_e32 v[4:5], 2, v[4:5]
	s_cselect_b32 s25, -1, 0
	s_and_not1_b32 s23, s23, exec_lo
	s_and_b32 s25, s25, exec_lo
	s_and_not1_b32 s24, s24, exec_lo
	s_or_b32 s23, s23, s25
                                        ; implicit-def: $sgpr25
	s_branch .LBB652_22
.LBB652_25:                             ;   in Loop: Header=BB652_10 Depth=1
	s_mov_b32 s21, 0
	s_branch .LBB652_9
.LBB652_26:
                                        ; implicit-def: $vgpr1
	s_cbranch_execnz .LBB652_30
	s_branch .LBB652_52
.LBB652_27:
	s_or_b32 exec_lo, exec_lo, s20
.LBB652_28:
	s_delay_alu instid0(VALU_DEP_1)
	v_add_nc_u32_e32 v1, v11, v10
	s_or_b32 s13, s13, exec_lo
.LBB652_29:
	s_or_b32 exec_lo, exec_lo, s19
	s_branch .LBB652_52
.LBB652_30:
	v_mov_b32_e32 v11, s12
	s_cmp_ge_u32 s17, s18
	s_cbranch_scc1 .LBB652_51
; %bb.31:
	s_wait_loadcnt 0x0
	v_mul_u64_e32 v[0:1], s[8:9], v[2:3]
	v_dual_mov_b32 v12, s18 :: v_dual_mov_b32 v11, s12
	v_cndmask_b32_e64 v13, 0, 1, s1
	s_lshl_b64 s[2:3], s[8:9], 1
	s_mov_b32 s14, 0
	s_delay_alu instid0(VALU_DEP_3)
	v_lshl_add_u64 v[0:1], v[0:1], 1, s[10:11]
	s_branch .LBB652_34
.LBB652_32:                             ;   in Loop: Header=BB652_34 Depth=1
	s_or_b32 exec_lo, exec_lo, s17
.LBB652_33:                             ;   in Loop: Header=BB652_34 Depth=1
	s_wait_loadcnt 0x0
	v_dual_add_nc_u32 v4, 1, v14 :: v_dual_cndmask_b32 v12, v14, v12, s15
	s_delay_alu instid0(VALU_DEP_1) | instskip(NEXT) | instid1(VALU_DEP_1)
	v_cndmask_b32_e64 v11, v11, v4, s15
	v_cmp_ge_u32_e32 vcc_lo, v11, v12
	s_or_b32 s14, vcc_lo, s14
	s_delay_alu instid0(SALU_CYCLE_1)
	s_and_not1_b32 exec_lo, exec_lo, s14
	s_cbranch_execz .LBB652_50
.LBB652_34:                             ; =>This Loop Header: Depth=1
                                        ;     Child Loop BB652_38 Depth 2
                                        ;     Child Loop BB652_47 Depth 2
	v_add_nc_u32_e32 v4, v11, v12
	v_cmp_ne_u32_e64 s0, 1, v13
	s_and_not1_b32 vcc_lo, exec_lo, s16
	s_mov_b32 s12, -1
                                        ; implicit-def: $sgpr15
	v_lshrrev_b32_e32 v14, 1, v4
	global_load_b64 v[4:5], v14, s[4:5] scale_offset
	s_cbranch_vccnz .LBB652_43
; %bb.35:                               ;   in Loop: Header=BB652_34 Depth=1
	s_and_b32 vcc_lo, exec_lo, s0
	s_cbranch_vccnz .LBB652_41
; %bb.36:                               ;   in Loop: Header=BB652_34 Depth=1
	s_wait_loadcnt 0x0
	v_mad_nc_u64_u32 v[6:7], s2, v4, s[10:11]
	v_mov_b64_e32 v[8:9], v[0:1]
	s_mov_b32 s15, 0
	s_mov_b64 s[12:13], s[8:9]
                                        ; implicit-def: $sgpr17
                                        ; implicit-def: $sgpr18
                                        ; implicit-def: $sgpr19
                                        ; implicit-def: $sgpr20
	s_delay_alu instid0(VALU_DEP_2) | instskip(NEXT) | instid1(VALU_DEP_1)
	v_mad_u32 v7, s3, v4, v7
	v_mad_u32 v7, s2, v5, v7
	s_branch .LBB652_38
.LBB652_37:                             ;   in Loop: Header=BB652_38 Depth=2
	s_or_b32 exec_lo, exec_lo, s21
	s_delay_alu instid0(SALU_CYCLE_1) | instskip(NEXT) | instid1(SALU_CYCLE_1)
	s_and_b32 s21, exec_lo, s18
	s_or_b32 s15, s21, s15
	s_and_not1_b32 s20, s20, exec_lo
	s_and_b32 s0, s0, exec_lo
	s_and_not1_b32 s17, s17, exec_lo
	s_and_b32 s21, s19, exec_lo
	s_or_b32 s20, s20, s0
	s_or_b32 s17, s17, s21
	s_and_not1_b32 exec_lo, exec_lo, s15
	s_cbranch_execz .LBB652_40
.LBB652_38:                             ;   Parent Loop BB652_34 Depth=1
                                        ; =>  This Inner Loop Header: Depth=2
	global_load_u16 v15, v[8:9], off
	global_load_u16 v16, v[6:7], off
	s_and_not1_b32 s19, s19, exec_lo
	s_or_b32 s18, s18, exec_lo
	s_wait_loadcnt 0x0
	v_cmp_le_i16_e32 vcc_lo, v15, v16
	v_cmp_lt_i16_e64 s0, v15, v16
	s_and_b32 s21, vcc_lo, s20
	s_delay_alu instid0(SALU_CYCLE_1) | instskip(NEXT) | instid1(SALU_CYCLE_1)
	s_or_b32 s0, s0, s21
	s_and_b32 s21, s0, exec_lo
	s_delay_alu instid0(SALU_CYCLE_1)
	s_or_b32 s19, s19, s21
	s_mov_b32 s21, exec_lo
	v_cmpx_eq_u16_e64 v15, v16
	s_cbranch_execz .LBB652_37
; %bb.39:                               ;   in Loop: Header=BB652_38 Depth=2
	s_add_nc_u64 s[12:13], s[12:13], -1
	v_add_nc_u64_e32 v[8:9], 2, v[8:9]
	s_cmp_eq_u64 s[12:13], 0
	v_add_nc_u64_e32 v[6:7], 2, v[6:7]
	s_cselect_b32 s20, -1, 0
	s_and_not1_b32 s18, s18, exec_lo
	s_and_b32 s20, s20, exec_lo
	s_and_not1_b32 s19, s19, exec_lo
	s_or_b32 s18, s18, s20
                                        ; implicit-def: $sgpr20
	s_branch .LBB652_37
.LBB652_40:                             ;   in Loop: Header=BB652_34 Depth=1
	s_or_b32 exec_lo, exec_lo, s15
	s_xor_b32 s15, s17, -1
	s_branch .LBB652_42
.LBB652_41:                             ;   in Loop: Header=BB652_34 Depth=1
	s_mov_b32 s15, -1
.LBB652_42:                             ;   in Loop: Header=BB652_34 Depth=1
	s_mov_b32 s12, 0
.LBB652_43:                             ;   in Loop: Header=BB652_34 Depth=1
	s_delay_alu instid0(SALU_CYCLE_1)
	s_and_not1_b32 vcc_lo, exec_lo, s12
	s_cbranch_vccnz .LBB652_33
; %bb.44:                               ;   in Loop: Header=BB652_34 Depth=1
	s_and_not1_b32 vcc_lo, exec_lo, s1
	s_cbranch_vccnz .LBB652_49
; %bb.45:                               ;   in Loop: Header=BB652_34 Depth=1
	s_wait_loadcnt 0x0
	v_mad_nc_u64_u32 v[6:7], s2, v4, s[10:11]
	s_mov_b32 s17, 0
	s_mov_b64 s[12:13], s[8:9]
                                        ; implicit-def: $sgpr15
                                        ; implicit-def: $sgpr18
                                        ; implicit-def: $sgpr19
                                        ; implicit-def: $sgpr20
	s_delay_alu instid0(VALU_DEP_1) | instskip(NEXT) | instid1(VALU_DEP_1)
	v_mad_u32 v4, s3, v4, v7
	v_mad_u32 v7, s2, v5, v4
	v_mov_b64_e32 v[4:5], v[0:1]
	s_branch .LBB652_47
.LBB652_46:                             ;   in Loop: Header=BB652_47 Depth=2
	s_or_b32 exec_lo, exec_lo, s21
	s_delay_alu instid0(SALU_CYCLE_1) | instskip(NEXT) | instid1(SALU_CYCLE_1)
	s_and_b32 s21, exec_lo, s18
	s_or_b32 s17, s21, s17
	s_and_not1_b32 s20, s20, exec_lo
	s_and_b32 s0, s0, exec_lo
	s_and_not1_b32 s15, s15, exec_lo
	s_and_b32 s21, s19, exec_lo
	s_or_b32 s20, s20, s0
	s_or_b32 s15, s15, s21
	s_and_not1_b32 exec_lo, exec_lo, s17
	s_cbranch_execz .LBB652_32
.LBB652_47:                             ;   Parent Loop BB652_34 Depth=1
                                        ; =>  This Inner Loop Header: Depth=2
	global_load_u16 v8, v[6:7], off
	global_load_u16 v9, v[4:5], off
	s_and_not1_b32 s19, s19, exec_lo
	s_or_b32 s18, s18, exec_lo
	s_wait_loadcnt 0x0
	v_cmp_le_i16_e32 vcc_lo, v8, v9
	v_cmp_lt_i16_e64 s0, v8, v9
	s_and_b32 s21, vcc_lo, s20
	s_delay_alu instid0(SALU_CYCLE_1) | instskip(NEXT) | instid1(SALU_CYCLE_1)
	s_or_b32 s0, s0, s21
	s_and_b32 s21, s0, exec_lo
	s_delay_alu instid0(SALU_CYCLE_1)
	s_or_b32 s19, s19, s21
	s_mov_b32 s21, exec_lo
	v_cmpx_eq_u16_e64 v8, v9
	s_cbranch_execz .LBB652_46
; %bb.48:                               ;   in Loop: Header=BB652_47 Depth=2
	s_add_nc_u64 s[12:13], s[12:13], -1
	v_add_nc_u64_e32 v[6:7], 2, v[6:7]
	s_cmp_eq_u64 s[12:13], 0
	v_add_nc_u64_e32 v[4:5], 2, v[4:5]
	s_cselect_b32 s20, -1, 0
	s_and_not1_b32 s18, s18, exec_lo
	s_and_b32 s20, s20, exec_lo
	s_and_not1_b32 s19, s19, exec_lo
	s_or_b32 s18, s18, s20
                                        ; implicit-def: $sgpr20
	s_branch .LBB652_46
.LBB652_49:                             ;   in Loop: Header=BB652_34 Depth=1
	s_mov_b32 s15, 0
	s_branch .LBB652_33
.LBB652_50:
	s_or_b32 exec_lo, exec_lo, s14
.LBB652_51:
	s_delay_alu instid0(VALU_DEP_1)
	v_add_nc_u32_e32 v1, v11, v10
	s_mov_b32 s13, -1
.LBB652_52:
	s_delay_alu instid0(SALU_CYCLE_1)
	s_and_b32 exec_lo, exec_lo, s13
	s_cbranch_execz .LBB652_54
; %bb.53:
	s_wait_loadcnt 0x0
	global_store_b64 v1, v[2:3], s[6:7] scale_offset
.LBB652_54:
	s_endpgm
	.section	.rodata,"a",@progbits
	.p2align	6, 0x0
	.amdhsa_kernel _ZN7rocprim17ROCPRIM_400000_NS6detail17trampoline_kernelINS0_14default_configENS1_38merge_sort_block_merge_config_selectorIlNS0_10empty_typeEEEZZNS1_27merge_sort_block_merge_implIS3_PlPS5_mZN2at6native12_GLOBAL__N_124unique_dim_cuda_templateIsEESt5tupleIJNSA_6TensorESF_SF_EERKSF_lbbbEUlllE_EE10hipError_tT0_T1_T2_jT3_P12ihipStream_tbPNSt15iterator_traitsISL_E10value_typeEPNSR_ISM_E10value_typeEPSN_NS1_7vsmem_tEENKUlT_SL_SM_SN_E_clIS8_S8_S9_S9_EESK_S10_SL_SM_SN_EUlS10_E1_NS1_11comp_targetILNS1_3genE0ELNS1_11target_archE4294967295ELNS1_3gpuE0ELNS1_3repE0EEENS1_36merge_oddeven_config_static_selectorELNS0_4arch9wavefront6targetE0EEEvSM_
		.amdhsa_group_segment_fixed_size 0
		.amdhsa_private_segment_fixed_size 0
		.amdhsa_kernarg_size 64
		.amdhsa_user_sgpr_count 2
		.amdhsa_user_sgpr_dispatch_ptr 0
		.amdhsa_user_sgpr_queue_ptr 0
		.amdhsa_user_sgpr_kernarg_segment_ptr 1
		.amdhsa_user_sgpr_dispatch_id 0
		.amdhsa_user_sgpr_kernarg_preload_length 0
		.amdhsa_user_sgpr_kernarg_preload_offset 0
		.amdhsa_user_sgpr_private_segment_size 0
		.amdhsa_wavefront_size32 1
		.amdhsa_uses_dynamic_stack 0
		.amdhsa_enable_private_segment 0
		.amdhsa_system_sgpr_workgroup_id_x 1
		.amdhsa_system_sgpr_workgroup_id_y 0
		.amdhsa_system_sgpr_workgroup_id_z 0
		.amdhsa_system_sgpr_workgroup_info 0
		.amdhsa_system_vgpr_workitem_id 0
		.amdhsa_next_free_vgpr 17
		.amdhsa_next_free_sgpr 27
		.amdhsa_named_barrier_count 0
		.amdhsa_reserve_vcc 1
		.amdhsa_float_round_mode_32 0
		.amdhsa_float_round_mode_16_64 0
		.amdhsa_float_denorm_mode_32 3
		.amdhsa_float_denorm_mode_16_64 3
		.amdhsa_fp16_overflow 0
		.amdhsa_memory_ordered 1
		.amdhsa_forward_progress 1
		.amdhsa_inst_pref_size 14
		.amdhsa_round_robin_scheduling 0
		.amdhsa_exception_fp_ieee_invalid_op 0
		.amdhsa_exception_fp_denorm_src 0
		.amdhsa_exception_fp_ieee_div_zero 0
		.amdhsa_exception_fp_ieee_overflow 0
		.amdhsa_exception_fp_ieee_underflow 0
		.amdhsa_exception_fp_ieee_inexact 0
		.amdhsa_exception_int_div_zero 0
	.end_amdhsa_kernel
	.section	.text._ZN7rocprim17ROCPRIM_400000_NS6detail17trampoline_kernelINS0_14default_configENS1_38merge_sort_block_merge_config_selectorIlNS0_10empty_typeEEEZZNS1_27merge_sort_block_merge_implIS3_PlPS5_mZN2at6native12_GLOBAL__N_124unique_dim_cuda_templateIsEESt5tupleIJNSA_6TensorESF_SF_EERKSF_lbbbEUlllE_EE10hipError_tT0_T1_T2_jT3_P12ihipStream_tbPNSt15iterator_traitsISL_E10value_typeEPNSR_ISM_E10value_typeEPSN_NS1_7vsmem_tEENKUlT_SL_SM_SN_E_clIS8_S8_S9_S9_EESK_S10_SL_SM_SN_EUlS10_E1_NS1_11comp_targetILNS1_3genE0ELNS1_11target_archE4294967295ELNS1_3gpuE0ELNS1_3repE0EEENS1_36merge_oddeven_config_static_selectorELNS0_4arch9wavefront6targetE0EEEvSM_,"axG",@progbits,_ZN7rocprim17ROCPRIM_400000_NS6detail17trampoline_kernelINS0_14default_configENS1_38merge_sort_block_merge_config_selectorIlNS0_10empty_typeEEEZZNS1_27merge_sort_block_merge_implIS3_PlPS5_mZN2at6native12_GLOBAL__N_124unique_dim_cuda_templateIsEESt5tupleIJNSA_6TensorESF_SF_EERKSF_lbbbEUlllE_EE10hipError_tT0_T1_T2_jT3_P12ihipStream_tbPNSt15iterator_traitsISL_E10value_typeEPNSR_ISM_E10value_typeEPSN_NS1_7vsmem_tEENKUlT_SL_SM_SN_E_clIS8_S8_S9_S9_EESK_S10_SL_SM_SN_EUlS10_E1_NS1_11comp_targetILNS1_3genE0ELNS1_11target_archE4294967295ELNS1_3gpuE0ELNS1_3repE0EEENS1_36merge_oddeven_config_static_selectorELNS0_4arch9wavefront6targetE0EEEvSM_,comdat
.Lfunc_end652:
	.size	_ZN7rocprim17ROCPRIM_400000_NS6detail17trampoline_kernelINS0_14default_configENS1_38merge_sort_block_merge_config_selectorIlNS0_10empty_typeEEEZZNS1_27merge_sort_block_merge_implIS3_PlPS5_mZN2at6native12_GLOBAL__N_124unique_dim_cuda_templateIsEESt5tupleIJNSA_6TensorESF_SF_EERKSF_lbbbEUlllE_EE10hipError_tT0_T1_T2_jT3_P12ihipStream_tbPNSt15iterator_traitsISL_E10value_typeEPNSR_ISM_E10value_typeEPSN_NS1_7vsmem_tEENKUlT_SL_SM_SN_E_clIS8_S8_S9_S9_EESK_S10_SL_SM_SN_EUlS10_E1_NS1_11comp_targetILNS1_3genE0ELNS1_11target_archE4294967295ELNS1_3gpuE0ELNS1_3repE0EEENS1_36merge_oddeven_config_static_selectorELNS0_4arch9wavefront6targetE0EEEvSM_, .Lfunc_end652-_ZN7rocprim17ROCPRIM_400000_NS6detail17trampoline_kernelINS0_14default_configENS1_38merge_sort_block_merge_config_selectorIlNS0_10empty_typeEEEZZNS1_27merge_sort_block_merge_implIS3_PlPS5_mZN2at6native12_GLOBAL__N_124unique_dim_cuda_templateIsEESt5tupleIJNSA_6TensorESF_SF_EERKSF_lbbbEUlllE_EE10hipError_tT0_T1_T2_jT3_P12ihipStream_tbPNSt15iterator_traitsISL_E10value_typeEPNSR_ISM_E10value_typeEPSN_NS1_7vsmem_tEENKUlT_SL_SM_SN_E_clIS8_S8_S9_S9_EESK_S10_SL_SM_SN_EUlS10_E1_NS1_11comp_targetILNS1_3genE0ELNS1_11target_archE4294967295ELNS1_3gpuE0ELNS1_3repE0EEENS1_36merge_oddeven_config_static_selectorELNS0_4arch9wavefront6targetE0EEEvSM_
                                        ; -- End function
	.set _ZN7rocprim17ROCPRIM_400000_NS6detail17trampoline_kernelINS0_14default_configENS1_38merge_sort_block_merge_config_selectorIlNS0_10empty_typeEEEZZNS1_27merge_sort_block_merge_implIS3_PlPS5_mZN2at6native12_GLOBAL__N_124unique_dim_cuda_templateIsEESt5tupleIJNSA_6TensorESF_SF_EERKSF_lbbbEUlllE_EE10hipError_tT0_T1_T2_jT3_P12ihipStream_tbPNSt15iterator_traitsISL_E10value_typeEPNSR_ISM_E10value_typeEPSN_NS1_7vsmem_tEENKUlT_SL_SM_SN_E_clIS8_S8_S9_S9_EESK_S10_SL_SM_SN_EUlS10_E1_NS1_11comp_targetILNS1_3genE0ELNS1_11target_archE4294967295ELNS1_3gpuE0ELNS1_3repE0EEENS1_36merge_oddeven_config_static_selectorELNS0_4arch9wavefront6targetE0EEEvSM_.num_vgpr, 17
	.set _ZN7rocprim17ROCPRIM_400000_NS6detail17trampoline_kernelINS0_14default_configENS1_38merge_sort_block_merge_config_selectorIlNS0_10empty_typeEEEZZNS1_27merge_sort_block_merge_implIS3_PlPS5_mZN2at6native12_GLOBAL__N_124unique_dim_cuda_templateIsEESt5tupleIJNSA_6TensorESF_SF_EERKSF_lbbbEUlllE_EE10hipError_tT0_T1_T2_jT3_P12ihipStream_tbPNSt15iterator_traitsISL_E10value_typeEPNSR_ISM_E10value_typeEPSN_NS1_7vsmem_tEENKUlT_SL_SM_SN_E_clIS8_S8_S9_S9_EESK_S10_SL_SM_SN_EUlS10_E1_NS1_11comp_targetILNS1_3genE0ELNS1_11target_archE4294967295ELNS1_3gpuE0ELNS1_3repE0EEENS1_36merge_oddeven_config_static_selectorELNS0_4arch9wavefront6targetE0EEEvSM_.num_agpr, 0
	.set _ZN7rocprim17ROCPRIM_400000_NS6detail17trampoline_kernelINS0_14default_configENS1_38merge_sort_block_merge_config_selectorIlNS0_10empty_typeEEEZZNS1_27merge_sort_block_merge_implIS3_PlPS5_mZN2at6native12_GLOBAL__N_124unique_dim_cuda_templateIsEESt5tupleIJNSA_6TensorESF_SF_EERKSF_lbbbEUlllE_EE10hipError_tT0_T1_T2_jT3_P12ihipStream_tbPNSt15iterator_traitsISL_E10value_typeEPNSR_ISM_E10value_typeEPSN_NS1_7vsmem_tEENKUlT_SL_SM_SN_E_clIS8_S8_S9_S9_EESK_S10_SL_SM_SN_EUlS10_E1_NS1_11comp_targetILNS1_3genE0ELNS1_11target_archE4294967295ELNS1_3gpuE0ELNS1_3repE0EEENS1_36merge_oddeven_config_static_selectorELNS0_4arch9wavefront6targetE0EEEvSM_.numbered_sgpr, 27
	.set _ZN7rocprim17ROCPRIM_400000_NS6detail17trampoline_kernelINS0_14default_configENS1_38merge_sort_block_merge_config_selectorIlNS0_10empty_typeEEEZZNS1_27merge_sort_block_merge_implIS3_PlPS5_mZN2at6native12_GLOBAL__N_124unique_dim_cuda_templateIsEESt5tupleIJNSA_6TensorESF_SF_EERKSF_lbbbEUlllE_EE10hipError_tT0_T1_T2_jT3_P12ihipStream_tbPNSt15iterator_traitsISL_E10value_typeEPNSR_ISM_E10value_typeEPSN_NS1_7vsmem_tEENKUlT_SL_SM_SN_E_clIS8_S8_S9_S9_EESK_S10_SL_SM_SN_EUlS10_E1_NS1_11comp_targetILNS1_3genE0ELNS1_11target_archE4294967295ELNS1_3gpuE0ELNS1_3repE0EEENS1_36merge_oddeven_config_static_selectorELNS0_4arch9wavefront6targetE0EEEvSM_.num_named_barrier, 0
	.set _ZN7rocprim17ROCPRIM_400000_NS6detail17trampoline_kernelINS0_14default_configENS1_38merge_sort_block_merge_config_selectorIlNS0_10empty_typeEEEZZNS1_27merge_sort_block_merge_implIS3_PlPS5_mZN2at6native12_GLOBAL__N_124unique_dim_cuda_templateIsEESt5tupleIJNSA_6TensorESF_SF_EERKSF_lbbbEUlllE_EE10hipError_tT0_T1_T2_jT3_P12ihipStream_tbPNSt15iterator_traitsISL_E10value_typeEPNSR_ISM_E10value_typeEPSN_NS1_7vsmem_tEENKUlT_SL_SM_SN_E_clIS8_S8_S9_S9_EESK_S10_SL_SM_SN_EUlS10_E1_NS1_11comp_targetILNS1_3genE0ELNS1_11target_archE4294967295ELNS1_3gpuE0ELNS1_3repE0EEENS1_36merge_oddeven_config_static_selectorELNS0_4arch9wavefront6targetE0EEEvSM_.private_seg_size, 0
	.set _ZN7rocprim17ROCPRIM_400000_NS6detail17trampoline_kernelINS0_14default_configENS1_38merge_sort_block_merge_config_selectorIlNS0_10empty_typeEEEZZNS1_27merge_sort_block_merge_implIS3_PlPS5_mZN2at6native12_GLOBAL__N_124unique_dim_cuda_templateIsEESt5tupleIJNSA_6TensorESF_SF_EERKSF_lbbbEUlllE_EE10hipError_tT0_T1_T2_jT3_P12ihipStream_tbPNSt15iterator_traitsISL_E10value_typeEPNSR_ISM_E10value_typeEPSN_NS1_7vsmem_tEENKUlT_SL_SM_SN_E_clIS8_S8_S9_S9_EESK_S10_SL_SM_SN_EUlS10_E1_NS1_11comp_targetILNS1_3genE0ELNS1_11target_archE4294967295ELNS1_3gpuE0ELNS1_3repE0EEENS1_36merge_oddeven_config_static_selectorELNS0_4arch9wavefront6targetE0EEEvSM_.uses_vcc, 1
	.set _ZN7rocprim17ROCPRIM_400000_NS6detail17trampoline_kernelINS0_14default_configENS1_38merge_sort_block_merge_config_selectorIlNS0_10empty_typeEEEZZNS1_27merge_sort_block_merge_implIS3_PlPS5_mZN2at6native12_GLOBAL__N_124unique_dim_cuda_templateIsEESt5tupleIJNSA_6TensorESF_SF_EERKSF_lbbbEUlllE_EE10hipError_tT0_T1_T2_jT3_P12ihipStream_tbPNSt15iterator_traitsISL_E10value_typeEPNSR_ISM_E10value_typeEPSN_NS1_7vsmem_tEENKUlT_SL_SM_SN_E_clIS8_S8_S9_S9_EESK_S10_SL_SM_SN_EUlS10_E1_NS1_11comp_targetILNS1_3genE0ELNS1_11target_archE4294967295ELNS1_3gpuE0ELNS1_3repE0EEENS1_36merge_oddeven_config_static_selectorELNS0_4arch9wavefront6targetE0EEEvSM_.uses_flat_scratch, 0
	.set _ZN7rocprim17ROCPRIM_400000_NS6detail17trampoline_kernelINS0_14default_configENS1_38merge_sort_block_merge_config_selectorIlNS0_10empty_typeEEEZZNS1_27merge_sort_block_merge_implIS3_PlPS5_mZN2at6native12_GLOBAL__N_124unique_dim_cuda_templateIsEESt5tupleIJNSA_6TensorESF_SF_EERKSF_lbbbEUlllE_EE10hipError_tT0_T1_T2_jT3_P12ihipStream_tbPNSt15iterator_traitsISL_E10value_typeEPNSR_ISM_E10value_typeEPSN_NS1_7vsmem_tEENKUlT_SL_SM_SN_E_clIS8_S8_S9_S9_EESK_S10_SL_SM_SN_EUlS10_E1_NS1_11comp_targetILNS1_3genE0ELNS1_11target_archE4294967295ELNS1_3gpuE0ELNS1_3repE0EEENS1_36merge_oddeven_config_static_selectorELNS0_4arch9wavefront6targetE0EEEvSM_.has_dyn_sized_stack, 0
	.set _ZN7rocprim17ROCPRIM_400000_NS6detail17trampoline_kernelINS0_14default_configENS1_38merge_sort_block_merge_config_selectorIlNS0_10empty_typeEEEZZNS1_27merge_sort_block_merge_implIS3_PlPS5_mZN2at6native12_GLOBAL__N_124unique_dim_cuda_templateIsEESt5tupleIJNSA_6TensorESF_SF_EERKSF_lbbbEUlllE_EE10hipError_tT0_T1_T2_jT3_P12ihipStream_tbPNSt15iterator_traitsISL_E10value_typeEPNSR_ISM_E10value_typeEPSN_NS1_7vsmem_tEENKUlT_SL_SM_SN_E_clIS8_S8_S9_S9_EESK_S10_SL_SM_SN_EUlS10_E1_NS1_11comp_targetILNS1_3genE0ELNS1_11target_archE4294967295ELNS1_3gpuE0ELNS1_3repE0EEENS1_36merge_oddeven_config_static_selectorELNS0_4arch9wavefront6targetE0EEEvSM_.has_recursion, 0
	.set _ZN7rocprim17ROCPRIM_400000_NS6detail17trampoline_kernelINS0_14default_configENS1_38merge_sort_block_merge_config_selectorIlNS0_10empty_typeEEEZZNS1_27merge_sort_block_merge_implIS3_PlPS5_mZN2at6native12_GLOBAL__N_124unique_dim_cuda_templateIsEESt5tupleIJNSA_6TensorESF_SF_EERKSF_lbbbEUlllE_EE10hipError_tT0_T1_T2_jT3_P12ihipStream_tbPNSt15iterator_traitsISL_E10value_typeEPNSR_ISM_E10value_typeEPSN_NS1_7vsmem_tEENKUlT_SL_SM_SN_E_clIS8_S8_S9_S9_EESK_S10_SL_SM_SN_EUlS10_E1_NS1_11comp_targetILNS1_3genE0ELNS1_11target_archE4294967295ELNS1_3gpuE0ELNS1_3repE0EEENS1_36merge_oddeven_config_static_selectorELNS0_4arch9wavefront6targetE0EEEvSM_.has_indirect_call, 0
	.section	.AMDGPU.csdata,"",@progbits
; Kernel info:
; codeLenInByte = 1704
; TotalNumSgprs: 29
; NumVgprs: 17
; ScratchSize: 0
; MemoryBound: 0
; FloatMode: 240
; IeeeMode: 1
; LDSByteSize: 0 bytes/workgroup (compile time only)
; SGPRBlocks: 0
; VGPRBlocks: 1
; NumSGPRsForWavesPerEU: 29
; NumVGPRsForWavesPerEU: 17
; NamedBarCnt: 0
; Occupancy: 16
; WaveLimiterHint : 0
; COMPUTE_PGM_RSRC2:SCRATCH_EN: 0
; COMPUTE_PGM_RSRC2:USER_SGPR: 2
; COMPUTE_PGM_RSRC2:TRAP_HANDLER: 0
; COMPUTE_PGM_RSRC2:TGID_X_EN: 1
; COMPUTE_PGM_RSRC2:TGID_Y_EN: 0
; COMPUTE_PGM_RSRC2:TGID_Z_EN: 0
; COMPUTE_PGM_RSRC2:TIDIG_COMP_CNT: 0
	.section	.text._ZN7rocprim17ROCPRIM_400000_NS6detail17trampoline_kernelINS0_14default_configENS1_38merge_sort_block_merge_config_selectorIlNS0_10empty_typeEEEZZNS1_27merge_sort_block_merge_implIS3_PlPS5_mZN2at6native12_GLOBAL__N_124unique_dim_cuda_templateIsEESt5tupleIJNSA_6TensorESF_SF_EERKSF_lbbbEUlllE_EE10hipError_tT0_T1_T2_jT3_P12ihipStream_tbPNSt15iterator_traitsISL_E10value_typeEPNSR_ISM_E10value_typeEPSN_NS1_7vsmem_tEENKUlT_SL_SM_SN_E_clIS8_S8_S9_S9_EESK_S10_SL_SM_SN_EUlS10_E1_NS1_11comp_targetILNS1_3genE10ELNS1_11target_archE1201ELNS1_3gpuE5ELNS1_3repE0EEENS1_36merge_oddeven_config_static_selectorELNS0_4arch9wavefront6targetE0EEEvSM_,"axG",@progbits,_ZN7rocprim17ROCPRIM_400000_NS6detail17trampoline_kernelINS0_14default_configENS1_38merge_sort_block_merge_config_selectorIlNS0_10empty_typeEEEZZNS1_27merge_sort_block_merge_implIS3_PlPS5_mZN2at6native12_GLOBAL__N_124unique_dim_cuda_templateIsEESt5tupleIJNSA_6TensorESF_SF_EERKSF_lbbbEUlllE_EE10hipError_tT0_T1_T2_jT3_P12ihipStream_tbPNSt15iterator_traitsISL_E10value_typeEPNSR_ISM_E10value_typeEPSN_NS1_7vsmem_tEENKUlT_SL_SM_SN_E_clIS8_S8_S9_S9_EESK_S10_SL_SM_SN_EUlS10_E1_NS1_11comp_targetILNS1_3genE10ELNS1_11target_archE1201ELNS1_3gpuE5ELNS1_3repE0EEENS1_36merge_oddeven_config_static_selectorELNS0_4arch9wavefront6targetE0EEEvSM_,comdat
	.globl	_ZN7rocprim17ROCPRIM_400000_NS6detail17trampoline_kernelINS0_14default_configENS1_38merge_sort_block_merge_config_selectorIlNS0_10empty_typeEEEZZNS1_27merge_sort_block_merge_implIS3_PlPS5_mZN2at6native12_GLOBAL__N_124unique_dim_cuda_templateIsEESt5tupleIJNSA_6TensorESF_SF_EERKSF_lbbbEUlllE_EE10hipError_tT0_T1_T2_jT3_P12ihipStream_tbPNSt15iterator_traitsISL_E10value_typeEPNSR_ISM_E10value_typeEPSN_NS1_7vsmem_tEENKUlT_SL_SM_SN_E_clIS8_S8_S9_S9_EESK_S10_SL_SM_SN_EUlS10_E1_NS1_11comp_targetILNS1_3genE10ELNS1_11target_archE1201ELNS1_3gpuE5ELNS1_3repE0EEENS1_36merge_oddeven_config_static_selectorELNS0_4arch9wavefront6targetE0EEEvSM_ ; -- Begin function _ZN7rocprim17ROCPRIM_400000_NS6detail17trampoline_kernelINS0_14default_configENS1_38merge_sort_block_merge_config_selectorIlNS0_10empty_typeEEEZZNS1_27merge_sort_block_merge_implIS3_PlPS5_mZN2at6native12_GLOBAL__N_124unique_dim_cuda_templateIsEESt5tupleIJNSA_6TensorESF_SF_EERKSF_lbbbEUlllE_EE10hipError_tT0_T1_T2_jT3_P12ihipStream_tbPNSt15iterator_traitsISL_E10value_typeEPNSR_ISM_E10value_typeEPSN_NS1_7vsmem_tEENKUlT_SL_SM_SN_E_clIS8_S8_S9_S9_EESK_S10_SL_SM_SN_EUlS10_E1_NS1_11comp_targetILNS1_3genE10ELNS1_11target_archE1201ELNS1_3gpuE5ELNS1_3repE0EEENS1_36merge_oddeven_config_static_selectorELNS0_4arch9wavefront6targetE0EEEvSM_
	.p2align	8
	.type	_ZN7rocprim17ROCPRIM_400000_NS6detail17trampoline_kernelINS0_14default_configENS1_38merge_sort_block_merge_config_selectorIlNS0_10empty_typeEEEZZNS1_27merge_sort_block_merge_implIS3_PlPS5_mZN2at6native12_GLOBAL__N_124unique_dim_cuda_templateIsEESt5tupleIJNSA_6TensorESF_SF_EERKSF_lbbbEUlllE_EE10hipError_tT0_T1_T2_jT3_P12ihipStream_tbPNSt15iterator_traitsISL_E10value_typeEPNSR_ISM_E10value_typeEPSN_NS1_7vsmem_tEENKUlT_SL_SM_SN_E_clIS8_S8_S9_S9_EESK_S10_SL_SM_SN_EUlS10_E1_NS1_11comp_targetILNS1_3genE10ELNS1_11target_archE1201ELNS1_3gpuE5ELNS1_3repE0EEENS1_36merge_oddeven_config_static_selectorELNS0_4arch9wavefront6targetE0EEEvSM_,@function
_ZN7rocprim17ROCPRIM_400000_NS6detail17trampoline_kernelINS0_14default_configENS1_38merge_sort_block_merge_config_selectorIlNS0_10empty_typeEEEZZNS1_27merge_sort_block_merge_implIS3_PlPS5_mZN2at6native12_GLOBAL__N_124unique_dim_cuda_templateIsEESt5tupleIJNSA_6TensorESF_SF_EERKSF_lbbbEUlllE_EE10hipError_tT0_T1_T2_jT3_P12ihipStream_tbPNSt15iterator_traitsISL_E10value_typeEPNSR_ISM_E10value_typeEPSN_NS1_7vsmem_tEENKUlT_SL_SM_SN_E_clIS8_S8_S9_S9_EESK_S10_SL_SM_SN_EUlS10_E1_NS1_11comp_targetILNS1_3genE10ELNS1_11target_archE1201ELNS1_3gpuE5ELNS1_3repE0EEENS1_36merge_oddeven_config_static_selectorELNS0_4arch9wavefront6targetE0EEEvSM_: ; @_ZN7rocprim17ROCPRIM_400000_NS6detail17trampoline_kernelINS0_14default_configENS1_38merge_sort_block_merge_config_selectorIlNS0_10empty_typeEEEZZNS1_27merge_sort_block_merge_implIS3_PlPS5_mZN2at6native12_GLOBAL__N_124unique_dim_cuda_templateIsEESt5tupleIJNSA_6TensorESF_SF_EERKSF_lbbbEUlllE_EE10hipError_tT0_T1_T2_jT3_P12ihipStream_tbPNSt15iterator_traitsISL_E10value_typeEPNSR_ISM_E10value_typeEPSN_NS1_7vsmem_tEENKUlT_SL_SM_SN_E_clIS8_S8_S9_S9_EESK_S10_SL_SM_SN_EUlS10_E1_NS1_11comp_targetILNS1_3genE10ELNS1_11target_archE1201ELNS1_3gpuE5ELNS1_3repE0EEENS1_36merge_oddeven_config_static_selectorELNS0_4arch9wavefront6targetE0EEEvSM_
; %bb.0:
	.section	.rodata,"a",@progbits
	.p2align	6, 0x0
	.amdhsa_kernel _ZN7rocprim17ROCPRIM_400000_NS6detail17trampoline_kernelINS0_14default_configENS1_38merge_sort_block_merge_config_selectorIlNS0_10empty_typeEEEZZNS1_27merge_sort_block_merge_implIS3_PlPS5_mZN2at6native12_GLOBAL__N_124unique_dim_cuda_templateIsEESt5tupleIJNSA_6TensorESF_SF_EERKSF_lbbbEUlllE_EE10hipError_tT0_T1_T2_jT3_P12ihipStream_tbPNSt15iterator_traitsISL_E10value_typeEPNSR_ISM_E10value_typeEPSN_NS1_7vsmem_tEENKUlT_SL_SM_SN_E_clIS8_S8_S9_S9_EESK_S10_SL_SM_SN_EUlS10_E1_NS1_11comp_targetILNS1_3genE10ELNS1_11target_archE1201ELNS1_3gpuE5ELNS1_3repE0EEENS1_36merge_oddeven_config_static_selectorELNS0_4arch9wavefront6targetE0EEEvSM_
		.amdhsa_group_segment_fixed_size 0
		.amdhsa_private_segment_fixed_size 0
		.amdhsa_kernarg_size 64
		.amdhsa_user_sgpr_count 2
		.amdhsa_user_sgpr_dispatch_ptr 0
		.amdhsa_user_sgpr_queue_ptr 0
		.amdhsa_user_sgpr_kernarg_segment_ptr 1
		.amdhsa_user_sgpr_dispatch_id 0
		.amdhsa_user_sgpr_kernarg_preload_length 0
		.amdhsa_user_sgpr_kernarg_preload_offset 0
		.amdhsa_user_sgpr_private_segment_size 0
		.amdhsa_wavefront_size32 1
		.amdhsa_uses_dynamic_stack 0
		.amdhsa_enable_private_segment 0
		.amdhsa_system_sgpr_workgroup_id_x 1
		.amdhsa_system_sgpr_workgroup_id_y 0
		.amdhsa_system_sgpr_workgroup_id_z 0
		.amdhsa_system_sgpr_workgroup_info 0
		.amdhsa_system_vgpr_workitem_id 0
		.amdhsa_next_free_vgpr 1
		.amdhsa_next_free_sgpr 1
		.amdhsa_named_barrier_count 0
		.amdhsa_reserve_vcc 0
		.amdhsa_float_round_mode_32 0
		.amdhsa_float_round_mode_16_64 0
		.amdhsa_float_denorm_mode_32 3
		.amdhsa_float_denorm_mode_16_64 3
		.amdhsa_fp16_overflow 0
		.amdhsa_memory_ordered 1
		.amdhsa_forward_progress 1
		.amdhsa_inst_pref_size 0
		.amdhsa_round_robin_scheduling 0
		.amdhsa_exception_fp_ieee_invalid_op 0
		.amdhsa_exception_fp_denorm_src 0
		.amdhsa_exception_fp_ieee_div_zero 0
		.amdhsa_exception_fp_ieee_overflow 0
		.amdhsa_exception_fp_ieee_underflow 0
		.amdhsa_exception_fp_ieee_inexact 0
		.amdhsa_exception_int_div_zero 0
	.end_amdhsa_kernel
	.section	.text._ZN7rocprim17ROCPRIM_400000_NS6detail17trampoline_kernelINS0_14default_configENS1_38merge_sort_block_merge_config_selectorIlNS0_10empty_typeEEEZZNS1_27merge_sort_block_merge_implIS3_PlPS5_mZN2at6native12_GLOBAL__N_124unique_dim_cuda_templateIsEESt5tupleIJNSA_6TensorESF_SF_EERKSF_lbbbEUlllE_EE10hipError_tT0_T1_T2_jT3_P12ihipStream_tbPNSt15iterator_traitsISL_E10value_typeEPNSR_ISM_E10value_typeEPSN_NS1_7vsmem_tEENKUlT_SL_SM_SN_E_clIS8_S8_S9_S9_EESK_S10_SL_SM_SN_EUlS10_E1_NS1_11comp_targetILNS1_3genE10ELNS1_11target_archE1201ELNS1_3gpuE5ELNS1_3repE0EEENS1_36merge_oddeven_config_static_selectorELNS0_4arch9wavefront6targetE0EEEvSM_,"axG",@progbits,_ZN7rocprim17ROCPRIM_400000_NS6detail17trampoline_kernelINS0_14default_configENS1_38merge_sort_block_merge_config_selectorIlNS0_10empty_typeEEEZZNS1_27merge_sort_block_merge_implIS3_PlPS5_mZN2at6native12_GLOBAL__N_124unique_dim_cuda_templateIsEESt5tupleIJNSA_6TensorESF_SF_EERKSF_lbbbEUlllE_EE10hipError_tT0_T1_T2_jT3_P12ihipStream_tbPNSt15iterator_traitsISL_E10value_typeEPNSR_ISM_E10value_typeEPSN_NS1_7vsmem_tEENKUlT_SL_SM_SN_E_clIS8_S8_S9_S9_EESK_S10_SL_SM_SN_EUlS10_E1_NS1_11comp_targetILNS1_3genE10ELNS1_11target_archE1201ELNS1_3gpuE5ELNS1_3repE0EEENS1_36merge_oddeven_config_static_selectorELNS0_4arch9wavefront6targetE0EEEvSM_,comdat
.Lfunc_end653:
	.size	_ZN7rocprim17ROCPRIM_400000_NS6detail17trampoline_kernelINS0_14default_configENS1_38merge_sort_block_merge_config_selectorIlNS0_10empty_typeEEEZZNS1_27merge_sort_block_merge_implIS3_PlPS5_mZN2at6native12_GLOBAL__N_124unique_dim_cuda_templateIsEESt5tupleIJNSA_6TensorESF_SF_EERKSF_lbbbEUlllE_EE10hipError_tT0_T1_T2_jT3_P12ihipStream_tbPNSt15iterator_traitsISL_E10value_typeEPNSR_ISM_E10value_typeEPSN_NS1_7vsmem_tEENKUlT_SL_SM_SN_E_clIS8_S8_S9_S9_EESK_S10_SL_SM_SN_EUlS10_E1_NS1_11comp_targetILNS1_3genE10ELNS1_11target_archE1201ELNS1_3gpuE5ELNS1_3repE0EEENS1_36merge_oddeven_config_static_selectorELNS0_4arch9wavefront6targetE0EEEvSM_, .Lfunc_end653-_ZN7rocprim17ROCPRIM_400000_NS6detail17trampoline_kernelINS0_14default_configENS1_38merge_sort_block_merge_config_selectorIlNS0_10empty_typeEEEZZNS1_27merge_sort_block_merge_implIS3_PlPS5_mZN2at6native12_GLOBAL__N_124unique_dim_cuda_templateIsEESt5tupleIJNSA_6TensorESF_SF_EERKSF_lbbbEUlllE_EE10hipError_tT0_T1_T2_jT3_P12ihipStream_tbPNSt15iterator_traitsISL_E10value_typeEPNSR_ISM_E10value_typeEPSN_NS1_7vsmem_tEENKUlT_SL_SM_SN_E_clIS8_S8_S9_S9_EESK_S10_SL_SM_SN_EUlS10_E1_NS1_11comp_targetILNS1_3genE10ELNS1_11target_archE1201ELNS1_3gpuE5ELNS1_3repE0EEENS1_36merge_oddeven_config_static_selectorELNS0_4arch9wavefront6targetE0EEEvSM_
                                        ; -- End function
	.set _ZN7rocprim17ROCPRIM_400000_NS6detail17trampoline_kernelINS0_14default_configENS1_38merge_sort_block_merge_config_selectorIlNS0_10empty_typeEEEZZNS1_27merge_sort_block_merge_implIS3_PlPS5_mZN2at6native12_GLOBAL__N_124unique_dim_cuda_templateIsEESt5tupleIJNSA_6TensorESF_SF_EERKSF_lbbbEUlllE_EE10hipError_tT0_T1_T2_jT3_P12ihipStream_tbPNSt15iterator_traitsISL_E10value_typeEPNSR_ISM_E10value_typeEPSN_NS1_7vsmem_tEENKUlT_SL_SM_SN_E_clIS8_S8_S9_S9_EESK_S10_SL_SM_SN_EUlS10_E1_NS1_11comp_targetILNS1_3genE10ELNS1_11target_archE1201ELNS1_3gpuE5ELNS1_3repE0EEENS1_36merge_oddeven_config_static_selectorELNS0_4arch9wavefront6targetE0EEEvSM_.num_vgpr, 0
	.set _ZN7rocprim17ROCPRIM_400000_NS6detail17trampoline_kernelINS0_14default_configENS1_38merge_sort_block_merge_config_selectorIlNS0_10empty_typeEEEZZNS1_27merge_sort_block_merge_implIS3_PlPS5_mZN2at6native12_GLOBAL__N_124unique_dim_cuda_templateIsEESt5tupleIJNSA_6TensorESF_SF_EERKSF_lbbbEUlllE_EE10hipError_tT0_T1_T2_jT3_P12ihipStream_tbPNSt15iterator_traitsISL_E10value_typeEPNSR_ISM_E10value_typeEPSN_NS1_7vsmem_tEENKUlT_SL_SM_SN_E_clIS8_S8_S9_S9_EESK_S10_SL_SM_SN_EUlS10_E1_NS1_11comp_targetILNS1_3genE10ELNS1_11target_archE1201ELNS1_3gpuE5ELNS1_3repE0EEENS1_36merge_oddeven_config_static_selectorELNS0_4arch9wavefront6targetE0EEEvSM_.num_agpr, 0
	.set _ZN7rocprim17ROCPRIM_400000_NS6detail17trampoline_kernelINS0_14default_configENS1_38merge_sort_block_merge_config_selectorIlNS0_10empty_typeEEEZZNS1_27merge_sort_block_merge_implIS3_PlPS5_mZN2at6native12_GLOBAL__N_124unique_dim_cuda_templateIsEESt5tupleIJNSA_6TensorESF_SF_EERKSF_lbbbEUlllE_EE10hipError_tT0_T1_T2_jT3_P12ihipStream_tbPNSt15iterator_traitsISL_E10value_typeEPNSR_ISM_E10value_typeEPSN_NS1_7vsmem_tEENKUlT_SL_SM_SN_E_clIS8_S8_S9_S9_EESK_S10_SL_SM_SN_EUlS10_E1_NS1_11comp_targetILNS1_3genE10ELNS1_11target_archE1201ELNS1_3gpuE5ELNS1_3repE0EEENS1_36merge_oddeven_config_static_selectorELNS0_4arch9wavefront6targetE0EEEvSM_.numbered_sgpr, 0
	.set _ZN7rocprim17ROCPRIM_400000_NS6detail17trampoline_kernelINS0_14default_configENS1_38merge_sort_block_merge_config_selectorIlNS0_10empty_typeEEEZZNS1_27merge_sort_block_merge_implIS3_PlPS5_mZN2at6native12_GLOBAL__N_124unique_dim_cuda_templateIsEESt5tupleIJNSA_6TensorESF_SF_EERKSF_lbbbEUlllE_EE10hipError_tT0_T1_T2_jT3_P12ihipStream_tbPNSt15iterator_traitsISL_E10value_typeEPNSR_ISM_E10value_typeEPSN_NS1_7vsmem_tEENKUlT_SL_SM_SN_E_clIS8_S8_S9_S9_EESK_S10_SL_SM_SN_EUlS10_E1_NS1_11comp_targetILNS1_3genE10ELNS1_11target_archE1201ELNS1_3gpuE5ELNS1_3repE0EEENS1_36merge_oddeven_config_static_selectorELNS0_4arch9wavefront6targetE0EEEvSM_.num_named_barrier, 0
	.set _ZN7rocprim17ROCPRIM_400000_NS6detail17trampoline_kernelINS0_14default_configENS1_38merge_sort_block_merge_config_selectorIlNS0_10empty_typeEEEZZNS1_27merge_sort_block_merge_implIS3_PlPS5_mZN2at6native12_GLOBAL__N_124unique_dim_cuda_templateIsEESt5tupleIJNSA_6TensorESF_SF_EERKSF_lbbbEUlllE_EE10hipError_tT0_T1_T2_jT3_P12ihipStream_tbPNSt15iterator_traitsISL_E10value_typeEPNSR_ISM_E10value_typeEPSN_NS1_7vsmem_tEENKUlT_SL_SM_SN_E_clIS8_S8_S9_S9_EESK_S10_SL_SM_SN_EUlS10_E1_NS1_11comp_targetILNS1_3genE10ELNS1_11target_archE1201ELNS1_3gpuE5ELNS1_3repE0EEENS1_36merge_oddeven_config_static_selectorELNS0_4arch9wavefront6targetE0EEEvSM_.private_seg_size, 0
	.set _ZN7rocprim17ROCPRIM_400000_NS6detail17trampoline_kernelINS0_14default_configENS1_38merge_sort_block_merge_config_selectorIlNS0_10empty_typeEEEZZNS1_27merge_sort_block_merge_implIS3_PlPS5_mZN2at6native12_GLOBAL__N_124unique_dim_cuda_templateIsEESt5tupleIJNSA_6TensorESF_SF_EERKSF_lbbbEUlllE_EE10hipError_tT0_T1_T2_jT3_P12ihipStream_tbPNSt15iterator_traitsISL_E10value_typeEPNSR_ISM_E10value_typeEPSN_NS1_7vsmem_tEENKUlT_SL_SM_SN_E_clIS8_S8_S9_S9_EESK_S10_SL_SM_SN_EUlS10_E1_NS1_11comp_targetILNS1_3genE10ELNS1_11target_archE1201ELNS1_3gpuE5ELNS1_3repE0EEENS1_36merge_oddeven_config_static_selectorELNS0_4arch9wavefront6targetE0EEEvSM_.uses_vcc, 0
	.set _ZN7rocprim17ROCPRIM_400000_NS6detail17trampoline_kernelINS0_14default_configENS1_38merge_sort_block_merge_config_selectorIlNS0_10empty_typeEEEZZNS1_27merge_sort_block_merge_implIS3_PlPS5_mZN2at6native12_GLOBAL__N_124unique_dim_cuda_templateIsEESt5tupleIJNSA_6TensorESF_SF_EERKSF_lbbbEUlllE_EE10hipError_tT0_T1_T2_jT3_P12ihipStream_tbPNSt15iterator_traitsISL_E10value_typeEPNSR_ISM_E10value_typeEPSN_NS1_7vsmem_tEENKUlT_SL_SM_SN_E_clIS8_S8_S9_S9_EESK_S10_SL_SM_SN_EUlS10_E1_NS1_11comp_targetILNS1_3genE10ELNS1_11target_archE1201ELNS1_3gpuE5ELNS1_3repE0EEENS1_36merge_oddeven_config_static_selectorELNS0_4arch9wavefront6targetE0EEEvSM_.uses_flat_scratch, 0
	.set _ZN7rocprim17ROCPRIM_400000_NS6detail17trampoline_kernelINS0_14default_configENS1_38merge_sort_block_merge_config_selectorIlNS0_10empty_typeEEEZZNS1_27merge_sort_block_merge_implIS3_PlPS5_mZN2at6native12_GLOBAL__N_124unique_dim_cuda_templateIsEESt5tupleIJNSA_6TensorESF_SF_EERKSF_lbbbEUlllE_EE10hipError_tT0_T1_T2_jT3_P12ihipStream_tbPNSt15iterator_traitsISL_E10value_typeEPNSR_ISM_E10value_typeEPSN_NS1_7vsmem_tEENKUlT_SL_SM_SN_E_clIS8_S8_S9_S9_EESK_S10_SL_SM_SN_EUlS10_E1_NS1_11comp_targetILNS1_3genE10ELNS1_11target_archE1201ELNS1_3gpuE5ELNS1_3repE0EEENS1_36merge_oddeven_config_static_selectorELNS0_4arch9wavefront6targetE0EEEvSM_.has_dyn_sized_stack, 0
	.set _ZN7rocprim17ROCPRIM_400000_NS6detail17trampoline_kernelINS0_14default_configENS1_38merge_sort_block_merge_config_selectorIlNS0_10empty_typeEEEZZNS1_27merge_sort_block_merge_implIS3_PlPS5_mZN2at6native12_GLOBAL__N_124unique_dim_cuda_templateIsEESt5tupleIJNSA_6TensorESF_SF_EERKSF_lbbbEUlllE_EE10hipError_tT0_T1_T2_jT3_P12ihipStream_tbPNSt15iterator_traitsISL_E10value_typeEPNSR_ISM_E10value_typeEPSN_NS1_7vsmem_tEENKUlT_SL_SM_SN_E_clIS8_S8_S9_S9_EESK_S10_SL_SM_SN_EUlS10_E1_NS1_11comp_targetILNS1_3genE10ELNS1_11target_archE1201ELNS1_3gpuE5ELNS1_3repE0EEENS1_36merge_oddeven_config_static_selectorELNS0_4arch9wavefront6targetE0EEEvSM_.has_recursion, 0
	.set _ZN7rocprim17ROCPRIM_400000_NS6detail17trampoline_kernelINS0_14default_configENS1_38merge_sort_block_merge_config_selectorIlNS0_10empty_typeEEEZZNS1_27merge_sort_block_merge_implIS3_PlPS5_mZN2at6native12_GLOBAL__N_124unique_dim_cuda_templateIsEESt5tupleIJNSA_6TensorESF_SF_EERKSF_lbbbEUlllE_EE10hipError_tT0_T1_T2_jT3_P12ihipStream_tbPNSt15iterator_traitsISL_E10value_typeEPNSR_ISM_E10value_typeEPSN_NS1_7vsmem_tEENKUlT_SL_SM_SN_E_clIS8_S8_S9_S9_EESK_S10_SL_SM_SN_EUlS10_E1_NS1_11comp_targetILNS1_3genE10ELNS1_11target_archE1201ELNS1_3gpuE5ELNS1_3repE0EEENS1_36merge_oddeven_config_static_selectorELNS0_4arch9wavefront6targetE0EEEvSM_.has_indirect_call, 0
	.section	.AMDGPU.csdata,"",@progbits
; Kernel info:
; codeLenInByte = 0
; TotalNumSgprs: 0
; NumVgprs: 0
; ScratchSize: 0
; MemoryBound: 0
; FloatMode: 240
; IeeeMode: 1
; LDSByteSize: 0 bytes/workgroup (compile time only)
; SGPRBlocks: 0
; VGPRBlocks: 0
; NumSGPRsForWavesPerEU: 1
; NumVGPRsForWavesPerEU: 1
; NamedBarCnt: 0
; Occupancy: 16
; WaveLimiterHint : 0
; COMPUTE_PGM_RSRC2:SCRATCH_EN: 0
; COMPUTE_PGM_RSRC2:USER_SGPR: 2
; COMPUTE_PGM_RSRC2:TRAP_HANDLER: 0
; COMPUTE_PGM_RSRC2:TGID_X_EN: 1
; COMPUTE_PGM_RSRC2:TGID_Y_EN: 0
; COMPUTE_PGM_RSRC2:TGID_Z_EN: 0
; COMPUTE_PGM_RSRC2:TIDIG_COMP_CNT: 0
	.section	.text._ZN7rocprim17ROCPRIM_400000_NS6detail17trampoline_kernelINS0_14default_configENS1_38merge_sort_block_merge_config_selectorIlNS0_10empty_typeEEEZZNS1_27merge_sort_block_merge_implIS3_PlPS5_mZN2at6native12_GLOBAL__N_124unique_dim_cuda_templateIsEESt5tupleIJNSA_6TensorESF_SF_EERKSF_lbbbEUlllE_EE10hipError_tT0_T1_T2_jT3_P12ihipStream_tbPNSt15iterator_traitsISL_E10value_typeEPNSR_ISM_E10value_typeEPSN_NS1_7vsmem_tEENKUlT_SL_SM_SN_E_clIS8_S8_S9_S9_EESK_S10_SL_SM_SN_EUlS10_E1_NS1_11comp_targetILNS1_3genE5ELNS1_11target_archE942ELNS1_3gpuE9ELNS1_3repE0EEENS1_36merge_oddeven_config_static_selectorELNS0_4arch9wavefront6targetE0EEEvSM_,"axG",@progbits,_ZN7rocprim17ROCPRIM_400000_NS6detail17trampoline_kernelINS0_14default_configENS1_38merge_sort_block_merge_config_selectorIlNS0_10empty_typeEEEZZNS1_27merge_sort_block_merge_implIS3_PlPS5_mZN2at6native12_GLOBAL__N_124unique_dim_cuda_templateIsEESt5tupleIJNSA_6TensorESF_SF_EERKSF_lbbbEUlllE_EE10hipError_tT0_T1_T2_jT3_P12ihipStream_tbPNSt15iterator_traitsISL_E10value_typeEPNSR_ISM_E10value_typeEPSN_NS1_7vsmem_tEENKUlT_SL_SM_SN_E_clIS8_S8_S9_S9_EESK_S10_SL_SM_SN_EUlS10_E1_NS1_11comp_targetILNS1_3genE5ELNS1_11target_archE942ELNS1_3gpuE9ELNS1_3repE0EEENS1_36merge_oddeven_config_static_selectorELNS0_4arch9wavefront6targetE0EEEvSM_,comdat
	.globl	_ZN7rocprim17ROCPRIM_400000_NS6detail17trampoline_kernelINS0_14default_configENS1_38merge_sort_block_merge_config_selectorIlNS0_10empty_typeEEEZZNS1_27merge_sort_block_merge_implIS3_PlPS5_mZN2at6native12_GLOBAL__N_124unique_dim_cuda_templateIsEESt5tupleIJNSA_6TensorESF_SF_EERKSF_lbbbEUlllE_EE10hipError_tT0_T1_T2_jT3_P12ihipStream_tbPNSt15iterator_traitsISL_E10value_typeEPNSR_ISM_E10value_typeEPSN_NS1_7vsmem_tEENKUlT_SL_SM_SN_E_clIS8_S8_S9_S9_EESK_S10_SL_SM_SN_EUlS10_E1_NS1_11comp_targetILNS1_3genE5ELNS1_11target_archE942ELNS1_3gpuE9ELNS1_3repE0EEENS1_36merge_oddeven_config_static_selectorELNS0_4arch9wavefront6targetE0EEEvSM_ ; -- Begin function _ZN7rocprim17ROCPRIM_400000_NS6detail17trampoline_kernelINS0_14default_configENS1_38merge_sort_block_merge_config_selectorIlNS0_10empty_typeEEEZZNS1_27merge_sort_block_merge_implIS3_PlPS5_mZN2at6native12_GLOBAL__N_124unique_dim_cuda_templateIsEESt5tupleIJNSA_6TensorESF_SF_EERKSF_lbbbEUlllE_EE10hipError_tT0_T1_T2_jT3_P12ihipStream_tbPNSt15iterator_traitsISL_E10value_typeEPNSR_ISM_E10value_typeEPSN_NS1_7vsmem_tEENKUlT_SL_SM_SN_E_clIS8_S8_S9_S9_EESK_S10_SL_SM_SN_EUlS10_E1_NS1_11comp_targetILNS1_3genE5ELNS1_11target_archE942ELNS1_3gpuE9ELNS1_3repE0EEENS1_36merge_oddeven_config_static_selectorELNS0_4arch9wavefront6targetE0EEEvSM_
	.p2align	8
	.type	_ZN7rocprim17ROCPRIM_400000_NS6detail17trampoline_kernelINS0_14default_configENS1_38merge_sort_block_merge_config_selectorIlNS0_10empty_typeEEEZZNS1_27merge_sort_block_merge_implIS3_PlPS5_mZN2at6native12_GLOBAL__N_124unique_dim_cuda_templateIsEESt5tupleIJNSA_6TensorESF_SF_EERKSF_lbbbEUlllE_EE10hipError_tT0_T1_T2_jT3_P12ihipStream_tbPNSt15iterator_traitsISL_E10value_typeEPNSR_ISM_E10value_typeEPSN_NS1_7vsmem_tEENKUlT_SL_SM_SN_E_clIS8_S8_S9_S9_EESK_S10_SL_SM_SN_EUlS10_E1_NS1_11comp_targetILNS1_3genE5ELNS1_11target_archE942ELNS1_3gpuE9ELNS1_3repE0EEENS1_36merge_oddeven_config_static_selectorELNS0_4arch9wavefront6targetE0EEEvSM_,@function
_ZN7rocprim17ROCPRIM_400000_NS6detail17trampoline_kernelINS0_14default_configENS1_38merge_sort_block_merge_config_selectorIlNS0_10empty_typeEEEZZNS1_27merge_sort_block_merge_implIS3_PlPS5_mZN2at6native12_GLOBAL__N_124unique_dim_cuda_templateIsEESt5tupleIJNSA_6TensorESF_SF_EERKSF_lbbbEUlllE_EE10hipError_tT0_T1_T2_jT3_P12ihipStream_tbPNSt15iterator_traitsISL_E10value_typeEPNSR_ISM_E10value_typeEPSN_NS1_7vsmem_tEENKUlT_SL_SM_SN_E_clIS8_S8_S9_S9_EESK_S10_SL_SM_SN_EUlS10_E1_NS1_11comp_targetILNS1_3genE5ELNS1_11target_archE942ELNS1_3gpuE9ELNS1_3repE0EEENS1_36merge_oddeven_config_static_selectorELNS0_4arch9wavefront6targetE0EEEvSM_: ; @_ZN7rocprim17ROCPRIM_400000_NS6detail17trampoline_kernelINS0_14default_configENS1_38merge_sort_block_merge_config_selectorIlNS0_10empty_typeEEEZZNS1_27merge_sort_block_merge_implIS3_PlPS5_mZN2at6native12_GLOBAL__N_124unique_dim_cuda_templateIsEESt5tupleIJNSA_6TensorESF_SF_EERKSF_lbbbEUlllE_EE10hipError_tT0_T1_T2_jT3_P12ihipStream_tbPNSt15iterator_traitsISL_E10value_typeEPNSR_ISM_E10value_typeEPSN_NS1_7vsmem_tEENKUlT_SL_SM_SN_E_clIS8_S8_S9_S9_EESK_S10_SL_SM_SN_EUlS10_E1_NS1_11comp_targetILNS1_3genE5ELNS1_11target_archE942ELNS1_3gpuE9ELNS1_3repE0EEENS1_36merge_oddeven_config_static_selectorELNS0_4arch9wavefront6targetE0EEEvSM_
; %bb.0:
	.section	.rodata,"a",@progbits
	.p2align	6, 0x0
	.amdhsa_kernel _ZN7rocprim17ROCPRIM_400000_NS6detail17trampoline_kernelINS0_14default_configENS1_38merge_sort_block_merge_config_selectorIlNS0_10empty_typeEEEZZNS1_27merge_sort_block_merge_implIS3_PlPS5_mZN2at6native12_GLOBAL__N_124unique_dim_cuda_templateIsEESt5tupleIJNSA_6TensorESF_SF_EERKSF_lbbbEUlllE_EE10hipError_tT0_T1_T2_jT3_P12ihipStream_tbPNSt15iterator_traitsISL_E10value_typeEPNSR_ISM_E10value_typeEPSN_NS1_7vsmem_tEENKUlT_SL_SM_SN_E_clIS8_S8_S9_S9_EESK_S10_SL_SM_SN_EUlS10_E1_NS1_11comp_targetILNS1_3genE5ELNS1_11target_archE942ELNS1_3gpuE9ELNS1_3repE0EEENS1_36merge_oddeven_config_static_selectorELNS0_4arch9wavefront6targetE0EEEvSM_
		.amdhsa_group_segment_fixed_size 0
		.amdhsa_private_segment_fixed_size 0
		.amdhsa_kernarg_size 64
		.amdhsa_user_sgpr_count 2
		.amdhsa_user_sgpr_dispatch_ptr 0
		.amdhsa_user_sgpr_queue_ptr 0
		.amdhsa_user_sgpr_kernarg_segment_ptr 1
		.amdhsa_user_sgpr_dispatch_id 0
		.amdhsa_user_sgpr_kernarg_preload_length 0
		.amdhsa_user_sgpr_kernarg_preload_offset 0
		.amdhsa_user_sgpr_private_segment_size 0
		.amdhsa_wavefront_size32 1
		.amdhsa_uses_dynamic_stack 0
		.amdhsa_enable_private_segment 0
		.amdhsa_system_sgpr_workgroup_id_x 1
		.amdhsa_system_sgpr_workgroup_id_y 0
		.amdhsa_system_sgpr_workgroup_id_z 0
		.amdhsa_system_sgpr_workgroup_info 0
		.amdhsa_system_vgpr_workitem_id 0
		.amdhsa_next_free_vgpr 1
		.amdhsa_next_free_sgpr 1
		.amdhsa_named_barrier_count 0
		.amdhsa_reserve_vcc 0
		.amdhsa_float_round_mode_32 0
		.amdhsa_float_round_mode_16_64 0
		.amdhsa_float_denorm_mode_32 3
		.amdhsa_float_denorm_mode_16_64 3
		.amdhsa_fp16_overflow 0
		.amdhsa_memory_ordered 1
		.amdhsa_forward_progress 1
		.amdhsa_inst_pref_size 0
		.amdhsa_round_robin_scheduling 0
		.amdhsa_exception_fp_ieee_invalid_op 0
		.amdhsa_exception_fp_denorm_src 0
		.amdhsa_exception_fp_ieee_div_zero 0
		.amdhsa_exception_fp_ieee_overflow 0
		.amdhsa_exception_fp_ieee_underflow 0
		.amdhsa_exception_fp_ieee_inexact 0
		.amdhsa_exception_int_div_zero 0
	.end_amdhsa_kernel
	.section	.text._ZN7rocprim17ROCPRIM_400000_NS6detail17trampoline_kernelINS0_14default_configENS1_38merge_sort_block_merge_config_selectorIlNS0_10empty_typeEEEZZNS1_27merge_sort_block_merge_implIS3_PlPS5_mZN2at6native12_GLOBAL__N_124unique_dim_cuda_templateIsEESt5tupleIJNSA_6TensorESF_SF_EERKSF_lbbbEUlllE_EE10hipError_tT0_T1_T2_jT3_P12ihipStream_tbPNSt15iterator_traitsISL_E10value_typeEPNSR_ISM_E10value_typeEPSN_NS1_7vsmem_tEENKUlT_SL_SM_SN_E_clIS8_S8_S9_S9_EESK_S10_SL_SM_SN_EUlS10_E1_NS1_11comp_targetILNS1_3genE5ELNS1_11target_archE942ELNS1_3gpuE9ELNS1_3repE0EEENS1_36merge_oddeven_config_static_selectorELNS0_4arch9wavefront6targetE0EEEvSM_,"axG",@progbits,_ZN7rocprim17ROCPRIM_400000_NS6detail17trampoline_kernelINS0_14default_configENS1_38merge_sort_block_merge_config_selectorIlNS0_10empty_typeEEEZZNS1_27merge_sort_block_merge_implIS3_PlPS5_mZN2at6native12_GLOBAL__N_124unique_dim_cuda_templateIsEESt5tupleIJNSA_6TensorESF_SF_EERKSF_lbbbEUlllE_EE10hipError_tT0_T1_T2_jT3_P12ihipStream_tbPNSt15iterator_traitsISL_E10value_typeEPNSR_ISM_E10value_typeEPSN_NS1_7vsmem_tEENKUlT_SL_SM_SN_E_clIS8_S8_S9_S9_EESK_S10_SL_SM_SN_EUlS10_E1_NS1_11comp_targetILNS1_3genE5ELNS1_11target_archE942ELNS1_3gpuE9ELNS1_3repE0EEENS1_36merge_oddeven_config_static_selectorELNS0_4arch9wavefront6targetE0EEEvSM_,comdat
.Lfunc_end654:
	.size	_ZN7rocprim17ROCPRIM_400000_NS6detail17trampoline_kernelINS0_14default_configENS1_38merge_sort_block_merge_config_selectorIlNS0_10empty_typeEEEZZNS1_27merge_sort_block_merge_implIS3_PlPS5_mZN2at6native12_GLOBAL__N_124unique_dim_cuda_templateIsEESt5tupleIJNSA_6TensorESF_SF_EERKSF_lbbbEUlllE_EE10hipError_tT0_T1_T2_jT3_P12ihipStream_tbPNSt15iterator_traitsISL_E10value_typeEPNSR_ISM_E10value_typeEPSN_NS1_7vsmem_tEENKUlT_SL_SM_SN_E_clIS8_S8_S9_S9_EESK_S10_SL_SM_SN_EUlS10_E1_NS1_11comp_targetILNS1_3genE5ELNS1_11target_archE942ELNS1_3gpuE9ELNS1_3repE0EEENS1_36merge_oddeven_config_static_selectorELNS0_4arch9wavefront6targetE0EEEvSM_, .Lfunc_end654-_ZN7rocprim17ROCPRIM_400000_NS6detail17trampoline_kernelINS0_14default_configENS1_38merge_sort_block_merge_config_selectorIlNS0_10empty_typeEEEZZNS1_27merge_sort_block_merge_implIS3_PlPS5_mZN2at6native12_GLOBAL__N_124unique_dim_cuda_templateIsEESt5tupleIJNSA_6TensorESF_SF_EERKSF_lbbbEUlllE_EE10hipError_tT0_T1_T2_jT3_P12ihipStream_tbPNSt15iterator_traitsISL_E10value_typeEPNSR_ISM_E10value_typeEPSN_NS1_7vsmem_tEENKUlT_SL_SM_SN_E_clIS8_S8_S9_S9_EESK_S10_SL_SM_SN_EUlS10_E1_NS1_11comp_targetILNS1_3genE5ELNS1_11target_archE942ELNS1_3gpuE9ELNS1_3repE0EEENS1_36merge_oddeven_config_static_selectorELNS0_4arch9wavefront6targetE0EEEvSM_
                                        ; -- End function
	.set _ZN7rocprim17ROCPRIM_400000_NS6detail17trampoline_kernelINS0_14default_configENS1_38merge_sort_block_merge_config_selectorIlNS0_10empty_typeEEEZZNS1_27merge_sort_block_merge_implIS3_PlPS5_mZN2at6native12_GLOBAL__N_124unique_dim_cuda_templateIsEESt5tupleIJNSA_6TensorESF_SF_EERKSF_lbbbEUlllE_EE10hipError_tT0_T1_T2_jT3_P12ihipStream_tbPNSt15iterator_traitsISL_E10value_typeEPNSR_ISM_E10value_typeEPSN_NS1_7vsmem_tEENKUlT_SL_SM_SN_E_clIS8_S8_S9_S9_EESK_S10_SL_SM_SN_EUlS10_E1_NS1_11comp_targetILNS1_3genE5ELNS1_11target_archE942ELNS1_3gpuE9ELNS1_3repE0EEENS1_36merge_oddeven_config_static_selectorELNS0_4arch9wavefront6targetE0EEEvSM_.num_vgpr, 0
	.set _ZN7rocprim17ROCPRIM_400000_NS6detail17trampoline_kernelINS0_14default_configENS1_38merge_sort_block_merge_config_selectorIlNS0_10empty_typeEEEZZNS1_27merge_sort_block_merge_implIS3_PlPS5_mZN2at6native12_GLOBAL__N_124unique_dim_cuda_templateIsEESt5tupleIJNSA_6TensorESF_SF_EERKSF_lbbbEUlllE_EE10hipError_tT0_T1_T2_jT3_P12ihipStream_tbPNSt15iterator_traitsISL_E10value_typeEPNSR_ISM_E10value_typeEPSN_NS1_7vsmem_tEENKUlT_SL_SM_SN_E_clIS8_S8_S9_S9_EESK_S10_SL_SM_SN_EUlS10_E1_NS1_11comp_targetILNS1_3genE5ELNS1_11target_archE942ELNS1_3gpuE9ELNS1_3repE0EEENS1_36merge_oddeven_config_static_selectorELNS0_4arch9wavefront6targetE0EEEvSM_.num_agpr, 0
	.set _ZN7rocprim17ROCPRIM_400000_NS6detail17trampoline_kernelINS0_14default_configENS1_38merge_sort_block_merge_config_selectorIlNS0_10empty_typeEEEZZNS1_27merge_sort_block_merge_implIS3_PlPS5_mZN2at6native12_GLOBAL__N_124unique_dim_cuda_templateIsEESt5tupleIJNSA_6TensorESF_SF_EERKSF_lbbbEUlllE_EE10hipError_tT0_T1_T2_jT3_P12ihipStream_tbPNSt15iterator_traitsISL_E10value_typeEPNSR_ISM_E10value_typeEPSN_NS1_7vsmem_tEENKUlT_SL_SM_SN_E_clIS8_S8_S9_S9_EESK_S10_SL_SM_SN_EUlS10_E1_NS1_11comp_targetILNS1_3genE5ELNS1_11target_archE942ELNS1_3gpuE9ELNS1_3repE0EEENS1_36merge_oddeven_config_static_selectorELNS0_4arch9wavefront6targetE0EEEvSM_.numbered_sgpr, 0
	.set _ZN7rocprim17ROCPRIM_400000_NS6detail17trampoline_kernelINS0_14default_configENS1_38merge_sort_block_merge_config_selectorIlNS0_10empty_typeEEEZZNS1_27merge_sort_block_merge_implIS3_PlPS5_mZN2at6native12_GLOBAL__N_124unique_dim_cuda_templateIsEESt5tupleIJNSA_6TensorESF_SF_EERKSF_lbbbEUlllE_EE10hipError_tT0_T1_T2_jT3_P12ihipStream_tbPNSt15iterator_traitsISL_E10value_typeEPNSR_ISM_E10value_typeEPSN_NS1_7vsmem_tEENKUlT_SL_SM_SN_E_clIS8_S8_S9_S9_EESK_S10_SL_SM_SN_EUlS10_E1_NS1_11comp_targetILNS1_3genE5ELNS1_11target_archE942ELNS1_3gpuE9ELNS1_3repE0EEENS1_36merge_oddeven_config_static_selectorELNS0_4arch9wavefront6targetE0EEEvSM_.num_named_barrier, 0
	.set _ZN7rocprim17ROCPRIM_400000_NS6detail17trampoline_kernelINS0_14default_configENS1_38merge_sort_block_merge_config_selectorIlNS0_10empty_typeEEEZZNS1_27merge_sort_block_merge_implIS3_PlPS5_mZN2at6native12_GLOBAL__N_124unique_dim_cuda_templateIsEESt5tupleIJNSA_6TensorESF_SF_EERKSF_lbbbEUlllE_EE10hipError_tT0_T1_T2_jT3_P12ihipStream_tbPNSt15iterator_traitsISL_E10value_typeEPNSR_ISM_E10value_typeEPSN_NS1_7vsmem_tEENKUlT_SL_SM_SN_E_clIS8_S8_S9_S9_EESK_S10_SL_SM_SN_EUlS10_E1_NS1_11comp_targetILNS1_3genE5ELNS1_11target_archE942ELNS1_3gpuE9ELNS1_3repE0EEENS1_36merge_oddeven_config_static_selectorELNS0_4arch9wavefront6targetE0EEEvSM_.private_seg_size, 0
	.set _ZN7rocprim17ROCPRIM_400000_NS6detail17trampoline_kernelINS0_14default_configENS1_38merge_sort_block_merge_config_selectorIlNS0_10empty_typeEEEZZNS1_27merge_sort_block_merge_implIS3_PlPS5_mZN2at6native12_GLOBAL__N_124unique_dim_cuda_templateIsEESt5tupleIJNSA_6TensorESF_SF_EERKSF_lbbbEUlllE_EE10hipError_tT0_T1_T2_jT3_P12ihipStream_tbPNSt15iterator_traitsISL_E10value_typeEPNSR_ISM_E10value_typeEPSN_NS1_7vsmem_tEENKUlT_SL_SM_SN_E_clIS8_S8_S9_S9_EESK_S10_SL_SM_SN_EUlS10_E1_NS1_11comp_targetILNS1_3genE5ELNS1_11target_archE942ELNS1_3gpuE9ELNS1_3repE0EEENS1_36merge_oddeven_config_static_selectorELNS0_4arch9wavefront6targetE0EEEvSM_.uses_vcc, 0
	.set _ZN7rocprim17ROCPRIM_400000_NS6detail17trampoline_kernelINS0_14default_configENS1_38merge_sort_block_merge_config_selectorIlNS0_10empty_typeEEEZZNS1_27merge_sort_block_merge_implIS3_PlPS5_mZN2at6native12_GLOBAL__N_124unique_dim_cuda_templateIsEESt5tupleIJNSA_6TensorESF_SF_EERKSF_lbbbEUlllE_EE10hipError_tT0_T1_T2_jT3_P12ihipStream_tbPNSt15iterator_traitsISL_E10value_typeEPNSR_ISM_E10value_typeEPSN_NS1_7vsmem_tEENKUlT_SL_SM_SN_E_clIS8_S8_S9_S9_EESK_S10_SL_SM_SN_EUlS10_E1_NS1_11comp_targetILNS1_3genE5ELNS1_11target_archE942ELNS1_3gpuE9ELNS1_3repE0EEENS1_36merge_oddeven_config_static_selectorELNS0_4arch9wavefront6targetE0EEEvSM_.uses_flat_scratch, 0
	.set _ZN7rocprim17ROCPRIM_400000_NS6detail17trampoline_kernelINS0_14default_configENS1_38merge_sort_block_merge_config_selectorIlNS0_10empty_typeEEEZZNS1_27merge_sort_block_merge_implIS3_PlPS5_mZN2at6native12_GLOBAL__N_124unique_dim_cuda_templateIsEESt5tupleIJNSA_6TensorESF_SF_EERKSF_lbbbEUlllE_EE10hipError_tT0_T1_T2_jT3_P12ihipStream_tbPNSt15iterator_traitsISL_E10value_typeEPNSR_ISM_E10value_typeEPSN_NS1_7vsmem_tEENKUlT_SL_SM_SN_E_clIS8_S8_S9_S9_EESK_S10_SL_SM_SN_EUlS10_E1_NS1_11comp_targetILNS1_3genE5ELNS1_11target_archE942ELNS1_3gpuE9ELNS1_3repE0EEENS1_36merge_oddeven_config_static_selectorELNS0_4arch9wavefront6targetE0EEEvSM_.has_dyn_sized_stack, 0
	.set _ZN7rocprim17ROCPRIM_400000_NS6detail17trampoline_kernelINS0_14default_configENS1_38merge_sort_block_merge_config_selectorIlNS0_10empty_typeEEEZZNS1_27merge_sort_block_merge_implIS3_PlPS5_mZN2at6native12_GLOBAL__N_124unique_dim_cuda_templateIsEESt5tupleIJNSA_6TensorESF_SF_EERKSF_lbbbEUlllE_EE10hipError_tT0_T1_T2_jT3_P12ihipStream_tbPNSt15iterator_traitsISL_E10value_typeEPNSR_ISM_E10value_typeEPSN_NS1_7vsmem_tEENKUlT_SL_SM_SN_E_clIS8_S8_S9_S9_EESK_S10_SL_SM_SN_EUlS10_E1_NS1_11comp_targetILNS1_3genE5ELNS1_11target_archE942ELNS1_3gpuE9ELNS1_3repE0EEENS1_36merge_oddeven_config_static_selectorELNS0_4arch9wavefront6targetE0EEEvSM_.has_recursion, 0
	.set _ZN7rocprim17ROCPRIM_400000_NS6detail17trampoline_kernelINS0_14default_configENS1_38merge_sort_block_merge_config_selectorIlNS0_10empty_typeEEEZZNS1_27merge_sort_block_merge_implIS3_PlPS5_mZN2at6native12_GLOBAL__N_124unique_dim_cuda_templateIsEESt5tupleIJNSA_6TensorESF_SF_EERKSF_lbbbEUlllE_EE10hipError_tT0_T1_T2_jT3_P12ihipStream_tbPNSt15iterator_traitsISL_E10value_typeEPNSR_ISM_E10value_typeEPSN_NS1_7vsmem_tEENKUlT_SL_SM_SN_E_clIS8_S8_S9_S9_EESK_S10_SL_SM_SN_EUlS10_E1_NS1_11comp_targetILNS1_3genE5ELNS1_11target_archE942ELNS1_3gpuE9ELNS1_3repE0EEENS1_36merge_oddeven_config_static_selectorELNS0_4arch9wavefront6targetE0EEEvSM_.has_indirect_call, 0
	.section	.AMDGPU.csdata,"",@progbits
; Kernel info:
; codeLenInByte = 0
; TotalNumSgprs: 0
; NumVgprs: 0
; ScratchSize: 0
; MemoryBound: 0
; FloatMode: 240
; IeeeMode: 1
; LDSByteSize: 0 bytes/workgroup (compile time only)
; SGPRBlocks: 0
; VGPRBlocks: 0
; NumSGPRsForWavesPerEU: 1
; NumVGPRsForWavesPerEU: 1
; NamedBarCnt: 0
; Occupancy: 16
; WaveLimiterHint : 0
; COMPUTE_PGM_RSRC2:SCRATCH_EN: 0
; COMPUTE_PGM_RSRC2:USER_SGPR: 2
; COMPUTE_PGM_RSRC2:TRAP_HANDLER: 0
; COMPUTE_PGM_RSRC2:TGID_X_EN: 1
; COMPUTE_PGM_RSRC2:TGID_Y_EN: 0
; COMPUTE_PGM_RSRC2:TGID_Z_EN: 0
; COMPUTE_PGM_RSRC2:TIDIG_COMP_CNT: 0
	.section	.text._ZN7rocprim17ROCPRIM_400000_NS6detail17trampoline_kernelINS0_14default_configENS1_38merge_sort_block_merge_config_selectorIlNS0_10empty_typeEEEZZNS1_27merge_sort_block_merge_implIS3_PlPS5_mZN2at6native12_GLOBAL__N_124unique_dim_cuda_templateIsEESt5tupleIJNSA_6TensorESF_SF_EERKSF_lbbbEUlllE_EE10hipError_tT0_T1_T2_jT3_P12ihipStream_tbPNSt15iterator_traitsISL_E10value_typeEPNSR_ISM_E10value_typeEPSN_NS1_7vsmem_tEENKUlT_SL_SM_SN_E_clIS8_S8_S9_S9_EESK_S10_SL_SM_SN_EUlS10_E1_NS1_11comp_targetILNS1_3genE4ELNS1_11target_archE910ELNS1_3gpuE8ELNS1_3repE0EEENS1_36merge_oddeven_config_static_selectorELNS0_4arch9wavefront6targetE0EEEvSM_,"axG",@progbits,_ZN7rocprim17ROCPRIM_400000_NS6detail17trampoline_kernelINS0_14default_configENS1_38merge_sort_block_merge_config_selectorIlNS0_10empty_typeEEEZZNS1_27merge_sort_block_merge_implIS3_PlPS5_mZN2at6native12_GLOBAL__N_124unique_dim_cuda_templateIsEESt5tupleIJNSA_6TensorESF_SF_EERKSF_lbbbEUlllE_EE10hipError_tT0_T1_T2_jT3_P12ihipStream_tbPNSt15iterator_traitsISL_E10value_typeEPNSR_ISM_E10value_typeEPSN_NS1_7vsmem_tEENKUlT_SL_SM_SN_E_clIS8_S8_S9_S9_EESK_S10_SL_SM_SN_EUlS10_E1_NS1_11comp_targetILNS1_3genE4ELNS1_11target_archE910ELNS1_3gpuE8ELNS1_3repE0EEENS1_36merge_oddeven_config_static_selectorELNS0_4arch9wavefront6targetE0EEEvSM_,comdat
	.globl	_ZN7rocprim17ROCPRIM_400000_NS6detail17trampoline_kernelINS0_14default_configENS1_38merge_sort_block_merge_config_selectorIlNS0_10empty_typeEEEZZNS1_27merge_sort_block_merge_implIS3_PlPS5_mZN2at6native12_GLOBAL__N_124unique_dim_cuda_templateIsEESt5tupleIJNSA_6TensorESF_SF_EERKSF_lbbbEUlllE_EE10hipError_tT0_T1_T2_jT3_P12ihipStream_tbPNSt15iterator_traitsISL_E10value_typeEPNSR_ISM_E10value_typeEPSN_NS1_7vsmem_tEENKUlT_SL_SM_SN_E_clIS8_S8_S9_S9_EESK_S10_SL_SM_SN_EUlS10_E1_NS1_11comp_targetILNS1_3genE4ELNS1_11target_archE910ELNS1_3gpuE8ELNS1_3repE0EEENS1_36merge_oddeven_config_static_selectorELNS0_4arch9wavefront6targetE0EEEvSM_ ; -- Begin function _ZN7rocprim17ROCPRIM_400000_NS6detail17trampoline_kernelINS0_14default_configENS1_38merge_sort_block_merge_config_selectorIlNS0_10empty_typeEEEZZNS1_27merge_sort_block_merge_implIS3_PlPS5_mZN2at6native12_GLOBAL__N_124unique_dim_cuda_templateIsEESt5tupleIJNSA_6TensorESF_SF_EERKSF_lbbbEUlllE_EE10hipError_tT0_T1_T2_jT3_P12ihipStream_tbPNSt15iterator_traitsISL_E10value_typeEPNSR_ISM_E10value_typeEPSN_NS1_7vsmem_tEENKUlT_SL_SM_SN_E_clIS8_S8_S9_S9_EESK_S10_SL_SM_SN_EUlS10_E1_NS1_11comp_targetILNS1_3genE4ELNS1_11target_archE910ELNS1_3gpuE8ELNS1_3repE0EEENS1_36merge_oddeven_config_static_selectorELNS0_4arch9wavefront6targetE0EEEvSM_
	.p2align	8
	.type	_ZN7rocprim17ROCPRIM_400000_NS6detail17trampoline_kernelINS0_14default_configENS1_38merge_sort_block_merge_config_selectorIlNS0_10empty_typeEEEZZNS1_27merge_sort_block_merge_implIS3_PlPS5_mZN2at6native12_GLOBAL__N_124unique_dim_cuda_templateIsEESt5tupleIJNSA_6TensorESF_SF_EERKSF_lbbbEUlllE_EE10hipError_tT0_T1_T2_jT3_P12ihipStream_tbPNSt15iterator_traitsISL_E10value_typeEPNSR_ISM_E10value_typeEPSN_NS1_7vsmem_tEENKUlT_SL_SM_SN_E_clIS8_S8_S9_S9_EESK_S10_SL_SM_SN_EUlS10_E1_NS1_11comp_targetILNS1_3genE4ELNS1_11target_archE910ELNS1_3gpuE8ELNS1_3repE0EEENS1_36merge_oddeven_config_static_selectorELNS0_4arch9wavefront6targetE0EEEvSM_,@function
_ZN7rocprim17ROCPRIM_400000_NS6detail17trampoline_kernelINS0_14default_configENS1_38merge_sort_block_merge_config_selectorIlNS0_10empty_typeEEEZZNS1_27merge_sort_block_merge_implIS3_PlPS5_mZN2at6native12_GLOBAL__N_124unique_dim_cuda_templateIsEESt5tupleIJNSA_6TensorESF_SF_EERKSF_lbbbEUlllE_EE10hipError_tT0_T1_T2_jT3_P12ihipStream_tbPNSt15iterator_traitsISL_E10value_typeEPNSR_ISM_E10value_typeEPSN_NS1_7vsmem_tEENKUlT_SL_SM_SN_E_clIS8_S8_S9_S9_EESK_S10_SL_SM_SN_EUlS10_E1_NS1_11comp_targetILNS1_3genE4ELNS1_11target_archE910ELNS1_3gpuE8ELNS1_3repE0EEENS1_36merge_oddeven_config_static_selectorELNS0_4arch9wavefront6targetE0EEEvSM_: ; @_ZN7rocprim17ROCPRIM_400000_NS6detail17trampoline_kernelINS0_14default_configENS1_38merge_sort_block_merge_config_selectorIlNS0_10empty_typeEEEZZNS1_27merge_sort_block_merge_implIS3_PlPS5_mZN2at6native12_GLOBAL__N_124unique_dim_cuda_templateIsEESt5tupleIJNSA_6TensorESF_SF_EERKSF_lbbbEUlllE_EE10hipError_tT0_T1_T2_jT3_P12ihipStream_tbPNSt15iterator_traitsISL_E10value_typeEPNSR_ISM_E10value_typeEPSN_NS1_7vsmem_tEENKUlT_SL_SM_SN_E_clIS8_S8_S9_S9_EESK_S10_SL_SM_SN_EUlS10_E1_NS1_11comp_targetILNS1_3genE4ELNS1_11target_archE910ELNS1_3gpuE8ELNS1_3repE0EEENS1_36merge_oddeven_config_static_selectorELNS0_4arch9wavefront6targetE0EEEvSM_
; %bb.0:
	.section	.rodata,"a",@progbits
	.p2align	6, 0x0
	.amdhsa_kernel _ZN7rocprim17ROCPRIM_400000_NS6detail17trampoline_kernelINS0_14default_configENS1_38merge_sort_block_merge_config_selectorIlNS0_10empty_typeEEEZZNS1_27merge_sort_block_merge_implIS3_PlPS5_mZN2at6native12_GLOBAL__N_124unique_dim_cuda_templateIsEESt5tupleIJNSA_6TensorESF_SF_EERKSF_lbbbEUlllE_EE10hipError_tT0_T1_T2_jT3_P12ihipStream_tbPNSt15iterator_traitsISL_E10value_typeEPNSR_ISM_E10value_typeEPSN_NS1_7vsmem_tEENKUlT_SL_SM_SN_E_clIS8_S8_S9_S9_EESK_S10_SL_SM_SN_EUlS10_E1_NS1_11comp_targetILNS1_3genE4ELNS1_11target_archE910ELNS1_3gpuE8ELNS1_3repE0EEENS1_36merge_oddeven_config_static_selectorELNS0_4arch9wavefront6targetE0EEEvSM_
		.amdhsa_group_segment_fixed_size 0
		.amdhsa_private_segment_fixed_size 0
		.amdhsa_kernarg_size 64
		.amdhsa_user_sgpr_count 2
		.amdhsa_user_sgpr_dispatch_ptr 0
		.amdhsa_user_sgpr_queue_ptr 0
		.amdhsa_user_sgpr_kernarg_segment_ptr 1
		.amdhsa_user_sgpr_dispatch_id 0
		.amdhsa_user_sgpr_kernarg_preload_length 0
		.amdhsa_user_sgpr_kernarg_preload_offset 0
		.amdhsa_user_sgpr_private_segment_size 0
		.amdhsa_wavefront_size32 1
		.amdhsa_uses_dynamic_stack 0
		.amdhsa_enable_private_segment 0
		.amdhsa_system_sgpr_workgroup_id_x 1
		.amdhsa_system_sgpr_workgroup_id_y 0
		.amdhsa_system_sgpr_workgroup_id_z 0
		.amdhsa_system_sgpr_workgroup_info 0
		.amdhsa_system_vgpr_workitem_id 0
		.amdhsa_next_free_vgpr 1
		.amdhsa_next_free_sgpr 1
		.amdhsa_named_barrier_count 0
		.amdhsa_reserve_vcc 0
		.amdhsa_float_round_mode_32 0
		.amdhsa_float_round_mode_16_64 0
		.amdhsa_float_denorm_mode_32 3
		.amdhsa_float_denorm_mode_16_64 3
		.amdhsa_fp16_overflow 0
		.amdhsa_memory_ordered 1
		.amdhsa_forward_progress 1
		.amdhsa_inst_pref_size 0
		.amdhsa_round_robin_scheduling 0
		.amdhsa_exception_fp_ieee_invalid_op 0
		.amdhsa_exception_fp_denorm_src 0
		.amdhsa_exception_fp_ieee_div_zero 0
		.amdhsa_exception_fp_ieee_overflow 0
		.amdhsa_exception_fp_ieee_underflow 0
		.amdhsa_exception_fp_ieee_inexact 0
		.amdhsa_exception_int_div_zero 0
	.end_amdhsa_kernel
	.section	.text._ZN7rocprim17ROCPRIM_400000_NS6detail17trampoline_kernelINS0_14default_configENS1_38merge_sort_block_merge_config_selectorIlNS0_10empty_typeEEEZZNS1_27merge_sort_block_merge_implIS3_PlPS5_mZN2at6native12_GLOBAL__N_124unique_dim_cuda_templateIsEESt5tupleIJNSA_6TensorESF_SF_EERKSF_lbbbEUlllE_EE10hipError_tT0_T1_T2_jT3_P12ihipStream_tbPNSt15iterator_traitsISL_E10value_typeEPNSR_ISM_E10value_typeEPSN_NS1_7vsmem_tEENKUlT_SL_SM_SN_E_clIS8_S8_S9_S9_EESK_S10_SL_SM_SN_EUlS10_E1_NS1_11comp_targetILNS1_3genE4ELNS1_11target_archE910ELNS1_3gpuE8ELNS1_3repE0EEENS1_36merge_oddeven_config_static_selectorELNS0_4arch9wavefront6targetE0EEEvSM_,"axG",@progbits,_ZN7rocprim17ROCPRIM_400000_NS6detail17trampoline_kernelINS0_14default_configENS1_38merge_sort_block_merge_config_selectorIlNS0_10empty_typeEEEZZNS1_27merge_sort_block_merge_implIS3_PlPS5_mZN2at6native12_GLOBAL__N_124unique_dim_cuda_templateIsEESt5tupleIJNSA_6TensorESF_SF_EERKSF_lbbbEUlllE_EE10hipError_tT0_T1_T2_jT3_P12ihipStream_tbPNSt15iterator_traitsISL_E10value_typeEPNSR_ISM_E10value_typeEPSN_NS1_7vsmem_tEENKUlT_SL_SM_SN_E_clIS8_S8_S9_S9_EESK_S10_SL_SM_SN_EUlS10_E1_NS1_11comp_targetILNS1_3genE4ELNS1_11target_archE910ELNS1_3gpuE8ELNS1_3repE0EEENS1_36merge_oddeven_config_static_selectorELNS0_4arch9wavefront6targetE0EEEvSM_,comdat
.Lfunc_end655:
	.size	_ZN7rocprim17ROCPRIM_400000_NS6detail17trampoline_kernelINS0_14default_configENS1_38merge_sort_block_merge_config_selectorIlNS0_10empty_typeEEEZZNS1_27merge_sort_block_merge_implIS3_PlPS5_mZN2at6native12_GLOBAL__N_124unique_dim_cuda_templateIsEESt5tupleIJNSA_6TensorESF_SF_EERKSF_lbbbEUlllE_EE10hipError_tT0_T1_T2_jT3_P12ihipStream_tbPNSt15iterator_traitsISL_E10value_typeEPNSR_ISM_E10value_typeEPSN_NS1_7vsmem_tEENKUlT_SL_SM_SN_E_clIS8_S8_S9_S9_EESK_S10_SL_SM_SN_EUlS10_E1_NS1_11comp_targetILNS1_3genE4ELNS1_11target_archE910ELNS1_3gpuE8ELNS1_3repE0EEENS1_36merge_oddeven_config_static_selectorELNS0_4arch9wavefront6targetE0EEEvSM_, .Lfunc_end655-_ZN7rocprim17ROCPRIM_400000_NS6detail17trampoline_kernelINS0_14default_configENS1_38merge_sort_block_merge_config_selectorIlNS0_10empty_typeEEEZZNS1_27merge_sort_block_merge_implIS3_PlPS5_mZN2at6native12_GLOBAL__N_124unique_dim_cuda_templateIsEESt5tupleIJNSA_6TensorESF_SF_EERKSF_lbbbEUlllE_EE10hipError_tT0_T1_T2_jT3_P12ihipStream_tbPNSt15iterator_traitsISL_E10value_typeEPNSR_ISM_E10value_typeEPSN_NS1_7vsmem_tEENKUlT_SL_SM_SN_E_clIS8_S8_S9_S9_EESK_S10_SL_SM_SN_EUlS10_E1_NS1_11comp_targetILNS1_3genE4ELNS1_11target_archE910ELNS1_3gpuE8ELNS1_3repE0EEENS1_36merge_oddeven_config_static_selectorELNS0_4arch9wavefront6targetE0EEEvSM_
                                        ; -- End function
	.set _ZN7rocprim17ROCPRIM_400000_NS6detail17trampoline_kernelINS0_14default_configENS1_38merge_sort_block_merge_config_selectorIlNS0_10empty_typeEEEZZNS1_27merge_sort_block_merge_implIS3_PlPS5_mZN2at6native12_GLOBAL__N_124unique_dim_cuda_templateIsEESt5tupleIJNSA_6TensorESF_SF_EERKSF_lbbbEUlllE_EE10hipError_tT0_T1_T2_jT3_P12ihipStream_tbPNSt15iterator_traitsISL_E10value_typeEPNSR_ISM_E10value_typeEPSN_NS1_7vsmem_tEENKUlT_SL_SM_SN_E_clIS8_S8_S9_S9_EESK_S10_SL_SM_SN_EUlS10_E1_NS1_11comp_targetILNS1_3genE4ELNS1_11target_archE910ELNS1_3gpuE8ELNS1_3repE0EEENS1_36merge_oddeven_config_static_selectorELNS0_4arch9wavefront6targetE0EEEvSM_.num_vgpr, 0
	.set _ZN7rocprim17ROCPRIM_400000_NS6detail17trampoline_kernelINS0_14default_configENS1_38merge_sort_block_merge_config_selectorIlNS0_10empty_typeEEEZZNS1_27merge_sort_block_merge_implIS3_PlPS5_mZN2at6native12_GLOBAL__N_124unique_dim_cuda_templateIsEESt5tupleIJNSA_6TensorESF_SF_EERKSF_lbbbEUlllE_EE10hipError_tT0_T1_T2_jT3_P12ihipStream_tbPNSt15iterator_traitsISL_E10value_typeEPNSR_ISM_E10value_typeEPSN_NS1_7vsmem_tEENKUlT_SL_SM_SN_E_clIS8_S8_S9_S9_EESK_S10_SL_SM_SN_EUlS10_E1_NS1_11comp_targetILNS1_3genE4ELNS1_11target_archE910ELNS1_3gpuE8ELNS1_3repE0EEENS1_36merge_oddeven_config_static_selectorELNS0_4arch9wavefront6targetE0EEEvSM_.num_agpr, 0
	.set _ZN7rocprim17ROCPRIM_400000_NS6detail17trampoline_kernelINS0_14default_configENS1_38merge_sort_block_merge_config_selectorIlNS0_10empty_typeEEEZZNS1_27merge_sort_block_merge_implIS3_PlPS5_mZN2at6native12_GLOBAL__N_124unique_dim_cuda_templateIsEESt5tupleIJNSA_6TensorESF_SF_EERKSF_lbbbEUlllE_EE10hipError_tT0_T1_T2_jT3_P12ihipStream_tbPNSt15iterator_traitsISL_E10value_typeEPNSR_ISM_E10value_typeEPSN_NS1_7vsmem_tEENKUlT_SL_SM_SN_E_clIS8_S8_S9_S9_EESK_S10_SL_SM_SN_EUlS10_E1_NS1_11comp_targetILNS1_3genE4ELNS1_11target_archE910ELNS1_3gpuE8ELNS1_3repE0EEENS1_36merge_oddeven_config_static_selectorELNS0_4arch9wavefront6targetE0EEEvSM_.numbered_sgpr, 0
	.set _ZN7rocprim17ROCPRIM_400000_NS6detail17trampoline_kernelINS0_14default_configENS1_38merge_sort_block_merge_config_selectorIlNS0_10empty_typeEEEZZNS1_27merge_sort_block_merge_implIS3_PlPS5_mZN2at6native12_GLOBAL__N_124unique_dim_cuda_templateIsEESt5tupleIJNSA_6TensorESF_SF_EERKSF_lbbbEUlllE_EE10hipError_tT0_T1_T2_jT3_P12ihipStream_tbPNSt15iterator_traitsISL_E10value_typeEPNSR_ISM_E10value_typeEPSN_NS1_7vsmem_tEENKUlT_SL_SM_SN_E_clIS8_S8_S9_S9_EESK_S10_SL_SM_SN_EUlS10_E1_NS1_11comp_targetILNS1_3genE4ELNS1_11target_archE910ELNS1_3gpuE8ELNS1_3repE0EEENS1_36merge_oddeven_config_static_selectorELNS0_4arch9wavefront6targetE0EEEvSM_.num_named_barrier, 0
	.set _ZN7rocprim17ROCPRIM_400000_NS6detail17trampoline_kernelINS0_14default_configENS1_38merge_sort_block_merge_config_selectorIlNS0_10empty_typeEEEZZNS1_27merge_sort_block_merge_implIS3_PlPS5_mZN2at6native12_GLOBAL__N_124unique_dim_cuda_templateIsEESt5tupleIJNSA_6TensorESF_SF_EERKSF_lbbbEUlllE_EE10hipError_tT0_T1_T2_jT3_P12ihipStream_tbPNSt15iterator_traitsISL_E10value_typeEPNSR_ISM_E10value_typeEPSN_NS1_7vsmem_tEENKUlT_SL_SM_SN_E_clIS8_S8_S9_S9_EESK_S10_SL_SM_SN_EUlS10_E1_NS1_11comp_targetILNS1_3genE4ELNS1_11target_archE910ELNS1_3gpuE8ELNS1_3repE0EEENS1_36merge_oddeven_config_static_selectorELNS0_4arch9wavefront6targetE0EEEvSM_.private_seg_size, 0
	.set _ZN7rocprim17ROCPRIM_400000_NS6detail17trampoline_kernelINS0_14default_configENS1_38merge_sort_block_merge_config_selectorIlNS0_10empty_typeEEEZZNS1_27merge_sort_block_merge_implIS3_PlPS5_mZN2at6native12_GLOBAL__N_124unique_dim_cuda_templateIsEESt5tupleIJNSA_6TensorESF_SF_EERKSF_lbbbEUlllE_EE10hipError_tT0_T1_T2_jT3_P12ihipStream_tbPNSt15iterator_traitsISL_E10value_typeEPNSR_ISM_E10value_typeEPSN_NS1_7vsmem_tEENKUlT_SL_SM_SN_E_clIS8_S8_S9_S9_EESK_S10_SL_SM_SN_EUlS10_E1_NS1_11comp_targetILNS1_3genE4ELNS1_11target_archE910ELNS1_3gpuE8ELNS1_3repE0EEENS1_36merge_oddeven_config_static_selectorELNS0_4arch9wavefront6targetE0EEEvSM_.uses_vcc, 0
	.set _ZN7rocprim17ROCPRIM_400000_NS6detail17trampoline_kernelINS0_14default_configENS1_38merge_sort_block_merge_config_selectorIlNS0_10empty_typeEEEZZNS1_27merge_sort_block_merge_implIS3_PlPS5_mZN2at6native12_GLOBAL__N_124unique_dim_cuda_templateIsEESt5tupleIJNSA_6TensorESF_SF_EERKSF_lbbbEUlllE_EE10hipError_tT0_T1_T2_jT3_P12ihipStream_tbPNSt15iterator_traitsISL_E10value_typeEPNSR_ISM_E10value_typeEPSN_NS1_7vsmem_tEENKUlT_SL_SM_SN_E_clIS8_S8_S9_S9_EESK_S10_SL_SM_SN_EUlS10_E1_NS1_11comp_targetILNS1_3genE4ELNS1_11target_archE910ELNS1_3gpuE8ELNS1_3repE0EEENS1_36merge_oddeven_config_static_selectorELNS0_4arch9wavefront6targetE0EEEvSM_.uses_flat_scratch, 0
	.set _ZN7rocprim17ROCPRIM_400000_NS6detail17trampoline_kernelINS0_14default_configENS1_38merge_sort_block_merge_config_selectorIlNS0_10empty_typeEEEZZNS1_27merge_sort_block_merge_implIS3_PlPS5_mZN2at6native12_GLOBAL__N_124unique_dim_cuda_templateIsEESt5tupleIJNSA_6TensorESF_SF_EERKSF_lbbbEUlllE_EE10hipError_tT0_T1_T2_jT3_P12ihipStream_tbPNSt15iterator_traitsISL_E10value_typeEPNSR_ISM_E10value_typeEPSN_NS1_7vsmem_tEENKUlT_SL_SM_SN_E_clIS8_S8_S9_S9_EESK_S10_SL_SM_SN_EUlS10_E1_NS1_11comp_targetILNS1_3genE4ELNS1_11target_archE910ELNS1_3gpuE8ELNS1_3repE0EEENS1_36merge_oddeven_config_static_selectorELNS0_4arch9wavefront6targetE0EEEvSM_.has_dyn_sized_stack, 0
	.set _ZN7rocprim17ROCPRIM_400000_NS6detail17trampoline_kernelINS0_14default_configENS1_38merge_sort_block_merge_config_selectorIlNS0_10empty_typeEEEZZNS1_27merge_sort_block_merge_implIS3_PlPS5_mZN2at6native12_GLOBAL__N_124unique_dim_cuda_templateIsEESt5tupleIJNSA_6TensorESF_SF_EERKSF_lbbbEUlllE_EE10hipError_tT0_T1_T2_jT3_P12ihipStream_tbPNSt15iterator_traitsISL_E10value_typeEPNSR_ISM_E10value_typeEPSN_NS1_7vsmem_tEENKUlT_SL_SM_SN_E_clIS8_S8_S9_S9_EESK_S10_SL_SM_SN_EUlS10_E1_NS1_11comp_targetILNS1_3genE4ELNS1_11target_archE910ELNS1_3gpuE8ELNS1_3repE0EEENS1_36merge_oddeven_config_static_selectorELNS0_4arch9wavefront6targetE0EEEvSM_.has_recursion, 0
	.set _ZN7rocprim17ROCPRIM_400000_NS6detail17trampoline_kernelINS0_14default_configENS1_38merge_sort_block_merge_config_selectorIlNS0_10empty_typeEEEZZNS1_27merge_sort_block_merge_implIS3_PlPS5_mZN2at6native12_GLOBAL__N_124unique_dim_cuda_templateIsEESt5tupleIJNSA_6TensorESF_SF_EERKSF_lbbbEUlllE_EE10hipError_tT0_T1_T2_jT3_P12ihipStream_tbPNSt15iterator_traitsISL_E10value_typeEPNSR_ISM_E10value_typeEPSN_NS1_7vsmem_tEENKUlT_SL_SM_SN_E_clIS8_S8_S9_S9_EESK_S10_SL_SM_SN_EUlS10_E1_NS1_11comp_targetILNS1_3genE4ELNS1_11target_archE910ELNS1_3gpuE8ELNS1_3repE0EEENS1_36merge_oddeven_config_static_selectorELNS0_4arch9wavefront6targetE0EEEvSM_.has_indirect_call, 0
	.section	.AMDGPU.csdata,"",@progbits
; Kernel info:
; codeLenInByte = 0
; TotalNumSgprs: 0
; NumVgprs: 0
; ScratchSize: 0
; MemoryBound: 0
; FloatMode: 240
; IeeeMode: 1
; LDSByteSize: 0 bytes/workgroup (compile time only)
; SGPRBlocks: 0
; VGPRBlocks: 0
; NumSGPRsForWavesPerEU: 1
; NumVGPRsForWavesPerEU: 1
; NamedBarCnt: 0
; Occupancy: 16
; WaveLimiterHint : 0
; COMPUTE_PGM_RSRC2:SCRATCH_EN: 0
; COMPUTE_PGM_RSRC2:USER_SGPR: 2
; COMPUTE_PGM_RSRC2:TRAP_HANDLER: 0
; COMPUTE_PGM_RSRC2:TGID_X_EN: 1
; COMPUTE_PGM_RSRC2:TGID_Y_EN: 0
; COMPUTE_PGM_RSRC2:TGID_Z_EN: 0
; COMPUTE_PGM_RSRC2:TIDIG_COMP_CNT: 0
	.section	.text._ZN7rocprim17ROCPRIM_400000_NS6detail17trampoline_kernelINS0_14default_configENS1_38merge_sort_block_merge_config_selectorIlNS0_10empty_typeEEEZZNS1_27merge_sort_block_merge_implIS3_PlPS5_mZN2at6native12_GLOBAL__N_124unique_dim_cuda_templateIsEESt5tupleIJNSA_6TensorESF_SF_EERKSF_lbbbEUlllE_EE10hipError_tT0_T1_T2_jT3_P12ihipStream_tbPNSt15iterator_traitsISL_E10value_typeEPNSR_ISM_E10value_typeEPSN_NS1_7vsmem_tEENKUlT_SL_SM_SN_E_clIS8_S8_S9_S9_EESK_S10_SL_SM_SN_EUlS10_E1_NS1_11comp_targetILNS1_3genE3ELNS1_11target_archE908ELNS1_3gpuE7ELNS1_3repE0EEENS1_36merge_oddeven_config_static_selectorELNS0_4arch9wavefront6targetE0EEEvSM_,"axG",@progbits,_ZN7rocprim17ROCPRIM_400000_NS6detail17trampoline_kernelINS0_14default_configENS1_38merge_sort_block_merge_config_selectorIlNS0_10empty_typeEEEZZNS1_27merge_sort_block_merge_implIS3_PlPS5_mZN2at6native12_GLOBAL__N_124unique_dim_cuda_templateIsEESt5tupleIJNSA_6TensorESF_SF_EERKSF_lbbbEUlllE_EE10hipError_tT0_T1_T2_jT3_P12ihipStream_tbPNSt15iterator_traitsISL_E10value_typeEPNSR_ISM_E10value_typeEPSN_NS1_7vsmem_tEENKUlT_SL_SM_SN_E_clIS8_S8_S9_S9_EESK_S10_SL_SM_SN_EUlS10_E1_NS1_11comp_targetILNS1_3genE3ELNS1_11target_archE908ELNS1_3gpuE7ELNS1_3repE0EEENS1_36merge_oddeven_config_static_selectorELNS0_4arch9wavefront6targetE0EEEvSM_,comdat
	.globl	_ZN7rocprim17ROCPRIM_400000_NS6detail17trampoline_kernelINS0_14default_configENS1_38merge_sort_block_merge_config_selectorIlNS0_10empty_typeEEEZZNS1_27merge_sort_block_merge_implIS3_PlPS5_mZN2at6native12_GLOBAL__N_124unique_dim_cuda_templateIsEESt5tupleIJNSA_6TensorESF_SF_EERKSF_lbbbEUlllE_EE10hipError_tT0_T1_T2_jT3_P12ihipStream_tbPNSt15iterator_traitsISL_E10value_typeEPNSR_ISM_E10value_typeEPSN_NS1_7vsmem_tEENKUlT_SL_SM_SN_E_clIS8_S8_S9_S9_EESK_S10_SL_SM_SN_EUlS10_E1_NS1_11comp_targetILNS1_3genE3ELNS1_11target_archE908ELNS1_3gpuE7ELNS1_3repE0EEENS1_36merge_oddeven_config_static_selectorELNS0_4arch9wavefront6targetE0EEEvSM_ ; -- Begin function _ZN7rocprim17ROCPRIM_400000_NS6detail17trampoline_kernelINS0_14default_configENS1_38merge_sort_block_merge_config_selectorIlNS0_10empty_typeEEEZZNS1_27merge_sort_block_merge_implIS3_PlPS5_mZN2at6native12_GLOBAL__N_124unique_dim_cuda_templateIsEESt5tupleIJNSA_6TensorESF_SF_EERKSF_lbbbEUlllE_EE10hipError_tT0_T1_T2_jT3_P12ihipStream_tbPNSt15iterator_traitsISL_E10value_typeEPNSR_ISM_E10value_typeEPSN_NS1_7vsmem_tEENKUlT_SL_SM_SN_E_clIS8_S8_S9_S9_EESK_S10_SL_SM_SN_EUlS10_E1_NS1_11comp_targetILNS1_3genE3ELNS1_11target_archE908ELNS1_3gpuE7ELNS1_3repE0EEENS1_36merge_oddeven_config_static_selectorELNS0_4arch9wavefront6targetE0EEEvSM_
	.p2align	8
	.type	_ZN7rocprim17ROCPRIM_400000_NS6detail17trampoline_kernelINS0_14default_configENS1_38merge_sort_block_merge_config_selectorIlNS0_10empty_typeEEEZZNS1_27merge_sort_block_merge_implIS3_PlPS5_mZN2at6native12_GLOBAL__N_124unique_dim_cuda_templateIsEESt5tupleIJNSA_6TensorESF_SF_EERKSF_lbbbEUlllE_EE10hipError_tT0_T1_T2_jT3_P12ihipStream_tbPNSt15iterator_traitsISL_E10value_typeEPNSR_ISM_E10value_typeEPSN_NS1_7vsmem_tEENKUlT_SL_SM_SN_E_clIS8_S8_S9_S9_EESK_S10_SL_SM_SN_EUlS10_E1_NS1_11comp_targetILNS1_3genE3ELNS1_11target_archE908ELNS1_3gpuE7ELNS1_3repE0EEENS1_36merge_oddeven_config_static_selectorELNS0_4arch9wavefront6targetE0EEEvSM_,@function
_ZN7rocprim17ROCPRIM_400000_NS6detail17trampoline_kernelINS0_14default_configENS1_38merge_sort_block_merge_config_selectorIlNS0_10empty_typeEEEZZNS1_27merge_sort_block_merge_implIS3_PlPS5_mZN2at6native12_GLOBAL__N_124unique_dim_cuda_templateIsEESt5tupleIJNSA_6TensorESF_SF_EERKSF_lbbbEUlllE_EE10hipError_tT0_T1_T2_jT3_P12ihipStream_tbPNSt15iterator_traitsISL_E10value_typeEPNSR_ISM_E10value_typeEPSN_NS1_7vsmem_tEENKUlT_SL_SM_SN_E_clIS8_S8_S9_S9_EESK_S10_SL_SM_SN_EUlS10_E1_NS1_11comp_targetILNS1_3genE3ELNS1_11target_archE908ELNS1_3gpuE7ELNS1_3repE0EEENS1_36merge_oddeven_config_static_selectorELNS0_4arch9wavefront6targetE0EEEvSM_: ; @_ZN7rocprim17ROCPRIM_400000_NS6detail17trampoline_kernelINS0_14default_configENS1_38merge_sort_block_merge_config_selectorIlNS0_10empty_typeEEEZZNS1_27merge_sort_block_merge_implIS3_PlPS5_mZN2at6native12_GLOBAL__N_124unique_dim_cuda_templateIsEESt5tupleIJNSA_6TensorESF_SF_EERKSF_lbbbEUlllE_EE10hipError_tT0_T1_T2_jT3_P12ihipStream_tbPNSt15iterator_traitsISL_E10value_typeEPNSR_ISM_E10value_typeEPSN_NS1_7vsmem_tEENKUlT_SL_SM_SN_E_clIS8_S8_S9_S9_EESK_S10_SL_SM_SN_EUlS10_E1_NS1_11comp_targetILNS1_3genE3ELNS1_11target_archE908ELNS1_3gpuE7ELNS1_3repE0EEENS1_36merge_oddeven_config_static_selectorELNS0_4arch9wavefront6targetE0EEEvSM_
; %bb.0:
	.section	.rodata,"a",@progbits
	.p2align	6, 0x0
	.amdhsa_kernel _ZN7rocprim17ROCPRIM_400000_NS6detail17trampoline_kernelINS0_14default_configENS1_38merge_sort_block_merge_config_selectorIlNS0_10empty_typeEEEZZNS1_27merge_sort_block_merge_implIS3_PlPS5_mZN2at6native12_GLOBAL__N_124unique_dim_cuda_templateIsEESt5tupleIJNSA_6TensorESF_SF_EERKSF_lbbbEUlllE_EE10hipError_tT0_T1_T2_jT3_P12ihipStream_tbPNSt15iterator_traitsISL_E10value_typeEPNSR_ISM_E10value_typeEPSN_NS1_7vsmem_tEENKUlT_SL_SM_SN_E_clIS8_S8_S9_S9_EESK_S10_SL_SM_SN_EUlS10_E1_NS1_11comp_targetILNS1_3genE3ELNS1_11target_archE908ELNS1_3gpuE7ELNS1_3repE0EEENS1_36merge_oddeven_config_static_selectorELNS0_4arch9wavefront6targetE0EEEvSM_
		.amdhsa_group_segment_fixed_size 0
		.amdhsa_private_segment_fixed_size 0
		.amdhsa_kernarg_size 64
		.amdhsa_user_sgpr_count 2
		.amdhsa_user_sgpr_dispatch_ptr 0
		.amdhsa_user_sgpr_queue_ptr 0
		.amdhsa_user_sgpr_kernarg_segment_ptr 1
		.amdhsa_user_sgpr_dispatch_id 0
		.amdhsa_user_sgpr_kernarg_preload_length 0
		.amdhsa_user_sgpr_kernarg_preload_offset 0
		.amdhsa_user_sgpr_private_segment_size 0
		.amdhsa_wavefront_size32 1
		.amdhsa_uses_dynamic_stack 0
		.amdhsa_enable_private_segment 0
		.amdhsa_system_sgpr_workgroup_id_x 1
		.amdhsa_system_sgpr_workgroup_id_y 0
		.amdhsa_system_sgpr_workgroup_id_z 0
		.amdhsa_system_sgpr_workgroup_info 0
		.amdhsa_system_vgpr_workitem_id 0
		.amdhsa_next_free_vgpr 1
		.amdhsa_next_free_sgpr 1
		.amdhsa_named_barrier_count 0
		.amdhsa_reserve_vcc 0
		.amdhsa_float_round_mode_32 0
		.amdhsa_float_round_mode_16_64 0
		.amdhsa_float_denorm_mode_32 3
		.amdhsa_float_denorm_mode_16_64 3
		.amdhsa_fp16_overflow 0
		.amdhsa_memory_ordered 1
		.amdhsa_forward_progress 1
		.amdhsa_inst_pref_size 0
		.amdhsa_round_robin_scheduling 0
		.amdhsa_exception_fp_ieee_invalid_op 0
		.amdhsa_exception_fp_denorm_src 0
		.amdhsa_exception_fp_ieee_div_zero 0
		.amdhsa_exception_fp_ieee_overflow 0
		.amdhsa_exception_fp_ieee_underflow 0
		.amdhsa_exception_fp_ieee_inexact 0
		.amdhsa_exception_int_div_zero 0
	.end_amdhsa_kernel
	.section	.text._ZN7rocprim17ROCPRIM_400000_NS6detail17trampoline_kernelINS0_14default_configENS1_38merge_sort_block_merge_config_selectorIlNS0_10empty_typeEEEZZNS1_27merge_sort_block_merge_implIS3_PlPS5_mZN2at6native12_GLOBAL__N_124unique_dim_cuda_templateIsEESt5tupleIJNSA_6TensorESF_SF_EERKSF_lbbbEUlllE_EE10hipError_tT0_T1_T2_jT3_P12ihipStream_tbPNSt15iterator_traitsISL_E10value_typeEPNSR_ISM_E10value_typeEPSN_NS1_7vsmem_tEENKUlT_SL_SM_SN_E_clIS8_S8_S9_S9_EESK_S10_SL_SM_SN_EUlS10_E1_NS1_11comp_targetILNS1_3genE3ELNS1_11target_archE908ELNS1_3gpuE7ELNS1_3repE0EEENS1_36merge_oddeven_config_static_selectorELNS0_4arch9wavefront6targetE0EEEvSM_,"axG",@progbits,_ZN7rocprim17ROCPRIM_400000_NS6detail17trampoline_kernelINS0_14default_configENS1_38merge_sort_block_merge_config_selectorIlNS0_10empty_typeEEEZZNS1_27merge_sort_block_merge_implIS3_PlPS5_mZN2at6native12_GLOBAL__N_124unique_dim_cuda_templateIsEESt5tupleIJNSA_6TensorESF_SF_EERKSF_lbbbEUlllE_EE10hipError_tT0_T1_T2_jT3_P12ihipStream_tbPNSt15iterator_traitsISL_E10value_typeEPNSR_ISM_E10value_typeEPSN_NS1_7vsmem_tEENKUlT_SL_SM_SN_E_clIS8_S8_S9_S9_EESK_S10_SL_SM_SN_EUlS10_E1_NS1_11comp_targetILNS1_3genE3ELNS1_11target_archE908ELNS1_3gpuE7ELNS1_3repE0EEENS1_36merge_oddeven_config_static_selectorELNS0_4arch9wavefront6targetE0EEEvSM_,comdat
.Lfunc_end656:
	.size	_ZN7rocprim17ROCPRIM_400000_NS6detail17trampoline_kernelINS0_14default_configENS1_38merge_sort_block_merge_config_selectorIlNS0_10empty_typeEEEZZNS1_27merge_sort_block_merge_implIS3_PlPS5_mZN2at6native12_GLOBAL__N_124unique_dim_cuda_templateIsEESt5tupleIJNSA_6TensorESF_SF_EERKSF_lbbbEUlllE_EE10hipError_tT0_T1_T2_jT3_P12ihipStream_tbPNSt15iterator_traitsISL_E10value_typeEPNSR_ISM_E10value_typeEPSN_NS1_7vsmem_tEENKUlT_SL_SM_SN_E_clIS8_S8_S9_S9_EESK_S10_SL_SM_SN_EUlS10_E1_NS1_11comp_targetILNS1_3genE3ELNS1_11target_archE908ELNS1_3gpuE7ELNS1_3repE0EEENS1_36merge_oddeven_config_static_selectorELNS0_4arch9wavefront6targetE0EEEvSM_, .Lfunc_end656-_ZN7rocprim17ROCPRIM_400000_NS6detail17trampoline_kernelINS0_14default_configENS1_38merge_sort_block_merge_config_selectorIlNS0_10empty_typeEEEZZNS1_27merge_sort_block_merge_implIS3_PlPS5_mZN2at6native12_GLOBAL__N_124unique_dim_cuda_templateIsEESt5tupleIJNSA_6TensorESF_SF_EERKSF_lbbbEUlllE_EE10hipError_tT0_T1_T2_jT3_P12ihipStream_tbPNSt15iterator_traitsISL_E10value_typeEPNSR_ISM_E10value_typeEPSN_NS1_7vsmem_tEENKUlT_SL_SM_SN_E_clIS8_S8_S9_S9_EESK_S10_SL_SM_SN_EUlS10_E1_NS1_11comp_targetILNS1_3genE3ELNS1_11target_archE908ELNS1_3gpuE7ELNS1_3repE0EEENS1_36merge_oddeven_config_static_selectorELNS0_4arch9wavefront6targetE0EEEvSM_
                                        ; -- End function
	.set _ZN7rocprim17ROCPRIM_400000_NS6detail17trampoline_kernelINS0_14default_configENS1_38merge_sort_block_merge_config_selectorIlNS0_10empty_typeEEEZZNS1_27merge_sort_block_merge_implIS3_PlPS5_mZN2at6native12_GLOBAL__N_124unique_dim_cuda_templateIsEESt5tupleIJNSA_6TensorESF_SF_EERKSF_lbbbEUlllE_EE10hipError_tT0_T1_T2_jT3_P12ihipStream_tbPNSt15iterator_traitsISL_E10value_typeEPNSR_ISM_E10value_typeEPSN_NS1_7vsmem_tEENKUlT_SL_SM_SN_E_clIS8_S8_S9_S9_EESK_S10_SL_SM_SN_EUlS10_E1_NS1_11comp_targetILNS1_3genE3ELNS1_11target_archE908ELNS1_3gpuE7ELNS1_3repE0EEENS1_36merge_oddeven_config_static_selectorELNS0_4arch9wavefront6targetE0EEEvSM_.num_vgpr, 0
	.set _ZN7rocprim17ROCPRIM_400000_NS6detail17trampoline_kernelINS0_14default_configENS1_38merge_sort_block_merge_config_selectorIlNS0_10empty_typeEEEZZNS1_27merge_sort_block_merge_implIS3_PlPS5_mZN2at6native12_GLOBAL__N_124unique_dim_cuda_templateIsEESt5tupleIJNSA_6TensorESF_SF_EERKSF_lbbbEUlllE_EE10hipError_tT0_T1_T2_jT3_P12ihipStream_tbPNSt15iterator_traitsISL_E10value_typeEPNSR_ISM_E10value_typeEPSN_NS1_7vsmem_tEENKUlT_SL_SM_SN_E_clIS8_S8_S9_S9_EESK_S10_SL_SM_SN_EUlS10_E1_NS1_11comp_targetILNS1_3genE3ELNS1_11target_archE908ELNS1_3gpuE7ELNS1_3repE0EEENS1_36merge_oddeven_config_static_selectorELNS0_4arch9wavefront6targetE0EEEvSM_.num_agpr, 0
	.set _ZN7rocprim17ROCPRIM_400000_NS6detail17trampoline_kernelINS0_14default_configENS1_38merge_sort_block_merge_config_selectorIlNS0_10empty_typeEEEZZNS1_27merge_sort_block_merge_implIS3_PlPS5_mZN2at6native12_GLOBAL__N_124unique_dim_cuda_templateIsEESt5tupleIJNSA_6TensorESF_SF_EERKSF_lbbbEUlllE_EE10hipError_tT0_T1_T2_jT3_P12ihipStream_tbPNSt15iterator_traitsISL_E10value_typeEPNSR_ISM_E10value_typeEPSN_NS1_7vsmem_tEENKUlT_SL_SM_SN_E_clIS8_S8_S9_S9_EESK_S10_SL_SM_SN_EUlS10_E1_NS1_11comp_targetILNS1_3genE3ELNS1_11target_archE908ELNS1_3gpuE7ELNS1_3repE0EEENS1_36merge_oddeven_config_static_selectorELNS0_4arch9wavefront6targetE0EEEvSM_.numbered_sgpr, 0
	.set _ZN7rocprim17ROCPRIM_400000_NS6detail17trampoline_kernelINS0_14default_configENS1_38merge_sort_block_merge_config_selectorIlNS0_10empty_typeEEEZZNS1_27merge_sort_block_merge_implIS3_PlPS5_mZN2at6native12_GLOBAL__N_124unique_dim_cuda_templateIsEESt5tupleIJNSA_6TensorESF_SF_EERKSF_lbbbEUlllE_EE10hipError_tT0_T1_T2_jT3_P12ihipStream_tbPNSt15iterator_traitsISL_E10value_typeEPNSR_ISM_E10value_typeEPSN_NS1_7vsmem_tEENKUlT_SL_SM_SN_E_clIS8_S8_S9_S9_EESK_S10_SL_SM_SN_EUlS10_E1_NS1_11comp_targetILNS1_3genE3ELNS1_11target_archE908ELNS1_3gpuE7ELNS1_3repE0EEENS1_36merge_oddeven_config_static_selectorELNS0_4arch9wavefront6targetE0EEEvSM_.num_named_barrier, 0
	.set _ZN7rocprim17ROCPRIM_400000_NS6detail17trampoline_kernelINS0_14default_configENS1_38merge_sort_block_merge_config_selectorIlNS0_10empty_typeEEEZZNS1_27merge_sort_block_merge_implIS3_PlPS5_mZN2at6native12_GLOBAL__N_124unique_dim_cuda_templateIsEESt5tupleIJNSA_6TensorESF_SF_EERKSF_lbbbEUlllE_EE10hipError_tT0_T1_T2_jT3_P12ihipStream_tbPNSt15iterator_traitsISL_E10value_typeEPNSR_ISM_E10value_typeEPSN_NS1_7vsmem_tEENKUlT_SL_SM_SN_E_clIS8_S8_S9_S9_EESK_S10_SL_SM_SN_EUlS10_E1_NS1_11comp_targetILNS1_3genE3ELNS1_11target_archE908ELNS1_3gpuE7ELNS1_3repE0EEENS1_36merge_oddeven_config_static_selectorELNS0_4arch9wavefront6targetE0EEEvSM_.private_seg_size, 0
	.set _ZN7rocprim17ROCPRIM_400000_NS6detail17trampoline_kernelINS0_14default_configENS1_38merge_sort_block_merge_config_selectorIlNS0_10empty_typeEEEZZNS1_27merge_sort_block_merge_implIS3_PlPS5_mZN2at6native12_GLOBAL__N_124unique_dim_cuda_templateIsEESt5tupleIJNSA_6TensorESF_SF_EERKSF_lbbbEUlllE_EE10hipError_tT0_T1_T2_jT3_P12ihipStream_tbPNSt15iterator_traitsISL_E10value_typeEPNSR_ISM_E10value_typeEPSN_NS1_7vsmem_tEENKUlT_SL_SM_SN_E_clIS8_S8_S9_S9_EESK_S10_SL_SM_SN_EUlS10_E1_NS1_11comp_targetILNS1_3genE3ELNS1_11target_archE908ELNS1_3gpuE7ELNS1_3repE0EEENS1_36merge_oddeven_config_static_selectorELNS0_4arch9wavefront6targetE0EEEvSM_.uses_vcc, 0
	.set _ZN7rocprim17ROCPRIM_400000_NS6detail17trampoline_kernelINS0_14default_configENS1_38merge_sort_block_merge_config_selectorIlNS0_10empty_typeEEEZZNS1_27merge_sort_block_merge_implIS3_PlPS5_mZN2at6native12_GLOBAL__N_124unique_dim_cuda_templateIsEESt5tupleIJNSA_6TensorESF_SF_EERKSF_lbbbEUlllE_EE10hipError_tT0_T1_T2_jT3_P12ihipStream_tbPNSt15iterator_traitsISL_E10value_typeEPNSR_ISM_E10value_typeEPSN_NS1_7vsmem_tEENKUlT_SL_SM_SN_E_clIS8_S8_S9_S9_EESK_S10_SL_SM_SN_EUlS10_E1_NS1_11comp_targetILNS1_3genE3ELNS1_11target_archE908ELNS1_3gpuE7ELNS1_3repE0EEENS1_36merge_oddeven_config_static_selectorELNS0_4arch9wavefront6targetE0EEEvSM_.uses_flat_scratch, 0
	.set _ZN7rocprim17ROCPRIM_400000_NS6detail17trampoline_kernelINS0_14default_configENS1_38merge_sort_block_merge_config_selectorIlNS0_10empty_typeEEEZZNS1_27merge_sort_block_merge_implIS3_PlPS5_mZN2at6native12_GLOBAL__N_124unique_dim_cuda_templateIsEESt5tupleIJNSA_6TensorESF_SF_EERKSF_lbbbEUlllE_EE10hipError_tT0_T1_T2_jT3_P12ihipStream_tbPNSt15iterator_traitsISL_E10value_typeEPNSR_ISM_E10value_typeEPSN_NS1_7vsmem_tEENKUlT_SL_SM_SN_E_clIS8_S8_S9_S9_EESK_S10_SL_SM_SN_EUlS10_E1_NS1_11comp_targetILNS1_3genE3ELNS1_11target_archE908ELNS1_3gpuE7ELNS1_3repE0EEENS1_36merge_oddeven_config_static_selectorELNS0_4arch9wavefront6targetE0EEEvSM_.has_dyn_sized_stack, 0
	.set _ZN7rocprim17ROCPRIM_400000_NS6detail17trampoline_kernelINS0_14default_configENS1_38merge_sort_block_merge_config_selectorIlNS0_10empty_typeEEEZZNS1_27merge_sort_block_merge_implIS3_PlPS5_mZN2at6native12_GLOBAL__N_124unique_dim_cuda_templateIsEESt5tupleIJNSA_6TensorESF_SF_EERKSF_lbbbEUlllE_EE10hipError_tT0_T1_T2_jT3_P12ihipStream_tbPNSt15iterator_traitsISL_E10value_typeEPNSR_ISM_E10value_typeEPSN_NS1_7vsmem_tEENKUlT_SL_SM_SN_E_clIS8_S8_S9_S9_EESK_S10_SL_SM_SN_EUlS10_E1_NS1_11comp_targetILNS1_3genE3ELNS1_11target_archE908ELNS1_3gpuE7ELNS1_3repE0EEENS1_36merge_oddeven_config_static_selectorELNS0_4arch9wavefront6targetE0EEEvSM_.has_recursion, 0
	.set _ZN7rocprim17ROCPRIM_400000_NS6detail17trampoline_kernelINS0_14default_configENS1_38merge_sort_block_merge_config_selectorIlNS0_10empty_typeEEEZZNS1_27merge_sort_block_merge_implIS3_PlPS5_mZN2at6native12_GLOBAL__N_124unique_dim_cuda_templateIsEESt5tupleIJNSA_6TensorESF_SF_EERKSF_lbbbEUlllE_EE10hipError_tT0_T1_T2_jT3_P12ihipStream_tbPNSt15iterator_traitsISL_E10value_typeEPNSR_ISM_E10value_typeEPSN_NS1_7vsmem_tEENKUlT_SL_SM_SN_E_clIS8_S8_S9_S9_EESK_S10_SL_SM_SN_EUlS10_E1_NS1_11comp_targetILNS1_3genE3ELNS1_11target_archE908ELNS1_3gpuE7ELNS1_3repE0EEENS1_36merge_oddeven_config_static_selectorELNS0_4arch9wavefront6targetE0EEEvSM_.has_indirect_call, 0
	.section	.AMDGPU.csdata,"",@progbits
; Kernel info:
; codeLenInByte = 0
; TotalNumSgprs: 0
; NumVgprs: 0
; ScratchSize: 0
; MemoryBound: 0
; FloatMode: 240
; IeeeMode: 1
; LDSByteSize: 0 bytes/workgroup (compile time only)
; SGPRBlocks: 0
; VGPRBlocks: 0
; NumSGPRsForWavesPerEU: 1
; NumVGPRsForWavesPerEU: 1
; NamedBarCnt: 0
; Occupancy: 16
; WaveLimiterHint : 0
; COMPUTE_PGM_RSRC2:SCRATCH_EN: 0
; COMPUTE_PGM_RSRC2:USER_SGPR: 2
; COMPUTE_PGM_RSRC2:TRAP_HANDLER: 0
; COMPUTE_PGM_RSRC2:TGID_X_EN: 1
; COMPUTE_PGM_RSRC2:TGID_Y_EN: 0
; COMPUTE_PGM_RSRC2:TGID_Z_EN: 0
; COMPUTE_PGM_RSRC2:TIDIG_COMP_CNT: 0
	.section	.text._ZN7rocprim17ROCPRIM_400000_NS6detail17trampoline_kernelINS0_14default_configENS1_38merge_sort_block_merge_config_selectorIlNS0_10empty_typeEEEZZNS1_27merge_sort_block_merge_implIS3_PlPS5_mZN2at6native12_GLOBAL__N_124unique_dim_cuda_templateIsEESt5tupleIJNSA_6TensorESF_SF_EERKSF_lbbbEUlllE_EE10hipError_tT0_T1_T2_jT3_P12ihipStream_tbPNSt15iterator_traitsISL_E10value_typeEPNSR_ISM_E10value_typeEPSN_NS1_7vsmem_tEENKUlT_SL_SM_SN_E_clIS8_S8_S9_S9_EESK_S10_SL_SM_SN_EUlS10_E1_NS1_11comp_targetILNS1_3genE2ELNS1_11target_archE906ELNS1_3gpuE6ELNS1_3repE0EEENS1_36merge_oddeven_config_static_selectorELNS0_4arch9wavefront6targetE0EEEvSM_,"axG",@progbits,_ZN7rocprim17ROCPRIM_400000_NS6detail17trampoline_kernelINS0_14default_configENS1_38merge_sort_block_merge_config_selectorIlNS0_10empty_typeEEEZZNS1_27merge_sort_block_merge_implIS3_PlPS5_mZN2at6native12_GLOBAL__N_124unique_dim_cuda_templateIsEESt5tupleIJNSA_6TensorESF_SF_EERKSF_lbbbEUlllE_EE10hipError_tT0_T1_T2_jT3_P12ihipStream_tbPNSt15iterator_traitsISL_E10value_typeEPNSR_ISM_E10value_typeEPSN_NS1_7vsmem_tEENKUlT_SL_SM_SN_E_clIS8_S8_S9_S9_EESK_S10_SL_SM_SN_EUlS10_E1_NS1_11comp_targetILNS1_3genE2ELNS1_11target_archE906ELNS1_3gpuE6ELNS1_3repE0EEENS1_36merge_oddeven_config_static_selectorELNS0_4arch9wavefront6targetE0EEEvSM_,comdat
	.globl	_ZN7rocprim17ROCPRIM_400000_NS6detail17trampoline_kernelINS0_14default_configENS1_38merge_sort_block_merge_config_selectorIlNS0_10empty_typeEEEZZNS1_27merge_sort_block_merge_implIS3_PlPS5_mZN2at6native12_GLOBAL__N_124unique_dim_cuda_templateIsEESt5tupleIJNSA_6TensorESF_SF_EERKSF_lbbbEUlllE_EE10hipError_tT0_T1_T2_jT3_P12ihipStream_tbPNSt15iterator_traitsISL_E10value_typeEPNSR_ISM_E10value_typeEPSN_NS1_7vsmem_tEENKUlT_SL_SM_SN_E_clIS8_S8_S9_S9_EESK_S10_SL_SM_SN_EUlS10_E1_NS1_11comp_targetILNS1_3genE2ELNS1_11target_archE906ELNS1_3gpuE6ELNS1_3repE0EEENS1_36merge_oddeven_config_static_selectorELNS0_4arch9wavefront6targetE0EEEvSM_ ; -- Begin function _ZN7rocprim17ROCPRIM_400000_NS6detail17trampoline_kernelINS0_14default_configENS1_38merge_sort_block_merge_config_selectorIlNS0_10empty_typeEEEZZNS1_27merge_sort_block_merge_implIS3_PlPS5_mZN2at6native12_GLOBAL__N_124unique_dim_cuda_templateIsEESt5tupleIJNSA_6TensorESF_SF_EERKSF_lbbbEUlllE_EE10hipError_tT0_T1_T2_jT3_P12ihipStream_tbPNSt15iterator_traitsISL_E10value_typeEPNSR_ISM_E10value_typeEPSN_NS1_7vsmem_tEENKUlT_SL_SM_SN_E_clIS8_S8_S9_S9_EESK_S10_SL_SM_SN_EUlS10_E1_NS1_11comp_targetILNS1_3genE2ELNS1_11target_archE906ELNS1_3gpuE6ELNS1_3repE0EEENS1_36merge_oddeven_config_static_selectorELNS0_4arch9wavefront6targetE0EEEvSM_
	.p2align	8
	.type	_ZN7rocprim17ROCPRIM_400000_NS6detail17trampoline_kernelINS0_14default_configENS1_38merge_sort_block_merge_config_selectorIlNS0_10empty_typeEEEZZNS1_27merge_sort_block_merge_implIS3_PlPS5_mZN2at6native12_GLOBAL__N_124unique_dim_cuda_templateIsEESt5tupleIJNSA_6TensorESF_SF_EERKSF_lbbbEUlllE_EE10hipError_tT0_T1_T2_jT3_P12ihipStream_tbPNSt15iterator_traitsISL_E10value_typeEPNSR_ISM_E10value_typeEPSN_NS1_7vsmem_tEENKUlT_SL_SM_SN_E_clIS8_S8_S9_S9_EESK_S10_SL_SM_SN_EUlS10_E1_NS1_11comp_targetILNS1_3genE2ELNS1_11target_archE906ELNS1_3gpuE6ELNS1_3repE0EEENS1_36merge_oddeven_config_static_selectorELNS0_4arch9wavefront6targetE0EEEvSM_,@function
_ZN7rocprim17ROCPRIM_400000_NS6detail17trampoline_kernelINS0_14default_configENS1_38merge_sort_block_merge_config_selectorIlNS0_10empty_typeEEEZZNS1_27merge_sort_block_merge_implIS3_PlPS5_mZN2at6native12_GLOBAL__N_124unique_dim_cuda_templateIsEESt5tupleIJNSA_6TensorESF_SF_EERKSF_lbbbEUlllE_EE10hipError_tT0_T1_T2_jT3_P12ihipStream_tbPNSt15iterator_traitsISL_E10value_typeEPNSR_ISM_E10value_typeEPSN_NS1_7vsmem_tEENKUlT_SL_SM_SN_E_clIS8_S8_S9_S9_EESK_S10_SL_SM_SN_EUlS10_E1_NS1_11comp_targetILNS1_3genE2ELNS1_11target_archE906ELNS1_3gpuE6ELNS1_3repE0EEENS1_36merge_oddeven_config_static_selectorELNS0_4arch9wavefront6targetE0EEEvSM_: ; @_ZN7rocprim17ROCPRIM_400000_NS6detail17trampoline_kernelINS0_14default_configENS1_38merge_sort_block_merge_config_selectorIlNS0_10empty_typeEEEZZNS1_27merge_sort_block_merge_implIS3_PlPS5_mZN2at6native12_GLOBAL__N_124unique_dim_cuda_templateIsEESt5tupleIJNSA_6TensorESF_SF_EERKSF_lbbbEUlllE_EE10hipError_tT0_T1_T2_jT3_P12ihipStream_tbPNSt15iterator_traitsISL_E10value_typeEPNSR_ISM_E10value_typeEPSN_NS1_7vsmem_tEENKUlT_SL_SM_SN_E_clIS8_S8_S9_S9_EESK_S10_SL_SM_SN_EUlS10_E1_NS1_11comp_targetILNS1_3genE2ELNS1_11target_archE906ELNS1_3gpuE6ELNS1_3repE0EEENS1_36merge_oddeven_config_static_selectorELNS0_4arch9wavefront6targetE0EEEvSM_
; %bb.0:
	.section	.rodata,"a",@progbits
	.p2align	6, 0x0
	.amdhsa_kernel _ZN7rocprim17ROCPRIM_400000_NS6detail17trampoline_kernelINS0_14default_configENS1_38merge_sort_block_merge_config_selectorIlNS0_10empty_typeEEEZZNS1_27merge_sort_block_merge_implIS3_PlPS5_mZN2at6native12_GLOBAL__N_124unique_dim_cuda_templateIsEESt5tupleIJNSA_6TensorESF_SF_EERKSF_lbbbEUlllE_EE10hipError_tT0_T1_T2_jT3_P12ihipStream_tbPNSt15iterator_traitsISL_E10value_typeEPNSR_ISM_E10value_typeEPSN_NS1_7vsmem_tEENKUlT_SL_SM_SN_E_clIS8_S8_S9_S9_EESK_S10_SL_SM_SN_EUlS10_E1_NS1_11comp_targetILNS1_3genE2ELNS1_11target_archE906ELNS1_3gpuE6ELNS1_3repE0EEENS1_36merge_oddeven_config_static_selectorELNS0_4arch9wavefront6targetE0EEEvSM_
		.amdhsa_group_segment_fixed_size 0
		.amdhsa_private_segment_fixed_size 0
		.amdhsa_kernarg_size 64
		.amdhsa_user_sgpr_count 2
		.amdhsa_user_sgpr_dispatch_ptr 0
		.amdhsa_user_sgpr_queue_ptr 0
		.amdhsa_user_sgpr_kernarg_segment_ptr 1
		.amdhsa_user_sgpr_dispatch_id 0
		.amdhsa_user_sgpr_kernarg_preload_length 0
		.amdhsa_user_sgpr_kernarg_preload_offset 0
		.amdhsa_user_sgpr_private_segment_size 0
		.amdhsa_wavefront_size32 1
		.amdhsa_uses_dynamic_stack 0
		.amdhsa_enable_private_segment 0
		.amdhsa_system_sgpr_workgroup_id_x 1
		.amdhsa_system_sgpr_workgroup_id_y 0
		.amdhsa_system_sgpr_workgroup_id_z 0
		.amdhsa_system_sgpr_workgroup_info 0
		.amdhsa_system_vgpr_workitem_id 0
		.amdhsa_next_free_vgpr 1
		.amdhsa_next_free_sgpr 1
		.amdhsa_named_barrier_count 0
		.amdhsa_reserve_vcc 0
		.amdhsa_float_round_mode_32 0
		.amdhsa_float_round_mode_16_64 0
		.amdhsa_float_denorm_mode_32 3
		.amdhsa_float_denorm_mode_16_64 3
		.amdhsa_fp16_overflow 0
		.amdhsa_memory_ordered 1
		.amdhsa_forward_progress 1
		.amdhsa_inst_pref_size 0
		.amdhsa_round_robin_scheduling 0
		.amdhsa_exception_fp_ieee_invalid_op 0
		.amdhsa_exception_fp_denorm_src 0
		.amdhsa_exception_fp_ieee_div_zero 0
		.amdhsa_exception_fp_ieee_overflow 0
		.amdhsa_exception_fp_ieee_underflow 0
		.amdhsa_exception_fp_ieee_inexact 0
		.amdhsa_exception_int_div_zero 0
	.end_amdhsa_kernel
	.section	.text._ZN7rocprim17ROCPRIM_400000_NS6detail17trampoline_kernelINS0_14default_configENS1_38merge_sort_block_merge_config_selectorIlNS0_10empty_typeEEEZZNS1_27merge_sort_block_merge_implIS3_PlPS5_mZN2at6native12_GLOBAL__N_124unique_dim_cuda_templateIsEESt5tupleIJNSA_6TensorESF_SF_EERKSF_lbbbEUlllE_EE10hipError_tT0_T1_T2_jT3_P12ihipStream_tbPNSt15iterator_traitsISL_E10value_typeEPNSR_ISM_E10value_typeEPSN_NS1_7vsmem_tEENKUlT_SL_SM_SN_E_clIS8_S8_S9_S9_EESK_S10_SL_SM_SN_EUlS10_E1_NS1_11comp_targetILNS1_3genE2ELNS1_11target_archE906ELNS1_3gpuE6ELNS1_3repE0EEENS1_36merge_oddeven_config_static_selectorELNS0_4arch9wavefront6targetE0EEEvSM_,"axG",@progbits,_ZN7rocprim17ROCPRIM_400000_NS6detail17trampoline_kernelINS0_14default_configENS1_38merge_sort_block_merge_config_selectorIlNS0_10empty_typeEEEZZNS1_27merge_sort_block_merge_implIS3_PlPS5_mZN2at6native12_GLOBAL__N_124unique_dim_cuda_templateIsEESt5tupleIJNSA_6TensorESF_SF_EERKSF_lbbbEUlllE_EE10hipError_tT0_T1_T2_jT3_P12ihipStream_tbPNSt15iterator_traitsISL_E10value_typeEPNSR_ISM_E10value_typeEPSN_NS1_7vsmem_tEENKUlT_SL_SM_SN_E_clIS8_S8_S9_S9_EESK_S10_SL_SM_SN_EUlS10_E1_NS1_11comp_targetILNS1_3genE2ELNS1_11target_archE906ELNS1_3gpuE6ELNS1_3repE0EEENS1_36merge_oddeven_config_static_selectorELNS0_4arch9wavefront6targetE0EEEvSM_,comdat
.Lfunc_end657:
	.size	_ZN7rocprim17ROCPRIM_400000_NS6detail17trampoline_kernelINS0_14default_configENS1_38merge_sort_block_merge_config_selectorIlNS0_10empty_typeEEEZZNS1_27merge_sort_block_merge_implIS3_PlPS5_mZN2at6native12_GLOBAL__N_124unique_dim_cuda_templateIsEESt5tupleIJNSA_6TensorESF_SF_EERKSF_lbbbEUlllE_EE10hipError_tT0_T1_T2_jT3_P12ihipStream_tbPNSt15iterator_traitsISL_E10value_typeEPNSR_ISM_E10value_typeEPSN_NS1_7vsmem_tEENKUlT_SL_SM_SN_E_clIS8_S8_S9_S9_EESK_S10_SL_SM_SN_EUlS10_E1_NS1_11comp_targetILNS1_3genE2ELNS1_11target_archE906ELNS1_3gpuE6ELNS1_3repE0EEENS1_36merge_oddeven_config_static_selectorELNS0_4arch9wavefront6targetE0EEEvSM_, .Lfunc_end657-_ZN7rocprim17ROCPRIM_400000_NS6detail17trampoline_kernelINS0_14default_configENS1_38merge_sort_block_merge_config_selectorIlNS0_10empty_typeEEEZZNS1_27merge_sort_block_merge_implIS3_PlPS5_mZN2at6native12_GLOBAL__N_124unique_dim_cuda_templateIsEESt5tupleIJNSA_6TensorESF_SF_EERKSF_lbbbEUlllE_EE10hipError_tT0_T1_T2_jT3_P12ihipStream_tbPNSt15iterator_traitsISL_E10value_typeEPNSR_ISM_E10value_typeEPSN_NS1_7vsmem_tEENKUlT_SL_SM_SN_E_clIS8_S8_S9_S9_EESK_S10_SL_SM_SN_EUlS10_E1_NS1_11comp_targetILNS1_3genE2ELNS1_11target_archE906ELNS1_3gpuE6ELNS1_3repE0EEENS1_36merge_oddeven_config_static_selectorELNS0_4arch9wavefront6targetE0EEEvSM_
                                        ; -- End function
	.set _ZN7rocprim17ROCPRIM_400000_NS6detail17trampoline_kernelINS0_14default_configENS1_38merge_sort_block_merge_config_selectorIlNS0_10empty_typeEEEZZNS1_27merge_sort_block_merge_implIS3_PlPS5_mZN2at6native12_GLOBAL__N_124unique_dim_cuda_templateIsEESt5tupleIJNSA_6TensorESF_SF_EERKSF_lbbbEUlllE_EE10hipError_tT0_T1_T2_jT3_P12ihipStream_tbPNSt15iterator_traitsISL_E10value_typeEPNSR_ISM_E10value_typeEPSN_NS1_7vsmem_tEENKUlT_SL_SM_SN_E_clIS8_S8_S9_S9_EESK_S10_SL_SM_SN_EUlS10_E1_NS1_11comp_targetILNS1_3genE2ELNS1_11target_archE906ELNS1_3gpuE6ELNS1_3repE0EEENS1_36merge_oddeven_config_static_selectorELNS0_4arch9wavefront6targetE0EEEvSM_.num_vgpr, 0
	.set _ZN7rocprim17ROCPRIM_400000_NS6detail17trampoline_kernelINS0_14default_configENS1_38merge_sort_block_merge_config_selectorIlNS0_10empty_typeEEEZZNS1_27merge_sort_block_merge_implIS3_PlPS5_mZN2at6native12_GLOBAL__N_124unique_dim_cuda_templateIsEESt5tupleIJNSA_6TensorESF_SF_EERKSF_lbbbEUlllE_EE10hipError_tT0_T1_T2_jT3_P12ihipStream_tbPNSt15iterator_traitsISL_E10value_typeEPNSR_ISM_E10value_typeEPSN_NS1_7vsmem_tEENKUlT_SL_SM_SN_E_clIS8_S8_S9_S9_EESK_S10_SL_SM_SN_EUlS10_E1_NS1_11comp_targetILNS1_3genE2ELNS1_11target_archE906ELNS1_3gpuE6ELNS1_3repE0EEENS1_36merge_oddeven_config_static_selectorELNS0_4arch9wavefront6targetE0EEEvSM_.num_agpr, 0
	.set _ZN7rocprim17ROCPRIM_400000_NS6detail17trampoline_kernelINS0_14default_configENS1_38merge_sort_block_merge_config_selectorIlNS0_10empty_typeEEEZZNS1_27merge_sort_block_merge_implIS3_PlPS5_mZN2at6native12_GLOBAL__N_124unique_dim_cuda_templateIsEESt5tupleIJNSA_6TensorESF_SF_EERKSF_lbbbEUlllE_EE10hipError_tT0_T1_T2_jT3_P12ihipStream_tbPNSt15iterator_traitsISL_E10value_typeEPNSR_ISM_E10value_typeEPSN_NS1_7vsmem_tEENKUlT_SL_SM_SN_E_clIS8_S8_S9_S9_EESK_S10_SL_SM_SN_EUlS10_E1_NS1_11comp_targetILNS1_3genE2ELNS1_11target_archE906ELNS1_3gpuE6ELNS1_3repE0EEENS1_36merge_oddeven_config_static_selectorELNS0_4arch9wavefront6targetE0EEEvSM_.numbered_sgpr, 0
	.set _ZN7rocprim17ROCPRIM_400000_NS6detail17trampoline_kernelINS0_14default_configENS1_38merge_sort_block_merge_config_selectorIlNS0_10empty_typeEEEZZNS1_27merge_sort_block_merge_implIS3_PlPS5_mZN2at6native12_GLOBAL__N_124unique_dim_cuda_templateIsEESt5tupleIJNSA_6TensorESF_SF_EERKSF_lbbbEUlllE_EE10hipError_tT0_T1_T2_jT3_P12ihipStream_tbPNSt15iterator_traitsISL_E10value_typeEPNSR_ISM_E10value_typeEPSN_NS1_7vsmem_tEENKUlT_SL_SM_SN_E_clIS8_S8_S9_S9_EESK_S10_SL_SM_SN_EUlS10_E1_NS1_11comp_targetILNS1_3genE2ELNS1_11target_archE906ELNS1_3gpuE6ELNS1_3repE0EEENS1_36merge_oddeven_config_static_selectorELNS0_4arch9wavefront6targetE0EEEvSM_.num_named_barrier, 0
	.set _ZN7rocprim17ROCPRIM_400000_NS6detail17trampoline_kernelINS0_14default_configENS1_38merge_sort_block_merge_config_selectorIlNS0_10empty_typeEEEZZNS1_27merge_sort_block_merge_implIS3_PlPS5_mZN2at6native12_GLOBAL__N_124unique_dim_cuda_templateIsEESt5tupleIJNSA_6TensorESF_SF_EERKSF_lbbbEUlllE_EE10hipError_tT0_T1_T2_jT3_P12ihipStream_tbPNSt15iterator_traitsISL_E10value_typeEPNSR_ISM_E10value_typeEPSN_NS1_7vsmem_tEENKUlT_SL_SM_SN_E_clIS8_S8_S9_S9_EESK_S10_SL_SM_SN_EUlS10_E1_NS1_11comp_targetILNS1_3genE2ELNS1_11target_archE906ELNS1_3gpuE6ELNS1_3repE0EEENS1_36merge_oddeven_config_static_selectorELNS0_4arch9wavefront6targetE0EEEvSM_.private_seg_size, 0
	.set _ZN7rocprim17ROCPRIM_400000_NS6detail17trampoline_kernelINS0_14default_configENS1_38merge_sort_block_merge_config_selectorIlNS0_10empty_typeEEEZZNS1_27merge_sort_block_merge_implIS3_PlPS5_mZN2at6native12_GLOBAL__N_124unique_dim_cuda_templateIsEESt5tupleIJNSA_6TensorESF_SF_EERKSF_lbbbEUlllE_EE10hipError_tT0_T1_T2_jT3_P12ihipStream_tbPNSt15iterator_traitsISL_E10value_typeEPNSR_ISM_E10value_typeEPSN_NS1_7vsmem_tEENKUlT_SL_SM_SN_E_clIS8_S8_S9_S9_EESK_S10_SL_SM_SN_EUlS10_E1_NS1_11comp_targetILNS1_3genE2ELNS1_11target_archE906ELNS1_3gpuE6ELNS1_3repE0EEENS1_36merge_oddeven_config_static_selectorELNS0_4arch9wavefront6targetE0EEEvSM_.uses_vcc, 0
	.set _ZN7rocprim17ROCPRIM_400000_NS6detail17trampoline_kernelINS0_14default_configENS1_38merge_sort_block_merge_config_selectorIlNS0_10empty_typeEEEZZNS1_27merge_sort_block_merge_implIS3_PlPS5_mZN2at6native12_GLOBAL__N_124unique_dim_cuda_templateIsEESt5tupleIJNSA_6TensorESF_SF_EERKSF_lbbbEUlllE_EE10hipError_tT0_T1_T2_jT3_P12ihipStream_tbPNSt15iterator_traitsISL_E10value_typeEPNSR_ISM_E10value_typeEPSN_NS1_7vsmem_tEENKUlT_SL_SM_SN_E_clIS8_S8_S9_S9_EESK_S10_SL_SM_SN_EUlS10_E1_NS1_11comp_targetILNS1_3genE2ELNS1_11target_archE906ELNS1_3gpuE6ELNS1_3repE0EEENS1_36merge_oddeven_config_static_selectorELNS0_4arch9wavefront6targetE0EEEvSM_.uses_flat_scratch, 0
	.set _ZN7rocprim17ROCPRIM_400000_NS6detail17trampoline_kernelINS0_14default_configENS1_38merge_sort_block_merge_config_selectorIlNS0_10empty_typeEEEZZNS1_27merge_sort_block_merge_implIS3_PlPS5_mZN2at6native12_GLOBAL__N_124unique_dim_cuda_templateIsEESt5tupleIJNSA_6TensorESF_SF_EERKSF_lbbbEUlllE_EE10hipError_tT0_T1_T2_jT3_P12ihipStream_tbPNSt15iterator_traitsISL_E10value_typeEPNSR_ISM_E10value_typeEPSN_NS1_7vsmem_tEENKUlT_SL_SM_SN_E_clIS8_S8_S9_S9_EESK_S10_SL_SM_SN_EUlS10_E1_NS1_11comp_targetILNS1_3genE2ELNS1_11target_archE906ELNS1_3gpuE6ELNS1_3repE0EEENS1_36merge_oddeven_config_static_selectorELNS0_4arch9wavefront6targetE0EEEvSM_.has_dyn_sized_stack, 0
	.set _ZN7rocprim17ROCPRIM_400000_NS6detail17trampoline_kernelINS0_14default_configENS1_38merge_sort_block_merge_config_selectorIlNS0_10empty_typeEEEZZNS1_27merge_sort_block_merge_implIS3_PlPS5_mZN2at6native12_GLOBAL__N_124unique_dim_cuda_templateIsEESt5tupleIJNSA_6TensorESF_SF_EERKSF_lbbbEUlllE_EE10hipError_tT0_T1_T2_jT3_P12ihipStream_tbPNSt15iterator_traitsISL_E10value_typeEPNSR_ISM_E10value_typeEPSN_NS1_7vsmem_tEENKUlT_SL_SM_SN_E_clIS8_S8_S9_S9_EESK_S10_SL_SM_SN_EUlS10_E1_NS1_11comp_targetILNS1_3genE2ELNS1_11target_archE906ELNS1_3gpuE6ELNS1_3repE0EEENS1_36merge_oddeven_config_static_selectorELNS0_4arch9wavefront6targetE0EEEvSM_.has_recursion, 0
	.set _ZN7rocprim17ROCPRIM_400000_NS6detail17trampoline_kernelINS0_14default_configENS1_38merge_sort_block_merge_config_selectorIlNS0_10empty_typeEEEZZNS1_27merge_sort_block_merge_implIS3_PlPS5_mZN2at6native12_GLOBAL__N_124unique_dim_cuda_templateIsEESt5tupleIJNSA_6TensorESF_SF_EERKSF_lbbbEUlllE_EE10hipError_tT0_T1_T2_jT3_P12ihipStream_tbPNSt15iterator_traitsISL_E10value_typeEPNSR_ISM_E10value_typeEPSN_NS1_7vsmem_tEENKUlT_SL_SM_SN_E_clIS8_S8_S9_S9_EESK_S10_SL_SM_SN_EUlS10_E1_NS1_11comp_targetILNS1_3genE2ELNS1_11target_archE906ELNS1_3gpuE6ELNS1_3repE0EEENS1_36merge_oddeven_config_static_selectorELNS0_4arch9wavefront6targetE0EEEvSM_.has_indirect_call, 0
	.section	.AMDGPU.csdata,"",@progbits
; Kernel info:
; codeLenInByte = 0
; TotalNumSgprs: 0
; NumVgprs: 0
; ScratchSize: 0
; MemoryBound: 0
; FloatMode: 240
; IeeeMode: 1
; LDSByteSize: 0 bytes/workgroup (compile time only)
; SGPRBlocks: 0
; VGPRBlocks: 0
; NumSGPRsForWavesPerEU: 1
; NumVGPRsForWavesPerEU: 1
; NamedBarCnt: 0
; Occupancy: 16
; WaveLimiterHint : 0
; COMPUTE_PGM_RSRC2:SCRATCH_EN: 0
; COMPUTE_PGM_RSRC2:USER_SGPR: 2
; COMPUTE_PGM_RSRC2:TRAP_HANDLER: 0
; COMPUTE_PGM_RSRC2:TGID_X_EN: 1
; COMPUTE_PGM_RSRC2:TGID_Y_EN: 0
; COMPUTE_PGM_RSRC2:TGID_Z_EN: 0
; COMPUTE_PGM_RSRC2:TIDIG_COMP_CNT: 0
	.section	.text._ZN7rocprim17ROCPRIM_400000_NS6detail17trampoline_kernelINS0_14default_configENS1_38merge_sort_block_merge_config_selectorIlNS0_10empty_typeEEEZZNS1_27merge_sort_block_merge_implIS3_PlPS5_mZN2at6native12_GLOBAL__N_124unique_dim_cuda_templateIsEESt5tupleIJNSA_6TensorESF_SF_EERKSF_lbbbEUlllE_EE10hipError_tT0_T1_T2_jT3_P12ihipStream_tbPNSt15iterator_traitsISL_E10value_typeEPNSR_ISM_E10value_typeEPSN_NS1_7vsmem_tEENKUlT_SL_SM_SN_E_clIS8_S8_S9_S9_EESK_S10_SL_SM_SN_EUlS10_E1_NS1_11comp_targetILNS1_3genE9ELNS1_11target_archE1100ELNS1_3gpuE3ELNS1_3repE0EEENS1_36merge_oddeven_config_static_selectorELNS0_4arch9wavefront6targetE0EEEvSM_,"axG",@progbits,_ZN7rocprim17ROCPRIM_400000_NS6detail17trampoline_kernelINS0_14default_configENS1_38merge_sort_block_merge_config_selectorIlNS0_10empty_typeEEEZZNS1_27merge_sort_block_merge_implIS3_PlPS5_mZN2at6native12_GLOBAL__N_124unique_dim_cuda_templateIsEESt5tupleIJNSA_6TensorESF_SF_EERKSF_lbbbEUlllE_EE10hipError_tT0_T1_T2_jT3_P12ihipStream_tbPNSt15iterator_traitsISL_E10value_typeEPNSR_ISM_E10value_typeEPSN_NS1_7vsmem_tEENKUlT_SL_SM_SN_E_clIS8_S8_S9_S9_EESK_S10_SL_SM_SN_EUlS10_E1_NS1_11comp_targetILNS1_3genE9ELNS1_11target_archE1100ELNS1_3gpuE3ELNS1_3repE0EEENS1_36merge_oddeven_config_static_selectorELNS0_4arch9wavefront6targetE0EEEvSM_,comdat
	.globl	_ZN7rocprim17ROCPRIM_400000_NS6detail17trampoline_kernelINS0_14default_configENS1_38merge_sort_block_merge_config_selectorIlNS0_10empty_typeEEEZZNS1_27merge_sort_block_merge_implIS3_PlPS5_mZN2at6native12_GLOBAL__N_124unique_dim_cuda_templateIsEESt5tupleIJNSA_6TensorESF_SF_EERKSF_lbbbEUlllE_EE10hipError_tT0_T1_T2_jT3_P12ihipStream_tbPNSt15iterator_traitsISL_E10value_typeEPNSR_ISM_E10value_typeEPSN_NS1_7vsmem_tEENKUlT_SL_SM_SN_E_clIS8_S8_S9_S9_EESK_S10_SL_SM_SN_EUlS10_E1_NS1_11comp_targetILNS1_3genE9ELNS1_11target_archE1100ELNS1_3gpuE3ELNS1_3repE0EEENS1_36merge_oddeven_config_static_selectorELNS0_4arch9wavefront6targetE0EEEvSM_ ; -- Begin function _ZN7rocprim17ROCPRIM_400000_NS6detail17trampoline_kernelINS0_14default_configENS1_38merge_sort_block_merge_config_selectorIlNS0_10empty_typeEEEZZNS1_27merge_sort_block_merge_implIS3_PlPS5_mZN2at6native12_GLOBAL__N_124unique_dim_cuda_templateIsEESt5tupleIJNSA_6TensorESF_SF_EERKSF_lbbbEUlllE_EE10hipError_tT0_T1_T2_jT3_P12ihipStream_tbPNSt15iterator_traitsISL_E10value_typeEPNSR_ISM_E10value_typeEPSN_NS1_7vsmem_tEENKUlT_SL_SM_SN_E_clIS8_S8_S9_S9_EESK_S10_SL_SM_SN_EUlS10_E1_NS1_11comp_targetILNS1_3genE9ELNS1_11target_archE1100ELNS1_3gpuE3ELNS1_3repE0EEENS1_36merge_oddeven_config_static_selectorELNS0_4arch9wavefront6targetE0EEEvSM_
	.p2align	8
	.type	_ZN7rocprim17ROCPRIM_400000_NS6detail17trampoline_kernelINS0_14default_configENS1_38merge_sort_block_merge_config_selectorIlNS0_10empty_typeEEEZZNS1_27merge_sort_block_merge_implIS3_PlPS5_mZN2at6native12_GLOBAL__N_124unique_dim_cuda_templateIsEESt5tupleIJNSA_6TensorESF_SF_EERKSF_lbbbEUlllE_EE10hipError_tT0_T1_T2_jT3_P12ihipStream_tbPNSt15iterator_traitsISL_E10value_typeEPNSR_ISM_E10value_typeEPSN_NS1_7vsmem_tEENKUlT_SL_SM_SN_E_clIS8_S8_S9_S9_EESK_S10_SL_SM_SN_EUlS10_E1_NS1_11comp_targetILNS1_3genE9ELNS1_11target_archE1100ELNS1_3gpuE3ELNS1_3repE0EEENS1_36merge_oddeven_config_static_selectorELNS0_4arch9wavefront6targetE0EEEvSM_,@function
_ZN7rocprim17ROCPRIM_400000_NS6detail17trampoline_kernelINS0_14default_configENS1_38merge_sort_block_merge_config_selectorIlNS0_10empty_typeEEEZZNS1_27merge_sort_block_merge_implIS3_PlPS5_mZN2at6native12_GLOBAL__N_124unique_dim_cuda_templateIsEESt5tupleIJNSA_6TensorESF_SF_EERKSF_lbbbEUlllE_EE10hipError_tT0_T1_T2_jT3_P12ihipStream_tbPNSt15iterator_traitsISL_E10value_typeEPNSR_ISM_E10value_typeEPSN_NS1_7vsmem_tEENKUlT_SL_SM_SN_E_clIS8_S8_S9_S9_EESK_S10_SL_SM_SN_EUlS10_E1_NS1_11comp_targetILNS1_3genE9ELNS1_11target_archE1100ELNS1_3gpuE3ELNS1_3repE0EEENS1_36merge_oddeven_config_static_selectorELNS0_4arch9wavefront6targetE0EEEvSM_: ; @_ZN7rocprim17ROCPRIM_400000_NS6detail17trampoline_kernelINS0_14default_configENS1_38merge_sort_block_merge_config_selectorIlNS0_10empty_typeEEEZZNS1_27merge_sort_block_merge_implIS3_PlPS5_mZN2at6native12_GLOBAL__N_124unique_dim_cuda_templateIsEESt5tupleIJNSA_6TensorESF_SF_EERKSF_lbbbEUlllE_EE10hipError_tT0_T1_T2_jT3_P12ihipStream_tbPNSt15iterator_traitsISL_E10value_typeEPNSR_ISM_E10value_typeEPSN_NS1_7vsmem_tEENKUlT_SL_SM_SN_E_clIS8_S8_S9_S9_EESK_S10_SL_SM_SN_EUlS10_E1_NS1_11comp_targetILNS1_3genE9ELNS1_11target_archE1100ELNS1_3gpuE3ELNS1_3repE0EEENS1_36merge_oddeven_config_static_selectorELNS0_4arch9wavefront6targetE0EEEvSM_
; %bb.0:
	.section	.rodata,"a",@progbits
	.p2align	6, 0x0
	.amdhsa_kernel _ZN7rocprim17ROCPRIM_400000_NS6detail17trampoline_kernelINS0_14default_configENS1_38merge_sort_block_merge_config_selectorIlNS0_10empty_typeEEEZZNS1_27merge_sort_block_merge_implIS3_PlPS5_mZN2at6native12_GLOBAL__N_124unique_dim_cuda_templateIsEESt5tupleIJNSA_6TensorESF_SF_EERKSF_lbbbEUlllE_EE10hipError_tT0_T1_T2_jT3_P12ihipStream_tbPNSt15iterator_traitsISL_E10value_typeEPNSR_ISM_E10value_typeEPSN_NS1_7vsmem_tEENKUlT_SL_SM_SN_E_clIS8_S8_S9_S9_EESK_S10_SL_SM_SN_EUlS10_E1_NS1_11comp_targetILNS1_3genE9ELNS1_11target_archE1100ELNS1_3gpuE3ELNS1_3repE0EEENS1_36merge_oddeven_config_static_selectorELNS0_4arch9wavefront6targetE0EEEvSM_
		.amdhsa_group_segment_fixed_size 0
		.amdhsa_private_segment_fixed_size 0
		.amdhsa_kernarg_size 64
		.amdhsa_user_sgpr_count 2
		.amdhsa_user_sgpr_dispatch_ptr 0
		.amdhsa_user_sgpr_queue_ptr 0
		.amdhsa_user_sgpr_kernarg_segment_ptr 1
		.amdhsa_user_sgpr_dispatch_id 0
		.amdhsa_user_sgpr_kernarg_preload_length 0
		.amdhsa_user_sgpr_kernarg_preload_offset 0
		.amdhsa_user_sgpr_private_segment_size 0
		.amdhsa_wavefront_size32 1
		.amdhsa_uses_dynamic_stack 0
		.amdhsa_enable_private_segment 0
		.amdhsa_system_sgpr_workgroup_id_x 1
		.amdhsa_system_sgpr_workgroup_id_y 0
		.amdhsa_system_sgpr_workgroup_id_z 0
		.amdhsa_system_sgpr_workgroup_info 0
		.amdhsa_system_vgpr_workitem_id 0
		.amdhsa_next_free_vgpr 1
		.amdhsa_next_free_sgpr 1
		.amdhsa_named_barrier_count 0
		.amdhsa_reserve_vcc 0
		.amdhsa_float_round_mode_32 0
		.amdhsa_float_round_mode_16_64 0
		.amdhsa_float_denorm_mode_32 3
		.amdhsa_float_denorm_mode_16_64 3
		.amdhsa_fp16_overflow 0
		.amdhsa_memory_ordered 1
		.amdhsa_forward_progress 1
		.amdhsa_inst_pref_size 0
		.amdhsa_round_robin_scheduling 0
		.amdhsa_exception_fp_ieee_invalid_op 0
		.amdhsa_exception_fp_denorm_src 0
		.amdhsa_exception_fp_ieee_div_zero 0
		.amdhsa_exception_fp_ieee_overflow 0
		.amdhsa_exception_fp_ieee_underflow 0
		.amdhsa_exception_fp_ieee_inexact 0
		.amdhsa_exception_int_div_zero 0
	.end_amdhsa_kernel
	.section	.text._ZN7rocprim17ROCPRIM_400000_NS6detail17trampoline_kernelINS0_14default_configENS1_38merge_sort_block_merge_config_selectorIlNS0_10empty_typeEEEZZNS1_27merge_sort_block_merge_implIS3_PlPS5_mZN2at6native12_GLOBAL__N_124unique_dim_cuda_templateIsEESt5tupleIJNSA_6TensorESF_SF_EERKSF_lbbbEUlllE_EE10hipError_tT0_T1_T2_jT3_P12ihipStream_tbPNSt15iterator_traitsISL_E10value_typeEPNSR_ISM_E10value_typeEPSN_NS1_7vsmem_tEENKUlT_SL_SM_SN_E_clIS8_S8_S9_S9_EESK_S10_SL_SM_SN_EUlS10_E1_NS1_11comp_targetILNS1_3genE9ELNS1_11target_archE1100ELNS1_3gpuE3ELNS1_3repE0EEENS1_36merge_oddeven_config_static_selectorELNS0_4arch9wavefront6targetE0EEEvSM_,"axG",@progbits,_ZN7rocprim17ROCPRIM_400000_NS6detail17trampoline_kernelINS0_14default_configENS1_38merge_sort_block_merge_config_selectorIlNS0_10empty_typeEEEZZNS1_27merge_sort_block_merge_implIS3_PlPS5_mZN2at6native12_GLOBAL__N_124unique_dim_cuda_templateIsEESt5tupleIJNSA_6TensorESF_SF_EERKSF_lbbbEUlllE_EE10hipError_tT0_T1_T2_jT3_P12ihipStream_tbPNSt15iterator_traitsISL_E10value_typeEPNSR_ISM_E10value_typeEPSN_NS1_7vsmem_tEENKUlT_SL_SM_SN_E_clIS8_S8_S9_S9_EESK_S10_SL_SM_SN_EUlS10_E1_NS1_11comp_targetILNS1_3genE9ELNS1_11target_archE1100ELNS1_3gpuE3ELNS1_3repE0EEENS1_36merge_oddeven_config_static_selectorELNS0_4arch9wavefront6targetE0EEEvSM_,comdat
.Lfunc_end658:
	.size	_ZN7rocprim17ROCPRIM_400000_NS6detail17trampoline_kernelINS0_14default_configENS1_38merge_sort_block_merge_config_selectorIlNS0_10empty_typeEEEZZNS1_27merge_sort_block_merge_implIS3_PlPS5_mZN2at6native12_GLOBAL__N_124unique_dim_cuda_templateIsEESt5tupleIJNSA_6TensorESF_SF_EERKSF_lbbbEUlllE_EE10hipError_tT0_T1_T2_jT3_P12ihipStream_tbPNSt15iterator_traitsISL_E10value_typeEPNSR_ISM_E10value_typeEPSN_NS1_7vsmem_tEENKUlT_SL_SM_SN_E_clIS8_S8_S9_S9_EESK_S10_SL_SM_SN_EUlS10_E1_NS1_11comp_targetILNS1_3genE9ELNS1_11target_archE1100ELNS1_3gpuE3ELNS1_3repE0EEENS1_36merge_oddeven_config_static_selectorELNS0_4arch9wavefront6targetE0EEEvSM_, .Lfunc_end658-_ZN7rocprim17ROCPRIM_400000_NS6detail17trampoline_kernelINS0_14default_configENS1_38merge_sort_block_merge_config_selectorIlNS0_10empty_typeEEEZZNS1_27merge_sort_block_merge_implIS3_PlPS5_mZN2at6native12_GLOBAL__N_124unique_dim_cuda_templateIsEESt5tupleIJNSA_6TensorESF_SF_EERKSF_lbbbEUlllE_EE10hipError_tT0_T1_T2_jT3_P12ihipStream_tbPNSt15iterator_traitsISL_E10value_typeEPNSR_ISM_E10value_typeEPSN_NS1_7vsmem_tEENKUlT_SL_SM_SN_E_clIS8_S8_S9_S9_EESK_S10_SL_SM_SN_EUlS10_E1_NS1_11comp_targetILNS1_3genE9ELNS1_11target_archE1100ELNS1_3gpuE3ELNS1_3repE0EEENS1_36merge_oddeven_config_static_selectorELNS0_4arch9wavefront6targetE0EEEvSM_
                                        ; -- End function
	.set _ZN7rocprim17ROCPRIM_400000_NS6detail17trampoline_kernelINS0_14default_configENS1_38merge_sort_block_merge_config_selectorIlNS0_10empty_typeEEEZZNS1_27merge_sort_block_merge_implIS3_PlPS5_mZN2at6native12_GLOBAL__N_124unique_dim_cuda_templateIsEESt5tupleIJNSA_6TensorESF_SF_EERKSF_lbbbEUlllE_EE10hipError_tT0_T1_T2_jT3_P12ihipStream_tbPNSt15iterator_traitsISL_E10value_typeEPNSR_ISM_E10value_typeEPSN_NS1_7vsmem_tEENKUlT_SL_SM_SN_E_clIS8_S8_S9_S9_EESK_S10_SL_SM_SN_EUlS10_E1_NS1_11comp_targetILNS1_3genE9ELNS1_11target_archE1100ELNS1_3gpuE3ELNS1_3repE0EEENS1_36merge_oddeven_config_static_selectorELNS0_4arch9wavefront6targetE0EEEvSM_.num_vgpr, 0
	.set _ZN7rocprim17ROCPRIM_400000_NS6detail17trampoline_kernelINS0_14default_configENS1_38merge_sort_block_merge_config_selectorIlNS0_10empty_typeEEEZZNS1_27merge_sort_block_merge_implIS3_PlPS5_mZN2at6native12_GLOBAL__N_124unique_dim_cuda_templateIsEESt5tupleIJNSA_6TensorESF_SF_EERKSF_lbbbEUlllE_EE10hipError_tT0_T1_T2_jT3_P12ihipStream_tbPNSt15iterator_traitsISL_E10value_typeEPNSR_ISM_E10value_typeEPSN_NS1_7vsmem_tEENKUlT_SL_SM_SN_E_clIS8_S8_S9_S9_EESK_S10_SL_SM_SN_EUlS10_E1_NS1_11comp_targetILNS1_3genE9ELNS1_11target_archE1100ELNS1_3gpuE3ELNS1_3repE0EEENS1_36merge_oddeven_config_static_selectorELNS0_4arch9wavefront6targetE0EEEvSM_.num_agpr, 0
	.set _ZN7rocprim17ROCPRIM_400000_NS6detail17trampoline_kernelINS0_14default_configENS1_38merge_sort_block_merge_config_selectorIlNS0_10empty_typeEEEZZNS1_27merge_sort_block_merge_implIS3_PlPS5_mZN2at6native12_GLOBAL__N_124unique_dim_cuda_templateIsEESt5tupleIJNSA_6TensorESF_SF_EERKSF_lbbbEUlllE_EE10hipError_tT0_T1_T2_jT3_P12ihipStream_tbPNSt15iterator_traitsISL_E10value_typeEPNSR_ISM_E10value_typeEPSN_NS1_7vsmem_tEENKUlT_SL_SM_SN_E_clIS8_S8_S9_S9_EESK_S10_SL_SM_SN_EUlS10_E1_NS1_11comp_targetILNS1_3genE9ELNS1_11target_archE1100ELNS1_3gpuE3ELNS1_3repE0EEENS1_36merge_oddeven_config_static_selectorELNS0_4arch9wavefront6targetE0EEEvSM_.numbered_sgpr, 0
	.set _ZN7rocprim17ROCPRIM_400000_NS6detail17trampoline_kernelINS0_14default_configENS1_38merge_sort_block_merge_config_selectorIlNS0_10empty_typeEEEZZNS1_27merge_sort_block_merge_implIS3_PlPS5_mZN2at6native12_GLOBAL__N_124unique_dim_cuda_templateIsEESt5tupleIJNSA_6TensorESF_SF_EERKSF_lbbbEUlllE_EE10hipError_tT0_T1_T2_jT3_P12ihipStream_tbPNSt15iterator_traitsISL_E10value_typeEPNSR_ISM_E10value_typeEPSN_NS1_7vsmem_tEENKUlT_SL_SM_SN_E_clIS8_S8_S9_S9_EESK_S10_SL_SM_SN_EUlS10_E1_NS1_11comp_targetILNS1_3genE9ELNS1_11target_archE1100ELNS1_3gpuE3ELNS1_3repE0EEENS1_36merge_oddeven_config_static_selectorELNS0_4arch9wavefront6targetE0EEEvSM_.num_named_barrier, 0
	.set _ZN7rocprim17ROCPRIM_400000_NS6detail17trampoline_kernelINS0_14default_configENS1_38merge_sort_block_merge_config_selectorIlNS0_10empty_typeEEEZZNS1_27merge_sort_block_merge_implIS3_PlPS5_mZN2at6native12_GLOBAL__N_124unique_dim_cuda_templateIsEESt5tupleIJNSA_6TensorESF_SF_EERKSF_lbbbEUlllE_EE10hipError_tT0_T1_T2_jT3_P12ihipStream_tbPNSt15iterator_traitsISL_E10value_typeEPNSR_ISM_E10value_typeEPSN_NS1_7vsmem_tEENKUlT_SL_SM_SN_E_clIS8_S8_S9_S9_EESK_S10_SL_SM_SN_EUlS10_E1_NS1_11comp_targetILNS1_3genE9ELNS1_11target_archE1100ELNS1_3gpuE3ELNS1_3repE0EEENS1_36merge_oddeven_config_static_selectorELNS0_4arch9wavefront6targetE0EEEvSM_.private_seg_size, 0
	.set _ZN7rocprim17ROCPRIM_400000_NS6detail17trampoline_kernelINS0_14default_configENS1_38merge_sort_block_merge_config_selectorIlNS0_10empty_typeEEEZZNS1_27merge_sort_block_merge_implIS3_PlPS5_mZN2at6native12_GLOBAL__N_124unique_dim_cuda_templateIsEESt5tupleIJNSA_6TensorESF_SF_EERKSF_lbbbEUlllE_EE10hipError_tT0_T1_T2_jT3_P12ihipStream_tbPNSt15iterator_traitsISL_E10value_typeEPNSR_ISM_E10value_typeEPSN_NS1_7vsmem_tEENKUlT_SL_SM_SN_E_clIS8_S8_S9_S9_EESK_S10_SL_SM_SN_EUlS10_E1_NS1_11comp_targetILNS1_3genE9ELNS1_11target_archE1100ELNS1_3gpuE3ELNS1_3repE0EEENS1_36merge_oddeven_config_static_selectorELNS0_4arch9wavefront6targetE0EEEvSM_.uses_vcc, 0
	.set _ZN7rocprim17ROCPRIM_400000_NS6detail17trampoline_kernelINS0_14default_configENS1_38merge_sort_block_merge_config_selectorIlNS0_10empty_typeEEEZZNS1_27merge_sort_block_merge_implIS3_PlPS5_mZN2at6native12_GLOBAL__N_124unique_dim_cuda_templateIsEESt5tupleIJNSA_6TensorESF_SF_EERKSF_lbbbEUlllE_EE10hipError_tT0_T1_T2_jT3_P12ihipStream_tbPNSt15iterator_traitsISL_E10value_typeEPNSR_ISM_E10value_typeEPSN_NS1_7vsmem_tEENKUlT_SL_SM_SN_E_clIS8_S8_S9_S9_EESK_S10_SL_SM_SN_EUlS10_E1_NS1_11comp_targetILNS1_3genE9ELNS1_11target_archE1100ELNS1_3gpuE3ELNS1_3repE0EEENS1_36merge_oddeven_config_static_selectorELNS0_4arch9wavefront6targetE0EEEvSM_.uses_flat_scratch, 0
	.set _ZN7rocprim17ROCPRIM_400000_NS6detail17trampoline_kernelINS0_14default_configENS1_38merge_sort_block_merge_config_selectorIlNS0_10empty_typeEEEZZNS1_27merge_sort_block_merge_implIS3_PlPS5_mZN2at6native12_GLOBAL__N_124unique_dim_cuda_templateIsEESt5tupleIJNSA_6TensorESF_SF_EERKSF_lbbbEUlllE_EE10hipError_tT0_T1_T2_jT3_P12ihipStream_tbPNSt15iterator_traitsISL_E10value_typeEPNSR_ISM_E10value_typeEPSN_NS1_7vsmem_tEENKUlT_SL_SM_SN_E_clIS8_S8_S9_S9_EESK_S10_SL_SM_SN_EUlS10_E1_NS1_11comp_targetILNS1_3genE9ELNS1_11target_archE1100ELNS1_3gpuE3ELNS1_3repE0EEENS1_36merge_oddeven_config_static_selectorELNS0_4arch9wavefront6targetE0EEEvSM_.has_dyn_sized_stack, 0
	.set _ZN7rocprim17ROCPRIM_400000_NS6detail17trampoline_kernelINS0_14default_configENS1_38merge_sort_block_merge_config_selectorIlNS0_10empty_typeEEEZZNS1_27merge_sort_block_merge_implIS3_PlPS5_mZN2at6native12_GLOBAL__N_124unique_dim_cuda_templateIsEESt5tupleIJNSA_6TensorESF_SF_EERKSF_lbbbEUlllE_EE10hipError_tT0_T1_T2_jT3_P12ihipStream_tbPNSt15iterator_traitsISL_E10value_typeEPNSR_ISM_E10value_typeEPSN_NS1_7vsmem_tEENKUlT_SL_SM_SN_E_clIS8_S8_S9_S9_EESK_S10_SL_SM_SN_EUlS10_E1_NS1_11comp_targetILNS1_3genE9ELNS1_11target_archE1100ELNS1_3gpuE3ELNS1_3repE0EEENS1_36merge_oddeven_config_static_selectorELNS0_4arch9wavefront6targetE0EEEvSM_.has_recursion, 0
	.set _ZN7rocprim17ROCPRIM_400000_NS6detail17trampoline_kernelINS0_14default_configENS1_38merge_sort_block_merge_config_selectorIlNS0_10empty_typeEEEZZNS1_27merge_sort_block_merge_implIS3_PlPS5_mZN2at6native12_GLOBAL__N_124unique_dim_cuda_templateIsEESt5tupleIJNSA_6TensorESF_SF_EERKSF_lbbbEUlllE_EE10hipError_tT0_T1_T2_jT3_P12ihipStream_tbPNSt15iterator_traitsISL_E10value_typeEPNSR_ISM_E10value_typeEPSN_NS1_7vsmem_tEENKUlT_SL_SM_SN_E_clIS8_S8_S9_S9_EESK_S10_SL_SM_SN_EUlS10_E1_NS1_11comp_targetILNS1_3genE9ELNS1_11target_archE1100ELNS1_3gpuE3ELNS1_3repE0EEENS1_36merge_oddeven_config_static_selectorELNS0_4arch9wavefront6targetE0EEEvSM_.has_indirect_call, 0
	.section	.AMDGPU.csdata,"",@progbits
; Kernel info:
; codeLenInByte = 0
; TotalNumSgprs: 0
; NumVgprs: 0
; ScratchSize: 0
; MemoryBound: 0
; FloatMode: 240
; IeeeMode: 1
; LDSByteSize: 0 bytes/workgroup (compile time only)
; SGPRBlocks: 0
; VGPRBlocks: 0
; NumSGPRsForWavesPerEU: 1
; NumVGPRsForWavesPerEU: 1
; NamedBarCnt: 0
; Occupancy: 16
; WaveLimiterHint : 0
; COMPUTE_PGM_RSRC2:SCRATCH_EN: 0
; COMPUTE_PGM_RSRC2:USER_SGPR: 2
; COMPUTE_PGM_RSRC2:TRAP_HANDLER: 0
; COMPUTE_PGM_RSRC2:TGID_X_EN: 1
; COMPUTE_PGM_RSRC2:TGID_Y_EN: 0
; COMPUTE_PGM_RSRC2:TGID_Z_EN: 0
; COMPUTE_PGM_RSRC2:TIDIG_COMP_CNT: 0
	.section	.text._ZN7rocprim17ROCPRIM_400000_NS6detail17trampoline_kernelINS0_14default_configENS1_38merge_sort_block_merge_config_selectorIlNS0_10empty_typeEEEZZNS1_27merge_sort_block_merge_implIS3_PlPS5_mZN2at6native12_GLOBAL__N_124unique_dim_cuda_templateIsEESt5tupleIJNSA_6TensorESF_SF_EERKSF_lbbbEUlllE_EE10hipError_tT0_T1_T2_jT3_P12ihipStream_tbPNSt15iterator_traitsISL_E10value_typeEPNSR_ISM_E10value_typeEPSN_NS1_7vsmem_tEENKUlT_SL_SM_SN_E_clIS8_S8_S9_S9_EESK_S10_SL_SM_SN_EUlS10_E1_NS1_11comp_targetILNS1_3genE8ELNS1_11target_archE1030ELNS1_3gpuE2ELNS1_3repE0EEENS1_36merge_oddeven_config_static_selectorELNS0_4arch9wavefront6targetE0EEEvSM_,"axG",@progbits,_ZN7rocprim17ROCPRIM_400000_NS6detail17trampoline_kernelINS0_14default_configENS1_38merge_sort_block_merge_config_selectorIlNS0_10empty_typeEEEZZNS1_27merge_sort_block_merge_implIS3_PlPS5_mZN2at6native12_GLOBAL__N_124unique_dim_cuda_templateIsEESt5tupleIJNSA_6TensorESF_SF_EERKSF_lbbbEUlllE_EE10hipError_tT0_T1_T2_jT3_P12ihipStream_tbPNSt15iterator_traitsISL_E10value_typeEPNSR_ISM_E10value_typeEPSN_NS1_7vsmem_tEENKUlT_SL_SM_SN_E_clIS8_S8_S9_S9_EESK_S10_SL_SM_SN_EUlS10_E1_NS1_11comp_targetILNS1_3genE8ELNS1_11target_archE1030ELNS1_3gpuE2ELNS1_3repE0EEENS1_36merge_oddeven_config_static_selectorELNS0_4arch9wavefront6targetE0EEEvSM_,comdat
	.globl	_ZN7rocprim17ROCPRIM_400000_NS6detail17trampoline_kernelINS0_14default_configENS1_38merge_sort_block_merge_config_selectorIlNS0_10empty_typeEEEZZNS1_27merge_sort_block_merge_implIS3_PlPS5_mZN2at6native12_GLOBAL__N_124unique_dim_cuda_templateIsEESt5tupleIJNSA_6TensorESF_SF_EERKSF_lbbbEUlllE_EE10hipError_tT0_T1_T2_jT3_P12ihipStream_tbPNSt15iterator_traitsISL_E10value_typeEPNSR_ISM_E10value_typeEPSN_NS1_7vsmem_tEENKUlT_SL_SM_SN_E_clIS8_S8_S9_S9_EESK_S10_SL_SM_SN_EUlS10_E1_NS1_11comp_targetILNS1_3genE8ELNS1_11target_archE1030ELNS1_3gpuE2ELNS1_3repE0EEENS1_36merge_oddeven_config_static_selectorELNS0_4arch9wavefront6targetE0EEEvSM_ ; -- Begin function _ZN7rocprim17ROCPRIM_400000_NS6detail17trampoline_kernelINS0_14default_configENS1_38merge_sort_block_merge_config_selectorIlNS0_10empty_typeEEEZZNS1_27merge_sort_block_merge_implIS3_PlPS5_mZN2at6native12_GLOBAL__N_124unique_dim_cuda_templateIsEESt5tupleIJNSA_6TensorESF_SF_EERKSF_lbbbEUlllE_EE10hipError_tT0_T1_T2_jT3_P12ihipStream_tbPNSt15iterator_traitsISL_E10value_typeEPNSR_ISM_E10value_typeEPSN_NS1_7vsmem_tEENKUlT_SL_SM_SN_E_clIS8_S8_S9_S9_EESK_S10_SL_SM_SN_EUlS10_E1_NS1_11comp_targetILNS1_3genE8ELNS1_11target_archE1030ELNS1_3gpuE2ELNS1_3repE0EEENS1_36merge_oddeven_config_static_selectorELNS0_4arch9wavefront6targetE0EEEvSM_
	.p2align	8
	.type	_ZN7rocprim17ROCPRIM_400000_NS6detail17trampoline_kernelINS0_14default_configENS1_38merge_sort_block_merge_config_selectorIlNS0_10empty_typeEEEZZNS1_27merge_sort_block_merge_implIS3_PlPS5_mZN2at6native12_GLOBAL__N_124unique_dim_cuda_templateIsEESt5tupleIJNSA_6TensorESF_SF_EERKSF_lbbbEUlllE_EE10hipError_tT0_T1_T2_jT3_P12ihipStream_tbPNSt15iterator_traitsISL_E10value_typeEPNSR_ISM_E10value_typeEPSN_NS1_7vsmem_tEENKUlT_SL_SM_SN_E_clIS8_S8_S9_S9_EESK_S10_SL_SM_SN_EUlS10_E1_NS1_11comp_targetILNS1_3genE8ELNS1_11target_archE1030ELNS1_3gpuE2ELNS1_3repE0EEENS1_36merge_oddeven_config_static_selectorELNS0_4arch9wavefront6targetE0EEEvSM_,@function
_ZN7rocprim17ROCPRIM_400000_NS6detail17trampoline_kernelINS0_14default_configENS1_38merge_sort_block_merge_config_selectorIlNS0_10empty_typeEEEZZNS1_27merge_sort_block_merge_implIS3_PlPS5_mZN2at6native12_GLOBAL__N_124unique_dim_cuda_templateIsEESt5tupleIJNSA_6TensorESF_SF_EERKSF_lbbbEUlllE_EE10hipError_tT0_T1_T2_jT3_P12ihipStream_tbPNSt15iterator_traitsISL_E10value_typeEPNSR_ISM_E10value_typeEPSN_NS1_7vsmem_tEENKUlT_SL_SM_SN_E_clIS8_S8_S9_S9_EESK_S10_SL_SM_SN_EUlS10_E1_NS1_11comp_targetILNS1_3genE8ELNS1_11target_archE1030ELNS1_3gpuE2ELNS1_3repE0EEENS1_36merge_oddeven_config_static_selectorELNS0_4arch9wavefront6targetE0EEEvSM_: ; @_ZN7rocprim17ROCPRIM_400000_NS6detail17trampoline_kernelINS0_14default_configENS1_38merge_sort_block_merge_config_selectorIlNS0_10empty_typeEEEZZNS1_27merge_sort_block_merge_implIS3_PlPS5_mZN2at6native12_GLOBAL__N_124unique_dim_cuda_templateIsEESt5tupleIJNSA_6TensorESF_SF_EERKSF_lbbbEUlllE_EE10hipError_tT0_T1_T2_jT3_P12ihipStream_tbPNSt15iterator_traitsISL_E10value_typeEPNSR_ISM_E10value_typeEPSN_NS1_7vsmem_tEENKUlT_SL_SM_SN_E_clIS8_S8_S9_S9_EESK_S10_SL_SM_SN_EUlS10_E1_NS1_11comp_targetILNS1_3genE8ELNS1_11target_archE1030ELNS1_3gpuE2ELNS1_3repE0EEENS1_36merge_oddeven_config_static_selectorELNS0_4arch9wavefront6targetE0EEEvSM_
; %bb.0:
	.section	.rodata,"a",@progbits
	.p2align	6, 0x0
	.amdhsa_kernel _ZN7rocprim17ROCPRIM_400000_NS6detail17trampoline_kernelINS0_14default_configENS1_38merge_sort_block_merge_config_selectorIlNS0_10empty_typeEEEZZNS1_27merge_sort_block_merge_implIS3_PlPS5_mZN2at6native12_GLOBAL__N_124unique_dim_cuda_templateIsEESt5tupleIJNSA_6TensorESF_SF_EERKSF_lbbbEUlllE_EE10hipError_tT0_T1_T2_jT3_P12ihipStream_tbPNSt15iterator_traitsISL_E10value_typeEPNSR_ISM_E10value_typeEPSN_NS1_7vsmem_tEENKUlT_SL_SM_SN_E_clIS8_S8_S9_S9_EESK_S10_SL_SM_SN_EUlS10_E1_NS1_11comp_targetILNS1_3genE8ELNS1_11target_archE1030ELNS1_3gpuE2ELNS1_3repE0EEENS1_36merge_oddeven_config_static_selectorELNS0_4arch9wavefront6targetE0EEEvSM_
		.amdhsa_group_segment_fixed_size 0
		.amdhsa_private_segment_fixed_size 0
		.amdhsa_kernarg_size 64
		.amdhsa_user_sgpr_count 2
		.amdhsa_user_sgpr_dispatch_ptr 0
		.amdhsa_user_sgpr_queue_ptr 0
		.amdhsa_user_sgpr_kernarg_segment_ptr 1
		.amdhsa_user_sgpr_dispatch_id 0
		.amdhsa_user_sgpr_kernarg_preload_length 0
		.amdhsa_user_sgpr_kernarg_preload_offset 0
		.amdhsa_user_sgpr_private_segment_size 0
		.amdhsa_wavefront_size32 1
		.amdhsa_uses_dynamic_stack 0
		.amdhsa_enable_private_segment 0
		.amdhsa_system_sgpr_workgroup_id_x 1
		.amdhsa_system_sgpr_workgroup_id_y 0
		.amdhsa_system_sgpr_workgroup_id_z 0
		.amdhsa_system_sgpr_workgroup_info 0
		.amdhsa_system_vgpr_workitem_id 0
		.amdhsa_next_free_vgpr 1
		.amdhsa_next_free_sgpr 1
		.amdhsa_named_barrier_count 0
		.amdhsa_reserve_vcc 0
		.amdhsa_float_round_mode_32 0
		.amdhsa_float_round_mode_16_64 0
		.amdhsa_float_denorm_mode_32 3
		.amdhsa_float_denorm_mode_16_64 3
		.amdhsa_fp16_overflow 0
		.amdhsa_memory_ordered 1
		.amdhsa_forward_progress 1
		.amdhsa_inst_pref_size 0
		.amdhsa_round_robin_scheduling 0
		.amdhsa_exception_fp_ieee_invalid_op 0
		.amdhsa_exception_fp_denorm_src 0
		.amdhsa_exception_fp_ieee_div_zero 0
		.amdhsa_exception_fp_ieee_overflow 0
		.amdhsa_exception_fp_ieee_underflow 0
		.amdhsa_exception_fp_ieee_inexact 0
		.amdhsa_exception_int_div_zero 0
	.end_amdhsa_kernel
	.section	.text._ZN7rocprim17ROCPRIM_400000_NS6detail17trampoline_kernelINS0_14default_configENS1_38merge_sort_block_merge_config_selectorIlNS0_10empty_typeEEEZZNS1_27merge_sort_block_merge_implIS3_PlPS5_mZN2at6native12_GLOBAL__N_124unique_dim_cuda_templateIsEESt5tupleIJNSA_6TensorESF_SF_EERKSF_lbbbEUlllE_EE10hipError_tT0_T1_T2_jT3_P12ihipStream_tbPNSt15iterator_traitsISL_E10value_typeEPNSR_ISM_E10value_typeEPSN_NS1_7vsmem_tEENKUlT_SL_SM_SN_E_clIS8_S8_S9_S9_EESK_S10_SL_SM_SN_EUlS10_E1_NS1_11comp_targetILNS1_3genE8ELNS1_11target_archE1030ELNS1_3gpuE2ELNS1_3repE0EEENS1_36merge_oddeven_config_static_selectorELNS0_4arch9wavefront6targetE0EEEvSM_,"axG",@progbits,_ZN7rocprim17ROCPRIM_400000_NS6detail17trampoline_kernelINS0_14default_configENS1_38merge_sort_block_merge_config_selectorIlNS0_10empty_typeEEEZZNS1_27merge_sort_block_merge_implIS3_PlPS5_mZN2at6native12_GLOBAL__N_124unique_dim_cuda_templateIsEESt5tupleIJNSA_6TensorESF_SF_EERKSF_lbbbEUlllE_EE10hipError_tT0_T1_T2_jT3_P12ihipStream_tbPNSt15iterator_traitsISL_E10value_typeEPNSR_ISM_E10value_typeEPSN_NS1_7vsmem_tEENKUlT_SL_SM_SN_E_clIS8_S8_S9_S9_EESK_S10_SL_SM_SN_EUlS10_E1_NS1_11comp_targetILNS1_3genE8ELNS1_11target_archE1030ELNS1_3gpuE2ELNS1_3repE0EEENS1_36merge_oddeven_config_static_selectorELNS0_4arch9wavefront6targetE0EEEvSM_,comdat
.Lfunc_end659:
	.size	_ZN7rocprim17ROCPRIM_400000_NS6detail17trampoline_kernelINS0_14default_configENS1_38merge_sort_block_merge_config_selectorIlNS0_10empty_typeEEEZZNS1_27merge_sort_block_merge_implIS3_PlPS5_mZN2at6native12_GLOBAL__N_124unique_dim_cuda_templateIsEESt5tupleIJNSA_6TensorESF_SF_EERKSF_lbbbEUlllE_EE10hipError_tT0_T1_T2_jT3_P12ihipStream_tbPNSt15iterator_traitsISL_E10value_typeEPNSR_ISM_E10value_typeEPSN_NS1_7vsmem_tEENKUlT_SL_SM_SN_E_clIS8_S8_S9_S9_EESK_S10_SL_SM_SN_EUlS10_E1_NS1_11comp_targetILNS1_3genE8ELNS1_11target_archE1030ELNS1_3gpuE2ELNS1_3repE0EEENS1_36merge_oddeven_config_static_selectorELNS0_4arch9wavefront6targetE0EEEvSM_, .Lfunc_end659-_ZN7rocprim17ROCPRIM_400000_NS6detail17trampoline_kernelINS0_14default_configENS1_38merge_sort_block_merge_config_selectorIlNS0_10empty_typeEEEZZNS1_27merge_sort_block_merge_implIS3_PlPS5_mZN2at6native12_GLOBAL__N_124unique_dim_cuda_templateIsEESt5tupleIJNSA_6TensorESF_SF_EERKSF_lbbbEUlllE_EE10hipError_tT0_T1_T2_jT3_P12ihipStream_tbPNSt15iterator_traitsISL_E10value_typeEPNSR_ISM_E10value_typeEPSN_NS1_7vsmem_tEENKUlT_SL_SM_SN_E_clIS8_S8_S9_S9_EESK_S10_SL_SM_SN_EUlS10_E1_NS1_11comp_targetILNS1_3genE8ELNS1_11target_archE1030ELNS1_3gpuE2ELNS1_3repE0EEENS1_36merge_oddeven_config_static_selectorELNS0_4arch9wavefront6targetE0EEEvSM_
                                        ; -- End function
	.set _ZN7rocprim17ROCPRIM_400000_NS6detail17trampoline_kernelINS0_14default_configENS1_38merge_sort_block_merge_config_selectorIlNS0_10empty_typeEEEZZNS1_27merge_sort_block_merge_implIS3_PlPS5_mZN2at6native12_GLOBAL__N_124unique_dim_cuda_templateIsEESt5tupleIJNSA_6TensorESF_SF_EERKSF_lbbbEUlllE_EE10hipError_tT0_T1_T2_jT3_P12ihipStream_tbPNSt15iterator_traitsISL_E10value_typeEPNSR_ISM_E10value_typeEPSN_NS1_7vsmem_tEENKUlT_SL_SM_SN_E_clIS8_S8_S9_S9_EESK_S10_SL_SM_SN_EUlS10_E1_NS1_11comp_targetILNS1_3genE8ELNS1_11target_archE1030ELNS1_3gpuE2ELNS1_3repE0EEENS1_36merge_oddeven_config_static_selectorELNS0_4arch9wavefront6targetE0EEEvSM_.num_vgpr, 0
	.set _ZN7rocprim17ROCPRIM_400000_NS6detail17trampoline_kernelINS0_14default_configENS1_38merge_sort_block_merge_config_selectorIlNS0_10empty_typeEEEZZNS1_27merge_sort_block_merge_implIS3_PlPS5_mZN2at6native12_GLOBAL__N_124unique_dim_cuda_templateIsEESt5tupleIJNSA_6TensorESF_SF_EERKSF_lbbbEUlllE_EE10hipError_tT0_T1_T2_jT3_P12ihipStream_tbPNSt15iterator_traitsISL_E10value_typeEPNSR_ISM_E10value_typeEPSN_NS1_7vsmem_tEENKUlT_SL_SM_SN_E_clIS8_S8_S9_S9_EESK_S10_SL_SM_SN_EUlS10_E1_NS1_11comp_targetILNS1_3genE8ELNS1_11target_archE1030ELNS1_3gpuE2ELNS1_3repE0EEENS1_36merge_oddeven_config_static_selectorELNS0_4arch9wavefront6targetE0EEEvSM_.num_agpr, 0
	.set _ZN7rocprim17ROCPRIM_400000_NS6detail17trampoline_kernelINS0_14default_configENS1_38merge_sort_block_merge_config_selectorIlNS0_10empty_typeEEEZZNS1_27merge_sort_block_merge_implIS3_PlPS5_mZN2at6native12_GLOBAL__N_124unique_dim_cuda_templateIsEESt5tupleIJNSA_6TensorESF_SF_EERKSF_lbbbEUlllE_EE10hipError_tT0_T1_T2_jT3_P12ihipStream_tbPNSt15iterator_traitsISL_E10value_typeEPNSR_ISM_E10value_typeEPSN_NS1_7vsmem_tEENKUlT_SL_SM_SN_E_clIS8_S8_S9_S9_EESK_S10_SL_SM_SN_EUlS10_E1_NS1_11comp_targetILNS1_3genE8ELNS1_11target_archE1030ELNS1_3gpuE2ELNS1_3repE0EEENS1_36merge_oddeven_config_static_selectorELNS0_4arch9wavefront6targetE0EEEvSM_.numbered_sgpr, 0
	.set _ZN7rocprim17ROCPRIM_400000_NS6detail17trampoline_kernelINS0_14default_configENS1_38merge_sort_block_merge_config_selectorIlNS0_10empty_typeEEEZZNS1_27merge_sort_block_merge_implIS3_PlPS5_mZN2at6native12_GLOBAL__N_124unique_dim_cuda_templateIsEESt5tupleIJNSA_6TensorESF_SF_EERKSF_lbbbEUlllE_EE10hipError_tT0_T1_T2_jT3_P12ihipStream_tbPNSt15iterator_traitsISL_E10value_typeEPNSR_ISM_E10value_typeEPSN_NS1_7vsmem_tEENKUlT_SL_SM_SN_E_clIS8_S8_S9_S9_EESK_S10_SL_SM_SN_EUlS10_E1_NS1_11comp_targetILNS1_3genE8ELNS1_11target_archE1030ELNS1_3gpuE2ELNS1_3repE0EEENS1_36merge_oddeven_config_static_selectorELNS0_4arch9wavefront6targetE0EEEvSM_.num_named_barrier, 0
	.set _ZN7rocprim17ROCPRIM_400000_NS6detail17trampoline_kernelINS0_14default_configENS1_38merge_sort_block_merge_config_selectorIlNS0_10empty_typeEEEZZNS1_27merge_sort_block_merge_implIS3_PlPS5_mZN2at6native12_GLOBAL__N_124unique_dim_cuda_templateIsEESt5tupleIJNSA_6TensorESF_SF_EERKSF_lbbbEUlllE_EE10hipError_tT0_T1_T2_jT3_P12ihipStream_tbPNSt15iterator_traitsISL_E10value_typeEPNSR_ISM_E10value_typeEPSN_NS1_7vsmem_tEENKUlT_SL_SM_SN_E_clIS8_S8_S9_S9_EESK_S10_SL_SM_SN_EUlS10_E1_NS1_11comp_targetILNS1_3genE8ELNS1_11target_archE1030ELNS1_3gpuE2ELNS1_3repE0EEENS1_36merge_oddeven_config_static_selectorELNS0_4arch9wavefront6targetE0EEEvSM_.private_seg_size, 0
	.set _ZN7rocprim17ROCPRIM_400000_NS6detail17trampoline_kernelINS0_14default_configENS1_38merge_sort_block_merge_config_selectorIlNS0_10empty_typeEEEZZNS1_27merge_sort_block_merge_implIS3_PlPS5_mZN2at6native12_GLOBAL__N_124unique_dim_cuda_templateIsEESt5tupleIJNSA_6TensorESF_SF_EERKSF_lbbbEUlllE_EE10hipError_tT0_T1_T2_jT3_P12ihipStream_tbPNSt15iterator_traitsISL_E10value_typeEPNSR_ISM_E10value_typeEPSN_NS1_7vsmem_tEENKUlT_SL_SM_SN_E_clIS8_S8_S9_S9_EESK_S10_SL_SM_SN_EUlS10_E1_NS1_11comp_targetILNS1_3genE8ELNS1_11target_archE1030ELNS1_3gpuE2ELNS1_3repE0EEENS1_36merge_oddeven_config_static_selectorELNS0_4arch9wavefront6targetE0EEEvSM_.uses_vcc, 0
	.set _ZN7rocprim17ROCPRIM_400000_NS6detail17trampoline_kernelINS0_14default_configENS1_38merge_sort_block_merge_config_selectorIlNS0_10empty_typeEEEZZNS1_27merge_sort_block_merge_implIS3_PlPS5_mZN2at6native12_GLOBAL__N_124unique_dim_cuda_templateIsEESt5tupleIJNSA_6TensorESF_SF_EERKSF_lbbbEUlllE_EE10hipError_tT0_T1_T2_jT3_P12ihipStream_tbPNSt15iterator_traitsISL_E10value_typeEPNSR_ISM_E10value_typeEPSN_NS1_7vsmem_tEENKUlT_SL_SM_SN_E_clIS8_S8_S9_S9_EESK_S10_SL_SM_SN_EUlS10_E1_NS1_11comp_targetILNS1_3genE8ELNS1_11target_archE1030ELNS1_3gpuE2ELNS1_3repE0EEENS1_36merge_oddeven_config_static_selectorELNS0_4arch9wavefront6targetE0EEEvSM_.uses_flat_scratch, 0
	.set _ZN7rocprim17ROCPRIM_400000_NS6detail17trampoline_kernelINS0_14default_configENS1_38merge_sort_block_merge_config_selectorIlNS0_10empty_typeEEEZZNS1_27merge_sort_block_merge_implIS3_PlPS5_mZN2at6native12_GLOBAL__N_124unique_dim_cuda_templateIsEESt5tupleIJNSA_6TensorESF_SF_EERKSF_lbbbEUlllE_EE10hipError_tT0_T1_T2_jT3_P12ihipStream_tbPNSt15iterator_traitsISL_E10value_typeEPNSR_ISM_E10value_typeEPSN_NS1_7vsmem_tEENKUlT_SL_SM_SN_E_clIS8_S8_S9_S9_EESK_S10_SL_SM_SN_EUlS10_E1_NS1_11comp_targetILNS1_3genE8ELNS1_11target_archE1030ELNS1_3gpuE2ELNS1_3repE0EEENS1_36merge_oddeven_config_static_selectorELNS0_4arch9wavefront6targetE0EEEvSM_.has_dyn_sized_stack, 0
	.set _ZN7rocprim17ROCPRIM_400000_NS6detail17trampoline_kernelINS0_14default_configENS1_38merge_sort_block_merge_config_selectorIlNS0_10empty_typeEEEZZNS1_27merge_sort_block_merge_implIS3_PlPS5_mZN2at6native12_GLOBAL__N_124unique_dim_cuda_templateIsEESt5tupleIJNSA_6TensorESF_SF_EERKSF_lbbbEUlllE_EE10hipError_tT0_T1_T2_jT3_P12ihipStream_tbPNSt15iterator_traitsISL_E10value_typeEPNSR_ISM_E10value_typeEPSN_NS1_7vsmem_tEENKUlT_SL_SM_SN_E_clIS8_S8_S9_S9_EESK_S10_SL_SM_SN_EUlS10_E1_NS1_11comp_targetILNS1_3genE8ELNS1_11target_archE1030ELNS1_3gpuE2ELNS1_3repE0EEENS1_36merge_oddeven_config_static_selectorELNS0_4arch9wavefront6targetE0EEEvSM_.has_recursion, 0
	.set _ZN7rocprim17ROCPRIM_400000_NS6detail17trampoline_kernelINS0_14default_configENS1_38merge_sort_block_merge_config_selectorIlNS0_10empty_typeEEEZZNS1_27merge_sort_block_merge_implIS3_PlPS5_mZN2at6native12_GLOBAL__N_124unique_dim_cuda_templateIsEESt5tupleIJNSA_6TensorESF_SF_EERKSF_lbbbEUlllE_EE10hipError_tT0_T1_T2_jT3_P12ihipStream_tbPNSt15iterator_traitsISL_E10value_typeEPNSR_ISM_E10value_typeEPSN_NS1_7vsmem_tEENKUlT_SL_SM_SN_E_clIS8_S8_S9_S9_EESK_S10_SL_SM_SN_EUlS10_E1_NS1_11comp_targetILNS1_3genE8ELNS1_11target_archE1030ELNS1_3gpuE2ELNS1_3repE0EEENS1_36merge_oddeven_config_static_selectorELNS0_4arch9wavefront6targetE0EEEvSM_.has_indirect_call, 0
	.section	.AMDGPU.csdata,"",@progbits
; Kernel info:
; codeLenInByte = 0
; TotalNumSgprs: 0
; NumVgprs: 0
; ScratchSize: 0
; MemoryBound: 0
; FloatMode: 240
; IeeeMode: 1
; LDSByteSize: 0 bytes/workgroup (compile time only)
; SGPRBlocks: 0
; VGPRBlocks: 0
; NumSGPRsForWavesPerEU: 1
; NumVGPRsForWavesPerEU: 1
; NamedBarCnt: 0
; Occupancy: 16
; WaveLimiterHint : 0
; COMPUTE_PGM_RSRC2:SCRATCH_EN: 0
; COMPUTE_PGM_RSRC2:USER_SGPR: 2
; COMPUTE_PGM_RSRC2:TRAP_HANDLER: 0
; COMPUTE_PGM_RSRC2:TGID_X_EN: 1
; COMPUTE_PGM_RSRC2:TGID_Y_EN: 0
; COMPUTE_PGM_RSRC2:TGID_Z_EN: 0
; COMPUTE_PGM_RSRC2:TIDIG_COMP_CNT: 0
	.section	.text._ZN7rocprim17ROCPRIM_400000_NS6detail17trampoline_kernelINS0_14default_configENS1_35adjacent_difference_config_selectorILb0ElEEZNS1_24adjacent_difference_implIS3_Lb0ELb0EPlS7_ZN2at6native12_GLOBAL__N_124unique_dim_cuda_templateIsEESt5tupleIJNS8_6TensorESD_SD_EERKSD_lbbbEUlllE1_EE10hipError_tPvRmT2_T3_mT4_P12ihipStream_tbEUlT_E_NS1_11comp_targetILNS1_3genE0ELNS1_11target_archE4294967295ELNS1_3gpuE0ELNS1_3repE0EEENS1_30default_config_static_selectorELNS0_4arch9wavefront6targetE0EEEvT1_,"axG",@progbits,_ZN7rocprim17ROCPRIM_400000_NS6detail17trampoline_kernelINS0_14default_configENS1_35adjacent_difference_config_selectorILb0ElEEZNS1_24adjacent_difference_implIS3_Lb0ELb0EPlS7_ZN2at6native12_GLOBAL__N_124unique_dim_cuda_templateIsEESt5tupleIJNS8_6TensorESD_SD_EERKSD_lbbbEUlllE1_EE10hipError_tPvRmT2_T3_mT4_P12ihipStream_tbEUlT_E_NS1_11comp_targetILNS1_3genE0ELNS1_11target_archE4294967295ELNS1_3gpuE0ELNS1_3repE0EEENS1_30default_config_static_selectorELNS0_4arch9wavefront6targetE0EEEvT1_,comdat
	.globl	_ZN7rocprim17ROCPRIM_400000_NS6detail17trampoline_kernelINS0_14default_configENS1_35adjacent_difference_config_selectorILb0ElEEZNS1_24adjacent_difference_implIS3_Lb0ELb0EPlS7_ZN2at6native12_GLOBAL__N_124unique_dim_cuda_templateIsEESt5tupleIJNS8_6TensorESD_SD_EERKSD_lbbbEUlllE1_EE10hipError_tPvRmT2_T3_mT4_P12ihipStream_tbEUlT_E_NS1_11comp_targetILNS1_3genE0ELNS1_11target_archE4294967295ELNS1_3gpuE0ELNS1_3repE0EEENS1_30default_config_static_selectorELNS0_4arch9wavefront6targetE0EEEvT1_ ; -- Begin function _ZN7rocprim17ROCPRIM_400000_NS6detail17trampoline_kernelINS0_14default_configENS1_35adjacent_difference_config_selectorILb0ElEEZNS1_24adjacent_difference_implIS3_Lb0ELb0EPlS7_ZN2at6native12_GLOBAL__N_124unique_dim_cuda_templateIsEESt5tupleIJNS8_6TensorESD_SD_EERKSD_lbbbEUlllE1_EE10hipError_tPvRmT2_T3_mT4_P12ihipStream_tbEUlT_E_NS1_11comp_targetILNS1_3genE0ELNS1_11target_archE4294967295ELNS1_3gpuE0ELNS1_3repE0EEENS1_30default_config_static_selectorELNS0_4arch9wavefront6targetE0EEEvT1_
	.p2align	8
	.type	_ZN7rocprim17ROCPRIM_400000_NS6detail17trampoline_kernelINS0_14default_configENS1_35adjacent_difference_config_selectorILb0ElEEZNS1_24adjacent_difference_implIS3_Lb0ELb0EPlS7_ZN2at6native12_GLOBAL__N_124unique_dim_cuda_templateIsEESt5tupleIJNS8_6TensorESD_SD_EERKSD_lbbbEUlllE1_EE10hipError_tPvRmT2_T3_mT4_P12ihipStream_tbEUlT_E_NS1_11comp_targetILNS1_3genE0ELNS1_11target_archE4294967295ELNS1_3gpuE0ELNS1_3repE0EEENS1_30default_config_static_selectorELNS0_4arch9wavefront6targetE0EEEvT1_,@function
_ZN7rocprim17ROCPRIM_400000_NS6detail17trampoline_kernelINS0_14default_configENS1_35adjacent_difference_config_selectorILb0ElEEZNS1_24adjacent_difference_implIS3_Lb0ELb0EPlS7_ZN2at6native12_GLOBAL__N_124unique_dim_cuda_templateIsEESt5tupleIJNS8_6TensorESD_SD_EERKSD_lbbbEUlllE1_EE10hipError_tPvRmT2_T3_mT4_P12ihipStream_tbEUlT_E_NS1_11comp_targetILNS1_3genE0ELNS1_11target_archE4294967295ELNS1_3gpuE0ELNS1_3repE0EEENS1_30default_config_static_selectorELNS0_4arch9wavefront6targetE0EEEvT1_: ; @_ZN7rocprim17ROCPRIM_400000_NS6detail17trampoline_kernelINS0_14default_configENS1_35adjacent_difference_config_selectorILb0ElEEZNS1_24adjacent_difference_implIS3_Lb0ELb0EPlS7_ZN2at6native12_GLOBAL__N_124unique_dim_cuda_templateIsEESt5tupleIJNS8_6TensorESD_SD_EERKSD_lbbbEUlllE1_EE10hipError_tPvRmT2_T3_mT4_P12ihipStream_tbEUlT_E_NS1_11comp_targetILNS1_3genE0ELNS1_11target_archE4294967295ELNS1_3gpuE0ELNS1_3repE0EEENS1_30default_config_static_selectorELNS0_4arch9wavefront6targetE0EEEvT1_
; %bb.0:
	s_load_b256 s[4:11], s[0:1], 0x0
	s_bfe_u32 s2, ttmp6, 0x4000c
	s_and_b32 s3, ttmp6, 15
	s_add_co_i32 s2, s2, 1
	s_getreg_b32 s12, hwreg(HW_REG_IB_STS2, 6, 4)
	s_mul_i32 s2, ttmp9, s2
	s_load_b64 s[16:17], s[0:1], 0x38
	s_add_co_i32 s3, s3, s2
	s_mov_b32 s23, 0
	s_delay_alu instid0(SALU_CYCLE_1)
	s_mov_b32 s19, s23
	s_wait_kmcnt 0x0
	s_lshl_b64 s[6:7], s[6:7], 3
	s_cmp_eq_u32 s12, 0
	s_add_nc_u64 s[4:5], s[4:5], s[6:7]
	s_cselect_b32 s18, ttmp9, s3
	s_and_b64 s[12:13], s[10:11], 0x7f
	s_lshr_b64 s[20:21], s[10:11], 7
	s_lshl_b32 s2, s18, 7
	s_cmp_lg_u64 s[12:13], 0
	s_load_b128 s[12:15], s[0:1], 0x20
	s_cselect_b32 s3, -1, 0
	s_add_nc_u64 s[18:19], s[16:17], s[18:19]
	v_cndmask_b32_e64 v1, 0, 1, s3
	s_delay_alu instid0(VALU_DEP_1) | instskip(SKIP_2) | instid1(SALU_CYCLE_1)
	v_readfirstlane_b32 s22, v1
	s_wait_xcnt 0x0
	s_add_nc_u64 s[0:1], s[20:21], s[22:23]
	s_add_nc_u64 s[16:17], s[0:1], -1
	s_delay_alu instid0(SALU_CYCLE_1)
	v_cmp_ge_u64_e64 s11, s[18:19], s[16:17]
	s_and_b32 vcc_lo, exec_lo, s11
	s_cbranch_vccz .LBB660_4
; %bb.1:
	s_lshl_b32 s3, s16, 7
	s_mov_b32 s20, exec_lo
	s_sub_co_i32 s3, s10, s3
                                        ; implicit-def: $vgpr2_vgpr3
	s_delay_alu instid0(SALU_CYCLE_1)
	v_cmpx_gt_u32_e64 s3, v0
	s_cbranch_execz .LBB660_3
; %bb.2:
	s_mov_b32 s3, 0
	s_delay_alu instid0(SALU_CYCLE_1) | instskip(NEXT) | instid1(SALU_CYCLE_1)
	s_lshl_b64 s[22:23], s[2:3], 3
	s_add_nc_u64 s[22:23], s[4:5], s[22:23]
	global_load_b64 v[2:3], v0, s[22:23] scale_offset
.LBB660_3:
	s_wait_xcnt 0x0
	s_or_b32 exec_lo, exec_lo, s20
	v_lshlrev_b32_e32 v1, 3, v0
	s_wait_loadcnt 0x0
	ds_store_b64 v1, v[2:3]
	s_wait_dscnt 0x0
	s_barrier_signal -1
	s_barrier_wait -1
	s_branch .LBB660_6
.LBB660_4:
                                        ; implicit-def: $vgpr1
	s_cbranch_execz .LBB660_6
; %bb.5:
	s_mov_b32 s3, 0
	v_lshlrev_b32_e32 v1, 3, v0
	s_lshl_b64 s[20:21], s[2:3], 3
	s_delay_alu instid0(SALU_CYCLE_1)
	s_add_nc_u64 s[20:21], s[4:5], s[20:21]
	global_load_b64 v[2:3], v0, s[20:21] scale_offset
	s_wait_loadcnt 0x0
	ds_store_b64 v1, v[2:3]
	s_wait_dscnt 0x0
	s_barrier_signal -1
	s_barrier_wait -1
.LBB660_6:
	ds_load_b64 v[2:3], v1
	s_cmp_eq_u64 s[18:19], 0
	s_wait_dscnt 0x0
	s_barrier_signal -1
	s_barrier_wait -1
	s_cbranch_scc1 .LBB660_15
; %bb.7:
	s_mov_b32 s3, 0
	s_delay_alu instid0(SALU_CYCLE_1) | instskip(SKIP_2) | instid1(SALU_CYCLE_1)
	s_lshl_b64 s[20:21], s[2:3], 3
	s_cmp_eq_u64 s[18:19], s[16:17]
	s_add_nc_u64 s[4:5], s[4:5], s[20:21]
	s_add_nc_u64 s[4:5], s[4:5], -8
	s_load_b64 s[4:5], s[4:5], 0x0
	s_cbranch_scc1 .LBB660_16
; %bb.8:
	s_wait_kmcnt 0x0
	v_mov_b64_e32 v[4:5], s[4:5]
	v_lshlrev_b32_e32 v1, 3, v0
	s_mov_b32 s3, exec_lo
	ds_store_b64 v1, v[2:3]
	s_wait_dscnt 0x0
	s_barrier_signal -1
	s_barrier_wait -1
	v_cmpx_ne_u32_e32 0, v0
; %bb.9:
	v_add_nc_u32_e32 v1, -8, v1
	ds_load_b64 v[4:5], v1
; %bb.10:
	s_or_b32 exec_lo, exec_lo, s3
	v_cmp_lt_i64_e64 s3, s[12:13], 1
	s_and_b32 vcc_lo, exec_lo, s3
	s_cbranch_vccnz .LBB660_18
; %bb.11:
	v_mul_u64_e32 v[6:7], s[12:13], v[2:3]
	s_wait_dscnt 0x0
	v_mul_u64_e32 v[4:5], s[12:13], v[4:5]
	s_mov_b32 s3, 0
	s_mov_b64 s[20:21], s[12:13]
                                        ; implicit-def: $sgpr17
	s_delay_alu instid0(VALU_DEP_2) | instskip(NEXT) | instid1(VALU_DEP_2)
	v_lshl_add_u64 v[6:7], v[6:7], 1, s[14:15]
	v_lshl_add_u64 v[8:9], v[4:5], 1, s[14:15]
	s_branch .LBB660_13
.LBB660_12:                             ;   in Loop: Header=BB660_13 Depth=1
	s_or_b32 exec_lo, exec_lo, s19
	s_delay_alu instid0(SALU_CYCLE_1) | instskip(NEXT) | instid1(SALU_CYCLE_1)
	s_and_b32 s19, exec_lo, s17
	s_or_b32 s3, s19, s3
	s_delay_alu instid0(SALU_CYCLE_1)
	s_and_not1_b32 exec_lo, exec_lo, s3
	s_cbranch_execz .LBB660_17
.LBB660_13:                             ; =>This Inner Loop Header: Depth=1
	global_load_u16 v1, v[6:7], off
	global_load_u16 v10, v[8:9], off
	v_mov_b64_e32 v[4:5], 1
	s_or_b32 s17, s17, exec_lo
	s_mov_b32 s19, exec_lo
	s_wait_loadcnt 0x0
	v_cmpx_eq_u16_e64 v1, v10
	s_cbranch_execz .LBB660_12
; %bb.14:                               ;   in Loop: Header=BB660_13 Depth=1
	s_add_nc_u64 s[20:21], s[20:21], -1
	v_add_nc_u64_e32 v[6:7], 2, v[6:7]
	s_cmp_eq_u64 s[20:21], 0
	v_add_nc_u64_e32 v[8:9], 2, v[8:9]
	v_mov_b64_e32 v[4:5], 0
	s_cselect_b32 s22, -1, 0
	s_and_not1_b32 s17, s17, exec_lo
	s_and_b32 s22, s22, exec_lo
	s_delay_alu instid0(SALU_CYCLE_1)
	s_or_b32 s17, s17, s22
	s_branch .LBB660_12
.LBB660_15:
                                        ; implicit-def: $vgpr4_vgpr5
	s_branch .LBB660_31
.LBB660_16:
                                        ; implicit-def: $vgpr4_vgpr5
	s_cbranch_execnz .LBB660_19
	s_branch .LBB660_30
.LBB660_17:
	s_or_b32 exec_lo, exec_lo, s3
	s_branch .LBB660_30
.LBB660_18:
	s_wait_dscnt 0x0
	v_mov_b64_e32 v[4:5], 0
	s_branch .LBB660_30
.LBB660_19:
	s_wait_kmcnt 0x0
	v_mov_b64_e32 v[6:7], s[4:5]
	v_lshlrev_b32_e32 v1, 3, v0
	s_mov_b32 s3, exec_lo
	ds_store_b64 v1, v[2:3]
	s_wait_dscnt 0x0
	s_barrier_signal -1
	s_barrier_wait -1
	v_cmpx_ne_u32_e32 0, v0
; %bb.20:
	v_add_nc_u32_e32 v1, -8, v1
	ds_load_b64 v[6:7], v1
; %bb.21:
	s_or_b32 exec_lo, exec_lo, s3
	s_lshl_b32 s3, s18, 7
	v_mov_b64_e32 v[4:5], v[2:3]
	s_sub_co_i32 s3, s10, s3
	s_delay_alu instid0(SALU_CYCLE_1)
	v_cmp_gt_u32_e32 vcc_lo, s3, v0
	s_and_saveexec_b32 s3, vcc_lo
	s_cbranch_execz .LBB660_29
; %bb.22:
	v_cmp_lt_i64_e64 s4, s[12:13], 1
	s_and_b32 vcc_lo, exec_lo, s4
	s_cbranch_vccnz .LBB660_28
; %bb.23:
	v_mul_u64_e32 v[4:5], s[12:13], v[2:3]
	s_wait_dscnt 0x0
	v_mul_u64_e32 v[8:9], s[12:13], v[6:7]
	s_mov_b32 s17, 0
	s_mov_b64 s[4:5], s[12:13]
                                        ; implicit-def: $sgpr18
	s_delay_alu instid0(VALU_DEP_2) | instskip(NEXT) | instid1(VALU_DEP_2)
	v_lshl_add_u64 v[6:7], v[4:5], 1, s[14:15]
	v_lshl_add_u64 v[8:9], v[8:9], 1, s[14:15]
	s_branch .LBB660_25
.LBB660_24:                             ;   in Loop: Header=BB660_25 Depth=1
	s_or_b32 exec_lo, exec_lo, s19
	s_delay_alu instid0(SALU_CYCLE_1) | instskip(NEXT) | instid1(SALU_CYCLE_1)
	s_and_b32 s19, exec_lo, s18
	s_or_b32 s17, s19, s17
	s_delay_alu instid0(SALU_CYCLE_1)
	s_and_not1_b32 exec_lo, exec_lo, s17
	s_cbranch_execz .LBB660_27
.LBB660_25:                             ; =>This Inner Loop Header: Depth=1
	global_load_u16 v1, v[6:7], off
	global_load_u16 v10, v[8:9], off
	v_mov_b64_e32 v[4:5], 1
	s_or_b32 s18, s18, exec_lo
	s_mov_b32 s19, exec_lo
	s_wait_loadcnt 0x0
	v_cmpx_eq_u16_e64 v1, v10
	s_cbranch_execz .LBB660_24
; %bb.26:                               ;   in Loop: Header=BB660_25 Depth=1
	s_add_nc_u64 s[4:5], s[4:5], -1
	v_add_nc_u64_e32 v[6:7], 2, v[6:7]
	s_cmp_eq_u64 s[4:5], 0
	v_add_nc_u64_e32 v[8:9], 2, v[8:9]
	v_mov_b64_e32 v[4:5], 0
	s_cselect_b32 s20, -1, 0
	s_and_not1_b32 s18, s18, exec_lo
	s_and_b32 s20, s20, exec_lo
	s_delay_alu instid0(SALU_CYCLE_1)
	s_or_b32 s18, s18, s20
	s_branch .LBB660_24
.LBB660_27:
	s_or_b32 exec_lo, exec_lo, s17
	s_branch .LBB660_29
.LBB660_28:
	v_mov_b64_e32 v[4:5], 0
.LBB660_29:
	s_or_b32 exec_lo, exec_lo, s3
.LBB660_30:
	s_cbranch_execnz .LBB660_51
.LBB660_31:
	s_cmp_eq_u64 s[0:1], 1
	v_cmp_ne_u32_e32 vcc_lo, 0, v0
	s_cbranch_scc1 .LBB660_38
; %bb.32:
	v_mov_b64_e32 v[4:5], v[2:3]
	v_lshlrev_b32_e32 v1, 3, v0
	s_mov_b32 s3, 0
	ds_store_b64 v1, v[2:3]
	s_wait_dscnt 0x0
	s_barrier_signal -1
	s_barrier_wait -1
	s_wait_kmcnt 0x0
	s_and_saveexec_b32 s4, vcc_lo
	s_cbranch_execz .LBB660_40
; %bb.33:
	v_cmp_lt_i64_e64 s0, s[12:13], 1
	s_and_b32 vcc_lo, exec_lo, s0
	s_cbranch_vccnz .LBB660_48
; %bb.34:
	v_add_nc_u32_e32 v1, -8, v1
	v_mul_u64_e32 v[6:7], s[12:13], v[2:3]
	s_mov_b32 s5, 0
	s_mov_b64 s[0:1], s[12:13]
                                        ; implicit-def: $sgpr17
	ds_load_b64 v[4:5], v1
	s_wait_dscnt 0x0
	v_mul_u64_e32 v[4:5], s[12:13], v[4:5]
	v_lshl_add_u64 v[6:7], v[6:7], 1, s[14:15]
	s_delay_alu instid0(VALU_DEP_2)
	v_lshl_add_u64 v[8:9], v[4:5], 1, s[14:15]
	s_branch .LBB660_36
.LBB660_35:                             ;   in Loop: Header=BB660_36 Depth=1
	s_or_b32 exec_lo, exec_lo, s18
	s_delay_alu instid0(SALU_CYCLE_1) | instskip(NEXT) | instid1(SALU_CYCLE_1)
	s_and_b32 s18, exec_lo, s17
	s_or_b32 s5, s18, s5
	s_delay_alu instid0(SALU_CYCLE_1)
	s_and_not1_b32 exec_lo, exec_lo, s5
	s_cbranch_execz .LBB660_39
.LBB660_36:                             ; =>This Inner Loop Header: Depth=1
	global_load_u16 v1, v[6:7], off
	global_load_u16 v10, v[8:9], off
	v_mov_b64_e32 v[4:5], 1
	s_or_b32 s17, s17, exec_lo
	s_mov_b32 s18, exec_lo
	s_wait_loadcnt 0x0
	v_cmpx_eq_u16_e64 v1, v10
	s_cbranch_execz .LBB660_35
; %bb.37:                               ;   in Loop: Header=BB660_36 Depth=1
	s_add_nc_u64 s[0:1], s[0:1], -1
	v_add_nc_u64_e32 v[6:7], 2, v[6:7]
	s_cmp_eq_u64 s[0:1], 0
	v_add_nc_u64_e32 v[8:9], 2, v[8:9]
	v_mov_b64_e32 v[4:5], 0
	s_cselect_b32 s19, -1, 0
	s_and_not1_b32 s17, s17, exec_lo
	s_and_b32 s19, s19, exec_lo
	s_delay_alu instid0(SALU_CYCLE_1)
	s_or_b32 s17, s17, s19
	s_branch .LBB660_35
.LBB660_38:
                                        ; implicit-def: $vgpr4_vgpr5
	s_branch .LBB660_41
.LBB660_39:
	s_or_b32 exec_lo, exec_lo, s5
.LBB660_40:
	s_delay_alu instid0(SALU_CYCLE_1) | instskip(NEXT) | instid1(SALU_CYCLE_1)
	s_or_b32 exec_lo, exec_lo, s4
	s_and_not1_b32 vcc_lo, exec_lo, s3
	s_cbranch_vccnz .LBB660_51
.LBB660_41:
	v_cmp_ne_u32_e32 vcc_lo, 0, v0
	v_cmp_gt_u32_e64 s0, s10, v0
	v_lshlrev_b32_e32 v1, 3, v0
	s_and_b32 s1, vcc_lo, s0
	ds_store_b64 v1, v[2:3]
	s_wait_dscnt 0x0
	s_barrier_signal -1
	s_barrier_wait -1
	s_and_saveexec_b32 s0, s1
	s_cbranch_execz .LBB660_50
; %bb.42:
	s_wait_kmcnt 0x0
	v_cmp_lt_i64_e64 s1, s[12:13], 1
	s_and_b32 vcc_lo, exec_lo, s1
	s_cbranch_vccnz .LBB660_49
; %bb.43:
	v_add_nc_u32_e32 v1, -8, v1
	v_mul_u64_e32 v[2:3], s[12:13], v[2:3]
	s_mov_b32 s1, 0
                                        ; implicit-def: $sgpr3
	ds_load_b64 v[4:5], v1
	s_wait_dscnt 0x0
	v_mul_u64_e32 v[6:7], s[12:13], v[4:5]
	v_lshl_add_u64 v[4:5], v[2:3], 1, s[14:15]
	s_delay_alu instid0(VALU_DEP_2)
	v_lshl_add_u64 v[6:7], v[6:7], 1, s[14:15]
	s_branch .LBB660_45
.LBB660_44:                             ;   in Loop: Header=BB660_45 Depth=1
	s_or_b32 exec_lo, exec_lo, s4
	s_delay_alu instid0(SALU_CYCLE_1) | instskip(NEXT) | instid1(SALU_CYCLE_1)
	s_and_b32 s4, exec_lo, s3
	s_or_b32 s1, s4, s1
	s_delay_alu instid0(SALU_CYCLE_1)
	s_and_not1_b32 exec_lo, exec_lo, s1
	s_cbranch_execz .LBB660_47
.LBB660_45:                             ; =>This Inner Loop Header: Depth=1
	global_load_u16 v1, v[4:5], off
	global_load_u16 v8, v[6:7], off
	v_mov_b64_e32 v[2:3], 1
	s_or_b32 s3, s3, exec_lo
	s_mov_b32 s4, exec_lo
	s_wait_loadcnt 0x0
	v_cmpx_eq_u16_e64 v1, v8
	s_cbranch_execz .LBB660_44
; %bb.46:                               ;   in Loop: Header=BB660_45 Depth=1
	s_add_nc_u64 s[12:13], s[12:13], -1
	v_add_nc_u64_e32 v[4:5], 2, v[4:5]
	s_cmp_eq_u64 s[12:13], 0
	v_add_nc_u64_e32 v[6:7], 2, v[6:7]
	v_mov_b64_e32 v[2:3], 0
	s_cselect_b32 s5, -1, 0
	s_and_not1_b32 s3, s3, exec_lo
	s_and_b32 s5, s5, exec_lo
	s_delay_alu instid0(SALU_CYCLE_1)
	s_or_b32 s3, s3, s5
	s_branch .LBB660_44
.LBB660_47:
	s_or_b32 exec_lo, exec_lo, s1
	s_branch .LBB660_50
.LBB660_48:
	v_mov_b64_e32 v[4:5], 0
	s_or_b32 exec_lo, exec_lo, s4
	s_delay_alu instid0(SALU_CYCLE_1)
	s_and_not1_b32 vcc_lo, exec_lo, s3
	s_cbranch_vccz .LBB660_41
	s_branch .LBB660_51
.LBB660_49:
	v_mov_b64_e32 v[2:3], 0
.LBB660_50:
	s_or_b32 exec_lo, exec_lo, s0
	s_delay_alu instid0(VALU_DEP_1)
	v_mov_b64_e32 v[4:5], v[2:3]
.LBB660_51:
	s_add_nc_u64 s[0:1], s[8:9], s[6:7]
	s_and_b32 vcc_lo, exec_lo, s11
	s_mov_b32 s3, -1
	s_wait_dscnt 0x0
	s_barrier_signal -1
	s_barrier_wait -1
	s_cbranch_vccnz .LBB660_54
; %bb.52:
	s_and_not1_b32 vcc_lo, exec_lo, s3
	s_cbranch_vccz .LBB660_57
.LBB660_53:
	s_endpgm
.LBB660_54:
	v_lshlrev_b32_e32 v1, 3, v0
	s_lshl_b32 s3, s16, 7
	s_wait_kmcnt 0x0
	s_mov_b32 s4, exec_lo
	s_sub_co_i32 s3, s10, s3
	ds_store_b64 v1, v[4:5]
	s_wait_dscnt 0x0
	s_barrier_signal -1
	s_barrier_wait -1
	v_cmpx_gt_u32_e64 s3, v0
	s_cbranch_execz .LBB660_56
; %bb.55:
	ds_load_b64 v[2:3], v1
	s_mov_b32 s3, 0
	s_delay_alu instid0(SALU_CYCLE_1) | instskip(NEXT) | instid1(SALU_CYCLE_1)
	s_lshl_b64 s[6:7], s[2:3], 3
	s_add_nc_u64 s[6:7], s[0:1], s[6:7]
	s_wait_dscnt 0x0
	global_store_b64 v0, v[2:3], s[6:7] scale_offset
.LBB660_56:
	s_wait_xcnt 0x0
	s_or_b32 exec_lo, exec_lo, s4
	s_cbranch_execnz .LBB660_53
.LBB660_57:
	v_lshlrev_b32_e32 v1, 3, v0
	s_mov_b32 s3, 0
	s_delay_alu instid0(SALU_CYCLE_1) | instskip(NEXT) | instid1(SALU_CYCLE_1)
	s_lshl_b64 s[2:3], s[2:3], 3
	s_add_nc_u64 s[0:1], s[0:1], s[2:3]
	ds_store_b64 v1, v[4:5]
	s_wait_storecnt_dscnt 0x0
	s_barrier_signal -1
	s_barrier_wait -1
	ds_load_b64 v[2:3], v1
	s_wait_dscnt 0x0
	global_store_b64 v0, v[2:3], s[0:1] scale_offset
	s_endpgm
	.section	.rodata,"a",@progbits
	.p2align	6, 0x0
	.amdhsa_kernel _ZN7rocprim17ROCPRIM_400000_NS6detail17trampoline_kernelINS0_14default_configENS1_35adjacent_difference_config_selectorILb0ElEEZNS1_24adjacent_difference_implIS3_Lb0ELb0EPlS7_ZN2at6native12_GLOBAL__N_124unique_dim_cuda_templateIsEESt5tupleIJNS8_6TensorESD_SD_EERKSD_lbbbEUlllE1_EE10hipError_tPvRmT2_T3_mT4_P12ihipStream_tbEUlT_E_NS1_11comp_targetILNS1_3genE0ELNS1_11target_archE4294967295ELNS1_3gpuE0ELNS1_3repE0EEENS1_30default_config_static_selectorELNS0_4arch9wavefront6targetE0EEEvT1_
		.amdhsa_group_segment_fixed_size 2048
		.amdhsa_private_segment_fixed_size 0
		.amdhsa_kernarg_size 64
		.amdhsa_user_sgpr_count 2
		.amdhsa_user_sgpr_dispatch_ptr 0
		.amdhsa_user_sgpr_queue_ptr 0
		.amdhsa_user_sgpr_kernarg_segment_ptr 1
		.amdhsa_user_sgpr_dispatch_id 0
		.amdhsa_user_sgpr_kernarg_preload_length 0
		.amdhsa_user_sgpr_kernarg_preload_offset 0
		.amdhsa_user_sgpr_private_segment_size 0
		.amdhsa_wavefront_size32 1
		.amdhsa_uses_dynamic_stack 0
		.amdhsa_enable_private_segment 0
		.amdhsa_system_sgpr_workgroup_id_x 1
		.amdhsa_system_sgpr_workgroup_id_y 0
		.amdhsa_system_sgpr_workgroup_id_z 0
		.amdhsa_system_sgpr_workgroup_info 0
		.amdhsa_system_vgpr_workitem_id 0
		.amdhsa_next_free_vgpr 11
		.amdhsa_next_free_sgpr 24
		.amdhsa_named_barrier_count 0
		.amdhsa_reserve_vcc 1
		.amdhsa_float_round_mode_32 0
		.amdhsa_float_round_mode_16_64 0
		.amdhsa_float_denorm_mode_32 3
		.amdhsa_float_denorm_mode_16_64 3
		.amdhsa_fp16_overflow 0
		.amdhsa_memory_ordered 1
		.amdhsa_forward_progress 1
		.amdhsa_inst_pref_size 14
		.amdhsa_round_robin_scheduling 0
		.amdhsa_exception_fp_ieee_invalid_op 0
		.amdhsa_exception_fp_denorm_src 0
		.amdhsa_exception_fp_ieee_div_zero 0
		.amdhsa_exception_fp_ieee_overflow 0
		.amdhsa_exception_fp_ieee_underflow 0
		.amdhsa_exception_fp_ieee_inexact 0
		.amdhsa_exception_int_div_zero 0
	.end_amdhsa_kernel
	.section	.text._ZN7rocprim17ROCPRIM_400000_NS6detail17trampoline_kernelINS0_14default_configENS1_35adjacent_difference_config_selectorILb0ElEEZNS1_24adjacent_difference_implIS3_Lb0ELb0EPlS7_ZN2at6native12_GLOBAL__N_124unique_dim_cuda_templateIsEESt5tupleIJNS8_6TensorESD_SD_EERKSD_lbbbEUlllE1_EE10hipError_tPvRmT2_T3_mT4_P12ihipStream_tbEUlT_E_NS1_11comp_targetILNS1_3genE0ELNS1_11target_archE4294967295ELNS1_3gpuE0ELNS1_3repE0EEENS1_30default_config_static_selectorELNS0_4arch9wavefront6targetE0EEEvT1_,"axG",@progbits,_ZN7rocprim17ROCPRIM_400000_NS6detail17trampoline_kernelINS0_14default_configENS1_35adjacent_difference_config_selectorILb0ElEEZNS1_24adjacent_difference_implIS3_Lb0ELb0EPlS7_ZN2at6native12_GLOBAL__N_124unique_dim_cuda_templateIsEESt5tupleIJNS8_6TensorESD_SD_EERKSD_lbbbEUlllE1_EE10hipError_tPvRmT2_T3_mT4_P12ihipStream_tbEUlT_E_NS1_11comp_targetILNS1_3genE0ELNS1_11target_archE4294967295ELNS1_3gpuE0ELNS1_3repE0EEENS1_30default_config_static_selectorELNS0_4arch9wavefront6targetE0EEEvT1_,comdat
.Lfunc_end660:
	.size	_ZN7rocprim17ROCPRIM_400000_NS6detail17trampoline_kernelINS0_14default_configENS1_35adjacent_difference_config_selectorILb0ElEEZNS1_24adjacent_difference_implIS3_Lb0ELb0EPlS7_ZN2at6native12_GLOBAL__N_124unique_dim_cuda_templateIsEESt5tupleIJNS8_6TensorESD_SD_EERKSD_lbbbEUlllE1_EE10hipError_tPvRmT2_T3_mT4_P12ihipStream_tbEUlT_E_NS1_11comp_targetILNS1_3genE0ELNS1_11target_archE4294967295ELNS1_3gpuE0ELNS1_3repE0EEENS1_30default_config_static_selectorELNS0_4arch9wavefront6targetE0EEEvT1_, .Lfunc_end660-_ZN7rocprim17ROCPRIM_400000_NS6detail17trampoline_kernelINS0_14default_configENS1_35adjacent_difference_config_selectorILb0ElEEZNS1_24adjacent_difference_implIS3_Lb0ELb0EPlS7_ZN2at6native12_GLOBAL__N_124unique_dim_cuda_templateIsEESt5tupleIJNS8_6TensorESD_SD_EERKSD_lbbbEUlllE1_EE10hipError_tPvRmT2_T3_mT4_P12ihipStream_tbEUlT_E_NS1_11comp_targetILNS1_3genE0ELNS1_11target_archE4294967295ELNS1_3gpuE0ELNS1_3repE0EEENS1_30default_config_static_selectorELNS0_4arch9wavefront6targetE0EEEvT1_
                                        ; -- End function
	.set _ZN7rocprim17ROCPRIM_400000_NS6detail17trampoline_kernelINS0_14default_configENS1_35adjacent_difference_config_selectorILb0ElEEZNS1_24adjacent_difference_implIS3_Lb0ELb0EPlS7_ZN2at6native12_GLOBAL__N_124unique_dim_cuda_templateIsEESt5tupleIJNS8_6TensorESD_SD_EERKSD_lbbbEUlllE1_EE10hipError_tPvRmT2_T3_mT4_P12ihipStream_tbEUlT_E_NS1_11comp_targetILNS1_3genE0ELNS1_11target_archE4294967295ELNS1_3gpuE0ELNS1_3repE0EEENS1_30default_config_static_selectorELNS0_4arch9wavefront6targetE0EEEvT1_.num_vgpr, 11
	.set _ZN7rocprim17ROCPRIM_400000_NS6detail17trampoline_kernelINS0_14default_configENS1_35adjacent_difference_config_selectorILb0ElEEZNS1_24adjacent_difference_implIS3_Lb0ELb0EPlS7_ZN2at6native12_GLOBAL__N_124unique_dim_cuda_templateIsEESt5tupleIJNS8_6TensorESD_SD_EERKSD_lbbbEUlllE1_EE10hipError_tPvRmT2_T3_mT4_P12ihipStream_tbEUlT_E_NS1_11comp_targetILNS1_3genE0ELNS1_11target_archE4294967295ELNS1_3gpuE0ELNS1_3repE0EEENS1_30default_config_static_selectorELNS0_4arch9wavefront6targetE0EEEvT1_.num_agpr, 0
	.set _ZN7rocprim17ROCPRIM_400000_NS6detail17trampoline_kernelINS0_14default_configENS1_35adjacent_difference_config_selectorILb0ElEEZNS1_24adjacent_difference_implIS3_Lb0ELb0EPlS7_ZN2at6native12_GLOBAL__N_124unique_dim_cuda_templateIsEESt5tupleIJNS8_6TensorESD_SD_EERKSD_lbbbEUlllE1_EE10hipError_tPvRmT2_T3_mT4_P12ihipStream_tbEUlT_E_NS1_11comp_targetILNS1_3genE0ELNS1_11target_archE4294967295ELNS1_3gpuE0ELNS1_3repE0EEENS1_30default_config_static_selectorELNS0_4arch9wavefront6targetE0EEEvT1_.numbered_sgpr, 24
	.set _ZN7rocprim17ROCPRIM_400000_NS6detail17trampoline_kernelINS0_14default_configENS1_35adjacent_difference_config_selectorILb0ElEEZNS1_24adjacent_difference_implIS3_Lb0ELb0EPlS7_ZN2at6native12_GLOBAL__N_124unique_dim_cuda_templateIsEESt5tupleIJNS8_6TensorESD_SD_EERKSD_lbbbEUlllE1_EE10hipError_tPvRmT2_T3_mT4_P12ihipStream_tbEUlT_E_NS1_11comp_targetILNS1_3genE0ELNS1_11target_archE4294967295ELNS1_3gpuE0ELNS1_3repE0EEENS1_30default_config_static_selectorELNS0_4arch9wavefront6targetE0EEEvT1_.num_named_barrier, 0
	.set _ZN7rocprim17ROCPRIM_400000_NS6detail17trampoline_kernelINS0_14default_configENS1_35adjacent_difference_config_selectorILb0ElEEZNS1_24adjacent_difference_implIS3_Lb0ELb0EPlS7_ZN2at6native12_GLOBAL__N_124unique_dim_cuda_templateIsEESt5tupleIJNS8_6TensorESD_SD_EERKSD_lbbbEUlllE1_EE10hipError_tPvRmT2_T3_mT4_P12ihipStream_tbEUlT_E_NS1_11comp_targetILNS1_3genE0ELNS1_11target_archE4294967295ELNS1_3gpuE0ELNS1_3repE0EEENS1_30default_config_static_selectorELNS0_4arch9wavefront6targetE0EEEvT1_.private_seg_size, 0
	.set _ZN7rocprim17ROCPRIM_400000_NS6detail17trampoline_kernelINS0_14default_configENS1_35adjacent_difference_config_selectorILb0ElEEZNS1_24adjacent_difference_implIS3_Lb0ELb0EPlS7_ZN2at6native12_GLOBAL__N_124unique_dim_cuda_templateIsEESt5tupleIJNS8_6TensorESD_SD_EERKSD_lbbbEUlllE1_EE10hipError_tPvRmT2_T3_mT4_P12ihipStream_tbEUlT_E_NS1_11comp_targetILNS1_3genE0ELNS1_11target_archE4294967295ELNS1_3gpuE0ELNS1_3repE0EEENS1_30default_config_static_selectorELNS0_4arch9wavefront6targetE0EEEvT1_.uses_vcc, 1
	.set _ZN7rocprim17ROCPRIM_400000_NS6detail17trampoline_kernelINS0_14default_configENS1_35adjacent_difference_config_selectorILb0ElEEZNS1_24adjacent_difference_implIS3_Lb0ELb0EPlS7_ZN2at6native12_GLOBAL__N_124unique_dim_cuda_templateIsEESt5tupleIJNS8_6TensorESD_SD_EERKSD_lbbbEUlllE1_EE10hipError_tPvRmT2_T3_mT4_P12ihipStream_tbEUlT_E_NS1_11comp_targetILNS1_3genE0ELNS1_11target_archE4294967295ELNS1_3gpuE0ELNS1_3repE0EEENS1_30default_config_static_selectorELNS0_4arch9wavefront6targetE0EEEvT1_.uses_flat_scratch, 0
	.set _ZN7rocprim17ROCPRIM_400000_NS6detail17trampoline_kernelINS0_14default_configENS1_35adjacent_difference_config_selectorILb0ElEEZNS1_24adjacent_difference_implIS3_Lb0ELb0EPlS7_ZN2at6native12_GLOBAL__N_124unique_dim_cuda_templateIsEESt5tupleIJNS8_6TensorESD_SD_EERKSD_lbbbEUlllE1_EE10hipError_tPvRmT2_T3_mT4_P12ihipStream_tbEUlT_E_NS1_11comp_targetILNS1_3genE0ELNS1_11target_archE4294967295ELNS1_3gpuE0ELNS1_3repE0EEENS1_30default_config_static_selectorELNS0_4arch9wavefront6targetE0EEEvT1_.has_dyn_sized_stack, 0
	.set _ZN7rocprim17ROCPRIM_400000_NS6detail17trampoline_kernelINS0_14default_configENS1_35adjacent_difference_config_selectorILb0ElEEZNS1_24adjacent_difference_implIS3_Lb0ELb0EPlS7_ZN2at6native12_GLOBAL__N_124unique_dim_cuda_templateIsEESt5tupleIJNS8_6TensorESD_SD_EERKSD_lbbbEUlllE1_EE10hipError_tPvRmT2_T3_mT4_P12ihipStream_tbEUlT_E_NS1_11comp_targetILNS1_3genE0ELNS1_11target_archE4294967295ELNS1_3gpuE0ELNS1_3repE0EEENS1_30default_config_static_selectorELNS0_4arch9wavefront6targetE0EEEvT1_.has_recursion, 0
	.set _ZN7rocprim17ROCPRIM_400000_NS6detail17trampoline_kernelINS0_14default_configENS1_35adjacent_difference_config_selectorILb0ElEEZNS1_24adjacent_difference_implIS3_Lb0ELb0EPlS7_ZN2at6native12_GLOBAL__N_124unique_dim_cuda_templateIsEESt5tupleIJNS8_6TensorESD_SD_EERKSD_lbbbEUlllE1_EE10hipError_tPvRmT2_T3_mT4_P12ihipStream_tbEUlT_E_NS1_11comp_targetILNS1_3genE0ELNS1_11target_archE4294967295ELNS1_3gpuE0ELNS1_3repE0EEENS1_30default_config_static_selectorELNS0_4arch9wavefront6targetE0EEEvT1_.has_indirect_call, 0
	.section	.AMDGPU.csdata,"",@progbits
; Kernel info:
; codeLenInByte = 1720
; TotalNumSgprs: 26
; NumVgprs: 11
; ScratchSize: 0
; MemoryBound: 0
; FloatMode: 240
; IeeeMode: 1
; LDSByteSize: 2048 bytes/workgroup (compile time only)
; SGPRBlocks: 0
; VGPRBlocks: 0
; NumSGPRsForWavesPerEU: 26
; NumVGPRsForWavesPerEU: 11
; NamedBarCnt: 0
; Occupancy: 16
; WaveLimiterHint : 0
; COMPUTE_PGM_RSRC2:SCRATCH_EN: 0
; COMPUTE_PGM_RSRC2:USER_SGPR: 2
; COMPUTE_PGM_RSRC2:TRAP_HANDLER: 0
; COMPUTE_PGM_RSRC2:TGID_X_EN: 1
; COMPUTE_PGM_RSRC2:TGID_Y_EN: 0
; COMPUTE_PGM_RSRC2:TGID_Z_EN: 0
; COMPUTE_PGM_RSRC2:TIDIG_COMP_CNT: 0
	.section	.text._ZN7rocprim17ROCPRIM_400000_NS6detail17trampoline_kernelINS0_14default_configENS1_35adjacent_difference_config_selectorILb0ElEEZNS1_24adjacent_difference_implIS3_Lb0ELb0EPlS7_ZN2at6native12_GLOBAL__N_124unique_dim_cuda_templateIsEESt5tupleIJNS8_6TensorESD_SD_EERKSD_lbbbEUlllE1_EE10hipError_tPvRmT2_T3_mT4_P12ihipStream_tbEUlT_E_NS1_11comp_targetILNS1_3genE10ELNS1_11target_archE1201ELNS1_3gpuE5ELNS1_3repE0EEENS1_30default_config_static_selectorELNS0_4arch9wavefront6targetE0EEEvT1_,"axG",@progbits,_ZN7rocprim17ROCPRIM_400000_NS6detail17trampoline_kernelINS0_14default_configENS1_35adjacent_difference_config_selectorILb0ElEEZNS1_24adjacent_difference_implIS3_Lb0ELb0EPlS7_ZN2at6native12_GLOBAL__N_124unique_dim_cuda_templateIsEESt5tupleIJNS8_6TensorESD_SD_EERKSD_lbbbEUlllE1_EE10hipError_tPvRmT2_T3_mT4_P12ihipStream_tbEUlT_E_NS1_11comp_targetILNS1_3genE10ELNS1_11target_archE1201ELNS1_3gpuE5ELNS1_3repE0EEENS1_30default_config_static_selectorELNS0_4arch9wavefront6targetE0EEEvT1_,comdat
	.globl	_ZN7rocprim17ROCPRIM_400000_NS6detail17trampoline_kernelINS0_14default_configENS1_35adjacent_difference_config_selectorILb0ElEEZNS1_24adjacent_difference_implIS3_Lb0ELb0EPlS7_ZN2at6native12_GLOBAL__N_124unique_dim_cuda_templateIsEESt5tupleIJNS8_6TensorESD_SD_EERKSD_lbbbEUlllE1_EE10hipError_tPvRmT2_T3_mT4_P12ihipStream_tbEUlT_E_NS1_11comp_targetILNS1_3genE10ELNS1_11target_archE1201ELNS1_3gpuE5ELNS1_3repE0EEENS1_30default_config_static_selectorELNS0_4arch9wavefront6targetE0EEEvT1_ ; -- Begin function _ZN7rocprim17ROCPRIM_400000_NS6detail17trampoline_kernelINS0_14default_configENS1_35adjacent_difference_config_selectorILb0ElEEZNS1_24adjacent_difference_implIS3_Lb0ELb0EPlS7_ZN2at6native12_GLOBAL__N_124unique_dim_cuda_templateIsEESt5tupleIJNS8_6TensorESD_SD_EERKSD_lbbbEUlllE1_EE10hipError_tPvRmT2_T3_mT4_P12ihipStream_tbEUlT_E_NS1_11comp_targetILNS1_3genE10ELNS1_11target_archE1201ELNS1_3gpuE5ELNS1_3repE0EEENS1_30default_config_static_selectorELNS0_4arch9wavefront6targetE0EEEvT1_
	.p2align	8
	.type	_ZN7rocprim17ROCPRIM_400000_NS6detail17trampoline_kernelINS0_14default_configENS1_35adjacent_difference_config_selectorILb0ElEEZNS1_24adjacent_difference_implIS3_Lb0ELb0EPlS7_ZN2at6native12_GLOBAL__N_124unique_dim_cuda_templateIsEESt5tupleIJNS8_6TensorESD_SD_EERKSD_lbbbEUlllE1_EE10hipError_tPvRmT2_T3_mT4_P12ihipStream_tbEUlT_E_NS1_11comp_targetILNS1_3genE10ELNS1_11target_archE1201ELNS1_3gpuE5ELNS1_3repE0EEENS1_30default_config_static_selectorELNS0_4arch9wavefront6targetE0EEEvT1_,@function
_ZN7rocprim17ROCPRIM_400000_NS6detail17trampoline_kernelINS0_14default_configENS1_35adjacent_difference_config_selectorILb0ElEEZNS1_24adjacent_difference_implIS3_Lb0ELb0EPlS7_ZN2at6native12_GLOBAL__N_124unique_dim_cuda_templateIsEESt5tupleIJNS8_6TensorESD_SD_EERKSD_lbbbEUlllE1_EE10hipError_tPvRmT2_T3_mT4_P12ihipStream_tbEUlT_E_NS1_11comp_targetILNS1_3genE10ELNS1_11target_archE1201ELNS1_3gpuE5ELNS1_3repE0EEENS1_30default_config_static_selectorELNS0_4arch9wavefront6targetE0EEEvT1_: ; @_ZN7rocprim17ROCPRIM_400000_NS6detail17trampoline_kernelINS0_14default_configENS1_35adjacent_difference_config_selectorILb0ElEEZNS1_24adjacent_difference_implIS3_Lb0ELb0EPlS7_ZN2at6native12_GLOBAL__N_124unique_dim_cuda_templateIsEESt5tupleIJNS8_6TensorESD_SD_EERKSD_lbbbEUlllE1_EE10hipError_tPvRmT2_T3_mT4_P12ihipStream_tbEUlT_E_NS1_11comp_targetILNS1_3genE10ELNS1_11target_archE1201ELNS1_3gpuE5ELNS1_3repE0EEENS1_30default_config_static_selectorELNS0_4arch9wavefront6targetE0EEEvT1_
; %bb.0:
	.section	.rodata,"a",@progbits
	.p2align	6, 0x0
	.amdhsa_kernel _ZN7rocprim17ROCPRIM_400000_NS6detail17trampoline_kernelINS0_14default_configENS1_35adjacent_difference_config_selectorILb0ElEEZNS1_24adjacent_difference_implIS3_Lb0ELb0EPlS7_ZN2at6native12_GLOBAL__N_124unique_dim_cuda_templateIsEESt5tupleIJNS8_6TensorESD_SD_EERKSD_lbbbEUlllE1_EE10hipError_tPvRmT2_T3_mT4_P12ihipStream_tbEUlT_E_NS1_11comp_targetILNS1_3genE10ELNS1_11target_archE1201ELNS1_3gpuE5ELNS1_3repE0EEENS1_30default_config_static_selectorELNS0_4arch9wavefront6targetE0EEEvT1_
		.amdhsa_group_segment_fixed_size 0
		.amdhsa_private_segment_fixed_size 0
		.amdhsa_kernarg_size 64
		.amdhsa_user_sgpr_count 2
		.amdhsa_user_sgpr_dispatch_ptr 0
		.amdhsa_user_sgpr_queue_ptr 0
		.amdhsa_user_sgpr_kernarg_segment_ptr 1
		.amdhsa_user_sgpr_dispatch_id 0
		.amdhsa_user_sgpr_kernarg_preload_length 0
		.amdhsa_user_sgpr_kernarg_preload_offset 0
		.amdhsa_user_sgpr_private_segment_size 0
		.amdhsa_wavefront_size32 1
		.amdhsa_uses_dynamic_stack 0
		.amdhsa_enable_private_segment 0
		.amdhsa_system_sgpr_workgroup_id_x 1
		.amdhsa_system_sgpr_workgroup_id_y 0
		.amdhsa_system_sgpr_workgroup_id_z 0
		.amdhsa_system_sgpr_workgroup_info 0
		.amdhsa_system_vgpr_workitem_id 0
		.amdhsa_next_free_vgpr 1
		.amdhsa_next_free_sgpr 1
		.amdhsa_named_barrier_count 0
		.amdhsa_reserve_vcc 0
		.amdhsa_float_round_mode_32 0
		.amdhsa_float_round_mode_16_64 0
		.amdhsa_float_denorm_mode_32 3
		.amdhsa_float_denorm_mode_16_64 3
		.amdhsa_fp16_overflow 0
		.amdhsa_memory_ordered 1
		.amdhsa_forward_progress 1
		.amdhsa_inst_pref_size 0
		.amdhsa_round_robin_scheduling 0
		.amdhsa_exception_fp_ieee_invalid_op 0
		.amdhsa_exception_fp_denorm_src 0
		.amdhsa_exception_fp_ieee_div_zero 0
		.amdhsa_exception_fp_ieee_overflow 0
		.amdhsa_exception_fp_ieee_underflow 0
		.amdhsa_exception_fp_ieee_inexact 0
		.amdhsa_exception_int_div_zero 0
	.end_amdhsa_kernel
	.section	.text._ZN7rocprim17ROCPRIM_400000_NS6detail17trampoline_kernelINS0_14default_configENS1_35adjacent_difference_config_selectorILb0ElEEZNS1_24adjacent_difference_implIS3_Lb0ELb0EPlS7_ZN2at6native12_GLOBAL__N_124unique_dim_cuda_templateIsEESt5tupleIJNS8_6TensorESD_SD_EERKSD_lbbbEUlllE1_EE10hipError_tPvRmT2_T3_mT4_P12ihipStream_tbEUlT_E_NS1_11comp_targetILNS1_3genE10ELNS1_11target_archE1201ELNS1_3gpuE5ELNS1_3repE0EEENS1_30default_config_static_selectorELNS0_4arch9wavefront6targetE0EEEvT1_,"axG",@progbits,_ZN7rocprim17ROCPRIM_400000_NS6detail17trampoline_kernelINS0_14default_configENS1_35adjacent_difference_config_selectorILb0ElEEZNS1_24adjacent_difference_implIS3_Lb0ELb0EPlS7_ZN2at6native12_GLOBAL__N_124unique_dim_cuda_templateIsEESt5tupleIJNS8_6TensorESD_SD_EERKSD_lbbbEUlllE1_EE10hipError_tPvRmT2_T3_mT4_P12ihipStream_tbEUlT_E_NS1_11comp_targetILNS1_3genE10ELNS1_11target_archE1201ELNS1_3gpuE5ELNS1_3repE0EEENS1_30default_config_static_selectorELNS0_4arch9wavefront6targetE0EEEvT1_,comdat
.Lfunc_end661:
	.size	_ZN7rocprim17ROCPRIM_400000_NS6detail17trampoline_kernelINS0_14default_configENS1_35adjacent_difference_config_selectorILb0ElEEZNS1_24adjacent_difference_implIS3_Lb0ELb0EPlS7_ZN2at6native12_GLOBAL__N_124unique_dim_cuda_templateIsEESt5tupleIJNS8_6TensorESD_SD_EERKSD_lbbbEUlllE1_EE10hipError_tPvRmT2_T3_mT4_P12ihipStream_tbEUlT_E_NS1_11comp_targetILNS1_3genE10ELNS1_11target_archE1201ELNS1_3gpuE5ELNS1_3repE0EEENS1_30default_config_static_selectorELNS0_4arch9wavefront6targetE0EEEvT1_, .Lfunc_end661-_ZN7rocprim17ROCPRIM_400000_NS6detail17trampoline_kernelINS0_14default_configENS1_35adjacent_difference_config_selectorILb0ElEEZNS1_24adjacent_difference_implIS3_Lb0ELb0EPlS7_ZN2at6native12_GLOBAL__N_124unique_dim_cuda_templateIsEESt5tupleIJNS8_6TensorESD_SD_EERKSD_lbbbEUlllE1_EE10hipError_tPvRmT2_T3_mT4_P12ihipStream_tbEUlT_E_NS1_11comp_targetILNS1_3genE10ELNS1_11target_archE1201ELNS1_3gpuE5ELNS1_3repE0EEENS1_30default_config_static_selectorELNS0_4arch9wavefront6targetE0EEEvT1_
                                        ; -- End function
	.set _ZN7rocprim17ROCPRIM_400000_NS6detail17trampoline_kernelINS0_14default_configENS1_35adjacent_difference_config_selectorILb0ElEEZNS1_24adjacent_difference_implIS3_Lb0ELb0EPlS7_ZN2at6native12_GLOBAL__N_124unique_dim_cuda_templateIsEESt5tupleIJNS8_6TensorESD_SD_EERKSD_lbbbEUlllE1_EE10hipError_tPvRmT2_T3_mT4_P12ihipStream_tbEUlT_E_NS1_11comp_targetILNS1_3genE10ELNS1_11target_archE1201ELNS1_3gpuE5ELNS1_3repE0EEENS1_30default_config_static_selectorELNS0_4arch9wavefront6targetE0EEEvT1_.num_vgpr, 0
	.set _ZN7rocprim17ROCPRIM_400000_NS6detail17trampoline_kernelINS0_14default_configENS1_35adjacent_difference_config_selectorILb0ElEEZNS1_24adjacent_difference_implIS3_Lb0ELb0EPlS7_ZN2at6native12_GLOBAL__N_124unique_dim_cuda_templateIsEESt5tupleIJNS8_6TensorESD_SD_EERKSD_lbbbEUlllE1_EE10hipError_tPvRmT2_T3_mT4_P12ihipStream_tbEUlT_E_NS1_11comp_targetILNS1_3genE10ELNS1_11target_archE1201ELNS1_3gpuE5ELNS1_3repE0EEENS1_30default_config_static_selectorELNS0_4arch9wavefront6targetE0EEEvT1_.num_agpr, 0
	.set _ZN7rocprim17ROCPRIM_400000_NS6detail17trampoline_kernelINS0_14default_configENS1_35adjacent_difference_config_selectorILb0ElEEZNS1_24adjacent_difference_implIS3_Lb0ELb0EPlS7_ZN2at6native12_GLOBAL__N_124unique_dim_cuda_templateIsEESt5tupleIJNS8_6TensorESD_SD_EERKSD_lbbbEUlllE1_EE10hipError_tPvRmT2_T3_mT4_P12ihipStream_tbEUlT_E_NS1_11comp_targetILNS1_3genE10ELNS1_11target_archE1201ELNS1_3gpuE5ELNS1_3repE0EEENS1_30default_config_static_selectorELNS0_4arch9wavefront6targetE0EEEvT1_.numbered_sgpr, 0
	.set _ZN7rocprim17ROCPRIM_400000_NS6detail17trampoline_kernelINS0_14default_configENS1_35adjacent_difference_config_selectorILb0ElEEZNS1_24adjacent_difference_implIS3_Lb0ELb0EPlS7_ZN2at6native12_GLOBAL__N_124unique_dim_cuda_templateIsEESt5tupleIJNS8_6TensorESD_SD_EERKSD_lbbbEUlllE1_EE10hipError_tPvRmT2_T3_mT4_P12ihipStream_tbEUlT_E_NS1_11comp_targetILNS1_3genE10ELNS1_11target_archE1201ELNS1_3gpuE5ELNS1_3repE0EEENS1_30default_config_static_selectorELNS0_4arch9wavefront6targetE0EEEvT1_.num_named_barrier, 0
	.set _ZN7rocprim17ROCPRIM_400000_NS6detail17trampoline_kernelINS0_14default_configENS1_35adjacent_difference_config_selectorILb0ElEEZNS1_24adjacent_difference_implIS3_Lb0ELb0EPlS7_ZN2at6native12_GLOBAL__N_124unique_dim_cuda_templateIsEESt5tupleIJNS8_6TensorESD_SD_EERKSD_lbbbEUlllE1_EE10hipError_tPvRmT2_T3_mT4_P12ihipStream_tbEUlT_E_NS1_11comp_targetILNS1_3genE10ELNS1_11target_archE1201ELNS1_3gpuE5ELNS1_3repE0EEENS1_30default_config_static_selectorELNS0_4arch9wavefront6targetE0EEEvT1_.private_seg_size, 0
	.set _ZN7rocprim17ROCPRIM_400000_NS6detail17trampoline_kernelINS0_14default_configENS1_35adjacent_difference_config_selectorILb0ElEEZNS1_24adjacent_difference_implIS3_Lb0ELb0EPlS7_ZN2at6native12_GLOBAL__N_124unique_dim_cuda_templateIsEESt5tupleIJNS8_6TensorESD_SD_EERKSD_lbbbEUlllE1_EE10hipError_tPvRmT2_T3_mT4_P12ihipStream_tbEUlT_E_NS1_11comp_targetILNS1_3genE10ELNS1_11target_archE1201ELNS1_3gpuE5ELNS1_3repE0EEENS1_30default_config_static_selectorELNS0_4arch9wavefront6targetE0EEEvT1_.uses_vcc, 0
	.set _ZN7rocprim17ROCPRIM_400000_NS6detail17trampoline_kernelINS0_14default_configENS1_35adjacent_difference_config_selectorILb0ElEEZNS1_24adjacent_difference_implIS3_Lb0ELb0EPlS7_ZN2at6native12_GLOBAL__N_124unique_dim_cuda_templateIsEESt5tupleIJNS8_6TensorESD_SD_EERKSD_lbbbEUlllE1_EE10hipError_tPvRmT2_T3_mT4_P12ihipStream_tbEUlT_E_NS1_11comp_targetILNS1_3genE10ELNS1_11target_archE1201ELNS1_3gpuE5ELNS1_3repE0EEENS1_30default_config_static_selectorELNS0_4arch9wavefront6targetE0EEEvT1_.uses_flat_scratch, 0
	.set _ZN7rocprim17ROCPRIM_400000_NS6detail17trampoline_kernelINS0_14default_configENS1_35adjacent_difference_config_selectorILb0ElEEZNS1_24adjacent_difference_implIS3_Lb0ELb0EPlS7_ZN2at6native12_GLOBAL__N_124unique_dim_cuda_templateIsEESt5tupleIJNS8_6TensorESD_SD_EERKSD_lbbbEUlllE1_EE10hipError_tPvRmT2_T3_mT4_P12ihipStream_tbEUlT_E_NS1_11comp_targetILNS1_3genE10ELNS1_11target_archE1201ELNS1_3gpuE5ELNS1_3repE0EEENS1_30default_config_static_selectorELNS0_4arch9wavefront6targetE0EEEvT1_.has_dyn_sized_stack, 0
	.set _ZN7rocprim17ROCPRIM_400000_NS6detail17trampoline_kernelINS0_14default_configENS1_35adjacent_difference_config_selectorILb0ElEEZNS1_24adjacent_difference_implIS3_Lb0ELb0EPlS7_ZN2at6native12_GLOBAL__N_124unique_dim_cuda_templateIsEESt5tupleIJNS8_6TensorESD_SD_EERKSD_lbbbEUlllE1_EE10hipError_tPvRmT2_T3_mT4_P12ihipStream_tbEUlT_E_NS1_11comp_targetILNS1_3genE10ELNS1_11target_archE1201ELNS1_3gpuE5ELNS1_3repE0EEENS1_30default_config_static_selectorELNS0_4arch9wavefront6targetE0EEEvT1_.has_recursion, 0
	.set _ZN7rocprim17ROCPRIM_400000_NS6detail17trampoline_kernelINS0_14default_configENS1_35adjacent_difference_config_selectorILb0ElEEZNS1_24adjacent_difference_implIS3_Lb0ELb0EPlS7_ZN2at6native12_GLOBAL__N_124unique_dim_cuda_templateIsEESt5tupleIJNS8_6TensorESD_SD_EERKSD_lbbbEUlllE1_EE10hipError_tPvRmT2_T3_mT4_P12ihipStream_tbEUlT_E_NS1_11comp_targetILNS1_3genE10ELNS1_11target_archE1201ELNS1_3gpuE5ELNS1_3repE0EEENS1_30default_config_static_selectorELNS0_4arch9wavefront6targetE0EEEvT1_.has_indirect_call, 0
	.section	.AMDGPU.csdata,"",@progbits
; Kernel info:
; codeLenInByte = 0
; TotalNumSgprs: 0
; NumVgprs: 0
; ScratchSize: 0
; MemoryBound: 0
; FloatMode: 240
; IeeeMode: 1
; LDSByteSize: 0 bytes/workgroup (compile time only)
; SGPRBlocks: 0
; VGPRBlocks: 0
; NumSGPRsForWavesPerEU: 1
; NumVGPRsForWavesPerEU: 1
; NamedBarCnt: 0
; Occupancy: 16
; WaveLimiterHint : 0
; COMPUTE_PGM_RSRC2:SCRATCH_EN: 0
; COMPUTE_PGM_RSRC2:USER_SGPR: 2
; COMPUTE_PGM_RSRC2:TRAP_HANDLER: 0
; COMPUTE_PGM_RSRC2:TGID_X_EN: 1
; COMPUTE_PGM_RSRC2:TGID_Y_EN: 0
; COMPUTE_PGM_RSRC2:TGID_Z_EN: 0
; COMPUTE_PGM_RSRC2:TIDIG_COMP_CNT: 0
	.section	.text._ZN7rocprim17ROCPRIM_400000_NS6detail17trampoline_kernelINS0_14default_configENS1_35adjacent_difference_config_selectorILb0ElEEZNS1_24adjacent_difference_implIS3_Lb0ELb0EPlS7_ZN2at6native12_GLOBAL__N_124unique_dim_cuda_templateIsEESt5tupleIJNS8_6TensorESD_SD_EERKSD_lbbbEUlllE1_EE10hipError_tPvRmT2_T3_mT4_P12ihipStream_tbEUlT_E_NS1_11comp_targetILNS1_3genE5ELNS1_11target_archE942ELNS1_3gpuE9ELNS1_3repE0EEENS1_30default_config_static_selectorELNS0_4arch9wavefront6targetE0EEEvT1_,"axG",@progbits,_ZN7rocprim17ROCPRIM_400000_NS6detail17trampoline_kernelINS0_14default_configENS1_35adjacent_difference_config_selectorILb0ElEEZNS1_24adjacent_difference_implIS3_Lb0ELb0EPlS7_ZN2at6native12_GLOBAL__N_124unique_dim_cuda_templateIsEESt5tupleIJNS8_6TensorESD_SD_EERKSD_lbbbEUlllE1_EE10hipError_tPvRmT2_T3_mT4_P12ihipStream_tbEUlT_E_NS1_11comp_targetILNS1_3genE5ELNS1_11target_archE942ELNS1_3gpuE9ELNS1_3repE0EEENS1_30default_config_static_selectorELNS0_4arch9wavefront6targetE0EEEvT1_,comdat
	.globl	_ZN7rocprim17ROCPRIM_400000_NS6detail17trampoline_kernelINS0_14default_configENS1_35adjacent_difference_config_selectorILb0ElEEZNS1_24adjacent_difference_implIS3_Lb0ELb0EPlS7_ZN2at6native12_GLOBAL__N_124unique_dim_cuda_templateIsEESt5tupleIJNS8_6TensorESD_SD_EERKSD_lbbbEUlllE1_EE10hipError_tPvRmT2_T3_mT4_P12ihipStream_tbEUlT_E_NS1_11comp_targetILNS1_3genE5ELNS1_11target_archE942ELNS1_3gpuE9ELNS1_3repE0EEENS1_30default_config_static_selectorELNS0_4arch9wavefront6targetE0EEEvT1_ ; -- Begin function _ZN7rocprim17ROCPRIM_400000_NS6detail17trampoline_kernelINS0_14default_configENS1_35adjacent_difference_config_selectorILb0ElEEZNS1_24adjacent_difference_implIS3_Lb0ELb0EPlS7_ZN2at6native12_GLOBAL__N_124unique_dim_cuda_templateIsEESt5tupleIJNS8_6TensorESD_SD_EERKSD_lbbbEUlllE1_EE10hipError_tPvRmT2_T3_mT4_P12ihipStream_tbEUlT_E_NS1_11comp_targetILNS1_3genE5ELNS1_11target_archE942ELNS1_3gpuE9ELNS1_3repE0EEENS1_30default_config_static_selectorELNS0_4arch9wavefront6targetE0EEEvT1_
	.p2align	8
	.type	_ZN7rocprim17ROCPRIM_400000_NS6detail17trampoline_kernelINS0_14default_configENS1_35adjacent_difference_config_selectorILb0ElEEZNS1_24adjacent_difference_implIS3_Lb0ELb0EPlS7_ZN2at6native12_GLOBAL__N_124unique_dim_cuda_templateIsEESt5tupleIJNS8_6TensorESD_SD_EERKSD_lbbbEUlllE1_EE10hipError_tPvRmT2_T3_mT4_P12ihipStream_tbEUlT_E_NS1_11comp_targetILNS1_3genE5ELNS1_11target_archE942ELNS1_3gpuE9ELNS1_3repE0EEENS1_30default_config_static_selectorELNS0_4arch9wavefront6targetE0EEEvT1_,@function
_ZN7rocprim17ROCPRIM_400000_NS6detail17trampoline_kernelINS0_14default_configENS1_35adjacent_difference_config_selectorILb0ElEEZNS1_24adjacent_difference_implIS3_Lb0ELb0EPlS7_ZN2at6native12_GLOBAL__N_124unique_dim_cuda_templateIsEESt5tupleIJNS8_6TensorESD_SD_EERKSD_lbbbEUlllE1_EE10hipError_tPvRmT2_T3_mT4_P12ihipStream_tbEUlT_E_NS1_11comp_targetILNS1_3genE5ELNS1_11target_archE942ELNS1_3gpuE9ELNS1_3repE0EEENS1_30default_config_static_selectorELNS0_4arch9wavefront6targetE0EEEvT1_: ; @_ZN7rocprim17ROCPRIM_400000_NS6detail17trampoline_kernelINS0_14default_configENS1_35adjacent_difference_config_selectorILb0ElEEZNS1_24adjacent_difference_implIS3_Lb0ELb0EPlS7_ZN2at6native12_GLOBAL__N_124unique_dim_cuda_templateIsEESt5tupleIJNS8_6TensorESD_SD_EERKSD_lbbbEUlllE1_EE10hipError_tPvRmT2_T3_mT4_P12ihipStream_tbEUlT_E_NS1_11comp_targetILNS1_3genE5ELNS1_11target_archE942ELNS1_3gpuE9ELNS1_3repE0EEENS1_30default_config_static_selectorELNS0_4arch9wavefront6targetE0EEEvT1_
; %bb.0:
	.section	.rodata,"a",@progbits
	.p2align	6, 0x0
	.amdhsa_kernel _ZN7rocprim17ROCPRIM_400000_NS6detail17trampoline_kernelINS0_14default_configENS1_35adjacent_difference_config_selectorILb0ElEEZNS1_24adjacent_difference_implIS3_Lb0ELb0EPlS7_ZN2at6native12_GLOBAL__N_124unique_dim_cuda_templateIsEESt5tupleIJNS8_6TensorESD_SD_EERKSD_lbbbEUlllE1_EE10hipError_tPvRmT2_T3_mT4_P12ihipStream_tbEUlT_E_NS1_11comp_targetILNS1_3genE5ELNS1_11target_archE942ELNS1_3gpuE9ELNS1_3repE0EEENS1_30default_config_static_selectorELNS0_4arch9wavefront6targetE0EEEvT1_
		.amdhsa_group_segment_fixed_size 0
		.amdhsa_private_segment_fixed_size 0
		.amdhsa_kernarg_size 64
		.amdhsa_user_sgpr_count 2
		.amdhsa_user_sgpr_dispatch_ptr 0
		.amdhsa_user_sgpr_queue_ptr 0
		.amdhsa_user_sgpr_kernarg_segment_ptr 1
		.amdhsa_user_sgpr_dispatch_id 0
		.amdhsa_user_sgpr_kernarg_preload_length 0
		.amdhsa_user_sgpr_kernarg_preload_offset 0
		.amdhsa_user_sgpr_private_segment_size 0
		.amdhsa_wavefront_size32 1
		.amdhsa_uses_dynamic_stack 0
		.amdhsa_enable_private_segment 0
		.amdhsa_system_sgpr_workgroup_id_x 1
		.amdhsa_system_sgpr_workgroup_id_y 0
		.amdhsa_system_sgpr_workgroup_id_z 0
		.amdhsa_system_sgpr_workgroup_info 0
		.amdhsa_system_vgpr_workitem_id 0
		.amdhsa_next_free_vgpr 1
		.amdhsa_next_free_sgpr 1
		.amdhsa_named_barrier_count 0
		.amdhsa_reserve_vcc 0
		.amdhsa_float_round_mode_32 0
		.amdhsa_float_round_mode_16_64 0
		.amdhsa_float_denorm_mode_32 3
		.amdhsa_float_denorm_mode_16_64 3
		.amdhsa_fp16_overflow 0
		.amdhsa_memory_ordered 1
		.amdhsa_forward_progress 1
		.amdhsa_inst_pref_size 0
		.amdhsa_round_robin_scheduling 0
		.amdhsa_exception_fp_ieee_invalid_op 0
		.amdhsa_exception_fp_denorm_src 0
		.amdhsa_exception_fp_ieee_div_zero 0
		.amdhsa_exception_fp_ieee_overflow 0
		.amdhsa_exception_fp_ieee_underflow 0
		.amdhsa_exception_fp_ieee_inexact 0
		.amdhsa_exception_int_div_zero 0
	.end_amdhsa_kernel
	.section	.text._ZN7rocprim17ROCPRIM_400000_NS6detail17trampoline_kernelINS0_14default_configENS1_35adjacent_difference_config_selectorILb0ElEEZNS1_24adjacent_difference_implIS3_Lb0ELb0EPlS7_ZN2at6native12_GLOBAL__N_124unique_dim_cuda_templateIsEESt5tupleIJNS8_6TensorESD_SD_EERKSD_lbbbEUlllE1_EE10hipError_tPvRmT2_T3_mT4_P12ihipStream_tbEUlT_E_NS1_11comp_targetILNS1_3genE5ELNS1_11target_archE942ELNS1_3gpuE9ELNS1_3repE0EEENS1_30default_config_static_selectorELNS0_4arch9wavefront6targetE0EEEvT1_,"axG",@progbits,_ZN7rocprim17ROCPRIM_400000_NS6detail17trampoline_kernelINS0_14default_configENS1_35adjacent_difference_config_selectorILb0ElEEZNS1_24adjacent_difference_implIS3_Lb0ELb0EPlS7_ZN2at6native12_GLOBAL__N_124unique_dim_cuda_templateIsEESt5tupleIJNS8_6TensorESD_SD_EERKSD_lbbbEUlllE1_EE10hipError_tPvRmT2_T3_mT4_P12ihipStream_tbEUlT_E_NS1_11comp_targetILNS1_3genE5ELNS1_11target_archE942ELNS1_3gpuE9ELNS1_3repE0EEENS1_30default_config_static_selectorELNS0_4arch9wavefront6targetE0EEEvT1_,comdat
.Lfunc_end662:
	.size	_ZN7rocprim17ROCPRIM_400000_NS6detail17trampoline_kernelINS0_14default_configENS1_35adjacent_difference_config_selectorILb0ElEEZNS1_24adjacent_difference_implIS3_Lb0ELb0EPlS7_ZN2at6native12_GLOBAL__N_124unique_dim_cuda_templateIsEESt5tupleIJNS8_6TensorESD_SD_EERKSD_lbbbEUlllE1_EE10hipError_tPvRmT2_T3_mT4_P12ihipStream_tbEUlT_E_NS1_11comp_targetILNS1_3genE5ELNS1_11target_archE942ELNS1_3gpuE9ELNS1_3repE0EEENS1_30default_config_static_selectorELNS0_4arch9wavefront6targetE0EEEvT1_, .Lfunc_end662-_ZN7rocprim17ROCPRIM_400000_NS6detail17trampoline_kernelINS0_14default_configENS1_35adjacent_difference_config_selectorILb0ElEEZNS1_24adjacent_difference_implIS3_Lb0ELb0EPlS7_ZN2at6native12_GLOBAL__N_124unique_dim_cuda_templateIsEESt5tupleIJNS8_6TensorESD_SD_EERKSD_lbbbEUlllE1_EE10hipError_tPvRmT2_T3_mT4_P12ihipStream_tbEUlT_E_NS1_11comp_targetILNS1_3genE5ELNS1_11target_archE942ELNS1_3gpuE9ELNS1_3repE0EEENS1_30default_config_static_selectorELNS0_4arch9wavefront6targetE0EEEvT1_
                                        ; -- End function
	.set _ZN7rocprim17ROCPRIM_400000_NS6detail17trampoline_kernelINS0_14default_configENS1_35adjacent_difference_config_selectorILb0ElEEZNS1_24adjacent_difference_implIS3_Lb0ELb0EPlS7_ZN2at6native12_GLOBAL__N_124unique_dim_cuda_templateIsEESt5tupleIJNS8_6TensorESD_SD_EERKSD_lbbbEUlllE1_EE10hipError_tPvRmT2_T3_mT4_P12ihipStream_tbEUlT_E_NS1_11comp_targetILNS1_3genE5ELNS1_11target_archE942ELNS1_3gpuE9ELNS1_3repE0EEENS1_30default_config_static_selectorELNS0_4arch9wavefront6targetE0EEEvT1_.num_vgpr, 0
	.set _ZN7rocprim17ROCPRIM_400000_NS6detail17trampoline_kernelINS0_14default_configENS1_35adjacent_difference_config_selectorILb0ElEEZNS1_24adjacent_difference_implIS3_Lb0ELb0EPlS7_ZN2at6native12_GLOBAL__N_124unique_dim_cuda_templateIsEESt5tupleIJNS8_6TensorESD_SD_EERKSD_lbbbEUlllE1_EE10hipError_tPvRmT2_T3_mT4_P12ihipStream_tbEUlT_E_NS1_11comp_targetILNS1_3genE5ELNS1_11target_archE942ELNS1_3gpuE9ELNS1_3repE0EEENS1_30default_config_static_selectorELNS0_4arch9wavefront6targetE0EEEvT1_.num_agpr, 0
	.set _ZN7rocprim17ROCPRIM_400000_NS6detail17trampoline_kernelINS0_14default_configENS1_35adjacent_difference_config_selectorILb0ElEEZNS1_24adjacent_difference_implIS3_Lb0ELb0EPlS7_ZN2at6native12_GLOBAL__N_124unique_dim_cuda_templateIsEESt5tupleIJNS8_6TensorESD_SD_EERKSD_lbbbEUlllE1_EE10hipError_tPvRmT2_T3_mT4_P12ihipStream_tbEUlT_E_NS1_11comp_targetILNS1_3genE5ELNS1_11target_archE942ELNS1_3gpuE9ELNS1_3repE0EEENS1_30default_config_static_selectorELNS0_4arch9wavefront6targetE0EEEvT1_.numbered_sgpr, 0
	.set _ZN7rocprim17ROCPRIM_400000_NS6detail17trampoline_kernelINS0_14default_configENS1_35adjacent_difference_config_selectorILb0ElEEZNS1_24adjacent_difference_implIS3_Lb0ELb0EPlS7_ZN2at6native12_GLOBAL__N_124unique_dim_cuda_templateIsEESt5tupleIJNS8_6TensorESD_SD_EERKSD_lbbbEUlllE1_EE10hipError_tPvRmT2_T3_mT4_P12ihipStream_tbEUlT_E_NS1_11comp_targetILNS1_3genE5ELNS1_11target_archE942ELNS1_3gpuE9ELNS1_3repE0EEENS1_30default_config_static_selectorELNS0_4arch9wavefront6targetE0EEEvT1_.num_named_barrier, 0
	.set _ZN7rocprim17ROCPRIM_400000_NS6detail17trampoline_kernelINS0_14default_configENS1_35adjacent_difference_config_selectorILb0ElEEZNS1_24adjacent_difference_implIS3_Lb0ELb0EPlS7_ZN2at6native12_GLOBAL__N_124unique_dim_cuda_templateIsEESt5tupleIJNS8_6TensorESD_SD_EERKSD_lbbbEUlllE1_EE10hipError_tPvRmT2_T3_mT4_P12ihipStream_tbEUlT_E_NS1_11comp_targetILNS1_3genE5ELNS1_11target_archE942ELNS1_3gpuE9ELNS1_3repE0EEENS1_30default_config_static_selectorELNS0_4arch9wavefront6targetE0EEEvT1_.private_seg_size, 0
	.set _ZN7rocprim17ROCPRIM_400000_NS6detail17trampoline_kernelINS0_14default_configENS1_35adjacent_difference_config_selectorILb0ElEEZNS1_24adjacent_difference_implIS3_Lb0ELb0EPlS7_ZN2at6native12_GLOBAL__N_124unique_dim_cuda_templateIsEESt5tupleIJNS8_6TensorESD_SD_EERKSD_lbbbEUlllE1_EE10hipError_tPvRmT2_T3_mT4_P12ihipStream_tbEUlT_E_NS1_11comp_targetILNS1_3genE5ELNS1_11target_archE942ELNS1_3gpuE9ELNS1_3repE0EEENS1_30default_config_static_selectorELNS0_4arch9wavefront6targetE0EEEvT1_.uses_vcc, 0
	.set _ZN7rocprim17ROCPRIM_400000_NS6detail17trampoline_kernelINS0_14default_configENS1_35adjacent_difference_config_selectorILb0ElEEZNS1_24adjacent_difference_implIS3_Lb0ELb0EPlS7_ZN2at6native12_GLOBAL__N_124unique_dim_cuda_templateIsEESt5tupleIJNS8_6TensorESD_SD_EERKSD_lbbbEUlllE1_EE10hipError_tPvRmT2_T3_mT4_P12ihipStream_tbEUlT_E_NS1_11comp_targetILNS1_3genE5ELNS1_11target_archE942ELNS1_3gpuE9ELNS1_3repE0EEENS1_30default_config_static_selectorELNS0_4arch9wavefront6targetE0EEEvT1_.uses_flat_scratch, 0
	.set _ZN7rocprim17ROCPRIM_400000_NS6detail17trampoline_kernelINS0_14default_configENS1_35adjacent_difference_config_selectorILb0ElEEZNS1_24adjacent_difference_implIS3_Lb0ELb0EPlS7_ZN2at6native12_GLOBAL__N_124unique_dim_cuda_templateIsEESt5tupleIJNS8_6TensorESD_SD_EERKSD_lbbbEUlllE1_EE10hipError_tPvRmT2_T3_mT4_P12ihipStream_tbEUlT_E_NS1_11comp_targetILNS1_3genE5ELNS1_11target_archE942ELNS1_3gpuE9ELNS1_3repE0EEENS1_30default_config_static_selectorELNS0_4arch9wavefront6targetE0EEEvT1_.has_dyn_sized_stack, 0
	.set _ZN7rocprim17ROCPRIM_400000_NS6detail17trampoline_kernelINS0_14default_configENS1_35adjacent_difference_config_selectorILb0ElEEZNS1_24adjacent_difference_implIS3_Lb0ELb0EPlS7_ZN2at6native12_GLOBAL__N_124unique_dim_cuda_templateIsEESt5tupleIJNS8_6TensorESD_SD_EERKSD_lbbbEUlllE1_EE10hipError_tPvRmT2_T3_mT4_P12ihipStream_tbEUlT_E_NS1_11comp_targetILNS1_3genE5ELNS1_11target_archE942ELNS1_3gpuE9ELNS1_3repE0EEENS1_30default_config_static_selectorELNS0_4arch9wavefront6targetE0EEEvT1_.has_recursion, 0
	.set _ZN7rocprim17ROCPRIM_400000_NS6detail17trampoline_kernelINS0_14default_configENS1_35adjacent_difference_config_selectorILb0ElEEZNS1_24adjacent_difference_implIS3_Lb0ELb0EPlS7_ZN2at6native12_GLOBAL__N_124unique_dim_cuda_templateIsEESt5tupleIJNS8_6TensorESD_SD_EERKSD_lbbbEUlllE1_EE10hipError_tPvRmT2_T3_mT4_P12ihipStream_tbEUlT_E_NS1_11comp_targetILNS1_3genE5ELNS1_11target_archE942ELNS1_3gpuE9ELNS1_3repE0EEENS1_30default_config_static_selectorELNS0_4arch9wavefront6targetE0EEEvT1_.has_indirect_call, 0
	.section	.AMDGPU.csdata,"",@progbits
; Kernel info:
; codeLenInByte = 0
; TotalNumSgprs: 0
; NumVgprs: 0
; ScratchSize: 0
; MemoryBound: 0
; FloatMode: 240
; IeeeMode: 1
; LDSByteSize: 0 bytes/workgroup (compile time only)
; SGPRBlocks: 0
; VGPRBlocks: 0
; NumSGPRsForWavesPerEU: 1
; NumVGPRsForWavesPerEU: 1
; NamedBarCnt: 0
; Occupancy: 16
; WaveLimiterHint : 0
; COMPUTE_PGM_RSRC2:SCRATCH_EN: 0
; COMPUTE_PGM_RSRC2:USER_SGPR: 2
; COMPUTE_PGM_RSRC2:TRAP_HANDLER: 0
; COMPUTE_PGM_RSRC2:TGID_X_EN: 1
; COMPUTE_PGM_RSRC2:TGID_Y_EN: 0
; COMPUTE_PGM_RSRC2:TGID_Z_EN: 0
; COMPUTE_PGM_RSRC2:TIDIG_COMP_CNT: 0
	.section	.text._ZN7rocprim17ROCPRIM_400000_NS6detail17trampoline_kernelINS0_14default_configENS1_35adjacent_difference_config_selectorILb0ElEEZNS1_24adjacent_difference_implIS3_Lb0ELb0EPlS7_ZN2at6native12_GLOBAL__N_124unique_dim_cuda_templateIsEESt5tupleIJNS8_6TensorESD_SD_EERKSD_lbbbEUlllE1_EE10hipError_tPvRmT2_T3_mT4_P12ihipStream_tbEUlT_E_NS1_11comp_targetILNS1_3genE4ELNS1_11target_archE910ELNS1_3gpuE8ELNS1_3repE0EEENS1_30default_config_static_selectorELNS0_4arch9wavefront6targetE0EEEvT1_,"axG",@progbits,_ZN7rocprim17ROCPRIM_400000_NS6detail17trampoline_kernelINS0_14default_configENS1_35adjacent_difference_config_selectorILb0ElEEZNS1_24adjacent_difference_implIS3_Lb0ELb0EPlS7_ZN2at6native12_GLOBAL__N_124unique_dim_cuda_templateIsEESt5tupleIJNS8_6TensorESD_SD_EERKSD_lbbbEUlllE1_EE10hipError_tPvRmT2_T3_mT4_P12ihipStream_tbEUlT_E_NS1_11comp_targetILNS1_3genE4ELNS1_11target_archE910ELNS1_3gpuE8ELNS1_3repE0EEENS1_30default_config_static_selectorELNS0_4arch9wavefront6targetE0EEEvT1_,comdat
	.globl	_ZN7rocprim17ROCPRIM_400000_NS6detail17trampoline_kernelINS0_14default_configENS1_35adjacent_difference_config_selectorILb0ElEEZNS1_24adjacent_difference_implIS3_Lb0ELb0EPlS7_ZN2at6native12_GLOBAL__N_124unique_dim_cuda_templateIsEESt5tupleIJNS8_6TensorESD_SD_EERKSD_lbbbEUlllE1_EE10hipError_tPvRmT2_T3_mT4_P12ihipStream_tbEUlT_E_NS1_11comp_targetILNS1_3genE4ELNS1_11target_archE910ELNS1_3gpuE8ELNS1_3repE0EEENS1_30default_config_static_selectorELNS0_4arch9wavefront6targetE0EEEvT1_ ; -- Begin function _ZN7rocprim17ROCPRIM_400000_NS6detail17trampoline_kernelINS0_14default_configENS1_35adjacent_difference_config_selectorILb0ElEEZNS1_24adjacent_difference_implIS3_Lb0ELb0EPlS7_ZN2at6native12_GLOBAL__N_124unique_dim_cuda_templateIsEESt5tupleIJNS8_6TensorESD_SD_EERKSD_lbbbEUlllE1_EE10hipError_tPvRmT2_T3_mT4_P12ihipStream_tbEUlT_E_NS1_11comp_targetILNS1_3genE4ELNS1_11target_archE910ELNS1_3gpuE8ELNS1_3repE0EEENS1_30default_config_static_selectorELNS0_4arch9wavefront6targetE0EEEvT1_
	.p2align	8
	.type	_ZN7rocprim17ROCPRIM_400000_NS6detail17trampoline_kernelINS0_14default_configENS1_35adjacent_difference_config_selectorILb0ElEEZNS1_24adjacent_difference_implIS3_Lb0ELb0EPlS7_ZN2at6native12_GLOBAL__N_124unique_dim_cuda_templateIsEESt5tupleIJNS8_6TensorESD_SD_EERKSD_lbbbEUlllE1_EE10hipError_tPvRmT2_T3_mT4_P12ihipStream_tbEUlT_E_NS1_11comp_targetILNS1_3genE4ELNS1_11target_archE910ELNS1_3gpuE8ELNS1_3repE0EEENS1_30default_config_static_selectorELNS0_4arch9wavefront6targetE0EEEvT1_,@function
_ZN7rocprim17ROCPRIM_400000_NS6detail17trampoline_kernelINS0_14default_configENS1_35adjacent_difference_config_selectorILb0ElEEZNS1_24adjacent_difference_implIS3_Lb0ELb0EPlS7_ZN2at6native12_GLOBAL__N_124unique_dim_cuda_templateIsEESt5tupleIJNS8_6TensorESD_SD_EERKSD_lbbbEUlllE1_EE10hipError_tPvRmT2_T3_mT4_P12ihipStream_tbEUlT_E_NS1_11comp_targetILNS1_3genE4ELNS1_11target_archE910ELNS1_3gpuE8ELNS1_3repE0EEENS1_30default_config_static_selectorELNS0_4arch9wavefront6targetE0EEEvT1_: ; @_ZN7rocprim17ROCPRIM_400000_NS6detail17trampoline_kernelINS0_14default_configENS1_35adjacent_difference_config_selectorILb0ElEEZNS1_24adjacent_difference_implIS3_Lb0ELb0EPlS7_ZN2at6native12_GLOBAL__N_124unique_dim_cuda_templateIsEESt5tupleIJNS8_6TensorESD_SD_EERKSD_lbbbEUlllE1_EE10hipError_tPvRmT2_T3_mT4_P12ihipStream_tbEUlT_E_NS1_11comp_targetILNS1_3genE4ELNS1_11target_archE910ELNS1_3gpuE8ELNS1_3repE0EEENS1_30default_config_static_selectorELNS0_4arch9wavefront6targetE0EEEvT1_
; %bb.0:
	.section	.rodata,"a",@progbits
	.p2align	6, 0x0
	.amdhsa_kernel _ZN7rocprim17ROCPRIM_400000_NS6detail17trampoline_kernelINS0_14default_configENS1_35adjacent_difference_config_selectorILb0ElEEZNS1_24adjacent_difference_implIS3_Lb0ELb0EPlS7_ZN2at6native12_GLOBAL__N_124unique_dim_cuda_templateIsEESt5tupleIJNS8_6TensorESD_SD_EERKSD_lbbbEUlllE1_EE10hipError_tPvRmT2_T3_mT4_P12ihipStream_tbEUlT_E_NS1_11comp_targetILNS1_3genE4ELNS1_11target_archE910ELNS1_3gpuE8ELNS1_3repE0EEENS1_30default_config_static_selectorELNS0_4arch9wavefront6targetE0EEEvT1_
		.amdhsa_group_segment_fixed_size 0
		.amdhsa_private_segment_fixed_size 0
		.amdhsa_kernarg_size 64
		.amdhsa_user_sgpr_count 2
		.amdhsa_user_sgpr_dispatch_ptr 0
		.amdhsa_user_sgpr_queue_ptr 0
		.amdhsa_user_sgpr_kernarg_segment_ptr 1
		.amdhsa_user_sgpr_dispatch_id 0
		.amdhsa_user_sgpr_kernarg_preload_length 0
		.amdhsa_user_sgpr_kernarg_preload_offset 0
		.amdhsa_user_sgpr_private_segment_size 0
		.amdhsa_wavefront_size32 1
		.amdhsa_uses_dynamic_stack 0
		.amdhsa_enable_private_segment 0
		.amdhsa_system_sgpr_workgroup_id_x 1
		.amdhsa_system_sgpr_workgroup_id_y 0
		.amdhsa_system_sgpr_workgroup_id_z 0
		.amdhsa_system_sgpr_workgroup_info 0
		.amdhsa_system_vgpr_workitem_id 0
		.amdhsa_next_free_vgpr 1
		.amdhsa_next_free_sgpr 1
		.amdhsa_named_barrier_count 0
		.amdhsa_reserve_vcc 0
		.amdhsa_float_round_mode_32 0
		.amdhsa_float_round_mode_16_64 0
		.amdhsa_float_denorm_mode_32 3
		.amdhsa_float_denorm_mode_16_64 3
		.amdhsa_fp16_overflow 0
		.amdhsa_memory_ordered 1
		.amdhsa_forward_progress 1
		.amdhsa_inst_pref_size 0
		.amdhsa_round_robin_scheduling 0
		.amdhsa_exception_fp_ieee_invalid_op 0
		.amdhsa_exception_fp_denorm_src 0
		.amdhsa_exception_fp_ieee_div_zero 0
		.amdhsa_exception_fp_ieee_overflow 0
		.amdhsa_exception_fp_ieee_underflow 0
		.amdhsa_exception_fp_ieee_inexact 0
		.amdhsa_exception_int_div_zero 0
	.end_amdhsa_kernel
	.section	.text._ZN7rocprim17ROCPRIM_400000_NS6detail17trampoline_kernelINS0_14default_configENS1_35adjacent_difference_config_selectorILb0ElEEZNS1_24adjacent_difference_implIS3_Lb0ELb0EPlS7_ZN2at6native12_GLOBAL__N_124unique_dim_cuda_templateIsEESt5tupleIJNS8_6TensorESD_SD_EERKSD_lbbbEUlllE1_EE10hipError_tPvRmT2_T3_mT4_P12ihipStream_tbEUlT_E_NS1_11comp_targetILNS1_3genE4ELNS1_11target_archE910ELNS1_3gpuE8ELNS1_3repE0EEENS1_30default_config_static_selectorELNS0_4arch9wavefront6targetE0EEEvT1_,"axG",@progbits,_ZN7rocprim17ROCPRIM_400000_NS6detail17trampoline_kernelINS0_14default_configENS1_35adjacent_difference_config_selectorILb0ElEEZNS1_24adjacent_difference_implIS3_Lb0ELb0EPlS7_ZN2at6native12_GLOBAL__N_124unique_dim_cuda_templateIsEESt5tupleIJNS8_6TensorESD_SD_EERKSD_lbbbEUlllE1_EE10hipError_tPvRmT2_T3_mT4_P12ihipStream_tbEUlT_E_NS1_11comp_targetILNS1_3genE4ELNS1_11target_archE910ELNS1_3gpuE8ELNS1_3repE0EEENS1_30default_config_static_selectorELNS0_4arch9wavefront6targetE0EEEvT1_,comdat
.Lfunc_end663:
	.size	_ZN7rocprim17ROCPRIM_400000_NS6detail17trampoline_kernelINS0_14default_configENS1_35adjacent_difference_config_selectorILb0ElEEZNS1_24adjacent_difference_implIS3_Lb0ELb0EPlS7_ZN2at6native12_GLOBAL__N_124unique_dim_cuda_templateIsEESt5tupleIJNS8_6TensorESD_SD_EERKSD_lbbbEUlllE1_EE10hipError_tPvRmT2_T3_mT4_P12ihipStream_tbEUlT_E_NS1_11comp_targetILNS1_3genE4ELNS1_11target_archE910ELNS1_3gpuE8ELNS1_3repE0EEENS1_30default_config_static_selectorELNS0_4arch9wavefront6targetE0EEEvT1_, .Lfunc_end663-_ZN7rocprim17ROCPRIM_400000_NS6detail17trampoline_kernelINS0_14default_configENS1_35adjacent_difference_config_selectorILb0ElEEZNS1_24adjacent_difference_implIS3_Lb0ELb0EPlS7_ZN2at6native12_GLOBAL__N_124unique_dim_cuda_templateIsEESt5tupleIJNS8_6TensorESD_SD_EERKSD_lbbbEUlllE1_EE10hipError_tPvRmT2_T3_mT4_P12ihipStream_tbEUlT_E_NS1_11comp_targetILNS1_3genE4ELNS1_11target_archE910ELNS1_3gpuE8ELNS1_3repE0EEENS1_30default_config_static_selectorELNS0_4arch9wavefront6targetE0EEEvT1_
                                        ; -- End function
	.set _ZN7rocprim17ROCPRIM_400000_NS6detail17trampoline_kernelINS0_14default_configENS1_35adjacent_difference_config_selectorILb0ElEEZNS1_24adjacent_difference_implIS3_Lb0ELb0EPlS7_ZN2at6native12_GLOBAL__N_124unique_dim_cuda_templateIsEESt5tupleIJNS8_6TensorESD_SD_EERKSD_lbbbEUlllE1_EE10hipError_tPvRmT2_T3_mT4_P12ihipStream_tbEUlT_E_NS1_11comp_targetILNS1_3genE4ELNS1_11target_archE910ELNS1_3gpuE8ELNS1_3repE0EEENS1_30default_config_static_selectorELNS0_4arch9wavefront6targetE0EEEvT1_.num_vgpr, 0
	.set _ZN7rocprim17ROCPRIM_400000_NS6detail17trampoline_kernelINS0_14default_configENS1_35adjacent_difference_config_selectorILb0ElEEZNS1_24adjacent_difference_implIS3_Lb0ELb0EPlS7_ZN2at6native12_GLOBAL__N_124unique_dim_cuda_templateIsEESt5tupleIJNS8_6TensorESD_SD_EERKSD_lbbbEUlllE1_EE10hipError_tPvRmT2_T3_mT4_P12ihipStream_tbEUlT_E_NS1_11comp_targetILNS1_3genE4ELNS1_11target_archE910ELNS1_3gpuE8ELNS1_3repE0EEENS1_30default_config_static_selectorELNS0_4arch9wavefront6targetE0EEEvT1_.num_agpr, 0
	.set _ZN7rocprim17ROCPRIM_400000_NS6detail17trampoline_kernelINS0_14default_configENS1_35adjacent_difference_config_selectorILb0ElEEZNS1_24adjacent_difference_implIS3_Lb0ELb0EPlS7_ZN2at6native12_GLOBAL__N_124unique_dim_cuda_templateIsEESt5tupleIJNS8_6TensorESD_SD_EERKSD_lbbbEUlllE1_EE10hipError_tPvRmT2_T3_mT4_P12ihipStream_tbEUlT_E_NS1_11comp_targetILNS1_3genE4ELNS1_11target_archE910ELNS1_3gpuE8ELNS1_3repE0EEENS1_30default_config_static_selectorELNS0_4arch9wavefront6targetE0EEEvT1_.numbered_sgpr, 0
	.set _ZN7rocprim17ROCPRIM_400000_NS6detail17trampoline_kernelINS0_14default_configENS1_35adjacent_difference_config_selectorILb0ElEEZNS1_24adjacent_difference_implIS3_Lb0ELb0EPlS7_ZN2at6native12_GLOBAL__N_124unique_dim_cuda_templateIsEESt5tupleIJNS8_6TensorESD_SD_EERKSD_lbbbEUlllE1_EE10hipError_tPvRmT2_T3_mT4_P12ihipStream_tbEUlT_E_NS1_11comp_targetILNS1_3genE4ELNS1_11target_archE910ELNS1_3gpuE8ELNS1_3repE0EEENS1_30default_config_static_selectorELNS0_4arch9wavefront6targetE0EEEvT1_.num_named_barrier, 0
	.set _ZN7rocprim17ROCPRIM_400000_NS6detail17trampoline_kernelINS0_14default_configENS1_35adjacent_difference_config_selectorILb0ElEEZNS1_24adjacent_difference_implIS3_Lb0ELb0EPlS7_ZN2at6native12_GLOBAL__N_124unique_dim_cuda_templateIsEESt5tupleIJNS8_6TensorESD_SD_EERKSD_lbbbEUlllE1_EE10hipError_tPvRmT2_T3_mT4_P12ihipStream_tbEUlT_E_NS1_11comp_targetILNS1_3genE4ELNS1_11target_archE910ELNS1_3gpuE8ELNS1_3repE0EEENS1_30default_config_static_selectorELNS0_4arch9wavefront6targetE0EEEvT1_.private_seg_size, 0
	.set _ZN7rocprim17ROCPRIM_400000_NS6detail17trampoline_kernelINS0_14default_configENS1_35adjacent_difference_config_selectorILb0ElEEZNS1_24adjacent_difference_implIS3_Lb0ELb0EPlS7_ZN2at6native12_GLOBAL__N_124unique_dim_cuda_templateIsEESt5tupleIJNS8_6TensorESD_SD_EERKSD_lbbbEUlllE1_EE10hipError_tPvRmT2_T3_mT4_P12ihipStream_tbEUlT_E_NS1_11comp_targetILNS1_3genE4ELNS1_11target_archE910ELNS1_3gpuE8ELNS1_3repE0EEENS1_30default_config_static_selectorELNS0_4arch9wavefront6targetE0EEEvT1_.uses_vcc, 0
	.set _ZN7rocprim17ROCPRIM_400000_NS6detail17trampoline_kernelINS0_14default_configENS1_35adjacent_difference_config_selectorILb0ElEEZNS1_24adjacent_difference_implIS3_Lb0ELb0EPlS7_ZN2at6native12_GLOBAL__N_124unique_dim_cuda_templateIsEESt5tupleIJNS8_6TensorESD_SD_EERKSD_lbbbEUlllE1_EE10hipError_tPvRmT2_T3_mT4_P12ihipStream_tbEUlT_E_NS1_11comp_targetILNS1_3genE4ELNS1_11target_archE910ELNS1_3gpuE8ELNS1_3repE0EEENS1_30default_config_static_selectorELNS0_4arch9wavefront6targetE0EEEvT1_.uses_flat_scratch, 0
	.set _ZN7rocprim17ROCPRIM_400000_NS6detail17trampoline_kernelINS0_14default_configENS1_35adjacent_difference_config_selectorILb0ElEEZNS1_24adjacent_difference_implIS3_Lb0ELb0EPlS7_ZN2at6native12_GLOBAL__N_124unique_dim_cuda_templateIsEESt5tupleIJNS8_6TensorESD_SD_EERKSD_lbbbEUlllE1_EE10hipError_tPvRmT2_T3_mT4_P12ihipStream_tbEUlT_E_NS1_11comp_targetILNS1_3genE4ELNS1_11target_archE910ELNS1_3gpuE8ELNS1_3repE0EEENS1_30default_config_static_selectorELNS0_4arch9wavefront6targetE0EEEvT1_.has_dyn_sized_stack, 0
	.set _ZN7rocprim17ROCPRIM_400000_NS6detail17trampoline_kernelINS0_14default_configENS1_35adjacent_difference_config_selectorILb0ElEEZNS1_24adjacent_difference_implIS3_Lb0ELb0EPlS7_ZN2at6native12_GLOBAL__N_124unique_dim_cuda_templateIsEESt5tupleIJNS8_6TensorESD_SD_EERKSD_lbbbEUlllE1_EE10hipError_tPvRmT2_T3_mT4_P12ihipStream_tbEUlT_E_NS1_11comp_targetILNS1_3genE4ELNS1_11target_archE910ELNS1_3gpuE8ELNS1_3repE0EEENS1_30default_config_static_selectorELNS0_4arch9wavefront6targetE0EEEvT1_.has_recursion, 0
	.set _ZN7rocprim17ROCPRIM_400000_NS6detail17trampoline_kernelINS0_14default_configENS1_35adjacent_difference_config_selectorILb0ElEEZNS1_24adjacent_difference_implIS3_Lb0ELb0EPlS7_ZN2at6native12_GLOBAL__N_124unique_dim_cuda_templateIsEESt5tupleIJNS8_6TensorESD_SD_EERKSD_lbbbEUlllE1_EE10hipError_tPvRmT2_T3_mT4_P12ihipStream_tbEUlT_E_NS1_11comp_targetILNS1_3genE4ELNS1_11target_archE910ELNS1_3gpuE8ELNS1_3repE0EEENS1_30default_config_static_selectorELNS0_4arch9wavefront6targetE0EEEvT1_.has_indirect_call, 0
	.section	.AMDGPU.csdata,"",@progbits
; Kernel info:
; codeLenInByte = 0
; TotalNumSgprs: 0
; NumVgprs: 0
; ScratchSize: 0
; MemoryBound: 0
; FloatMode: 240
; IeeeMode: 1
; LDSByteSize: 0 bytes/workgroup (compile time only)
; SGPRBlocks: 0
; VGPRBlocks: 0
; NumSGPRsForWavesPerEU: 1
; NumVGPRsForWavesPerEU: 1
; NamedBarCnt: 0
; Occupancy: 16
; WaveLimiterHint : 0
; COMPUTE_PGM_RSRC2:SCRATCH_EN: 0
; COMPUTE_PGM_RSRC2:USER_SGPR: 2
; COMPUTE_PGM_RSRC2:TRAP_HANDLER: 0
; COMPUTE_PGM_RSRC2:TGID_X_EN: 1
; COMPUTE_PGM_RSRC2:TGID_Y_EN: 0
; COMPUTE_PGM_RSRC2:TGID_Z_EN: 0
; COMPUTE_PGM_RSRC2:TIDIG_COMP_CNT: 0
	.section	.text._ZN7rocprim17ROCPRIM_400000_NS6detail17trampoline_kernelINS0_14default_configENS1_35adjacent_difference_config_selectorILb0ElEEZNS1_24adjacent_difference_implIS3_Lb0ELb0EPlS7_ZN2at6native12_GLOBAL__N_124unique_dim_cuda_templateIsEESt5tupleIJNS8_6TensorESD_SD_EERKSD_lbbbEUlllE1_EE10hipError_tPvRmT2_T3_mT4_P12ihipStream_tbEUlT_E_NS1_11comp_targetILNS1_3genE3ELNS1_11target_archE908ELNS1_3gpuE7ELNS1_3repE0EEENS1_30default_config_static_selectorELNS0_4arch9wavefront6targetE0EEEvT1_,"axG",@progbits,_ZN7rocprim17ROCPRIM_400000_NS6detail17trampoline_kernelINS0_14default_configENS1_35adjacent_difference_config_selectorILb0ElEEZNS1_24adjacent_difference_implIS3_Lb0ELb0EPlS7_ZN2at6native12_GLOBAL__N_124unique_dim_cuda_templateIsEESt5tupleIJNS8_6TensorESD_SD_EERKSD_lbbbEUlllE1_EE10hipError_tPvRmT2_T3_mT4_P12ihipStream_tbEUlT_E_NS1_11comp_targetILNS1_3genE3ELNS1_11target_archE908ELNS1_3gpuE7ELNS1_3repE0EEENS1_30default_config_static_selectorELNS0_4arch9wavefront6targetE0EEEvT1_,comdat
	.globl	_ZN7rocprim17ROCPRIM_400000_NS6detail17trampoline_kernelINS0_14default_configENS1_35adjacent_difference_config_selectorILb0ElEEZNS1_24adjacent_difference_implIS3_Lb0ELb0EPlS7_ZN2at6native12_GLOBAL__N_124unique_dim_cuda_templateIsEESt5tupleIJNS8_6TensorESD_SD_EERKSD_lbbbEUlllE1_EE10hipError_tPvRmT2_T3_mT4_P12ihipStream_tbEUlT_E_NS1_11comp_targetILNS1_3genE3ELNS1_11target_archE908ELNS1_3gpuE7ELNS1_3repE0EEENS1_30default_config_static_selectorELNS0_4arch9wavefront6targetE0EEEvT1_ ; -- Begin function _ZN7rocprim17ROCPRIM_400000_NS6detail17trampoline_kernelINS0_14default_configENS1_35adjacent_difference_config_selectorILb0ElEEZNS1_24adjacent_difference_implIS3_Lb0ELb0EPlS7_ZN2at6native12_GLOBAL__N_124unique_dim_cuda_templateIsEESt5tupleIJNS8_6TensorESD_SD_EERKSD_lbbbEUlllE1_EE10hipError_tPvRmT2_T3_mT4_P12ihipStream_tbEUlT_E_NS1_11comp_targetILNS1_3genE3ELNS1_11target_archE908ELNS1_3gpuE7ELNS1_3repE0EEENS1_30default_config_static_selectorELNS0_4arch9wavefront6targetE0EEEvT1_
	.p2align	8
	.type	_ZN7rocprim17ROCPRIM_400000_NS6detail17trampoline_kernelINS0_14default_configENS1_35adjacent_difference_config_selectorILb0ElEEZNS1_24adjacent_difference_implIS3_Lb0ELb0EPlS7_ZN2at6native12_GLOBAL__N_124unique_dim_cuda_templateIsEESt5tupleIJNS8_6TensorESD_SD_EERKSD_lbbbEUlllE1_EE10hipError_tPvRmT2_T3_mT4_P12ihipStream_tbEUlT_E_NS1_11comp_targetILNS1_3genE3ELNS1_11target_archE908ELNS1_3gpuE7ELNS1_3repE0EEENS1_30default_config_static_selectorELNS0_4arch9wavefront6targetE0EEEvT1_,@function
_ZN7rocprim17ROCPRIM_400000_NS6detail17trampoline_kernelINS0_14default_configENS1_35adjacent_difference_config_selectorILb0ElEEZNS1_24adjacent_difference_implIS3_Lb0ELb0EPlS7_ZN2at6native12_GLOBAL__N_124unique_dim_cuda_templateIsEESt5tupleIJNS8_6TensorESD_SD_EERKSD_lbbbEUlllE1_EE10hipError_tPvRmT2_T3_mT4_P12ihipStream_tbEUlT_E_NS1_11comp_targetILNS1_3genE3ELNS1_11target_archE908ELNS1_3gpuE7ELNS1_3repE0EEENS1_30default_config_static_selectorELNS0_4arch9wavefront6targetE0EEEvT1_: ; @_ZN7rocprim17ROCPRIM_400000_NS6detail17trampoline_kernelINS0_14default_configENS1_35adjacent_difference_config_selectorILb0ElEEZNS1_24adjacent_difference_implIS3_Lb0ELb0EPlS7_ZN2at6native12_GLOBAL__N_124unique_dim_cuda_templateIsEESt5tupleIJNS8_6TensorESD_SD_EERKSD_lbbbEUlllE1_EE10hipError_tPvRmT2_T3_mT4_P12ihipStream_tbEUlT_E_NS1_11comp_targetILNS1_3genE3ELNS1_11target_archE908ELNS1_3gpuE7ELNS1_3repE0EEENS1_30default_config_static_selectorELNS0_4arch9wavefront6targetE0EEEvT1_
; %bb.0:
	.section	.rodata,"a",@progbits
	.p2align	6, 0x0
	.amdhsa_kernel _ZN7rocprim17ROCPRIM_400000_NS6detail17trampoline_kernelINS0_14default_configENS1_35adjacent_difference_config_selectorILb0ElEEZNS1_24adjacent_difference_implIS3_Lb0ELb0EPlS7_ZN2at6native12_GLOBAL__N_124unique_dim_cuda_templateIsEESt5tupleIJNS8_6TensorESD_SD_EERKSD_lbbbEUlllE1_EE10hipError_tPvRmT2_T3_mT4_P12ihipStream_tbEUlT_E_NS1_11comp_targetILNS1_3genE3ELNS1_11target_archE908ELNS1_3gpuE7ELNS1_3repE0EEENS1_30default_config_static_selectorELNS0_4arch9wavefront6targetE0EEEvT1_
		.amdhsa_group_segment_fixed_size 0
		.amdhsa_private_segment_fixed_size 0
		.amdhsa_kernarg_size 64
		.amdhsa_user_sgpr_count 2
		.amdhsa_user_sgpr_dispatch_ptr 0
		.amdhsa_user_sgpr_queue_ptr 0
		.amdhsa_user_sgpr_kernarg_segment_ptr 1
		.amdhsa_user_sgpr_dispatch_id 0
		.amdhsa_user_sgpr_kernarg_preload_length 0
		.amdhsa_user_sgpr_kernarg_preload_offset 0
		.amdhsa_user_sgpr_private_segment_size 0
		.amdhsa_wavefront_size32 1
		.amdhsa_uses_dynamic_stack 0
		.amdhsa_enable_private_segment 0
		.amdhsa_system_sgpr_workgroup_id_x 1
		.amdhsa_system_sgpr_workgroup_id_y 0
		.amdhsa_system_sgpr_workgroup_id_z 0
		.amdhsa_system_sgpr_workgroup_info 0
		.amdhsa_system_vgpr_workitem_id 0
		.amdhsa_next_free_vgpr 1
		.amdhsa_next_free_sgpr 1
		.amdhsa_named_barrier_count 0
		.amdhsa_reserve_vcc 0
		.amdhsa_float_round_mode_32 0
		.amdhsa_float_round_mode_16_64 0
		.amdhsa_float_denorm_mode_32 3
		.amdhsa_float_denorm_mode_16_64 3
		.amdhsa_fp16_overflow 0
		.amdhsa_memory_ordered 1
		.amdhsa_forward_progress 1
		.amdhsa_inst_pref_size 0
		.amdhsa_round_robin_scheduling 0
		.amdhsa_exception_fp_ieee_invalid_op 0
		.amdhsa_exception_fp_denorm_src 0
		.amdhsa_exception_fp_ieee_div_zero 0
		.amdhsa_exception_fp_ieee_overflow 0
		.amdhsa_exception_fp_ieee_underflow 0
		.amdhsa_exception_fp_ieee_inexact 0
		.amdhsa_exception_int_div_zero 0
	.end_amdhsa_kernel
	.section	.text._ZN7rocprim17ROCPRIM_400000_NS6detail17trampoline_kernelINS0_14default_configENS1_35adjacent_difference_config_selectorILb0ElEEZNS1_24adjacent_difference_implIS3_Lb0ELb0EPlS7_ZN2at6native12_GLOBAL__N_124unique_dim_cuda_templateIsEESt5tupleIJNS8_6TensorESD_SD_EERKSD_lbbbEUlllE1_EE10hipError_tPvRmT2_T3_mT4_P12ihipStream_tbEUlT_E_NS1_11comp_targetILNS1_3genE3ELNS1_11target_archE908ELNS1_3gpuE7ELNS1_3repE0EEENS1_30default_config_static_selectorELNS0_4arch9wavefront6targetE0EEEvT1_,"axG",@progbits,_ZN7rocprim17ROCPRIM_400000_NS6detail17trampoline_kernelINS0_14default_configENS1_35adjacent_difference_config_selectorILb0ElEEZNS1_24adjacent_difference_implIS3_Lb0ELb0EPlS7_ZN2at6native12_GLOBAL__N_124unique_dim_cuda_templateIsEESt5tupleIJNS8_6TensorESD_SD_EERKSD_lbbbEUlllE1_EE10hipError_tPvRmT2_T3_mT4_P12ihipStream_tbEUlT_E_NS1_11comp_targetILNS1_3genE3ELNS1_11target_archE908ELNS1_3gpuE7ELNS1_3repE0EEENS1_30default_config_static_selectorELNS0_4arch9wavefront6targetE0EEEvT1_,comdat
.Lfunc_end664:
	.size	_ZN7rocprim17ROCPRIM_400000_NS6detail17trampoline_kernelINS0_14default_configENS1_35adjacent_difference_config_selectorILb0ElEEZNS1_24adjacent_difference_implIS3_Lb0ELb0EPlS7_ZN2at6native12_GLOBAL__N_124unique_dim_cuda_templateIsEESt5tupleIJNS8_6TensorESD_SD_EERKSD_lbbbEUlllE1_EE10hipError_tPvRmT2_T3_mT4_P12ihipStream_tbEUlT_E_NS1_11comp_targetILNS1_3genE3ELNS1_11target_archE908ELNS1_3gpuE7ELNS1_3repE0EEENS1_30default_config_static_selectorELNS0_4arch9wavefront6targetE0EEEvT1_, .Lfunc_end664-_ZN7rocprim17ROCPRIM_400000_NS6detail17trampoline_kernelINS0_14default_configENS1_35adjacent_difference_config_selectorILb0ElEEZNS1_24adjacent_difference_implIS3_Lb0ELb0EPlS7_ZN2at6native12_GLOBAL__N_124unique_dim_cuda_templateIsEESt5tupleIJNS8_6TensorESD_SD_EERKSD_lbbbEUlllE1_EE10hipError_tPvRmT2_T3_mT4_P12ihipStream_tbEUlT_E_NS1_11comp_targetILNS1_3genE3ELNS1_11target_archE908ELNS1_3gpuE7ELNS1_3repE0EEENS1_30default_config_static_selectorELNS0_4arch9wavefront6targetE0EEEvT1_
                                        ; -- End function
	.set _ZN7rocprim17ROCPRIM_400000_NS6detail17trampoline_kernelINS0_14default_configENS1_35adjacent_difference_config_selectorILb0ElEEZNS1_24adjacent_difference_implIS3_Lb0ELb0EPlS7_ZN2at6native12_GLOBAL__N_124unique_dim_cuda_templateIsEESt5tupleIJNS8_6TensorESD_SD_EERKSD_lbbbEUlllE1_EE10hipError_tPvRmT2_T3_mT4_P12ihipStream_tbEUlT_E_NS1_11comp_targetILNS1_3genE3ELNS1_11target_archE908ELNS1_3gpuE7ELNS1_3repE0EEENS1_30default_config_static_selectorELNS0_4arch9wavefront6targetE0EEEvT1_.num_vgpr, 0
	.set _ZN7rocprim17ROCPRIM_400000_NS6detail17trampoline_kernelINS0_14default_configENS1_35adjacent_difference_config_selectorILb0ElEEZNS1_24adjacent_difference_implIS3_Lb0ELb0EPlS7_ZN2at6native12_GLOBAL__N_124unique_dim_cuda_templateIsEESt5tupleIJNS8_6TensorESD_SD_EERKSD_lbbbEUlllE1_EE10hipError_tPvRmT2_T3_mT4_P12ihipStream_tbEUlT_E_NS1_11comp_targetILNS1_3genE3ELNS1_11target_archE908ELNS1_3gpuE7ELNS1_3repE0EEENS1_30default_config_static_selectorELNS0_4arch9wavefront6targetE0EEEvT1_.num_agpr, 0
	.set _ZN7rocprim17ROCPRIM_400000_NS6detail17trampoline_kernelINS0_14default_configENS1_35adjacent_difference_config_selectorILb0ElEEZNS1_24adjacent_difference_implIS3_Lb0ELb0EPlS7_ZN2at6native12_GLOBAL__N_124unique_dim_cuda_templateIsEESt5tupleIJNS8_6TensorESD_SD_EERKSD_lbbbEUlllE1_EE10hipError_tPvRmT2_T3_mT4_P12ihipStream_tbEUlT_E_NS1_11comp_targetILNS1_3genE3ELNS1_11target_archE908ELNS1_3gpuE7ELNS1_3repE0EEENS1_30default_config_static_selectorELNS0_4arch9wavefront6targetE0EEEvT1_.numbered_sgpr, 0
	.set _ZN7rocprim17ROCPRIM_400000_NS6detail17trampoline_kernelINS0_14default_configENS1_35adjacent_difference_config_selectorILb0ElEEZNS1_24adjacent_difference_implIS3_Lb0ELb0EPlS7_ZN2at6native12_GLOBAL__N_124unique_dim_cuda_templateIsEESt5tupleIJNS8_6TensorESD_SD_EERKSD_lbbbEUlllE1_EE10hipError_tPvRmT2_T3_mT4_P12ihipStream_tbEUlT_E_NS1_11comp_targetILNS1_3genE3ELNS1_11target_archE908ELNS1_3gpuE7ELNS1_3repE0EEENS1_30default_config_static_selectorELNS0_4arch9wavefront6targetE0EEEvT1_.num_named_barrier, 0
	.set _ZN7rocprim17ROCPRIM_400000_NS6detail17trampoline_kernelINS0_14default_configENS1_35adjacent_difference_config_selectorILb0ElEEZNS1_24adjacent_difference_implIS3_Lb0ELb0EPlS7_ZN2at6native12_GLOBAL__N_124unique_dim_cuda_templateIsEESt5tupleIJNS8_6TensorESD_SD_EERKSD_lbbbEUlllE1_EE10hipError_tPvRmT2_T3_mT4_P12ihipStream_tbEUlT_E_NS1_11comp_targetILNS1_3genE3ELNS1_11target_archE908ELNS1_3gpuE7ELNS1_3repE0EEENS1_30default_config_static_selectorELNS0_4arch9wavefront6targetE0EEEvT1_.private_seg_size, 0
	.set _ZN7rocprim17ROCPRIM_400000_NS6detail17trampoline_kernelINS0_14default_configENS1_35adjacent_difference_config_selectorILb0ElEEZNS1_24adjacent_difference_implIS3_Lb0ELb0EPlS7_ZN2at6native12_GLOBAL__N_124unique_dim_cuda_templateIsEESt5tupleIJNS8_6TensorESD_SD_EERKSD_lbbbEUlllE1_EE10hipError_tPvRmT2_T3_mT4_P12ihipStream_tbEUlT_E_NS1_11comp_targetILNS1_3genE3ELNS1_11target_archE908ELNS1_3gpuE7ELNS1_3repE0EEENS1_30default_config_static_selectorELNS0_4arch9wavefront6targetE0EEEvT1_.uses_vcc, 0
	.set _ZN7rocprim17ROCPRIM_400000_NS6detail17trampoline_kernelINS0_14default_configENS1_35adjacent_difference_config_selectorILb0ElEEZNS1_24adjacent_difference_implIS3_Lb0ELb0EPlS7_ZN2at6native12_GLOBAL__N_124unique_dim_cuda_templateIsEESt5tupleIJNS8_6TensorESD_SD_EERKSD_lbbbEUlllE1_EE10hipError_tPvRmT2_T3_mT4_P12ihipStream_tbEUlT_E_NS1_11comp_targetILNS1_3genE3ELNS1_11target_archE908ELNS1_3gpuE7ELNS1_3repE0EEENS1_30default_config_static_selectorELNS0_4arch9wavefront6targetE0EEEvT1_.uses_flat_scratch, 0
	.set _ZN7rocprim17ROCPRIM_400000_NS6detail17trampoline_kernelINS0_14default_configENS1_35adjacent_difference_config_selectorILb0ElEEZNS1_24adjacent_difference_implIS3_Lb0ELb0EPlS7_ZN2at6native12_GLOBAL__N_124unique_dim_cuda_templateIsEESt5tupleIJNS8_6TensorESD_SD_EERKSD_lbbbEUlllE1_EE10hipError_tPvRmT2_T3_mT4_P12ihipStream_tbEUlT_E_NS1_11comp_targetILNS1_3genE3ELNS1_11target_archE908ELNS1_3gpuE7ELNS1_3repE0EEENS1_30default_config_static_selectorELNS0_4arch9wavefront6targetE0EEEvT1_.has_dyn_sized_stack, 0
	.set _ZN7rocprim17ROCPRIM_400000_NS6detail17trampoline_kernelINS0_14default_configENS1_35adjacent_difference_config_selectorILb0ElEEZNS1_24adjacent_difference_implIS3_Lb0ELb0EPlS7_ZN2at6native12_GLOBAL__N_124unique_dim_cuda_templateIsEESt5tupleIJNS8_6TensorESD_SD_EERKSD_lbbbEUlllE1_EE10hipError_tPvRmT2_T3_mT4_P12ihipStream_tbEUlT_E_NS1_11comp_targetILNS1_3genE3ELNS1_11target_archE908ELNS1_3gpuE7ELNS1_3repE0EEENS1_30default_config_static_selectorELNS0_4arch9wavefront6targetE0EEEvT1_.has_recursion, 0
	.set _ZN7rocprim17ROCPRIM_400000_NS6detail17trampoline_kernelINS0_14default_configENS1_35adjacent_difference_config_selectorILb0ElEEZNS1_24adjacent_difference_implIS3_Lb0ELb0EPlS7_ZN2at6native12_GLOBAL__N_124unique_dim_cuda_templateIsEESt5tupleIJNS8_6TensorESD_SD_EERKSD_lbbbEUlllE1_EE10hipError_tPvRmT2_T3_mT4_P12ihipStream_tbEUlT_E_NS1_11comp_targetILNS1_3genE3ELNS1_11target_archE908ELNS1_3gpuE7ELNS1_3repE0EEENS1_30default_config_static_selectorELNS0_4arch9wavefront6targetE0EEEvT1_.has_indirect_call, 0
	.section	.AMDGPU.csdata,"",@progbits
; Kernel info:
; codeLenInByte = 0
; TotalNumSgprs: 0
; NumVgprs: 0
; ScratchSize: 0
; MemoryBound: 0
; FloatMode: 240
; IeeeMode: 1
; LDSByteSize: 0 bytes/workgroup (compile time only)
; SGPRBlocks: 0
; VGPRBlocks: 0
; NumSGPRsForWavesPerEU: 1
; NumVGPRsForWavesPerEU: 1
; NamedBarCnt: 0
; Occupancy: 16
; WaveLimiterHint : 0
; COMPUTE_PGM_RSRC2:SCRATCH_EN: 0
; COMPUTE_PGM_RSRC2:USER_SGPR: 2
; COMPUTE_PGM_RSRC2:TRAP_HANDLER: 0
; COMPUTE_PGM_RSRC2:TGID_X_EN: 1
; COMPUTE_PGM_RSRC2:TGID_Y_EN: 0
; COMPUTE_PGM_RSRC2:TGID_Z_EN: 0
; COMPUTE_PGM_RSRC2:TIDIG_COMP_CNT: 0
	.section	.text._ZN7rocprim17ROCPRIM_400000_NS6detail17trampoline_kernelINS0_14default_configENS1_35adjacent_difference_config_selectorILb0ElEEZNS1_24adjacent_difference_implIS3_Lb0ELb0EPlS7_ZN2at6native12_GLOBAL__N_124unique_dim_cuda_templateIsEESt5tupleIJNS8_6TensorESD_SD_EERKSD_lbbbEUlllE1_EE10hipError_tPvRmT2_T3_mT4_P12ihipStream_tbEUlT_E_NS1_11comp_targetILNS1_3genE2ELNS1_11target_archE906ELNS1_3gpuE6ELNS1_3repE0EEENS1_30default_config_static_selectorELNS0_4arch9wavefront6targetE0EEEvT1_,"axG",@progbits,_ZN7rocprim17ROCPRIM_400000_NS6detail17trampoline_kernelINS0_14default_configENS1_35adjacent_difference_config_selectorILb0ElEEZNS1_24adjacent_difference_implIS3_Lb0ELb0EPlS7_ZN2at6native12_GLOBAL__N_124unique_dim_cuda_templateIsEESt5tupleIJNS8_6TensorESD_SD_EERKSD_lbbbEUlllE1_EE10hipError_tPvRmT2_T3_mT4_P12ihipStream_tbEUlT_E_NS1_11comp_targetILNS1_3genE2ELNS1_11target_archE906ELNS1_3gpuE6ELNS1_3repE0EEENS1_30default_config_static_selectorELNS0_4arch9wavefront6targetE0EEEvT1_,comdat
	.globl	_ZN7rocprim17ROCPRIM_400000_NS6detail17trampoline_kernelINS0_14default_configENS1_35adjacent_difference_config_selectorILb0ElEEZNS1_24adjacent_difference_implIS3_Lb0ELb0EPlS7_ZN2at6native12_GLOBAL__N_124unique_dim_cuda_templateIsEESt5tupleIJNS8_6TensorESD_SD_EERKSD_lbbbEUlllE1_EE10hipError_tPvRmT2_T3_mT4_P12ihipStream_tbEUlT_E_NS1_11comp_targetILNS1_3genE2ELNS1_11target_archE906ELNS1_3gpuE6ELNS1_3repE0EEENS1_30default_config_static_selectorELNS0_4arch9wavefront6targetE0EEEvT1_ ; -- Begin function _ZN7rocprim17ROCPRIM_400000_NS6detail17trampoline_kernelINS0_14default_configENS1_35adjacent_difference_config_selectorILb0ElEEZNS1_24adjacent_difference_implIS3_Lb0ELb0EPlS7_ZN2at6native12_GLOBAL__N_124unique_dim_cuda_templateIsEESt5tupleIJNS8_6TensorESD_SD_EERKSD_lbbbEUlllE1_EE10hipError_tPvRmT2_T3_mT4_P12ihipStream_tbEUlT_E_NS1_11comp_targetILNS1_3genE2ELNS1_11target_archE906ELNS1_3gpuE6ELNS1_3repE0EEENS1_30default_config_static_selectorELNS0_4arch9wavefront6targetE0EEEvT1_
	.p2align	8
	.type	_ZN7rocprim17ROCPRIM_400000_NS6detail17trampoline_kernelINS0_14default_configENS1_35adjacent_difference_config_selectorILb0ElEEZNS1_24adjacent_difference_implIS3_Lb0ELb0EPlS7_ZN2at6native12_GLOBAL__N_124unique_dim_cuda_templateIsEESt5tupleIJNS8_6TensorESD_SD_EERKSD_lbbbEUlllE1_EE10hipError_tPvRmT2_T3_mT4_P12ihipStream_tbEUlT_E_NS1_11comp_targetILNS1_3genE2ELNS1_11target_archE906ELNS1_3gpuE6ELNS1_3repE0EEENS1_30default_config_static_selectorELNS0_4arch9wavefront6targetE0EEEvT1_,@function
_ZN7rocprim17ROCPRIM_400000_NS6detail17trampoline_kernelINS0_14default_configENS1_35adjacent_difference_config_selectorILb0ElEEZNS1_24adjacent_difference_implIS3_Lb0ELb0EPlS7_ZN2at6native12_GLOBAL__N_124unique_dim_cuda_templateIsEESt5tupleIJNS8_6TensorESD_SD_EERKSD_lbbbEUlllE1_EE10hipError_tPvRmT2_T3_mT4_P12ihipStream_tbEUlT_E_NS1_11comp_targetILNS1_3genE2ELNS1_11target_archE906ELNS1_3gpuE6ELNS1_3repE0EEENS1_30default_config_static_selectorELNS0_4arch9wavefront6targetE0EEEvT1_: ; @_ZN7rocprim17ROCPRIM_400000_NS6detail17trampoline_kernelINS0_14default_configENS1_35adjacent_difference_config_selectorILb0ElEEZNS1_24adjacent_difference_implIS3_Lb0ELb0EPlS7_ZN2at6native12_GLOBAL__N_124unique_dim_cuda_templateIsEESt5tupleIJNS8_6TensorESD_SD_EERKSD_lbbbEUlllE1_EE10hipError_tPvRmT2_T3_mT4_P12ihipStream_tbEUlT_E_NS1_11comp_targetILNS1_3genE2ELNS1_11target_archE906ELNS1_3gpuE6ELNS1_3repE0EEENS1_30default_config_static_selectorELNS0_4arch9wavefront6targetE0EEEvT1_
; %bb.0:
	.section	.rodata,"a",@progbits
	.p2align	6, 0x0
	.amdhsa_kernel _ZN7rocprim17ROCPRIM_400000_NS6detail17trampoline_kernelINS0_14default_configENS1_35adjacent_difference_config_selectorILb0ElEEZNS1_24adjacent_difference_implIS3_Lb0ELb0EPlS7_ZN2at6native12_GLOBAL__N_124unique_dim_cuda_templateIsEESt5tupleIJNS8_6TensorESD_SD_EERKSD_lbbbEUlllE1_EE10hipError_tPvRmT2_T3_mT4_P12ihipStream_tbEUlT_E_NS1_11comp_targetILNS1_3genE2ELNS1_11target_archE906ELNS1_3gpuE6ELNS1_3repE0EEENS1_30default_config_static_selectorELNS0_4arch9wavefront6targetE0EEEvT1_
		.amdhsa_group_segment_fixed_size 0
		.amdhsa_private_segment_fixed_size 0
		.amdhsa_kernarg_size 64
		.amdhsa_user_sgpr_count 2
		.amdhsa_user_sgpr_dispatch_ptr 0
		.amdhsa_user_sgpr_queue_ptr 0
		.amdhsa_user_sgpr_kernarg_segment_ptr 1
		.amdhsa_user_sgpr_dispatch_id 0
		.amdhsa_user_sgpr_kernarg_preload_length 0
		.amdhsa_user_sgpr_kernarg_preload_offset 0
		.amdhsa_user_sgpr_private_segment_size 0
		.amdhsa_wavefront_size32 1
		.amdhsa_uses_dynamic_stack 0
		.amdhsa_enable_private_segment 0
		.amdhsa_system_sgpr_workgroup_id_x 1
		.amdhsa_system_sgpr_workgroup_id_y 0
		.amdhsa_system_sgpr_workgroup_id_z 0
		.amdhsa_system_sgpr_workgroup_info 0
		.amdhsa_system_vgpr_workitem_id 0
		.amdhsa_next_free_vgpr 1
		.amdhsa_next_free_sgpr 1
		.amdhsa_named_barrier_count 0
		.amdhsa_reserve_vcc 0
		.amdhsa_float_round_mode_32 0
		.amdhsa_float_round_mode_16_64 0
		.amdhsa_float_denorm_mode_32 3
		.amdhsa_float_denorm_mode_16_64 3
		.amdhsa_fp16_overflow 0
		.amdhsa_memory_ordered 1
		.amdhsa_forward_progress 1
		.amdhsa_inst_pref_size 0
		.amdhsa_round_robin_scheduling 0
		.amdhsa_exception_fp_ieee_invalid_op 0
		.amdhsa_exception_fp_denorm_src 0
		.amdhsa_exception_fp_ieee_div_zero 0
		.amdhsa_exception_fp_ieee_overflow 0
		.amdhsa_exception_fp_ieee_underflow 0
		.amdhsa_exception_fp_ieee_inexact 0
		.amdhsa_exception_int_div_zero 0
	.end_amdhsa_kernel
	.section	.text._ZN7rocprim17ROCPRIM_400000_NS6detail17trampoline_kernelINS0_14default_configENS1_35adjacent_difference_config_selectorILb0ElEEZNS1_24adjacent_difference_implIS3_Lb0ELb0EPlS7_ZN2at6native12_GLOBAL__N_124unique_dim_cuda_templateIsEESt5tupleIJNS8_6TensorESD_SD_EERKSD_lbbbEUlllE1_EE10hipError_tPvRmT2_T3_mT4_P12ihipStream_tbEUlT_E_NS1_11comp_targetILNS1_3genE2ELNS1_11target_archE906ELNS1_3gpuE6ELNS1_3repE0EEENS1_30default_config_static_selectorELNS0_4arch9wavefront6targetE0EEEvT1_,"axG",@progbits,_ZN7rocprim17ROCPRIM_400000_NS6detail17trampoline_kernelINS0_14default_configENS1_35adjacent_difference_config_selectorILb0ElEEZNS1_24adjacent_difference_implIS3_Lb0ELb0EPlS7_ZN2at6native12_GLOBAL__N_124unique_dim_cuda_templateIsEESt5tupleIJNS8_6TensorESD_SD_EERKSD_lbbbEUlllE1_EE10hipError_tPvRmT2_T3_mT4_P12ihipStream_tbEUlT_E_NS1_11comp_targetILNS1_3genE2ELNS1_11target_archE906ELNS1_3gpuE6ELNS1_3repE0EEENS1_30default_config_static_selectorELNS0_4arch9wavefront6targetE0EEEvT1_,comdat
.Lfunc_end665:
	.size	_ZN7rocprim17ROCPRIM_400000_NS6detail17trampoline_kernelINS0_14default_configENS1_35adjacent_difference_config_selectorILb0ElEEZNS1_24adjacent_difference_implIS3_Lb0ELb0EPlS7_ZN2at6native12_GLOBAL__N_124unique_dim_cuda_templateIsEESt5tupleIJNS8_6TensorESD_SD_EERKSD_lbbbEUlllE1_EE10hipError_tPvRmT2_T3_mT4_P12ihipStream_tbEUlT_E_NS1_11comp_targetILNS1_3genE2ELNS1_11target_archE906ELNS1_3gpuE6ELNS1_3repE0EEENS1_30default_config_static_selectorELNS0_4arch9wavefront6targetE0EEEvT1_, .Lfunc_end665-_ZN7rocprim17ROCPRIM_400000_NS6detail17trampoline_kernelINS0_14default_configENS1_35adjacent_difference_config_selectorILb0ElEEZNS1_24adjacent_difference_implIS3_Lb0ELb0EPlS7_ZN2at6native12_GLOBAL__N_124unique_dim_cuda_templateIsEESt5tupleIJNS8_6TensorESD_SD_EERKSD_lbbbEUlllE1_EE10hipError_tPvRmT2_T3_mT4_P12ihipStream_tbEUlT_E_NS1_11comp_targetILNS1_3genE2ELNS1_11target_archE906ELNS1_3gpuE6ELNS1_3repE0EEENS1_30default_config_static_selectorELNS0_4arch9wavefront6targetE0EEEvT1_
                                        ; -- End function
	.set _ZN7rocprim17ROCPRIM_400000_NS6detail17trampoline_kernelINS0_14default_configENS1_35adjacent_difference_config_selectorILb0ElEEZNS1_24adjacent_difference_implIS3_Lb0ELb0EPlS7_ZN2at6native12_GLOBAL__N_124unique_dim_cuda_templateIsEESt5tupleIJNS8_6TensorESD_SD_EERKSD_lbbbEUlllE1_EE10hipError_tPvRmT2_T3_mT4_P12ihipStream_tbEUlT_E_NS1_11comp_targetILNS1_3genE2ELNS1_11target_archE906ELNS1_3gpuE6ELNS1_3repE0EEENS1_30default_config_static_selectorELNS0_4arch9wavefront6targetE0EEEvT1_.num_vgpr, 0
	.set _ZN7rocprim17ROCPRIM_400000_NS6detail17trampoline_kernelINS0_14default_configENS1_35adjacent_difference_config_selectorILb0ElEEZNS1_24adjacent_difference_implIS3_Lb0ELb0EPlS7_ZN2at6native12_GLOBAL__N_124unique_dim_cuda_templateIsEESt5tupleIJNS8_6TensorESD_SD_EERKSD_lbbbEUlllE1_EE10hipError_tPvRmT2_T3_mT4_P12ihipStream_tbEUlT_E_NS1_11comp_targetILNS1_3genE2ELNS1_11target_archE906ELNS1_3gpuE6ELNS1_3repE0EEENS1_30default_config_static_selectorELNS0_4arch9wavefront6targetE0EEEvT1_.num_agpr, 0
	.set _ZN7rocprim17ROCPRIM_400000_NS6detail17trampoline_kernelINS0_14default_configENS1_35adjacent_difference_config_selectorILb0ElEEZNS1_24adjacent_difference_implIS3_Lb0ELb0EPlS7_ZN2at6native12_GLOBAL__N_124unique_dim_cuda_templateIsEESt5tupleIJNS8_6TensorESD_SD_EERKSD_lbbbEUlllE1_EE10hipError_tPvRmT2_T3_mT4_P12ihipStream_tbEUlT_E_NS1_11comp_targetILNS1_3genE2ELNS1_11target_archE906ELNS1_3gpuE6ELNS1_3repE0EEENS1_30default_config_static_selectorELNS0_4arch9wavefront6targetE0EEEvT1_.numbered_sgpr, 0
	.set _ZN7rocprim17ROCPRIM_400000_NS6detail17trampoline_kernelINS0_14default_configENS1_35adjacent_difference_config_selectorILb0ElEEZNS1_24adjacent_difference_implIS3_Lb0ELb0EPlS7_ZN2at6native12_GLOBAL__N_124unique_dim_cuda_templateIsEESt5tupleIJNS8_6TensorESD_SD_EERKSD_lbbbEUlllE1_EE10hipError_tPvRmT2_T3_mT4_P12ihipStream_tbEUlT_E_NS1_11comp_targetILNS1_3genE2ELNS1_11target_archE906ELNS1_3gpuE6ELNS1_3repE0EEENS1_30default_config_static_selectorELNS0_4arch9wavefront6targetE0EEEvT1_.num_named_barrier, 0
	.set _ZN7rocprim17ROCPRIM_400000_NS6detail17trampoline_kernelINS0_14default_configENS1_35adjacent_difference_config_selectorILb0ElEEZNS1_24adjacent_difference_implIS3_Lb0ELb0EPlS7_ZN2at6native12_GLOBAL__N_124unique_dim_cuda_templateIsEESt5tupleIJNS8_6TensorESD_SD_EERKSD_lbbbEUlllE1_EE10hipError_tPvRmT2_T3_mT4_P12ihipStream_tbEUlT_E_NS1_11comp_targetILNS1_3genE2ELNS1_11target_archE906ELNS1_3gpuE6ELNS1_3repE0EEENS1_30default_config_static_selectorELNS0_4arch9wavefront6targetE0EEEvT1_.private_seg_size, 0
	.set _ZN7rocprim17ROCPRIM_400000_NS6detail17trampoline_kernelINS0_14default_configENS1_35adjacent_difference_config_selectorILb0ElEEZNS1_24adjacent_difference_implIS3_Lb0ELb0EPlS7_ZN2at6native12_GLOBAL__N_124unique_dim_cuda_templateIsEESt5tupleIJNS8_6TensorESD_SD_EERKSD_lbbbEUlllE1_EE10hipError_tPvRmT2_T3_mT4_P12ihipStream_tbEUlT_E_NS1_11comp_targetILNS1_3genE2ELNS1_11target_archE906ELNS1_3gpuE6ELNS1_3repE0EEENS1_30default_config_static_selectorELNS0_4arch9wavefront6targetE0EEEvT1_.uses_vcc, 0
	.set _ZN7rocprim17ROCPRIM_400000_NS6detail17trampoline_kernelINS0_14default_configENS1_35adjacent_difference_config_selectorILb0ElEEZNS1_24adjacent_difference_implIS3_Lb0ELb0EPlS7_ZN2at6native12_GLOBAL__N_124unique_dim_cuda_templateIsEESt5tupleIJNS8_6TensorESD_SD_EERKSD_lbbbEUlllE1_EE10hipError_tPvRmT2_T3_mT4_P12ihipStream_tbEUlT_E_NS1_11comp_targetILNS1_3genE2ELNS1_11target_archE906ELNS1_3gpuE6ELNS1_3repE0EEENS1_30default_config_static_selectorELNS0_4arch9wavefront6targetE0EEEvT1_.uses_flat_scratch, 0
	.set _ZN7rocprim17ROCPRIM_400000_NS6detail17trampoline_kernelINS0_14default_configENS1_35adjacent_difference_config_selectorILb0ElEEZNS1_24adjacent_difference_implIS3_Lb0ELb0EPlS7_ZN2at6native12_GLOBAL__N_124unique_dim_cuda_templateIsEESt5tupleIJNS8_6TensorESD_SD_EERKSD_lbbbEUlllE1_EE10hipError_tPvRmT2_T3_mT4_P12ihipStream_tbEUlT_E_NS1_11comp_targetILNS1_3genE2ELNS1_11target_archE906ELNS1_3gpuE6ELNS1_3repE0EEENS1_30default_config_static_selectorELNS0_4arch9wavefront6targetE0EEEvT1_.has_dyn_sized_stack, 0
	.set _ZN7rocprim17ROCPRIM_400000_NS6detail17trampoline_kernelINS0_14default_configENS1_35adjacent_difference_config_selectorILb0ElEEZNS1_24adjacent_difference_implIS3_Lb0ELb0EPlS7_ZN2at6native12_GLOBAL__N_124unique_dim_cuda_templateIsEESt5tupleIJNS8_6TensorESD_SD_EERKSD_lbbbEUlllE1_EE10hipError_tPvRmT2_T3_mT4_P12ihipStream_tbEUlT_E_NS1_11comp_targetILNS1_3genE2ELNS1_11target_archE906ELNS1_3gpuE6ELNS1_3repE0EEENS1_30default_config_static_selectorELNS0_4arch9wavefront6targetE0EEEvT1_.has_recursion, 0
	.set _ZN7rocprim17ROCPRIM_400000_NS6detail17trampoline_kernelINS0_14default_configENS1_35adjacent_difference_config_selectorILb0ElEEZNS1_24adjacent_difference_implIS3_Lb0ELb0EPlS7_ZN2at6native12_GLOBAL__N_124unique_dim_cuda_templateIsEESt5tupleIJNS8_6TensorESD_SD_EERKSD_lbbbEUlllE1_EE10hipError_tPvRmT2_T3_mT4_P12ihipStream_tbEUlT_E_NS1_11comp_targetILNS1_3genE2ELNS1_11target_archE906ELNS1_3gpuE6ELNS1_3repE0EEENS1_30default_config_static_selectorELNS0_4arch9wavefront6targetE0EEEvT1_.has_indirect_call, 0
	.section	.AMDGPU.csdata,"",@progbits
; Kernel info:
; codeLenInByte = 0
; TotalNumSgprs: 0
; NumVgprs: 0
; ScratchSize: 0
; MemoryBound: 0
; FloatMode: 240
; IeeeMode: 1
; LDSByteSize: 0 bytes/workgroup (compile time only)
; SGPRBlocks: 0
; VGPRBlocks: 0
; NumSGPRsForWavesPerEU: 1
; NumVGPRsForWavesPerEU: 1
; NamedBarCnt: 0
; Occupancy: 16
; WaveLimiterHint : 0
; COMPUTE_PGM_RSRC2:SCRATCH_EN: 0
; COMPUTE_PGM_RSRC2:USER_SGPR: 2
; COMPUTE_PGM_RSRC2:TRAP_HANDLER: 0
; COMPUTE_PGM_RSRC2:TGID_X_EN: 1
; COMPUTE_PGM_RSRC2:TGID_Y_EN: 0
; COMPUTE_PGM_RSRC2:TGID_Z_EN: 0
; COMPUTE_PGM_RSRC2:TIDIG_COMP_CNT: 0
	.section	.text._ZN7rocprim17ROCPRIM_400000_NS6detail17trampoline_kernelINS0_14default_configENS1_35adjacent_difference_config_selectorILb0ElEEZNS1_24adjacent_difference_implIS3_Lb0ELb0EPlS7_ZN2at6native12_GLOBAL__N_124unique_dim_cuda_templateIsEESt5tupleIJNS8_6TensorESD_SD_EERKSD_lbbbEUlllE1_EE10hipError_tPvRmT2_T3_mT4_P12ihipStream_tbEUlT_E_NS1_11comp_targetILNS1_3genE9ELNS1_11target_archE1100ELNS1_3gpuE3ELNS1_3repE0EEENS1_30default_config_static_selectorELNS0_4arch9wavefront6targetE0EEEvT1_,"axG",@progbits,_ZN7rocprim17ROCPRIM_400000_NS6detail17trampoline_kernelINS0_14default_configENS1_35adjacent_difference_config_selectorILb0ElEEZNS1_24adjacent_difference_implIS3_Lb0ELb0EPlS7_ZN2at6native12_GLOBAL__N_124unique_dim_cuda_templateIsEESt5tupleIJNS8_6TensorESD_SD_EERKSD_lbbbEUlllE1_EE10hipError_tPvRmT2_T3_mT4_P12ihipStream_tbEUlT_E_NS1_11comp_targetILNS1_3genE9ELNS1_11target_archE1100ELNS1_3gpuE3ELNS1_3repE0EEENS1_30default_config_static_selectorELNS0_4arch9wavefront6targetE0EEEvT1_,comdat
	.globl	_ZN7rocprim17ROCPRIM_400000_NS6detail17trampoline_kernelINS0_14default_configENS1_35adjacent_difference_config_selectorILb0ElEEZNS1_24adjacent_difference_implIS3_Lb0ELb0EPlS7_ZN2at6native12_GLOBAL__N_124unique_dim_cuda_templateIsEESt5tupleIJNS8_6TensorESD_SD_EERKSD_lbbbEUlllE1_EE10hipError_tPvRmT2_T3_mT4_P12ihipStream_tbEUlT_E_NS1_11comp_targetILNS1_3genE9ELNS1_11target_archE1100ELNS1_3gpuE3ELNS1_3repE0EEENS1_30default_config_static_selectorELNS0_4arch9wavefront6targetE0EEEvT1_ ; -- Begin function _ZN7rocprim17ROCPRIM_400000_NS6detail17trampoline_kernelINS0_14default_configENS1_35adjacent_difference_config_selectorILb0ElEEZNS1_24adjacent_difference_implIS3_Lb0ELb0EPlS7_ZN2at6native12_GLOBAL__N_124unique_dim_cuda_templateIsEESt5tupleIJNS8_6TensorESD_SD_EERKSD_lbbbEUlllE1_EE10hipError_tPvRmT2_T3_mT4_P12ihipStream_tbEUlT_E_NS1_11comp_targetILNS1_3genE9ELNS1_11target_archE1100ELNS1_3gpuE3ELNS1_3repE0EEENS1_30default_config_static_selectorELNS0_4arch9wavefront6targetE0EEEvT1_
	.p2align	8
	.type	_ZN7rocprim17ROCPRIM_400000_NS6detail17trampoline_kernelINS0_14default_configENS1_35adjacent_difference_config_selectorILb0ElEEZNS1_24adjacent_difference_implIS3_Lb0ELb0EPlS7_ZN2at6native12_GLOBAL__N_124unique_dim_cuda_templateIsEESt5tupleIJNS8_6TensorESD_SD_EERKSD_lbbbEUlllE1_EE10hipError_tPvRmT2_T3_mT4_P12ihipStream_tbEUlT_E_NS1_11comp_targetILNS1_3genE9ELNS1_11target_archE1100ELNS1_3gpuE3ELNS1_3repE0EEENS1_30default_config_static_selectorELNS0_4arch9wavefront6targetE0EEEvT1_,@function
_ZN7rocprim17ROCPRIM_400000_NS6detail17trampoline_kernelINS0_14default_configENS1_35adjacent_difference_config_selectorILb0ElEEZNS1_24adjacent_difference_implIS3_Lb0ELb0EPlS7_ZN2at6native12_GLOBAL__N_124unique_dim_cuda_templateIsEESt5tupleIJNS8_6TensorESD_SD_EERKSD_lbbbEUlllE1_EE10hipError_tPvRmT2_T3_mT4_P12ihipStream_tbEUlT_E_NS1_11comp_targetILNS1_3genE9ELNS1_11target_archE1100ELNS1_3gpuE3ELNS1_3repE0EEENS1_30default_config_static_selectorELNS0_4arch9wavefront6targetE0EEEvT1_: ; @_ZN7rocprim17ROCPRIM_400000_NS6detail17trampoline_kernelINS0_14default_configENS1_35adjacent_difference_config_selectorILb0ElEEZNS1_24adjacent_difference_implIS3_Lb0ELb0EPlS7_ZN2at6native12_GLOBAL__N_124unique_dim_cuda_templateIsEESt5tupleIJNS8_6TensorESD_SD_EERKSD_lbbbEUlllE1_EE10hipError_tPvRmT2_T3_mT4_P12ihipStream_tbEUlT_E_NS1_11comp_targetILNS1_3genE9ELNS1_11target_archE1100ELNS1_3gpuE3ELNS1_3repE0EEENS1_30default_config_static_selectorELNS0_4arch9wavefront6targetE0EEEvT1_
; %bb.0:
	.section	.rodata,"a",@progbits
	.p2align	6, 0x0
	.amdhsa_kernel _ZN7rocprim17ROCPRIM_400000_NS6detail17trampoline_kernelINS0_14default_configENS1_35adjacent_difference_config_selectorILb0ElEEZNS1_24adjacent_difference_implIS3_Lb0ELb0EPlS7_ZN2at6native12_GLOBAL__N_124unique_dim_cuda_templateIsEESt5tupleIJNS8_6TensorESD_SD_EERKSD_lbbbEUlllE1_EE10hipError_tPvRmT2_T3_mT4_P12ihipStream_tbEUlT_E_NS1_11comp_targetILNS1_3genE9ELNS1_11target_archE1100ELNS1_3gpuE3ELNS1_3repE0EEENS1_30default_config_static_selectorELNS0_4arch9wavefront6targetE0EEEvT1_
		.amdhsa_group_segment_fixed_size 0
		.amdhsa_private_segment_fixed_size 0
		.amdhsa_kernarg_size 64
		.amdhsa_user_sgpr_count 2
		.amdhsa_user_sgpr_dispatch_ptr 0
		.amdhsa_user_sgpr_queue_ptr 0
		.amdhsa_user_sgpr_kernarg_segment_ptr 1
		.amdhsa_user_sgpr_dispatch_id 0
		.amdhsa_user_sgpr_kernarg_preload_length 0
		.amdhsa_user_sgpr_kernarg_preload_offset 0
		.amdhsa_user_sgpr_private_segment_size 0
		.amdhsa_wavefront_size32 1
		.amdhsa_uses_dynamic_stack 0
		.amdhsa_enable_private_segment 0
		.amdhsa_system_sgpr_workgroup_id_x 1
		.amdhsa_system_sgpr_workgroup_id_y 0
		.amdhsa_system_sgpr_workgroup_id_z 0
		.amdhsa_system_sgpr_workgroup_info 0
		.amdhsa_system_vgpr_workitem_id 0
		.amdhsa_next_free_vgpr 1
		.amdhsa_next_free_sgpr 1
		.amdhsa_named_barrier_count 0
		.amdhsa_reserve_vcc 0
		.amdhsa_float_round_mode_32 0
		.amdhsa_float_round_mode_16_64 0
		.amdhsa_float_denorm_mode_32 3
		.amdhsa_float_denorm_mode_16_64 3
		.amdhsa_fp16_overflow 0
		.amdhsa_memory_ordered 1
		.amdhsa_forward_progress 1
		.amdhsa_inst_pref_size 0
		.amdhsa_round_robin_scheduling 0
		.amdhsa_exception_fp_ieee_invalid_op 0
		.amdhsa_exception_fp_denorm_src 0
		.amdhsa_exception_fp_ieee_div_zero 0
		.amdhsa_exception_fp_ieee_overflow 0
		.amdhsa_exception_fp_ieee_underflow 0
		.amdhsa_exception_fp_ieee_inexact 0
		.amdhsa_exception_int_div_zero 0
	.end_amdhsa_kernel
	.section	.text._ZN7rocprim17ROCPRIM_400000_NS6detail17trampoline_kernelINS0_14default_configENS1_35adjacent_difference_config_selectorILb0ElEEZNS1_24adjacent_difference_implIS3_Lb0ELb0EPlS7_ZN2at6native12_GLOBAL__N_124unique_dim_cuda_templateIsEESt5tupleIJNS8_6TensorESD_SD_EERKSD_lbbbEUlllE1_EE10hipError_tPvRmT2_T3_mT4_P12ihipStream_tbEUlT_E_NS1_11comp_targetILNS1_3genE9ELNS1_11target_archE1100ELNS1_3gpuE3ELNS1_3repE0EEENS1_30default_config_static_selectorELNS0_4arch9wavefront6targetE0EEEvT1_,"axG",@progbits,_ZN7rocprim17ROCPRIM_400000_NS6detail17trampoline_kernelINS0_14default_configENS1_35adjacent_difference_config_selectorILb0ElEEZNS1_24adjacent_difference_implIS3_Lb0ELb0EPlS7_ZN2at6native12_GLOBAL__N_124unique_dim_cuda_templateIsEESt5tupleIJNS8_6TensorESD_SD_EERKSD_lbbbEUlllE1_EE10hipError_tPvRmT2_T3_mT4_P12ihipStream_tbEUlT_E_NS1_11comp_targetILNS1_3genE9ELNS1_11target_archE1100ELNS1_3gpuE3ELNS1_3repE0EEENS1_30default_config_static_selectorELNS0_4arch9wavefront6targetE0EEEvT1_,comdat
.Lfunc_end666:
	.size	_ZN7rocprim17ROCPRIM_400000_NS6detail17trampoline_kernelINS0_14default_configENS1_35adjacent_difference_config_selectorILb0ElEEZNS1_24adjacent_difference_implIS3_Lb0ELb0EPlS7_ZN2at6native12_GLOBAL__N_124unique_dim_cuda_templateIsEESt5tupleIJNS8_6TensorESD_SD_EERKSD_lbbbEUlllE1_EE10hipError_tPvRmT2_T3_mT4_P12ihipStream_tbEUlT_E_NS1_11comp_targetILNS1_3genE9ELNS1_11target_archE1100ELNS1_3gpuE3ELNS1_3repE0EEENS1_30default_config_static_selectorELNS0_4arch9wavefront6targetE0EEEvT1_, .Lfunc_end666-_ZN7rocprim17ROCPRIM_400000_NS6detail17trampoline_kernelINS0_14default_configENS1_35adjacent_difference_config_selectorILb0ElEEZNS1_24adjacent_difference_implIS3_Lb0ELb0EPlS7_ZN2at6native12_GLOBAL__N_124unique_dim_cuda_templateIsEESt5tupleIJNS8_6TensorESD_SD_EERKSD_lbbbEUlllE1_EE10hipError_tPvRmT2_T3_mT4_P12ihipStream_tbEUlT_E_NS1_11comp_targetILNS1_3genE9ELNS1_11target_archE1100ELNS1_3gpuE3ELNS1_3repE0EEENS1_30default_config_static_selectorELNS0_4arch9wavefront6targetE0EEEvT1_
                                        ; -- End function
	.set _ZN7rocprim17ROCPRIM_400000_NS6detail17trampoline_kernelINS0_14default_configENS1_35adjacent_difference_config_selectorILb0ElEEZNS1_24adjacent_difference_implIS3_Lb0ELb0EPlS7_ZN2at6native12_GLOBAL__N_124unique_dim_cuda_templateIsEESt5tupleIJNS8_6TensorESD_SD_EERKSD_lbbbEUlllE1_EE10hipError_tPvRmT2_T3_mT4_P12ihipStream_tbEUlT_E_NS1_11comp_targetILNS1_3genE9ELNS1_11target_archE1100ELNS1_3gpuE3ELNS1_3repE0EEENS1_30default_config_static_selectorELNS0_4arch9wavefront6targetE0EEEvT1_.num_vgpr, 0
	.set _ZN7rocprim17ROCPRIM_400000_NS6detail17trampoline_kernelINS0_14default_configENS1_35adjacent_difference_config_selectorILb0ElEEZNS1_24adjacent_difference_implIS3_Lb0ELb0EPlS7_ZN2at6native12_GLOBAL__N_124unique_dim_cuda_templateIsEESt5tupleIJNS8_6TensorESD_SD_EERKSD_lbbbEUlllE1_EE10hipError_tPvRmT2_T3_mT4_P12ihipStream_tbEUlT_E_NS1_11comp_targetILNS1_3genE9ELNS1_11target_archE1100ELNS1_3gpuE3ELNS1_3repE0EEENS1_30default_config_static_selectorELNS0_4arch9wavefront6targetE0EEEvT1_.num_agpr, 0
	.set _ZN7rocprim17ROCPRIM_400000_NS6detail17trampoline_kernelINS0_14default_configENS1_35adjacent_difference_config_selectorILb0ElEEZNS1_24adjacent_difference_implIS3_Lb0ELb0EPlS7_ZN2at6native12_GLOBAL__N_124unique_dim_cuda_templateIsEESt5tupleIJNS8_6TensorESD_SD_EERKSD_lbbbEUlllE1_EE10hipError_tPvRmT2_T3_mT4_P12ihipStream_tbEUlT_E_NS1_11comp_targetILNS1_3genE9ELNS1_11target_archE1100ELNS1_3gpuE3ELNS1_3repE0EEENS1_30default_config_static_selectorELNS0_4arch9wavefront6targetE0EEEvT1_.numbered_sgpr, 0
	.set _ZN7rocprim17ROCPRIM_400000_NS6detail17trampoline_kernelINS0_14default_configENS1_35adjacent_difference_config_selectorILb0ElEEZNS1_24adjacent_difference_implIS3_Lb0ELb0EPlS7_ZN2at6native12_GLOBAL__N_124unique_dim_cuda_templateIsEESt5tupleIJNS8_6TensorESD_SD_EERKSD_lbbbEUlllE1_EE10hipError_tPvRmT2_T3_mT4_P12ihipStream_tbEUlT_E_NS1_11comp_targetILNS1_3genE9ELNS1_11target_archE1100ELNS1_3gpuE3ELNS1_3repE0EEENS1_30default_config_static_selectorELNS0_4arch9wavefront6targetE0EEEvT1_.num_named_barrier, 0
	.set _ZN7rocprim17ROCPRIM_400000_NS6detail17trampoline_kernelINS0_14default_configENS1_35adjacent_difference_config_selectorILb0ElEEZNS1_24adjacent_difference_implIS3_Lb0ELb0EPlS7_ZN2at6native12_GLOBAL__N_124unique_dim_cuda_templateIsEESt5tupleIJNS8_6TensorESD_SD_EERKSD_lbbbEUlllE1_EE10hipError_tPvRmT2_T3_mT4_P12ihipStream_tbEUlT_E_NS1_11comp_targetILNS1_3genE9ELNS1_11target_archE1100ELNS1_3gpuE3ELNS1_3repE0EEENS1_30default_config_static_selectorELNS0_4arch9wavefront6targetE0EEEvT1_.private_seg_size, 0
	.set _ZN7rocprim17ROCPRIM_400000_NS6detail17trampoline_kernelINS0_14default_configENS1_35adjacent_difference_config_selectorILb0ElEEZNS1_24adjacent_difference_implIS3_Lb0ELb0EPlS7_ZN2at6native12_GLOBAL__N_124unique_dim_cuda_templateIsEESt5tupleIJNS8_6TensorESD_SD_EERKSD_lbbbEUlllE1_EE10hipError_tPvRmT2_T3_mT4_P12ihipStream_tbEUlT_E_NS1_11comp_targetILNS1_3genE9ELNS1_11target_archE1100ELNS1_3gpuE3ELNS1_3repE0EEENS1_30default_config_static_selectorELNS0_4arch9wavefront6targetE0EEEvT1_.uses_vcc, 0
	.set _ZN7rocprim17ROCPRIM_400000_NS6detail17trampoline_kernelINS0_14default_configENS1_35adjacent_difference_config_selectorILb0ElEEZNS1_24adjacent_difference_implIS3_Lb0ELb0EPlS7_ZN2at6native12_GLOBAL__N_124unique_dim_cuda_templateIsEESt5tupleIJNS8_6TensorESD_SD_EERKSD_lbbbEUlllE1_EE10hipError_tPvRmT2_T3_mT4_P12ihipStream_tbEUlT_E_NS1_11comp_targetILNS1_3genE9ELNS1_11target_archE1100ELNS1_3gpuE3ELNS1_3repE0EEENS1_30default_config_static_selectorELNS0_4arch9wavefront6targetE0EEEvT1_.uses_flat_scratch, 0
	.set _ZN7rocprim17ROCPRIM_400000_NS6detail17trampoline_kernelINS0_14default_configENS1_35adjacent_difference_config_selectorILb0ElEEZNS1_24adjacent_difference_implIS3_Lb0ELb0EPlS7_ZN2at6native12_GLOBAL__N_124unique_dim_cuda_templateIsEESt5tupleIJNS8_6TensorESD_SD_EERKSD_lbbbEUlllE1_EE10hipError_tPvRmT2_T3_mT4_P12ihipStream_tbEUlT_E_NS1_11comp_targetILNS1_3genE9ELNS1_11target_archE1100ELNS1_3gpuE3ELNS1_3repE0EEENS1_30default_config_static_selectorELNS0_4arch9wavefront6targetE0EEEvT1_.has_dyn_sized_stack, 0
	.set _ZN7rocprim17ROCPRIM_400000_NS6detail17trampoline_kernelINS0_14default_configENS1_35adjacent_difference_config_selectorILb0ElEEZNS1_24adjacent_difference_implIS3_Lb0ELb0EPlS7_ZN2at6native12_GLOBAL__N_124unique_dim_cuda_templateIsEESt5tupleIJNS8_6TensorESD_SD_EERKSD_lbbbEUlllE1_EE10hipError_tPvRmT2_T3_mT4_P12ihipStream_tbEUlT_E_NS1_11comp_targetILNS1_3genE9ELNS1_11target_archE1100ELNS1_3gpuE3ELNS1_3repE0EEENS1_30default_config_static_selectorELNS0_4arch9wavefront6targetE0EEEvT1_.has_recursion, 0
	.set _ZN7rocprim17ROCPRIM_400000_NS6detail17trampoline_kernelINS0_14default_configENS1_35adjacent_difference_config_selectorILb0ElEEZNS1_24adjacent_difference_implIS3_Lb0ELb0EPlS7_ZN2at6native12_GLOBAL__N_124unique_dim_cuda_templateIsEESt5tupleIJNS8_6TensorESD_SD_EERKSD_lbbbEUlllE1_EE10hipError_tPvRmT2_T3_mT4_P12ihipStream_tbEUlT_E_NS1_11comp_targetILNS1_3genE9ELNS1_11target_archE1100ELNS1_3gpuE3ELNS1_3repE0EEENS1_30default_config_static_selectorELNS0_4arch9wavefront6targetE0EEEvT1_.has_indirect_call, 0
	.section	.AMDGPU.csdata,"",@progbits
; Kernel info:
; codeLenInByte = 0
; TotalNumSgprs: 0
; NumVgprs: 0
; ScratchSize: 0
; MemoryBound: 0
; FloatMode: 240
; IeeeMode: 1
; LDSByteSize: 0 bytes/workgroup (compile time only)
; SGPRBlocks: 0
; VGPRBlocks: 0
; NumSGPRsForWavesPerEU: 1
; NumVGPRsForWavesPerEU: 1
; NamedBarCnt: 0
; Occupancy: 16
; WaveLimiterHint : 0
; COMPUTE_PGM_RSRC2:SCRATCH_EN: 0
; COMPUTE_PGM_RSRC2:USER_SGPR: 2
; COMPUTE_PGM_RSRC2:TRAP_HANDLER: 0
; COMPUTE_PGM_RSRC2:TGID_X_EN: 1
; COMPUTE_PGM_RSRC2:TGID_Y_EN: 0
; COMPUTE_PGM_RSRC2:TGID_Z_EN: 0
; COMPUTE_PGM_RSRC2:TIDIG_COMP_CNT: 0
	.section	.text._ZN7rocprim17ROCPRIM_400000_NS6detail17trampoline_kernelINS0_14default_configENS1_35adjacent_difference_config_selectorILb0ElEEZNS1_24adjacent_difference_implIS3_Lb0ELb0EPlS7_ZN2at6native12_GLOBAL__N_124unique_dim_cuda_templateIsEESt5tupleIJNS8_6TensorESD_SD_EERKSD_lbbbEUlllE1_EE10hipError_tPvRmT2_T3_mT4_P12ihipStream_tbEUlT_E_NS1_11comp_targetILNS1_3genE8ELNS1_11target_archE1030ELNS1_3gpuE2ELNS1_3repE0EEENS1_30default_config_static_selectorELNS0_4arch9wavefront6targetE0EEEvT1_,"axG",@progbits,_ZN7rocprim17ROCPRIM_400000_NS6detail17trampoline_kernelINS0_14default_configENS1_35adjacent_difference_config_selectorILb0ElEEZNS1_24adjacent_difference_implIS3_Lb0ELb0EPlS7_ZN2at6native12_GLOBAL__N_124unique_dim_cuda_templateIsEESt5tupleIJNS8_6TensorESD_SD_EERKSD_lbbbEUlllE1_EE10hipError_tPvRmT2_T3_mT4_P12ihipStream_tbEUlT_E_NS1_11comp_targetILNS1_3genE8ELNS1_11target_archE1030ELNS1_3gpuE2ELNS1_3repE0EEENS1_30default_config_static_selectorELNS0_4arch9wavefront6targetE0EEEvT1_,comdat
	.globl	_ZN7rocprim17ROCPRIM_400000_NS6detail17trampoline_kernelINS0_14default_configENS1_35adjacent_difference_config_selectorILb0ElEEZNS1_24adjacent_difference_implIS3_Lb0ELb0EPlS7_ZN2at6native12_GLOBAL__N_124unique_dim_cuda_templateIsEESt5tupleIJNS8_6TensorESD_SD_EERKSD_lbbbEUlllE1_EE10hipError_tPvRmT2_T3_mT4_P12ihipStream_tbEUlT_E_NS1_11comp_targetILNS1_3genE8ELNS1_11target_archE1030ELNS1_3gpuE2ELNS1_3repE0EEENS1_30default_config_static_selectorELNS0_4arch9wavefront6targetE0EEEvT1_ ; -- Begin function _ZN7rocprim17ROCPRIM_400000_NS6detail17trampoline_kernelINS0_14default_configENS1_35adjacent_difference_config_selectorILb0ElEEZNS1_24adjacent_difference_implIS3_Lb0ELb0EPlS7_ZN2at6native12_GLOBAL__N_124unique_dim_cuda_templateIsEESt5tupleIJNS8_6TensorESD_SD_EERKSD_lbbbEUlllE1_EE10hipError_tPvRmT2_T3_mT4_P12ihipStream_tbEUlT_E_NS1_11comp_targetILNS1_3genE8ELNS1_11target_archE1030ELNS1_3gpuE2ELNS1_3repE0EEENS1_30default_config_static_selectorELNS0_4arch9wavefront6targetE0EEEvT1_
	.p2align	8
	.type	_ZN7rocprim17ROCPRIM_400000_NS6detail17trampoline_kernelINS0_14default_configENS1_35adjacent_difference_config_selectorILb0ElEEZNS1_24adjacent_difference_implIS3_Lb0ELb0EPlS7_ZN2at6native12_GLOBAL__N_124unique_dim_cuda_templateIsEESt5tupleIJNS8_6TensorESD_SD_EERKSD_lbbbEUlllE1_EE10hipError_tPvRmT2_T3_mT4_P12ihipStream_tbEUlT_E_NS1_11comp_targetILNS1_3genE8ELNS1_11target_archE1030ELNS1_3gpuE2ELNS1_3repE0EEENS1_30default_config_static_selectorELNS0_4arch9wavefront6targetE0EEEvT1_,@function
_ZN7rocprim17ROCPRIM_400000_NS6detail17trampoline_kernelINS0_14default_configENS1_35adjacent_difference_config_selectorILb0ElEEZNS1_24adjacent_difference_implIS3_Lb0ELb0EPlS7_ZN2at6native12_GLOBAL__N_124unique_dim_cuda_templateIsEESt5tupleIJNS8_6TensorESD_SD_EERKSD_lbbbEUlllE1_EE10hipError_tPvRmT2_T3_mT4_P12ihipStream_tbEUlT_E_NS1_11comp_targetILNS1_3genE8ELNS1_11target_archE1030ELNS1_3gpuE2ELNS1_3repE0EEENS1_30default_config_static_selectorELNS0_4arch9wavefront6targetE0EEEvT1_: ; @_ZN7rocprim17ROCPRIM_400000_NS6detail17trampoline_kernelINS0_14default_configENS1_35adjacent_difference_config_selectorILb0ElEEZNS1_24adjacent_difference_implIS3_Lb0ELb0EPlS7_ZN2at6native12_GLOBAL__N_124unique_dim_cuda_templateIsEESt5tupleIJNS8_6TensorESD_SD_EERKSD_lbbbEUlllE1_EE10hipError_tPvRmT2_T3_mT4_P12ihipStream_tbEUlT_E_NS1_11comp_targetILNS1_3genE8ELNS1_11target_archE1030ELNS1_3gpuE2ELNS1_3repE0EEENS1_30default_config_static_selectorELNS0_4arch9wavefront6targetE0EEEvT1_
; %bb.0:
	.section	.rodata,"a",@progbits
	.p2align	6, 0x0
	.amdhsa_kernel _ZN7rocprim17ROCPRIM_400000_NS6detail17trampoline_kernelINS0_14default_configENS1_35adjacent_difference_config_selectorILb0ElEEZNS1_24adjacent_difference_implIS3_Lb0ELb0EPlS7_ZN2at6native12_GLOBAL__N_124unique_dim_cuda_templateIsEESt5tupleIJNS8_6TensorESD_SD_EERKSD_lbbbEUlllE1_EE10hipError_tPvRmT2_T3_mT4_P12ihipStream_tbEUlT_E_NS1_11comp_targetILNS1_3genE8ELNS1_11target_archE1030ELNS1_3gpuE2ELNS1_3repE0EEENS1_30default_config_static_selectorELNS0_4arch9wavefront6targetE0EEEvT1_
		.amdhsa_group_segment_fixed_size 0
		.amdhsa_private_segment_fixed_size 0
		.amdhsa_kernarg_size 64
		.amdhsa_user_sgpr_count 2
		.amdhsa_user_sgpr_dispatch_ptr 0
		.amdhsa_user_sgpr_queue_ptr 0
		.amdhsa_user_sgpr_kernarg_segment_ptr 1
		.amdhsa_user_sgpr_dispatch_id 0
		.amdhsa_user_sgpr_kernarg_preload_length 0
		.amdhsa_user_sgpr_kernarg_preload_offset 0
		.amdhsa_user_sgpr_private_segment_size 0
		.amdhsa_wavefront_size32 1
		.amdhsa_uses_dynamic_stack 0
		.amdhsa_enable_private_segment 0
		.amdhsa_system_sgpr_workgroup_id_x 1
		.amdhsa_system_sgpr_workgroup_id_y 0
		.amdhsa_system_sgpr_workgroup_id_z 0
		.amdhsa_system_sgpr_workgroup_info 0
		.amdhsa_system_vgpr_workitem_id 0
		.amdhsa_next_free_vgpr 1
		.amdhsa_next_free_sgpr 1
		.amdhsa_named_barrier_count 0
		.amdhsa_reserve_vcc 0
		.amdhsa_float_round_mode_32 0
		.amdhsa_float_round_mode_16_64 0
		.amdhsa_float_denorm_mode_32 3
		.amdhsa_float_denorm_mode_16_64 3
		.amdhsa_fp16_overflow 0
		.amdhsa_memory_ordered 1
		.amdhsa_forward_progress 1
		.amdhsa_inst_pref_size 0
		.amdhsa_round_robin_scheduling 0
		.amdhsa_exception_fp_ieee_invalid_op 0
		.amdhsa_exception_fp_denorm_src 0
		.amdhsa_exception_fp_ieee_div_zero 0
		.amdhsa_exception_fp_ieee_overflow 0
		.amdhsa_exception_fp_ieee_underflow 0
		.amdhsa_exception_fp_ieee_inexact 0
		.amdhsa_exception_int_div_zero 0
	.end_amdhsa_kernel
	.section	.text._ZN7rocprim17ROCPRIM_400000_NS6detail17trampoline_kernelINS0_14default_configENS1_35adjacent_difference_config_selectorILb0ElEEZNS1_24adjacent_difference_implIS3_Lb0ELb0EPlS7_ZN2at6native12_GLOBAL__N_124unique_dim_cuda_templateIsEESt5tupleIJNS8_6TensorESD_SD_EERKSD_lbbbEUlllE1_EE10hipError_tPvRmT2_T3_mT4_P12ihipStream_tbEUlT_E_NS1_11comp_targetILNS1_3genE8ELNS1_11target_archE1030ELNS1_3gpuE2ELNS1_3repE0EEENS1_30default_config_static_selectorELNS0_4arch9wavefront6targetE0EEEvT1_,"axG",@progbits,_ZN7rocprim17ROCPRIM_400000_NS6detail17trampoline_kernelINS0_14default_configENS1_35adjacent_difference_config_selectorILb0ElEEZNS1_24adjacent_difference_implIS3_Lb0ELb0EPlS7_ZN2at6native12_GLOBAL__N_124unique_dim_cuda_templateIsEESt5tupleIJNS8_6TensorESD_SD_EERKSD_lbbbEUlllE1_EE10hipError_tPvRmT2_T3_mT4_P12ihipStream_tbEUlT_E_NS1_11comp_targetILNS1_3genE8ELNS1_11target_archE1030ELNS1_3gpuE2ELNS1_3repE0EEENS1_30default_config_static_selectorELNS0_4arch9wavefront6targetE0EEEvT1_,comdat
.Lfunc_end667:
	.size	_ZN7rocprim17ROCPRIM_400000_NS6detail17trampoline_kernelINS0_14default_configENS1_35adjacent_difference_config_selectorILb0ElEEZNS1_24adjacent_difference_implIS3_Lb0ELb0EPlS7_ZN2at6native12_GLOBAL__N_124unique_dim_cuda_templateIsEESt5tupleIJNS8_6TensorESD_SD_EERKSD_lbbbEUlllE1_EE10hipError_tPvRmT2_T3_mT4_P12ihipStream_tbEUlT_E_NS1_11comp_targetILNS1_3genE8ELNS1_11target_archE1030ELNS1_3gpuE2ELNS1_3repE0EEENS1_30default_config_static_selectorELNS0_4arch9wavefront6targetE0EEEvT1_, .Lfunc_end667-_ZN7rocprim17ROCPRIM_400000_NS6detail17trampoline_kernelINS0_14default_configENS1_35adjacent_difference_config_selectorILb0ElEEZNS1_24adjacent_difference_implIS3_Lb0ELb0EPlS7_ZN2at6native12_GLOBAL__N_124unique_dim_cuda_templateIsEESt5tupleIJNS8_6TensorESD_SD_EERKSD_lbbbEUlllE1_EE10hipError_tPvRmT2_T3_mT4_P12ihipStream_tbEUlT_E_NS1_11comp_targetILNS1_3genE8ELNS1_11target_archE1030ELNS1_3gpuE2ELNS1_3repE0EEENS1_30default_config_static_selectorELNS0_4arch9wavefront6targetE0EEEvT1_
                                        ; -- End function
	.set _ZN7rocprim17ROCPRIM_400000_NS6detail17trampoline_kernelINS0_14default_configENS1_35adjacent_difference_config_selectorILb0ElEEZNS1_24adjacent_difference_implIS3_Lb0ELb0EPlS7_ZN2at6native12_GLOBAL__N_124unique_dim_cuda_templateIsEESt5tupleIJNS8_6TensorESD_SD_EERKSD_lbbbEUlllE1_EE10hipError_tPvRmT2_T3_mT4_P12ihipStream_tbEUlT_E_NS1_11comp_targetILNS1_3genE8ELNS1_11target_archE1030ELNS1_3gpuE2ELNS1_3repE0EEENS1_30default_config_static_selectorELNS0_4arch9wavefront6targetE0EEEvT1_.num_vgpr, 0
	.set _ZN7rocprim17ROCPRIM_400000_NS6detail17trampoline_kernelINS0_14default_configENS1_35adjacent_difference_config_selectorILb0ElEEZNS1_24adjacent_difference_implIS3_Lb0ELb0EPlS7_ZN2at6native12_GLOBAL__N_124unique_dim_cuda_templateIsEESt5tupleIJNS8_6TensorESD_SD_EERKSD_lbbbEUlllE1_EE10hipError_tPvRmT2_T3_mT4_P12ihipStream_tbEUlT_E_NS1_11comp_targetILNS1_3genE8ELNS1_11target_archE1030ELNS1_3gpuE2ELNS1_3repE0EEENS1_30default_config_static_selectorELNS0_4arch9wavefront6targetE0EEEvT1_.num_agpr, 0
	.set _ZN7rocprim17ROCPRIM_400000_NS6detail17trampoline_kernelINS0_14default_configENS1_35adjacent_difference_config_selectorILb0ElEEZNS1_24adjacent_difference_implIS3_Lb0ELb0EPlS7_ZN2at6native12_GLOBAL__N_124unique_dim_cuda_templateIsEESt5tupleIJNS8_6TensorESD_SD_EERKSD_lbbbEUlllE1_EE10hipError_tPvRmT2_T3_mT4_P12ihipStream_tbEUlT_E_NS1_11comp_targetILNS1_3genE8ELNS1_11target_archE1030ELNS1_3gpuE2ELNS1_3repE0EEENS1_30default_config_static_selectorELNS0_4arch9wavefront6targetE0EEEvT1_.numbered_sgpr, 0
	.set _ZN7rocprim17ROCPRIM_400000_NS6detail17trampoline_kernelINS0_14default_configENS1_35adjacent_difference_config_selectorILb0ElEEZNS1_24adjacent_difference_implIS3_Lb0ELb0EPlS7_ZN2at6native12_GLOBAL__N_124unique_dim_cuda_templateIsEESt5tupleIJNS8_6TensorESD_SD_EERKSD_lbbbEUlllE1_EE10hipError_tPvRmT2_T3_mT4_P12ihipStream_tbEUlT_E_NS1_11comp_targetILNS1_3genE8ELNS1_11target_archE1030ELNS1_3gpuE2ELNS1_3repE0EEENS1_30default_config_static_selectorELNS0_4arch9wavefront6targetE0EEEvT1_.num_named_barrier, 0
	.set _ZN7rocprim17ROCPRIM_400000_NS6detail17trampoline_kernelINS0_14default_configENS1_35adjacent_difference_config_selectorILb0ElEEZNS1_24adjacent_difference_implIS3_Lb0ELb0EPlS7_ZN2at6native12_GLOBAL__N_124unique_dim_cuda_templateIsEESt5tupleIJNS8_6TensorESD_SD_EERKSD_lbbbEUlllE1_EE10hipError_tPvRmT2_T3_mT4_P12ihipStream_tbEUlT_E_NS1_11comp_targetILNS1_3genE8ELNS1_11target_archE1030ELNS1_3gpuE2ELNS1_3repE0EEENS1_30default_config_static_selectorELNS0_4arch9wavefront6targetE0EEEvT1_.private_seg_size, 0
	.set _ZN7rocprim17ROCPRIM_400000_NS6detail17trampoline_kernelINS0_14default_configENS1_35adjacent_difference_config_selectorILb0ElEEZNS1_24adjacent_difference_implIS3_Lb0ELb0EPlS7_ZN2at6native12_GLOBAL__N_124unique_dim_cuda_templateIsEESt5tupleIJNS8_6TensorESD_SD_EERKSD_lbbbEUlllE1_EE10hipError_tPvRmT2_T3_mT4_P12ihipStream_tbEUlT_E_NS1_11comp_targetILNS1_3genE8ELNS1_11target_archE1030ELNS1_3gpuE2ELNS1_3repE0EEENS1_30default_config_static_selectorELNS0_4arch9wavefront6targetE0EEEvT1_.uses_vcc, 0
	.set _ZN7rocprim17ROCPRIM_400000_NS6detail17trampoline_kernelINS0_14default_configENS1_35adjacent_difference_config_selectorILb0ElEEZNS1_24adjacent_difference_implIS3_Lb0ELb0EPlS7_ZN2at6native12_GLOBAL__N_124unique_dim_cuda_templateIsEESt5tupleIJNS8_6TensorESD_SD_EERKSD_lbbbEUlllE1_EE10hipError_tPvRmT2_T3_mT4_P12ihipStream_tbEUlT_E_NS1_11comp_targetILNS1_3genE8ELNS1_11target_archE1030ELNS1_3gpuE2ELNS1_3repE0EEENS1_30default_config_static_selectorELNS0_4arch9wavefront6targetE0EEEvT1_.uses_flat_scratch, 0
	.set _ZN7rocprim17ROCPRIM_400000_NS6detail17trampoline_kernelINS0_14default_configENS1_35adjacent_difference_config_selectorILb0ElEEZNS1_24adjacent_difference_implIS3_Lb0ELb0EPlS7_ZN2at6native12_GLOBAL__N_124unique_dim_cuda_templateIsEESt5tupleIJNS8_6TensorESD_SD_EERKSD_lbbbEUlllE1_EE10hipError_tPvRmT2_T3_mT4_P12ihipStream_tbEUlT_E_NS1_11comp_targetILNS1_3genE8ELNS1_11target_archE1030ELNS1_3gpuE2ELNS1_3repE0EEENS1_30default_config_static_selectorELNS0_4arch9wavefront6targetE0EEEvT1_.has_dyn_sized_stack, 0
	.set _ZN7rocprim17ROCPRIM_400000_NS6detail17trampoline_kernelINS0_14default_configENS1_35adjacent_difference_config_selectorILb0ElEEZNS1_24adjacent_difference_implIS3_Lb0ELb0EPlS7_ZN2at6native12_GLOBAL__N_124unique_dim_cuda_templateIsEESt5tupleIJNS8_6TensorESD_SD_EERKSD_lbbbEUlllE1_EE10hipError_tPvRmT2_T3_mT4_P12ihipStream_tbEUlT_E_NS1_11comp_targetILNS1_3genE8ELNS1_11target_archE1030ELNS1_3gpuE2ELNS1_3repE0EEENS1_30default_config_static_selectorELNS0_4arch9wavefront6targetE0EEEvT1_.has_recursion, 0
	.set _ZN7rocprim17ROCPRIM_400000_NS6detail17trampoline_kernelINS0_14default_configENS1_35adjacent_difference_config_selectorILb0ElEEZNS1_24adjacent_difference_implIS3_Lb0ELb0EPlS7_ZN2at6native12_GLOBAL__N_124unique_dim_cuda_templateIsEESt5tupleIJNS8_6TensorESD_SD_EERKSD_lbbbEUlllE1_EE10hipError_tPvRmT2_T3_mT4_P12ihipStream_tbEUlT_E_NS1_11comp_targetILNS1_3genE8ELNS1_11target_archE1030ELNS1_3gpuE2ELNS1_3repE0EEENS1_30default_config_static_selectorELNS0_4arch9wavefront6targetE0EEEvT1_.has_indirect_call, 0
	.section	.AMDGPU.csdata,"",@progbits
; Kernel info:
; codeLenInByte = 0
; TotalNumSgprs: 0
; NumVgprs: 0
; ScratchSize: 0
; MemoryBound: 0
; FloatMode: 240
; IeeeMode: 1
; LDSByteSize: 0 bytes/workgroup (compile time only)
; SGPRBlocks: 0
; VGPRBlocks: 0
; NumSGPRsForWavesPerEU: 1
; NumVGPRsForWavesPerEU: 1
; NamedBarCnt: 0
; Occupancy: 16
; WaveLimiterHint : 0
; COMPUTE_PGM_RSRC2:SCRATCH_EN: 0
; COMPUTE_PGM_RSRC2:USER_SGPR: 2
; COMPUTE_PGM_RSRC2:TRAP_HANDLER: 0
; COMPUTE_PGM_RSRC2:TGID_X_EN: 1
; COMPUTE_PGM_RSRC2:TGID_Y_EN: 0
; COMPUTE_PGM_RSRC2:TGID_Z_EN: 0
; COMPUTE_PGM_RSRC2:TIDIG_COMP_CNT: 0
	.section	.text._ZN7rocprim17ROCPRIM_400000_NS6detail17trampoline_kernelINS0_14default_configENS1_25transform_config_selectorIlLb0EEEZNS1_14transform_implILb0ES3_S5_NS0_18transform_iteratorINS0_17counting_iteratorImlEEZNS1_24adjacent_difference_implIS3_Lb1ELb0EPlSB_ZN2at6native12_GLOBAL__N_124unique_dim_cuda_templateIsEESt5tupleIJNSC_6TensorESH_SH_EERKSH_lbbbEUlllE1_EE10hipError_tPvRmT2_T3_mT4_P12ihipStream_tbEUlmE_lEESB_NS0_8identityIvEEEESM_SP_SQ_mSR_ST_bEUlT_E_NS1_11comp_targetILNS1_3genE0ELNS1_11target_archE4294967295ELNS1_3gpuE0ELNS1_3repE0EEENS1_30default_config_static_selectorELNS0_4arch9wavefront6targetE0EEEvT1_,"axG",@progbits,_ZN7rocprim17ROCPRIM_400000_NS6detail17trampoline_kernelINS0_14default_configENS1_25transform_config_selectorIlLb0EEEZNS1_14transform_implILb0ES3_S5_NS0_18transform_iteratorINS0_17counting_iteratorImlEEZNS1_24adjacent_difference_implIS3_Lb1ELb0EPlSB_ZN2at6native12_GLOBAL__N_124unique_dim_cuda_templateIsEESt5tupleIJNSC_6TensorESH_SH_EERKSH_lbbbEUlllE1_EE10hipError_tPvRmT2_T3_mT4_P12ihipStream_tbEUlmE_lEESB_NS0_8identityIvEEEESM_SP_SQ_mSR_ST_bEUlT_E_NS1_11comp_targetILNS1_3genE0ELNS1_11target_archE4294967295ELNS1_3gpuE0ELNS1_3repE0EEENS1_30default_config_static_selectorELNS0_4arch9wavefront6targetE0EEEvT1_,comdat
	.globl	_ZN7rocprim17ROCPRIM_400000_NS6detail17trampoline_kernelINS0_14default_configENS1_25transform_config_selectorIlLb0EEEZNS1_14transform_implILb0ES3_S5_NS0_18transform_iteratorINS0_17counting_iteratorImlEEZNS1_24adjacent_difference_implIS3_Lb1ELb0EPlSB_ZN2at6native12_GLOBAL__N_124unique_dim_cuda_templateIsEESt5tupleIJNSC_6TensorESH_SH_EERKSH_lbbbEUlllE1_EE10hipError_tPvRmT2_T3_mT4_P12ihipStream_tbEUlmE_lEESB_NS0_8identityIvEEEESM_SP_SQ_mSR_ST_bEUlT_E_NS1_11comp_targetILNS1_3genE0ELNS1_11target_archE4294967295ELNS1_3gpuE0ELNS1_3repE0EEENS1_30default_config_static_selectorELNS0_4arch9wavefront6targetE0EEEvT1_ ; -- Begin function _ZN7rocprim17ROCPRIM_400000_NS6detail17trampoline_kernelINS0_14default_configENS1_25transform_config_selectorIlLb0EEEZNS1_14transform_implILb0ES3_S5_NS0_18transform_iteratorINS0_17counting_iteratorImlEEZNS1_24adjacent_difference_implIS3_Lb1ELb0EPlSB_ZN2at6native12_GLOBAL__N_124unique_dim_cuda_templateIsEESt5tupleIJNSC_6TensorESH_SH_EERKSH_lbbbEUlllE1_EE10hipError_tPvRmT2_T3_mT4_P12ihipStream_tbEUlmE_lEESB_NS0_8identityIvEEEESM_SP_SQ_mSR_ST_bEUlT_E_NS1_11comp_targetILNS1_3genE0ELNS1_11target_archE4294967295ELNS1_3gpuE0ELNS1_3repE0EEENS1_30default_config_static_selectorELNS0_4arch9wavefront6targetE0EEEvT1_
	.p2align	8
	.type	_ZN7rocprim17ROCPRIM_400000_NS6detail17trampoline_kernelINS0_14default_configENS1_25transform_config_selectorIlLb0EEEZNS1_14transform_implILb0ES3_S5_NS0_18transform_iteratorINS0_17counting_iteratorImlEEZNS1_24adjacent_difference_implIS3_Lb1ELb0EPlSB_ZN2at6native12_GLOBAL__N_124unique_dim_cuda_templateIsEESt5tupleIJNSC_6TensorESH_SH_EERKSH_lbbbEUlllE1_EE10hipError_tPvRmT2_T3_mT4_P12ihipStream_tbEUlmE_lEESB_NS0_8identityIvEEEESM_SP_SQ_mSR_ST_bEUlT_E_NS1_11comp_targetILNS1_3genE0ELNS1_11target_archE4294967295ELNS1_3gpuE0ELNS1_3repE0EEENS1_30default_config_static_selectorELNS0_4arch9wavefront6targetE0EEEvT1_,@function
_ZN7rocprim17ROCPRIM_400000_NS6detail17trampoline_kernelINS0_14default_configENS1_25transform_config_selectorIlLb0EEEZNS1_14transform_implILb0ES3_S5_NS0_18transform_iteratorINS0_17counting_iteratorImlEEZNS1_24adjacent_difference_implIS3_Lb1ELb0EPlSB_ZN2at6native12_GLOBAL__N_124unique_dim_cuda_templateIsEESt5tupleIJNSC_6TensorESH_SH_EERKSH_lbbbEUlllE1_EE10hipError_tPvRmT2_T3_mT4_P12ihipStream_tbEUlmE_lEESB_NS0_8identityIvEEEESM_SP_SQ_mSR_ST_bEUlT_E_NS1_11comp_targetILNS1_3genE0ELNS1_11target_archE4294967295ELNS1_3gpuE0ELNS1_3repE0EEENS1_30default_config_static_selectorELNS0_4arch9wavefront6targetE0EEEvT1_: ; @_ZN7rocprim17ROCPRIM_400000_NS6detail17trampoline_kernelINS0_14default_configENS1_25transform_config_selectorIlLb0EEEZNS1_14transform_implILb0ES3_S5_NS0_18transform_iteratorINS0_17counting_iteratorImlEEZNS1_24adjacent_difference_implIS3_Lb1ELb0EPlSB_ZN2at6native12_GLOBAL__N_124unique_dim_cuda_templateIsEESt5tupleIJNSC_6TensorESH_SH_EERKSH_lbbbEUlllE1_EE10hipError_tPvRmT2_T3_mT4_P12ihipStream_tbEUlmE_lEESB_NS0_8identityIvEEEESM_SP_SQ_mSR_ST_bEUlT_E_NS1_11comp_targetILNS1_3genE0ELNS1_11target_archE4294967295ELNS1_3gpuE0ELNS1_3repE0EEENS1_30default_config_static_selectorELNS0_4arch9wavefront6targetE0EEEvT1_
; %bb.0:
	s_clause 0x1
	s_load_b32 s2, s[0:1], 0x38
	s_load_b32 s3, s[0:1], 0x20
	s_bfe_u32 s4, ttmp6, 0x4000c
	s_and_b32 s5, ttmp6, 15
	s_add_co_i32 s4, s4, 1
	s_getreg_b32 s6, hwreg(HW_REG_IB_STS2, 6, 4)
	s_mul_i32 s4, ttmp9, s4
	s_delay_alu instid0(SALU_CYCLE_1)
	s_add_co_i32 s5, s5, s4
	s_cmp_eq_u32 s6, 0
	s_cselect_b32 s4, ttmp9, s5
	s_wait_kmcnt 0x0
	s_add_co_i32 s5, s2, -1
	s_lshl_b32 s2, s4, 7
	s_cmp_lg_u32 s4, s5
	s_cselect_b32 s4, -1, 0
	s_sub_co_i32 s3, s3, s2
	s_delay_alu instid0(SALU_CYCLE_1) | instskip(SKIP_2) | instid1(SALU_CYCLE_1)
	v_cmp_gt_u32_e32 vcc_lo, s3, v0
	s_mov_b32 s3, 0
	s_or_b32 s4, s4, vcc_lo
	s_and_saveexec_b32 s5, s4
	s_cbranch_execz .LBB668_2
; %bb.1:
	s_clause 0x3
	s_load_b64 s[8:9], s[0:1], 0x18
	s_load_b128 s[4:7], s[0:1], 0x0
	s_load_b32 s10, s[0:1], 0x10
	s_load_b64 s[12:13], s[0:1], 0x28
	v_mov_b32_e32 v1, 0
	s_mov_b32 s11, s3
	s_wait_kmcnt 0x0
	s_add_nc_u64 s[0:1], s[4:5], s[8:9]
	s_delay_alu instid0(SALU_CYCLE_1) | instskip(SKIP_3) | instid1(SALU_CYCLE_1)
	s_add_nc_u64 s[0:1], s[0:1], s[2:3]
	s_lshl_b64 s[2:3], s[2:3], 3
	v_add_nc_u64_e32 v[2:3], s[0:1], v[0:1]
	s_lshl_b64 s[0:1], s[8:9], 3
	s_add_nc_u64 s[0:1], s[12:13], s[0:1]
	s_delay_alu instid0(SALU_CYCLE_1) | instskip(NEXT) | instid1(VALU_DEP_1)
	s_add_nc_u64 s[0:1], s[0:1], s[2:3]
	v_mul_u64_e32 v[2:3], s[10:11], v[2:3]
	s_delay_alu instid0(VALU_DEP_1)
	v_lshl_add_u64 v[2:3], v[2:3], 3, s[6:7]
	global_load_b64 v[2:3], v[2:3], off
	s_wait_loadcnt 0x0
	global_store_b64 v0, v[2:3], s[0:1] scale_offset
.LBB668_2:
	s_endpgm
	.section	.rodata,"a",@progbits
	.p2align	6, 0x0
	.amdhsa_kernel _ZN7rocprim17ROCPRIM_400000_NS6detail17trampoline_kernelINS0_14default_configENS1_25transform_config_selectorIlLb0EEEZNS1_14transform_implILb0ES3_S5_NS0_18transform_iteratorINS0_17counting_iteratorImlEEZNS1_24adjacent_difference_implIS3_Lb1ELb0EPlSB_ZN2at6native12_GLOBAL__N_124unique_dim_cuda_templateIsEESt5tupleIJNSC_6TensorESH_SH_EERKSH_lbbbEUlllE1_EE10hipError_tPvRmT2_T3_mT4_P12ihipStream_tbEUlmE_lEESB_NS0_8identityIvEEEESM_SP_SQ_mSR_ST_bEUlT_E_NS1_11comp_targetILNS1_3genE0ELNS1_11target_archE4294967295ELNS1_3gpuE0ELNS1_3repE0EEENS1_30default_config_static_selectorELNS0_4arch9wavefront6targetE0EEEvT1_
		.amdhsa_group_segment_fixed_size 0
		.amdhsa_private_segment_fixed_size 0
		.amdhsa_kernarg_size 312
		.amdhsa_user_sgpr_count 2
		.amdhsa_user_sgpr_dispatch_ptr 0
		.amdhsa_user_sgpr_queue_ptr 0
		.amdhsa_user_sgpr_kernarg_segment_ptr 1
		.amdhsa_user_sgpr_dispatch_id 0
		.amdhsa_user_sgpr_kernarg_preload_length 0
		.amdhsa_user_sgpr_kernarg_preload_offset 0
		.amdhsa_user_sgpr_private_segment_size 0
		.amdhsa_wavefront_size32 1
		.amdhsa_uses_dynamic_stack 0
		.amdhsa_enable_private_segment 0
		.amdhsa_system_sgpr_workgroup_id_x 1
		.amdhsa_system_sgpr_workgroup_id_y 0
		.amdhsa_system_sgpr_workgroup_id_z 0
		.amdhsa_system_sgpr_workgroup_info 0
		.amdhsa_system_vgpr_workitem_id 0
		.amdhsa_next_free_vgpr 4
		.amdhsa_next_free_sgpr 14
		.amdhsa_named_barrier_count 0
		.amdhsa_reserve_vcc 1
		.amdhsa_float_round_mode_32 0
		.amdhsa_float_round_mode_16_64 0
		.amdhsa_float_denorm_mode_32 3
		.amdhsa_float_denorm_mode_16_64 3
		.amdhsa_fp16_overflow 0
		.amdhsa_memory_ordered 1
		.amdhsa_forward_progress 1
		.amdhsa_inst_pref_size 2
		.amdhsa_round_robin_scheduling 0
		.amdhsa_exception_fp_ieee_invalid_op 0
		.amdhsa_exception_fp_denorm_src 0
		.amdhsa_exception_fp_ieee_div_zero 0
		.amdhsa_exception_fp_ieee_overflow 0
		.amdhsa_exception_fp_ieee_underflow 0
		.amdhsa_exception_fp_ieee_inexact 0
		.amdhsa_exception_int_div_zero 0
	.end_amdhsa_kernel
	.section	.text._ZN7rocprim17ROCPRIM_400000_NS6detail17trampoline_kernelINS0_14default_configENS1_25transform_config_selectorIlLb0EEEZNS1_14transform_implILb0ES3_S5_NS0_18transform_iteratorINS0_17counting_iteratorImlEEZNS1_24adjacent_difference_implIS3_Lb1ELb0EPlSB_ZN2at6native12_GLOBAL__N_124unique_dim_cuda_templateIsEESt5tupleIJNSC_6TensorESH_SH_EERKSH_lbbbEUlllE1_EE10hipError_tPvRmT2_T3_mT4_P12ihipStream_tbEUlmE_lEESB_NS0_8identityIvEEEESM_SP_SQ_mSR_ST_bEUlT_E_NS1_11comp_targetILNS1_3genE0ELNS1_11target_archE4294967295ELNS1_3gpuE0ELNS1_3repE0EEENS1_30default_config_static_selectorELNS0_4arch9wavefront6targetE0EEEvT1_,"axG",@progbits,_ZN7rocprim17ROCPRIM_400000_NS6detail17trampoline_kernelINS0_14default_configENS1_25transform_config_selectorIlLb0EEEZNS1_14transform_implILb0ES3_S5_NS0_18transform_iteratorINS0_17counting_iteratorImlEEZNS1_24adjacent_difference_implIS3_Lb1ELb0EPlSB_ZN2at6native12_GLOBAL__N_124unique_dim_cuda_templateIsEESt5tupleIJNSC_6TensorESH_SH_EERKSH_lbbbEUlllE1_EE10hipError_tPvRmT2_T3_mT4_P12ihipStream_tbEUlmE_lEESB_NS0_8identityIvEEEESM_SP_SQ_mSR_ST_bEUlT_E_NS1_11comp_targetILNS1_3genE0ELNS1_11target_archE4294967295ELNS1_3gpuE0ELNS1_3repE0EEENS1_30default_config_static_selectorELNS0_4arch9wavefront6targetE0EEEvT1_,comdat
.Lfunc_end668:
	.size	_ZN7rocprim17ROCPRIM_400000_NS6detail17trampoline_kernelINS0_14default_configENS1_25transform_config_selectorIlLb0EEEZNS1_14transform_implILb0ES3_S5_NS0_18transform_iteratorINS0_17counting_iteratorImlEEZNS1_24adjacent_difference_implIS3_Lb1ELb0EPlSB_ZN2at6native12_GLOBAL__N_124unique_dim_cuda_templateIsEESt5tupleIJNSC_6TensorESH_SH_EERKSH_lbbbEUlllE1_EE10hipError_tPvRmT2_T3_mT4_P12ihipStream_tbEUlmE_lEESB_NS0_8identityIvEEEESM_SP_SQ_mSR_ST_bEUlT_E_NS1_11comp_targetILNS1_3genE0ELNS1_11target_archE4294967295ELNS1_3gpuE0ELNS1_3repE0EEENS1_30default_config_static_selectorELNS0_4arch9wavefront6targetE0EEEvT1_, .Lfunc_end668-_ZN7rocprim17ROCPRIM_400000_NS6detail17trampoline_kernelINS0_14default_configENS1_25transform_config_selectorIlLb0EEEZNS1_14transform_implILb0ES3_S5_NS0_18transform_iteratorINS0_17counting_iteratorImlEEZNS1_24adjacent_difference_implIS3_Lb1ELb0EPlSB_ZN2at6native12_GLOBAL__N_124unique_dim_cuda_templateIsEESt5tupleIJNSC_6TensorESH_SH_EERKSH_lbbbEUlllE1_EE10hipError_tPvRmT2_T3_mT4_P12ihipStream_tbEUlmE_lEESB_NS0_8identityIvEEEESM_SP_SQ_mSR_ST_bEUlT_E_NS1_11comp_targetILNS1_3genE0ELNS1_11target_archE4294967295ELNS1_3gpuE0ELNS1_3repE0EEENS1_30default_config_static_selectorELNS0_4arch9wavefront6targetE0EEEvT1_
                                        ; -- End function
	.set _ZN7rocprim17ROCPRIM_400000_NS6detail17trampoline_kernelINS0_14default_configENS1_25transform_config_selectorIlLb0EEEZNS1_14transform_implILb0ES3_S5_NS0_18transform_iteratorINS0_17counting_iteratorImlEEZNS1_24adjacent_difference_implIS3_Lb1ELb0EPlSB_ZN2at6native12_GLOBAL__N_124unique_dim_cuda_templateIsEESt5tupleIJNSC_6TensorESH_SH_EERKSH_lbbbEUlllE1_EE10hipError_tPvRmT2_T3_mT4_P12ihipStream_tbEUlmE_lEESB_NS0_8identityIvEEEESM_SP_SQ_mSR_ST_bEUlT_E_NS1_11comp_targetILNS1_3genE0ELNS1_11target_archE4294967295ELNS1_3gpuE0ELNS1_3repE0EEENS1_30default_config_static_selectorELNS0_4arch9wavefront6targetE0EEEvT1_.num_vgpr, 4
	.set _ZN7rocprim17ROCPRIM_400000_NS6detail17trampoline_kernelINS0_14default_configENS1_25transform_config_selectorIlLb0EEEZNS1_14transform_implILb0ES3_S5_NS0_18transform_iteratorINS0_17counting_iteratorImlEEZNS1_24adjacent_difference_implIS3_Lb1ELb0EPlSB_ZN2at6native12_GLOBAL__N_124unique_dim_cuda_templateIsEESt5tupleIJNSC_6TensorESH_SH_EERKSH_lbbbEUlllE1_EE10hipError_tPvRmT2_T3_mT4_P12ihipStream_tbEUlmE_lEESB_NS0_8identityIvEEEESM_SP_SQ_mSR_ST_bEUlT_E_NS1_11comp_targetILNS1_3genE0ELNS1_11target_archE4294967295ELNS1_3gpuE0ELNS1_3repE0EEENS1_30default_config_static_selectorELNS0_4arch9wavefront6targetE0EEEvT1_.num_agpr, 0
	.set _ZN7rocprim17ROCPRIM_400000_NS6detail17trampoline_kernelINS0_14default_configENS1_25transform_config_selectorIlLb0EEEZNS1_14transform_implILb0ES3_S5_NS0_18transform_iteratorINS0_17counting_iteratorImlEEZNS1_24adjacent_difference_implIS3_Lb1ELb0EPlSB_ZN2at6native12_GLOBAL__N_124unique_dim_cuda_templateIsEESt5tupleIJNSC_6TensorESH_SH_EERKSH_lbbbEUlllE1_EE10hipError_tPvRmT2_T3_mT4_P12ihipStream_tbEUlmE_lEESB_NS0_8identityIvEEEESM_SP_SQ_mSR_ST_bEUlT_E_NS1_11comp_targetILNS1_3genE0ELNS1_11target_archE4294967295ELNS1_3gpuE0ELNS1_3repE0EEENS1_30default_config_static_selectorELNS0_4arch9wavefront6targetE0EEEvT1_.numbered_sgpr, 14
	.set _ZN7rocprim17ROCPRIM_400000_NS6detail17trampoline_kernelINS0_14default_configENS1_25transform_config_selectorIlLb0EEEZNS1_14transform_implILb0ES3_S5_NS0_18transform_iteratorINS0_17counting_iteratorImlEEZNS1_24adjacent_difference_implIS3_Lb1ELb0EPlSB_ZN2at6native12_GLOBAL__N_124unique_dim_cuda_templateIsEESt5tupleIJNSC_6TensorESH_SH_EERKSH_lbbbEUlllE1_EE10hipError_tPvRmT2_T3_mT4_P12ihipStream_tbEUlmE_lEESB_NS0_8identityIvEEEESM_SP_SQ_mSR_ST_bEUlT_E_NS1_11comp_targetILNS1_3genE0ELNS1_11target_archE4294967295ELNS1_3gpuE0ELNS1_3repE0EEENS1_30default_config_static_selectorELNS0_4arch9wavefront6targetE0EEEvT1_.num_named_barrier, 0
	.set _ZN7rocprim17ROCPRIM_400000_NS6detail17trampoline_kernelINS0_14default_configENS1_25transform_config_selectorIlLb0EEEZNS1_14transform_implILb0ES3_S5_NS0_18transform_iteratorINS0_17counting_iteratorImlEEZNS1_24adjacent_difference_implIS3_Lb1ELb0EPlSB_ZN2at6native12_GLOBAL__N_124unique_dim_cuda_templateIsEESt5tupleIJNSC_6TensorESH_SH_EERKSH_lbbbEUlllE1_EE10hipError_tPvRmT2_T3_mT4_P12ihipStream_tbEUlmE_lEESB_NS0_8identityIvEEEESM_SP_SQ_mSR_ST_bEUlT_E_NS1_11comp_targetILNS1_3genE0ELNS1_11target_archE4294967295ELNS1_3gpuE0ELNS1_3repE0EEENS1_30default_config_static_selectorELNS0_4arch9wavefront6targetE0EEEvT1_.private_seg_size, 0
	.set _ZN7rocprim17ROCPRIM_400000_NS6detail17trampoline_kernelINS0_14default_configENS1_25transform_config_selectorIlLb0EEEZNS1_14transform_implILb0ES3_S5_NS0_18transform_iteratorINS0_17counting_iteratorImlEEZNS1_24adjacent_difference_implIS3_Lb1ELb0EPlSB_ZN2at6native12_GLOBAL__N_124unique_dim_cuda_templateIsEESt5tupleIJNSC_6TensorESH_SH_EERKSH_lbbbEUlllE1_EE10hipError_tPvRmT2_T3_mT4_P12ihipStream_tbEUlmE_lEESB_NS0_8identityIvEEEESM_SP_SQ_mSR_ST_bEUlT_E_NS1_11comp_targetILNS1_3genE0ELNS1_11target_archE4294967295ELNS1_3gpuE0ELNS1_3repE0EEENS1_30default_config_static_selectorELNS0_4arch9wavefront6targetE0EEEvT1_.uses_vcc, 1
	.set _ZN7rocprim17ROCPRIM_400000_NS6detail17trampoline_kernelINS0_14default_configENS1_25transform_config_selectorIlLb0EEEZNS1_14transform_implILb0ES3_S5_NS0_18transform_iteratorINS0_17counting_iteratorImlEEZNS1_24adjacent_difference_implIS3_Lb1ELb0EPlSB_ZN2at6native12_GLOBAL__N_124unique_dim_cuda_templateIsEESt5tupleIJNSC_6TensorESH_SH_EERKSH_lbbbEUlllE1_EE10hipError_tPvRmT2_T3_mT4_P12ihipStream_tbEUlmE_lEESB_NS0_8identityIvEEEESM_SP_SQ_mSR_ST_bEUlT_E_NS1_11comp_targetILNS1_3genE0ELNS1_11target_archE4294967295ELNS1_3gpuE0ELNS1_3repE0EEENS1_30default_config_static_selectorELNS0_4arch9wavefront6targetE0EEEvT1_.uses_flat_scratch, 0
	.set _ZN7rocprim17ROCPRIM_400000_NS6detail17trampoline_kernelINS0_14default_configENS1_25transform_config_selectorIlLb0EEEZNS1_14transform_implILb0ES3_S5_NS0_18transform_iteratorINS0_17counting_iteratorImlEEZNS1_24adjacent_difference_implIS3_Lb1ELb0EPlSB_ZN2at6native12_GLOBAL__N_124unique_dim_cuda_templateIsEESt5tupleIJNSC_6TensorESH_SH_EERKSH_lbbbEUlllE1_EE10hipError_tPvRmT2_T3_mT4_P12ihipStream_tbEUlmE_lEESB_NS0_8identityIvEEEESM_SP_SQ_mSR_ST_bEUlT_E_NS1_11comp_targetILNS1_3genE0ELNS1_11target_archE4294967295ELNS1_3gpuE0ELNS1_3repE0EEENS1_30default_config_static_selectorELNS0_4arch9wavefront6targetE0EEEvT1_.has_dyn_sized_stack, 0
	.set _ZN7rocprim17ROCPRIM_400000_NS6detail17trampoline_kernelINS0_14default_configENS1_25transform_config_selectorIlLb0EEEZNS1_14transform_implILb0ES3_S5_NS0_18transform_iteratorINS0_17counting_iteratorImlEEZNS1_24adjacent_difference_implIS3_Lb1ELb0EPlSB_ZN2at6native12_GLOBAL__N_124unique_dim_cuda_templateIsEESt5tupleIJNSC_6TensorESH_SH_EERKSH_lbbbEUlllE1_EE10hipError_tPvRmT2_T3_mT4_P12ihipStream_tbEUlmE_lEESB_NS0_8identityIvEEEESM_SP_SQ_mSR_ST_bEUlT_E_NS1_11comp_targetILNS1_3genE0ELNS1_11target_archE4294967295ELNS1_3gpuE0ELNS1_3repE0EEENS1_30default_config_static_selectorELNS0_4arch9wavefront6targetE0EEEvT1_.has_recursion, 0
	.set _ZN7rocprim17ROCPRIM_400000_NS6detail17trampoline_kernelINS0_14default_configENS1_25transform_config_selectorIlLb0EEEZNS1_14transform_implILb0ES3_S5_NS0_18transform_iteratorINS0_17counting_iteratorImlEEZNS1_24adjacent_difference_implIS3_Lb1ELb0EPlSB_ZN2at6native12_GLOBAL__N_124unique_dim_cuda_templateIsEESt5tupleIJNSC_6TensorESH_SH_EERKSH_lbbbEUlllE1_EE10hipError_tPvRmT2_T3_mT4_P12ihipStream_tbEUlmE_lEESB_NS0_8identityIvEEEESM_SP_SQ_mSR_ST_bEUlT_E_NS1_11comp_targetILNS1_3genE0ELNS1_11target_archE4294967295ELNS1_3gpuE0ELNS1_3repE0EEENS1_30default_config_static_selectorELNS0_4arch9wavefront6targetE0EEEvT1_.has_indirect_call, 0
	.section	.AMDGPU.csdata,"",@progbits
; Kernel info:
; codeLenInByte = 240
; TotalNumSgprs: 16
; NumVgprs: 4
; ScratchSize: 0
; MemoryBound: 0
; FloatMode: 240
; IeeeMode: 1
; LDSByteSize: 0 bytes/workgroup (compile time only)
; SGPRBlocks: 0
; VGPRBlocks: 0
; NumSGPRsForWavesPerEU: 16
; NumVGPRsForWavesPerEU: 4
; NamedBarCnt: 0
; Occupancy: 16
; WaveLimiterHint : 0
; COMPUTE_PGM_RSRC2:SCRATCH_EN: 0
; COMPUTE_PGM_RSRC2:USER_SGPR: 2
; COMPUTE_PGM_RSRC2:TRAP_HANDLER: 0
; COMPUTE_PGM_RSRC2:TGID_X_EN: 1
; COMPUTE_PGM_RSRC2:TGID_Y_EN: 0
; COMPUTE_PGM_RSRC2:TGID_Z_EN: 0
; COMPUTE_PGM_RSRC2:TIDIG_COMP_CNT: 0
	.section	.text._ZN7rocprim17ROCPRIM_400000_NS6detail17trampoline_kernelINS0_14default_configENS1_25transform_config_selectorIlLb0EEEZNS1_14transform_implILb0ES3_S5_NS0_18transform_iteratorINS0_17counting_iteratorImlEEZNS1_24adjacent_difference_implIS3_Lb1ELb0EPlSB_ZN2at6native12_GLOBAL__N_124unique_dim_cuda_templateIsEESt5tupleIJNSC_6TensorESH_SH_EERKSH_lbbbEUlllE1_EE10hipError_tPvRmT2_T3_mT4_P12ihipStream_tbEUlmE_lEESB_NS0_8identityIvEEEESM_SP_SQ_mSR_ST_bEUlT_E_NS1_11comp_targetILNS1_3genE5ELNS1_11target_archE942ELNS1_3gpuE9ELNS1_3repE0EEENS1_30default_config_static_selectorELNS0_4arch9wavefront6targetE0EEEvT1_,"axG",@progbits,_ZN7rocprim17ROCPRIM_400000_NS6detail17trampoline_kernelINS0_14default_configENS1_25transform_config_selectorIlLb0EEEZNS1_14transform_implILb0ES3_S5_NS0_18transform_iteratorINS0_17counting_iteratorImlEEZNS1_24adjacent_difference_implIS3_Lb1ELb0EPlSB_ZN2at6native12_GLOBAL__N_124unique_dim_cuda_templateIsEESt5tupleIJNSC_6TensorESH_SH_EERKSH_lbbbEUlllE1_EE10hipError_tPvRmT2_T3_mT4_P12ihipStream_tbEUlmE_lEESB_NS0_8identityIvEEEESM_SP_SQ_mSR_ST_bEUlT_E_NS1_11comp_targetILNS1_3genE5ELNS1_11target_archE942ELNS1_3gpuE9ELNS1_3repE0EEENS1_30default_config_static_selectorELNS0_4arch9wavefront6targetE0EEEvT1_,comdat
	.globl	_ZN7rocprim17ROCPRIM_400000_NS6detail17trampoline_kernelINS0_14default_configENS1_25transform_config_selectorIlLb0EEEZNS1_14transform_implILb0ES3_S5_NS0_18transform_iteratorINS0_17counting_iteratorImlEEZNS1_24adjacent_difference_implIS3_Lb1ELb0EPlSB_ZN2at6native12_GLOBAL__N_124unique_dim_cuda_templateIsEESt5tupleIJNSC_6TensorESH_SH_EERKSH_lbbbEUlllE1_EE10hipError_tPvRmT2_T3_mT4_P12ihipStream_tbEUlmE_lEESB_NS0_8identityIvEEEESM_SP_SQ_mSR_ST_bEUlT_E_NS1_11comp_targetILNS1_3genE5ELNS1_11target_archE942ELNS1_3gpuE9ELNS1_3repE0EEENS1_30default_config_static_selectorELNS0_4arch9wavefront6targetE0EEEvT1_ ; -- Begin function _ZN7rocprim17ROCPRIM_400000_NS6detail17trampoline_kernelINS0_14default_configENS1_25transform_config_selectorIlLb0EEEZNS1_14transform_implILb0ES3_S5_NS0_18transform_iteratorINS0_17counting_iteratorImlEEZNS1_24adjacent_difference_implIS3_Lb1ELb0EPlSB_ZN2at6native12_GLOBAL__N_124unique_dim_cuda_templateIsEESt5tupleIJNSC_6TensorESH_SH_EERKSH_lbbbEUlllE1_EE10hipError_tPvRmT2_T3_mT4_P12ihipStream_tbEUlmE_lEESB_NS0_8identityIvEEEESM_SP_SQ_mSR_ST_bEUlT_E_NS1_11comp_targetILNS1_3genE5ELNS1_11target_archE942ELNS1_3gpuE9ELNS1_3repE0EEENS1_30default_config_static_selectorELNS0_4arch9wavefront6targetE0EEEvT1_
	.p2align	8
	.type	_ZN7rocprim17ROCPRIM_400000_NS6detail17trampoline_kernelINS0_14default_configENS1_25transform_config_selectorIlLb0EEEZNS1_14transform_implILb0ES3_S5_NS0_18transform_iteratorINS0_17counting_iteratorImlEEZNS1_24adjacent_difference_implIS3_Lb1ELb0EPlSB_ZN2at6native12_GLOBAL__N_124unique_dim_cuda_templateIsEESt5tupleIJNSC_6TensorESH_SH_EERKSH_lbbbEUlllE1_EE10hipError_tPvRmT2_T3_mT4_P12ihipStream_tbEUlmE_lEESB_NS0_8identityIvEEEESM_SP_SQ_mSR_ST_bEUlT_E_NS1_11comp_targetILNS1_3genE5ELNS1_11target_archE942ELNS1_3gpuE9ELNS1_3repE0EEENS1_30default_config_static_selectorELNS0_4arch9wavefront6targetE0EEEvT1_,@function
_ZN7rocprim17ROCPRIM_400000_NS6detail17trampoline_kernelINS0_14default_configENS1_25transform_config_selectorIlLb0EEEZNS1_14transform_implILb0ES3_S5_NS0_18transform_iteratorINS0_17counting_iteratorImlEEZNS1_24adjacent_difference_implIS3_Lb1ELb0EPlSB_ZN2at6native12_GLOBAL__N_124unique_dim_cuda_templateIsEESt5tupleIJNSC_6TensorESH_SH_EERKSH_lbbbEUlllE1_EE10hipError_tPvRmT2_T3_mT4_P12ihipStream_tbEUlmE_lEESB_NS0_8identityIvEEEESM_SP_SQ_mSR_ST_bEUlT_E_NS1_11comp_targetILNS1_3genE5ELNS1_11target_archE942ELNS1_3gpuE9ELNS1_3repE0EEENS1_30default_config_static_selectorELNS0_4arch9wavefront6targetE0EEEvT1_: ; @_ZN7rocprim17ROCPRIM_400000_NS6detail17trampoline_kernelINS0_14default_configENS1_25transform_config_selectorIlLb0EEEZNS1_14transform_implILb0ES3_S5_NS0_18transform_iteratorINS0_17counting_iteratorImlEEZNS1_24adjacent_difference_implIS3_Lb1ELb0EPlSB_ZN2at6native12_GLOBAL__N_124unique_dim_cuda_templateIsEESt5tupleIJNSC_6TensorESH_SH_EERKSH_lbbbEUlllE1_EE10hipError_tPvRmT2_T3_mT4_P12ihipStream_tbEUlmE_lEESB_NS0_8identityIvEEEESM_SP_SQ_mSR_ST_bEUlT_E_NS1_11comp_targetILNS1_3genE5ELNS1_11target_archE942ELNS1_3gpuE9ELNS1_3repE0EEENS1_30default_config_static_selectorELNS0_4arch9wavefront6targetE0EEEvT1_
; %bb.0:
	.section	.rodata,"a",@progbits
	.p2align	6, 0x0
	.amdhsa_kernel _ZN7rocprim17ROCPRIM_400000_NS6detail17trampoline_kernelINS0_14default_configENS1_25transform_config_selectorIlLb0EEEZNS1_14transform_implILb0ES3_S5_NS0_18transform_iteratorINS0_17counting_iteratorImlEEZNS1_24adjacent_difference_implIS3_Lb1ELb0EPlSB_ZN2at6native12_GLOBAL__N_124unique_dim_cuda_templateIsEESt5tupleIJNSC_6TensorESH_SH_EERKSH_lbbbEUlllE1_EE10hipError_tPvRmT2_T3_mT4_P12ihipStream_tbEUlmE_lEESB_NS0_8identityIvEEEESM_SP_SQ_mSR_ST_bEUlT_E_NS1_11comp_targetILNS1_3genE5ELNS1_11target_archE942ELNS1_3gpuE9ELNS1_3repE0EEENS1_30default_config_static_selectorELNS0_4arch9wavefront6targetE0EEEvT1_
		.amdhsa_group_segment_fixed_size 0
		.amdhsa_private_segment_fixed_size 0
		.amdhsa_kernarg_size 56
		.amdhsa_user_sgpr_count 2
		.amdhsa_user_sgpr_dispatch_ptr 0
		.amdhsa_user_sgpr_queue_ptr 0
		.amdhsa_user_sgpr_kernarg_segment_ptr 1
		.amdhsa_user_sgpr_dispatch_id 0
		.amdhsa_user_sgpr_kernarg_preload_length 0
		.amdhsa_user_sgpr_kernarg_preload_offset 0
		.amdhsa_user_sgpr_private_segment_size 0
		.amdhsa_wavefront_size32 1
		.amdhsa_uses_dynamic_stack 0
		.amdhsa_enable_private_segment 0
		.amdhsa_system_sgpr_workgroup_id_x 1
		.amdhsa_system_sgpr_workgroup_id_y 0
		.amdhsa_system_sgpr_workgroup_id_z 0
		.amdhsa_system_sgpr_workgroup_info 0
		.amdhsa_system_vgpr_workitem_id 0
		.amdhsa_next_free_vgpr 1
		.amdhsa_next_free_sgpr 1
		.amdhsa_named_barrier_count 0
		.amdhsa_reserve_vcc 0
		.amdhsa_float_round_mode_32 0
		.amdhsa_float_round_mode_16_64 0
		.amdhsa_float_denorm_mode_32 3
		.amdhsa_float_denorm_mode_16_64 3
		.amdhsa_fp16_overflow 0
		.amdhsa_memory_ordered 1
		.amdhsa_forward_progress 1
		.amdhsa_inst_pref_size 0
		.amdhsa_round_robin_scheduling 0
		.amdhsa_exception_fp_ieee_invalid_op 0
		.amdhsa_exception_fp_denorm_src 0
		.amdhsa_exception_fp_ieee_div_zero 0
		.amdhsa_exception_fp_ieee_overflow 0
		.amdhsa_exception_fp_ieee_underflow 0
		.amdhsa_exception_fp_ieee_inexact 0
		.amdhsa_exception_int_div_zero 0
	.end_amdhsa_kernel
	.section	.text._ZN7rocprim17ROCPRIM_400000_NS6detail17trampoline_kernelINS0_14default_configENS1_25transform_config_selectorIlLb0EEEZNS1_14transform_implILb0ES3_S5_NS0_18transform_iteratorINS0_17counting_iteratorImlEEZNS1_24adjacent_difference_implIS3_Lb1ELb0EPlSB_ZN2at6native12_GLOBAL__N_124unique_dim_cuda_templateIsEESt5tupleIJNSC_6TensorESH_SH_EERKSH_lbbbEUlllE1_EE10hipError_tPvRmT2_T3_mT4_P12ihipStream_tbEUlmE_lEESB_NS0_8identityIvEEEESM_SP_SQ_mSR_ST_bEUlT_E_NS1_11comp_targetILNS1_3genE5ELNS1_11target_archE942ELNS1_3gpuE9ELNS1_3repE0EEENS1_30default_config_static_selectorELNS0_4arch9wavefront6targetE0EEEvT1_,"axG",@progbits,_ZN7rocprim17ROCPRIM_400000_NS6detail17trampoline_kernelINS0_14default_configENS1_25transform_config_selectorIlLb0EEEZNS1_14transform_implILb0ES3_S5_NS0_18transform_iteratorINS0_17counting_iteratorImlEEZNS1_24adjacent_difference_implIS3_Lb1ELb0EPlSB_ZN2at6native12_GLOBAL__N_124unique_dim_cuda_templateIsEESt5tupleIJNSC_6TensorESH_SH_EERKSH_lbbbEUlllE1_EE10hipError_tPvRmT2_T3_mT4_P12ihipStream_tbEUlmE_lEESB_NS0_8identityIvEEEESM_SP_SQ_mSR_ST_bEUlT_E_NS1_11comp_targetILNS1_3genE5ELNS1_11target_archE942ELNS1_3gpuE9ELNS1_3repE0EEENS1_30default_config_static_selectorELNS0_4arch9wavefront6targetE0EEEvT1_,comdat
.Lfunc_end669:
	.size	_ZN7rocprim17ROCPRIM_400000_NS6detail17trampoline_kernelINS0_14default_configENS1_25transform_config_selectorIlLb0EEEZNS1_14transform_implILb0ES3_S5_NS0_18transform_iteratorINS0_17counting_iteratorImlEEZNS1_24adjacent_difference_implIS3_Lb1ELb0EPlSB_ZN2at6native12_GLOBAL__N_124unique_dim_cuda_templateIsEESt5tupleIJNSC_6TensorESH_SH_EERKSH_lbbbEUlllE1_EE10hipError_tPvRmT2_T3_mT4_P12ihipStream_tbEUlmE_lEESB_NS0_8identityIvEEEESM_SP_SQ_mSR_ST_bEUlT_E_NS1_11comp_targetILNS1_3genE5ELNS1_11target_archE942ELNS1_3gpuE9ELNS1_3repE0EEENS1_30default_config_static_selectorELNS0_4arch9wavefront6targetE0EEEvT1_, .Lfunc_end669-_ZN7rocprim17ROCPRIM_400000_NS6detail17trampoline_kernelINS0_14default_configENS1_25transform_config_selectorIlLb0EEEZNS1_14transform_implILb0ES3_S5_NS0_18transform_iteratorINS0_17counting_iteratorImlEEZNS1_24adjacent_difference_implIS3_Lb1ELb0EPlSB_ZN2at6native12_GLOBAL__N_124unique_dim_cuda_templateIsEESt5tupleIJNSC_6TensorESH_SH_EERKSH_lbbbEUlllE1_EE10hipError_tPvRmT2_T3_mT4_P12ihipStream_tbEUlmE_lEESB_NS0_8identityIvEEEESM_SP_SQ_mSR_ST_bEUlT_E_NS1_11comp_targetILNS1_3genE5ELNS1_11target_archE942ELNS1_3gpuE9ELNS1_3repE0EEENS1_30default_config_static_selectorELNS0_4arch9wavefront6targetE0EEEvT1_
                                        ; -- End function
	.set _ZN7rocprim17ROCPRIM_400000_NS6detail17trampoline_kernelINS0_14default_configENS1_25transform_config_selectorIlLb0EEEZNS1_14transform_implILb0ES3_S5_NS0_18transform_iteratorINS0_17counting_iteratorImlEEZNS1_24adjacent_difference_implIS3_Lb1ELb0EPlSB_ZN2at6native12_GLOBAL__N_124unique_dim_cuda_templateIsEESt5tupleIJNSC_6TensorESH_SH_EERKSH_lbbbEUlllE1_EE10hipError_tPvRmT2_T3_mT4_P12ihipStream_tbEUlmE_lEESB_NS0_8identityIvEEEESM_SP_SQ_mSR_ST_bEUlT_E_NS1_11comp_targetILNS1_3genE5ELNS1_11target_archE942ELNS1_3gpuE9ELNS1_3repE0EEENS1_30default_config_static_selectorELNS0_4arch9wavefront6targetE0EEEvT1_.num_vgpr, 0
	.set _ZN7rocprim17ROCPRIM_400000_NS6detail17trampoline_kernelINS0_14default_configENS1_25transform_config_selectorIlLb0EEEZNS1_14transform_implILb0ES3_S5_NS0_18transform_iteratorINS0_17counting_iteratorImlEEZNS1_24adjacent_difference_implIS3_Lb1ELb0EPlSB_ZN2at6native12_GLOBAL__N_124unique_dim_cuda_templateIsEESt5tupleIJNSC_6TensorESH_SH_EERKSH_lbbbEUlllE1_EE10hipError_tPvRmT2_T3_mT4_P12ihipStream_tbEUlmE_lEESB_NS0_8identityIvEEEESM_SP_SQ_mSR_ST_bEUlT_E_NS1_11comp_targetILNS1_3genE5ELNS1_11target_archE942ELNS1_3gpuE9ELNS1_3repE0EEENS1_30default_config_static_selectorELNS0_4arch9wavefront6targetE0EEEvT1_.num_agpr, 0
	.set _ZN7rocprim17ROCPRIM_400000_NS6detail17trampoline_kernelINS0_14default_configENS1_25transform_config_selectorIlLb0EEEZNS1_14transform_implILb0ES3_S5_NS0_18transform_iteratorINS0_17counting_iteratorImlEEZNS1_24adjacent_difference_implIS3_Lb1ELb0EPlSB_ZN2at6native12_GLOBAL__N_124unique_dim_cuda_templateIsEESt5tupleIJNSC_6TensorESH_SH_EERKSH_lbbbEUlllE1_EE10hipError_tPvRmT2_T3_mT4_P12ihipStream_tbEUlmE_lEESB_NS0_8identityIvEEEESM_SP_SQ_mSR_ST_bEUlT_E_NS1_11comp_targetILNS1_3genE5ELNS1_11target_archE942ELNS1_3gpuE9ELNS1_3repE0EEENS1_30default_config_static_selectorELNS0_4arch9wavefront6targetE0EEEvT1_.numbered_sgpr, 0
	.set _ZN7rocprim17ROCPRIM_400000_NS6detail17trampoline_kernelINS0_14default_configENS1_25transform_config_selectorIlLb0EEEZNS1_14transform_implILb0ES3_S5_NS0_18transform_iteratorINS0_17counting_iteratorImlEEZNS1_24adjacent_difference_implIS3_Lb1ELb0EPlSB_ZN2at6native12_GLOBAL__N_124unique_dim_cuda_templateIsEESt5tupleIJNSC_6TensorESH_SH_EERKSH_lbbbEUlllE1_EE10hipError_tPvRmT2_T3_mT4_P12ihipStream_tbEUlmE_lEESB_NS0_8identityIvEEEESM_SP_SQ_mSR_ST_bEUlT_E_NS1_11comp_targetILNS1_3genE5ELNS1_11target_archE942ELNS1_3gpuE9ELNS1_3repE0EEENS1_30default_config_static_selectorELNS0_4arch9wavefront6targetE0EEEvT1_.num_named_barrier, 0
	.set _ZN7rocprim17ROCPRIM_400000_NS6detail17trampoline_kernelINS0_14default_configENS1_25transform_config_selectorIlLb0EEEZNS1_14transform_implILb0ES3_S5_NS0_18transform_iteratorINS0_17counting_iteratorImlEEZNS1_24adjacent_difference_implIS3_Lb1ELb0EPlSB_ZN2at6native12_GLOBAL__N_124unique_dim_cuda_templateIsEESt5tupleIJNSC_6TensorESH_SH_EERKSH_lbbbEUlllE1_EE10hipError_tPvRmT2_T3_mT4_P12ihipStream_tbEUlmE_lEESB_NS0_8identityIvEEEESM_SP_SQ_mSR_ST_bEUlT_E_NS1_11comp_targetILNS1_3genE5ELNS1_11target_archE942ELNS1_3gpuE9ELNS1_3repE0EEENS1_30default_config_static_selectorELNS0_4arch9wavefront6targetE0EEEvT1_.private_seg_size, 0
	.set _ZN7rocprim17ROCPRIM_400000_NS6detail17trampoline_kernelINS0_14default_configENS1_25transform_config_selectorIlLb0EEEZNS1_14transform_implILb0ES3_S5_NS0_18transform_iteratorINS0_17counting_iteratorImlEEZNS1_24adjacent_difference_implIS3_Lb1ELb0EPlSB_ZN2at6native12_GLOBAL__N_124unique_dim_cuda_templateIsEESt5tupleIJNSC_6TensorESH_SH_EERKSH_lbbbEUlllE1_EE10hipError_tPvRmT2_T3_mT4_P12ihipStream_tbEUlmE_lEESB_NS0_8identityIvEEEESM_SP_SQ_mSR_ST_bEUlT_E_NS1_11comp_targetILNS1_3genE5ELNS1_11target_archE942ELNS1_3gpuE9ELNS1_3repE0EEENS1_30default_config_static_selectorELNS0_4arch9wavefront6targetE0EEEvT1_.uses_vcc, 0
	.set _ZN7rocprim17ROCPRIM_400000_NS6detail17trampoline_kernelINS0_14default_configENS1_25transform_config_selectorIlLb0EEEZNS1_14transform_implILb0ES3_S5_NS0_18transform_iteratorINS0_17counting_iteratorImlEEZNS1_24adjacent_difference_implIS3_Lb1ELb0EPlSB_ZN2at6native12_GLOBAL__N_124unique_dim_cuda_templateIsEESt5tupleIJNSC_6TensorESH_SH_EERKSH_lbbbEUlllE1_EE10hipError_tPvRmT2_T3_mT4_P12ihipStream_tbEUlmE_lEESB_NS0_8identityIvEEEESM_SP_SQ_mSR_ST_bEUlT_E_NS1_11comp_targetILNS1_3genE5ELNS1_11target_archE942ELNS1_3gpuE9ELNS1_3repE0EEENS1_30default_config_static_selectorELNS0_4arch9wavefront6targetE0EEEvT1_.uses_flat_scratch, 0
	.set _ZN7rocprim17ROCPRIM_400000_NS6detail17trampoline_kernelINS0_14default_configENS1_25transform_config_selectorIlLb0EEEZNS1_14transform_implILb0ES3_S5_NS0_18transform_iteratorINS0_17counting_iteratorImlEEZNS1_24adjacent_difference_implIS3_Lb1ELb0EPlSB_ZN2at6native12_GLOBAL__N_124unique_dim_cuda_templateIsEESt5tupleIJNSC_6TensorESH_SH_EERKSH_lbbbEUlllE1_EE10hipError_tPvRmT2_T3_mT4_P12ihipStream_tbEUlmE_lEESB_NS0_8identityIvEEEESM_SP_SQ_mSR_ST_bEUlT_E_NS1_11comp_targetILNS1_3genE5ELNS1_11target_archE942ELNS1_3gpuE9ELNS1_3repE0EEENS1_30default_config_static_selectorELNS0_4arch9wavefront6targetE0EEEvT1_.has_dyn_sized_stack, 0
	.set _ZN7rocprim17ROCPRIM_400000_NS6detail17trampoline_kernelINS0_14default_configENS1_25transform_config_selectorIlLb0EEEZNS1_14transform_implILb0ES3_S5_NS0_18transform_iteratorINS0_17counting_iteratorImlEEZNS1_24adjacent_difference_implIS3_Lb1ELb0EPlSB_ZN2at6native12_GLOBAL__N_124unique_dim_cuda_templateIsEESt5tupleIJNSC_6TensorESH_SH_EERKSH_lbbbEUlllE1_EE10hipError_tPvRmT2_T3_mT4_P12ihipStream_tbEUlmE_lEESB_NS0_8identityIvEEEESM_SP_SQ_mSR_ST_bEUlT_E_NS1_11comp_targetILNS1_3genE5ELNS1_11target_archE942ELNS1_3gpuE9ELNS1_3repE0EEENS1_30default_config_static_selectorELNS0_4arch9wavefront6targetE0EEEvT1_.has_recursion, 0
	.set _ZN7rocprim17ROCPRIM_400000_NS6detail17trampoline_kernelINS0_14default_configENS1_25transform_config_selectorIlLb0EEEZNS1_14transform_implILb0ES3_S5_NS0_18transform_iteratorINS0_17counting_iteratorImlEEZNS1_24adjacent_difference_implIS3_Lb1ELb0EPlSB_ZN2at6native12_GLOBAL__N_124unique_dim_cuda_templateIsEESt5tupleIJNSC_6TensorESH_SH_EERKSH_lbbbEUlllE1_EE10hipError_tPvRmT2_T3_mT4_P12ihipStream_tbEUlmE_lEESB_NS0_8identityIvEEEESM_SP_SQ_mSR_ST_bEUlT_E_NS1_11comp_targetILNS1_3genE5ELNS1_11target_archE942ELNS1_3gpuE9ELNS1_3repE0EEENS1_30default_config_static_selectorELNS0_4arch9wavefront6targetE0EEEvT1_.has_indirect_call, 0
	.section	.AMDGPU.csdata,"",@progbits
; Kernel info:
; codeLenInByte = 0
; TotalNumSgprs: 0
; NumVgprs: 0
; ScratchSize: 0
; MemoryBound: 0
; FloatMode: 240
; IeeeMode: 1
; LDSByteSize: 0 bytes/workgroup (compile time only)
; SGPRBlocks: 0
; VGPRBlocks: 0
; NumSGPRsForWavesPerEU: 1
; NumVGPRsForWavesPerEU: 1
; NamedBarCnt: 0
; Occupancy: 16
; WaveLimiterHint : 0
; COMPUTE_PGM_RSRC2:SCRATCH_EN: 0
; COMPUTE_PGM_RSRC2:USER_SGPR: 2
; COMPUTE_PGM_RSRC2:TRAP_HANDLER: 0
; COMPUTE_PGM_RSRC2:TGID_X_EN: 1
; COMPUTE_PGM_RSRC2:TGID_Y_EN: 0
; COMPUTE_PGM_RSRC2:TGID_Z_EN: 0
; COMPUTE_PGM_RSRC2:TIDIG_COMP_CNT: 0
	.section	.text._ZN7rocprim17ROCPRIM_400000_NS6detail17trampoline_kernelINS0_14default_configENS1_25transform_config_selectorIlLb0EEEZNS1_14transform_implILb0ES3_S5_NS0_18transform_iteratorINS0_17counting_iteratorImlEEZNS1_24adjacent_difference_implIS3_Lb1ELb0EPlSB_ZN2at6native12_GLOBAL__N_124unique_dim_cuda_templateIsEESt5tupleIJNSC_6TensorESH_SH_EERKSH_lbbbEUlllE1_EE10hipError_tPvRmT2_T3_mT4_P12ihipStream_tbEUlmE_lEESB_NS0_8identityIvEEEESM_SP_SQ_mSR_ST_bEUlT_E_NS1_11comp_targetILNS1_3genE4ELNS1_11target_archE910ELNS1_3gpuE8ELNS1_3repE0EEENS1_30default_config_static_selectorELNS0_4arch9wavefront6targetE0EEEvT1_,"axG",@progbits,_ZN7rocprim17ROCPRIM_400000_NS6detail17trampoline_kernelINS0_14default_configENS1_25transform_config_selectorIlLb0EEEZNS1_14transform_implILb0ES3_S5_NS0_18transform_iteratorINS0_17counting_iteratorImlEEZNS1_24adjacent_difference_implIS3_Lb1ELb0EPlSB_ZN2at6native12_GLOBAL__N_124unique_dim_cuda_templateIsEESt5tupleIJNSC_6TensorESH_SH_EERKSH_lbbbEUlllE1_EE10hipError_tPvRmT2_T3_mT4_P12ihipStream_tbEUlmE_lEESB_NS0_8identityIvEEEESM_SP_SQ_mSR_ST_bEUlT_E_NS1_11comp_targetILNS1_3genE4ELNS1_11target_archE910ELNS1_3gpuE8ELNS1_3repE0EEENS1_30default_config_static_selectorELNS0_4arch9wavefront6targetE0EEEvT1_,comdat
	.globl	_ZN7rocprim17ROCPRIM_400000_NS6detail17trampoline_kernelINS0_14default_configENS1_25transform_config_selectorIlLb0EEEZNS1_14transform_implILb0ES3_S5_NS0_18transform_iteratorINS0_17counting_iteratorImlEEZNS1_24adjacent_difference_implIS3_Lb1ELb0EPlSB_ZN2at6native12_GLOBAL__N_124unique_dim_cuda_templateIsEESt5tupleIJNSC_6TensorESH_SH_EERKSH_lbbbEUlllE1_EE10hipError_tPvRmT2_T3_mT4_P12ihipStream_tbEUlmE_lEESB_NS0_8identityIvEEEESM_SP_SQ_mSR_ST_bEUlT_E_NS1_11comp_targetILNS1_3genE4ELNS1_11target_archE910ELNS1_3gpuE8ELNS1_3repE0EEENS1_30default_config_static_selectorELNS0_4arch9wavefront6targetE0EEEvT1_ ; -- Begin function _ZN7rocprim17ROCPRIM_400000_NS6detail17trampoline_kernelINS0_14default_configENS1_25transform_config_selectorIlLb0EEEZNS1_14transform_implILb0ES3_S5_NS0_18transform_iteratorINS0_17counting_iteratorImlEEZNS1_24adjacent_difference_implIS3_Lb1ELb0EPlSB_ZN2at6native12_GLOBAL__N_124unique_dim_cuda_templateIsEESt5tupleIJNSC_6TensorESH_SH_EERKSH_lbbbEUlllE1_EE10hipError_tPvRmT2_T3_mT4_P12ihipStream_tbEUlmE_lEESB_NS0_8identityIvEEEESM_SP_SQ_mSR_ST_bEUlT_E_NS1_11comp_targetILNS1_3genE4ELNS1_11target_archE910ELNS1_3gpuE8ELNS1_3repE0EEENS1_30default_config_static_selectorELNS0_4arch9wavefront6targetE0EEEvT1_
	.p2align	8
	.type	_ZN7rocprim17ROCPRIM_400000_NS6detail17trampoline_kernelINS0_14default_configENS1_25transform_config_selectorIlLb0EEEZNS1_14transform_implILb0ES3_S5_NS0_18transform_iteratorINS0_17counting_iteratorImlEEZNS1_24adjacent_difference_implIS3_Lb1ELb0EPlSB_ZN2at6native12_GLOBAL__N_124unique_dim_cuda_templateIsEESt5tupleIJNSC_6TensorESH_SH_EERKSH_lbbbEUlllE1_EE10hipError_tPvRmT2_T3_mT4_P12ihipStream_tbEUlmE_lEESB_NS0_8identityIvEEEESM_SP_SQ_mSR_ST_bEUlT_E_NS1_11comp_targetILNS1_3genE4ELNS1_11target_archE910ELNS1_3gpuE8ELNS1_3repE0EEENS1_30default_config_static_selectorELNS0_4arch9wavefront6targetE0EEEvT1_,@function
_ZN7rocprim17ROCPRIM_400000_NS6detail17trampoline_kernelINS0_14default_configENS1_25transform_config_selectorIlLb0EEEZNS1_14transform_implILb0ES3_S5_NS0_18transform_iteratorINS0_17counting_iteratorImlEEZNS1_24adjacent_difference_implIS3_Lb1ELb0EPlSB_ZN2at6native12_GLOBAL__N_124unique_dim_cuda_templateIsEESt5tupleIJNSC_6TensorESH_SH_EERKSH_lbbbEUlllE1_EE10hipError_tPvRmT2_T3_mT4_P12ihipStream_tbEUlmE_lEESB_NS0_8identityIvEEEESM_SP_SQ_mSR_ST_bEUlT_E_NS1_11comp_targetILNS1_3genE4ELNS1_11target_archE910ELNS1_3gpuE8ELNS1_3repE0EEENS1_30default_config_static_selectorELNS0_4arch9wavefront6targetE0EEEvT1_: ; @_ZN7rocprim17ROCPRIM_400000_NS6detail17trampoline_kernelINS0_14default_configENS1_25transform_config_selectorIlLb0EEEZNS1_14transform_implILb0ES3_S5_NS0_18transform_iteratorINS0_17counting_iteratorImlEEZNS1_24adjacent_difference_implIS3_Lb1ELb0EPlSB_ZN2at6native12_GLOBAL__N_124unique_dim_cuda_templateIsEESt5tupleIJNSC_6TensorESH_SH_EERKSH_lbbbEUlllE1_EE10hipError_tPvRmT2_T3_mT4_P12ihipStream_tbEUlmE_lEESB_NS0_8identityIvEEEESM_SP_SQ_mSR_ST_bEUlT_E_NS1_11comp_targetILNS1_3genE4ELNS1_11target_archE910ELNS1_3gpuE8ELNS1_3repE0EEENS1_30default_config_static_selectorELNS0_4arch9wavefront6targetE0EEEvT1_
; %bb.0:
	.section	.rodata,"a",@progbits
	.p2align	6, 0x0
	.amdhsa_kernel _ZN7rocprim17ROCPRIM_400000_NS6detail17trampoline_kernelINS0_14default_configENS1_25transform_config_selectorIlLb0EEEZNS1_14transform_implILb0ES3_S5_NS0_18transform_iteratorINS0_17counting_iteratorImlEEZNS1_24adjacent_difference_implIS3_Lb1ELb0EPlSB_ZN2at6native12_GLOBAL__N_124unique_dim_cuda_templateIsEESt5tupleIJNSC_6TensorESH_SH_EERKSH_lbbbEUlllE1_EE10hipError_tPvRmT2_T3_mT4_P12ihipStream_tbEUlmE_lEESB_NS0_8identityIvEEEESM_SP_SQ_mSR_ST_bEUlT_E_NS1_11comp_targetILNS1_3genE4ELNS1_11target_archE910ELNS1_3gpuE8ELNS1_3repE0EEENS1_30default_config_static_selectorELNS0_4arch9wavefront6targetE0EEEvT1_
		.amdhsa_group_segment_fixed_size 0
		.amdhsa_private_segment_fixed_size 0
		.amdhsa_kernarg_size 56
		.amdhsa_user_sgpr_count 2
		.amdhsa_user_sgpr_dispatch_ptr 0
		.amdhsa_user_sgpr_queue_ptr 0
		.amdhsa_user_sgpr_kernarg_segment_ptr 1
		.amdhsa_user_sgpr_dispatch_id 0
		.amdhsa_user_sgpr_kernarg_preload_length 0
		.amdhsa_user_sgpr_kernarg_preload_offset 0
		.amdhsa_user_sgpr_private_segment_size 0
		.amdhsa_wavefront_size32 1
		.amdhsa_uses_dynamic_stack 0
		.amdhsa_enable_private_segment 0
		.amdhsa_system_sgpr_workgroup_id_x 1
		.amdhsa_system_sgpr_workgroup_id_y 0
		.amdhsa_system_sgpr_workgroup_id_z 0
		.amdhsa_system_sgpr_workgroup_info 0
		.amdhsa_system_vgpr_workitem_id 0
		.amdhsa_next_free_vgpr 1
		.amdhsa_next_free_sgpr 1
		.amdhsa_named_barrier_count 0
		.amdhsa_reserve_vcc 0
		.amdhsa_float_round_mode_32 0
		.amdhsa_float_round_mode_16_64 0
		.amdhsa_float_denorm_mode_32 3
		.amdhsa_float_denorm_mode_16_64 3
		.amdhsa_fp16_overflow 0
		.amdhsa_memory_ordered 1
		.amdhsa_forward_progress 1
		.amdhsa_inst_pref_size 0
		.amdhsa_round_robin_scheduling 0
		.amdhsa_exception_fp_ieee_invalid_op 0
		.amdhsa_exception_fp_denorm_src 0
		.amdhsa_exception_fp_ieee_div_zero 0
		.amdhsa_exception_fp_ieee_overflow 0
		.amdhsa_exception_fp_ieee_underflow 0
		.amdhsa_exception_fp_ieee_inexact 0
		.amdhsa_exception_int_div_zero 0
	.end_amdhsa_kernel
	.section	.text._ZN7rocprim17ROCPRIM_400000_NS6detail17trampoline_kernelINS0_14default_configENS1_25transform_config_selectorIlLb0EEEZNS1_14transform_implILb0ES3_S5_NS0_18transform_iteratorINS0_17counting_iteratorImlEEZNS1_24adjacent_difference_implIS3_Lb1ELb0EPlSB_ZN2at6native12_GLOBAL__N_124unique_dim_cuda_templateIsEESt5tupleIJNSC_6TensorESH_SH_EERKSH_lbbbEUlllE1_EE10hipError_tPvRmT2_T3_mT4_P12ihipStream_tbEUlmE_lEESB_NS0_8identityIvEEEESM_SP_SQ_mSR_ST_bEUlT_E_NS1_11comp_targetILNS1_3genE4ELNS1_11target_archE910ELNS1_3gpuE8ELNS1_3repE0EEENS1_30default_config_static_selectorELNS0_4arch9wavefront6targetE0EEEvT1_,"axG",@progbits,_ZN7rocprim17ROCPRIM_400000_NS6detail17trampoline_kernelINS0_14default_configENS1_25transform_config_selectorIlLb0EEEZNS1_14transform_implILb0ES3_S5_NS0_18transform_iteratorINS0_17counting_iteratorImlEEZNS1_24adjacent_difference_implIS3_Lb1ELb0EPlSB_ZN2at6native12_GLOBAL__N_124unique_dim_cuda_templateIsEESt5tupleIJNSC_6TensorESH_SH_EERKSH_lbbbEUlllE1_EE10hipError_tPvRmT2_T3_mT4_P12ihipStream_tbEUlmE_lEESB_NS0_8identityIvEEEESM_SP_SQ_mSR_ST_bEUlT_E_NS1_11comp_targetILNS1_3genE4ELNS1_11target_archE910ELNS1_3gpuE8ELNS1_3repE0EEENS1_30default_config_static_selectorELNS0_4arch9wavefront6targetE0EEEvT1_,comdat
.Lfunc_end670:
	.size	_ZN7rocprim17ROCPRIM_400000_NS6detail17trampoline_kernelINS0_14default_configENS1_25transform_config_selectorIlLb0EEEZNS1_14transform_implILb0ES3_S5_NS0_18transform_iteratorINS0_17counting_iteratorImlEEZNS1_24adjacent_difference_implIS3_Lb1ELb0EPlSB_ZN2at6native12_GLOBAL__N_124unique_dim_cuda_templateIsEESt5tupleIJNSC_6TensorESH_SH_EERKSH_lbbbEUlllE1_EE10hipError_tPvRmT2_T3_mT4_P12ihipStream_tbEUlmE_lEESB_NS0_8identityIvEEEESM_SP_SQ_mSR_ST_bEUlT_E_NS1_11comp_targetILNS1_3genE4ELNS1_11target_archE910ELNS1_3gpuE8ELNS1_3repE0EEENS1_30default_config_static_selectorELNS0_4arch9wavefront6targetE0EEEvT1_, .Lfunc_end670-_ZN7rocprim17ROCPRIM_400000_NS6detail17trampoline_kernelINS0_14default_configENS1_25transform_config_selectorIlLb0EEEZNS1_14transform_implILb0ES3_S5_NS0_18transform_iteratorINS0_17counting_iteratorImlEEZNS1_24adjacent_difference_implIS3_Lb1ELb0EPlSB_ZN2at6native12_GLOBAL__N_124unique_dim_cuda_templateIsEESt5tupleIJNSC_6TensorESH_SH_EERKSH_lbbbEUlllE1_EE10hipError_tPvRmT2_T3_mT4_P12ihipStream_tbEUlmE_lEESB_NS0_8identityIvEEEESM_SP_SQ_mSR_ST_bEUlT_E_NS1_11comp_targetILNS1_3genE4ELNS1_11target_archE910ELNS1_3gpuE8ELNS1_3repE0EEENS1_30default_config_static_selectorELNS0_4arch9wavefront6targetE0EEEvT1_
                                        ; -- End function
	.set _ZN7rocprim17ROCPRIM_400000_NS6detail17trampoline_kernelINS0_14default_configENS1_25transform_config_selectorIlLb0EEEZNS1_14transform_implILb0ES3_S5_NS0_18transform_iteratorINS0_17counting_iteratorImlEEZNS1_24adjacent_difference_implIS3_Lb1ELb0EPlSB_ZN2at6native12_GLOBAL__N_124unique_dim_cuda_templateIsEESt5tupleIJNSC_6TensorESH_SH_EERKSH_lbbbEUlllE1_EE10hipError_tPvRmT2_T3_mT4_P12ihipStream_tbEUlmE_lEESB_NS0_8identityIvEEEESM_SP_SQ_mSR_ST_bEUlT_E_NS1_11comp_targetILNS1_3genE4ELNS1_11target_archE910ELNS1_3gpuE8ELNS1_3repE0EEENS1_30default_config_static_selectorELNS0_4arch9wavefront6targetE0EEEvT1_.num_vgpr, 0
	.set _ZN7rocprim17ROCPRIM_400000_NS6detail17trampoline_kernelINS0_14default_configENS1_25transform_config_selectorIlLb0EEEZNS1_14transform_implILb0ES3_S5_NS0_18transform_iteratorINS0_17counting_iteratorImlEEZNS1_24adjacent_difference_implIS3_Lb1ELb0EPlSB_ZN2at6native12_GLOBAL__N_124unique_dim_cuda_templateIsEESt5tupleIJNSC_6TensorESH_SH_EERKSH_lbbbEUlllE1_EE10hipError_tPvRmT2_T3_mT4_P12ihipStream_tbEUlmE_lEESB_NS0_8identityIvEEEESM_SP_SQ_mSR_ST_bEUlT_E_NS1_11comp_targetILNS1_3genE4ELNS1_11target_archE910ELNS1_3gpuE8ELNS1_3repE0EEENS1_30default_config_static_selectorELNS0_4arch9wavefront6targetE0EEEvT1_.num_agpr, 0
	.set _ZN7rocprim17ROCPRIM_400000_NS6detail17trampoline_kernelINS0_14default_configENS1_25transform_config_selectorIlLb0EEEZNS1_14transform_implILb0ES3_S5_NS0_18transform_iteratorINS0_17counting_iteratorImlEEZNS1_24adjacent_difference_implIS3_Lb1ELb0EPlSB_ZN2at6native12_GLOBAL__N_124unique_dim_cuda_templateIsEESt5tupleIJNSC_6TensorESH_SH_EERKSH_lbbbEUlllE1_EE10hipError_tPvRmT2_T3_mT4_P12ihipStream_tbEUlmE_lEESB_NS0_8identityIvEEEESM_SP_SQ_mSR_ST_bEUlT_E_NS1_11comp_targetILNS1_3genE4ELNS1_11target_archE910ELNS1_3gpuE8ELNS1_3repE0EEENS1_30default_config_static_selectorELNS0_4arch9wavefront6targetE0EEEvT1_.numbered_sgpr, 0
	.set _ZN7rocprim17ROCPRIM_400000_NS6detail17trampoline_kernelINS0_14default_configENS1_25transform_config_selectorIlLb0EEEZNS1_14transform_implILb0ES3_S5_NS0_18transform_iteratorINS0_17counting_iteratorImlEEZNS1_24adjacent_difference_implIS3_Lb1ELb0EPlSB_ZN2at6native12_GLOBAL__N_124unique_dim_cuda_templateIsEESt5tupleIJNSC_6TensorESH_SH_EERKSH_lbbbEUlllE1_EE10hipError_tPvRmT2_T3_mT4_P12ihipStream_tbEUlmE_lEESB_NS0_8identityIvEEEESM_SP_SQ_mSR_ST_bEUlT_E_NS1_11comp_targetILNS1_3genE4ELNS1_11target_archE910ELNS1_3gpuE8ELNS1_3repE0EEENS1_30default_config_static_selectorELNS0_4arch9wavefront6targetE0EEEvT1_.num_named_barrier, 0
	.set _ZN7rocprim17ROCPRIM_400000_NS6detail17trampoline_kernelINS0_14default_configENS1_25transform_config_selectorIlLb0EEEZNS1_14transform_implILb0ES3_S5_NS0_18transform_iteratorINS0_17counting_iteratorImlEEZNS1_24adjacent_difference_implIS3_Lb1ELb0EPlSB_ZN2at6native12_GLOBAL__N_124unique_dim_cuda_templateIsEESt5tupleIJNSC_6TensorESH_SH_EERKSH_lbbbEUlllE1_EE10hipError_tPvRmT2_T3_mT4_P12ihipStream_tbEUlmE_lEESB_NS0_8identityIvEEEESM_SP_SQ_mSR_ST_bEUlT_E_NS1_11comp_targetILNS1_3genE4ELNS1_11target_archE910ELNS1_3gpuE8ELNS1_3repE0EEENS1_30default_config_static_selectorELNS0_4arch9wavefront6targetE0EEEvT1_.private_seg_size, 0
	.set _ZN7rocprim17ROCPRIM_400000_NS6detail17trampoline_kernelINS0_14default_configENS1_25transform_config_selectorIlLb0EEEZNS1_14transform_implILb0ES3_S5_NS0_18transform_iteratorINS0_17counting_iteratorImlEEZNS1_24adjacent_difference_implIS3_Lb1ELb0EPlSB_ZN2at6native12_GLOBAL__N_124unique_dim_cuda_templateIsEESt5tupleIJNSC_6TensorESH_SH_EERKSH_lbbbEUlllE1_EE10hipError_tPvRmT2_T3_mT4_P12ihipStream_tbEUlmE_lEESB_NS0_8identityIvEEEESM_SP_SQ_mSR_ST_bEUlT_E_NS1_11comp_targetILNS1_3genE4ELNS1_11target_archE910ELNS1_3gpuE8ELNS1_3repE0EEENS1_30default_config_static_selectorELNS0_4arch9wavefront6targetE0EEEvT1_.uses_vcc, 0
	.set _ZN7rocprim17ROCPRIM_400000_NS6detail17trampoline_kernelINS0_14default_configENS1_25transform_config_selectorIlLb0EEEZNS1_14transform_implILb0ES3_S5_NS0_18transform_iteratorINS0_17counting_iteratorImlEEZNS1_24adjacent_difference_implIS3_Lb1ELb0EPlSB_ZN2at6native12_GLOBAL__N_124unique_dim_cuda_templateIsEESt5tupleIJNSC_6TensorESH_SH_EERKSH_lbbbEUlllE1_EE10hipError_tPvRmT2_T3_mT4_P12ihipStream_tbEUlmE_lEESB_NS0_8identityIvEEEESM_SP_SQ_mSR_ST_bEUlT_E_NS1_11comp_targetILNS1_3genE4ELNS1_11target_archE910ELNS1_3gpuE8ELNS1_3repE0EEENS1_30default_config_static_selectorELNS0_4arch9wavefront6targetE0EEEvT1_.uses_flat_scratch, 0
	.set _ZN7rocprim17ROCPRIM_400000_NS6detail17trampoline_kernelINS0_14default_configENS1_25transform_config_selectorIlLb0EEEZNS1_14transform_implILb0ES3_S5_NS0_18transform_iteratorINS0_17counting_iteratorImlEEZNS1_24adjacent_difference_implIS3_Lb1ELb0EPlSB_ZN2at6native12_GLOBAL__N_124unique_dim_cuda_templateIsEESt5tupleIJNSC_6TensorESH_SH_EERKSH_lbbbEUlllE1_EE10hipError_tPvRmT2_T3_mT4_P12ihipStream_tbEUlmE_lEESB_NS0_8identityIvEEEESM_SP_SQ_mSR_ST_bEUlT_E_NS1_11comp_targetILNS1_3genE4ELNS1_11target_archE910ELNS1_3gpuE8ELNS1_3repE0EEENS1_30default_config_static_selectorELNS0_4arch9wavefront6targetE0EEEvT1_.has_dyn_sized_stack, 0
	.set _ZN7rocprim17ROCPRIM_400000_NS6detail17trampoline_kernelINS0_14default_configENS1_25transform_config_selectorIlLb0EEEZNS1_14transform_implILb0ES3_S5_NS0_18transform_iteratorINS0_17counting_iteratorImlEEZNS1_24adjacent_difference_implIS3_Lb1ELb0EPlSB_ZN2at6native12_GLOBAL__N_124unique_dim_cuda_templateIsEESt5tupleIJNSC_6TensorESH_SH_EERKSH_lbbbEUlllE1_EE10hipError_tPvRmT2_T3_mT4_P12ihipStream_tbEUlmE_lEESB_NS0_8identityIvEEEESM_SP_SQ_mSR_ST_bEUlT_E_NS1_11comp_targetILNS1_3genE4ELNS1_11target_archE910ELNS1_3gpuE8ELNS1_3repE0EEENS1_30default_config_static_selectorELNS0_4arch9wavefront6targetE0EEEvT1_.has_recursion, 0
	.set _ZN7rocprim17ROCPRIM_400000_NS6detail17trampoline_kernelINS0_14default_configENS1_25transform_config_selectorIlLb0EEEZNS1_14transform_implILb0ES3_S5_NS0_18transform_iteratorINS0_17counting_iteratorImlEEZNS1_24adjacent_difference_implIS3_Lb1ELb0EPlSB_ZN2at6native12_GLOBAL__N_124unique_dim_cuda_templateIsEESt5tupleIJNSC_6TensorESH_SH_EERKSH_lbbbEUlllE1_EE10hipError_tPvRmT2_T3_mT4_P12ihipStream_tbEUlmE_lEESB_NS0_8identityIvEEEESM_SP_SQ_mSR_ST_bEUlT_E_NS1_11comp_targetILNS1_3genE4ELNS1_11target_archE910ELNS1_3gpuE8ELNS1_3repE0EEENS1_30default_config_static_selectorELNS0_4arch9wavefront6targetE0EEEvT1_.has_indirect_call, 0
	.section	.AMDGPU.csdata,"",@progbits
; Kernel info:
; codeLenInByte = 0
; TotalNumSgprs: 0
; NumVgprs: 0
; ScratchSize: 0
; MemoryBound: 0
; FloatMode: 240
; IeeeMode: 1
; LDSByteSize: 0 bytes/workgroup (compile time only)
; SGPRBlocks: 0
; VGPRBlocks: 0
; NumSGPRsForWavesPerEU: 1
; NumVGPRsForWavesPerEU: 1
; NamedBarCnt: 0
; Occupancy: 16
; WaveLimiterHint : 0
; COMPUTE_PGM_RSRC2:SCRATCH_EN: 0
; COMPUTE_PGM_RSRC2:USER_SGPR: 2
; COMPUTE_PGM_RSRC2:TRAP_HANDLER: 0
; COMPUTE_PGM_RSRC2:TGID_X_EN: 1
; COMPUTE_PGM_RSRC2:TGID_Y_EN: 0
; COMPUTE_PGM_RSRC2:TGID_Z_EN: 0
; COMPUTE_PGM_RSRC2:TIDIG_COMP_CNT: 0
	.section	.text._ZN7rocprim17ROCPRIM_400000_NS6detail17trampoline_kernelINS0_14default_configENS1_25transform_config_selectorIlLb0EEEZNS1_14transform_implILb0ES3_S5_NS0_18transform_iteratorINS0_17counting_iteratorImlEEZNS1_24adjacent_difference_implIS3_Lb1ELb0EPlSB_ZN2at6native12_GLOBAL__N_124unique_dim_cuda_templateIsEESt5tupleIJNSC_6TensorESH_SH_EERKSH_lbbbEUlllE1_EE10hipError_tPvRmT2_T3_mT4_P12ihipStream_tbEUlmE_lEESB_NS0_8identityIvEEEESM_SP_SQ_mSR_ST_bEUlT_E_NS1_11comp_targetILNS1_3genE3ELNS1_11target_archE908ELNS1_3gpuE7ELNS1_3repE0EEENS1_30default_config_static_selectorELNS0_4arch9wavefront6targetE0EEEvT1_,"axG",@progbits,_ZN7rocprim17ROCPRIM_400000_NS6detail17trampoline_kernelINS0_14default_configENS1_25transform_config_selectorIlLb0EEEZNS1_14transform_implILb0ES3_S5_NS0_18transform_iteratorINS0_17counting_iteratorImlEEZNS1_24adjacent_difference_implIS3_Lb1ELb0EPlSB_ZN2at6native12_GLOBAL__N_124unique_dim_cuda_templateIsEESt5tupleIJNSC_6TensorESH_SH_EERKSH_lbbbEUlllE1_EE10hipError_tPvRmT2_T3_mT4_P12ihipStream_tbEUlmE_lEESB_NS0_8identityIvEEEESM_SP_SQ_mSR_ST_bEUlT_E_NS1_11comp_targetILNS1_3genE3ELNS1_11target_archE908ELNS1_3gpuE7ELNS1_3repE0EEENS1_30default_config_static_selectorELNS0_4arch9wavefront6targetE0EEEvT1_,comdat
	.globl	_ZN7rocprim17ROCPRIM_400000_NS6detail17trampoline_kernelINS0_14default_configENS1_25transform_config_selectorIlLb0EEEZNS1_14transform_implILb0ES3_S5_NS0_18transform_iteratorINS0_17counting_iteratorImlEEZNS1_24adjacent_difference_implIS3_Lb1ELb0EPlSB_ZN2at6native12_GLOBAL__N_124unique_dim_cuda_templateIsEESt5tupleIJNSC_6TensorESH_SH_EERKSH_lbbbEUlllE1_EE10hipError_tPvRmT2_T3_mT4_P12ihipStream_tbEUlmE_lEESB_NS0_8identityIvEEEESM_SP_SQ_mSR_ST_bEUlT_E_NS1_11comp_targetILNS1_3genE3ELNS1_11target_archE908ELNS1_3gpuE7ELNS1_3repE0EEENS1_30default_config_static_selectorELNS0_4arch9wavefront6targetE0EEEvT1_ ; -- Begin function _ZN7rocprim17ROCPRIM_400000_NS6detail17trampoline_kernelINS0_14default_configENS1_25transform_config_selectorIlLb0EEEZNS1_14transform_implILb0ES3_S5_NS0_18transform_iteratorINS0_17counting_iteratorImlEEZNS1_24adjacent_difference_implIS3_Lb1ELb0EPlSB_ZN2at6native12_GLOBAL__N_124unique_dim_cuda_templateIsEESt5tupleIJNSC_6TensorESH_SH_EERKSH_lbbbEUlllE1_EE10hipError_tPvRmT2_T3_mT4_P12ihipStream_tbEUlmE_lEESB_NS0_8identityIvEEEESM_SP_SQ_mSR_ST_bEUlT_E_NS1_11comp_targetILNS1_3genE3ELNS1_11target_archE908ELNS1_3gpuE7ELNS1_3repE0EEENS1_30default_config_static_selectorELNS0_4arch9wavefront6targetE0EEEvT1_
	.p2align	8
	.type	_ZN7rocprim17ROCPRIM_400000_NS6detail17trampoline_kernelINS0_14default_configENS1_25transform_config_selectorIlLb0EEEZNS1_14transform_implILb0ES3_S5_NS0_18transform_iteratorINS0_17counting_iteratorImlEEZNS1_24adjacent_difference_implIS3_Lb1ELb0EPlSB_ZN2at6native12_GLOBAL__N_124unique_dim_cuda_templateIsEESt5tupleIJNSC_6TensorESH_SH_EERKSH_lbbbEUlllE1_EE10hipError_tPvRmT2_T3_mT4_P12ihipStream_tbEUlmE_lEESB_NS0_8identityIvEEEESM_SP_SQ_mSR_ST_bEUlT_E_NS1_11comp_targetILNS1_3genE3ELNS1_11target_archE908ELNS1_3gpuE7ELNS1_3repE0EEENS1_30default_config_static_selectorELNS0_4arch9wavefront6targetE0EEEvT1_,@function
_ZN7rocprim17ROCPRIM_400000_NS6detail17trampoline_kernelINS0_14default_configENS1_25transform_config_selectorIlLb0EEEZNS1_14transform_implILb0ES3_S5_NS0_18transform_iteratorINS0_17counting_iteratorImlEEZNS1_24adjacent_difference_implIS3_Lb1ELb0EPlSB_ZN2at6native12_GLOBAL__N_124unique_dim_cuda_templateIsEESt5tupleIJNSC_6TensorESH_SH_EERKSH_lbbbEUlllE1_EE10hipError_tPvRmT2_T3_mT4_P12ihipStream_tbEUlmE_lEESB_NS0_8identityIvEEEESM_SP_SQ_mSR_ST_bEUlT_E_NS1_11comp_targetILNS1_3genE3ELNS1_11target_archE908ELNS1_3gpuE7ELNS1_3repE0EEENS1_30default_config_static_selectorELNS0_4arch9wavefront6targetE0EEEvT1_: ; @_ZN7rocprim17ROCPRIM_400000_NS6detail17trampoline_kernelINS0_14default_configENS1_25transform_config_selectorIlLb0EEEZNS1_14transform_implILb0ES3_S5_NS0_18transform_iteratorINS0_17counting_iteratorImlEEZNS1_24adjacent_difference_implIS3_Lb1ELb0EPlSB_ZN2at6native12_GLOBAL__N_124unique_dim_cuda_templateIsEESt5tupleIJNSC_6TensorESH_SH_EERKSH_lbbbEUlllE1_EE10hipError_tPvRmT2_T3_mT4_P12ihipStream_tbEUlmE_lEESB_NS0_8identityIvEEEESM_SP_SQ_mSR_ST_bEUlT_E_NS1_11comp_targetILNS1_3genE3ELNS1_11target_archE908ELNS1_3gpuE7ELNS1_3repE0EEENS1_30default_config_static_selectorELNS0_4arch9wavefront6targetE0EEEvT1_
; %bb.0:
	.section	.rodata,"a",@progbits
	.p2align	6, 0x0
	.amdhsa_kernel _ZN7rocprim17ROCPRIM_400000_NS6detail17trampoline_kernelINS0_14default_configENS1_25transform_config_selectorIlLb0EEEZNS1_14transform_implILb0ES3_S5_NS0_18transform_iteratorINS0_17counting_iteratorImlEEZNS1_24adjacent_difference_implIS3_Lb1ELb0EPlSB_ZN2at6native12_GLOBAL__N_124unique_dim_cuda_templateIsEESt5tupleIJNSC_6TensorESH_SH_EERKSH_lbbbEUlllE1_EE10hipError_tPvRmT2_T3_mT4_P12ihipStream_tbEUlmE_lEESB_NS0_8identityIvEEEESM_SP_SQ_mSR_ST_bEUlT_E_NS1_11comp_targetILNS1_3genE3ELNS1_11target_archE908ELNS1_3gpuE7ELNS1_3repE0EEENS1_30default_config_static_selectorELNS0_4arch9wavefront6targetE0EEEvT1_
		.amdhsa_group_segment_fixed_size 0
		.amdhsa_private_segment_fixed_size 0
		.amdhsa_kernarg_size 56
		.amdhsa_user_sgpr_count 2
		.amdhsa_user_sgpr_dispatch_ptr 0
		.amdhsa_user_sgpr_queue_ptr 0
		.amdhsa_user_sgpr_kernarg_segment_ptr 1
		.amdhsa_user_sgpr_dispatch_id 0
		.amdhsa_user_sgpr_kernarg_preload_length 0
		.amdhsa_user_sgpr_kernarg_preload_offset 0
		.amdhsa_user_sgpr_private_segment_size 0
		.amdhsa_wavefront_size32 1
		.amdhsa_uses_dynamic_stack 0
		.amdhsa_enable_private_segment 0
		.amdhsa_system_sgpr_workgroup_id_x 1
		.amdhsa_system_sgpr_workgroup_id_y 0
		.amdhsa_system_sgpr_workgroup_id_z 0
		.amdhsa_system_sgpr_workgroup_info 0
		.amdhsa_system_vgpr_workitem_id 0
		.amdhsa_next_free_vgpr 1
		.amdhsa_next_free_sgpr 1
		.amdhsa_named_barrier_count 0
		.amdhsa_reserve_vcc 0
		.amdhsa_float_round_mode_32 0
		.amdhsa_float_round_mode_16_64 0
		.amdhsa_float_denorm_mode_32 3
		.amdhsa_float_denorm_mode_16_64 3
		.amdhsa_fp16_overflow 0
		.amdhsa_memory_ordered 1
		.amdhsa_forward_progress 1
		.amdhsa_inst_pref_size 0
		.amdhsa_round_robin_scheduling 0
		.amdhsa_exception_fp_ieee_invalid_op 0
		.amdhsa_exception_fp_denorm_src 0
		.amdhsa_exception_fp_ieee_div_zero 0
		.amdhsa_exception_fp_ieee_overflow 0
		.amdhsa_exception_fp_ieee_underflow 0
		.amdhsa_exception_fp_ieee_inexact 0
		.amdhsa_exception_int_div_zero 0
	.end_amdhsa_kernel
	.section	.text._ZN7rocprim17ROCPRIM_400000_NS6detail17trampoline_kernelINS0_14default_configENS1_25transform_config_selectorIlLb0EEEZNS1_14transform_implILb0ES3_S5_NS0_18transform_iteratorINS0_17counting_iteratorImlEEZNS1_24adjacent_difference_implIS3_Lb1ELb0EPlSB_ZN2at6native12_GLOBAL__N_124unique_dim_cuda_templateIsEESt5tupleIJNSC_6TensorESH_SH_EERKSH_lbbbEUlllE1_EE10hipError_tPvRmT2_T3_mT4_P12ihipStream_tbEUlmE_lEESB_NS0_8identityIvEEEESM_SP_SQ_mSR_ST_bEUlT_E_NS1_11comp_targetILNS1_3genE3ELNS1_11target_archE908ELNS1_3gpuE7ELNS1_3repE0EEENS1_30default_config_static_selectorELNS0_4arch9wavefront6targetE0EEEvT1_,"axG",@progbits,_ZN7rocprim17ROCPRIM_400000_NS6detail17trampoline_kernelINS0_14default_configENS1_25transform_config_selectorIlLb0EEEZNS1_14transform_implILb0ES3_S5_NS0_18transform_iteratorINS0_17counting_iteratorImlEEZNS1_24adjacent_difference_implIS3_Lb1ELb0EPlSB_ZN2at6native12_GLOBAL__N_124unique_dim_cuda_templateIsEESt5tupleIJNSC_6TensorESH_SH_EERKSH_lbbbEUlllE1_EE10hipError_tPvRmT2_T3_mT4_P12ihipStream_tbEUlmE_lEESB_NS0_8identityIvEEEESM_SP_SQ_mSR_ST_bEUlT_E_NS1_11comp_targetILNS1_3genE3ELNS1_11target_archE908ELNS1_3gpuE7ELNS1_3repE0EEENS1_30default_config_static_selectorELNS0_4arch9wavefront6targetE0EEEvT1_,comdat
.Lfunc_end671:
	.size	_ZN7rocprim17ROCPRIM_400000_NS6detail17trampoline_kernelINS0_14default_configENS1_25transform_config_selectorIlLb0EEEZNS1_14transform_implILb0ES3_S5_NS0_18transform_iteratorINS0_17counting_iteratorImlEEZNS1_24adjacent_difference_implIS3_Lb1ELb0EPlSB_ZN2at6native12_GLOBAL__N_124unique_dim_cuda_templateIsEESt5tupleIJNSC_6TensorESH_SH_EERKSH_lbbbEUlllE1_EE10hipError_tPvRmT2_T3_mT4_P12ihipStream_tbEUlmE_lEESB_NS0_8identityIvEEEESM_SP_SQ_mSR_ST_bEUlT_E_NS1_11comp_targetILNS1_3genE3ELNS1_11target_archE908ELNS1_3gpuE7ELNS1_3repE0EEENS1_30default_config_static_selectorELNS0_4arch9wavefront6targetE0EEEvT1_, .Lfunc_end671-_ZN7rocprim17ROCPRIM_400000_NS6detail17trampoline_kernelINS0_14default_configENS1_25transform_config_selectorIlLb0EEEZNS1_14transform_implILb0ES3_S5_NS0_18transform_iteratorINS0_17counting_iteratorImlEEZNS1_24adjacent_difference_implIS3_Lb1ELb0EPlSB_ZN2at6native12_GLOBAL__N_124unique_dim_cuda_templateIsEESt5tupleIJNSC_6TensorESH_SH_EERKSH_lbbbEUlllE1_EE10hipError_tPvRmT2_T3_mT4_P12ihipStream_tbEUlmE_lEESB_NS0_8identityIvEEEESM_SP_SQ_mSR_ST_bEUlT_E_NS1_11comp_targetILNS1_3genE3ELNS1_11target_archE908ELNS1_3gpuE7ELNS1_3repE0EEENS1_30default_config_static_selectorELNS0_4arch9wavefront6targetE0EEEvT1_
                                        ; -- End function
	.set _ZN7rocprim17ROCPRIM_400000_NS6detail17trampoline_kernelINS0_14default_configENS1_25transform_config_selectorIlLb0EEEZNS1_14transform_implILb0ES3_S5_NS0_18transform_iteratorINS0_17counting_iteratorImlEEZNS1_24adjacent_difference_implIS3_Lb1ELb0EPlSB_ZN2at6native12_GLOBAL__N_124unique_dim_cuda_templateIsEESt5tupleIJNSC_6TensorESH_SH_EERKSH_lbbbEUlllE1_EE10hipError_tPvRmT2_T3_mT4_P12ihipStream_tbEUlmE_lEESB_NS0_8identityIvEEEESM_SP_SQ_mSR_ST_bEUlT_E_NS1_11comp_targetILNS1_3genE3ELNS1_11target_archE908ELNS1_3gpuE7ELNS1_3repE0EEENS1_30default_config_static_selectorELNS0_4arch9wavefront6targetE0EEEvT1_.num_vgpr, 0
	.set _ZN7rocprim17ROCPRIM_400000_NS6detail17trampoline_kernelINS0_14default_configENS1_25transform_config_selectorIlLb0EEEZNS1_14transform_implILb0ES3_S5_NS0_18transform_iteratorINS0_17counting_iteratorImlEEZNS1_24adjacent_difference_implIS3_Lb1ELb0EPlSB_ZN2at6native12_GLOBAL__N_124unique_dim_cuda_templateIsEESt5tupleIJNSC_6TensorESH_SH_EERKSH_lbbbEUlllE1_EE10hipError_tPvRmT2_T3_mT4_P12ihipStream_tbEUlmE_lEESB_NS0_8identityIvEEEESM_SP_SQ_mSR_ST_bEUlT_E_NS1_11comp_targetILNS1_3genE3ELNS1_11target_archE908ELNS1_3gpuE7ELNS1_3repE0EEENS1_30default_config_static_selectorELNS0_4arch9wavefront6targetE0EEEvT1_.num_agpr, 0
	.set _ZN7rocprim17ROCPRIM_400000_NS6detail17trampoline_kernelINS0_14default_configENS1_25transform_config_selectorIlLb0EEEZNS1_14transform_implILb0ES3_S5_NS0_18transform_iteratorINS0_17counting_iteratorImlEEZNS1_24adjacent_difference_implIS3_Lb1ELb0EPlSB_ZN2at6native12_GLOBAL__N_124unique_dim_cuda_templateIsEESt5tupleIJNSC_6TensorESH_SH_EERKSH_lbbbEUlllE1_EE10hipError_tPvRmT2_T3_mT4_P12ihipStream_tbEUlmE_lEESB_NS0_8identityIvEEEESM_SP_SQ_mSR_ST_bEUlT_E_NS1_11comp_targetILNS1_3genE3ELNS1_11target_archE908ELNS1_3gpuE7ELNS1_3repE0EEENS1_30default_config_static_selectorELNS0_4arch9wavefront6targetE0EEEvT1_.numbered_sgpr, 0
	.set _ZN7rocprim17ROCPRIM_400000_NS6detail17trampoline_kernelINS0_14default_configENS1_25transform_config_selectorIlLb0EEEZNS1_14transform_implILb0ES3_S5_NS0_18transform_iteratorINS0_17counting_iteratorImlEEZNS1_24adjacent_difference_implIS3_Lb1ELb0EPlSB_ZN2at6native12_GLOBAL__N_124unique_dim_cuda_templateIsEESt5tupleIJNSC_6TensorESH_SH_EERKSH_lbbbEUlllE1_EE10hipError_tPvRmT2_T3_mT4_P12ihipStream_tbEUlmE_lEESB_NS0_8identityIvEEEESM_SP_SQ_mSR_ST_bEUlT_E_NS1_11comp_targetILNS1_3genE3ELNS1_11target_archE908ELNS1_3gpuE7ELNS1_3repE0EEENS1_30default_config_static_selectorELNS0_4arch9wavefront6targetE0EEEvT1_.num_named_barrier, 0
	.set _ZN7rocprim17ROCPRIM_400000_NS6detail17trampoline_kernelINS0_14default_configENS1_25transform_config_selectorIlLb0EEEZNS1_14transform_implILb0ES3_S5_NS0_18transform_iteratorINS0_17counting_iteratorImlEEZNS1_24adjacent_difference_implIS3_Lb1ELb0EPlSB_ZN2at6native12_GLOBAL__N_124unique_dim_cuda_templateIsEESt5tupleIJNSC_6TensorESH_SH_EERKSH_lbbbEUlllE1_EE10hipError_tPvRmT2_T3_mT4_P12ihipStream_tbEUlmE_lEESB_NS0_8identityIvEEEESM_SP_SQ_mSR_ST_bEUlT_E_NS1_11comp_targetILNS1_3genE3ELNS1_11target_archE908ELNS1_3gpuE7ELNS1_3repE0EEENS1_30default_config_static_selectorELNS0_4arch9wavefront6targetE0EEEvT1_.private_seg_size, 0
	.set _ZN7rocprim17ROCPRIM_400000_NS6detail17trampoline_kernelINS0_14default_configENS1_25transform_config_selectorIlLb0EEEZNS1_14transform_implILb0ES3_S5_NS0_18transform_iteratorINS0_17counting_iteratorImlEEZNS1_24adjacent_difference_implIS3_Lb1ELb0EPlSB_ZN2at6native12_GLOBAL__N_124unique_dim_cuda_templateIsEESt5tupleIJNSC_6TensorESH_SH_EERKSH_lbbbEUlllE1_EE10hipError_tPvRmT2_T3_mT4_P12ihipStream_tbEUlmE_lEESB_NS0_8identityIvEEEESM_SP_SQ_mSR_ST_bEUlT_E_NS1_11comp_targetILNS1_3genE3ELNS1_11target_archE908ELNS1_3gpuE7ELNS1_3repE0EEENS1_30default_config_static_selectorELNS0_4arch9wavefront6targetE0EEEvT1_.uses_vcc, 0
	.set _ZN7rocprim17ROCPRIM_400000_NS6detail17trampoline_kernelINS0_14default_configENS1_25transform_config_selectorIlLb0EEEZNS1_14transform_implILb0ES3_S5_NS0_18transform_iteratorINS0_17counting_iteratorImlEEZNS1_24adjacent_difference_implIS3_Lb1ELb0EPlSB_ZN2at6native12_GLOBAL__N_124unique_dim_cuda_templateIsEESt5tupleIJNSC_6TensorESH_SH_EERKSH_lbbbEUlllE1_EE10hipError_tPvRmT2_T3_mT4_P12ihipStream_tbEUlmE_lEESB_NS0_8identityIvEEEESM_SP_SQ_mSR_ST_bEUlT_E_NS1_11comp_targetILNS1_3genE3ELNS1_11target_archE908ELNS1_3gpuE7ELNS1_3repE0EEENS1_30default_config_static_selectorELNS0_4arch9wavefront6targetE0EEEvT1_.uses_flat_scratch, 0
	.set _ZN7rocprim17ROCPRIM_400000_NS6detail17trampoline_kernelINS0_14default_configENS1_25transform_config_selectorIlLb0EEEZNS1_14transform_implILb0ES3_S5_NS0_18transform_iteratorINS0_17counting_iteratorImlEEZNS1_24adjacent_difference_implIS3_Lb1ELb0EPlSB_ZN2at6native12_GLOBAL__N_124unique_dim_cuda_templateIsEESt5tupleIJNSC_6TensorESH_SH_EERKSH_lbbbEUlllE1_EE10hipError_tPvRmT2_T3_mT4_P12ihipStream_tbEUlmE_lEESB_NS0_8identityIvEEEESM_SP_SQ_mSR_ST_bEUlT_E_NS1_11comp_targetILNS1_3genE3ELNS1_11target_archE908ELNS1_3gpuE7ELNS1_3repE0EEENS1_30default_config_static_selectorELNS0_4arch9wavefront6targetE0EEEvT1_.has_dyn_sized_stack, 0
	.set _ZN7rocprim17ROCPRIM_400000_NS6detail17trampoline_kernelINS0_14default_configENS1_25transform_config_selectorIlLb0EEEZNS1_14transform_implILb0ES3_S5_NS0_18transform_iteratorINS0_17counting_iteratorImlEEZNS1_24adjacent_difference_implIS3_Lb1ELb0EPlSB_ZN2at6native12_GLOBAL__N_124unique_dim_cuda_templateIsEESt5tupleIJNSC_6TensorESH_SH_EERKSH_lbbbEUlllE1_EE10hipError_tPvRmT2_T3_mT4_P12ihipStream_tbEUlmE_lEESB_NS0_8identityIvEEEESM_SP_SQ_mSR_ST_bEUlT_E_NS1_11comp_targetILNS1_3genE3ELNS1_11target_archE908ELNS1_3gpuE7ELNS1_3repE0EEENS1_30default_config_static_selectorELNS0_4arch9wavefront6targetE0EEEvT1_.has_recursion, 0
	.set _ZN7rocprim17ROCPRIM_400000_NS6detail17trampoline_kernelINS0_14default_configENS1_25transform_config_selectorIlLb0EEEZNS1_14transform_implILb0ES3_S5_NS0_18transform_iteratorINS0_17counting_iteratorImlEEZNS1_24adjacent_difference_implIS3_Lb1ELb0EPlSB_ZN2at6native12_GLOBAL__N_124unique_dim_cuda_templateIsEESt5tupleIJNSC_6TensorESH_SH_EERKSH_lbbbEUlllE1_EE10hipError_tPvRmT2_T3_mT4_P12ihipStream_tbEUlmE_lEESB_NS0_8identityIvEEEESM_SP_SQ_mSR_ST_bEUlT_E_NS1_11comp_targetILNS1_3genE3ELNS1_11target_archE908ELNS1_3gpuE7ELNS1_3repE0EEENS1_30default_config_static_selectorELNS0_4arch9wavefront6targetE0EEEvT1_.has_indirect_call, 0
	.section	.AMDGPU.csdata,"",@progbits
; Kernel info:
; codeLenInByte = 0
; TotalNumSgprs: 0
; NumVgprs: 0
; ScratchSize: 0
; MemoryBound: 0
; FloatMode: 240
; IeeeMode: 1
; LDSByteSize: 0 bytes/workgroup (compile time only)
; SGPRBlocks: 0
; VGPRBlocks: 0
; NumSGPRsForWavesPerEU: 1
; NumVGPRsForWavesPerEU: 1
; NamedBarCnt: 0
; Occupancy: 16
; WaveLimiterHint : 0
; COMPUTE_PGM_RSRC2:SCRATCH_EN: 0
; COMPUTE_PGM_RSRC2:USER_SGPR: 2
; COMPUTE_PGM_RSRC2:TRAP_HANDLER: 0
; COMPUTE_PGM_RSRC2:TGID_X_EN: 1
; COMPUTE_PGM_RSRC2:TGID_Y_EN: 0
; COMPUTE_PGM_RSRC2:TGID_Z_EN: 0
; COMPUTE_PGM_RSRC2:TIDIG_COMP_CNT: 0
	.section	.text._ZN7rocprim17ROCPRIM_400000_NS6detail17trampoline_kernelINS0_14default_configENS1_25transform_config_selectorIlLb0EEEZNS1_14transform_implILb0ES3_S5_NS0_18transform_iteratorINS0_17counting_iteratorImlEEZNS1_24adjacent_difference_implIS3_Lb1ELb0EPlSB_ZN2at6native12_GLOBAL__N_124unique_dim_cuda_templateIsEESt5tupleIJNSC_6TensorESH_SH_EERKSH_lbbbEUlllE1_EE10hipError_tPvRmT2_T3_mT4_P12ihipStream_tbEUlmE_lEESB_NS0_8identityIvEEEESM_SP_SQ_mSR_ST_bEUlT_E_NS1_11comp_targetILNS1_3genE2ELNS1_11target_archE906ELNS1_3gpuE6ELNS1_3repE0EEENS1_30default_config_static_selectorELNS0_4arch9wavefront6targetE0EEEvT1_,"axG",@progbits,_ZN7rocprim17ROCPRIM_400000_NS6detail17trampoline_kernelINS0_14default_configENS1_25transform_config_selectorIlLb0EEEZNS1_14transform_implILb0ES3_S5_NS0_18transform_iteratorINS0_17counting_iteratorImlEEZNS1_24adjacent_difference_implIS3_Lb1ELb0EPlSB_ZN2at6native12_GLOBAL__N_124unique_dim_cuda_templateIsEESt5tupleIJNSC_6TensorESH_SH_EERKSH_lbbbEUlllE1_EE10hipError_tPvRmT2_T3_mT4_P12ihipStream_tbEUlmE_lEESB_NS0_8identityIvEEEESM_SP_SQ_mSR_ST_bEUlT_E_NS1_11comp_targetILNS1_3genE2ELNS1_11target_archE906ELNS1_3gpuE6ELNS1_3repE0EEENS1_30default_config_static_selectorELNS0_4arch9wavefront6targetE0EEEvT1_,comdat
	.globl	_ZN7rocprim17ROCPRIM_400000_NS6detail17trampoline_kernelINS0_14default_configENS1_25transform_config_selectorIlLb0EEEZNS1_14transform_implILb0ES3_S5_NS0_18transform_iteratorINS0_17counting_iteratorImlEEZNS1_24adjacent_difference_implIS3_Lb1ELb0EPlSB_ZN2at6native12_GLOBAL__N_124unique_dim_cuda_templateIsEESt5tupleIJNSC_6TensorESH_SH_EERKSH_lbbbEUlllE1_EE10hipError_tPvRmT2_T3_mT4_P12ihipStream_tbEUlmE_lEESB_NS0_8identityIvEEEESM_SP_SQ_mSR_ST_bEUlT_E_NS1_11comp_targetILNS1_3genE2ELNS1_11target_archE906ELNS1_3gpuE6ELNS1_3repE0EEENS1_30default_config_static_selectorELNS0_4arch9wavefront6targetE0EEEvT1_ ; -- Begin function _ZN7rocprim17ROCPRIM_400000_NS6detail17trampoline_kernelINS0_14default_configENS1_25transform_config_selectorIlLb0EEEZNS1_14transform_implILb0ES3_S5_NS0_18transform_iteratorINS0_17counting_iteratorImlEEZNS1_24adjacent_difference_implIS3_Lb1ELb0EPlSB_ZN2at6native12_GLOBAL__N_124unique_dim_cuda_templateIsEESt5tupleIJNSC_6TensorESH_SH_EERKSH_lbbbEUlllE1_EE10hipError_tPvRmT2_T3_mT4_P12ihipStream_tbEUlmE_lEESB_NS0_8identityIvEEEESM_SP_SQ_mSR_ST_bEUlT_E_NS1_11comp_targetILNS1_3genE2ELNS1_11target_archE906ELNS1_3gpuE6ELNS1_3repE0EEENS1_30default_config_static_selectorELNS0_4arch9wavefront6targetE0EEEvT1_
	.p2align	8
	.type	_ZN7rocprim17ROCPRIM_400000_NS6detail17trampoline_kernelINS0_14default_configENS1_25transform_config_selectorIlLb0EEEZNS1_14transform_implILb0ES3_S5_NS0_18transform_iteratorINS0_17counting_iteratorImlEEZNS1_24adjacent_difference_implIS3_Lb1ELb0EPlSB_ZN2at6native12_GLOBAL__N_124unique_dim_cuda_templateIsEESt5tupleIJNSC_6TensorESH_SH_EERKSH_lbbbEUlllE1_EE10hipError_tPvRmT2_T3_mT4_P12ihipStream_tbEUlmE_lEESB_NS0_8identityIvEEEESM_SP_SQ_mSR_ST_bEUlT_E_NS1_11comp_targetILNS1_3genE2ELNS1_11target_archE906ELNS1_3gpuE6ELNS1_3repE0EEENS1_30default_config_static_selectorELNS0_4arch9wavefront6targetE0EEEvT1_,@function
_ZN7rocprim17ROCPRIM_400000_NS6detail17trampoline_kernelINS0_14default_configENS1_25transform_config_selectorIlLb0EEEZNS1_14transform_implILb0ES3_S5_NS0_18transform_iteratorINS0_17counting_iteratorImlEEZNS1_24adjacent_difference_implIS3_Lb1ELb0EPlSB_ZN2at6native12_GLOBAL__N_124unique_dim_cuda_templateIsEESt5tupleIJNSC_6TensorESH_SH_EERKSH_lbbbEUlllE1_EE10hipError_tPvRmT2_T3_mT4_P12ihipStream_tbEUlmE_lEESB_NS0_8identityIvEEEESM_SP_SQ_mSR_ST_bEUlT_E_NS1_11comp_targetILNS1_3genE2ELNS1_11target_archE906ELNS1_3gpuE6ELNS1_3repE0EEENS1_30default_config_static_selectorELNS0_4arch9wavefront6targetE0EEEvT1_: ; @_ZN7rocprim17ROCPRIM_400000_NS6detail17trampoline_kernelINS0_14default_configENS1_25transform_config_selectorIlLb0EEEZNS1_14transform_implILb0ES3_S5_NS0_18transform_iteratorINS0_17counting_iteratorImlEEZNS1_24adjacent_difference_implIS3_Lb1ELb0EPlSB_ZN2at6native12_GLOBAL__N_124unique_dim_cuda_templateIsEESt5tupleIJNSC_6TensorESH_SH_EERKSH_lbbbEUlllE1_EE10hipError_tPvRmT2_T3_mT4_P12ihipStream_tbEUlmE_lEESB_NS0_8identityIvEEEESM_SP_SQ_mSR_ST_bEUlT_E_NS1_11comp_targetILNS1_3genE2ELNS1_11target_archE906ELNS1_3gpuE6ELNS1_3repE0EEENS1_30default_config_static_selectorELNS0_4arch9wavefront6targetE0EEEvT1_
; %bb.0:
	.section	.rodata,"a",@progbits
	.p2align	6, 0x0
	.amdhsa_kernel _ZN7rocprim17ROCPRIM_400000_NS6detail17trampoline_kernelINS0_14default_configENS1_25transform_config_selectorIlLb0EEEZNS1_14transform_implILb0ES3_S5_NS0_18transform_iteratorINS0_17counting_iteratorImlEEZNS1_24adjacent_difference_implIS3_Lb1ELb0EPlSB_ZN2at6native12_GLOBAL__N_124unique_dim_cuda_templateIsEESt5tupleIJNSC_6TensorESH_SH_EERKSH_lbbbEUlllE1_EE10hipError_tPvRmT2_T3_mT4_P12ihipStream_tbEUlmE_lEESB_NS0_8identityIvEEEESM_SP_SQ_mSR_ST_bEUlT_E_NS1_11comp_targetILNS1_3genE2ELNS1_11target_archE906ELNS1_3gpuE6ELNS1_3repE0EEENS1_30default_config_static_selectorELNS0_4arch9wavefront6targetE0EEEvT1_
		.amdhsa_group_segment_fixed_size 0
		.amdhsa_private_segment_fixed_size 0
		.amdhsa_kernarg_size 56
		.amdhsa_user_sgpr_count 2
		.amdhsa_user_sgpr_dispatch_ptr 0
		.amdhsa_user_sgpr_queue_ptr 0
		.amdhsa_user_sgpr_kernarg_segment_ptr 1
		.amdhsa_user_sgpr_dispatch_id 0
		.amdhsa_user_sgpr_kernarg_preload_length 0
		.amdhsa_user_sgpr_kernarg_preload_offset 0
		.amdhsa_user_sgpr_private_segment_size 0
		.amdhsa_wavefront_size32 1
		.amdhsa_uses_dynamic_stack 0
		.amdhsa_enable_private_segment 0
		.amdhsa_system_sgpr_workgroup_id_x 1
		.amdhsa_system_sgpr_workgroup_id_y 0
		.amdhsa_system_sgpr_workgroup_id_z 0
		.amdhsa_system_sgpr_workgroup_info 0
		.amdhsa_system_vgpr_workitem_id 0
		.amdhsa_next_free_vgpr 1
		.amdhsa_next_free_sgpr 1
		.amdhsa_named_barrier_count 0
		.amdhsa_reserve_vcc 0
		.amdhsa_float_round_mode_32 0
		.amdhsa_float_round_mode_16_64 0
		.amdhsa_float_denorm_mode_32 3
		.amdhsa_float_denorm_mode_16_64 3
		.amdhsa_fp16_overflow 0
		.amdhsa_memory_ordered 1
		.amdhsa_forward_progress 1
		.amdhsa_inst_pref_size 0
		.amdhsa_round_robin_scheduling 0
		.amdhsa_exception_fp_ieee_invalid_op 0
		.amdhsa_exception_fp_denorm_src 0
		.amdhsa_exception_fp_ieee_div_zero 0
		.amdhsa_exception_fp_ieee_overflow 0
		.amdhsa_exception_fp_ieee_underflow 0
		.amdhsa_exception_fp_ieee_inexact 0
		.amdhsa_exception_int_div_zero 0
	.end_amdhsa_kernel
	.section	.text._ZN7rocprim17ROCPRIM_400000_NS6detail17trampoline_kernelINS0_14default_configENS1_25transform_config_selectorIlLb0EEEZNS1_14transform_implILb0ES3_S5_NS0_18transform_iteratorINS0_17counting_iteratorImlEEZNS1_24adjacent_difference_implIS3_Lb1ELb0EPlSB_ZN2at6native12_GLOBAL__N_124unique_dim_cuda_templateIsEESt5tupleIJNSC_6TensorESH_SH_EERKSH_lbbbEUlllE1_EE10hipError_tPvRmT2_T3_mT4_P12ihipStream_tbEUlmE_lEESB_NS0_8identityIvEEEESM_SP_SQ_mSR_ST_bEUlT_E_NS1_11comp_targetILNS1_3genE2ELNS1_11target_archE906ELNS1_3gpuE6ELNS1_3repE0EEENS1_30default_config_static_selectorELNS0_4arch9wavefront6targetE0EEEvT1_,"axG",@progbits,_ZN7rocprim17ROCPRIM_400000_NS6detail17trampoline_kernelINS0_14default_configENS1_25transform_config_selectorIlLb0EEEZNS1_14transform_implILb0ES3_S5_NS0_18transform_iteratorINS0_17counting_iteratorImlEEZNS1_24adjacent_difference_implIS3_Lb1ELb0EPlSB_ZN2at6native12_GLOBAL__N_124unique_dim_cuda_templateIsEESt5tupleIJNSC_6TensorESH_SH_EERKSH_lbbbEUlllE1_EE10hipError_tPvRmT2_T3_mT4_P12ihipStream_tbEUlmE_lEESB_NS0_8identityIvEEEESM_SP_SQ_mSR_ST_bEUlT_E_NS1_11comp_targetILNS1_3genE2ELNS1_11target_archE906ELNS1_3gpuE6ELNS1_3repE0EEENS1_30default_config_static_selectorELNS0_4arch9wavefront6targetE0EEEvT1_,comdat
.Lfunc_end672:
	.size	_ZN7rocprim17ROCPRIM_400000_NS6detail17trampoline_kernelINS0_14default_configENS1_25transform_config_selectorIlLb0EEEZNS1_14transform_implILb0ES3_S5_NS0_18transform_iteratorINS0_17counting_iteratorImlEEZNS1_24adjacent_difference_implIS3_Lb1ELb0EPlSB_ZN2at6native12_GLOBAL__N_124unique_dim_cuda_templateIsEESt5tupleIJNSC_6TensorESH_SH_EERKSH_lbbbEUlllE1_EE10hipError_tPvRmT2_T3_mT4_P12ihipStream_tbEUlmE_lEESB_NS0_8identityIvEEEESM_SP_SQ_mSR_ST_bEUlT_E_NS1_11comp_targetILNS1_3genE2ELNS1_11target_archE906ELNS1_3gpuE6ELNS1_3repE0EEENS1_30default_config_static_selectorELNS0_4arch9wavefront6targetE0EEEvT1_, .Lfunc_end672-_ZN7rocprim17ROCPRIM_400000_NS6detail17trampoline_kernelINS0_14default_configENS1_25transform_config_selectorIlLb0EEEZNS1_14transform_implILb0ES3_S5_NS0_18transform_iteratorINS0_17counting_iteratorImlEEZNS1_24adjacent_difference_implIS3_Lb1ELb0EPlSB_ZN2at6native12_GLOBAL__N_124unique_dim_cuda_templateIsEESt5tupleIJNSC_6TensorESH_SH_EERKSH_lbbbEUlllE1_EE10hipError_tPvRmT2_T3_mT4_P12ihipStream_tbEUlmE_lEESB_NS0_8identityIvEEEESM_SP_SQ_mSR_ST_bEUlT_E_NS1_11comp_targetILNS1_3genE2ELNS1_11target_archE906ELNS1_3gpuE6ELNS1_3repE0EEENS1_30default_config_static_selectorELNS0_4arch9wavefront6targetE0EEEvT1_
                                        ; -- End function
	.set _ZN7rocprim17ROCPRIM_400000_NS6detail17trampoline_kernelINS0_14default_configENS1_25transform_config_selectorIlLb0EEEZNS1_14transform_implILb0ES3_S5_NS0_18transform_iteratorINS0_17counting_iteratorImlEEZNS1_24adjacent_difference_implIS3_Lb1ELb0EPlSB_ZN2at6native12_GLOBAL__N_124unique_dim_cuda_templateIsEESt5tupleIJNSC_6TensorESH_SH_EERKSH_lbbbEUlllE1_EE10hipError_tPvRmT2_T3_mT4_P12ihipStream_tbEUlmE_lEESB_NS0_8identityIvEEEESM_SP_SQ_mSR_ST_bEUlT_E_NS1_11comp_targetILNS1_3genE2ELNS1_11target_archE906ELNS1_3gpuE6ELNS1_3repE0EEENS1_30default_config_static_selectorELNS0_4arch9wavefront6targetE0EEEvT1_.num_vgpr, 0
	.set _ZN7rocprim17ROCPRIM_400000_NS6detail17trampoline_kernelINS0_14default_configENS1_25transform_config_selectorIlLb0EEEZNS1_14transform_implILb0ES3_S5_NS0_18transform_iteratorINS0_17counting_iteratorImlEEZNS1_24adjacent_difference_implIS3_Lb1ELb0EPlSB_ZN2at6native12_GLOBAL__N_124unique_dim_cuda_templateIsEESt5tupleIJNSC_6TensorESH_SH_EERKSH_lbbbEUlllE1_EE10hipError_tPvRmT2_T3_mT4_P12ihipStream_tbEUlmE_lEESB_NS0_8identityIvEEEESM_SP_SQ_mSR_ST_bEUlT_E_NS1_11comp_targetILNS1_3genE2ELNS1_11target_archE906ELNS1_3gpuE6ELNS1_3repE0EEENS1_30default_config_static_selectorELNS0_4arch9wavefront6targetE0EEEvT1_.num_agpr, 0
	.set _ZN7rocprim17ROCPRIM_400000_NS6detail17trampoline_kernelINS0_14default_configENS1_25transform_config_selectorIlLb0EEEZNS1_14transform_implILb0ES3_S5_NS0_18transform_iteratorINS0_17counting_iteratorImlEEZNS1_24adjacent_difference_implIS3_Lb1ELb0EPlSB_ZN2at6native12_GLOBAL__N_124unique_dim_cuda_templateIsEESt5tupleIJNSC_6TensorESH_SH_EERKSH_lbbbEUlllE1_EE10hipError_tPvRmT2_T3_mT4_P12ihipStream_tbEUlmE_lEESB_NS0_8identityIvEEEESM_SP_SQ_mSR_ST_bEUlT_E_NS1_11comp_targetILNS1_3genE2ELNS1_11target_archE906ELNS1_3gpuE6ELNS1_3repE0EEENS1_30default_config_static_selectorELNS0_4arch9wavefront6targetE0EEEvT1_.numbered_sgpr, 0
	.set _ZN7rocprim17ROCPRIM_400000_NS6detail17trampoline_kernelINS0_14default_configENS1_25transform_config_selectorIlLb0EEEZNS1_14transform_implILb0ES3_S5_NS0_18transform_iteratorINS0_17counting_iteratorImlEEZNS1_24adjacent_difference_implIS3_Lb1ELb0EPlSB_ZN2at6native12_GLOBAL__N_124unique_dim_cuda_templateIsEESt5tupleIJNSC_6TensorESH_SH_EERKSH_lbbbEUlllE1_EE10hipError_tPvRmT2_T3_mT4_P12ihipStream_tbEUlmE_lEESB_NS0_8identityIvEEEESM_SP_SQ_mSR_ST_bEUlT_E_NS1_11comp_targetILNS1_3genE2ELNS1_11target_archE906ELNS1_3gpuE6ELNS1_3repE0EEENS1_30default_config_static_selectorELNS0_4arch9wavefront6targetE0EEEvT1_.num_named_barrier, 0
	.set _ZN7rocprim17ROCPRIM_400000_NS6detail17trampoline_kernelINS0_14default_configENS1_25transform_config_selectorIlLb0EEEZNS1_14transform_implILb0ES3_S5_NS0_18transform_iteratorINS0_17counting_iteratorImlEEZNS1_24adjacent_difference_implIS3_Lb1ELb0EPlSB_ZN2at6native12_GLOBAL__N_124unique_dim_cuda_templateIsEESt5tupleIJNSC_6TensorESH_SH_EERKSH_lbbbEUlllE1_EE10hipError_tPvRmT2_T3_mT4_P12ihipStream_tbEUlmE_lEESB_NS0_8identityIvEEEESM_SP_SQ_mSR_ST_bEUlT_E_NS1_11comp_targetILNS1_3genE2ELNS1_11target_archE906ELNS1_3gpuE6ELNS1_3repE0EEENS1_30default_config_static_selectorELNS0_4arch9wavefront6targetE0EEEvT1_.private_seg_size, 0
	.set _ZN7rocprim17ROCPRIM_400000_NS6detail17trampoline_kernelINS0_14default_configENS1_25transform_config_selectorIlLb0EEEZNS1_14transform_implILb0ES3_S5_NS0_18transform_iteratorINS0_17counting_iteratorImlEEZNS1_24adjacent_difference_implIS3_Lb1ELb0EPlSB_ZN2at6native12_GLOBAL__N_124unique_dim_cuda_templateIsEESt5tupleIJNSC_6TensorESH_SH_EERKSH_lbbbEUlllE1_EE10hipError_tPvRmT2_T3_mT4_P12ihipStream_tbEUlmE_lEESB_NS0_8identityIvEEEESM_SP_SQ_mSR_ST_bEUlT_E_NS1_11comp_targetILNS1_3genE2ELNS1_11target_archE906ELNS1_3gpuE6ELNS1_3repE0EEENS1_30default_config_static_selectorELNS0_4arch9wavefront6targetE0EEEvT1_.uses_vcc, 0
	.set _ZN7rocprim17ROCPRIM_400000_NS6detail17trampoline_kernelINS0_14default_configENS1_25transform_config_selectorIlLb0EEEZNS1_14transform_implILb0ES3_S5_NS0_18transform_iteratorINS0_17counting_iteratorImlEEZNS1_24adjacent_difference_implIS3_Lb1ELb0EPlSB_ZN2at6native12_GLOBAL__N_124unique_dim_cuda_templateIsEESt5tupleIJNSC_6TensorESH_SH_EERKSH_lbbbEUlllE1_EE10hipError_tPvRmT2_T3_mT4_P12ihipStream_tbEUlmE_lEESB_NS0_8identityIvEEEESM_SP_SQ_mSR_ST_bEUlT_E_NS1_11comp_targetILNS1_3genE2ELNS1_11target_archE906ELNS1_3gpuE6ELNS1_3repE0EEENS1_30default_config_static_selectorELNS0_4arch9wavefront6targetE0EEEvT1_.uses_flat_scratch, 0
	.set _ZN7rocprim17ROCPRIM_400000_NS6detail17trampoline_kernelINS0_14default_configENS1_25transform_config_selectorIlLb0EEEZNS1_14transform_implILb0ES3_S5_NS0_18transform_iteratorINS0_17counting_iteratorImlEEZNS1_24adjacent_difference_implIS3_Lb1ELb0EPlSB_ZN2at6native12_GLOBAL__N_124unique_dim_cuda_templateIsEESt5tupleIJNSC_6TensorESH_SH_EERKSH_lbbbEUlllE1_EE10hipError_tPvRmT2_T3_mT4_P12ihipStream_tbEUlmE_lEESB_NS0_8identityIvEEEESM_SP_SQ_mSR_ST_bEUlT_E_NS1_11comp_targetILNS1_3genE2ELNS1_11target_archE906ELNS1_3gpuE6ELNS1_3repE0EEENS1_30default_config_static_selectorELNS0_4arch9wavefront6targetE0EEEvT1_.has_dyn_sized_stack, 0
	.set _ZN7rocprim17ROCPRIM_400000_NS6detail17trampoline_kernelINS0_14default_configENS1_25transform_config_selectorIlLb0EEEZNS1_14transform_implILb0ES3_S5_NS0_18transform_iteratorINS0_17counting_iteratorImlEEZNS1_24adjacent_difference_implIS3_Lb1ELb0EPlSB_ZN2at6native12_GLOBAL__N_124unique_dim_cuda_templateIsEESt5tupleIJNSC_6TensorESH_SH_EERKSH_lbbbEUlllE1_EE10hipError_tPvRmT2_T3_mT4_P12ihipStream_tbEUlmE_lEESB_NS0_8identityIvEEEESM_SP_SQ_mSR_ST_bEUlT_E_NS1_11comp_targetILNS1_3genE2ELNS1_11target_archE906ELNS1_3gpuE6ELNS1_3repE0EEENS1_30default_config_static_selectorELNS0_4arch9wavefront6targetE0EEEvT1_.has_recursion, 0
	.set _ZN7rocprim17ROCPRIM_400000_NS6detail17trampoline_kernelINS0_14default_configENS1_25transform_config_selectorIlLb0EEEZNS1_14transform_implILb0ES3_S5_NS0_18transform_iteratorINS0_17counting_iteratorImlEEZNS1_24adjacent_difference_implIS3_Lb1ELb0EPlSB_ZN2at6native12_GLOBAL__N_124unique_dim_cuda_templateIsEESt5tupleIJNSC_6TensorESH_SH_EERKSH_lbbbEUlllE1_EE10hipError_tPvRmT2_T3_mT4_P12ihipStream_tbEUlmE_lEESB_NS0_8identityIvEEEESM_SP_SQ_mSR_ST_bEUlT_E_NS1_11comp_targetILNS1_3genE2ELNS1_11target_archE906ELNS1_3gpuE6ELNS1_3repE0EEENS1_30default_config_static_selectorELNS0_4arch9wavefront6targetE0EEEvT1_.has_indirect_call, 0
	.section	.AMDGPU.csdata,"",@progbits
; Kernel info:
; codeLenInByte = 0
; TotalNumSgprs: 0
; NumVgprs: 0
; ScratchSize: 0
; MemoryBound: 0
; FloatMode: 240
; IeeeMode: 1
; LDSByteSize: 0 bytes/workgroup (compile time only)
; SGPRBlocks: 0
; VGPRBlocks: 0
; NumSGPRsForWavesPerEU: 1
; NumVGPRsForWavesPerEU: 1
; NamedBarCnt: 0
; Occupancy: 16
; WaveLimiterHint : 0
; COMPUTE_PGM_RSRC2:SCRATCH_EN: 0
; COMPUTE_PGM_RSRC2:USER_SGPR: 2
; COMPUTE_PGM_RSRC2:TRAP_HANDLER: 0
; COMPUTE_PGM_RSRC2:TGID_X_EN: 1
; COMPUTE_PGM_RSRC2:TGID_Y_EN: 0
; COMPUTE_PGM_RSRC2:TGID_Z_EN: 0
; COMPUTE_PGM_RSRC2:TIDIG_COMP_CNT: 0
	.section	.text._ZN7rocprim17ROCPRIM_400000_NS6detail17trampoline_kernelINS0_14default_configENS1_25transform_config_selectorIlLb0EEEZNS1_14transform_implILb0ES3_S5_NS0_18transform_iteratorINS0_17counting_iteratorImlEEZNS1_24adjacent_difference_implIS3_Lb1ELb0EPlSB_ZN2at6native12_GLOBAL__N_124unique_dim_cuda_templateIsEESt5tupleIJNSC_6TensorESH_SH_EERKSH_lbbbEUlllE1_EE10hipError_tPvRmT2_T3_mT4_P12ihipStream_tbEUlmE_lEESB_NS0_8identityIvEEEESM_SP_SQ_mSR_ST_bEUlT_E_NS1_11comp_targetILNS1_3genE10ELNS1_11target_archE1201ELNS1_3gpuE5ELNS1_3repE0EEENS1_30default_config_static_selectorELNS0_4arch9wavefront6targetE0EEEvT1_,"axG",@progbits,_ZN7rocprim17ROCPRIM_400000_NS6detail17trampoline_kernelINS0_14default_configENS1_25transform_config_selectorIlLb0EEEZNS1_14transform_implILb0ES3_S5_NS0_18transform_iteratorINS0_17counting_iteratorImlEEZNS1_24adjacent_difference_implIS3_Lb1ELb0EPlSB_ZN2at6native12_GLOBAL__N_124unique_dim_cuda_templateIsEESt5tupleIJNSC_6TensorESH_SH_EERKSH_lbbbEUlllE1_EE10hipError_tPvRmT2_T3_mT4_P12ihipStream_tbEUlmE_lEESB_NS0_8identityIvEEEESM_SP_SQ_mSR_ST_bEUlT_E_NS1_11comp_targetILNS1_3genE10ELNS1_11target_archE1201ELNS1_3gpuE5ELNS1_3repE0EEENS1_30default_config_static_selectorELNS0_4arch9wavefront6targetE0EEEvT1_,comdat
	.globl	_ZN7rocprim17ROCPRIM_400000_NS6detail17trampoline_kernelINS0_14default_configENS1_25transform_config_selectorIlLb0EEEZNS1_14transform_implILb0ES3_S5_NS0_18transform_iteratorINS0_17counting_iteratorImlEEZNS1_24adjacent_difference_implIS3_Lb1ELb0EPlSB_ZN2at6native12_GLOBAL__N_124unique_dim_cuda_templateIsEESt5tupleIJNSC_6TensorESH_SH_EERKSH_lbbbEUlllE1_EE10hipError_tPvRmT2_T3_mT4_P12ihipStream_tbEUlmE_lEESB_NS0_8identityIvEEEESM_SP_SQ_mSR_ST_bEUlT_E_NS1_11comp_targetILNS1_3genE10ELNS1_11target_archE1201ELNS1_3gpuE5ELNS1_3repE0EEENS1_30default_config_static_selectorELNS0_4arch9wavefront6targetE0EEEvT1_ ; -- Begin function _ZN7rocprim17ROCPRIM_400000_NS6detail17trampoline_kernelINS0_14default_configENS1_25transform_config_selectorIlLb0EEEZNS1_14transform_implILb0ES3_S5_NS0_18transform_iteratorINS0_17counting_iteratorImlEEZNS1_24adjacent_difference_implIS3_Lb1ELb0EPlSB_ZN2at6native12_GLOBAL__N_124unique_dim_cuda_templateIsEESt5tupleIJNSC_6TensorESH_SH_EERKSH_lbbbEUlllE1_EE10hipError_tPvRmT2_T3_mT4_P12ihipStream_tbEUlmE_lEESB_NS0_8identityIvEEEESM_SP_SQ_mSR_ST_bEUlT_E_NS1_11comp_targetILNS1_3genE10ELNS1_11target_archE1201ELNS1_3gpuE5ELNS1_3repE0EEENS1_30default_config_static_selectorELNS0_4arch9wavefront6targetE0EEEvT1_
	.p2align	8
	.type	_ZN7rocprim17ROCPRIM_400000_NS6detail17trampoline_kernelINS0_14default_configENS1_25transform_config_selectorIlLb0EEEZNS1_14transform_implILb0ES3_S5_NS0_18transform_iteratorINS0_17counting_iteratorImlEEZNS1_24adjacent_difference_implIS3_Lb1ELb0EPlSB_ZN2at6native12_GLOBAL__N_124unique_dim_cuda_templateIsEESt5tupleIJNSC_6TensorESH_SH_EERKSH_lbbbEUlllE1_EE10hipError_tPvRmT2_T3_mT4_P12ihipStream_tbEUlmE_lEESB_NS0_8identityIvEEEESM_SP_SQ_mSR_ST_bEUlT_E_NS1_11comp_targetILNS1_3genE10ELNS1_11target_archE1201ELNS1_3gpuE5ELNS1_3repE0EEENS1_30default_config_static_selectorELNS0_4arch9wavefront6targetE0EEEvT1_,@function
_ZN7rocprim17ROCPRIM_400000_NS6detail17trampoline_kernelINS0_14default_configENS1_25transform_config_selectorIlLb0EEEZNS1_14transform_implILb0ES3_S5_NS0_18transform_iteratorINS0_17counting_iteratorImlEEZNS1_24adjacent_difference_implIS3_Lb1ELb0EPlSB_ZN2at6native12_GLOBAL__N_124unique_dim_cuda_templateIsEESt5tupleIJNSC_6TensorESH_SH_EERKSH_lbbbEUlllE1_EE10hipError_tPvRmT2_T3_mT4_P12ihipStream_tbEUlmE_lEESB_NS0_8identityIvEEEESM_SP_SQ_mSR_ST_bEUlT_E_NS1_11comp_targetILNS1_3genE10ELNS1_11target_archE1201ELNS1_3gpuE5ELNS1_3repE0EEENS1_30default_config_static_selectorELNS0_4arch9wavefront6targetE0EEEvT1_: ; @_ZN7rocprim17ROCPRIM_400000_NS6detail17trampoline_kernelINS0_14default_configENS1_25transform_config_selectorIlLb0EEEZNS1_14transform_implILb0ES3_S5_NS0_18transform_iteratorINS0_17counting_iteratorImlEEZNS1_24adjacent_difference_implIS3_Lb1ELb0EPlSB_ZN2at6native12_GLOBAL__N_124unique_dim_cuda_templateIsEESt5tupleIJNSC_6TensorESH_SH_EERKSH_lbbbEUlllE1_EE10hipError_tPvRmT2_T3_mT4_P12ihipStream_tbEUlmE_lEESB_NS0_8identityIvEEEESM_SP_SQ_mSR_ST_bEUlT_E_NS1_11comp_targetILNS1_3genE10ELNS1_11target_archE1201ELNS1_3gpuE5ELNS1_3repE0EEENS1_30default_config_static_selectorELNS0_4arch9wavefront6targetE0EEEvT1_
; %bb.0:
	.section	.rodata,"a",@progbits
	.p2align	6, 0x0
	.amdhsa_kernel _ZN7rocprim17ROCPRIM_400000_NS6detail17trampoline_kernelINS0_14default_configENS1_25transform_config_selectorIlLb0EEEZNS1_14transform_implILb0ES3_S5_NS0_18transform_iteratorINS0_17counting_iteratorImlEEZNS1_24adjacent_difference_implIS3_Lb1ELb0EPlSB_ZN2at6native12_GLOBAL__N_124unique_dim_cuda_templateIsEESt5tupleIJNSC_6TensorESH_SH_EERKSH_lbbbEUlllE1_EE10hipError_tPvRmT2_T3_mT4_P12ihipStream_tbEUlmE_lEESB_NS0_8identityIvEEEESM_SP_SQ_mSR_ST_bEUlT_E_NS1_11comp_targetILNS1_3genE10ELNS1_11target_archE1201ELNS1_3gpuE5ELNS1_3repE0EEENS1_30default_config_static_selectorELNS0_4arch9wavefront6targetE0EEEvT1_
		.amdhsa_group_segment_fixed_size 0
		.amdhsa_private_segment_fixed_size 0
		.amdhsa_kernarg_size 56
		.amdhsa_user_sgpr_count 2
		.amdhsa_user_sgpr_dispatch_ptr 0
		.amdhsa_user_sgpr_queue_ptr 0
		.amdhsa_user_sgpr_kernarg_segment_ptr 1
		.amdhsa_user_sgpr_dispatch_id 0
		.amdhsa_user_sgpr_kernarg_preload_length 0
		.amdhsa_user_sgpr_kernarg_preload_offset 0
		.amdhsa_user_sgpr_private_segment_size 0
		.amdhsa_wavefront_size32 1
		.amdhsa_uses_dynamic_stack 0
		.amdhsa_enable_private_segment 0
		.amdhsa_system_sgpr_workgroup_id_x 1
		.amdhsa_system_sgpr_workgroup_id_y 0
		.amdhsa_system_sgpr_workgroup_id_z 0
		.amdhsa_system_sgpr_workgroup_info 0
		.amdhsa_system_vgpr_workitem_id 0
		.amdhsa_next_free_vgpr 1
		.amdhsa_next_free_sgpr 1
		.amdhsa_named_barrier_count 0
		.amdhsa_reserve_vcc 0
		.amdhsa_float_round_mode_32 0
		.amdhsa_float_round_mode_16_64 0
		.amdhsa_float_denorm_mode_32 3
		.amdhsa_float_denorm_mode_16_64 3
		.amdhsa_fp16_overflow 0
		.amdhsa_memory_ordered 1
		.amdhsa_forward_progress 1
		.amdhsa_inst_pref_size 0
		.amdhsa_round_robin_scheduling 0
		.amdhsa_exception_fp_ieee_invalid_op 0
		.amdhsa_exception_fp_denorm_src 0
		.amdhsa_exception_fp_ieee_div_zero 0
		.amdhsa_exception_fp_ieee_overflow 0
		.amdhsa_exception_fp_ieee_underflow 0
		.amdhsa_exception_fp_ieee_inexact 0
		.amdhsa_exception_int_div_zero 0
	.end_amdhsa_kernel
	.section	.text._ZN7rocprim17ROCPRIM_400000_NS6detail17trampoline_kernelINS0_14default_configENS1_25transform_config_selectorIlLb0EEEZNS1_14transform_implILb0ES3_S5_NS0_18transform_iteratorINS0_17counting_iteratorImlEEZNS1_24adjacent_difference_implIS3_Lb1ELb0EPlSB_ZN2at6native12_GLOBAL__N_124unique_dim_cuda_templateIsEESt5tupleIJNSC_6TensorESH_SH_EERKSH_lbbbEUlllE1_EE10hipError_tPvRmT2_T3_mT4_P12ihipStream_tbEUlmE_lEESB_NS0_8identityIvEEEESM_SP_SQ_mSR_ST_bEUlT_E_NS1_11comp_targetILNS1_3genE10ELNS1_11target_archE1201ELNS1_3gpuE5ELNS1_3repE0EEENS1_30default_config_static_selectorELNS0_4arch9wavefront6targetE0EEEvT1_,"axG",@progbits,_ZN7rocprim17ROCPRIM_400000_NS6detail17trampoline_kernelINS0_14default_configENS1_25transform_config_selectorIlLb0EEEZNS1_14transform_implILb0ES3_S5_NS0_18transform_iteratorINS0_17counting_iteratorImlEEZNS1_24adjacent_difference_implIS3_Lb1ELb0EPlSB_ZN2at6native12_GLOBAL__N_124unique_dim_cuda_templateIsEESt5tupleIJNSC_6TensorESH_SH_EERKSH_lbbbEUlllE1_EE10hipError_tPvRmT2_T3_mT4_P12ihipStream_tbEUlmE_lEESB_NS0_8identityIvEEEESM_SP_SQ_mSR_ST_bEUlT_E_NS1_11comp_targetILNS1_3genE10ELNS1_11target_archE1201ELNS1_3gpuE5ELNS1_3repE0EEENS1_30default_config_static_selectorELNS0_4arch9wavefront6targetE0EEEvT1_,comdat
.Lfunc_end673:
	.size	_ZN7rocprim17ROCPRIM_400000_NS6detail17trampoline_kernelINS0_14default_configENS1_25transform_config_selectorIlLb0EEEZNS1_14transform_implILb0ES3_S5_NS0_18transform_iteratorINS0_17counting_iteratorImlEEZNS1_24adjacent_difference_implIS3_Lb1ELb0EPlSB_ZN2at6native12_GLOBAL__N_124unique_dim_cuda_templateIsEESt5tupleIJNSC_6TensorESH_SH_EERKSH_lbbbEUlllE1_EE10hipError_tPvRmT2_T3_mT4_P12ihipStream_tbEUlmE_lEESB_NS0_8identityIvEEEESM_SP_SQ_mSR_ST_bEUlT_E_NS1_11comp_targetILNS1_3genE10ELNS1_11target_archE1201ELNS1_3gpuE5ELNS1_3repE0EEENS1_30default_config_static_selectorELNS0_4arch9wavefront6targetE0EEEvT1_, .Lfunc_end673-_ZN7rocprim17ROCPRIM_400000_NS6detail17trampoline_kernelINS0_14default_configENS1_25transform_config_selectorIlLb0EEEZNS1_14transform_implILb0ES3_S5_NS0_18transform_iteratorINS0_17counting_iteratorImlEEZNS1_24adjacent_difference_implIS3_Lb1ELb0EPlSB_ZN2at6native12_GLOBAL__N_124unique_dim_cuda_templateIsEESt5tupleIJNSC_6TensorESH_SH_EERKSH_lbbbEUlllE1_EE10hipError_tPvRmT2_T3_mT4_P12ihipStream_tbEUlmE_lEESB_NS0_8identityIvEEEESM_SP_SQ_mSR_ST_bEUlT_E_NS1_11comp_targetILNS1_3genE10ELNS1_11target_archE1201ELNS1_3gpuE5ELNS1_3repE0EEENS1_30default_config_static_selectorELNS0_4arch9wavefront6targetE0EEEvT1_
                                        ; -- End function
	.set _ZN7rocprim17ROCPRIM_400000_NS6detail17trampoline_kernelINS0_14default_configENS1_25transform_config_selectorIlLb0EEEZNS1_14transform_implILb0ES3_S5_NS0_18transform_iteratorINS0_17counting_iteratorImlEEZNS1_24adjacent_difference_implIS3_Lb1ELb0EPlSB_ZN2at6native12_GLOBAL__N_124unique_dim_cuda_templateIsEESt5tupleIJNSC_6TensorESH_SH_EERKSH_lbbbEUlllE1_EE10hipError_tPvRmT2_T3_mT4_P12ihipStream_tbEUlmE_lEESB_NS0_8identityIvEEEESM_SP_SQ_mSR_ST_bEUlT_E_NS1_11comp_targetILNS1_3genE10ELNS1_11target_archE1201ELNS1_3gpuE5ELNS1_3repE0EEENS1_30default_config_static_selectorELNS0_4arch9wavefront6targetE0EEEvT1_.num_vgpr, 0
	.set _ZN7rocprim17ROCPRIM_400000_NS6detail17trampoline_kernelINS0_14default_configENS1_25transform_config_selectorIlLb0EEEZNS1_14transform_implILb0ES3_S5_NS0_18transform_iteratorINS0_17counting_iteratorImlEEZNS1_24adjacent_difference_implIS3_Lb1ELb0EPlSB_ZN2at6native12_GLOBAL__N_124unique_dim_cuda_templateIsEESt5tupleIJNSC_6TensorESH_SH_EERKSH_lbbbEUlllE1_EE10hipError_tPvRmT2_T3_mT4_P12ihipStream_tbEUlmE_lEESB_NS0_8identityIvEEEESM_SP_SQ_mSR_ST_bEUlT_E_NS1_11comp_targetILNS1_3genE10ELNS1_11target_archE1201ELNS1_3gpuE5ELNS1_3repE0EEENS1_30default_config_static_selectorELNS0_4arch9wavefront6targetE0EEEvT1_.num_agpr, 0
	.set _ZN7rocprim17ROCPRIM_400000_NS6detail17trampoline_kernelINS0_14default_configENS1_25transform_config_selectorIlLb0EEEZNS1_14transform_implILb0ES3_S5_NS0_18transform_iteratorINS0_17counting_iteratorImlEEZNS1_24adjacent_difference_implIS3_Lb1ELb0EPlSB_ZN2at6native12_GLOBAL__N_124unique_dim_cuda_templateIsEESt5tupleIJNSC_6TensorESH_SH_EERKSH_lbbbEUlllE1_EE10hipError_tPvRmT2_T3_mT4_P12ihipStream_tbEUlmE_lEESB_NS0_8identityIvEEEESM_SP_SQ_mSR_ST_bEUlT_E_NS1_11comp_targetILNS1_3genE10ELNS1_11target_archE1201ELNS1_3gpuE5ELNS1_3repE0EEENS1_30default_config_static_selectorELNS0_4arch9wavefront6targetE0EEEvT1_.numbered_sgpr, 0
	.set _ZN7rocprim17ROCPRIM_400000_NS6detail17trampoline_kernelINS0_14default_configENS1_25transform_config_selectorIlLb0EEEZNS1_14transform_implILb0ES3_S5_NS0_18transform_iteratorINS0_17counting_iteratorImlEEZNS1_24adjacent_difference_implIS3_Lb1ELb0EPlSB_ZN2at6native12_GLOBAL__N_124unique_dim_cuda_templateIsEESt5tupleIJNSC_6TensorESH_SH_EERKSH_lbbbEUlllE1_EE10hipError_tPvRmT2_T3_mT4_P12ihipStream_tbEUlmE_lEESB_NS0_8identityIvEEEESM_SP_SQ_mSR_ST_bEUlT_E_NS1_11comp_targetILNS1_3genE10ELNS1_11target_archE1201ELNS1_3gpuE5ELNS1_3repE0EEENS1_30default_config_static_selectorELNS0_4arch9wavefront6targetE0EEEvT1_.num_named_barrier, 0
	.set _ZN7rocprim17ROCPRIM_400000_NS6detail17trampoline_kernelINS0_14default_configENS1_25transform_config_selectorIlLb0EEEZNS1_14transform_implILb0ES3_S5_NS0_18transform_iteratorINS0_17counting_iteratorImlEEZNS1_24adjacent_difference_implIS3_Lb1ELb0EPlSB_ZN2at6native12_GLOBAL__N_124unique_dim_cuda_templateIsEESt5tupleIJNSC_6TensorESH_SH_EERKSH_lbbbEUlllE1_EE10hipError_tPvRmT2_T3_mT4_P12ihipStream_tbEUlmE_lEESB_NS0_8identityIvEEEESM_SP_SQ_mSR_ST_bEUlT_E_NS1_11comp_targetILNS1_3genE10ELNS1_11target_archE1201ELNS1_3gpuE5ELNS1_3repE0EEENS1_30default_config_static_selectorELNS0_4arch9wavefront6targetE0EEEvT1_.private_seg_size, 0
	.set _ZN7rocprim17ROCPRIM_400000_NS6detail17trampoline_kernelINS0_14default_configENS1_25transform_config_selectorIlLb0EEEZNS1_14transform_implILb0ES3_S5_NS0_18transform_iteratorINS0_17counting_iteratorImlEEZNS1_24adjacent_difference_implIS3_Lb1ELb0EPlSB_ZN2at6native12_GLOBAL__N_124unique_dim_cuda_templateIsEESt5tupleIJNSC_6TensorESH_SH_EERKSH_lbbbEUlllE1_EE10hipError_tPvRmT2_T3_mT4_P12ihipStream_tbEUlmE_lEESB_NS0_8identityIvEEEESM_SP_SQ_mSR_ST_bEUlT_E_NS1_11comp_targetILNS1_3genE10ELNS1_11target_archE1201ELNS1_3gpuE5ELNS1_3repE0EEENS1_30default_config_static_selectorELNS0_4arch9wavefront6targetE0EEEvT1_.uses_vcc, 0
	.set _ZN7rocprim17ROCPRIM_400000_NS6detail17trampoline_kernelINS0_14default_configENS1_25transform_config_selectorIlLb0EEEZNS1_14transform_implILb0ES3_S5_NS0_18transform_iteratorINS0_17counting_iteratorImlEEZNS1_24adjacent_difference_implIS3_Lb1ELb0EPlSB_ZN2at6native12_GLOBAL__N_124unique_dim_cuda_templateIsEESt5tupleIJNSC_6TensorESH_SH_EERKSH_lbbbEUlllE1_EE10hipError_tPvRmT2_T3_mT4_P12ihipStream_tbEUlmE_lEESB_NS0_8identityIvEEEESM_SP_SQ_mSR_ST_bEUlT_E_NS1_11comp_targetILNS1_3genE10ELNS1_11target_archE1201ELNS1_3gpuE5ELNS1_3repE0EEENS1_30default_config_static_selectorELNS0_4arch9wavefront6targetE0EEEvT1_.uses_flat_scratch, 0
	.set _ZN7rocprim17ROCPRIM_400000_NS6detail17trampoline_kernelINS0_14default_configENS1_25transform_config_selectorIlLb0EEEZNS1_14transform_implILb0ES3_S5_NS0_18transform_iteratorINS0_17counting_iteratorImlEEZNS1_24adjacent_difference_implIS3_Lb1ELb0EPlSB_ZN2at6native12_GLOBAL__N_124unique_dim_cuda_templateIsEESt5tupleIJNSC_6TensorESH_SH_EERKSH_lbbbEUlllE1_EE10hipError_tPvRmT2_T3_mT4_P12ihipStream_tbEUlmE_lEESB_NS0_8identityIvEEEESM_SP_SQ_mSR_ST_bEUlT_E_NS1_11comp_targetILNS1_3genE10ELNS1_11target_archE1201ELNS1_3gpuE5ELNS1_3repE0EEENS1_30default_config_static_selectorELNS0_4arch9wavefront6targetE0EEEvT1_.has_dyn_sized_stack, 0
	.set _ZN7rocprim17ROCPRIM_400000_NS6detail17trampoline_kernelINS0_14default_configENS1_25transform_config_selectorIlLb0EEEZNS1_14transform_implILb0ES3_S5_NS0_18transform_iteratorINS0_17counting_iteratorImlEEZNS1_24adjacent_difference_implIS3_Lb1ELb0EPlSB_ZN2at6native12_GLOBAL__N_124unique_dim_cuda_templateIsEESt5tupleIJNSC_6TensorESH_SH_EERKSH_lbbbEUlllE1_EE10hipError_tPvRmT2_T3_mT4_P12ihipStream_tbEUlmE_lEESB_NS0_8identityIvEEEESM_SP_SQ_mSR_ST_bEUlT_E_NS1_11comp_targetILNS1_3genE10ELNS1_11target_archE1201ELNS1_3gpuE5ELNS1_3repE0EEENS1_30default_config_static_selectorELNS0_4arch9wavefront6targetE0EEEvT1_.has_recursion, 0
	.set _ZN7rocprim17ROCPRIM_400000_NS6detail17trampoline_kernelINS0_14default_configENS1_25transform_config_selectorIlLb0EEEZNS1_14transform_implILb0ES3_S5_NS0_18transform_iteratorINS0_17counting_iteratorImlEEZNS1_24adjacent_difference_implIS3_Lb1ELb0EPlSB_ZN2at6native12_GLOBAL__N_124unique_dim_cuda_templateIsEESt5tupleIJNSC_6TensorESH_SH_EERKSH_lbbbEUlllE1_EE10hipError_tPvRmT2_T3_mT4_P12ihipStream_tbEUlmE_lEESB_NS0_8identityIvEEEESM_SP_SQ_mSR_ST_bEUlT_E_NS1_11comp_targetILNS1_3genE10ELNS1_11target_archE1201ELNS1_3gpuE5ELNS1_3repE0EEENS1_30default_config_static_selectorELNS0_4arch9wavefront6targetE0EEEvT1_.has_indirect_call, 0
	.section	.AMDGPU.csdata,"",@progbits
; Kernel info:
; codeLenInByte = 0
; TotalNumSgprs: 0
; NumVgprs: 0
; ScratchSize: 0
; MemoryBound: 0
; FloatMode: 240
; IeeeMode: 1
; LDSByteSize: 0 bytes/workgroup (compile time only)
; SGPRBlocks: 0
; VGPRBlocks: 0
; NumSGPRsForWavesPerEU: 1
; NumVGPRsForWavesPerEU: 1
; NamedBarCnt: 0
; Occupancy: 16
; WaveLimiterHint : 0
; COMPUTE_PGM_RSRC2:SCRATCH_EN: 0
; COMPUTE_PGM_RSRC2:USER_SGPR: 2
; COMPUTE_PGM_RSRC2:TRAP_HANDLER: 0
; COMPUTE_PGM_RSRC2:TGID_X_EN: 1
; COMPUTE_PGM_RSRC2:TGID_Y_EN: 0
; COMPUTE_PGM_RSRC2:TGID_Z_EN: 0
; COMPUTE_PGM_RSRC2:TIDIG_COMP_CNT: 0
	.section	.text._ZN7rocprim17ROCPRIM_400000_NS6detail17trampoline_kernelINS0_14default_configENS1_25transform_config_selectorIlLb0EEEZNS1_14transform_implILb0ES3_S5_NS0_18transform_iteratorINS0_17counting_iteratorImlEEZNS1_24adjacent_difference_implIS3_Lb1ELb0EPlSB_ZN2at6native12_GLOBAL__N_124unique_dim_cuda_templateIsEESt5tupleIJNSC_6TensorESH_SH_EERKSH_lbbbEUlllE1_EE10hipError_tPvRmT2_T3_mT4_P12ihipStream_tbEUlmE_lEESB_NS0_8identityIvEEEESM_SP_SQ_mSR_ST_bEUlT_E_NS1_11comp_targetILNS1_3genE10ELNS1_11target_archE1200ELNS1_3gpuE4ELNS1_3repE0EEENS1_30default_config_static_selectorELNS0_4arch9wavefront6targetE0EEEvT1_,"axG",@progbits,_ZN7rocprim17ROCPRIM_400000_NS6detail17trampoline_kernelINS0_14default_configENS1_25transform_config_selectorIlLb0EEEZNS1_14transform_implILb0ES3_S5_NS0_18transform_iteratorINS0_17counting_iteratorImlEEZNS1_24adjacent_difference_implIS3_Lb1ELb0EPlSB_ZN2at6native12_GLOBAL__N_124unique_dim_cuda_templateIsEESt5tupleIJNSC_6TensorESH_SH_EERKSH_lbbbEUlllE1_EE10hipError_tPvRmT2_T3_mT4_P12ihipStream_tbEUlmE_lEESB_NS0_8identityIvEEEESM_SP_SQ_mSR_ST_bEUlT_E_NS1_11comp_targetILNS1_3genE10ELNS1_11target_archE1200ELNS1_3gpuE4ELNS1_3repE0EEENS1_30default_config_static_selectorELNS0_4arch9wavefront6targetE0EEEvT1_,comdat
	.globl	_ZN7rocprim17ROCPRIM_400000_NS6detail17trampoline_kernelINS0_14default_configENS1_25transform_config_selectorIlLb0EEEZNS1_14transform_implILb0ES3_S5_NS0_18transform_iteratorINS0_17counting_iteratorImlEEZNS1_24adjacent_difference_implIS3_Lb1ELb0EPlSB_ZN2at6native12_GLOBAL__N_124unique_dim_cuda_templateIsEESt5tupleIJNSC_6TensorESH_SH_EERKSH_lbbbEUlllE1_EE10hipError_tPvRmT2_T3_mT4_P12ihipStream_tbEUlmE_lEESB_NS0_8identityIvEEEESM_SP_SQ_mSR_ST_bEUlT_E_NS1_11comp_targetILNS1_3genE10ELNS1_11target_archE1200ELNS1_3gpuE4ELNS1_3repE0EEENS1_30default_config_static_selectorELNS0_4arch9wavefront6targetE0EEEvT1_ ; -- Begin function _ZN7rocprim17ROCPRIM_400000_NS6detail17trampoline_kernelINS0_14default_configENS1_25transform_config_selectorIlLb0EEEZNS1_14transform_implILb0ES3_S5_NS0_18transform_iteratorINS0_17counting_iteratorImlEEZNS1_24adjacent_difference_implIS3_Lb1ELb0EPlSB_ZN2at6native12_GLOBAL__N_124unique_dim_cuda_templateIsEESt5tupleIJNSC_6TensorESH_SH_EERKSH_lbbbEUlllE1_EE10hipError_tPvRmT2_T3_mT4_P12ihipStream_tbEUlmE_lEESB_NS0_8identityIvEEEESM_SP_SQ_mSR_ST_bEUlT_E_NS1_11comp_targetILNS1_3genE10ELNS1_11target_archE1200ELNS1_3gpuE4ELNS1_3repE0EEENS1_30default_config_static_selectorELNS0_4arch9wavefront6targetE0EEEvT1_
	.p2align	8
	.type	_ZN7rocprim17ROCPRIM_400000_NS6detail17trampoline_kernelINS0_14default_configENS1_25transform_config_selectorIlLb0EEEZNS1_14transform_implILb0ES3_S5_NS0_18transform_iteratorINS0_17counting_iteratorImlEEZNS1_24adjacent_difference_implIS3_Lb1ELb0EPlSB_ZN2at6native12_GLOBAL__N_124unique_dim_cuda_templateIsEESt5tupleIJNSC_6TensorESH_SH_EERKSH_lbbbEUlllE1_EE10hipError_tPvRmT2_T3_mT4_P12ihipStream_tbEUlmE_lEESB_NS0_8identityIvEEEESM_SP_SQ_mSR_ST_bEUlT_E_NS1_11comp_targetILNS1_3genE10ELNS1_11target_archE1200ELNS1_3gpuE4ELNS1_3repE0EEENS1_30default_config_static_selectorELNS0_4arch9wavefront6targetE0EEEvT1_,@function
_ZN7rocprim17ROCPRIM_400000_NS6detail17trampoline_kernelINS0_14default_configENS1_25transform_config_selectorIlLb0EEEZNS1_14transform_implILb0ES3_S5_NS0_18transform_iteratorINS0_17counting_iteratorImlEEZNS1_24adjacent_difference_implIS3_Lb1ELb0EPlSB_ZN2at6native12_GLOBAL__N_124unique_dim_cuda_templateIsEESt5tupleIJNSC_6TensorESH_SH_EERKSH_lbbbEUlllE1_EE10hipError_tPvRmT2_T3_mT4_P12ihipStream_tbEUlmE_lEESB_NS0_8identityIvEEEESM_SP_SQ_mSR_ST_bEUlT_E_NS1_11comp_targetILNS1_3genE10ELNS1_11target_archE1200ELNS1_3gpuE4ELNS1_3repE0EEENS1_30default_config_static_selectorELNS0_4arch9wavefront6targetE0EEEvT1_: ; @_ZN7rocprim17ROCPRIM_400000_NS6detail17trampoline_kernelINS0_14default_configENS1_25transform_config_selectorIlLb0EEEZNS1_14transform_implILb0ES3_S5_NS0_18transform_iteratorINS0_17counting_iteratorImlEEZNS1_24adjacent_difference_implIS3_Lb1ELb0EPlSB_ZN2at6native12_GLOBAL__N_124unique_dim_cuda_templateIsEESt5tupleIJNSC_6TensorESH_SH_EERKSH_lbbbEUlllE1_EE10hipError_tPvRmT2_T3_mT4_P12ihipStream_tbEUlmE_lEESB_NS0_8identityIvEEEESM_SP_SQ_mSR_ST_bEUlT_E_NS1_11comp_targetILNS1_3genE10ELNS1_11target_archE1200ELNS1_3gpuE4ELNS1_3repE0EEENS1_30default_config_static_selectorELNS0_4arch9wavefront6targetE0EEEvT1_
; %bb.0:
	.section	.rodata,"a",@progbits
	.p2align	6, 0x0
	.amdhsa_kernel _ZN7rocprim17ROCPRIM_400000_NS6detail17trampoline_kernelINS0_14default_configENS1_25transform_config_selectorIlLb0EEEZNS1_14transform_implILb0ES3_S5_NS0_18transform_iteratorINS0_17counting_iteratorImlEEZNS1_24adjacent_difference_implIS3_Lb1ELb0EPlSB_ZN2at6native12_GLOBAL__N_124unique_dim_cuda_templateIsEESt5tupleIJNSC_6TensorESH_SH_EERKSH_lbbbEUlllE1_EE10hipError_tPvRmT2_T3_mT4_P12ihipStream_tbEUlmE_lEESB_NS0_8identityIvEEEESM_SP_SQ_mSR_ST_bEUlT_E_NS1_11comp_targetILNS1_3genE10ELNS1_11target_archE1200ELNS1_3gpuE4ELNS1_3repE0EEENS1_30default_config_static_selectorELNS0_4arch9wavefront6targetE0EEEvT1_
		.amdhsa_group_segment_fixed_size 0
		.amdhsa_private_segment_fixed_size 0
		.amdhsa_kernarg_size 56
		.amdhsa_user_sgpr_count 2
		.amdhsa_user_sgpr_dispatch_ptr 0
		.amdhsa_user_sgpr_queue_ptr 0
		.amdhsa_user_sgpr_kernarg_segment_ptr 1
		.amdhsa_user_sgpr_dispatch_id 0
		.amdhsa_user_sgpr_kernarg_preload_length 0
		.amdhsa_user_sgpr_kernarg_preload_offset 0
		.amdhsa_user_sgpr_private_segment_size 0
		.amdhsa_wavefront_size32 1
		.amdhsa_uses_dynamic_stack 0
		.amdhsa_enable_private_segment 0
		.amdhsa_system_sgpr_workgroup_id_x 1
		.amdhsa_system_sgpr_workgroup_id_y 0
		.amdhsa_system_sgpr_workgroup_id_z 0
		.amdhsa_system_sgpr_workgroup_info 0
		.amdhsa_system_vgpr_workitem_id 0
		.amdhsa_next_free_vgpr 1
		.amdhsa_next_free_sgpr 1
		.amdhsa_named_barrier_count 0
		.amdhsa_reserve_vcc 0
		.amdhsa_float_round_mode_32 0
		.amdhsa_float_round_mode_16_64 0
		.amdhsa_float_denorm_mode_32 3
		.amdhsa_float_denorm_mode_16_64 3
		.amdhsa_fp16_overflow 0
		.amdhsa_memory_ordered 1
		.amdhsa_forward_progress 1
		.amdhsa_inst_pref_size 0
		.amdhsa_round_robin_scheduling 0
		.amdhsa_exception_fp_ieee_invalid_op 0
		.amdhsa_exception_fp_denorm_src 0
		.amdhsa_exception_fp_ieee_div_zero 0
		.amdhsa_exception_fp_ieee_overflow 0
		.amdhsa_exception_fp_ieee_underflow 0
		.amdhsa_exception_fp_ieee_inexact 0
		.amdhsa_exception_int_div_zero 0
	.end_amdhsa_kernel
	.section	.text._ZN7rocprim17ROCPRIM_400000_NS6detail17trampoline_kernelINS0_14default_configENS1_25transform_config_selectorIlLb0EEEZNS1_14transform_implILb0ES3_S5_NS0_18transform_iteratorINS0_17counting_iteratorImlEEZNS1_24adjacent_difference_implIS3_Lb1ELb0EPlSB_ZN2at6native12_GLOBAL__N_124unique_dim_cuda_templateIsEESt5tupleIJNSC_6TensorESH_SH_EERKSH_lbbbEUlllE1_EE10hipError_tPvRmT2_T3_mT4_P12ihipStream_tbEUlmE_lEESB_NS0_8identityIvEEEESM_SP_SQ_mSR_ST_bEUlT_E_NS1_11comp_targetILNS1_3genE10ELNS1_11target_archE1200ELNS1_3gpuE4ELNS1_3repE0EEENS1_30default_config_static_selectorELNS0_4arch9wavefront6targetE0EEEvT1_,"axG",@progbits,_ZN7rocprim17ROCPRIM_400000_NS6detail17trampoline_kernelINS0_14default_configENS1_25transform_config_selectorIlLb0EEEZNS1_14transform_implILb0ES3_S5_NS0_18transform_iteratorINS0_17counting_iteratorImlEEZNS1_24adjacent_difference_implIS3_Lb1ELb0EPlSB_ZN2at6native12_GLOBAL__N_124unique_dim_cuda_templateIsEESt5tupleIJNSC_6TensorESH_SH_EERKSH_lbbbEUlllE1_EE10hipError_tPvRmT2_T3_mT4_P12ihipStream_tbEUlmE_lEESB_NS0_8identityIvEEEESM_SP_SQ_mSR_ST_bEUlT_E_NS1_11comp_targetILNS1_3genE10ELNS1_11target_archE1200ELNS1_3gpuE4ELNS1_3repE0EEENS1_30default_config_static_selectorELNS0_4arch9wavefront6targetE0EEEvT1_,comdat
.Lfunc_end674:
	.size	_ZN7rocprim17ROCPRIM_400000_NS6detail17trampoline_kernelINS0_14default_configENS1_25transform_config_selectorIlLb0EEEZNS1_14transform_implILb0ES3_S5_NS0_18transform_iteratorINS0_17counting_iteratorImlEEZNS1_24adjacent_difference_implIS3_Lb1ELb0EPlSB_ZN2at6native12_GLOBAL__N_124unique_dim_cuda_templateIsEESt5tupleIJNSC_6TensorESH_SH_EERKSH_lbbbEUlllE1_EE10hipError_tPvRmT2_T3_mT4_P12ihipStream_tbEUlmE_lEESB_NS0_8identityIvEEEESM_SP_SQ_mSR_ST_bEUlT_E_NS1_11comp_targetILNS1_3genE10ELNS1_11target_archE1200ELNS1_3gpuE4ELNS1_3repE0EEENS1_30default_config_static_selectorELNS0_4arch9wavefront6targetE0EEEvT1_, .Lfunc_end674-_ZN7rocprim17ROCPRIM_400000_NS6detail17trampoline_kernelINS0_14default_configENS1_25transform_config_selectorIlLb0EEEZNS1_14transform_implILb0ES3_S5_NS0_18transform_iteratorINS0_17counting_iteratorImlEEZNS1_24adjacent_difference_implIS3_Lb1ELb0EPlSB_ZN2at6native12_GLOBAL__N_124unique_dim_cuda_templateIsEESt5tupleIJNSC_6TensorESH_SH_EERKSH_lbbbEUlllE1_EE10hipError_tPvRmT2_T3_mT4_P12ihipStream_tbEUlmE_lEESB_NS0_8identityIvEEEESM_SP_SQ_mSR_ST_bEUlT_E_NS1_11comp_targetILNS1_3genE10ELNS1_11target_archE1200ELNS1_3gpuE4ELNS1_3repE0EEENS1_30default_config_static_selectorELNS0_4arch9wavefront6targetE0EEEvT1_
                                        ; -- End function
	.set _ZN7rocprim17ROCPRIM_400000_NS6detail17trampoline_kernelINS0_14default_configENS1_25transform_config_selectorIlLb0EEEZNS1_14transform_implILb0ES3_S5_NS0_18transform_iteratorINS0_17counting_iteratorImlEEZNS1_24adjacent_difference_implIS3_Lb1ELb0EPlSB_ZN2at6native12_GLOBAL__N_124unique_dim_cuda_templateIsEESt5tupleIJNSC_6TensorESH_SH_EERKSH_lbbbEUlllE1_EE10hipError_tPvRmT2_T3_mT4_P12ihipStream_tbEUlmE_lEESB_NS0_8identityIvEEEESM_SP_SQ_mSR_ST_bEUlT_E_NS1_11comp_targetILNS1_3genE10ELNS1_11target_archE1200ELNS1_3gpuE4ELNS1_3repE0EEENS1_30default_config_static_selectorELNS0_4arch9wavefront6targetE0EEEvT1_.num_vgpr, 0
	.set _ZN7rocprim17ROCPRIM_400000_NS6detail17trampoline_kernelINS0_14default_configENS1_25transform_config_selectorIlLb0EEEZNS1_14transform_implILb0ES3_S5_NS0_18transform_iteratorINS0_17counting_iteratorImlEEZNS1_24adjacent_difference_implIS3_Lb1ELb0EPlSB_ZN2at6native12_GLOBAL__N_124unique_dim_cuda_templateIsEESt5tupleIJNSC_6TensorESH_SH_EERKSH_lbbbEUlllE1_EE10hipError_tPvRmT2_T3_mT4_P12ihipStream_tbEUlmE_lEESB_NS0_8identityIvEEEESM_SP_SQ_mSR_ST_bEUlT_E_NS1_11comp_targetILNS1_3genE10ELNS1_11target_archE1200ELNS1_3gpuE4ELNS1_3repE0EEENS1_30default_config_static_selectorELNS0_4arch9wavefront6targetE0EEEvT1_.num_agpr, 0
	.set _ZN7rocprim17ROCPRIM_400000_NS6detail17trampoline_kernelINS0_14default_configENS1_25transform_config_selectorIlLb0EEEZNS1_14transform_implILb0ES3_S5_NS0_18transform_iteratorINS0_17counting_iteratorImlEEZNS1_24adjacent_difference_implIS3_Lb1ELb0EPlSB_ZN2at6native12_GLOBAL__N_124unique_dim_cuda_templateIsEESt5tupleIJNSC_6TensorESH_SH_EERKSH_lbbbEUlllE1_EE10hipError_tPvRmT2_T3_mT4_P12ihipStream_tbEUlmE_lEESB_NS0_8identityIvEEEESM_SP_SQ_mSR_ST_bEUlT_E_NS1_11comp_targetILNS1_3genE10ELNS1_11target_archE1200ELNS1_3gpuE4ELNS1_3repE0EEENS1_30default_config_static_selectorELNS0_4arch9wavefront6targetE0EEEvT1_.numbered_sgpr, 0
	.set _ZN7rocprim17ROCPRIM_400000_NS6detail17trampoline_kernelINS0_14default_configENS1_25transform_config_selectorIlLb0EEEZNS1_14transform_implILb0ES3_S5_NS0_18transform_iteratorINS0_17counting_iteratorImlEEZNS1_24adjacent_difference_implIS3_Lb1ELb0EPlSB_ZN2at6native12_GLOBAL__N_124unique_dim_cuda_templateIsEESt5tupleIJNSC_6TensorESH_SH_EERKSH_lbbbEUlllE1_EE10hipError_tPvRmT2_T3_mT4_P12ihipStream_tbEUlmE_lEESB_NS0_8identityIvEEEESM_SP_SQ_mSR_ST_bEUlT_E_NS1_11comp_targetILNS1_3genE10ELNS1_11target_archE1200ELNS1_3gpuE4ELNS1_3repE0EEENS1_30default_config_static_selectorELNS0_4arch9wavefront6targetE0EEEvT1_.num_named_barrier, 0
	.set _ZN7rocprim17ROCPRIM_400000_NS6detail17trampoline_kernelINS0_14default_configENS1_25transform_config_selectorIlLb0EEEZNS1_14transform_implILb0ES3_S5_NS0_18transform_iteratorINS0_17counting_iteratorImlEEZNS1_24adjacent_difference_implIS3_Lb1ELb0EPlSB_ZN2at6native12_GLOBAL__N_124unique_dim_cuda_templateIsEESt5tupleIJNSC_6TensorESH_SH_EERKSH_lbbbEUlllE1_EE10hipError_tPvRmT2_T3_mT4_P12ihipStream_tbEUlmE_lEESB_NS0_8identityIvEEEESM_SP_SQ_mSR_ST_bEUlT_E_NS1_11comp_targetILNS1_3genE10ELNS1_11target_archE1200ELNS1_3gpuE4ELNS1_3repE0EEENS1_30default_config_static_selectorELNS0_4arch9wavefront6targetE0EEEvT1_.private_seg_size, 0
	.set _ZN7rocprim17ROCPRIM_400000_NS6detail17trampoline_kernelINS0_14default_configENS1_25transform_config_selectorIlLb0EEEZNS1_14transform_implILb0ES3_S5_NS0_18transform_iteratorINS0_17counting_iteratorImlEEZNS1_24adjacent_difference_implIS3_Lb1ELb0EPlSB_ZN2at6native12_GLOBAL__N_124unique_dim_cuda_templateIsEESt5tupleIJNSC_6TensorESH_SH_EERKSH_lbbbEUlllE1_EE10hipError_tPvRmT2_T3_mT4_P12ihipStream_tbEUlmE_lEESB_NS0_8identityIvEEEESM_SP_SQ_mSR_ST_bEUlT_E_NS1_11comp_targetILNS1_3genE10ELNS1_11target_archE1200ELNS1_3gpuE4ELNS1_3repE0EEENS1_30default_config_static_selectorELNS0_4arch9wavefront6targetE0EEEvT1_.uses_vcc, 0
	.set _ZN7rocprim17ROCPRIM_400000_NS6detail17trampoline_kernelINS0_14default_configENS1_25transform_config_selectorIlLb0EEEZNS1_14transform_implILb0ES3_S5_NS0_18transform_iteratorINS0_17counting_iteratorImlEEZNS1_24adjacent_difference_implIS3_Lb1ELb0EPlSB_ZN2at6native12_GLOBAL__N_124unique_dim_cuda_templateIsEESt5tupleIJNSC_6TensorESH_SH_EERKSH_lbbbEUlllE1_EE10hipError_tPvRmT2_T3_mT4_P12ihipStream_tbEUlmE_lEESB_NS0_8identityIvEEEESM_SP_SQ_mSR_ST_bEUlT_E_NS1_11comp_targetILNS1_3genE10ELNS1_11target_archE1200ELNS1_3gpuE4ELNS1_3repE0EEENS1_30default_config_static_selectorELNS0_4arch9wavefront6targetE0EEEvT1_.uses_flat_scratch, 0
	.set _ZN7rocprim17ROCPRIM_400000_NS6detail17trampoline_kernelINS0_14default_configENS1_25transform_config_selectorIlLb0EEEZNS1_14transform_implILb0ES3_S5_NS0_18transform_iteratorINS0_17counting_iteratorImlEEZNS1_24adjacent_difference_implIS3_Lb1ELb0EPlSB_ZN2at6native12_GLOBAL__N_124unique_dim_cuda_templateIsEESt5tupleIJNSC_6TensorESH_SH_EERKSH_lbbbEUlllE1_EE10hipError_tPvRmT2_T3_mT4_P12ihipStream_tbEUlmE_lEESB_NS0_8identityIvEEEESM_SP_SQ_mSR_ST_bEUlT_E_NS1_11comp_targetILNS1_3genE10ELNS1_11target_archE1200ELNS1_3gpuE4ELNS1_3repE0EEENS1_30default_config_static_selectorELNS0_4arch9wavefront6targetE0EEEvT1_.has_dyn_sized_stack, 0
	.set _ZN7rocprim17ROCPRIM_400000_NS6detail17trampoline_kernelINS0_14default_configENS1_25transform_config_selectorIlLb0EEEZNS1_14transform_implILb0ES3_S5_NS0_18transform_iteratorINS0_17counting_iteratorImlEEZNS1_24adjacent_difference_implIS3_Lb1ELb0EPlSB_ZN2at6native12_GLOBAL__N_124unique_dim_cuda_templateIsEESt5tupleIJNSC_6TensorESH_SH_EERKSH_lbbbEUlllE1_EE10hipError_tPvRmT2_T3_mT4_P12ihipStream_tbEUlmE_lEESB_NS0_8identityIvEEEESM_SP_SQ_mSR_ST_bEUlT_E_NS1_11comp_targetILNS1_3genE10ELNS1_11target_archE1200ELNS1_3gpuE4ELNS1_3repE0EEENS1_30default_config_static_selectorELNS0_4arch9wavefront6targetE0EEEvT1_.has_recursion, 0
	.set _ZN7rocprim17ROCPRIM_400000_NS6detail17trampoline_kernelINS0_14default_configENS1_25transform_config_selectorIlLb0EEEZNS1_14transform_implILb0ES3_S5_NS0_18transform_iteratorINS0_17counting_iteratorImlEEZNS1_24adjacent_difference_implIS3_Lb1ELb0EPlSB_ZN2at6native12_GLOBAL__N_124unique_dim_cuda_templateIsEESt5tupleIJNSC_6TensorESH_SH_EERKSH_lbbbEUlllE1_EE10hipError_tPvRmT2_T3_mT4_P12ihipStream_tbEUlmE_lEESB_NS0_8identityIvEEEESM_SP_SQ_mSR_ST_bEUlT_E_NS1_11comp_targetILNS1_3genE10ELNS1_11target_archE1200ELNS1_3gpuE4ELNS1_3repE0EEENS1_30default_config_static_selectorELNS0_4arch9wavefront6targetE0EEEvT1_.has_indirect_call, 0
	.section	.AMDGPU.csdata,"",@progbits
; Kernel info:
; codeLenInByte = 0
; TotalNumSgprs: 0
; NumVgprs: 0
; ScratchSize: 0
; MemoryBound: 0
; FloatMode: 240
; IeeeMode: 1
; LDSByteSize: 0 bytes/workgroup (compile time only)
; SGPRBlocks: 0
; VGPRBlocks: 0
; NumSGPRsForWavesPerEU: 1
; NumVGPRsForWavesPerEU: 1
; NamedBarCnt: 0
; Occupancy: 16
; WaveLimiterHint : 0
; COMPUTE_PGM_RSRC2:SCRATCH_EN: 0
; COMPUTE_PGM_RSRC2:USER_SGPR: 2
; COMPUTE_PGM_RSRC2:TRAP_HANDLER: 0
; COMPUTE_PGM_RSRC2:TGID_X_EN: 1
; COMPUTE_PGM_RSRC2:TGID_Y_EN: 0
; COMPUTE_PGM_RSRC2:TGID_Z_EN: 0
; COMPUTE_PGM_RSRC2:TIDIG_COMP_CNT: 0
	.section	.text._ZN7rocprim17ROCPRIM_400000_NS6detail17trampoline_kernelINS0_14default_configENS1_25transform_config_selectorIlLb0EEEZNS1_14transform_implILb0ES3_S5_NS0_18transform_iteratorINS0_17counting_iteratorImlEEZNS1_24adjacent_difference_implIS3_Lb1ELb0EPlSB_ZN2at6native12_GLOBAL__N_124unique_dim_cuda_templateIsEESt5tupleIJNSC_6TensorESH_SH_EERKSH_lbbbEUlllE1_EE10hipError_tPvRmT2_T3_mT4_P12ihipStream_tbEUlmE_lEESB_NS0_8identityIvEEEESM_SP_SQ_mSR_ST_bEUlT_E_NS1_11comp_targetILNS1_3genE9ELNS1_11target_archE1100ELNS1_3gpuE3ELNS1_3repE0EEENS1_30default_config_static_selectorELNS0_4arch9wavefront6targetE0EEEvT1_,"axG",@progbits,_ZN7rocprim17ROCPRIM_400000_NS6detail17trampoline_kernelINS0_14default_configENS1_25transform_config_selectorIlLb0EEEZNS1_14transform_implILb0ES3_S5_NS0_18transform_iteratorINS0_17counting_iteratorImlEEZNS1_24adjacent_difference_implIS3_Lb1ELb0EPlSB_ZN2at6native12_GLOBAL__N_124unique_dim_cuda_templateIsEESt5tupleIJNSC_6TensorESH_SH_EERKSH_lbbbEUlllE1_EE10hipError_tPvRmT2_T3_mT4_P12ihipStream_tbEUlmE_lEESB_NS0_8identityIvEEEESM_SP_SQ_mSR_ST_bEUlT_E_NS1_11comp_targetILNS1_3genE9ELNS1_11target_archE1100ELNS1_3gpuE3ELNS1_3repE0EEENS1_30default_config_static_selectorELNS0_4arch9wavefront6targetE0EEEvT1_,comdat
	.globl	_ZN7rocprim17ROCPRIM_400000_NS6detail17trampoline_kernelINS0_14default_configENS1_25transform_config_selectorIlLb0EEEZNS1_14transform_implILb0ES3_S5_NS0_18transform_iteratorINS0_17counting_iteratorImlEEZNS1_24adjacent_difference_implIS3_Lb1ELb0EPlSB_ZN2at6native12_GLOBAL__N_124unique_dim_cuda_templateIsEESt5tupleIJNSC_6TensorESH_SH_EERKSH_lbbbEUlllE1_EE10hipError_tPvRmT2_T3_mT4_P12ihipStream_tbEUlmE_lEESB_NS0_8identityIvEEEESM_SP_SQ_mSR_ST_bEUlT_E_NS1_11comp_targetILNS1_3genE9ELNS1_11target_archE1100ELNS1_3gpuE3ELNS1_3repE0EEENS1_30default_config_static_selectorELNS0_4arch9wavefront6targetE0EEEvT1_ ; -- Begin function _ZN7rocprim17ROCPRIM_400000_NS6detail17trampoline_kernelINS0_14default_configENS1_25transform_config_selectorIlLb0EEEZNS1_14transform_implILb0ES3_S5_NS0_18transform_iteratorINS0_17counting_iteratorImlEEZNS1_24adjacent_difference_implIS3_Lb1ELb0EPlSB_ZN2at6native12_GLOBAL__N_124unique_dim_cuda_templateIsEESt5tupleIJNSC_6TensorESH_SH_EERKSH_lbbbEUlllE1_EE10hipError_tPvRmT2_T3_mT4_P12ihipStream_tbEUlmE_lEESB_NS0_8identityIvEEEESM_SP_SQ_mSR_ST_bEUlT_E_NS1_11comp_targetILNS1_3genE9ELNS1_11target_archE1100ELNS1_3gpuE3ELNS1_3repE0EEENS1_30default_config_static_selectorELNS0_4arch9wavefront6targetE0EEEvT1_
	.p2align	8
	.type	_ZN7rocprim17ROCPRIM_400000_NS6detail17trampoline_kernelINS0_14default_configENS1_25transform_config_selectorIlLb0EEEZNS1_14transform_implILb0ES3_S5_NS0_18transform_iteratorINS0_17counting_iteratorImlEEZNS1_24adjacent_difference_implIS3_Lb1ELb0EPlSB_ZN2at6native12_GLOBAL__N_124unique_dim_cuda_templateIsEESt5tupleIJNSC_6TensorESH_SH_EERKSH_lbbbEUlllE1_EE10hipError_tPvRmT2_T3_mT4_P12ihipStream_tbEUlmE_lEESB_NS0_8identityIvEEEESM_SP_SQ_mSR_ST_bEUlT_E_NS1_11comp_targetILNS1_3genE9ELNS1_11target_archE1100ELNS1_3gpuE3ELNS1_3repE0EEENS1_30default_config_static_selectorELNS0_4arch9wavefront6targetE0EEEvT1_,@function
_ZN7rocprim17ROCPRIM_400000_NS6detail17trampoline_kernelINS0_14default_configENS1_25transform_config_selectorIlLb0EEEZNS1_14transform_implILb0ES3_S5_NS0_18transform_iteratorINS0_17counting_iteratorImlEEZNS1_24adjacent_difference_implIS3_Lb1ELb0EPlSB_ZN2at6native12_GLOBAL__N_124unique_dim_cuda_templateIsEESt5tupleIJNSC_6TensorESH_SH_EERKSH_lbbbEUlllE1_EE10hipError_tPvRmT2_T3_mT4_P12ihipStream_tbEUlmE_lEESB_NS0_8identityIvEEEESM_SP_SQ_mSR_ST_bEUlT_E_NS1_11comp_targetILNS1_3genE9ELNS1_11target_archE1100ELNS1_3gpuE3ELNS1_3repE0EEENS1_30default_config_static_selectorELNS0_4arch9wavefront6targetE0EEEvT1_: ; @_ZN7rocprim17ROCPRIM_400000_NS6detail17trampoline_kernelINS0_14default_configENS1_25transform_config_selectorIlLb0EEEZNS1_14transform_implILb0ES3_S5_NS0_18transform_iteratorINS0_17counting_iteratorImlEEZNS1_24adjacent_difference_implIS3_Lb1ELb0EPlSB_ZN2at6native12_GLOBAL__N_124unique_dim_cuda_templateIsEESt5tupleIJNSC_6TensorESH_SH_EERKSH_lbbbEUlllE1_EE10hipError_tPvRmT2_T3_mT4_P12ihipStream_tbEUlmE_lEESB_NS0_8identityIvEEEESM_SP_SQ_mSR_ST_bEUlT_E_NS1_11comp_targetILNS1_3genE9ELNS1_11target_archE1100ELNS1_3gpuE3ELNS1_3repE0EEENS1_30default_config_static_selectorELNS0_4arch9wavefront6targetE0EEEvT1_
; %bb.0:
	.section	.rodata,"a",@progbits
	.p2align	6, 0x0
	.amdhsa_kernel _ZN7rocprim17ROCPRIM_400000_NS6detail17trampoline_kernelINS0_14default_configENS1_25transform_config_selectorIlLb0EEEZNS1_14transform_implILb0ES3_S5_NS0_18transform_iteratorINS0_17counting_iteratorImlEEZNS1_24adjacent_difference_implIS3_Lb1ELb0EPlSB_ZN2at6native12_GLOBAL__N_124unique_dim_cuda_templateIsEESt5tupleIJNSC_6TensorESH_SH_EERKSH_lbbbEUlllE1_EE10hipError_tPvRmT2_T3_mT4_P12ihipStream_tbEUlmE_lEESB_NS0_8identityIvEEEESM_SP_SQ_mSR_ST_bEUlT_E_NS1_11comp_targetILNS1_3genE9ELNS1_11target_archE1100ELNS1_3gpuE3ELNS1_3repE0EEENS1_30default_config_static_selectorELNS0_4arch9wavefront6targetE0EEEvT1_
		.amdhsa_group_segment_fixed_size 0
		.amdhsa_private_segment_fixed_size 0
		.amdhsa_kernarg_size 56
		.amdhsa_user_sgpr_count 2
		.amdhsa_user_sgpr_dispatch_ptr 0
		.amdhsa_user_sgpr_queue_ptr 0
		.amdhsa_user_sgpr_kernarg_segment_ptr 1
		.amdhsa_user_sgpr_dispatch_id 0
		.amdhsa_user_sgpr_kernarg_preload_length 0
		.amdhsa_user_sgpr_kernarg_preload_offset 0
		.amdhsa_user_sgpr_private_segment_size 0
		.amdhsa_wavefront_size32 1
		.amdhsa_uses_dynamic_stack 0
		.amdhsa_enable_private_segment 0
		.amdhsa_system_sgpr_workgroup_id_x 1
		.amdhsa_system_sgpr_workgroup_id_y 0
		.amdhsa_system_sgpr_workgroup_id_z 0
		.amdhsa_system_sgpr_workgroup_info 0
		.amdhsa_system_vgpr_workitem_id 0
		.amdhsa_next_free_vgpr 1
		.amdhsa_next_free_sgpr 1
		.amdhsa_named_barrier_count 0
		.amdhsa_reserve_vcc 0
		.amdhsa_float_round_mode_32 0
		.amdhsa_float_round_mode_16_64 0
		.amdhsa_float_denorm_mode_32 3
		.amdhsa_float_denorm_mode_16_64 3
		.amdhsa_fp16_overflow 0
		.amdhsa_memory_ordered 1
		.amdhsa_forward_progress 1
		.amdhsa_inst_pref_size 0
		.amdhsa_round_robin_scheduling 0
		.amdhsa_exception_fp_ieee_invalid_op 0
		.amdhsa_exception_fp_denorm_src 0
		.amdhsa_exception_fp_ieee_div_zero 0
		.amdhsa_exception_fp_ieee_overflow 0
		.amdhsa_exception_fp_ieee_underflow 0
		.amdhsa_exception_fp_ieee_inexact 0
		.amdhsa_exception_int_div_zero 0
	.end_amdhsa_kernel
	.section	.text._ZN7rocprim17ROCPRIM_400000_NS6detail17trampoline_kernelINS0_14default_configENS1_25transform_config_selectorIlLb0EEEZNS1_14transform_implILb0ES3_S5_NS0_18transform_iteratorINS0_17counting_iteratorImlEEZNS1_24adjacent_difference_implIS3_Lb1ELb0EPlSB_ZN2at6native12_GLOBAL__N_124unique_dim_cuda_templateIsEESt5tupleIJNSC_6TensorESH_SH_EERKSH_lbbbEUlllE1_EE10hipError_tPvRmT2_T3_mT4_P12ihipStream_tbEUlmE_lEESB_NS0_8identityIvEEEESM_SP_SQ_mSR_ST_bEUlT_E_NS1_11comp_targetILNS1_3genE9ELNS1_11target_archE1100ELNS1_3gpuE3ELNS1_3repE0EEENS1_30default_config_static_selectorELNS0_4arch9wavefront6targetE0EEEvT1_,"axG",@progbits,_ZN7rocprim17ROCPRIM_400000_NS6detail17trampoline_kernelINS0_14default_configENS1_25transform_config_selectorIlLb0EEEZNS1_14transform_implILb0ES3_S5_NS0_18transform_iteratorINS0_17counting_iteratorImlEEZNS1_24adjacent_difference_implIS3_Lb1ELb0EPlSB_ZN2at6native12_GLOBAL__N_124unique_dim_cuda_templateIsEESt5tupleIJNSC_6TensorESH_SH_EERKSH_lbbbEUlllE1_EE10hipError_tPvRmT2_T3_mT4_P12ihipStream_tbEUlmE_lEESB_NS0_8identityIvEEEESM_SP_SQ_mSR_ST_bEUlT_E_NS1_11comp_targetILNS1_3genE9ELNS1_11target_archE1100ELNS1_3gpuE3ELNS1_3repE0EEENS1_30default_config_static_selectorELNS0_4arch9wavefront6targetE0EEEvT1_,comdat
.Lfunc_end675:
	.size	_ZN7rocprim17ROCPRIM_400000_NS6detail17trampoline_kernelINS0_14default_configENS1_25transform_config_selectorIlLb0EEEZNS1_14transform_implILb0ES3_S5_NS0_18transform_iteratorINS0_17counting_iteratorImlEEZNS1_24adjacent_difference_implIS3_Lb1ELb0EPlSB_ZN2at6native12_GLOBAL__N_124unique_dim_cuda_templateIsEESt5tupleIJNSC_6TensorESH_SH_EERKSH_lbbbEUlllE1_EE10hipError_tPvRmT2_T3_mT4_P12ihipStream_tbEUlmE_lEESB_NS0_8identityIvEEEESM_SP_SQ_mSR_ST_bEUlT_E_NS1_11comp_targetILNS1_3genE9ELNS1_11target_archE1100ELNS1_3gpuE3ELNS1_3repE0EEENS1_30default_config_static_selectorELNS0_4arch9wavefront6targetE0EEEvT1_, .Lfunc_end675-_ZN7rocprim17ROCPRIM_400000_NS6detail17trampoline_kernelINS0_14default_configENS1_25transform_config_selectorIlLb0EEEZNS1_14transform_implILb0ES3_S5_NS0_18transform_iteratorINS0_17counting_iteratorImlEEZNS1_24adjacent_difference_implIS3_Lb1ELb0EPlSB_ZN2at6native12_GLOBAL__N_124unique_dim_cuda_templateIsEESt5tupleIJNSC_6TensorESH_SH_EERKSH_lbbbEUlllE1_EE10hipError_tPvRmT2_T3_mT4_P12ihipStream_tbEUlmE_lEESB_NS0_8identityIvEEEESM_SP_SQ_mSR_ST_bEUlT_E_NS1_11comp_targetILNS1_3genE9ELNS1_11target_archE1100ELNS1_3gpuE3ELNS1_3repE0EEENS1_30default_config_static_selectorELNS0_4arch9wavefront6targetE0EEEvT1_
                                        ; -- End function
	.set _ZN7rocprim17ROCPRIM_400000_NS6detail17trampoline_kernelINS0_14default_configENS1_25transform_config_selectorIlLb0EEEZNS1_14transform_implILb0ES3_S5_NS0_18transform_iteratorINS0_17counting_iteratorImlEEZNS1_24adjacent_difference_implIS3_Lb1ELb0EPlSB_ZN2at6native12_GLOBAL__N_124unique_dim_cuda_templateIsEESt5tupleIJNSC_6TensorESH_SH_EERKSH_lbbbEUlllE1_EE10hipError_tPvRmT2_T3_mT4_P12ihipStream_tbEUlmE_lEESB_NS0_8identityIvEEEESM_SP_SQ_mSR_ST_bEUlT_E_NS1_11comp_targetILNS1_3genE9ELNS1_11target_archE1100ELNS1_3gpuE3ELNS1_3repE0EEENS1_30default_config_static_selectorELNS0_4arch9wavefront6targetE0EEEvT1_.num_vgpr, 0
	.set _ZN7rocprim17ROCPRIM_400000_NS6detail17trampoline_kernelINS0_14default_configENS1_25transform_config_selectorIlLb0EEEZNS1_14transform_implILb0ES3_S5_NS0_18transform_iteratorINS0_17counting_iteratorImlEEZNS1_24adjacent_difference_implIS3_Lb1ELb0EPlSB_ZN2at6native12_GLOBAL__N_124unique_dim_cuda_templateIsEESt5tupleIJNSC_6TensorESH_SH_EERKSH_lbbbEUlllE1_EE10hipError_tPvRmT2_T3_mT4_P12ihipStream_tbEUlmE_lEESB_NS0_8identityIvEEEESM_SP_SQ_mSR_ST_bEUlT_E_NS1_11comp_targetILNS1_3genE9ELNS1_11target_archE1100ELNS1_3gpuE3ELNS1_3repE0EEENS1_30default_config_static_selectorELNS0_4arch9wavefront6targetE0EEEvT1_.num_agpr, 0
	.set _ZN7rocprim17ROCPRIM_400000_NS6detail17trampoline_kernelINS0_14default_configENS1_25transform_config_selectorIlLb0EEEZNS1_14transform_implILb0ES3_S5_NS0_18transform_iteratorINS0_17counting_iteratorImlEEZNS1_24adjacent_difference_implIS3_Lb1ELb0EPlSB_ZN2at6native12_GLOBAL__N_124unique_dim_cuda_templateIsEESt5tupleIJNSC_6TensorESH_SH_EERKSH_lbbbEUlllE1_EE10hipError_tPvRmT2_T3_mT4_P12ihipStream_tbEUlmE_lEESB_NS0_8identityIvEEEESM_SP_SQ_mSR_ST_bEUlT_E_NS1_11comp_targetILNS1_3genE9ELNS1_11target_archE1100ELNS1_3gpuE3ELNS1_3repE0EEENS1_30default_config_static_selectorELNS0_4arch9wavefront6targetE0EEEvT1_.numbered_sgpr, 0
	.set _ZN7rocprim17ROCPRIM_400000_NS6detail17trampoline_kernelINS0_14default_configENS1_25transform_config_selectorIlLb0EEEZNS1_14transform_implILb0ES3_S5_NS0_18transform_iteratorINS0_17counting_iteratorImlEEZNS1_24adjacent_difference_implIS3_Lb1ELb0EPlSB_ZN2at6native12_GLOBAL__N_124unique_dim_cuda_templateIsEESt5tupleIJNSC_6TensorESH_SH_EERKSH_lbbbEUlllE1_EE10hipError_tPvRmT2_T3_mT4_P12ihipStream_tbEUlmE_lEESB_NS0_8identityIvEEEESM_SP_SQ_mSR_ST_bEUlT_E_NS1_11comp_targetILNS1_3genE9ELNS1_11target_archE1100ELNS1_3gpuE3ELNS1_3repE0EEENS1_30default_config_static_selectorELNS0_4arch9wavefront6targetE0EEEvT1_.num_named_barrier, 0
	.set _ZN7rocprim17ROCPRIM_400000_NS6detail17trampoline_kernelINS0_14default_configENS1_25transform_config_selectorIlLb0EEEZNS1_14transform_implILb0ES3_S5_NS0_18transform_iteratorINS0_17counting_iteratorImlEEZNS1_24adjacent_difference_implIS3_Lb1ELb0EPlSB_ZN2at6native12_GLOBAL__N_124unique_dim_cuda_templateIsEESt5tupleIJNSC_6TensorESH_SH_EERKSH_lbbbEUlllE1_EE10hipError_tPvRmT2_T3_mT4_P12ihipStream_tbEUlmE_lEESB_NS0_8identityIvEEEESM_SP_SQ_mSR_ST_bEUlT_E_NS1_11comp_targetILNS1_3genE9ELNS1_11target_archE1100ELNS1_3gpuE3ELNS1_3repE0EEENS1_30default_config_static_selectorELNS0_4arch9wavefront6targetE0EEEvT1_.private_seg_size, 0
	.set _ZN7rocprim17ROCPRIM_400000_NS6detail17trampoline_kernelINS0_14default_configENS1_25transform_config_selectorIlLb0EEEZNS1_14transform_implILb0ES3_S5_NS0_18transform_iteratorINS0_17counting_iteratorImlEEZNS1_24adjacent_difference_implIS3_Lb1ELb0EPlSB_ZN2at6native12_GLOBAL__N_124unique_dim_cuda_templateIsEESt5tupleIJNSC_6TensorESH_SH_EERKSH_lbbbEUlllE1_EE10hipError_tPvRmT2_T3_mT4_P12ihipStream_tbEUlmE_lEESB_NS0_8identityIvEEEESM_SP_SQ_mSR_ST_bEUlT_E_NS1_11comp_targetILNS1_3genE9ELNS1_11target_archE1100ELNS1_3gpuE3ELNS1_3repE0EEENS1_30default_config_static_selectorELNS0_4arch9wavefront6targetE0EEEvT1_.uses_vcc, 0
	.set _ZN7rocprim17ROCPRIM_400000_NS6detail17trampoline_kernelINS0_14default_configENS1_25transform_config_selectorIlLb0EEEZNS1_14transform_implILb0ES3_S5_NS0_18transform_iteratorINS0_17counting_iteratorImlEEZNS1_24adjacent_difference_implIS3_Lb1ELb0EPlSB_ZN2at6native12_GLOBAL__N_124unique_dim_cuda_templateIsEESt5tupleIJNSC_6TensorESH_SH_EERKSH_lbbbEUlllE1_EE10hipError_tPvRmT2_T3_mT4_P12ihipStream_tbEUlmE_lEESB_NS0_8identityIvEEEESM_SP_SQ_mSR_ST_bEUlT_E_NS1_11comp_targetILNS1_3genE9ELNS1_11target_archE1100ELNS1_3gpuE3ELNS1_3repE0EEENS1_30default_config_static_selectorELNS0_4arch9wavefront6targetE0EEEvT1_.uses_flat_scratch, 0
	.set _ZN7rocprim17ROCPRIM_400000_NS6detail17trampoline_kernelINS0_14default_configENS1_25transform_config_selectorIlLb0EEEZNS1_14transform_implILb0ES3_S5_NS0_18transform_iteratorINS0_17counting_iteratorImlEEZNS1_24adjacent_difference_implIS3_Lb1ELb0EPlSB_ZN2at6native12_GLOBAL__N_124unique_dim_cuda_templateIsEESt5tupleIJNSC_6TensorESH_SH_EERKSH_lbbbEUlllE1_EE10hipError_tPvRmT2_T3_mT4_P12ihipStream_tbEUlmE_lEESB_NS0_8identityIvEEEESM_SP_SQ_mSR_ST_bEUlT_E_NS1_11comp_targetILNS1_3genE9ELNS1_11target_archE1100ELNS1_3gpuE3ELNS1_3repE0EEENS1_30default_config_static_selectorELNS0_4arch9wavefront6targetE0EEEvT1_.has_dyn_sized_stack, 0
	.set _ZN7rocprim17ROCPRIM_400000_NS6detail17trampoline_kernelINS0_14default_configENS1_25transform_config_selectorIlLb0EEEZNS1_14transform_implILb0ES3_S5_NS0_18transform_iteratorINS0_17counting_iteratorImlEEZNS1_24adjacent_difference_implIS3_Lb1ELb0EPlSB_ZN2at6native12_GLOBAL__N_124unique_dim_cuda_templateIsEESt5tupleIJNSC_6TensorESH_SH_EERKSH_lbbbEUlllE1_EE10hipError_tPvRmT2_T3_mT4_P12ihipStream_tbEUlmE_lEESB_NS0_8identityIvEEEESM_SP_SQ_mSR_ST_bEUlT_E_NS1_11comp_targetILNS1_3genE9ELNS1_11target_archE1100ELNS1_3gpuE3ELNS1_3repE0EEENS1_30default_config_static_selectorELNS0_4arch9wavefront6targetE0EEEvT1_.has_recursion, 0
	.set _ZN7rocprim17ROCPRIM_400000_NS6detail17trampoline_kernelINS0_14default_configENS1_25transform_config_selectorIlLb0EEEZNS1_14transform_implILb0ES3_S5_NS0_18transform_iteratorINS0_17counting_iteratorImlEEZNS1_24adjacent_difference_implIS3_Lb1ELb0EPlSB_ZN2at6native12_GLOBAL__N_124unique_dim_cuda_templateIsEESt5tupleIJNSC_6TensorESH_SH_EERKSH_lbbbEUlllE1_EE10hipError_tPvRmT2_T3_mT4_P12ihipStream_tbEUlmE_lEESB_NS0_8identityIvEEEESM_SP_SQ_mSR_ST_bEUlT_E_NS1_11comp_targetILNS1_3genE9ELNS1_11target_archE1100ELNS1_3gpuE3ELNS1_3repE0EEENS1_30default_config_static_selectorELNS0_4arch9wavefront6targetE0EEEvT1_.has_indirect_call, 0
	.section	.AMDGPU.csdata,"",@progbits
; Kernel info:
; codeLenInByte = 0
; TotalNumSgprs: 0
; NumVgprs: 0
; ScratchSize: 0
; MemoryBound: 0
; FloatMode: 240
; IeeeMode: 1
; LDSByteSize: 0 bytes/workgroup (compile time only)
; SGPRBlocks: 0
; VGPRBlocks: 0
; NumSGPRsForWavesPerEU: 1
; NumVGPRsForWavesPerEU: 1
; NamedBarCnt: 0
; Occupancy: 16
; WaveLimiterHint : 0
; COMPUTE_PGM_RSRC2:SCRATCH_EN: 0
; COMPUTE_PGM_RSRC2:USER_SGPR: 2
; COMPUTE_PGM_RSRC2:TRAP_HANDLER: 0
; COMPUTE_PGM_RSRC2:TGID_X_EN: 1
; COMPUTE_PGM_RSRC2:TGID_Y_EN: 0
; COMPUTE_PGM_RSRC2:TGID_Z_EN: 0
; COMPUTE_PGM_RSRC2:TIDIG_COMP_CNT: 0
	.section	.text._ZN7rocprim17ROCPRIM_400000_NS6detail17trampoline_kernelINS0_14default_configENS1_25transform_config_selectorIlLb0EEEZNS1_14transform_implILb0ES3_S5_NS0_18transform_iteratorINS0_17counting_iteratorImlEEZNS1_24adjacent_difference_implIS3_Lb1ELb0EPlSB_ZN2at6native12_GLOBAL__N_124unique_dim_cuda_templateIsEESt5tupleIJNSC_6TensorESH_SH_EERKSH_lbbbEUlllE1_EE10hipError_tPvRmT2_T3_mT4_P12ihipStream_tbEUlmE_lEESB_NS0_8identityIvEEEESM_SP_SQ_mSR_ST_bEUlT_E_NS1_11comp_targetILNS1_3genE8ELNS1_11target_archE1030ELNS1_3gpuE2ELNS1_3repE0EEENS1_30default_config_static_selectorELNS0_4arch9wavefront6targetE0EEEvT1_,"axG",@progbits,_ZN7rocprim17ROCPRIM_400000_NS6detail17trampoline_kernelINS0_14default_configENS1_25transform_config_selectorIlLb0EEEZNS1_14transform_implILb0ES3_S5_NS0_18transform_iteratorINS0_17counting_iteratorImlEEZNS1_24adjacent_difference_implIS3_Lb1ELb0EPlSB_ZN2at6native12_GLOBAL__N_124unique_dim_cuda_templateIsEESt5tupleIJNSC_6TensorESH_SH_EERKSH_lbbbEUlllE1_EE10hipError_tPvRmT2_T3_mT4_P12ihipStream_tbEUlmE_lEESB_NS0_8identityIvEEEESM_SP_SQ_mSR_ST_bEUlT_E_NS1_11comp_targetILNS1_3genE8ELNS1_11target_archE1030ELNS1_3gpuE2ELNS1_3repE0EEENS1_30default_config_static_selectorELNS0_4arch9wavefront6targetE0EEEvT1_,comdat
	.globl	_ZN7rocprim17ROCPRIM_400000_NS6detail17trampoline_kernelINS0_14default_configENS1_25transform_config_selectorIlLb0EEEZNS1_14transform_implILb0ES3_S5_NS0_18transform_iteratorINS0_17counting_iteratorImlEEZNS1_24adjacent_difference_implIS3_Lb1ELb0EPlSB_ZN2at6native12_GLOBAL__N_124unique_dim_cuda_templateIsEESt5tupleIJNSC_6TensorESH_SH_EERKSH_lbbbEUlllE1_EE10hipError_tPvRmT2_T3_mT4_P12ihipStream_tbEUlmE_lEESB_NS0_8identityIvEEEESM_SP_SQ_mSR_ST_bEUlT_E_NS1_11comp_targetILNS1_3genE8ELNS1_11target_archE1030ELNS1_3gpuE2ELNS1_3repE0EEENS1_30default_config_static_selectorELNS0_4arch9wavefront6targetE0EEEvT1_ ; -- Begin function _ZN7rocprim17ROCPRIM_400000_NS6detail17trampoline_kernelINS0_14default_configENS1_25transform_config_selectorIlLb0EEEZNS1_14transform_implILb0ES3_S5_NS0_18transform_iteratorINS0_17counting_iteratorImlEEZNS1_24adjacent_difference_implIS3_Lb1ELb0EPlSB_ZN2at6native12_GLOBAL__N_124unique_dim_cuda_templateIsEESt5tupleIJNSC_6TensorESH_SH_EERKSH_lbbbEUlllE1_EE10hipError_tPvRmT2_T3_mT4_P12ihipStream_tbEUlmE_lEESB_NS0_8identityIvEEEESM_SP_SQ_mSR_ST_bEUlT_E_NS1_11comp_targetILNS1_3genE8ELNS1_11target_archE1030ELNS1_3gpuE2ELNS1_3repE0EEENS1_30default_config_static_selectorELNS0_4arch9wavefront6targetE0EEEvT1_
	.p2align	8
	.type	_ZN7rocprim17ROCPRIM_400000_NS6detail17trampoline_kernelINS0_14default_configENS1_25transform_config_selectorIlLb0EEEZNS1_14transform_implILb0ES3_S5_NS0_18transform_iteratorINS0_17counting_iteratorImlEEZNS1_24adjacent_difference_implIS3_Lb1ELb0EPlSB_ZN2at6native12_GLOBAL__N_124unique_dim_cuda_templateIsEESt5tupleIJNSC_6TensorESH_SH_EERKSH_lbbbEUlllE1_EE10hipError_tPvRmT2_T3_mT4_P12ihipStream_tbEUlmE_lEESB_NS0_8identityIvEEEESM_SP_SQ_mSR_ST_bEUlT_E_NS1_11comp_targetILNS1_3genE8ELNS1_11target_archE1030ELNS1_3gpuE2ELNS1_3repE0EEENS1_30default_config_static_selectorELNS0_4arch9wavefront6targetE0EEEvT1_,@function
_ZN7rocprim17ROCPRIM_400000_NS6detail17trampoline_kernelINS0_14default_configENS1_25transform_config_selectorIlLb0EEEZNS1_14transform_implILb0ES3_S5_NS0_18transform_iteratorINS0_17counting_iteratorImlEEZNS1_24adjacent_difference_implIS3_Lb1ELb0EPlSB_ZN2at6native12_GLOBAL__N_124unique_dim_cuda_templateIsEESt5tupleIJNSC_6TensorESH_SH_EERKSH_lbbbEUlllE1_EE10hipError_tPvRmT2_T3_mT4_P12ihipStream_tbEUlmE_lEESB_NS0_8identityIvEEEESM_SP_SQ_mSR_ST_bEUlT_E_NS1_11comp_targetILNS1_3genE8ELNS1_11target_archE1030ELNS1_3gpuE2ELNS1_3repE0EEENS1_30default_config_static_selectorELNS0_4arch9wavefront6targetE0EEEvT1_: ; @_ZN7rocprim17ROCPRIM_400000_NS6detail17trampoline_kernelINS0_14default_configENS1_25transform_config_selectorIlLb0EEEZNS1_14transform_implILb0ES3_S5_NS0_18transform_iteratorINS0_17counting_iteratorImlEEZNS1_24adjacent_difference_implIS3_Lb1ELb0EPlSB_ZN2at6native12_GLOBAL__N_124unique_dim_cuda_templateIsEESt5tupleIJNSC_6TensorESH_SH_EERKSH_lbbbEUlllE1_EE10hipError_tPvRmT2_T3_mT4_P12ihipStream_tbEUlmE_lEESB_NS0_8identityIvEEEESM_SP_SQ_mSR_ST_bEUlT_E_NS1_11comp_targetILNS1_3genE8ELNS1_11target_archE1030ELNS1_3gpuE2ELNS1_3repE0EEENS1_30default_config_static_selectorELNS0_4arch9wavefront6targetE0EEEvT1_
; %bb.0:
	.section	.rodata,"a",@progbits
	.p2align	6, 0x0
	.amdhsa_kernel _ZN7rocprim17ROCPRIM_400000_NS6detail17trampoline_kernelINS0_14default_configENS1_25transform_config_selectorIlLb0EEEZNS1_14transform_implILb0ES3_S5_NS0_18transform_iteratorINS0_17counting_iteratorImlEEZNS1_24adjacent_difference_implIS3_Lb1ELb0EPlSB_ZN2at6native12_GLOBAL__N_124unique_dim_cuda_templateIsEESt5tupleIJNSC_6TensorESH_SH_EERKSH_lbbbEUlllE1_EE10hipError_tPvRmT2_T3_mT4_P12ihipStream_tbEUlmE_lEESB_NS0_8identityIvEEEESM_SP_SQ_mSR_ST_bEUlT_E_NS1_11comp_targetILNS1_3genE8ELNS1_11target_archE1030ELNS1_3gpuE2ELNS1_3repE0EEENS1_30default_config_static_selectorELNS0_4arch9wavefront6targetE0EEEvT1_
		.amdhsa_group_segment_fixed_size 0
		.amdhsa_private_segment_fixed_size 0
		.amdhsa_kernarg_size 56
		.amdhsa_user_sgpr_count 2
		.amdhsa_user_sgpr_dispatch_ptr 0
		.amdhsa_user_sgpr_queue_ptr 0
		.amdhsa_user_sgpr_kernarg_segment_ptr 1
		.amdhsa_user_sgpr_dispatch_id 0
		.amdhsa_user_sgpr_kernarg_preload_length 0
		.amdhsa_user_sgpr_kernarg_preload_offset 0
		.amdhsa_user_sgpr_private_segment_size 0
		.amdhsa_wavefront_size32 1
		.amdhsa_uses_dynamic_stack 0
		.amdhsa_enable_private_segment 0
		.amdhsa_system_sgpr_workgroup_id_x 1
		.amdhsa_system_sgpr_workgroup_id_y 0
		.amdhsa_system_sgpr_workgroup_id_z 0
		.amdhsa_system_sgpr_workgroup_info 0
		.amdhsa_system_vgpr_workitem_id 0
		.amdhsa_next_free_vgpr 1
		.amdhsa_next_free_sgpr 1
		.amdhsa_named_barrier_count 0
		.amdhsa_reserve_vcc 0
		.amdhsa_float_round_mode_32 0
		.amdhsa_float_round_mode_16_64 0
		.amdhsa_float_denorm_mode_32 3
		.amdhsa_float_denorm_mode_16_64 3
		.amdhsa_fp16_overflow 0
		.amdhsa_memory_ordered 1
		.amdhsa_forward_progress 1
		.amdhsa_inst_pref_size 0
		.amdhsa_round_robin_scheduling 0
		.amdhsa_exception_fp_ieee_invalid_op 0
		.amdhsa_exception_fp_denorm_src 0
		.amdhsa_exception_fp_ieee_div_zero 0
		.amdhsa_exception_fp_ieee_overflow 0
		.amdhsa_exception_fp_ieee_underflow 0
		.amdhsa_exception_fp_ieee_inexact 0
		.amdhsa_exception_int_div_zero 0
	.end_amdhsa_kernel
	.section	.text._ZN7rocprim17ROCPRIM_400000_NS6detail17trampoline_kernelINS0_14default_configENS1_25transform_config_selectorIlLb0EEEZNS1_14transform_implILb0ES3_S5_NS0_18transform_iteratorINS0_17counting_iteratorImlEEZNS1_24adjacent_difference_implIS3_Lb1ELb0EPlSB_ZN2at6native12_GLOBAL__N_124unique_dim_cuda_templateIsEESt5tupleIJNSC_6TensorESH_SH_EERKSH_lbbbEUlllE1_EE10hipError_tPvRmT2_T3_mT4_P12ihipStream_tbEUlmE_lEESB_NS0_8identityIvEEEESM_SP_SQ_mSR_ST_bEUlT_E_NS1_11comp_targetILNS1_3genE8ELNS1_11target_archE1030ELNS1_3gpuE2ELNS1_3repE0EEENS1_30default_config_static_selectorELNS0_4arch9wavefront6targetE0EEEvT1_,"axG",@progbits,_ZN7rocprim17ROCPRIM_400000_NS6detail17trampoline_kernelINS0_14default_configENS1_25transform_config_selectorIlLb0EEEZNS1_14transform_implILb0ES3_S5_NS0_18transform_iteratorINS0_17counting_iteratorImlEEZNS1_24adjacent_difference_implIS3_Lb1ELb0EPlSB_ZN2at6native12_GLOBAL__N_124unique_dim_cuda_templateIsEESt5tupleIJNSC_6TensorESH_SH_EERKSH_lbbbEUlllE1_EE10hipError_tPvRmT2_T3_mT4_P12ihipStream_tbEUlmE_lEESB_NS0_8identityIvEEEESM_SP_SQ_mSR_ST_bEUlT_E_NS1_11comp_targetILNS1_3genE8ELNS1_11target_archE1030ELNS1_3gpuE2ELNS1_3repE0EEENS1_30default_config_static_selectorELNS0_4arch9wavefront6targetE0EEEvT1_,comdat
.Lfunc_end676:
	.size	_ZN7rocprim17ROCPRIM_400000_NS6detail17trampoline_kernelINS0_14default_configENS1_25transform_config_selectorIlLb0EEEZNS1_14transform_implILb0ES3_S5_NS0_18transform_iteratorINS0_17counting_iteratorImlEEZNS1_24adjacent_difference_implIS3_Lb1ELb0EPlSB_ZN2at6native12_GLOBAL__N_124unique_dim_cuda_templateIsEESt5tupleIJNSC_6TensorESH_SH_EERKSH_lbbbEUlllE1_EE10hipError_tPvRmT2_T3_mT4_P12ihipStream_tbEUlmE_lEESB_NS0_8identityIvEEEESM_SP_SQ_mSR_ST_bEUlT_E_NS1_11comp_targetILNS1_3genE8ELNS1_11target_archE1030ELNS1_3gpuE2ELNS1_3repE0EEENS1_30default_config_static_selectorELNS0_4arch9wavefront6targetE0EEEvT1_, .Lfunc_end676-_ZN7rocprim17ROCPRIM_400000_NS6detail17trampoline_kernelINS0_14default_configENS1_25transform_config_selectorIlLb0EEEZNS1_14transform_implILb0ES3_S5_NS0_18transform_iteratorINS0_17counting_iteratorImlEEZNS1_24adjacent_difference_implIS3_Lb1ELb0EPlSB_ZN2at6native12_GLOBAL__N_124unique_dim_cuda_templateIsEESt5tupleIJNSC_6TensorESH_SH_EERKSH_lbbbEUlllE1_EE10hipError_tPvRmT2_T3_mT4_P12ihipStream_tbEUlmE_lEESB_NS0_8identityIvEEEESM_SP_SQ_mSR_ST_bEUlT_E_NS1_11comp_targetILNS1_3genE8ELNS1_11target_archE1030ELNS1_3gpuE2ELNS1_3repE0EEENS1_30default_config_static_selectorELNS0_4arch9wavefront6targetE0EEEvT1_
                                        ; -- End function
	.set _ZN7rocprim17ROCPRIM_400000_NS6detail17trampoline_kernelINS0_14default_configENS1_25transform_config_selectorIlLb0EEEZNS1_14transform_implILb0ES3_S5_NS0_18transform_iteratorINS0_17counting_iteratorImlEEZNS1_24adjacent_difference_implIS3_Lb1ELb0EPlSB_ZN2at6native12_GLOBAL__N_124unique_dim_cuda_templateIsEESt5tupleIJNSC_6TensorESH_SH_EERKSH_lbbbEUlllE1_EE10hipError_tPvRmT2_T3_mT4_P12ihipStream_tbEUlmE_lEESB_NS0_8identityIvEEEESM_SP_SQ_mSR_ST_bEUlT_E_NS1_11comp_targetILNS1_3genE8ELNS1_11target_archE1030ELNS1_3gpuE2ELNS1_3repE0EEENS1_30default_config_static_selectorELNS0_4arch9wavefront6targetE0EEEvT1_.num_vgpr, 0
	.set _ZN7rocprim17ROCPRIM_400000_NS6detail17trampoline_kernelINS0_14default_configENS1_25transform_config_selectorIlLb0EEEZNS1_14transform_implILb0ES3_S5_NS0_18transform_iteratorINS0_17counting_iteratorImlEEZNS1_24adjacent_difference_implIS3_Lb1ELb0EPlSB_ZN2at6native12_GLOBAL__N_124unique_dim_cuda_templateIsEESt5tupleIJNSC_6TensorESH_SH_EERKSH_lbbbEUlllE1_EE10hipError_tPvRmT2_T3_mT4_P12ihipStream_tbEUlmE_lEESB_NS0_8identityIvEEEESM_SP_SQ_mSR_ST_bEUlT_E_NS1_11comp_targetILNS1_3genE8ELNS1_11target_archE1030ELNS1_3gpuE2ELNS1_3repE0EEENS1_30default_config_static_selectorELNS0_4arch9wavefront6targetE0EEEvT1_.num_agpr, 0
	.set _ZN7rocprim17ROCPRIM_400000_NS6detail17trampoline_kernelINS0_14default_configENS1_25transform_config_selectorIlLb0EEEZNS1_14transform_implILb0ES3_S5_NS0_18transform_iteratorINS0_17counting_iteratorImlEEZNS1_24adjacent_difference_implIS3_Lb1ELb0EPlSB_ZN2at6native12_GLOBAL__N_124unique_dim_cuda_templateIsEESt5tupleIJNSC_6TensorESH_SH_EERKSH_lbbbEUlllE1_EE10hipError_tPvRmT2_T3_mT4_P12ihipStream_tbEUlmE_lEESB_NS0_8identityIvEEEESM_SP_SQ_mSR_ST_bEUlT_E_NS1_11comp_targetILNS1_3genE8ELNS1_11target_archE1030ELNS1_3gpuE2ELNS1_3repE0EEENS1_30default_config_static_selectorELNS0_4arch9wavefront6targetE0EEEvT1_.numbered_sgpr, 0
	.set _ZN7rocprim17ROCPRIM_400000_NS6detail17trampoline_kernelINS0_14default_configENS1_25transform_config_selectorIlLb0EEEZNS1_14transform_implILb0ES3_S5_NS0_18transform_iteratorINS0_17counting_iteratorImlEEZNS1_24adjacent_difference_implIS3_Lb1ELb0EPlSB_ZN2at6native12_GLOBAL__N_124unique_dim_cuda_templateIsEESt5tupleIJNSC_6TensorESH_SH_EERKSH_lbbbEUlllE1_EE10hipError_tPvRmT2_T3_mT4_P12ihipStream_tbEUlmE_lEESB_NS0_8identityIvEEEESM_SP_SQ_mSR_ST_bEUlT_E_NS1_11comp_targetILNS1_3genE8ELNS1_11target_archE1030ELNS1_3gpuE2ELNS1_3repE0EEENS1_30default_config_static_selectorELNS0_4arch9wavefront6targetE0EEEvT1_.num_named_barrier, 0
	.set _ZN7rocprim17ROCPRIM_400000_NS6detail17trampoline_kernelINS0_14default_configENS1_25transform_config_selectorIlLb0EEEZNS1_14transform_implILb0ES3_S5_NS0_18transform_iteratorINS0_17counting_iteratorImlEEZNS1_24adjacent_difference_implIS3_Lb1ELb0EPlSB_ZN2at6native12_GLOBAL__N_124unique_dim_cuda_templateIsEESt5tupleIJNSC_6TensorESH_SH_EERKSH_lbbbEUlllE1_EE10hipError_tPvRmT2_T3_mT4_P12ihipStream_tbEUlmE_lEESB_NS0_8identityIvEEEESM_SP_SQ_mSR_ST_bEUlT_E_NS1_11comp_targetILNS1_3genE8ELNS1_11target_archE1030ELNS1_3gpuE2ELNS1_3repE0EEENS1_30default_config_static_selectorELNS0_4arch9wavefront6targetE0EEEvT1_.private_seg_size, 0
	.set _ZN7rocprim17ROCPRIM_400000_NS6detail17trampoline_kernelINS0_14default_configENS1_25transform_config_selectorIlLb0EEEZNS1_14transform_implILb0ES3_S5_NS0_18transform_iteratorINS0_17counting_iteratorImlEEZNS1_24adjacent_difference_implIS3_Lb1ELb0EPlSB_ZN2at6native12_GLOBAL__N_124unique_dim_cuda_templateIsEESt5tupleIJNSC_6TensorESH_SH_EERKSH_lbbbEUlllE1_EE10hipError_tPvRmT2_T3_mT4_P12ihipStream_tbEUlmE_lEESB_NS0_8identityIvEEEESM_SP_SQ_mSR_ST_bEUlT_E_NS1_11comp_targetILNS1_3genE8ELNS1_11target_archE1030ELNS1_3gpuE2ELNS1_3repE0EEENS1_30default_config_static_selectorELNS0_4arch9wavefront6targetE0EEEvT1_.uses_vcc, 0
	.set _ZN7rocprim17ROCPRIM_400000_NS6detail17trampoline_kernelINS0_14default_configENS1_25transform_config_selectorIlLb0EEEZNS1_14transform_implILb0ES3_S5_NS0_18transform_iteratorINS0_17counting_iteratorImlEEZNS1_24adjacent_difference_implIS3_Lb1ELb0EPlSB_ZN2at6native12_GLOBAL__N_124unique_dim_cuda_templateIsEESt5tupleIJNSC_6TensorESH_SH_EERKSH_lbbbEUlllE1_EE10hipError_tPvRmT2_T3_mT4_P12ihipStream_tbEUlmE_lEESB_NS0_8identityIvEEEESM_SP_SQ_mSR_ST_bEUlT_E_NS1_11comp_targetILNS1_3genE8ELNS1_11target_archE1030ELNS1_3gpuE2ELNS1_3repE0EEENS1_30default_config_static_selectorELNS0_4arch9wavefront6targetE0EEEvT1_.uses_flat_scratch, 0
	.set _ZN7rocprim17ROCPRIM_400000_NS6detail17trampoline_kernelINS0_14default_configENS1_25transform_config_selectorIlLb0EEEZNS1_14transform_implILb0ES3_S5_NS0_18transform_iteratorINS0_17counting_iteratorImlEEZNS1_24adjacent_difference_implIS3_Lb1ELb0EPlSB_ZN2at6native12_GLOBAL__N_124unique_dim_cuda_templateIsEESt5tupleIJNSC_6TensorESH_SH_EERKSH_lbbbEUlllE1_EE10hipError_tPvRmT2_T3_mT4_P12ihipStream_tbEUlmE_lEESB_NS0_8identityIvEEEESM_SP_SQ_mSR_ST_bEUlT_E_NS1_11comp_targetILNS1_3genE8ELNS1_11target_archE1030ELNS1_3gpuE2ELNS1_3repE0EEENS1_30default_config_static_selectorELNS0_4arch9wavefront6targetE0EEEvT1_.has_dyn_sized_stack, 0
	.set _ZN7rocprim17ROCPRIM_400000_NS6detail17trampoline_kernelINS0_14default_configENS1_25transform_config_selectorIlLb0EEEZNS1_14transform_implILb0ES3_S5_NS0_18transform_iteratorINS0_17counting_iteratorImlEEZNS1_24adjacent_difference_implIS3_Lb1ELb0EPlSB_ZN2at6native12_GLOBAL__N_124unique_dim_cuda_templateIsEESt5tupleIJNSC_6TensorESH_SH_EERKSH_lbbbEUlllE1_EE10hipError_tPvRmT2_T3_mT4_P12ihipStream_tbEUlmE_lEESB_NS0_8identityIvEEEESM_SP_SQ_mSR_ST_bEUlT_E_NS1_11comp_targetILNS1_3genE8ELNS1_11target_archE1030ELNS1_3gpuE2ELNS1_3repE0EEENS1_30default_config_static_selectorELNS0_4arch9wavefront6targetE0EEEvT1_.has_recursion, 0
	.set _ZN7rocprim17ROCPRIM_400000_NS6detail17trampoline_kernelINS0_14default_configENS1_25transform_config_selectorIlLb0EEEZNS1_14transform_implILb0ES3_S5_NS0_18transform_iteratorINS0_17counting_iteratorImlEEZNS1_24adjacent_difference_implIS3_Lb1ELb0EPlSB_ZN2at6native12_GLOBAL__N_124unique_dim_cuda_templateIsEESt5tupleIJNSC_6TensorESH_SH_EERKSH_lbbbEUlllE1_EE10hipError_tPvRmT2_T3_mT4_P12ihipStream_tbEUlmE_lEESB_NS0_8identityIvEEEESM_SP_SQ_mSR_ST_bEUlT_E_NS1_11comp_targetILNS1_3genE8ELNS1_11target_archE1030ELNS1_3gpuE2ELNS1_3repE0EEENS1_30default_config_static_selectorELNS0_4arch9wavefront6targetE0EEEvT1_.has_indirect_call, 0
	.section	.AMDGPU.csdata,"",@progbits
; Kernel info:
; codeLenInByte = 0
; TotalNumSgprs: 0
; NumVgprs: 0
; ScratchSize: 0
; MemoryBound: 0
; FloatMode: 240
; IeeeMode: 1
; LDSByteSize: 0 bytes/workgroup (compile time only)
; SGPRBlocks: 0
; VGPRBlocks: 0
; NumSGPRsForWavesPerEU: 1
; NumVGPRsForWavesPerEU: 1
; NamedBarCnt: 0
; Occupancy: 16
; WaveLimiterHint : 0
; COMPUTE_PGM_RSRC2:SCRATCH_EN: 0
; COMPUTE_PGM_RSRC2:USER_SGPR: 2
; COMPUTE_PGM_RSRC2:TRAP_HANDLER: 0
; COMPUTE_PGM_RSRC2:TGID_X_EN: 1
; COMPUTE_PGM_RSRC2:TGID_Y_EN: 0
; COMPUTE_PGM_RSRC2:TGID_Z_EN: 0
; COMPUTE_PGM_RSRC2:TIDIG_COMP_CNT: 0
	.section	.text._ZN7rocprim17ROCPRIM_400000_NS6detail17trampoline_kernelINS0_14default_configENS1_35adjacent_difference_config_selectorILb1ElEEZNS1_24adjacent_difference_implIS3_Lb1ELb0EPlS7_ZN2at6native12_GLOBAL__N_124unique_dim_cuda_templateIsEESt5tupleIJNS8_6TensorESD_SD_EERKSD_lbbbEUlllE1_EE10hipError_tPvRmT2_T3_mT4_P12ihipStream_tbEUlT_E_NS1_11comp_targetILNS1_3genE0ELNS1_11target_archE4294967295ELNS1_3gpuE0ELNS1_3repE0EEENS1_30default_config_static_selectorELNS0_4arch9wavefront6targetE0EEEvT1_,"axG",@progbits,_ZN7rocprim17ROCPRIM_400000_NS6detail17trampoline_kernelINS0_14default_configENS1_35adjacent_difference_config_selectorILb1ElEEZNS1_24adjacent_difference_implIS3_Lb1ELb0EPlS7_ZN2at6native12_GLOBAL__N_124unique_dim_cuda_templateIsEESt5tupleIJNS8_6TensorESD_SD_EERKSD_lbbbEUlllE1_EE10hipError_tPvRmT2_T3_mT4_P12ihipStream_tbEUlT_E_NS1_11comp_targetILNS1_3genE0ELNS1_11target_archE4294967295ELNS1_3gpuE0ELNS1_3repE0EEENS1_30default_config_static_selectorELNS0_4arch9wavefront6targetE0EEEvT1_,comdat
	.globl	_ZN7rocprim17ROCPRIM_400000_NS6detail17trampoline_kernelINS0_14default_configENS1_35adjacent_difference_config_selectorILb1ElEEZNS1_24adjacent_difference_implIS3_Lb1ELb0EPlS7_ZN2at6native12_GLOBAL__N_124unique_dim_cuda_templateIsEESt5tupleIJNS8_6TensorESD_SD_EERKSD_lbbbEUlllE1_EE10hipError_tPvRmT2_T3_mT4_P12ihipStream_tbEUlT_E_NS1_11comp_targetILNS1_3genE0ELNS1_11target_archE4294967295ELNS1_3gpuE0ELNS1_3repE0EEENS1_30default_config_static_selectorELNS0_4arch9wavefront6targetE0EEEvT1_ ; -- Begin function _ZN7rocprim17ROCPRIM_400000_NS6detail17trampoline_kernelINS0_14default_configENS1_35adjacent_difference_config_selectorILb1ElEEZNS1_24adjacent_difference_implIS3_Lb1ELb0EPlS7_ZN2at6native12_GLOBAL__N_124unique_dim_cuda_templateIsEESt5tupleIJNS8_6TensorESD_SD_EERKSD_lbbbEUlllE1_EE10hipError_tPvRmT2_T3_mT4_P12ihipStream_tbEUlT_E_NS1_11comp_targetILNS1_3genE0ELNS1_11target_archE4294967295ELNS1_3gpuE0ELNS1_3repE0EEENS1_30default_config_static_selectorELNS0_4arch9wavefront6targetE0EEEvT1_
	.p2align	8
	.type	_ZN7rocprim17ROCPRIM_400000_NS6detail17trampoline_kernelINS0_14default_configENS1_35adjacent_difference_config_selectorILb1ElEEZNS1_24adjacent_difference_implIS3_Lb1ELb0EPlS7_ZN2at6native12_GLOBAL__N_124unique_dim_cuda_templateIsEESt5tupleIJNS8_6TensorESD_SD_EERKSD_lbbbEUlllE1_EE10hipError_tPvRmT2_T3_mT4_P12ihipStream_tbEUlT_E_NS1_11comp_targetILNS1_3genE0ELNS1_11target_archE4294967295ELNS1_3gpuE0ELNS1_3repE0EEENS1_30default_config_static_selectorELNS0_4arch9wavefront6targetE0EEEvT1_,@function
_ZN7rocprim17ROCPRIM_400000_NS6detail17trampoline_kernelINS0_14default_configENS1_35adjacent_difference_config_selectorILb1ElEEZNS1_24adjacent_difference_implIS3_Lb1ELb0EPlS7_ZN2at6native12_GLOBAL__N_124unique_dim_cuda_templateIsEESt5tupleIJNS8_6TensorESD_SD_EERKSD_lbbbEUlllE1_EE10hipError_tPvRmT2_T3_mT4_P12ihipStream_tbEUlT_E_NS1_11comp_targetILNS1_3genE0ELNS1_11target_archE4294967295ELNS1_3gpuE0ELNS1_3repE0EEENS1_30default_config_static_selectorELNS0_4arch9wavefront6targetE0EEEvT1_: ; @_ZN7rocprim17ROCPRIM_400000_NS6detail17trampoline_kernelINS0_14default_configENS1_35adjacent_difference_config_selectorILb1ElEEZNS1_24adjacent_difference_implIS3_Lb1ELb0EPlS7_ZN2at6native12_GLOBAL__N_124unique_dim_cuda_templateIsEESt5tupleIJNS8_6TensorESD_SD_EERKSD_lbbbEUlllE1_EE10hipError_tPvRmT2_T3_mT4_P12ihipStream_tbEUlT_E_NS1_11comp_targetILNS1_3genE0ELNS1_11target_archE4294967295ELNS1_3gpuE0ELNS1_3repE0EEENS1_30default_config_static_selectorELNS0_4arch9wavefront6targetE0EEEvT1_
; %bb.0:
	s_load_b512 s[4:19], s[0:1], 0x0
	s_wait_xcnt 0x0
	s_bfe_u32 s0, ttmp6, 0x4000c
	s_and_b32 s1, ttmp6, 15
	s_add_co_i32 s0, s0, 1
	s_getreg_b32 s2, hwreg(HW_REG_IB_STS2, 6, 4)
	s_mul_i32 s0, ttmp9, s0
	s_mov_b32 s25, 0
	s_add_co_i32 s1, s1, s0
	s_wait_kmcnt 0x0
	s_lshl_b64 s[20:21], s[6:7], 3
	s_cmp_eq_u32 s2, 0
	s_add_nc_u64 s[4:5], s[4:5], s[20:21]
	s_cselect_b32 s3, ttmp9, s1
	s_and_b64 s[6:7], s[10:11], 0x3ff
	s_lshr_b64 s[0:1], s[10:11], 10
	s_lshl_b32 s2, s3, 10
	s_cmp_lg_u64 s[6:7], 0
	s_cselect_b32 s6, -1, 0
	s_delay_alu instid0(SALU_CYCLE_1) | instskip(NEXT) | instid1(VALU_DEP_1)
	v_cndmask_b32_e64 v1, 0, 1, s6
	v_readfirstlane_b32 s24, v1
	s_add_nc_u64 s[0:1], s[0:1], s[24:25]
	s_mov_b32 s24, s3
	s_add_nc_u64 s[6:7], s[0:1], -1
	s_add_nc_u64 s[22:23], s[18:19], s[24:25]
	s_mov_b32 s3, -1
	v_cmp_ge_u64_e64 s11, s[22:23], s[6:7]
	s_and_b32 vcc_lo, exec_lo, s11
	s_cbranch_vccz .LBB677_6
; %bb.1:
	v_mov_b32_e32 v2, 0
	s_lshl_b32 s3, s6, 10
	s_delay_alu instid0(SALU_CYCLE_1) | instskip(SKIP_1) | instid1(VALU_DEP_1)
	s_sub_co_i32 s28, s10, s3
	s_mov_b32 s3, s25
	v_dual_mov_b32 v3, v2 :: v_dual_mov_b32 v4, v2
	v_mov_b32_e32 v5, v2
	s_lshl_b64 s[26:27], s[2:3], 3
	s_mov_b32 s3, exec_lo
	s_add_nc_u64 s[26:27], s[4:5], s[26:27]
	v_cmpx_gt_u32_e64 s28, v0
	s_cbranch_execz .LBB677_3
; %bb.2:
	global_load_b64 v[4:5], v0, s[26:27] scale_offset
	v_dual_mov_b32 v6, v2 :: v_dual_mov_b32 v7, v2
	s_wait_loadcnt 0x0
	v_mov_b64_e32 v[2:3], v[4:5]
	s_delay_alu instid0(VALU_DEP_2)
	v_mov_b64_e32 v[4:5], v[6:7]
.LBB677_3:
	s_or_b32 exec_lo, exec_lo, s3
	v_or_b32_e32 v1, 0x200, v0
	s_mov_b32 s3, exec_lo
	s_delay_alu instid0(VALU_DEP_1)
	v_cmpx_gt_u32_e64 s28, v1
	s_cbranch_execz .LBB677_5
; %bb.4:
	global_load_b64 v[4:5], v0, s[26:27] offset:4096 scale_offset
.LBB677_5:
	s_wait_xcnt 0x0
	s_or_b32 exec_lo, exec_lo, s3
	v_dual_lshrrev_b32 v6, 2, v0 :: v_dual_lshrrev_b32 v1, 2, v1
	v_lshlrev_b32_e32 v7, 3, v0
	s_mov_b32 s3, 0
	s_delay_alu instid0(VALU_DEP_2) | instskip(NEXT) | instid1(VALU_DEP_3)
	v_and_b32_e32 v6, 0x78, v6
	v_and_b32_e32 v1, 0xf8, v1
	s_delay_alu instid0(VALU_DEP_1)
	v_dual_add_nc_u32 v6, v6, v7 :: v_dual_add_nc_u32 v1, v1, v7
	ds_store_b64 v6, v[2:3]
	s_wait_loadcnt 0x0
	ds_store_b64 v1, v[4:5] offset:4096
	s_wait_dscnt 0x0
	s_barrier_signal -1
	s_barrier_wait -1
.LBB677_6:
	s_and_b32 vcc_lo, exec_lo, s3
	s_cbranch_vccz .LBB677_8
; %bb.7:
	s_mov_b32 s3, 0
	v_or_b32_e32 v1, 0x200, v0
	s_lshl_b64 s[26:27], s[2:3], 3
	v_lshrrev_b32_e32 v6, 2, v0
	s_add_nc_u64 s[4:5], s[4:5], s[26:27]
	v_lshlrev_b32_e32 v7, 3, v0
	s_clause 0x1
	global_load_b64 v[2:3], v0, s[4:5] scale_offset
	global_load_b64 v[4:5], v0, s[4:5] offset:4096 scale_offset
	v_lshrrev_b32_e32 v1, 2, v1
	v_and_b32_e32 v6, 0x78, v6
	s_delay_alu instid0(VALU_DEP_2) | instskip(NEXT) | instid1(VALU_DEP_1)
	v_and_b32_e32 v1, 0xf8, v1
	v_dual_add_nc_u32 v6, v6, v7 :: v_dual_add_nc_u32 v1, v1, v7
	s_wait_loadcnt 0x1
	ds_store_b64 v6, v[2:3]
	s_wait_loadcnt 0x0
	ds_store_b64 v1, v[4:5] offset:4096
	s_wait_dscnt 0x0
	s_barrier_signal -1
	s_barrier_wait -1
.LBB677_8:
	v_lshrrev_b32_e32 v1, 1, v0
	s_cmp_eq_u64 s[22:23], 0
	s_delay_alu instid0(VALU_DEP_1) | instskip(NEXT) | instid1(VALU_DEP_1)
	v_and_b32_e32 v1, 0xf8, v1
	v_lshl_add_u32 v1, v0, 4, v1
	ds_load_2addr_b64 v[2:5], v1 offset1:1
	s_wait_dscnt 0x0
	s_barrier_signal -1
	s_barrier_wait -1
	s_cbranch_scc1 .LBB677_15
; %bb.9:
	s_lshl_b64 s[4:5], s[18:19], 3
	s_delay_alu instid0(SALU_CYCLE_1) | instskip(SKIP_3) | instid1(SALU_CYCLE_1)
	s_add_nc_u64 s[4:5], s[16:17], s[4:5]
	s_lshl_b64 s[16:17], s[24:25], 3
	s_cmp_eq_u64 s[22:23], s[6:7]
	s_add_nc_u64 s[4:5], s[4:5], s[16:17]
	s_add_nc_u64 s[4:5], s[4:5], -8
	s_load_b64 s[4:5], s[4:5], 0x0
	s_cbranch_scc1 .LBB677_16
; %bb.10:
	v_cmp_lt_i64_e64 s7, s[12:13], 1
	v_mov_b64_e32 v[8:9], 0
	v_cmp_gt_i64_e64 s3, s[12:13], 0
	v_lshlrev_b32_e32 v12, 3, v0
	s_and_b32 vcc_lo, exec_lo, s7
	ds_store_b64 v12, v[4:5]
	s_cbranch_vccnz .LBB677_18
; %bb.11:
	v_mul_u64_e32 v[6:7], s[12:13], v[4:5]
	v_mul_u64_e32 v[8:9], s[12:13], v[2:3]
	s_mov_b32 s7, 0
	s_mov_b64 s[16:17], s[12:13]
                                        ; implicit-def: $sgpr18
	s_delay_alu instid0(VALU_DEP_2) | instskip(NEXT) | instid1(VALU_DEP_2)
	v_lshl_add_u64 v[6:7], v[6:7], 1, s[14:15]
	v_lshl_add_u64 v[10:11], v[8:9], 1, s[14:15]
	s_branch .LBB677_13
.LBB677_12:                             ;   in Loop: Header=BB677_13 Depth=1
	s_or_b32 exec_lo, exec_lo, s19
	s_delay_alu instid0(SALU_CYCLE_1) | instskip(NEXT) | instid1(SALU_CYCLE_1)
	s_and_b32 s19, exec_lo, s18
	s_or_b32 s7, s19, s7
	s_delay_alu instid0(SALU_CYCLE_1)
	s_and_not1_b32 exec_lo, exec_lo, s7
	s_cbranch_execz .LBB677_17
.LBB677_13:                             ; =>This Inner Loop Header: Depth=1
	global_load_u16 v13, v[6:7], off
	global_load_u16 v14, v[10:11], off
	v_mov_b64_e32 v[8:9], 1
	s_or_b32 s18, s18, exec_lo
	s_mov_b32 s19, exec_lo
	s_wait_loadcnt 0x0
	v_cmpx_eq_u16_e64 v13, v14
	s_cbranch_execz .LBB677_12
; %bb.14:                               ;   in Loop: Header=BB677_13 Depth=1
	s_add_nc_u64 s[16:17], s[16:17], -1
	v_add_nc_u64_e32 v[6:7], 2, v[6:7]
	s_cmp_eq_u64 s[16:17], 0
	v_add_nc_u64_e32 v[10:11], 2, v[10:11]
	v_mov_b64_e32 v[8:9], 0
	s_cselect_b32 s23, -1, 0
	s_and_not1_b32 s18, s18, exec_lo
	s_and_b32 s23, s23, exec_lo
	s_delay_alu instid0(SALU_CYCLE_1)
	s_or_b32 s18, s18, s23
	s_branch .LBB677_12
.LBB677_15:
                                        ; implicit-def: $vgpr8_vgpr9
                                        ; implicit-def: $vgpr6_vgpr7
	s_branch .LBB677_47
.LBB677_16:
                                        ; implicit-def: $vgpr8_vgpr9
                                        ; implicit-def: $vgpr6_vgpr7
	s_cbranch_execnz .LBB677_27
	s_branch .LBB677_46
.LBB677_17:
	s_or_b32 exec_lo, exec_lo, s7
.LBB677_18:
	s_wait_kmcnt 0x0
	v_mov_b64_e32 v[6:7], s[4:5]
	s_mov_b32 s7, exec_lo
	s_wait_dscnt 0x0
	s_barrier_signal -1
	s_barrier_wait -1
	v_cmpx_ne_u32_e32 0, v0
; %bb.19:
	v_add_nc_u32_e32 v6, -8, v12
	ds_load_b64 v[6:7], v6
; %bb.20:
	s_or_b32 exec_lo, exec_lo, s7
	s_delay_alu instid0(SALU_CYCLE_1)
	s_and_not1_b32 vcc_lo, exec_lo, s3
	s_cbranch_vccnz .LBB677_26
; %bb.21:
	v_mul_u64_e32 v[10:11], s[12:13], v[2:3]
	s_wait_dscnt 0x0
	v_mul_u64_e32 v[6:7], s[12:13], v[6:7]
	s_mov_b32 s3, 0
	s_mov_b64 s[16:17], s[12:13]
                                        ; implicit-def: $sgpr7
	s_delay_alu instid0(VALU_DEP_2) | instskip(NEXT) | instid1(VALU_DEP_2)
	v_lshl_add_u64 v[10:11], v[10:11], 1, s[14:15]
	v_lshl_add_u64 v[12:13], v[6:7], 1, s[14:15]
	s_branch .LBB677_23
.LBB677_22:                             ;   in Loop: Header=BB677_23 Depth=1
	s_or_b32 exec_lo, exec_lo, s18
	s_delay_alu instid0(SALU_CYCLE_1) | instskip(NEXT) | instid1(SALU_CYCLE_1)
	s_and_b32 s18, exec_lo, s7
	s_or_b32 s3, s18, s3
	s_delay_alu instid0(SALU_CYCLE_1)
	s_and_not1_b32 exec_lo, exec_lo, s3
	s_cbranch_execz .LBB677_25
.LBB677_23:                             ; =>This Inner Loop Header: Depth=1
	global_load_u16 v14, v[10:11], off
	global_load_u16 v15, v[12:13], off
	v_mov_b64_e32 v[6:7], 1
	s_or_b32 s7, s7, exec_lo
	s_mov_b32 s18, exec_lo
	s_wait_loadcnt 0x0
	v_cmpx_eq_u16_e64 v14, v15
	s_cbranch_execz .LBB677_22
; %bb.24:                               ;   in Loop: Header=BB677_23 Depth=1
	s_add_nc_u64 s[16:17], s[16:17], -1
	v_add_nc_u64_e32 v[10:11], 2, v[10:11]
	s_cmp_eq_u64 s[16:17], 0
	v_add_nc_u64_e32 v[12:13], 2, v[12:13]
	v_mov_b64_e32 v[6:7], 0
	s_cselect_b32 s19, -1, 0
	s_and_not1_b32 s7, s7, exec_lo
	s_and_b32 s19, s19, exec_lo
	s_delay_alu instid0(SALU_CYCLE_1)
	s_or_b32 s7, s7, s19
	s_branch .LBB677_22
.LBB677_25:
	s_or_b32 exec_lo, exec_lo, s3
	s_branch .LBB677_46
.LBB677_26:
	s_wait_dscnt 0x0
	v_mov_b64_e32 v[6:7], 0
	s_branch .LBB677_46
.LBB677_27:
	v_dual_lshlrev_b32 v12, 1, v0 :: v_dual_lshlrev_b32 v13, 3, v0
	v_mov_b64_e32 v[8:9], v[4:5]
	s_lshl_b32 s3, s22, 10
	s_mov_b32 s7, exec_lo
	s_delay_alu instid0(VALU_DEP_2)
	v_or_b32_e32 v10, 1, v12
	s_sub_co_i32 s3, s10, s3
	v_mov_b64_e32 v[6:7], v[2:3]
	ds_store_b64 v13, v[4:5]
	v_cmpx_gt_u32_e64 s3, v10
	s_cbranch_execz .LBB677_35
; %bb.28:
	v_cmp_lt_i64_e64 s16, s[12:13], 1
	s_and_b32 vcc_lo, exec_lo, s16
	s_cbranch_vccnz .LBB677_34
; %bb.29:
	v_mul_u64_e32 v[6:7], s[12:13], v[4:5]
	v_mul_u64_e32 v[8:9], s[12:13], v[2:3]
	s_mov_b32 s18, 0
	s_mov_b64 s[16:17], s[12:13]
                                        ; implicit-def: $sgpr19
	s_delay_alu instid0(VALU_DEP_2) | instskip(NEXT) | instid1(VALU_DEP_2)
	v_lshl_add_u64 v[6:7], v[6:7], 1, s[14:15]
	v_lshl_add_u64 v[10:11], v[8:9], 1, s[14:15]
	s_branch .LBB677_31
.LBB677_30:                             ;   in Loop: Header=BB677_31 Depth=1
	s_or_b32 exec_lo, exec_lo, s22
	s_delay_alu instid0(SALU_CYCLE_1) | instskip(NEXT) | instid1(SALU_CYCLE_1)
	s_and_b32 s22, exec_lo, s19
	s_or_b32 s18, s22, s18
	s_delay_alu instid0(SALU_CYCLE_1)
	s_and_not1_b32 exec_lo, exec_lo, s18
	s_cbranch_execz .LBB677_33
.LBB677_31:                             ; =>This Inner Loop Header: Depth=1
	global_load_u16 v14, v[6:7], off
	global_load_u16 v15, v[10:11], off
	v_mov_b64_e32 v[8:9], 1
	s_or_b32 s19, s19, exec_lo
	s_mov_b32 s22, exec_lo
	s_wait_loadcnt 0x0
	v_cmpx_eq_u16_e64 v14, v15
	s_cbranch_execz .LBB677_30
; %bb.32:                               ;   in Loop: Header=BB677_31 Depth=1
	s_add_nc_u64 s[16:17], s[16:17], -1
	v_add_nc_u64_e32 v[6:7], 2, v[6:7]
	s_cmp_eq_u64 s[16:17], 0
	v_add_nc_u64_e32 v[10:11], 2, v[10:11]
	s_cselect_b32 s23, -1, 0
	s_and_not1_b32 s19, s19, exec_lo
	s_and_b32 s23, s23, exec_lo
	v_mov_b64_e32 v[8:9], 0
	s_or_b32 s19, s19, s23
	s_branch .LBB677_30
.LBB677_33:
	s_or_b32 exec_lo, exec_lo, s18
	s_branch .LBB677_35
.LBB677_34:
	v_mov_b64_e32 v[8:9], 0
.LBB677_35:
	s_or_b32 exec_lo, exec_lo, s7
	s_wait_kmcnt 0x0
	v_mov_b64_e32 v[10:11], s[4:5]
	s_mov_b32 s4, exec_lo
	s_wait_dscnt 0x0
	s_barrier_signal -1
	s_barrier_wait -1
	v_cmpx_ne_u32_e32 0, v0
; %bb.36:
	v_add_nc_u32_e32 v6, -8, v13
	ds_load_b64 v[10:11], v6
; %bb.37:
	s_or_b32 exec_lo, exec_lo, s4
	v_mov_b64_e32 v[6:7], v[2:3]
	v_cmp_gt_u32_e32 vcc_lo, s3, v12
	s_and_saveexec_b32 s3, vcc_lo
	s_cbranch_execz .LBB677_45
; %bb.38:
	v_cmp_lt_i64_e64 s4, s[12:13], 1
	s_and_b32 vcc_lo, exec_lo, s4
	s_cbranch_vccnz .LBB677_44
; %bb.39:
	v_mul_u64_e32 v[6:7], s[12:13], v[2:3]
	s_wait_dscnt 0x0
	v_mul_u64_e32 v[12:13], s[12:13], v[10:11]
	s_mov_b32 s7, 0
	s_mov_b64 s[4:5], s[12:13]
                                        ; implicit-def: $sgpr16
	s_delay_alu instid0(VALU_DEP_2) | instskip(NEXT) | instid1(VALU_DEP_2)
	v_lshl_add_u64 v[10:11], v[6:7], 1, s[14:15]
	v_lshl_add_u64 v[12:13], v[12:13], 1, s[14:15]
	s_branch .LBB677_41
.LBB677_40:                             ;   in Loop: Header=BB677_41 Depth=1
	s_or_b32 exec_lo, exec_lo, s17
	s_delay_alu instid0(SALU_CYCLE_1) | instskip(NEXT) | instid1(SALU_CYCLE_1)
	s_and_b32 s17, exec_lo, s16
	s_or_b32 s7, s17, s7
	s_delay_alu instid0(SALU_CYCLE_1)
	s_and_not1_b32 exec_lo, exec_lo, s7
	s_cbranch_execz .LBB677_43
.LBB677_41:                             ; =>This Inner Loop Header: Depth=1
	global_load_u16 v14, v[10:11], off
	global_load_u16 v15, v[12:13], off
	v_mov_b64_e32 v[6:7], 1
	s_or_b32 s16, s16, exec_lo
	s_mov_b32 s17, exec_lo
	s_wait_loadcnt 0x0
	v_cmpx_eq_u16_e64 v14, v15
	s_cbranch_execz .LBB677_40
; %bb.42:                               ;   in Loop: Header=BB677_41 Depth=1
	s_add_nc_u64 s[4:5], s[4:5], -1
	v_add_nc_u64_e32 v[10:11], 2, v[10:11]
	s_cmp_eq_u64 s[4:5], 0
	v_add_nc_u64_e32 v[12:13], 2, v[12:13]
	v_mov_b64_e32 v[6:7], 0
	s_cselect_b32 s18, -1, 0
	s_and_not1_b32 s16, s16, exec_lo
	s_and_b32 s18, s18, exec_lo
	s_delay_alu instid0(SALU_CYCLE_1)
	s_or_b32 s16, s16, s18
	s_branch .LBB677_40
.LBB677_43:
	s_or_b32 exec_lo, exec_lo, s7
	s_branch .LBB677_45
.LBB677_44:
	v_mov_b64_e32 v[6:7], 0
.LBB677_45:
	s_or_b32 exec_lo, exec_lo, s3
.LBB677_46:
	s_cbranch_execnz .LBB677_81
.LBB677_47:
	s_cmp_eq_u64 s[0:1], 1
	s_cbranch_scc1 .LBB677_53
; %bb.48:
	v_cmp_lt_i64_e64 s0, s[12:13], 1
	v_mov_b64_e32 v[8:9], 0
	s_wait_kmcnt 0x0
	v_cmp_gt_i64_e64 s4, s[12:13], 0
	v_lshlrev_b32_e32 v12, 3, v0
	s_and_b32 vcc_lo, exec_lo, s0
	ds_store_b64 v12, v[4:5]
	s_cbranch_vccnz .LBB677_55
; %bb.49:
	v_mul_u64_e32 v[6:7], s[12:13], v[4:5]
	v_mul_u64_e32 v[8:9], s[12:13], v[2:3]
	s_mov_b32 s3, 0
	s_mov_b64 s[0:1], s[12:13]
                                        ; implicit-def: $sgpr5
	s_delay_alu instid0(VALU_DEP_2) | instskip(SKIP_1) | instid1(VALU_DEP_2)
	v_lshl_add_u64 v[6:7], v[6:7], 1, s[14:15]
	s_wait_dscnt 0x1
	v_lshl_add_u64 v[10:11], v[8:9], 1, s[14:15]
	s_branch .LBB677_51
.LBB677_50:                             ;   in Loop: Header=BB677_51 Depth=1
	s_or_b32 exec_lo, exec_lo, s7
	s_delay_alu instid0(SALU_CYCLE_1) | instskip(NEXT) | instid1(SALU_CYCLE_1)
	s_and_b32 s7, exec_lo, s5
	s_or_b32 s3, s7, s3
	s_delay_alu instid0(SALU_CYCLE_1)
	s_and_not1_b32 exec_lo, exec_lo, s3
	s_cbranch_execz .LBB677_54
.LBB677_51:                             ; =>This Inner Loop Header: Depth=1
	global_load_u16 v13, v[6:7], off
	global_load_u16 v14, v[10:11], off
	v_mov_b64_e32 v[8:9], 1
	s_or_b32 s5, s5, exec_lo
	s_mov_b32 s7, exec_lo
	s_wait_loadcnt 0x0
	v_cmpx_eq_u16_e64 v13, v14
	s_cbranch_execz .LBB677_50
; %bb.52:                               ;   in Loop: Header=BB677_51 Depth=1
	s_add_nc_u64 s[0:1], s[0:1], -1
	v_add_nc_u64_e32 v[6:7], 2, v[6:7]
	s_cmp_eq_u64 s[0:1], 0
	v_add_nc_u64_e32 v[10:11], 2, v[10:11]
	v_mov_b64_e32 v[8:9], 0
	s_cselect_b32 s16, -1, 0
	s_and_not1_b32 s5, s5, exec_lo
	s_and_b32 s16, s16, exec_lo
	s_delay_alu instid0(SALU_CYCLE_1)
	s_or_b32 s5, s5, s16
	s_branch .LBB677_50
.LBB677_53:
                                        ; implicit-def: $vgpr8_vgpr9
                                        ; implicit-def: $vgpr6_vgpr7
	s_cbranch_execnz .LBB677_63
	s_branch .LBB677_81
.LBB677_54:
	s_or_b32 exec_lo, exec_lo, s3
.LBB677_55:
	v_mov_b64_e32 v[6:7], v[2:3]
	s_mov_b32 s3, 0
	s_mov_b32 s5, exec_lo
	s_wait_dscnt 0x0
	s_barrier_signal -1
	s_barrier_wait -1
	v_cmpx_ne_u32_e32 0, v0
	s_cbranch_execz .LBB677_62
; %bb.56:
	s_and_not1_b32 vcc_lo, exec_lo, s4
	s_cbranch_vccnz .LBB677_70
; %bb.57:
	v_add_nc_u32_e32 v6, -8, v12
	v_mul_u64_e32 v[10:11], s[12:13], v[2:3]
	s_mov_b32 s4, 0
	s_mov_b64 s[0:1], s[12:13]
                                        ; implicit-def: $sgpr7
	ds_load_b64 v[6:7], v6
	s_wait_dscnt 0x0
	v_mul_u64_e32 v[6:7], s[12:13], v[6:7]
	v_lshl_add_u64 v[10:11], v[10:11], 1, s[14:15]
	s_delay_alu instid0(VALU_DEP_2)
	v_lshl_add_u64 v[12:13], v[6:7], 1, s[14:15]
	s_branch .LBB677_59
.LBB677_58:                             ;   in Loop: Header=BB677_59 Depth=1
	s_or_b32 exec_lo, exec_lo, s16
	s_delay_alu instid0(SALU_CYCLE_1) | instskip(NEXT) | instid1(SALU_CYCLE_1)
	s_and_b32 s16, exec_lo, s7
	s_or_b32 s4, s16, s4
	s_delay_alu instid0(SALU_CYCLE_1)
	s_and_not1_b32 exec_lo, exec_lo, s4
	s_cbranch_execz .LBB677_61
.LBB677_59:                             ; =>This Inner Loop Header: Depth=1
	global_load_u16 v14, v[10:11], off
	global_load_u16 v15, v[12:13], off
	v_mov_b64_e32 v[6:7], 1
	s_or_b32 s7, s7, exec_lo
	s_mov_b32 s16, exec_lo
	s_wait_loadcnt 0x0
	v_cmpx_eq_u16_e64 v14, v15
	s_cbranch_execz .LBB677_58
; %bb.60:                               ;   in Loop: Header=BB677_59 Depth=1
	s_add_nc_u64 s[0:1], s[0:1], -1
	v_add_nc_u64_e32 v[10:11], 2, v[10:11]
	s_cmp_eq_u64 s[0:1], 0
	v_add_nc_u64_e32 v[12:13], 2, v[12:13]
	v_mov_b64_e32 v[6:7], 0
	s_cselect_b32 s17, -1, 0
	s_and_not1_b32 s7, s7, exec_lo
	s_and_b32 s17, s17, exec_lo
	s_delay_alu instid0(SALU_CYCLE_1)
	s_or_b32 s7, s7, s17
	s_branch .LBB677_58
.LBB677_61:
	s_or_b32 exec_lo, exec_lo, s4
.LBB677_62:
	s_delay_alu instid0(SALU_CYCLE_1) | instskip(NEXT) | instid1(SALU_CYCLE_1)
	s_or_b32 exec_lo, exec_lo, s5
	s_and_b32 vcc_lo, exec_lo, s3
	s_cbranch_vccz .LBB677_81
.LBB677_63:
	s_wait_dscnt 0x0
	v_dual_lshlrev_b32 v11, 1, v0 :: v_dual_lshlrev_b32 v10, 3, v0
	v_mov_b64_e32 v[8:9], v[4:5]
	s_mov_b32 s3, exec_lo
	v_mov_b64_e32 v[6:7], v[2:3]
	s_delay_alu instid0(VALU_DEP_3)
	v_or_b32_e32 v12, 1, v11
	ds_store_b64 v10, v[4:5]
	v_cmpx_gt_u32_e64 s10, v12
	s_cbranch_execz .LBB677_72
; %bb.64:
	v_cmp_lt_i64_e64 s0, s[12:13], 1
	s_and_b32 vcc_lo, exec_lo, s0
	s_cbranch_vccnz .LBB677_71
; %bb.65:
	v_mul_u64_e32 v[4:5], s[12:13], v[4:5]
	v_mul_u64_e32 v[6:7], s[12:13], v[2:3]
	s_wait_kmcnt 0x0
	s_mov_b32 s4, 0
	s_mov_b64 s[0:1], s[12:13]
                                        ; implicit-def: $sgpr5
	s_delay_alu instid0(VALU_DEP_2) | instskip(NEXT) | instid1(VALU_DEP_2)
	v_lshl_add_u64 v[4:5], v[4:5], 1, s[14:15]
	v_lshl_add_u64 v[6:7], v[6:7], 1, s[14:15]
	s_branch .LBB677_67
.LBB677_66:                             ;   in Loop: Header=BB677_67 Depth=1
	s_or_b32 exec_lo, exec_lo, s7
	s_delay_alu instid0(SALU_CYCLE_1) | instskip(NEXT) | instid1(SALU_CYCLE_1)
	s_and_b32 s7, exec_lo, s5
	s_or_b32 s4, s7, s4
	s_delay_alu instid0(SALU_CYCLE_1)
	s_and_not1_b32 exec_lo, exec_lo, s4
	s_cbranch_execz .LBB677_69
.LBB677_67:                             ; =>This Inner Loop Header: Depth=1
	global_load_u16 v12, v[4:5], off
	global_load_u16 v13, v[6:7], off
	v_mov_b64_e32 v[8:9], 1
	s_or_b32 s5, s5, exec_lo
	s_mov_b32 s7, exec_lo
	s_wait_loadcnt 0x0
	v_cmpx_eq_u16_e64 v12, v13
	s_cbranch_execz .LBB677_66
; %bb.68:                               ;   in Loop: Header=BB677_67 Depth=1
	s_add_nc_u64 s[0:1], s[0:1], -1
	v_add_nc_u64_e32 v[4:5], 2, v[4:5]
	s_cmp_eq_u64 s[0:1], 0
	v_add_nc_u64_e32 v[6:7], 2, v[6:7]
	s_cselect_b32 s16, -1, 0
	s_and_not1_b32 s5, s5, exec_lo
	s_and_b32 s16, s16, exec_lo
	v_mov_b64_e32 v[8:9], 0
	s_or_b32 s5, s5, s16
	s_branch .LBB677_66
.LBB677_69:
	s_or_b32 exec_lo, exec_lo, s4
	s_branch .LBB677_72
.LBB677_70:
	v_mov_b64_e32 v[6:7], 0
	s_or_b32 exec_lo, exec_lo, s5
	s_delay_alu instid0(SALU_CYCLE_1)
	s_and_b32 vcc_lo, exec_lo, s3
	s_cbranch_vccnz .LBB677_63
	s_branch .LBB677_81
.LBB677_71:
	v_mov_b64_e32 v[8:9], 0
.LBB677_72:
	s_or_b32 exec_lo, exec_lo, s3
	v_cmp_ne_u32_e32 vcc_lo, 0, v0
	v_cmp_gt_u32_e64 s0, s10, v11
	s_wait_dscnt 0x0
	s_barrier_signal -1
	s_barrier_wait -1
	s_and_b32 s1, vcc_lo, s0
	s_delay_alu instid0(SALU_CYCLE_1)
	s_and_saveexec_b32 s0, s1
	s_cbranch_execz .LBB677_80
; %bb.73:
	v_cmp_lt_i64_e64 s1, s[12:13], 1
	s_and_b32 vcc_lo, exec_lo, s1
	s_cbranch_vccnz .LBB677_79
; %bb.74:
	v_add_nc_u32_e32 v4, -8, v10
	v_mul_u64_e32 v[2:3], s[12:13], v[2:3]
	s_mov_b32 s1, 0
                                        ; implicit-def: $sgpr3
	ds_load_b64 v[4:5], v4
	s_wait_dscnt 0x0
	v_mul_u64_e32 v[6:7], s[12:13], v[4:5]
	v_lshl_add_u64 v[4:5], v[2:3], 1, s[14:15]
	s_delay_alu instid0(VALU_DEP_2)
	v_lshl_add_u64 v[6:7], v[6:7], 1, s[14:15]
	s_branch .LBB677_76
.LBB677_75:                             ;   in Loop: Header=BB677_76 Depth=1
	s_or_b32 exec_lo, exec_lo, s4
	s_delay_alu instid0(SALU_CYCLE_1) | instskip(NEXT) | instid1(SALU_CYCLE_1)
	s_and_b32 s4, exec_lo, s3
	s_or_b32 s1, s4, s1
	s_delay_alu instid0(SALU_CYCLE_1)
	s_and_not1_b32 exec_lo, exec_lo, s1
	s_cbranch_execz .LBB677_78
.LBB677_76:                             ; =>This Inner Loop Header: Depth=1
	global_load_u16 v10, v[4:5], off
	global_load_u16 v11, v[6:7], off
	v_mov_b64_e32 v[2:3], 1
	s_or_b32 s3, s3, exec_lo
	s_wait_kmcnt 0x0
	s_mov_b32 s4, exec_lo
	s_wait_loadcnt 0x0
	v_cmpx_eq_u16_e64 v10, v11
	s_cbranch_execz .LBB677_75
; %bb.77:                               ;   in Loop: Header=BB677_76 Depth=1
	s_add_nc_u64 s[12:13], s[12:13], -1
	v_add_nc_u64_e32 v[4:5], 2, v[4:5]
	s_cmp_eq_u64 s[12:13], 0
	v_add_nc_u64_e32 v[6:7], 2, v[6:7]
	v_mov_b64_e32 v[2:3], 0
	s_cselect_b32 s5, -1, 0
	s_and_not1_b32 s3, s3, exec_lo
	s_and_b32 s5, s5, exec_lo
	s_delay_alu instid0(SALU_CYCLE_1)
	s_or_b32 s3, s3, s5
	s_branch .LBB677_75
.LBB677_78:
	s_or_b32 exec_lo, exec_lo, s1
	s_branch .LBB677_80
.LBB677_79:
	v_mov_b64_e32 v[2:3], 0
.LBB677_80:
	s_or_b32 exec_lo, exec_lo, s0
	s_delay_alu instid0(VALU_DEP_1)
	v_mov_b64_e32 v[6:7], v[2:3]
.LBB677_81:
	s_add_nc_u64 s[0:1], s[8:9], s[20:21]
	s_and_b32 vcc_lo, exec_lo, s11
	s_wait_dscnt 0x0
	s_barrier_signal -1
	s_barrier_wait -1
	s_cbranch_vccz .LBB677_85
; %bb.82:
	v_or_b32_e32 v10, 0x200, v0
	ds_store_2addr_b64 v1, v[6:7], v[8:9] offset1:1
	s_wait_dscnt 0x0
	s_barrier_signal -1
	s_barrier_wait -1
	v_dual_lshrrev_b32 v2, 2, v10 :: v_dual_lshlrev_b32 v4, 3, v0
	s_mov_b32 s3, 0
	s_lshl_b32 s8, s6, 10
	s_delay_alu instid0(VALU_DEP_1)
	v_and_b32_e32 v2, 0xf8, v2
	s_wait_kmcnt 0x0
	s_lshl_b64 s[4:5], s[2:3], 3
	v_mov_b32_e32 v5, 0
	s_add_nc_u64 s[6:7], s[0:1], s[4:5]
	s_sub_co_i32 s4, s10, s8
	v_add_nc_u32_e32 v2, v2, v4
	s_mov_b32 s5, exec_lo
	v_add_nc_u64_e32 v[4:5], s[6:7], v[4:5]
	ds_load_b64 v[2:3], v2 offset:4096
	v_cmpx_gt_u32_e64 s4, v0
	s_cbranch_execz .LBB677_84
; %bb.83:
	v_lshrrev_b32_e32 v11, 2, v0
	s_delay_alu instid0(VALU_DEP_1) | instskip(NEXT) | instid1(VALU_DEP_1)
	v_and_b32_e32 v11, 0x78, v11
	v_lshl_add_u32 v11, v0, 3, v11
	ds_load_b64 v[12:13], v11
	s_wait_dscnt 0x0
	global_store_b64 v[4:5], v[12:13], off
.LBB677_84:
	s_wait_xcnt 0x0
	s_or_b32 exec_lo, exec_lo, s5
	v_cmp_gt_u32_e64 s4, s4, v10
	s_and_b32 vcc_lo, exec_lo, s3
	s_cbranch_vccnz .LBB677_86
	s_branch .LBB677_87
.LBB677_85:
	s_wait_kmcnt 0x0
	s_mov_b32 s4, 0
                                        ; implicit-def: $vgpr2_vgpr3
                                        ; implicit-def: $vgpr4_vgpr5
	s_cbranch_execz .LBB677_87
.LBB677_86:
	s_wait_dscnt 0x0
	v_or_b32_e32 v2, 0x200, v0
	v_dual_lshrrev_b32 v3, 2, v0 :: v_dual_lshlrev_b32 v4, 3, v0
	v_mov_b32_e32 v5, 0
	ds_store_2addr_b64 v1, v[6:7], v[8:9] offset1:1
	v_lshrrev_b32_e32 v2, 2, v2
	v_and_b32_e32 v3, 0x78, v3
	s_wait_storecnt_dscnt 0x0
	s_barrier_signal -1
	s_barrier_wait -1
	v_and_b32_e32 v2, 0xf8, v2
	v_add_nc_u32_e32 v1, v3, v4
	s_mov_b32 s3, 0
	s_or_b32 s4, s4, exec_lo
	s_delay_alu instid0(VALU_DEP_2) | instskip(SKIP_4) | instid1(SALU_CYCLE_1)
	v_add_nc_u32_e32 v2, v2, v4
	s_lshl_b64 s[2:3], s[2:3], 3
	ds_load_b64 v[6:7], v1
	ds_load_b64 v[2:3], v2 offset:4096
	s_add_nc_u64 s[0:1], s[0:1], s[2:3]
	v_add_nc_u64_e32 v[4:5], s[0:1], v[4:5]
	s_wait_dscnt 0x1
	global_store_b64 v0, v[6:7], s[0:1] scale_offset
.LBB677_87:
	s_wait_xcnt 0x0
	s_and_saveexec_b32 s0, s4
	s_cbranch_execnz .LBB677_89
; %bb.88:
	s_endpgm
.LBB677_89:
	s_wait_dscnt 0x0
	global_store_b64 v[4:5], v[2:3], off offset:4096
	s_endpgm
	.section	.rodata,"a",@progbits
	.p2align	6, 0x0
	.amdhsa_kernel _ZN7rocprim17ROCPRIM_400000_NS6detail17trampoline_kernelINS0_14default_configENS1_35adjacent_difference_config_selectorILb1ElEEZNS1_24adjacent_difference_implIS3_Lb1ELb0EPlS7_ZN2at6native12_GLOBAL__N_124unique_dim_cuda_templateIsEESt5tupleIJNS8_6TensorESD_SD_EERKSD_lbbbEUlllE1_EE10hipError_tPvRmT2_T3_mT4_P12ihipStream_tbEUlT_E_NS1_11comp_targetILNS1_3genE0ELNS1_11target_archE4294967295ELNS1_3gpuE0ELNS1_3repE0EEENS1_30default_config_static_selectorELNS0_4arch9wavefront6targetE0EEEvT1_
		.amdhsa_group_segment_fixed_size 8448
		.amdhsa_private_segment_fixed_size 0
		.amdhsa_kernarg_size 64
		.amdhsa_user_sgpr_count 2
		.amdhsa_user_sgpr_dispatch_ptr 0
		.amdhsa_user_sgpr_queue_ptr 0
		.amdhsa_user_sgpr_kernarg_segment_ptr 1
		.amdhsa_user_sgpr_dispatch_id 0
		.amdhsa_user_sgpr_kernarg_preload_length 0
		.amdhsa_user_sgpr_kernarg_preload_offset 0
		.amdhsa_user_sgpr_private_segment_size 0
		.amdhsa_wavefront_size32 1
		.amdhsa_uses_dynamic_stack 0
		.amdhsa_enable_private_segment 0
		.amdhsa_system_sgpr_workgroup_id_x 1
		.amdhsa_system_sgpr_workgroup_id_y 0
		.amdhsa_system_sgpr_workgroup_id_z 0
		.amdhsa_system_sgpr_workgroup_info 0
		.amdhsa_system_vgpr_workitem_id 0
		.amdhsa_next_free_vgpr 16
		.amdhsa_next_free_sgpr 29
		.amdhsa_named_barrier_count 0
		.amdhsa_reserve_vcc 1
		.amdhsa_float_round_mode_32 0
		.amdhsa_float_round_mode_16_64 0
		.amdhsa_float_denorm_mode_32 3
		.amdhsa_float_denorm_mode_16_64 3
		.amdhsa_fp16_overflow 0
		.amdhsa_memory_ordered 1
		.amdhsa_forward_progress 1
		.amdhsa_inst_pref_size 24
		.amdhsa_round_robin_scheduling 0
		.amdhsa_exception_fp_ieee_invalid_op 0
		.amdhsa_exception_fp_denorm_src 0
		.amdhsa_exception_fp_ieee_div_zero 0
		.amdhsa_exception_fp_ieee_overflow 0
		.amdhsa_exception_fp_ieee_underflow 0
		.amdhsa_exception_fp_ieee_inexact 0
		.amdhsa_exception_int_div_zero 0
	.end_amdhsa_kernel
	.section	.text._ZN7rocprim17ROCPRIM_400000_NS6detail17trampoline_kernelINS0_14default_configENS1_35adjacent_difference_config_selectorILb1ElEEZNS1_24adjacent_difference_implIS3_Lb1ELb0EPlS7_ZN2at6native12_GLOBAL__N_124unique_dim_cuda_templateIsEESt5tupleIJNS8_6TensorESD_SD_EERKSD_lbbbEUlllE1_EE10hipError_tPvRmT2_T3_mT4_P12ihipStream_tbEUlT_E_NS1_11comp_targetILNS1_3genE0ELNS1_11target_archE4294967295ELNS1_3gpuE0ELNS1_3repE0EEENS1_30default_config_static_selectorELNS0_4arch9wavefront6targetE0EEEvT1_,"axG",@progbits,_ZN7rocprim17ROCPRIM_400000_NS6detail17trampoline_kernelINS0_14default_configENS1_35adjacent_difference_config_selectorILb1ElEEZNS1_24adjacent_difference_implIS3_Lb1ELb0EPlS7_ZN2at6native12_GLOBAL__N_124unique_dim_cuda_templateIsEESt5tupleIJNS8_6TensorESD_SD_EERKSD_lbbbEUlllE1_EE10hipError_tPvRmT2_T3_mT4_P12ihipStream_tbEUlT_E_NS1_11comp_targetILNS1_3genE0ELNS1_11target_archE4294967295ELNS1_3gpuE0ELNS1_3repE0EEENS1_30default_config_static_selectorELNS0_4arch9wavefront6targetE0EEEvT1_,comdat
.Lfunc_end677:
	.size	_ZN7rocprim17ROCPRIM_400000_NS6detail17trampoline_kernelINS0_14default_configENS1_35adjacent_difference_config_selectorILb1ElEEZNS1_24adjacent_difference_implIS3_Lb1ELb0EPlS7_ZN2at6native12_GLOBAL__N_124unique_dim_cuda_templateIsEESt5tupleIJNS8_6TensorESD_SD_EERKSD_lbbbEUlllE1_EE10hipError_tPvRmT2_T3_mT4_P12ihipStream_tbEUlT_E_NS1_11comp_targetILNS1_3genE0ELNS1_11target_archE4294967295ELNS1_3gpuE0ELNS1_3repE0EEENS1_30default_config_static_selectorELNS0_4arch9wavefront6targetE0EEEvT1_, .Lfunc_end677-_ZN7rocprim17ROCPRIM_400000_NS6detail17trampoline_kernelINS0_14default_configENS1_35adjacent_difference_config_selectorILb1ElEEZNS1_24adjacent_difference_implIS3_Lb1ELb0EPlS7_ZN2at6native12_GLOBAL__N_124unique_dim_cuda_templateIsEESt5tupleIJNS8_6TensorESD_SD_EERKSD_lbbbEUlllE1_EE10hipError_tPvRmT2_T3_mT4_P12ihipStream_tbEUlT_E_NS1_11comp_targetILNS1_3genE0ELNS1_11target_archE4294967295ELNS1_3gpuE0ELNS1_3repE0EEENS1_30default_config_static_selectorELNS0_4arch9wavefront6targetE0EEEvT1_
                                        ; -- End function
	.set _ZN7rocprim17ROCPRIM_400000_NS6detail17trampoline_kernelINS0_14default_configENS1_35adjacent_difference_config_selectorILb1ElEEZNS1_24adjacent_difference_implIS3_Lb1ELb0EPlS7_ZN2at6native12_GLOBAL__N_124unique_dim_cuda_templateIsEESt5tupleIJNS8_6TensorESD_SD_EERKSD_lbbbEUlllE1_EE10hipError_tPvRmT2_T3_mT4_P12ihipStream_tbEUlT_E_NS1_11comp_targetILNS1_3genE0ELNS1_11target_archE4294967295ELNS1_3gpuE0ELNS1_3repE0EEENS1_30default_config_static_selectorELNS0_4arch9wavefront6targetE0EEEvT1_.num_vgpr, 16
	.set _ZN7rocprim17ROCPRIM_400000_NS6detail17trampoline_kernelINS0_14default_configENS1_35adjacent_difference_config_selectorILb1ElEEZNS1_24adjacent_difference_implIS3_Lb1ELb0EPlS7_ZN2at6native12_GLOBAL__N_124unique_dim_cuda_templateIsEESt5tupleIJNS8_6TensorESD_SD_EERKSD_lbbbEUlllE1_EE10hipError_tPvRmT2_T3_mT4_P12ihipStream_tbEUlT_E_NS1_11comp_targetILNS1_3genE0ELNS1_11target_archE4294967295ELNS1_3gpuE0ELNS1_3repE0EEENS1_30default_config_static_selectorELNS0_4arch9wavefront6targetE0EEEvT1_.num_agpr, 0
	.set _ZN7rocprim17ROCPRIM_400000_NS6detail17trampoline_kernelINS0_14default_configENS1_35adjacent_difference_config_selectorILb1ElEEZNS1_24adjacent_difference_implIS3_Lb1ELb0EPlS7_ZN2at6native12_GLOBAL__N_124unique_dim_cuda_templateIsEESt5tupleIJNS8_6TensorESD_SD_EERKSD_lbbbEUlllE1_EE10hipError_tPvRmT2_T3_mT4_P12ihipStream_tbEUlT_E_NS1_11comp_targetILNS1_3genE0ELNS1_11target_archE4294967295ELNS1_3gpuE0ELNS1_3repE0EEENS1_30default_config_static_selectorELNS0_4arch9wavefront6targetE0EEEvT1_.numbered_sgpr, 29
	.set _ZN7rocprim17ROCPRIM_400000_NS6detail17trampoline_kernelINS0_14default_configENS1_35adjacent_difference_config_selectorILb1ElEEZNS1_24adjacent_difference_implIS3_Lb1ELb0EPlS7_ZN2at6native12_GLOBAL__N_124unique_dim_cuda_templateIsEESt5tupleIJNS8_6TensorESD_SD_EERKSD_lbbbEUlllE1_EE10hipError_tPvRmT2_T3_mT4_P12ihipStream_tbEUlT_E_NS1_11comp_targetILNS1_3genE0ELNS1_11target_archE4294967295ELNS1_3gpuE0ELNS1_3repE0EEENS1_30default_config_static_selectorELNS0_4arch9wavefront6targetE0EEEvT1_.num_named_barrier, 0
	.set _ZN7rocprim17ROCPRIM_400000_NS6detail17trampoline_kernelINS0_14default_configENS1_35adjacent_difference_config_selectorILb1ElEEZNS1_24adjacent_difference_implIS3_Lb1ELb0EPlS7_ZN2at6native12_GLOBAL__N_124unique_dim_cuda_templateIsEESt5tupleIJNS8_6TensorESD_SD_EERKSD_lbbbEUlllE1_EE10hipError_tPvRmT2_T3_mT4_P12ihipStream_tbEUlT_E_NS1_11comp_targetILNS1_3genE0ELNS1_11target_archE4294967295ELNS1_3gpuE0ELNS1_3repE0EEENS1_30default_config_static_selectorELNS0_4arch9wavefront6targetE0EEEvT1_.private_seg_size, 0
	.set _ZN7rocprim17ROCPRIM_400000_NS6detail17trampoline_kernelINS0_14default_configENS1_35adjacent_difference_config_selectorILb1ElEEZNS1_24adjacent_difference_implIS3_Lb1ELb0EPlS7_ZN2at6native12_GLOBAL__N_124unique_dim_cuda_templateIsEESt5tupleIJNS8_6TensorESD_SD_EERKSD_lbbbEUlllE1_EE10hipError_tPvRmT2_T3_mT4_P12ihipStream_tbEUlT_E_NS1_11comp_targetILNS1_3genE0ELNS1_11target_archE4294967295ELNS1_3gpuE0ELNS1_3repE0EEENS1_30default_config_static_selectorELNS0_4arch9wavefront6targetE0EEEvT1_.uses_vcc, 1
	.set _ZN7rocprim17ROCPRIM_400000_NS6detail17trampoline_kernelINS0_14default_configENS1_35adjacent_difference_config_selectorILb1ElEEZNS1_24adjacent_difference_implIS3_Lb1ELb0EPlS7_ZN2at6native12_GLOBAL__N_124unique_dim_cuda_templateIsEESt5tupleIJNS8_6TensorESD_SD_EERKSD_lbbbEUlllE1_EE10hipError_tPvRmT2_T3_mT4_P12ihipStream_tbEUlT_E_NS1_11comp_targetILNS1_3genE0ELNS1_11target_archE4294967295ELNS1_3gpuE0ELNS1_3repE0EEENS1_30default_config_static_selectorELNS0_4arch9wavefront6targetE0EEEvT1_.uses_flat_scratch, 0
	.set _ZN7rocprim17ROCPRIM_400000_NS6detail17trampoline_kernelINS0_14default_configENS1_35adjacent_difference_config_selectorILb1ElEEZNS1_24adjacent_difference_implIS3_Lb1ELb0EPlS7_ZN2at6native12_GLOBAL__N_124unique_dim_cuda_templateIsEESt5tupleIJNS8_6TensorESD_SD_EERKSD_lbbbEUlllE1_EE10hipError_tPvRmT2_T3_mT4_P12ihipStream_tbEUlT_E_NS1_11comp_targetILNS1_3genE0ELNS1_11target_archE4294967295ELNS1_3gpuE0ELNS1_3repE0EEENS1_30default_config_static_selectorELNS0_4arch9wavefront6targetE0EEEvT1_.has_dyn_sized_stack, 0
	.set _ZN7rocprim17ROCPRIM_400000_NS6detail17trampoline_kernelINS0_14default_configENS1_35adjacent_difference_config_selectorILb1ElEEZNS1_24adjacent_difference_implIS3_Lb1ELb0EPlS7_ZN2at6native12_GLOBAL__N_124unique_dim_cuda_templateIsEESt5tupleIJNS8_6TensorESD_SD_EERKSD_lbbbEUlllE1_EE10hipError_tPvRmT2_T3_mT4_P12ihipStream_tbEUlT_E_NS1_11comp_targetILNS1_3genE0ELNS1_11target_archE4294967295ELNS1_3gpuE0ELNS1_3repE0EEENS1_30default_config_static_selectorELNS0_4arch9wavefront6targetE0EEEvT1_.has_recursion, 0
	.set _ZN7rocprim17ROCPRIM_400000_NS6detail17trampoline_kernelINS0_14default_configENS1_35adjacent_difference_config_selectorILb1ElEEZNS1_24adjacent_difference_implIS3_Lb1ELb0EPlS7_ZN2at6native12_GLOBAL__N_124unique_dim_cuda_templateIsEESt5tupleIJNS8_6TensorESD_SD_EERKSD_lbbbEUlllE1_EE10hipError_tPvRmT2_T3_mT4_P12ihipStream_tbEUlT_E_NS1_11comp_targetILNS1_3genE0ELNS1_11target_archE4294967295ELNS1_3gpuE0ELNS1_3repE0EEENS1_30default_config_static_selectorELNS0_4arch9wavefront6targetE0EEEvT1_.has_indirect_call, 0
	.section	.AMDGPU.csdata,"",@progbits
; Kernel info:
; codeLenInByte = 2980
; TotalNumSgprs: 31
; NumVgprs: 16
; ScratchSize: 0
; MemoryBound: 0
; FloatMode: 240
; IeeeMode: 1
; LDSByteSize: 8448 bytes/workgroup (compile time only)
; SGPRBlocks: 0
; VGPRBlocks: 0
; NumSGPRsForWavesPerEU: 31
; NumVGPRsForWavesPerEU: 16
; NamedBarCnt: 0
; Occupancy: 16
; WaveLimiterHint : 1
; COMPUTE_PGM_RSRC2:SCRATCH_EN: 0
; COMPUTE_PGM_RSRC2:USER_SGPR: 2
; COMPUTE_PGM_RSRC2:TRAP_HANDLER: 0
; COMPUTE_PGM_RSRC2:TGID_X_EN: 1
; COMPUTE_PGM_RSRC2:TGID_Y_EN: 0
; COMPUTE_PGM_RSRC2:TGID_Z_EN: 0
; COMPUTE_PGM_RSRC2:TIDIG_COMP_CNT: 0
	.section	.text._ZN7rocprim17ROCPRIM_400000_NS6detail17trampoline_kernelINS0_14default_configENS1_35adjacent_difference_config_selectorILb1ElEEZNS1_24adjacent_difference_implIS3_Lb1ELb0EPlS7_ZN2at6native12_GLOBAL__N_124unique_dim_cuda_templateIsEESt5tupleIJNS8_6TensorESD_SD_EERKSD_lbbbEUlllE1_EE10hipError_tPvRmT2_T3_mT4_P12ihipStream_tbEUlT_E_NS1_11comp_targetILNS1_3genE10ELNS1_11target_archE1201ELNS1_3gpuE5ELNS1_3repE0EEENS1_30default_config_static_selectorELNS0_4arch9wavefront6targetE0EEEvT1_,"axG",@progbits,_ZN7rocprim17ROCPRIM_400000_NS6detail17trampoline_kernelINS0_14default_configENS1_35adjacent_difference_config_selectorILb1ElEEZNS1_24adjacent_difference_implIS3_Lb1ELb0EPlS7_ZN2at6native12_GLOBAL__N_124unique_dim_cuda_templateIsEESt5tupleIJNS8_6TensorESD_SD_EERKSD_lbbbEUlllE1_EE10hipError_tPvRmT2_T3_mT4_P12ihipStream_tbEUlT_E_NS1_11comp_targetILNS1_3genE10ELNS1_11target_archE1201ELNS1_3gpuE5ELNS1_3repE0EEENS1_30default_config_static_selectorELNS0_4arch9wavefront6targetE0EEEvT1_,comdat
	.globl	_ZN7rocprim17ROCPRIM_400000_NS6detail17trampoline_kernelINS0_14default_configENS1_35adjacent_difference_config_selectorILb1ElEEZNS1_24adjacent_difference_implIS3_Lb1ELb0EPlS7_ZN2at6native12_GLOBAL__N_124unique_dim_cuda_templateIsEESt5tupleIJNS8_6TensorESD_SD_EERKSD_lbbbEUlllE1_EE10hipError_tPvRmT2_T3_mT4_P12ihipStream_tbEUlT_E_NS1_11comp_targetILNS1_3genE10ELNS1_11target_archE1201ELNS1_3gpuE5ELNS1_3repE0EEENS1_30default_config_static_selectorELNS0_4arch9wavefront6targetE0EEEvT1_ ; -- Begin function _ZN7rocprim17ROCPRIM_400000_NS6detail17trampoline_kernelINS0_14default_configENS1_35adjacent_difference_config_selectorILb1ElEEZNS1_24adjacent_difference_implIS3_Lb1ELb0EPlS7_ZN2at6native12_GLOBAL__N_124unique_dim_cuda_templateIsEESt5tupleIJNS8_6TensorESD_SD_EERKSD_lbbbEUlllE1_EE10hipError_tPvRmT2_T3_mT4_P12ihipStream_tbEUlT_E_NS1_11comp_targetILNS1_3genE10ELNS1_11target_archE1201ELNS1_3gpuE5ELNS1_3repE0EEENS1_30default_config_static_selectorELNS0_4arch9wavefront6targetE0EEEvT1_
	.p2align	8
	.type	_ZN7rocprim17ROCPRIM_400000_NS6detail17trampoline_kernelINS0_14default_configENS1_35adjacent_difference_config_selectorILb1ElEEZNS1_24adjacent_difference_implIS3_Lb1ELb0EPlS7_ZN2at6native12_GLOBAL__N_124unique_dim_cuda_templateIsEESt5tupleIJNS8_6TensorESD_SD_EERKSD_lbbbEUlllE1_EE10hipError_tPvRmT2_T3_mT4_P12ihipStream_tbEUlT_E_NS1_11comp_targetILNS1_3genE10ELNS1_11target_archE1201ELNS1_3gpuE5ELNS1_3repE0EEENS1_30default_config_static_selectorELNS0_4arch9wavefront6targetE0EEEvT1_,@function
_ZN7rocprim17ROCPRIM_400000_NS6detail17trampoline_kernelINS0_14default_configENS1_35adjacent_difference_config_selectorILb1ElEEZNS1_24adjacent_difference_implIS3_Lb1ELb0EPlS7_ZN2at6native12_GLOBAL__N_124unique_dim_cuda_templateIsEESt5tupleIJNS8_6TensorESD_SD_EERKSD_lbbbEUlllE1_EE10hipError_tPvRmT2_T3_mT4_P12ihipStream_tbEUlT_E_NS1_11comp_targetILNS1_3genE10ELNS1_11target_archE1201ELNS1_3gpuE5ELNS1_3repE0EEENS1_30default_config_static_selectorELNS0_4arch9wavefront6targetE0EEEvT1_: ; @_ZN7rocprim17ROCPRIM_400000_NS6detail17trampoline_kernelINS0_14default_configENS1_35adjacent_difference_config_selectorILb1ElEEZNS1_24adjacent_difference_implIS3_Lb1ELb0EPlS7_ZN2at6native12_GLOBAL__N_124unique_dim_cuda_templateIsEESt5tupleIJNS8_6TensorESD_SD_EERKSD_lbbbEUlllE1_EE10hipError_tPvRmT2_T3_mT4_P12ihipStream_tbEUlT_E_NS1_11comp_targetILNS1_3genE10ELNS1_11target_archE1201ELNS1_3gpuE5ELNS1_3repE0EEENS1_30default_config_static_selectorELNS0_4arch9wavefront6targetE0EEEvT1_
; %bb.0:
	.section	.rodata,"a",@progbits
	.p2align	6, 0x0
	.amdhsa_kernel _ZN7rocprim17ROCPRIM_400000_NS6detail17trampoline_kernelINS0_14default_configENS1_35adjacent_difference_config_selectorILb1ElEEZNS1_24adjacent_difference_implIS3_Lb1ELb0EPlS7_ZN2at6native12_GLOBAL__N_124unique_dim_cuda_templateIsEESt5tupleIJNS8_6TensorESD_SD_EERKSD_lbbbEUlllE1_EE10hipError_tPvRmT2_T3_mT4_P12ihipStream_tbEUlT_E_NS1_11comp_targetILNS1_3genE10ELNS1_11target_archE1201ELNS1_3gpuE5ELNS1_3repE0EEENS1_30default_config_static_selectorELNS0_4arch9wavefront6targetE0EEEvT1_
		.amdhsa_group_segment_fixed_size 0
		.amdhsa_private_segment_fixed_size 0
		.amdhsa_kernarg_size 64
		.amdhsa_user_sgpr_count 2
		.amdhsa_user_sgpr_dispatch_ptr 0
		.amdhsa_user_sgpr_queue_ptr 0
		.amdhsa_user_sgpr_kernarg_segment_ptr 1
		.amdhsa_user_sgpr_dispatch_id 0
		.amdhsa_user_sgpr_kernarg_preload_length 0
		.amdhsa_user_sgpr_kernarg_preload_offset 0
		.amdhsa_user_sgpr_private_segment_size 0
		.amdhsa_wavefront_size32 1
		.amdhsa_uses_dynamic_stack 0
		.amdhsa_enable_private_segment 0
		.amdhsa_system_sgpr_workgroup_id_x 1
		.amdhsa_system_sgpr_workgroup_id_y 0
		.amdhsa_system_sgpr_workgroup_id_z 0
		.amdhsa_system_sgpr_workgroup_info 0
		.amdhsa_system_vgpr_workitem_id 0
		.amdhsa_next_free_vgpr 1
		.amdhsa_next_free_sgpr 1
		.amdhsa_named_barrier_count 0
		.amdhsa_reserve_vcc 0
		.amdhsa_float_round_mode_32 0
		.amdhsa_float_round_mode_16_64 0
		.amdhsa_float_denorm_mode_32 3
		.amdhsa_float_denorm_mode_16_64 3
		.amdhsa_fp16_overflow 0
		.amdhsa_memory_ordered 1
		.amdhsa_forward_progress 1
		.amdhsa_inst_pref_size 0
		.amdhsa_round_robin_scheduling 0
		.amdhsa_exception_fp_ieee_invalid_op 0
		.amdhsa_exception_fp_denorm_src 0
		.amdhsa_exception_fp_ieee_div_zero 0
		.amdhsa_exception_fp_ieee_overflow 0
		.amdhsa_exception_fp_ieee_underflow 0
		.amdhsa_exception_fp_ieee_inexact 0
		.amdhsa_exception_int_div_zero 0
	.end_amdhsa_kernel
	.section	.text._ZN7rocprim17ROCPRIM_400000_NS6detail17trampoline_kernelINS0_14default_configENS1_35adjacent_difference_config_selectorILb1ElEEZNS1_24adjacent_difference_implIS3_Lb1ELb0EPlS7_ZN2at6native12_GLOBAL__N_124unique_dim_cuda_templateIsEESt5tupleIJNS8_6TensorESD_SD_EERKSD_lbbbEUlllE1_EE10hipError_tPvRmT2_T3_mT4_P12ihipStream_tbEUlT_E_NS1_11comp_targetILNS1_3genE10ELNS1_11target_archE1201ELNS1_3gpuE5ELNS1_3repE0EEENS1_30default_config_static_selectorELNS0_4arch9wavefront6targetE0EEEvT1_,"axG",@progbits,_ZN7rocprim17ROCPRIM_400000_NS6detail17trampoline_kernelINS0_14default_configENS1_35adjacent_difference_config_selectorILb1ElEEZNS1_24adjacent_difference_implIS3_Lb1ELb0EPlS7_ZN2at6native12_GLOBAL__N_124unique_dim_cuda_templateIsEESt5tupleIJNS8_6TensorESD_SD_EERKSD_lbbbEUlllE1_EE10hipError_tPvRmT2_T3_mT4_P12ihipStream_tbEUlT_E_NS1_11comp_targetILNS1_3genE10ELNS1_11target_archE1201ELNS1_3gpuE5ELNS1_3repE0EEENS1_30default_config_static_selectorELNS0_4arch9wavefront6targetE0EEEvT1_,comdat
.Lfunc_end678:
	.size	_ZN7rocprim17ROCPRIM_400000_NS6detail17trampoline_kernelINS0_14default_configENS1_35adjacent_difference_config_selectorILb1ElEEZNS1_24adjacent_difference_implIS3_Lb1ELb0EPlS7_ZN2at6native12_GLOBAL__N_124unique_dim_cuda_templateIsEESt5tupleIJNS8_6TensorESD_SD_EERKSD_lbbbEUlllE1_EE10hipError_tPvRmT2_T3_mT4_P12ihipStream_tbEUlT_E_NS1_11comp_targetILNS1_3genE10ELNS1_11target_archE1201ELNS1_3gpuE5ELNS1_3repE0EEENS1_30default_config_static_selectorELNS0_4arch9wavefront6targetE0EEEvT1_, .Lfunc_end678-_ZN7rocprim17ROCPRIM_400000_NS6detail17trampoline_kernelINS0_14default_configENS1_35adjacent_difference_config_selectorILb1ElEEZNS1_24adjacent_difference_implIS3_Lb1ELb0EPlS7_ZN2at6native12_GLOBAL__N_124unique_dim_cuda_templateIsEESt5tupleIJNS8_6TensorESD_SD_EERKSD_lbbbEUlllE1_EE10hipError_tPvRmT2_T3_mT4_P12ihipStream_tbEUlT_E_NS1_11comp_targetILNS1_3genE10ELNS1_11target_archE1201ELNS1_3gpuE5ELNS1_3repE0EEENS1_30default_config_static_selectorELNS0_4arch9wavefront6targetE0EEEvT1_
                                        ; -- End function
	.set _ZN7rocprim17ROCPRIM_400000_NS6detail17trampoline_kernelINS0_14default_configENS1_35adjacent_difference_config_selectorILb1ElEEZNS1_24adjacent_difference_implIS3_Lb1ELb0EPlS7_ZN2at6native12_GLOBAL__N_124unique_dim_cuda_templateIsEESt5tupleIJNS8_6TensorESD_SD_EERKSD_lbbbEUlllE1_EE10hipError_tPvRmT2_T3_mT4_P12ihipStream_tbEUlT_E_NS1_11comp_targetILNS1_3genE10ELNS1_11target_archE1201ELNS1_3gpuE5ELNS1_3repE0EEENS1_30default_config_static_selectorELNS0_4arch9wavefront6targetE0EEEvT1_.num_vgpr, 0
	.set _ZN7rocprim17ROCPRIM_400000_NS6detail17trampoline_kernelINS0_14default_configENS1_35adjacent_difference_config_selectorILb1ElEEZNS1_24adjacent_difference_implIS3_Lb1ELb0EPlS7_ZN2at6native12_GLOBAL__N_124unique_dim_cuda_templateIsEESt5tupleIJNS8_6TensorESD_SD_EERKSD_lbbbEUlllE1_EE10hipError_tPvRmT2_T3_mT4_P12ihipStream_tbEUlT_E_NS1_11comp_targetILNS1_3genE10ELNS1_11target_archE1201ELNS1_3gpuE5ELNS1_3repE0EEENS1_30default_config_static_selectorELNS0_4arch9wavefront6targetE0EEEvT1_.num_agpr, 0
	.set _ZN7rocprim17ROCPRIM_400000_NS6detail17trampoline_kernelINS0_14default_configENS1_35adjacent_difference_config_selectorILb1ElEEZNS1_24adjacent_difference_implIS3_Lb1ELb0EPlS7_ZN2at6native12_GLOBAL__N_124unique_dim_cuda_templateIsEESt5tupleIJNS8_6TensorESD_SD_EERKSD_lbbbEUlllE1_EE10hipError_tPvRmT2_T3_mT4_P12ihipStream_tbEUlT_E_NS1_11comp_targetILNS1_3genE10ELNS1_11target_archE1201ELNS1_3gpuE5ELNS1_3repE0EEENS1_30default_config_static_selectorELNS0_4arch9wavefront6targetE0EEEvT1_.numbered_sgpr, 0
	.set _ZN7rocprim17ROCPRIM_400000_NS6detail17trampoline_kernelINS0_14default_configENS1_35adjacent_difference_config_selectorILb1ElEEZNS1_24adjacent_difference_implIS3_Lb1ELb0EPlS7_ZN2at6native12_GLOBAL__N_124unique_dim_cuda_templateIsEESt5tupleIJNS8_6TensorESD_SD_EERKSD_lbbbEUlllE1_EE10hipError_tPvRmT2_T3_mT4_P12ihipStream_tbEUlT_E_NS1_11comp_targetILNS1_3genE10ELNS1_11target_archE1201ELNS1_3gpuE5ELNS1_3repE0EEENS1_30default_config_static_selectorELNS0_4arch9wavefront6targetE0EEEvT1_.num_named_barrier, 0
	.set _ZN7rocprim17ROCPRIM_400000_NS6detail17trampoline_kernelINS0_14default_configENS1_35adjacent_difference_config_selectorILb1ElEEZNS1_24adjacent_difference_implIS3_Lb1ELb0EPlS7_ZN2at6native12_GLOBAL__N_124unique_dim_cuda_templateIsEESt5tupleIJNS8_6TensorESD_SD_EERKSD_lbbbEUlllE1_EE10hipError_tPvRmT2_T3_mT4_P12ihipStream_tbEUlT_E_NS1_11comp_targetILNS1_3genE10ELNS1_11target_archE1201ELNS1_3gpuE5ELNS1_3repE0EEENS1_30default_config_static_selectorELNS0_4arch9wavefront6targetE0EEEvT1_.private_seg_size, 0
	.set _ZN7rocprim17ROCPRIM_400000_NS6detail17trampoline_kernelINS0_14default_configENS1_35adjacent_difference_config_selectorILb1ElEEZNS1_24adjacent_difference_implIS3_Lb1ELb0EPlS7_ZN2at6native12_GLOBAL__N_124unique_dim_cuda_templateIsEESt5tupleIJNS8_6TensorESD_SD_EERKSD_lbbbEUlllE1_EE10hipError_tPvRmT2_T3_mT4_P12ihipStream_tbEUlT_E_NS1_11comp_targetILNS1_3genE10ELNS1_11target_archE1201ELNS1_3gpuE5ELNS1_3repE0EEENS1_30default_config_static_selectorELNS0_4arch9wavefront6targetE0EEEvT1_.uses_vcc, 0
	.set _ZN7rocprim17ROCPRIM_400000_NS6detail17trampoline_kernelINS0_14default_configENS1_35adjacent_difference_config_selectorILb1ElEEZNS1_24adjacent_difference_implIS3_Lb1ELb0EPlS7_ZN2at6native12_GLOBAL__N_124unique_dim_cuda_templateIsEESt5tupleIJNS8_6TensorESD_SD_EERKSD_lbbbEUlllE1_EE10hipError_tPvRmT2_T3_mT4_P12ihipStream_tbEUlT_E_NS1_11comp_targetILNS1_3genE10ELNS1_11target_archE1201ELNS1_3gpuE5ELNS1_3repE0EEENS1_30default_config_static_selectorELNS0_4arch9wavefront6targetE0EEEvT1_.uses_flat_scratch, 0
	.set _ZN7rocprim17ROCPRIM_400000_NS6detail17trampoline_kernelINS0_14default_configENS1_35adjacent_difference_config_selectorILb1ElEEZNS1_24adjacent_difference_implIS3_Lb1ELb0EPlS7_ZN2at6native12_GLOBAL__N_124unique_dim_cuda_templateIsEESt5tupleIJNS8_6TensorESD_SD_EERKSD_lbbbEUlllE1_EE10hipError_tPvRmT2_T3_mT4_P12ihipStream_tbEUlT_E_NS1_11comp_targetILNS1_3genE10ELNS1_11target_archE1201ELNS1_3gpuE5ELNS1_3repE0EEENS1_30default_config_static_selectorELNS0_4arch9wavefront6targetE0EEEvT1_.has_dyn_sized_stack, 0
	.set _ZN7rocprim17ROCPRIM_400000_NS6detail17trampoline_kernelINS0_14default_configENS1_35adjacent_difference_config_selectorILb1ElEEZNS1_24adjacent_difference_implIS3_Lb1ELb0EPlS7_ZN2at6native12_GLOBAL__N_124unique_dim_cuda_templateIsEESt5tupleIJNS8_6TensorESD_SD_EERKSD_lbbbEUlllE1_EE10hipError_tPvRmT2_T3_mT4_P12ihipStream_tbEUlT_E_NS1_11comp_targetILNS1_3genE10ELNS1_11target_archE1201ELNS1_3gpuE5ELNS1_3repE0EEENS1_30default_config_static_selectorELNS0_4arch9wavefront6targetE0EEEvT1_.has_recursion, 0
	.set _ZN7rocprim17ROCPRIM_400000_NS6detail17trampoline_kernelINS0_14default_configENS1_35adjacent_difference_config_selectorILb1ElEEZNS1_24adjacent_difference_implIS3_Lb1ELb0EPlS7_ZN2at6native12_GLOBAL__N_124unique_dim_cuda_templateIsEESt5tupleIJNS8_6TensorESD_SD_EERKSD_lbbbEUlllE1_EE10hipError_tPvRmT2_T3_mT4_P12ihipStream_tbEUlT_E_NS1_11comp_targetILNS1_3genE10ELNS1_11target_archE1201ELNS1_3gpuE5ELNS1_3repE0EEENS1_30default_config_static_selectorELNS0_4arch9wavefront6targetE0EEEvT1_.has_indirect_call, 0
	.section	.AMDGPU.csdata,"",@progbits
; Kernel info:
; codeLenInByte = 0
; TotalNumSgprs: 0
; NumVgprs: 0
; ScratchSize: 0
; MemoryBound: 0
; FloatMode: 240
; IeeeMode: 1
; LDSByteSize: 0 bytes/workgroup (compile time only)
; SGPRBlocks: 0
; VGPRBlocks: 0
; NumSGPRsForWavesPerEU: 1
; NumVGPRsForWavesPerEU: 1
; NamedBarCnt: 0
; Occupancy: 16
; WaveLimiterHint : 0
; COMPUTE_PGM_RSRC2:SCRATCH_EN: 0
; COMPUTE_PGM_RSRC2:USER_SGPR: 2
; COMPUTE_PGM_RSRC2:TRAP_HANDLER: 0
; COMPUTE_PGM_RSRC2:TGID_X_EN: 1
; COMPUTE_PGM_RSRC2:TGID_Y_EN: 0
; COMPUTE_PGM_RSRC2:TGID_Z_EN: 0
; COMPUTE_PGM_RSRC2:TIDIG_COMP_CNT: 0
	.section	.text._ZN7rocprim17ROCPRIM_400000_NS6detail17trampoline_kernelINS0_14default_configENS1_35adjacent_difference_config_selectorILb1ElEEZNS1_24adjacent_difference_implIS3_Lb1ELb0EPlS7_ZN2at6native12_GLOBAL__N_124unique_dim_cuda_templateIsEESt5tupleIJNS8_6TensorESD_SD_EERKSD_lbbbEUlllE1_EE10hipError_tPvRmT2_T3_mT4_P12ihipStream_tbEUlT_E_NS1_11comp_targetILNS1_3genE5ELNS1_11target_archE942ELNS1_3gpuE9ELNS1_3repE0EEENS1_30default_config_static_selectorELNS0_4arch9wavefront6targetE0EEEvT1_,"axG",@progbits,_ZN7rocprim17ROCPRIM_400000_NS6detail17trampoline_kernelINS0_14default_configENS1_35adjacent_difference_config_selectorILb1ElEEZNS1_24adjacent_difference_implIS3_Lb1ELb0EPlS7_ZN2at6native12_GLOBAL__N_124unique_dim_cuda_templateIsEESt5tupleIJNS8_6TensorESD_SD_EERKSD_lbbbEUlllE1_EE10hipError_tPvRmT2_T3_mT4_P12ihipStream_tbEUlT_E_NS1_11comp_targetILNS1_3genE5ELNS1_11target_archE942ELNS1_3gpuE9ELNS1_3repE0EEENS1_30default_config_static_selectorELNS0_4arch9wavefront6targetE0EEEvT1_,comdat
	.globl	_ZN7rocprim17ROCPRIM_400000_NS6detail17trampoline_kernelINS0_14default_configENS1_35adjacent_difference_config_selectorILb1ElEEZNS1_24adjacent_difference_implIS3_Lb1ELb0EPlS7_ZN2at6native12_GLOBAL__N_124unique_dim_cuda_templateIsEESt5tupleIJNS8_6TensorESD_SD_EERKSD_lbbbEUlllE1_EE10hipError_tPvRmT2_T3_mT4_P12ihipStream_tbEUlT_E_NS1_11comp_targetILNS1_3genE5ELNS1_11target_archE942ELNS1_3gpuE9ELNS1_3repE0EEENS1_30default_config_static_selectorELNS0_4arch9wavefront6targetE0EEEvT1_ ; -- Begin function _ZN7rocprim17ROCPRIM_400000_NS6detail17trampoline_kernelINS0_14default_configENS1_35adjacent_difference_config_selectorILb1ElEEZNS1_24adjacent_difference_implIS3_Lb1ELb0EPlS7_ZN2at6native12_GLOBAL__N_124unique_dim_cuda_templateIsEESt5tupleIJNS8_6TensorESD_SD_EERKSD_lbbbEUlllE1_EE10hipError_tPvRmT2_T3_mT4_P12ihipStream_tbEUlT_E_NS1_11comp_targetILNS1_3genE5ELNS1_11target_archE942ELNS1_3gpuE9ELNS1_3repE0EEENS1_30default_config_static_selectorELNS0_4arch9wavefront6targetE0EEEvT1_
	.p2align	8
	.type	_ZN7rocprim17ROCPRIM_400000_NS6detail17trampoline_kernelINS0_14default_configENS1_35adjacent_difference_config_selectorILb1ElEEZNS1_24adjacent_difference_implIS3_Lb1ELb0EPlS7_ZN2at6native12_GLOBAL__N_124unique_dim_cuda_templateIsEESt5tupleIJNS8_6TensorESD_SD_EERKSD_lbbbEUlllE1_EE10hipError_tPvRmT2_T3_mT4_P12ihipStream_tbEUlT_E_NS1_11comp_targetILNS1_3genE5ELNS1_11target_archE942ELNS1_3gpuE9ELNS1_3repE0EEENS1_30default_config_static_selectorELNS0_4arch9wavefront6targetE0EEEvT1_,@function
_ZN7rocprim17ROCPRIM_400000_NS6detail17trampoline_kernelINS0_14default_configENS1_35adjacent_difference_config_selectorILb1ElEEZNS1_24adjacent_difference_implIS3_Lb1ELb0EPlS7_ZN2at6native12_GLOBAL__N_124unique_dim_cuda_templateIsEESt5tupleIJNS8_6TensorESD_SD_EERKSD_lbbbEUlllE1_EE10hipError_tPvRmT2_T3_mT4_P12ihipStream_tbEUlT_E_NS1_11comp_targetILNS1_3genE5ELNS1_11target_archE942ELNS1_3gpuE9ELNS1_3repE0EEENS1_30default_config_static_selectorELNS0_4arch9wavefront6targetE0EEEvT1_: ; @_ZN7rocprim17ROCPRIM_400000_NS6detail17trampoline_kernelINS0_14default_configENS1_35adjacent_difference_config_selectorILb1ElEEZNS1_24adjacent_difference_implIS3_Lb1ELb0EPlS7_ZN2at6native12_GLOBAL__N_124unique_dim_cuda_templateIsEESt5tupleIJNS8_6TensorESD_SD_EERKSD_lbbbEUlllE1_EE10hipError_tPvRmT2_T3_mT4_P12ihipStream_tbEUlT_E_NS1_11comp_targetILNS1_3genE5ELNS1_11target_archE942ELNS1_3gpuE9ELNS1_3repE0EEENS1_30default_config_static_selectorELNS0_4arch9wavefront6targetE0EEEvT1_
; %bb.0:
	.section	.rodata,"a",@progbits
	.p2align	6, 0x0
	.amdhsa_kernel _ZN7rocprim17ROCPRIM_400000_NS6detail17trampoline_kernelINS0_14default_configENS1_35adjacent_difference_config_selectorILb1ElEEZNS1_24adjacent_difference_implIS3_Lb1ELb0EPlS7_ZN2at6native12_GLOBAL__N_124unique_dim_cuda_templateIsEESt5tupleIJNS8_6TensorESD_SD_EERKSD_lbbbEUlllE1_EE10hipError_tPvRmT2_T3_mT4_P12ihipStream_tbEUlT_E_NS1_11comp_targetILNS1_3genE5ELNS1_11target_archE942ELNS1_3gpuE9ELNS1_3repE0EEENS1_30default_config_static_selectorELNS0_4arch9wavefront6targetE0EEEvT1_
		.amdhsa_group_segment_fixed_size 0
		.amdhsa_private_segment_fixed_size 0
		.amdhsa_kernarg_size 64
		.amdhsa_user_sgpr_count 2
		.amdhsa_user_sgpr_dispatch_ptr 0
		.amdhsa_user_sgpr_queue_ptr 0
		.amdhsa_user_sgpr_kernarg_segment_ptr 1
		.amdhsa_user_sgpr_dispatch_id 0
		.amdhsa_user_sgpr_kernarg_preload_length 0
		.amdhsa_user_sgpr_kernarg_preload_offset 0
		.amdhsa_user_sgpr_private_segment_size 0
		.amdhsa_wavefront_size32 1
		.amdhsa_uses_dynamic_stack 0
		.amdhsa_enable_private_segment 0
		.amdhsa_system_sgpr_workgroup_id_x 1
		.amdhsa_system_sgpr_workgroup_id_y 0
		.amdhsa_system_sgpr_workgroup_id_z 0
		.amdhsa_system_sgpr_workgroup_info 0
		.amdhsa_system_vgpr_workitem_id 0
		.amdhsa_next_free_vgpr 1
		.amdhsa_next_free_sgpr 1
		.amdhsa_named_barrier_count 0
		.amdhsa_reserve_vcc 0
		.amdhsa_float_round_mode_32 0
		.amdhsa_float_round_mode_16_64 0
		.amdhsa_float_denorm_mode_32 3
		.amdhsa_float_denorm_mode_16_64 3
		.amdhsa_fp16_overflow 0
		.amdhsa_memory_ordered 1
		.amdhsa_forward_progress 1
		.amdhsa_inst_pref_size 0
		.amdhsa_round_robin_scheduling 0
		.amdhsa_exception_fp_ieee_invalid_op 0
		.amdhsa_exception_fp_denorm_src 0
		.amdhsa_exception_fp_ieee_div_zero 0
		.amdhsa_exception_fp_ieee_overflow 0
		.amdhsa_exception_fp_ieee_underflow 0
		.amdhsa_exception_fp_ieee_inexact 0
		.amdhsa_exception_int_div_zero 0
	.end_amdhsa_kernel
	.section	.text._ZN7rocprim17ROCPRIM_400000_NS6detail17trampoline_kernelINS0_14default_configENS1_35adjacent_difference_config_selectorILb1ElEEZNS1_24adjacent_difference_implIS3_Lb1ELb0EPlS7_ZN2at6native12_GLOBAL__N_124unique_dim_cuda_templateIsEESt5tupleIJNS8_6TensorESD_SD_EERKSD_lbbbEUlllE1_EE10hipError_tPvRmT2_T3_mT4_P12ihipStream_tbEUlT_E_NS1_11comp_targetILNS1_3genE5ELNS1_11target_archE942ELNS1_3gpuE9ELNS1_3repE0EEENS1_30default_config_static_selectorELNS0_4arch9wavefront6targetE0EEEvT1_,"axG",@progbits,_ZN7rocprim17ROCPRIM_400000_NS6detail17trampoline_kernelINS0_14default_configENS1_35adjacent_difference_config_selectorILb1ElEEZNS1_24adjacent_difference_implIS3_Lb1ELb0EPlS7_ZN2at6native12_GLOBAL__N_124unique_dim_cuda_templateIsEESt5tupleIJNS8_6TensorESD_SD_EERKSD_lbbbEUlllE1_EE10hipError_tPvRmT2_T3_mT4_P12ihipStream_tbEUlT_E_NS1_11comp_targetILNS1_3genE5ELNS1_11target_archE942ELNS1_3gpuE9ELNS1_3repE0EEENS1_30default_config_static_selectorELNS0_4arch9wavefront6targetE0EEEvT1_,comdat
.Lfunc_end679:
	.size	_ZN7rocprim17ROCPRIM_400000_NS6detail17trampoline_kernelINS0_14default_configENS1_35adjacent_difference_config_selectorILb1ElEEZNS1_24adjacent_difference_implIS3_Lb1ELb0EPlS7_ZN2at6native12_GLOBAL__N_124unique_dim_cuda_templateIsEESt5tupleIJNS8_6TensorESD_SD_EERKSD_lbbbEUlllE1_EE10hipError_tPvRmT2_T3_mT4_P12ihipStream_tbEUlT_E_NS1_11comp_targetILNS1_3genE5ELNS1_11target_archE942ELNS1_3gpuE9ELNS1_3repE0EEENS1_30default_config_static_selectorELNS0_4arch9wavefront6targetE0EEEvT1_, .Lfunc_end679-_ZN7rocprim17ROCPRIM_400000_NS6detail17trampoline_kernelINS0_14default_configENS1_35adjacent_difference_config_selectorILb1ElEEZNS1_24adjacent_difference_implIS3_Lb1ELb0EPlS7_ZN2at6native12_GLOBAL__N_124unique_dim_cuda_templateIsEESt5tupleIJNS8_6TensorESD_SD_EERKSD_lbbbEUlllE1_EE10hipError_tPvRmT2_T3_mT4_P12ihipStream_tbEUlT_E_NS1_11comp_targetILNS1_3genE5ELNS1_11target_archE942ELNS1_3gpuE9ELNS1_3repE0EEENS1_30default_config_static_selectorELNS0_4arch9wavefront6targetE0EEEvT1_
                                        ; -- End function
	.set _ZN7rocprim17ROCPRIM_400000_NS6detail17trampoline_kernelINS0_14default_configENS1_35adjacent_difference_config_selectorILb1ElEEZNS1_24adjacent_difference_implIS3_Lb1ELb0EPlS7_ZN2at6native12_GLOBAL__N_124unique_dim_cuda_templateIsEESt5tupleIJNS8_6TensorESD_SD_EERKSD_lbbbEUlllE1_EE10hipError_tPvRmT2_T3_mT4_P12ihipStream_tbEUlT_E_NS1_11comp_targetILNS1_3genE5ELNS1_11target_archE942ELNS1_3gpuE9ELNS1_3repE0EEENS1_30default_config_static_selectorELNS0_4arch9wavefront6targetE0EEEvT1_.num_vgpr, 0
	.set _ZN7rocprim17ROCPRIM_400000_NS6detail17trampoline_kernelINS0_14default_configENS1_35adjacent_difference_config_selectorILb1ElEEZNS1_24adjacent_difference_implIS3_Lb1ELb0EPlS7_ZN2at6native12_GLOBAL__N_124unique_dim_cuda_templateIsEESt5tupleIJNS8_6TensorESD_SD_EERKSD_lbbbEUlllE1_EE10hipError_tPvRmT2_T3_mT4_P12ihipStream_tbEUlT_E_NS1_11comp_targetILNS1_3genE5ELNS1_11target_archE942ELNS1_3gpuE9ELNS1_3repE0EEENS1_30default_config_static_selectorELNS0_4arch9wavefront6targetE0EEEvT1_.num_agpr, 0
	.set _ZN7rocprim17ROCPRIM_400000_NS6detail17trampoline_kernelINS0_14default_configENS1_35adjacent_difference_config_selectorILb1ElEEZNS1_24adjacent_difference_implIS3_Lb1ELb0EPlS7_ZN2at6native12_GLOBAL__N_124unique_dim_cuda_templateIsEESt5tupleIJNS8_6TensorESD_SD_EERKSD_lbbbEUlllE1_EE10hipError_tPvRmT2_T3_mT4_P12ihipStream_tbEUlT_E_NS1_11comp_targetILNS1_3genE5ELNS1_11target_archE942ELNS1_3gpuE9ELNS1_3repE0EEENS1_30default_config_static_selectorELNS0_4arch9wavefront6targetE0EEEvT1_.numbered_sgpr, 0
	.set _ZN7rocprim17ROCPRIM_400000_NS6detail17trampoline_kernelINS0_14default_configENS1_35adjacent_difference_config_selectorILb1ElEEZNS1_24adjacent_difference_implIS3_Lb1ELb0EPlS7_ZN2at6native12_GLOBAL__N_124unique_dim_cuda_templateIsEESt5tupleIJNS8_6TensorESD_SD_EERKSD_lbbbEUlllE1_EE10hipError_tPvRmT2_T3_mT4_P12ihipStream_tbEUlT_E_NS1_11comp_targetILNS1_3genE5ELNS1_11target_archE942ELNS1_3gpuE9ELNS1_3repE0EEENS1_30default_config_static_selectorELNS0_4arch9wavefront6targetE0EEEvT1_.num_named_barrier, 0
	.set _ZN7rocprim17ROCPRIM_400000_NS6detail17trampoline_kernelINS0_14default_configENS1_35adjacent_difference_config_selectorILb1ElEEZNS1_24adjacent_difference_implIS3_Lb1ELb0EPlS7_ZN2at6native12_GLOBAL__N_124unique_dim_cuda_templateIsEESt5tupleIJNS8_6TensorESD_SD_EERKSD_lbbbEUlllE1_EE10hipError_tPvRmT2_T3_mT4_P12ihipStream_tbEUlT_E_NS1_11comp_targetILNS1_3genE5ELNS1_11target_archE942ELNS1_3gpuE9ELNS1_3repE0EEENS1_30default_config_static_selectorELNS0_4arch9wavefront6targetE0EEEvT1_.private_seg_size, 0
	.set _ZN7rocprim17ROCPRIM_400000_NS6detail17trampoline_kernelINS0_14default_configENS1_35adjacent_difference_config_selectorILb1ElEEZNS1_24adjacent_difference_implIS3_Lb1ELb0EPlS7_ZN2at6native12_GLOBAL__N_124unique_dim_cuda_templateIsEESt5tupleIJNS8_6TensorESD_SD_EERKSD_lbbbEUlllE1_EE10hipError_tPvRmT2_T3_mT4_P12ihipStream_tbEUlT_E_NS1_11comp_targetILNS1_3genE5ELNS1_11target_archE942ELNS1_3gpuE9ELNS1_3repE0EEENS1_30default_config_static_selectorELNS0_4arch9wavefront6targetE0EEEvT1_.uses_vcc, 0
	.set _ZN7rocprim17ROCPRIM_400000_NS6detail17trampoline_kernelINS0_14default_configENS1_35adjacent_difference_config_selectorILb1ElEEZNS1_24adjacent_difference_implIS3_Lb1ELb0EPlS7_ZN2at6native12_GLOBAL__N_124unique_dim_cuda_templateIsEESt5tupleIJNS8_6TensorESD_SD_EERKSD_lbbbEUlllE1_EE10hipError_tPvRmT2_T3_mT4_P12ihipStream_tbEUlT_E_NS1_11comp_targetILNS1_3genE5ELNS1_11target_archE942ELNS1_3gpuE9ELNS1_3repE0EEENS1_30default_config_static_selectorELNS0_4arch9wavefront6targetE0EEEvT1_.uses_flat_scratch, 0
	.set _ZN7rocprim17ROCPRIM_400000_NS6detail17trampoline_kernelINS0_14default_configENS1_35adjacent_difference_config_selectorILb1ElEEZNS1_24adjacent_difference_implIS3_Lb1ELb0EPlS7_ZN2at6native12_GLOBAL__N_124unique_dim_cuda_templateIsEESt5tupleIJNS8_6TensorESD_SD_EERKSD_lbbbEUlllE1_EE10hipError_tPvRmT2_T3_mT4_P12ihipStream_tbEUlT_E_NS1_11comp_targetILNS1_3genE5ELNS1_11target_archE942ELNS1_3gpuE9ELNS1_3repE0EEENS1_30default_config_static_selectorELNS0_4arch9wavefront6targetE0EEEvT1_.has_dyn_sized_stack, 0
	.set _ZN7rocprim17ROCPRIM_400000_NS6detail17trampoline_kernelINS0_14default_configENS1_35adjacent_difference_config_selectorILb1ElEEZNS1_24adjacent_difference_implIS3_Lb1ELb0EPlS7_ZN2at6native12_GLOBAL__N_124unique_dim_cuda_templateIsEESt5tupleIJNS8_6TensorESD_SD_EERKSD_lbbbEUlllE1_EE10hipError_tPvRmT2_T3_mT4_P12ihipStream_tbEUlT_E_NS1_11comp_targetILNS1_3genE5ELNS1_11target_archE942ELNS1_3gpuE9ELNS1_3repE0EEENS1_30default_config_static_selectorELNS0_4arch9wavefront6targetE0EEEvT1_.has_recursion, 0
	.set _ZN7rocprim17ROCPRIM_400000_NS6detail17trampoline_kernelINS0_14default_configENS1_35adjacent_difference_config_selectorILb1ElEEZNS1_24adjacent_difference_implIS3_Lb1ELb0EPlS7_ZN2at6native12_GLOBAL__N_124unique_dim_cuda_templateIsEESt5tupleIJNS8_6TensorESD_SD_EERKSD_lbbbEUlllE1_EE10hipError_tPvRmT2_T3_mT4_P12ihipStream_tbEUlT_E_NS1_11comp_targetILNS1_3genE5ELNS1_11target_archE942ELNS1_3gpuE9ELNS1_3repE0EEENS1_30default_config_static_selectorELNS0_4arch9wavefront6targetE0EEEvT1_.has_indirect_call, 0
	.section	.AMDGPU.csdata,"",@progbits
; Kernel info:
; codeLenInByte = 0
; TotalNumSgprs: 0
; NumVgprs: 0
; ScratchSize: 0
; MemoryBound: 0
; FloatMode: 240
; IeeeMode: 1
; LDSByteSize: 0 bytes/workgroup (compile time only)
; SGPRBlocks: 0
; VGPRBlocks: 0
; NumSGPRsForWavesPerEU: 1
; NumVGPRsForWavesPerEU: 1
; NamedBarCnt: 0
; Occupancy: 16
; WaveLimiterHint : 0
; COMPUTE_PGM_RSRC2:SCRATCH_EN: 0
; COMPUTE_PGM_RSRC2:USER_SGPR: 2
; COMPUTE_PGM_RSRC2:TRAP_HANDLER: 0
; COMPUTE_PGM_RSRC2:TGID_X_EN: 1
; COMPUTE_PGM_RSRC2:TGID_Y_EN: 0
; COMPUTE_PGM_RSRC2:TGID_Z_EN: 0
; COMPUTE_PGM_RSRC2:TIDIG_COMP_CNT: 0
	.section	.text._ZN7rocprim17ROCPRIM_400000_NS6detail17trampoline_kernelINS0_14default_configENS1_35adjacent_difference_config_selectorILb1ElEEZNS1_24adjacent_difference_implIS3_Lb1ELb0EPlS7_ZN2at6native12_GLOBAL__N_124unique_dim_cuda_templateIsEESt5tupleIJNS8_6TensorESD_SD_EERKSD_lbbbEUlllE1_EE10hipError_tPvRmT2_T3_mT4_P12ihipStream_tbEUlT_E_NS1_11comp_targetILNS1_3genE4ELNS1_11target_archE910ELNS1_3gpuE8ELNS1_3repE0EEENS1_30default_config_static_selectorELNS0_4arch9wavefront6targetE0EEEvT1_,"axG",@progbits,_ZN7rocprim17ROCPRIM_400000_NS6detail17trampoline_kernelINS0_14default_configENS1_35adjacent_difference_config_selectorILb1ElEEZNS1_24adjacent_difference_implIS3_Lb1ELb0EPlS7_ZN2at6native12_GLOBAL__N_124unique_dim_cuda_templateIsEESt5tupleIJNS8_6TensorESD_SD_EERKSD_lbbbEUlllE1_EE10hipError_tPvRmT2_T3_mT4_P12ihipStream_tbEUlT_E_NS1_11comp_targetILNS1_3genE4ELNS1_11target_archE910ELNS1_3gpuE8ELNS1_3repE0EEENS1_30default_config_static_selectorELNS0_4arch9wavefront6targetE0EEEvT1_,comdat
	.globl	_ZN7rocprim17ROCPRIM_400000_NS6detail17trampoline_kernelINS0_14default_configENS1_35adjacent_difference_config_selectorILb1ElEEZNS1_24adjacent_difference_implIS3_Lb1ELb0EPlS7_ZN2at6native12_GLOBAL__N_124unique_dim_cuda_templateIsEESt5tupleIJNS8_6TensorESD_SD_EERKSD_lbbbEUlllE1_EE10hipError_tPvRmT2_T3_mT4_P12ihipStream_tbEUlT_E_NS1_11comp_targetILNS1_3genE4ELNS1_11target_archE910ELNS1_3gpuE8ELNS1_3repE0EEENS1_30default_config_static_selectorELNS0_4arch9wavefront6targetE0EEEvT1_ ; -- Begin function _ZN7rocprim17ROCPRIM_400000_NS6detail17trampoline_kernelINS0_14default_configENS1_35adjacent_difference_config_selectorILb1ElEEZNS1_24adjacent_difference_implIS3_Lb1ELb0EPlS7_ZN2at6native12_GLOBAL__N_124unique_dim_cuda_templateIsEESt5tupleIJNS8_6TensorESD_SD_EERKSD_lbbbEUlllE1_EE10hipError_tPvRmT2_T3_mT4_P12ihipStream_tbEUlT_E_NS1_11comp_targetILNS1_3genE4ELNS1_11target_archE910ELNS1_3gpuE8ELNS1_3repE0EEENS1_30default_config_static_selectorELNS0_4arch9wavefront6targetE0EEEvT1_
	.p2align	8
	.type	_ZN7rocprim17ROCPRIM_400000_NS6detail17trampoline_kernelINS0_14default_configENS1_35adjacent_difference_config_selectorILb1ElEEZNS1_24adjacent_difference_implIS3_Lb1ELb0EPlS7_ZN2at6native12_GLOBAL__N_124unique_dim_cuda_templateIsEESt5tupleIJNS8_6TensorESD_SD_EERKSD_lbbbEUlllE1_EE10hipError_tPvRmT2_T3_mT4_P12ihipStream_tbEUlT_E_NS1_11comp_targetILNS1_3genE4ELNS1_11target_archE910ELNS1_3gpuE8ELNS1_3repE0EEENS1_30default_config_static_selectorELNS0_4arch9wavefront6targetE0EEEvT1_,@function
_ZN7rocprim17ROCPRIM_400000_NS6detail17trampoline_kernelINS0_14default_configENS1_35adjacent_difference_config_selectorILb1ElEEZNS1_24adjacent_difference_implIS3_Lb1ELb0EPlS7_ZN2at6native12_GLOBAL__N_124unique_dim_cuda_templateIsEESt5tupleIJNS8_6TensorESD_SD_EERKSD_lbbbEUlllE1_EE10hipError_tPvRmT2_T3_mT4_P12ihipStream_tbEUlT_E_NS1_11comp_targetILNS1_3genE4ELNS1_11target_archE910ELNS1_3gpuE8ELNS1_3repE0EEENS1_30default_config_static_selectorELNS0_4arch9wavefront6targetE0EEEvT1_: ; @_ZN7rocprim17ROCPRIM_400000_NS6detail17trampoline_kernelINS0_14default_configENS1_35adjacent_difference_config_selectorILb1ElEEZNS1_24adjacent_difference_implIS3_Lb1ELb0EPlS7_ZN2at6native12_GLOBAL__N_124unique_dim_cuda_templateIsEESt5tupleIJNS8_6TensorESD_SD_EERKSD_lbbbEUlllE1_EE10hipError_tPvRmT2_T3_mT4_P12ihipStream_tbEUlT_E_NS1_11comp_targetILNS1_3genE4ELNS1_11target_archE910ELNS1_3gpuE8ELNS1_3repE0EEENS1_30default_config_static_selectorELNS0_4arch9wavefront6targetE0EEEvT1_
; %bb.0:
	.section	.rodata,"a",@progbits
	.p2align	6, 0x0
	.amdhsa_kernel _ZN7rocprim17ROCPRIM_400000_NS6detail17trampoline_kernelINS0_14default_configENS1_35adjacent_difference_config_selectorILb1ElEEZNS1_24adjacent_difference_implIS3_Lb1ELb0EPlS7_ZN2at6native12_GLOBAL__N_124unique_dim_cuda_templateIsEESt5tupleIJNS8_6TensorESD_SD_EERKSD_lbbbEUlllE1_EE10hipError_tPvRmT2_T3_mT4_P12ihipStream_tbEUlT_E_NS1_11comp_targetILNS1_3genE4ELNS1_11target_archE910ELNS1_3gpuE8ELNS1_3repE0EEENS1_30default_config_static_selectorELNS0_4arch9wavefront6targetE0EEEvT1_
		.amdhsa_group_segment_fixed_size 0
		.amdhsa_private_segment_fixed_size 0
		.amdhsa_kernarg_size 64
		.amdhsa_user_sgpr_count 2
		.amdhsa_user_sgpr_dispatch_ptr 0
		.amdhsa_user_sgpr_queue_ptr 0
		.amdhsa_user_sgpr_kernarg_segment_ptr 1
		.amdhsa_user_sgpr_dispatch_id 0
		.amdhsa_user_sgpr_kernarg_preload_length 0
		.amdhsa_user_sgpr_kernarg_preload_offset 0
		.amdhsa_user_sgpr_private_segment_size 0
		.amdhsa_wavefront_size32 1
		.amdhsa_uses_dynamic_stack 0
		.amdhsa_enable_private_segment 0
		.amdhsa_system_sgpr_workgroup_id_x 1
		.amdhsa_system_sgpr_workgroup_id_y 0
		.amdhsa_system_sgpr_workgroup_id_z 0
		.amdhsa_system_sgpr_workgroup_info 0
		.amdhsa_system_vgpr_workitem_id 0
		.amdhsa_next_free_vgpr 1
		.amdhsa_next_free_sgpr 1
		.amdhsa_named_barrier_count 0
		.amdhsa_reserve_vcc 0
		.amdhsa_float_round_mode_32 0
		.amdhsa_float_round_mode_16_64 0
		.amdhsa_float_denorm_mode_32 3
		.amdhsa_float_denorm_mode_16_64 3
		.amdhsa_fp16_overflow 0
		.amdhsa_memory_ordered 1
		.amdhsa_forward_progress 1
		.amdhsa_inst_pref_size 0
		.amdhsa_round_robin_scheduling 0
		.amdhsa_exception_fp_ieee_invalid_op 0
		.amdhsa_exception_fp_denorm_src 0
		.amdhsa_exception_fp_ieee_div_zero 0
		.amdhsa_exception_fp_ieee_overflow 0
		.amdhsa_exception_fp_ieee_underflow 0
		.amdhsa_exception_fp_ieee_inexact 0
		.amdhsa_exception_int_div_zero 0
	.end_amdhsa_kernel
	.section	.text._ZN7rocprim17ROCPRIM_400000_NS6detail17trampoline_kernelINS0_14default_configENS1_35adjacent_difference_config_selectorILb1ElEEZNS1_24adjacent_difference_implIS3_Lb1ELb0EPlS7_ZN2at6native12_GLOBAL__N_124unique_dim_cuda_templateIsEESt5tupleIJNS8_6TensorESD_SD_EERKSD_lbbbEUlllE1_EE10hipError_tPvRmT2_T3_mT4_P12ihipStream_tbEUlT_E_NS1_11comp_targetILNS1_3genE4ELNS1_11target_archE910ELNS1_3gpuE8ELNS1_3repE0EEENS1_30default_config_static_selectorELNS0_4arch9wavefront6targetE0EEEvT1_,"axG",@progbits,_ZN7rocprim17ROCPRIM_400000_NS6detail17trampoline_kernelINS0_14default_configENS1_35adjacent_difference_config_selectorILb1ElEEZNS1_24adjacent_difference_implIS3_Lb1ELb0EPlS7_ZN2at6native12_GLOBAL__N_124unique_dim_cuda_templateIsEESt5tupleIJNS8_6TensorESD_SD_EERKSD_lbbbEUlllE1_EE10hipError_tPvRmT2_T3_mT4_P12ihipStream_tbEUlT_E_NS1_11comp_targetILNS1_3genE4ELNS1_11target_archE910ELNS1_3gpuE8ELNS1_3repE0EEENS1_30default_config_static_selectorELNS0_4arch9wavefront6targetE0EEEvT1_,comdat
.Lfunc_end680:
	.size	_ZN7rocprim17ROCPRIM_400000_NS6detail17trampoline_kernelINS0_14default_configENS1_35adjacent_difference_config_selectorILb1ElEEZNS1_24adjacent_difference_implIS3_Lb1ELb0EPlS7_ZN2at6native12_GLOBAL__N_124unique_dim_cuda_templateIsEESt5tupleIJNS8_6TensorESD_SD_EERKSD_lbbbEUlllE1_EE10hipError_tPvRmT2_T3_mT4_P12ihipStream_tbEUlT_E_NS1_11comp_targetILNS1_3genE4ELNS1_11target_archE910ELNS1_3gpuE8ELNS1_3repE0EEENS1_30default_config_static_selectorELNS0_4arch9wavefront6targetE0EEEvT1_, .Lfunc_end680-_ZN7rocprim17ROCPRIM_400000_NS6detail17trampoline_kernelINS0_14default_configENS1_35adjacent_difference_config_selectorILb1ElEEZNS1_24adjacent_difference_implIS3_Lb1ELb0EPlS7_ZN2at6native12_GLOBAL__N_124unique_dim_cuda_templateIsEESt5tupleIJNS8_6TensorESD_SD_EERKSD_lbbbEUlllE1_EE10hipError_tPvRmT2_T3_mT4_P12ihipStream_tbEUlT_E_NS1_11comp_targetILNS1_3genE4ELNS1_11target_archE910ELNS1_3gpuE8ELNS1_3repE0EEENS1_30default_config_static_selectorELNS0_4arch9wavefront6targetE0EEEvT1_
                                        ; -- End function
	.set _ZN7rocprim17ROCPRIM_400000_NS6detail17trampoline_kernelINS0_14default_configENS1_35adjacent_difference_config_selectorILb1ElEEZNS1_24adjacent_difference_implIS3_Lb1ELb0EPlS7_ZN2at6native12_GLOBAL__N_124unique_dim_cuda_templateIsEESt5tupleIJNS8_6TensorESD_SD_EERKSD_lbbbEUlllE1_EE10hipError_tPvRmT2_T3_mT4_P12ihipStream_tbEUlT_E_NS1_11comp_targetILNS1_3genE4ELNS1_11target_archE910ELNS1_3gpuE8ELNS1_3repE0EEENS1_30default_config_static_selectorELNS0_4arch9wavefront6targetE0EEEvT1_.num_vgpr, 0
	.set _ZN7rocprim17ROCPRIM_400000_NS6detail17trampoline_kernelINS0_14default_configENS1_35adjacent_difference_config_selectorILb1ElEEZNS1_24adjacent_difference_implIS3_Lb1ELb0EPlS7_ZN2at6native12_GLOBAL__N_124unique_dim_cuda_templateIsEESt5tupleIJNS8_6TensorESD_SD_EERKSD_lbbbEUlllE1_EE10hipError_tPvRmT2_T3_mT4_P12ihipStream_tbEUlT_E_NS1_11comp_targetILNS1_3genE4ELNS1_11target_archE910ELNS1_3gpuE8ELNS1_3repE0EEENS1_30default_config_static_selectorELNS0_4arch9wavefront6targetE0EEEvT1_.num_agpr, 0
	.set _ZN7rocprim17ROCPRIM_400000_NS6detail17trampoline_kernelINS0_14default_configENS1_35adjacent_difference_config_selectorILb1ElEEZNS1_24adjacent_difference_implIS3_Lb1ELb0EPlS7_ZN2at6native12_GLOBAL__N_124unique_dim_cuda_templateIsEESt5tupleIJNS8_6TensorESD_SD_EERKSD_lbbbEUlllE1_EE10hipError_tPvRmT2_T3_mT4_P12ihipStream_tbEUlT_E_NS1_11comp_targetILNS1_3genE4ELNS1_11target_archE910ELNS1_3gpuE8ELNS1_3repE0EEENS1_30default_config_static_selectorELNS0_4arch9wavefront6targetE0EEEvT1_.numbered_sgpr, 0
	.set _ZN7rocprim17ROCPRIM_400000_NS6detail17trampoline_kernelINS0_14default_configENS1_35adjacent_difference_config_selectorILb1ElEEZNS1_24adjacent_difference_implIS3_Lb1ELb0EPlS7_ZN2at6native12_GLOBAL__N_124unique_dim_cuda_templateIsEESt5tupleIJNS8_6TensorESD_SD_EERKSD_lbbbEUlllE1_EE10hipError_tPvRmT2_T3_mT4_P12ihipStream_tbEUlT_E_NS1_11comp_targetILNS1_3genE4ELNS1_11target_archE910ELNS1_3gpuE8ELNS1_3repE0EEENS1_30default_config_static_selectorELNS0_4arch9wavefront6targetE0EEEvT1_.num_named_barrier, 0
	.set _ZN7rocprim17ROCPRIM_400000_NS6detail17trampoline_kernelINS0_14default_configENS1_35adjacent_difference_config_selectorILb1ElEEZNS1_24adjacent_difference_implIS3_Lb1ELb0EPlS7_ZN2at6native12_GLOBAL__N_124unique_dim_cuda_templateIsEESt5tupleIJNS8_6TensorESD_SD_EERKSD_lbbbEUlllE1_EE10hipError_tPvRmT2_T3_mT4_P12ihipStream_tbEUlT_E_NS1_11comp_targetILNS1_3genE4ELNS1_11target_archE910ELNS1_3gpuE8ELNS1_3repE0EEENS1_30default_config_static_selectorELNS0_4arch9wavefront6targetE0EEEvT1_.private_seg_size, 0
	.set _ZN7rocprim17ROCPRIM_400000_NS6detail17trampoline_kernelINS0_14default_configENS1_35adjacent_difference_config_selectorILb1ElEEZNS1_24adjacent_difference_implIS3_Lb1ELb0EPlS7_ZN2at6native12_GLOBAL__N_124unique_dim_cuda_templateIsEESt5tupleIJNS8_6TensorESD_SD_EERKSD_lbbbEUlllE1_EE10hipError_tPvRmT2_T3_mT4_P12ihipStream_tbEUlT_E_NS1_11comp_targetILNS1_3genE4ELNS1_11target_archE910ELNS1_3gpuE8ELNS1_3repE0EEENS1_30default_config_static_selectorELNS0_4arch9wavefront6targetE0EEEvT1_.uses_vcc, 0
	.set _ZN7rocprim17ROCPRIM_400000_NS6detail17trampoline_kernelINS0_14default_configENS1_35adjacent_difference_config_selectorILb1ElEEZNS1_24adjacent_difference_implIS3_Lb1ELb0EPlS7_ZN2at6native12_GLOBAL__N_124unique_dim_cuda_templateIsEESt5tupleIJNS8_6TensorESD_SD_EERKSD_lbbbEUlllE1_EE10hipError_tPvRmT2_T3_mT4_P12ihipStream_tbEUlT_E_NS1_11comp_targetILNS1_3genE4ELNS1_11target_archE910ELNS1_3gpuE8ELNS1_3repE0EEENS1_30default_config_static_selectorELNS0_4arch9wavefront6targetE0EEEvT1_.uses_flat_scratch, 0
	.set _ZN7rocprim17ROCPRIM_400000_NS6detail17trampoline_kernelINS0_14default_configENS1_35adjacent_difference_config_selectorILb1ElEEZNS1_24adjacent_difference_implIS3_Lb1ELb0EPlS7_ZN2at6native12_GLOBAL__N_124unique_dim_cuda_templateIsEESt5tupleIJNS8_6TensorESD_SD_EERKSD_lbbbEUlllE1_EE10hipError_tPvRmT2_T3_mT4_P12ihipStream_tbEUlT_E_NS1_11comp_targetILNS1_3genE4ELNS1_11target_archE910ELNS1_3gpuE8ELNS1_3repE0EEENS1_30default_config_static_selectorELNS0_4arch9wavefront6targetE0EEEvT1_.has_dyn_sized_stack, 0
	.set _ZN7rocprim17ROCPRIM_400000_NS6detail17trampoline_kernelINS0_14default_configENS1_35adjacent_difference_config_selectorILb1ElEEZNS1_24adjacent_difference_implIS3_Lb1ELb0EPlS7_ZN2at6native12_GLOBAL__N_124unique_dim_cuda_templateIsEESt5tupleIJNS8_6TensorESD_SD_EERKSD_lbbbEUlllE1_EE10hipError_tPvRmT2_T3_mT4_P12ihipStream_tbEUlT_E_NS1_11comp_targetILNS1_3genE4ELNS1_11target_archE910ELNS1_3gpuE8ELNS1_3repE0EEENS1_30default_config_static_selectorELNS0_4arch9wavefront6targetE0EEEvT1_.has_recursion, 0
	.set _ZN7rocprim17ROCPRIM_400000_NS6detail17trampoline_kernelINS0_14default_configENS1_35adjacent_difference_config_selectorILb1ElEEZNS1_24adjacent_difference_implIS3_Lb1ELb0EPlS7_ZN2at6native12_GLOBAL__N_124unique_dim_cuda_templateIsEESt5tupleIJNS8_6TensorESD_SD_EERKSD_lbbbEUlllE1_EE10hipError_tPvRmT2_T3_mT4_P12ihipStream_tbEUlT_E_NS1_11comp_targetILNS1_3genE4ELNS1_11target_archE910ELNS1_3gpuE8ELNS1_3repE0EEENS1_30default_config_static_selectorELNS0_4arch9wavefront6targetE0EEEvT1_.has_indirect_call, 0
	.section	.AMDGPU.csdata,"",@progbits
; Kernel info:
; codeLenInByte = 0
; TotalNumSgprs: 0
; NumVgprs: 0
; ScratchSize: 0
; MemoryBound: 0
; FloatMode: 240
; IeeeMode: 1
; LDSByteSize: 0 bytes/workgroup (compile time only)
; SGPRBlocks: 0
; VGPRBlocks: 0
; NumSGPRsForWavesPerEU: 1
; NumVGPRsForWavesPerEU: 1
; NamedBarCnt: 0
; Occupancy: 16
; WaveLimiterHint : 0
; COMPUTE_PGM_RSRC2:SCRATCH_EN: 0
; COMPUTE_PGM_RSRC2:USER_SGPR: 2
; COMPUTE_PGM_RSRC2:TRAP_HANDLER: 0
; COMPUTE_PGM_RSRC2:TGID_X_EN: 1
; COMPUTE_PGM_RSRC2:TGID_Y_EN: 0
; COMPUTE_PGM_RSRC2:TGID_Z_EN: 0
; COMPUTE_PGM_RSRC2:TIDIG_COMP_CNT: 0
	.section	.text._ZN7rocprim17ROCPRIM_400000_NS6detail17trampoline_kernelINS0_14default_configENS1_35adjacent_difference_config_selectorILb1ElEEZNS1_24adjacent_difference_implIS3_Lb1ELb0EPlS7_ZN2at6native12_GLOBAL__N_124unique_dim_cuda_templateIsEESt5tupleIJNS8_6TensorESD_SD_EERKSD_lbbbEUlllE1_EE10hipError_tPvRmT2_T3_mT4_P12ihipStream_tbEUlT_E_NS1_11comp_targetILNS1_3genE3ELNS1_11target_archE908ELNS1_3gpuE7ELNS1_3repE0EEENS1_30default_config_static_selectorELNS0_4arch9wavefront6targetE0EEEvT1_,"axG",@progbits,_ZN7rocprim17ROCPRIM_400000_NS6detail17trampoline_kernelINS0_14default_configENS1_35adjacent_difference_config_selectorILb1ElEEZNS1_24adjacent_difference_implIS3_Lb1ELb0EPlS7_ZN2at6native12_GLOBAL__N_124unique_dim_cuda_templateIsEESt5tupleIJNS8_6TensorESD_SD_EERKSD_lbbbEUlllE1_EE10hipError_tPvRmT2_T3_mT4_P12ihipStream_tbEUlT_E_NS1_11comp_targetILNS1_3genE3ELNS1_11target_archE908ELNS1_3gpuE7ELNS1_3repE0EEENS1_30default_config_static_selectorELNS0_4arch9wavefront6targetE0EEEvT1_,comdat
	.globl	_ZN7rocprim17ROCPRIM_400000_NS6detail17trampoline_kernelINS0_14default_configENS1_35adjacent_difference_config_selectorILb1ElEEZNS1_24adjacent_difference_implIS3_Lb1ELb0EPlS7_ZN2at6native12_GLOBAL__N_124unique_dim_cuda_templateIsEESt5tupleIJNS8_6TensorESD_SD_EERKSD_lbbbEUlllE1_EE10hipError_tPvRmT2_T3_mT4_P12ihipStream_tbEUlT_E_NS1_11comp_targetILNS1_3genE3ELNS1_11target_archE908ELNS1_3gpuE7ELNS1_3repE0EEENS1_30default_config_static_selectorELNS0_4arch9wavefront6targetE0EEEvT1_ ; -- Begin function _ZN7rocprim17ROCPRIM_400000_NS6detail17trampoline_kernelINS0_14default_configENS1_35adjacent_difference_config_selectorILb1ElEEZNS1_24adjacent_difference_implIS3_Lb1ELb0EPlS7_ZN2at6native12_GLOBAL__N_124unique_dim_cuda_templateIsEESt5tupleIJNS8_6TensorESD_SD_EERKSD_lbbbEUlllE1_EE10hipError_tPvRmT2_T3_mT4_P12ihipStream_tbEUlT_E_NS1_11comp_targetILNS1_3genE3ELNS1_11target_archE908ELNS1_3gpuE7ELNS1_3repE0EEENS1_30default_config_static_selectorELNS0_4arch9wavefront6targetE0EEEvT1_
	.p2align	8
	.type	_ZN7rocprim17ROCPRIM_400000_NS6detail17trampoline_kernelINS0_14default_configENS1_35adjacent_difference_config_selectorILb1ElEEZNS1_24adjacent_difference_implIS3_Lb1ELb0EPlS7_ZN2at6native12_GLOBAL__N_124unique_dim_cuda_templateIsEESt5tupleIJNS8_6TensorESD_SD_EERKSD_lbbbEUlllE1_EE10hipError_tPvRmT2_T3_mT4_P12ihipStream_tbEUlT_E_NS1_11comp_targetILNS1_3genE3ELNS1_11target_archE908ELNS1_3gpuE7ELNS1_3repE0EEENS1_30default_config_static_selectorELNS0_4arch9wavefront6targetE0EEEvT1_,@function
_ZN7rocprim17ROCPRIM_400000_NS6detail17trampoline_kernelINS0_14default_configENS1_35adjacent_difference_config_selectorILb1ElEEZNS1_24adjacent_difference_implIS3_Lb1ELb0EPlS7_ZN2at6native12_GLOBAL__N_124unique_dim_cuda_templateIsEESt5tupleIJNS8_6TensorESD_SD_EERKSD_lbbbEUlllE1_EE10hipError_tPvRmT2_T3_mT4_P12ihipStream_tbEUlT_E_NS1_11comp_targetILNS1_3genE3ELNS1_11target_archE908ELNS1_3gpuE7ELNS1_3repE0EEENS1_30default_config_static_selectorELNS0_4arch9wavefront6targetE0EEEvT1_: ; @_ZN7rocprim17ROCPRIM_400000_NS6detail17trampoline_kernelINS0_14default_configENS1_35adjacent_difference_config_selectorILb1ElEEZNS1_24adjacent_difference_implIS3_Lb1ELb0EPlS7_ZN2at6native12_GLOBAL__N_124unique_dim_cuda_templateIsEESt5tupleIJNS8_6TensorESD_SD_EERKSD_lbbbEUlllE1_EE10hipError_tPvRmT2_T3_mT4_P12ihipStream_tbEUlT_E_NS1_11comp_targetILNS1_3genE3ELNS1_11target_archE908ELNS1_3gpuE7ELNS1_3repE0EEENS1_30default_config_static_selectorELNS0_4arch9wavefront6targetE0EEEvT1_
; %bb.0:
	.section	.rodata,"a",@progbits
	.p2align	6, 0x0
	.amdhsa_kernel _ZN7rocprim17ROCPRIM_400000_NS6detail17trampoline_kernelINS0_14default_configENS1_35adjacent_difference_config_selectorILb1ElEEZNS1_24adjacent_difference_implIS3_Lb1ELb0EPlS7_ZN2at6native12_GLOBAL__N_124unique_dim_cuda_templateIsEESt5tupleIJNS8_6TensorESD_SD_EERKSD_lbbbEUlllE1_EE10hipError_tPvRmT2_T3_mT4_P12ihipStream_tbEUlT_E_NS1_11comp_targetILNS1_3genE3ELNS1_11target_archE908ELNS1_3gpuE7ELNS1_3repE0EEENS1_30default_config_static_selectorELNS0_4arch9wavefront6targetE0EEEvT1_
		.amdhsa_group_segment_fixed_size 0
		.amdhsa_private_segment_fixed_size 0
		.amdhsa_kernarg_size 64
		.amdhsa_user_sgpr_count 2
		.amdhsa_user_sgpr_dispatch_ptr 0
		.amdhsa_user_sgpr_queue_ptr 0
		.amdhsa_user_sgpr_kernarg_segment_ptr 1
		.amdhsa_user_sgpr_dispatch_id 0
		.amdhsa_user_sgpr_kernarg_preload_length 0
		.amdhsa_user_sgpr_kernarg_preload_offset 0
		.amdhsa_user_sgpr_private_segment_size 0
		.amdhsa_wavefront_size32 1
		.amdhsa_uses_dynamic_stack 0
		.amdhsa_enable_private_segment 0
		.amdhsa_system_sgpr_workgroup_id_x 1
		.amdhsa_system_sgpr_workgroup_id_y 0
		.amdhsa_system_sgpr_workgroup_id_z 0
		.amdhsa_system_sgpr_workgroup_info 0
		.amdhsa_system_vgpr_workitem_id 0
		.amdhsa_next_free_vgpr 1
		.amdhsa_next_free_sgpr 1
		.amdhsa_named_barrier_count 0
		.amdhsa_reserve_vcc 0
		.amdhsa_float_round_mode_32 0
		.amdhsa_float_round_mode_16_64 0
		.amdhsa_float_denorm_mode_32 3
		.amdhsa_float_denorm_mode_16_64 3
		.amdhsa_fp16_overflow 0
		.amdhsa_memory_ordered 1
		.amdhsa_forward_progress 1
		.amdhsa_inst_pref_size 0
		.amdhsa_round_robin_scheduling 0
		.amdhsa_exception_fp_ieee_invalid_op 0
		.amdhsa_exception_fp_denorm_src 0
		.amdhsa_exception_fp_ieee_div_zero 0
		.amdhsa_exception_fp_ieee_overflow 0
		.amdhsa_exception_fp_ieee_underflow 0
		.amdhsa_exception_fp_ieee_inexact 0
		.amdhsa_exception_int_div_zero 0
	.end_amdhsa_kernel
	.section	.text._ZN7rocprim17ROCPRIM_400000_NS6detail17trampoline_kernelINS0_14default_configENS1_35adjacent_difference_config_selectorILb1ElEEZNS1_24adjacent_difference_implIS3_Lb1ELb0EPlS7_ZN2at6native12_GLOBAL__N_124unique_dim_cuda_templateIsEESt5tupleIJNS8_6TensorESD_SD_EERKSD_lbbbEUlllE1_EE10hipError_tPvRmT2_T3_mT4_P12ihipStream_tbEUlT_E_NS1_11comp_targetILNS1_3genE3ELNS1_11target_archE908ELNS1_3gpuE7ELNS1_3repE0EEENS1_30default_config_static_selectorELNS0_4arch9wavefront6targetE0EEEvT1_,"axG",@progbits,_ZN7rocprim17ROCPRIM_400000_NS6detail17trampoline_kernelINS0_14default_configENS1_35adjacent_difference_config_selectorILb1ElEEZNS1_24adjacent_difference_implIS3_Lb1ELb0EPlS7_ZN2at6native12_GLOBAL__N_124unique_dim_cuda_templateIsEESt5tupleIJNS8_6TensorESD_SD_EERKSD_lbbbEUlllE1_EE10hipError_tPvRmT2_T3_mT4_P12ihipStream_tbEUlT_E_NS1_11comp_targetILNS1_3genE3ELNS1_11target_archE908ELNS1_3gpuE7ELNS1_3repE0EEENS1_30default_config_static_selectorELNS0_4arch9wavefront6targetE0EEEvT1_,comdat
.Lfunc_end681:
	.size	_ZN7rocprim17ROCPRIM_400000_NS6detail17trampoline_kernelINS0_14default_configENS1_35adjacent_difference_config_selectorILb1ElEEZNS1_24adjacent_difference_implIS3_Lb1ELb0EPlS7_ZN2at6native12_GLOBAL__N_124unique_dim_cuda_templateIsEESt5tupleIJNS8_6TensorESD_SD_EERKSD_lbbbEUlllE1_EE10hipError_tPvRmT2_T3_mT4_P12ihipStream_tbEUlT_E_NS1_11comp_targetILNS1_3genE3ELNS1_11target_archE908ELNS1_3gpuE7ELNS1_3repE0EEENS1_30default_config_static_selectorELNS0_4arch9wavefront6targetE0EEEvT1_, .Lfunc_end681-_ZN7rocprim17ROCPRIM_400000_NS6detail17trampoline_kernelINS0_14default_configENS1_35adjacent_difference_config_selectorILb1ElEEZNS1_24adjacent_difference_implIS3_Lb1ELb0EPlS7_ZN2at6native12_GLOBAL__N_124unique_dim_cuda_templateIsEESt5tupleIJNS8_6TensorESD_SD_EERKSD_lbbbEUlllE1_EE10hipError_tPvRmT2_T3_mT4_P12ihipStream_tbEUlT_E_NS1_11comp_targetILNS1_3genE3ELNS1_11target_archE908ELNS1_3gpuE7ELNS1_3repE0EEENS1_30default_config_static_selectorELNS0_4arch9wavefront6targetE0EEEvT1_
                                        ; -- End function
	.set _ZN7rocprim17ROCPRIM_400000_NS6detail17trampoline_kernelINS0_14default_configENS1_35adjacent_difference_config_selectorILb1ElEEZNS1_24adjacent_difference_implIS3_Lb1ELb0EPlS7_ZN2at6native12_GLOBAL__N_124unique_dim_cuda_templateIsEESt5tupleIJNS8_6TensorESD_SD_EERKSD_lbbbEUlllE1_EE10hipError_tPvRmT2_T3_mT4_P12ihipStream_tbEUlT_E_NS1_11comp_targetILNS1_3genE3ELNS1_11target_archE908ELNS1_3gpuE7ELNS1_3repE0EEENS1_30default_config_static_selectorELNS0_4arch9wavefront6targetE0EEEvT1_.num_vgpr, 0
	.set _ZN7rocprim17ROCPRIM_400000_NS6detail17trampoline_kernelINS0_14default_configENS1_35adjacent_difference_config_selectorILb1ElEEZNS1_24adjacent_difference_implIS3_Lb1ELb0EPlS7_ZN2at6native12_GLOBAL__N_124unique_dim_cuda_templateIsEESt5tupleIJNS8_6TensorESD_SD_EERKSD_lbbbEUlllE1_EE10hipError_tPvRmT2_T3_mT4_P12ihipStream_tbEUlT_E_NS1_11comp_targetILNS1_3genE3ELNS1_11target_archE908ELNS1_3gpuE7ELNS1_3repE0EEENS1_30default_config_static_selectorELNS0_4arch9wavefront6targetE0EEEvT1_.num_agpr, 0
	.set _ZN7rocprim17ROCPRIM_400000_NS6detail17trampoline_kernelINS0_14default_configENS1_35adjacent_difference_config_selectorILb1ElEEZNS1_24adjacent_difference_implIS3_Lb1ELb0EPlS7_ZN2at6native12_GLOBAL__N_124unique_dim_cuda_templateIsEESt5tupleIJNS8_6TensorESD_SD_EERKSD_lbbbEUlllE1_EE10hipError_tPvRmT2_T3_mT4_P12ihipStream_tbEUlT_E_NS1_11comp_targetILNS1_3genE3ELNS1_11target_archE908ELNS1_3gpuE7ELNS1_3repE0EEENS1_30default_config_static_selectorELNS0_4arch9wavefront6targetE0EEEvT1_.numbered_sgpr, 0
	.set _ZN7rocprim17ROCPRIM_400000_NS6detail17trampoline_kernelINS0_14default_configENS1_35adjacent_difference_config_selectorILb1ElEEZNS1_24adjacent_difference_implIS3_Lb1ELb0EPlS7_ZN2at6native12_GLOBAL__N_124unique_dim_cuda_templateIsEESt5tupleIJNS8_6TensorESD_SD_EERKSD_lbbbEUlllE1_EE10hipError_tPvRmT2_T3_mT4_P12ihipStream_tbEUlT_E_NS1_11comp_targetILNS1_3genE3ELNS1_11target_archE908ELNS1_3gpuE7ELNS1_3repE0EEENS1_30default_config_static_selectorELNS0_4arch9wavefront6targetE0EEEvT1_.num_named_barrier, 0
	.set _ZN7rocprim17ROCPRIM_400000_NS6detail17trampoline_kernelINS0_14default_configENS1_35adjacent_difference_config_selectorILb1ElEEZNS1_24adjacent_difference_implIS3_Lb1ELb0EPlS7_ZN2at6native12_GLOBAL__N_124unique_dim_cuda_templateIsEESt5tupleIJNS8_6TensorESD_SD_EERKSD_lbbbEUlllE1_EE10hipError_tPvRmT2_T3_mT4_P12ihipStream_tbEUlT_E_NS1_11comp_targetILNS1_3genE3ELNS1_11target_archE908ELNS1_3gpuE7ELNS1_3repE0EEENS1_30default_config_static_selectorELNS0_4arch9wavefront6targetE0EEEvT1_.private_seg_size, 0
	.set _ZN7rocprim17ROCPRIM_400000_NS6detail17trampoline_kernelINS0_14default_configENS1_35adjacent_difference_config_selectorILb1ElEEZNS1_24adjacent_difference_implIS3_Lb1ELb0EPlS7_ZN2at6native12_GLOBAL__N_124unique_dim_cuda_templateIsEESt5tupleIJNS8_6TensorESD_SD_EERKSD_lbbbEUlllE1_EE10hipError_tPvRmT2_T3_mT4_P12ihipStream_tbEUlT_E_NS1_11comp_targetILNS1_3genE3ELNS1_11target_archE908ELNS1_3gpuE7ELNS1_3repE0EEENS1_30default_config_static_selectorELNS0_4arch9wavefront6targetE0EEEvT1_.uses_vcc, 0
	.set _ZN7rocprim17ROCPRIM_400000_NS6detail17trampoline_kernelINS0_14default_configENS1_35adjacent_difference_config_selectorILb1ElEEZNS1_24adjacent_difference_implIS3_Lb1ELb0EPlS7_ZN2at6native12_GLOBAL__N_124unique_dim_cuda_templateIsEESt5tupleIJNS8_6TensorESD_SD_EERKSD_lbbbEUlllE1_EE10hipError_tPvRmT2_T3_mT4_P12ihipStream_tbEUlT_E_NS1_11comp_targetILNS1_3genE3ELNS1_11target_archE908ELNS1_3gpuE7ELNS1_3repE0EEENS1_30default_config_static_selectorELNS0_4arch9wavefront6targetE0EEEvT1_.uses_flat_scratch, 0
	.set _ZN7rocprim17ROCPRIM_400000_NS6detail17trampoline_kernelINS0_14default_configENS1_35adjacent_difference_config_selectorILb1ElEEZNS1_24adjacent_difference_implIS3_Lb1ELb0EPlS7_ZN2at6native12_GLOBAL__N_124unique_dim_cuda_templateIsEESt5tupleIJNS8_6TensorESD_SD_EERKSD_lbbbEUlllE1_EE10hipError_tPvRmT2_T3_mT4_P12ihipStream_tbEUlT_E_NS1_11comp_targetILNS1_3genE3ELNS1_11target_archE908ELNS1_3gpuE7ELNS1_3repE0EEENS1_30default_config_static_selectorELNS0_4arch9wavefront6targetE0EEEvT1_.has_dyn_sized_stack, 0
	.set _ZN7rocprim17ROCPRIM_400000_NS6detail17trampoline_kernelINS0_14default_configENS1_35adjacent_difference_config_selectorILb1ElEEZNS1_24adjacent_difference_implIS3_Lb1ELb0EPlS7_ZN2at6native12_GLOBAL__N_124unique_dim_cuda_templateIsEESt5tupleIJNS8_6TensorESD_SD_EERKSD_lbbbEUlllE1_EE10hipError_tPvRmT2_T3_mT4_P12ihipStream_tbEUlT_E_NS1_11comp_targetILNS1_3genE3ELNS1_11target_archE908ELNS1_3gpuE7ELNS1_3repE0EEENS1_30default_config_static_selectorELNS0_4arch9wavefront6targetE0EEEvT1_.has_recursion, 0
	.set _ZN7rocprim17ROCPRIM_400000_NS6detail17trampoline_kernelINS0_14default_configENS1_35adjacent_difference_config_selectorILb1ElEEZNS1_24adjacent_difference_implIS3_Lb1ELb0EPlS7_ZN2at6native12_GLOBAL__N_124unique_dim_cuda_templateIsEESt5tupleIJNS8_6TensorESD_SD_EERKSD_lbbbEUlllE1_EE10hipError_tPvRmT2_T3_mT4_P12ihipStream_tbEUlT_E_NS1_11comp_targetILNS1_3genE3ELNS1_11target_archE908ELNS1_3gpuE7ELNS1_3repE0EEENS1_30default_config_static_selectorELNS0_4arch9wavefront6targetE0EEEvT1_.has_indirect_call, 0
	.section	.AMDGPU.csdata,"",@progbits
; Kernel info:
; codeLenInByte = 0
; TotalNumSgprs: 0
; NumVgprs: 0
; ScratchSize: 0
; MemoryBound: 0
; FloatMode: 240
; IeeeMode: 1
; LDSByteSize: 0 bytes/workgroup (compile time only)
; SGPRBlocks: 0
; VGPRBlocks: 0
; NumSGPRsForWavesPerEU: 1
; NumVGPRsForWavesPerEU: 1
; NamedBarCnt: 0
; Occupancy: 16
; WaveLimiterHint : 0
; COMPUTE_PGM_RSRC2:SCRATCH_EN: 0
; COMPUTE_PGM_RSRC2:USER_SGPR: 2
; COMPUTE_PGM_RSRC2:TRAP_HANDLER: 0
; COMPUTE_PGM_RSRC2:TGID_X_EN: 1
; COMPUTE_PGM_RSRC2:TGID_Y_EN: 0
; COMPUTE_PGM_RSRC2:TGID_Z_EN: 0
; COMPUTE_PGM_RSRC2:TIDIG_COMP_CNT: 0
	.section	.text._ZN7rocprim17ROCPRIM_400000_NS6detail17trampoline_kernelINS0_14default_configENS1_35adjacent_difference_config_selectorILb1ElEEZNS1_24adjacent_difference_implIS3_Lb1ELb0EPlS7_ZN2at6native12_GLOBAL__N_124unique_dim_cuda_templateIsEESt5tupleIJNS8_6TensorESD_SD_EERKSD_lbbbEUlllE1_EE10hipError_tPvRmT2_T3_mT4_P12ihipStream_tbEUlT_E_NS1_11comp_targetILNS1_3genE2ELNS1_11target_archE906ELNS1_3gpuE6ELNS1_3repE0EEENS1_30default_config_static_selectorELNS0_4arch9wavefront6targetE0EEEvT1_,"axG",@progbits,_ZN7rocprim17ROCPRIM_400000_NS6detail17trampoline_kernelINS0_14default_configENS1_35adjacent_difference_config_selectorILb1ElEEZNS1_24adjacent_difference_implIS3_Lb1ELb0EPlS7_ZN2at6native12_GLOBAL__N_124unique_dim_cuda_templateIsEESt5tupleIJNS8_6TensorESD_SD_EERKSD_lbbbEUlllE1_EE10hipError_tPvRmT2_T3_mT4_P12ihipStream_tbEUlT_E_NS1_11comp_targetILNS1_3genE2ELNS1_11target_archE906ELNS1_3gpuE6ELNS1_3repE0EEENS1_30default_config_static_selectorELNS0_4arch9wavefront6targetE0EEEvT1_,comdat
	.globl	_ZN7rocprim17ROCPRIM_400000_NS6detail17trampoline_kernelINS0_14default_configENS1_35adjacent_difference_config_selectorILb1ElEEZNS1_24adjacent_difference_implIS3_Lb1ELb0EPlS7_ZN2at6native12_GLOBAL__N_124unique_dim_cuda_templateIsEESt5tupleIJNS8_6TensorESD_SD_EERKSD_lbbbEUlllE1_EE10hipError_tPvRmT2_T3_mT4_P12ihipStream_tbEUlT_E_NS1_11comp_targetILNS1_3genE2ELNS1_11target_archE906ELNS1_3gpuE6ELNS1_3repE0EEENS1_30default_config_static_selectorELNS0_4arch9wavefront6targetE0EEEvT1_ ; -- Begin function _ZN7rocprim17ROCPRIM_400000_NS6detail17trampoline_kernelINS0_14default_configENS1_35adjacent_difference_config_selectorILb1ElEEZNS1_24adjacent_difference_implIS3_Lb1ELb0EPlS7_ZN2at6native12_GLOBAL__N_124unique_dim_cuda_templateIsEESt5tupleIJNS8_6TensorESD_SD_EERKSD_lbbbEUlllE1_EE10hipError_tPvRmT2_T3_mT4_P12ihipStream_tbEUlT_E_NS1_11comp_targetILNS1_3genE2ELNS1_11target_archE906ELNS1_3gpuE6ELNS1_3repE0EEENS1_30default_config_static_selectorELNS0_4arch9wavefront6targetE0EEEvT1_
	.p2align	8
	.type	_ZN7rocprim17ROCPRIM_400000_NS6detail17trampoline_kernelINS0_14default_configENS1_35adjacent_difference_config_selectorILb1ElEEZNS1_24adjacent_difference_implIS3_Lb1ELb0EPlS7_ZN2at6native12_GLOBAL__N_124unique_dim_cuda_templateIsEESt5tupleIJNS8_6TensorESD_SD_EERKSD_lbbbEUlllE1_EE10hipError_tPvRmT2_T3_mT4_P12ihipStream_tbEUlT_E_NS1_11comp_targetILNS1_3genE2ELNS1_11target_archE906ELNS1_3gpuE6ELNS1_3repE0EEENS1_30default_config_static_selectorELNS0_4arch9wavefront6targetE0EEEvT1_,@function
_ZN7rocprim17ROCPRIM_400000_NS6detail17trampoline_kernelINS0_14default_configENS1_35adjacent_difference_config_selectorILb1ElEEZNS1_24adjacent_difference_implIS3_Lb1ELb0EPlS7_ZN2at6native12_GLOBAL__N_124unique_dim_cuda_templateIsEESt5tupleIJNS8_6TensorESD_SD_EERKSD_lbbbEUlllE1_EE10hipError_tPvRmT2_T3_mT4_P12ihipStream_tbEUlT_E_NS1_11comp_targetILNS1_3genE2ELNS1_11target_archE906ELNS1_3gpuE6ELNS1_3repE0EEENS1_30default_config_static_selectorELNS0_4arch9wavefront6targetE0EEEvT1_: ; @_ZN7rocprim17ROCPRIM_400000_NS6detail17trampoline_kernelINS0_14default_configENS1_35adjacent_difference_config_selectorILb1ElEEZNS1_24adjacent_difference_implIS3_Lb1ELb0EPlS7_ZN2at6native12_GLOBAL__N_124unique_dim_cuda_templateIsEESt5tupleIJNS8_6TensorESD_SD_EERKSD_lbbbEUlllE1_EE10hipError_tPvRmT2_T3_mT4_P12ihipStream_tbEUlT_E_NS1_11comp_targetILNS1_3genE2ELNS1_11target_archE906ELNS1_3gpuE6ELNS1_3repE0EEENS1_30default_config_static_selectorELNS0_4arch9wavefront6targetE0EEEvT1_
; %bb.0:
	.section	.rodata,"a",@progbits
	.p2align	6, 0x0
	.amdhsa_kernel _ZN7rocprim17ROCPRIM_400000_NS6detail17trampoline_kernelINS0_14default_configENS1_35adjacent_difference_config_selectorILb1ElEEZNS1_24adjacent_difference_implIS3_Lb1ELb0EPlS7_ZN2at6native12_GLOBAL__N_124unique_dim_cuda_templateIsEESt5tupleIJNS8_6TensorESD_SD_EERKSD_lbbbEUlllE1_EE10hipError_tPvRmT2_T3_mT4_P12ihipStream_tbEUlT_E_NS1_11comp_targetILNS1_3genE2ELNS1_11target_archE906ELNS1_3gpuE6ELNS1_3repE0EEENS1_30default_config_static_selectorELNS0_4arch9wavefront6targetE0EEEvT1_
		.amdhsa_group_segment_fixed_size 0
		.amdhsa_private_segment_fixed_size 0
		.amdhsa_kernarg_size 64
		.amdhsa_user_sgpr_count 2
		.amdhsa_user_sgpr_dispatch_ptr 0
		.amdhsa_user_sgpr_queue_ptr 0
		.amdhsa_user_sgpr_kernarg_segment_ptr 1
		.amdhsa_user_sgpr_dispatch_id 0
		.amdhsa_user_sgpr_kernarg_preload_length 0
		.amdhsa_user_sgpr_kernarg_preload_offset 0
		.amdhsa_user_sgpr_private_segment_size 0
		.amdhsa_wavefront_size32 1
		.amdhsa_uses_dynamic_stack 0
		.amdhsa_enable_private_segment 0
		.amdhsa_system_sgpr_workgroup_id_x 1
		.amdhsa_system_sgpr_workgroup_id_y 0
		.amdhsa_system_sgpr_workgroup_id_z 0
		.amdhsa_system_sgpr_workgroup_info 0
		.amdhsa_system_vgpr_workitem_id 0
		.amdhsa_next_free_vgpr 1
		.amdhsa_next_free_sgpr 1
		.amdhsa_named_barrier_count 0
		.amdhsa_reserve_vcc 0
		.amdhsa_float_round_mode_32 0
		.amdhsa_float_round_mode_16_64 0
		.amdhsa_float_denorm_mode_32 3
		.amdhsa_float_denorm_mode_16_64 3
		.amdhsa_fp16_overflow 0
		.amdhsa_memory_ordered 1
		.amdhsa_forward_progress 1
		.amdhsa_inst_pref_size 0
		.amdhsa_round_robin_scheduling 0
		.amdhsa_exception_fp_ieee_invalid_op 0
		.amdhsa_exception_fp_denorm_src 0
		.amdhsa_exception_fp_ieee_div_zero 0
		.amdhsa_exception_fp_ieee_overflow 0
		.amdhsa_exception_fp_ieee_underflow 0
		.amdhsa_exception_fp_ieee_inexact 0
		.amdhsa_exception_int_div_zero 0
	.end_amdhsa_kernel
	.section	.text._ZN7rocprim17ROCPRIM_400000_NS6detail17trampoline_kernelINS0_14default_configENS1_35adjacent_difference_config_selectorILb1ElEEZNS1_24adjacent_difference_implIS3_Lb1ELb0EPlS7_ZN2at6native12_GLOBAL__N_124unique_dim_cuda_templateIsEESt5tupleIJNS8_6TensorESD_SD_EERKSD_lbbbEUlllE1_EE10hipError_tPvRmT2_T3_mT4_P12ihipStream_tbEUlT_E_NS1_11comp_targetILNS1_3genE2ELNS1_11target_archE906ELNS1_3gpuE6ELNS1_3repE0EEENS1_30default_config_static_selectorELNS0_4arch9wavefront6targetE0EEEvT1_,"axG",@progbits,_ZN7rocprim17ROCPRIM_400000_NS6detail17trampoline_kernelINS0_14default_configENS1_35adjacent_difference_config_selectorILb1ElEEZNS1_24adjacent_difference_implIS3_Lb1ELb0EPlS7_ZN2at6native12_GLOBAL__N_124unique_dim_cuda_templateIsEESt5tupleIJNS8_6TensorESD_SD_EERKSD_lbbbEUlllE1_EE10hipError_tPvRmT2_T3_mT4_P12ihipStream_tbEUlT_E_NS1_11comp_targetILNS1_3genE2ELNS1_11target_archE906ELNS1_3gpuE6ELNS1_3repE0EEENS1_30default_config_static_selectorELNS0_4arch9wavefront6targetE0EEEvT1_,comdat
.Lfunc_end682:
	.size	_ZN7rocprim17ROCPRIM_400000_NS6detail17trampoline_kernelINS0_14default_configENS1_35adjacent_difference_config_selectorILb1ElEEZNS1_24adjacent_difference_implIS3_Lb1ELb0EPlS7_ZN2at6native12_GLOBAL__N_124unique_dim_cuda_templateIsEESt5tupleIJNS8_6TensorESD_SD_EERKSD_lbbbEUlllE1_EE10hipError_tPvRmT2_T3_mT4_P12ihipStream_tbEUlT_E_NS1_11comp_targetILNS1_3genE2ELNS1_11target_archE906ELNS1_3gpuE6ELNS1_3repE0EEENS1_30default_config_static_selectorELNS0_4arch9wavefront6targetE0EEEvT1_, .Lfunc_end682-_ZN7rocprim17ROCPRIM_400000_NS6detail17trampoline_kernelINS0_14default_configENS1_35adjacent_difference_config_selectorILb1ElEEZNS1_24adjacent_difference_implIS3_Lb1ELb0EPlS7_ZN2at6native12_GLOBAL__N_124unique_dim_cuda_templateIsEESt5tupleIJNS8_6TensorESD_SD_EERKSD_lbbbEUlllE1_EE10hipError_tPvRmT2_T3_mT4_P12ihipStream_tbEUlT_E_NS1_11comp_targetILNS1_3genE2ELNS1_11target_archE906ELNS1_3gpuE6ELNS1_3repE0EEENS1_30default_config_static_selectorELNS0_4arch9wavefront6targetE0EEEvT1_
                                        ; -- End function
	.set _ZN7rocprim17ROCPRIM_400000_NS6detail17trampoline_kernelINS0_14default_configENS1_35adjacent_difference_config_selectorILb1ElEEZNS1_24adjacent_difference_implIS3_Lb1ELb0EPlS7_ZN2at6native12_GLOBAL__N_124unique_dim_cuda_templateIsEESt5tupleIJNS8_6TensorESD_SD_EERKSD_lbbbEUlllE1_EE10hipError_tPvRmT2_T3_mT4_P12ihipStream_tbEUlT_E_NS1_11comp_targetILNS1_3genE2ELNS1_11target_archE906ELNS1_3gpuE6ELNS1_3repE0EEENS1_30default_config_static_selectorELNS0_4arch9wavefront6targetE0EEEvT1_.num_vgpr, 0
	.set _ZN7rocprim17ROCPRIM_400000_NS6detail17trampoline_kernelINS0_14default_configENS1_35adjacent_difference_config_selectorILb1ElEEZNS1_24adjacent_difference_implIS3_Lb1ELb0EPlS7_ZN2at6native12_GLOBAL__N_124unique_dim_cuda_templateIsEESt5tupleIJNS8_6TensorESD_SD_EERKSD_lbbbEUlllE1_EE10hipError_tPvRmT2_T3_mT4_P12ihipStream_tbEUlT_E_NS1_11comp_targetILNS1_3genE2ELNS1_11target_archE906ELNS1_3gpuE6ELNS1_3repE0EEENS1_30default_config_static_selectorELNS0_4arch9wavefront6targetE0EEEvT1_.num_agpr, 0
	.set _ZN7rocprim17ROCPRIM_400000_NS6detail17trampoline_kernelINS0_14default_configENS1_35adjacent_difference_config_selectorILb1ElEEZNS1_24adjacent_difference_implIS3_Lb1ELb0EPlS7_ZN2at6native12_GLOBAL__N_124unique_dim_cuda_templateIsEESt5tupleIJNS8_6TensorESD_SD_EERKSD_lbbbEUlllE1_EE10hipError_tPvRmT2_T3_mT4_P12ihipStream_tbEUlT_E_NS1_11comp_targetILNS1_3genE2ELNS1_11target_archE906ELNS1_3gpuE6ELNS1_3repE0EEENS1_30default_config_static_selectorELNS0_4arch9wavefront6targetE0EEEvT1_.numbered_sgpr, 0
	.set _ZN7rocprim17ROCPRIM_400000_NS6detail17trampoline_kernelINS0_14default_configENS1_35adjacent_difference_config_selectorILb1ElEEZNS1_24adjacent_difference_implIS3_Lb1ELb0EPlS7_ZN2at6native12_GLOBAL__N_124unique_dim_cuda_templateIsEESt5tupleIJNS8_6TensorESD_SD_EERKSD_lbbbEUlllE1_EE10hipError_tPvRmT2_T3_mT4_P12ihipStream_tbEUlT_E_NS1_11comp_targetILNS1_3genE2ELNS1_11target_archE906ELNS1_3gpuE6ELNS1_3repE0EEENS1_30default_config_static_selectorELNS0_4arch9wavefront6targetE0EEEvT1_.num_named_barrier, 0
	.set _ZN7rocprim17ROCPRIM_400000_NS6detail17trampoline_kernelINS0_14default_configENS1_35adjacent_difference_config_selectorILb1ElEEZNS1_24adjacent_difference_implIS3_Lb1ELb0EPlS7_ZN2at6native12_GLOBAL__N_124unique_dim_cuda_templateIsEESt5tupleIJNS8_6TensorESD_SD_EERKSD_lbbbEUlllE1_EE10hipError_tPvRmT2_T3_mT4_P12ihipStream_tbEUlT_E_NS1_11comp_targetILNS1_3genE2ELNS1_11target_archE906ELNS1_3gpuE6ELNS1_3repE0EEENS1_30default_config_static_selectorELNS0_4arch9wavefront6targetE0EEEvT1_.private_seg_size, 0
	.set _ZN7rocprim17ROCPRIM_400000_NS6detail17trampoline_kernelINS0_14default_configENS1_35adjacent_difference_config_selectorILb1ElEEZNS1_24adjacent_difference_implIS3_Lb1ELb0EPlS7_ZN2at6native12_GLOBAL__N_124unique_dim_cuda_templateIsEESt5tupleIJNS8_6TensorESD_SD_EERKSD_lbbbEUlllE1_EE10hipError_tPvRmT2_T3_mT4_P12ihipStream_tbEUlT_E_NS1_11comp_targetILNS1_3genE2ELNS1_11target_archE906ELNS1_3gpuE6ELNS1_3repE0EEENS1_30default_config_static_selectorELNS0_4arch9wavefront6targetE0EEEvT1_.uses_vcc, 0
	.set _ZN7rocprim17ROCPRIM_400000_NS6detail17trampoline_kernelINS0_14default_configENS1_35adjacent_difference_config_selectorILb1ElEEZNS1_24adjacent_difference_implIS3_Lb1ELb0EPlS7_ZN2at6native12_GLOBAL__N_124unique_dim_cuda_templateIsEESt5tupleIJNS8_6TensorESD_SD_EERKSD_lbbbEUlllE1_EE10hipError_tPvRmT2_T3_mT4_P12ihipStream_tbEUlT_E_NS1_11comp_targetILNS1_3genE2ELNS1_11target_archE906ELNS1_3gpuE6ELNS1_3repE0EEENS1_30default_config_static_selectorELNS0_4arch9wavefront6targetE0EEEvT1_.uses_flat_scratch, 0
	.set _ZN7rocprim17ROCPRIM_400000_NS6detail17trampoline_kernelINS0_14default_configENS1_35adjacent_difference_config_selectorILb1ElEEZNS1_24adjacent_difference_implIS3_Lb1ELb0EPlS7_ZN2at6native12_GLOBAL__N_124unique_dim_cuda_templateIsEESt5tupleIJNS8_6TensorESD_SD_EERKSD_lbbbEUlllE1_EE10hipError_tPvRmT2_T3_mT4_P12ihipStream_tbEUlT_E_NS1_11comp_targetILNS1_3genE2ELNS1_11target_archE906ELNS1_3gpuE6ELNS1_3repE0EEENS1_30default_config_static_selectorELNS0_4arch9wavefront6targetE0EEEvT1_.has_dyn_sized_stack, 0
	.set _ZN7rocprim17ROCPRIM_400000_NS6detail17trampoline_kernelINS0_14default_configENS1_35adjacent_difference_config_selectorILb1ElEEZNS1_24adjacent_difference_implIS3_Lb1ELb0EPlS7_ZN2at6native12_GLOBAL__N_124unique_dim_cuda_templateIsEESt5tupleIJNS8_6TensorESD_SD_EERKSD_lbbbEUlllE1_EE10hipError_tPvRmT2_T3_mT4_P12ihipStream_tbEUlT_E_NS1_11comp_targetILNS1_3genE2ELNS1_11target_archE906ELNS1_3gpuE6ELNS1_3repE0EEENS1_30default_config_static_selectorELNS0_4arch9wavefront6targetE0EEEvT1_.has_recursion, 0
	.set _ZN7rocprim17ROCPRIM_400000_NS6detail17trampoline_kernelINS0_14default_configENS1_35adjacent_difference_config_selectorILb1ElEEZNS1_24adjacent_difference_implIS3_Lb1ELb0EPlS7_ZN2at6native12_GLOBAL__N_124unique_dim_cuda_templateIsEESt5tupleIJNS8_6TensorESD_SD_EERKSD_lbbbEUlllE1_EE10hipError_tPvRmT2_T3_mT4_P12ihipStream_tbEUlT_E_NS1_11comp_targetILNS1_3genE2ELNS1_11target_archE906ELNS1_3gpuE6ELNS1_3repE0EEENS1_30default_config_static_selectorELNS0_4arch9wavefront6targetE0EEEvT1_.has_indirect_call, 0
	.section	.AMDGPU.csdata,"",@progbits
; Kernel info:
; codeLenInByte = 0
; TotalNumSgprs: 0
; NumVgprs: 0
; ScratchSize: 0
; MemoryBound: 0
; FloatMode: 240
; IeeeMode: 1
; LDSByteSize: 0 bytes/workgroup (compile time only)
; SGPRBlocks: 0
; VGPRBlocks: 0
; NumSGPRsForWavesPerEU: 1
; NumVGPRsForWavesPerEU: 1
; NamedBarCnt: 0
; Occupancy: 16
; WaveLimiterHint : 0
; COMPUTE_PGM_RSRC2:SCRATCH_EN: 0
; COMPUTE_PGM_RSRC2:USER_SGPR: 2
; COMPUTE_PGM_RSRC2:TRAP_HANDLER: 0
; COMPUTE_PGM_RSRC2:TGID_X_EN: 1
; COMPUTE_PGM_RSRC2:TGID_Y_EN: 0
; COMPUTE_PGM_RSRC2:TGID_Z_EN: 0
; COMPUTE_PGM_RSRC2:TIDIG_COMP_CNT: 0
	.section	.text._ZN7rocprim17ROCPRIM_400000_NS6detail17trampoline_kernelINS0_14default_configENS1_35adjacent_difference_config_selectorILb1ElEEZNS1_24adjacent_difference_implIS3_Lb1ELb0EPlS7_ZN2at6native12_GLOBAL__N_124unique_dim_cuda_templateIsEESt5tupleIJNS8_6TensorESD_SD_EERKSD_lbbbEUlllE1_EE10hipError_tPvRmT2_T3_mT4_P12ihipStream_tbEUlT_E_NS1_11comp_targetILNS1_3genE9ELNS1_11target_archE1100ELNS1_3gpuE3ELNS1_3repE0EEENS1_30default_config_static_selectorELNS0_4arch9wavefront6targetE0EEEvT1_,"axG",@progbits,_ZN7rocprim17ROCPRIM_400000_NS6detail17trampoline_kernelINS0_14default_configENS1_35adjacent_difference_config_selectorILb1ElEEZNS1_24adjacent_difference_implIS3_Lb1ELb0EPlS7_ZN2at6native12_GLOBAL__N_124unique_dim_cuda_templateIsEESt5tupleIJNS8_6TensorESD_SD_EERKSD_lbbbEUlllE1_EE10hipError_tPvRmT2_T3_mT4_P12ihipStream_tbEUlT_E_NS1_11comp_targetILNS1_3genE9ELNS1_11target_archE1100ELNS1_3gpuE3ELNS1_3repE0EEENS1_30default_config_static_selectorELNS0_4arch9wavefront6targetE0EEEvT1_,comdat
	.globl	_ZN7rocprim17ROCPRIM_400000_NS6detail17trampoline_kernelINS0_14default_configENS1_35adjacent_difference_config_selectorILb1ElEEZNS1_24adjacent_difference_implIS3_Lb1ELb0EPlS7_ZN2at6native12_GLOBAL__N_124unique_dim_cuda_templateIsEESt5tupleIJNS8_6TensorESD_SD_EERKSD_lbbbEUlllE1_EE10hipError_tPvRmT2_T3_mT4_P12ihipStream_tbEUlT_E_NS1_11comp_targetILNS1_3genE9ELNS1_11target_archE1100ELNS1_3gpuE3ELNS1_3repE0EEENS1_30default_config_static_selectorELNS0_4arch9wavefront6targetE0EEEvT1_ ; -- Begin function _ZN7rocprim17ROCPRIM_400000_NS6detail17trampoline_kernelINS0_14default_configENS1_35adjacent_difference_config_selectorILb1ElEEZNS1_24adjacent_difference_implIS3_Lb1ELb0EPlS7_ZN2at6native12_GLOBAL__N_124unique_dim_cuda_templateIsEESt5tupleIJNS8_6TensorESD_SD_EERKSD_lbbbEUlllE1_EE10hipError_tPvRmT2_T3_mT4_P12ihipStream_tbEUlT_E_NS1_11comp_targetILNS1_3genE9ELNS1_11target_archE1100ELNS1_3gpuE3ELNS1_3repE0EEENS1_30default_config_static_selectorELNS0_4arch9wavefront6targetE0EEEvT1_
	.p2align	8
	.type	_ZN7rocprim17ROCPRIM_400000_NS6detail17trampoline_kernelINS0_14default_configENS1_35adjacent_difference_config_selectorILb1ElEEZNS1_24adjacent_difference_implIS3_Lb1ELb0EPlS7_ZN2at6native12_GLOBAL__N_124unique_dim_cuda_templateIsEESt5tupleIJNS8_6TensorESD_SD_EERKSD_lbbbEUlllE1_EE10hipError_tPvRmT2_T3_mT4_P12ihipStream_tbEUlT_E_NS1_11comp_targetILNS1_3genE9ELNS1_11target_archE1100ELNS1_3gpuE3ELNS1_3repE0EEENS1_30default_config_static_selectorELNS0_4arch9wavefront6targetE0EEEvT1_,@function
_ZN7rocprim17ROCPRIM_400000_NS6detail17trampoline_kernelINS0_14default_configENS1_35adjacent_difference_config_selectorILb1ElEEZNS1_24adjacent_difference_implIS3_Lb1ELb0EPlS7_ZN2at6native12_GLOBAL__N_124unique_dim_cuda_templateIsEESt5tupleIJNS8_6TensorESD_SD_EERKSD_lbbbEUlllE1_EE10hipError_tPvRmT2_T3_mT4_P12ihipStream_tbEUlT_E_NS1_11comp_targetILNS1_3genE9ELNS1_11target_archE1100ELNS1_3gpuE3ELNS1_3repE0EEENS1_30default_config_static_selectorELNS0_4arch9wavefront6targetE0EEEvT1_: ; @_ZN7rocprim17ROCPRIM_400000_NS6detail17trampoline_kernelINS0_14default_configENS1_35adjacent_difference_config_selectorILb1ElEEZNS1_24adjacent_difference_implIS3_Lb1ELb0EPlS7_ZN2at6native12_GLOBAL__N_124unique_dim_cuda_templateIsEESt5tupleIJNS8_6TensorESD_SD_EERKSD_lbbbEUlllE1_EE10hipError_tPvRmT2_T3_mT4_P12ihipStream_tbEUlT_E_NS1_11comp_targetILNS1_3genE9ELNS1_11target_archE1100ELNS1_3gpuE3ELNS1_3repE0EEENS1_30default_config_static_selectorELNS0_4arch9wavefront6targetE0EEEvT1_
; %bb.0:
	.section	.rodata,"a",@progbits
	.p2align	6, 0x0
	.amdhsa_kernel _ZN7rocprim17ROCPRIM_400000_NS6detail17trampoline_kernelINS0_14default_configENS1_35adjacent_difference_config_selectorILb1ElEEZNS1_24adjacent_difference_implIS3_Lb1ELb0EPlS7_ZN2at6native12_GLOBAL__N_124unique_dim_cuda_templateIsEESt5tupleIJNS8_6TensorESD_SD_EERKSD_lbbbEUlllE1_EE10hipError_tPvRmT2_T3_mT4_P12ihipStream_tbEUlT_E_NS1_11comp_targetILNS1_3genE9ELNS1_11target_archE1100ELNS1_3gpuE3ELNS1_3repE0EEENS1_30default_config_static_selectorELNS0_4arch9wavefront6targetE0EEEvT1_
		.amdhsa_group_segment_fixed_size 0
		.amdhsa_private_segment_fixed_size 0
		.amdhsa_kernarg_size 64
		.amdhsa_user_sgpr_count 2
		.amdhsa_user_sgpr_dispatch_ptr 0
		.amdhsa_user_sgpr_queue_ptr 0
		.amdhsa_user_sgpr_kernarg_segment_ptr 1
		.amdhsa_user_sgpr_dispatch_id 0
		.amdhsa_user_sgpr_kernarg_preload_length 0
		.amdhsa_user_sgpr_kernarg_preload_offset 0
		.amdhsa_user_sgpr_private_segment_size 0
		.amdhsa_wavefront_size32 1
		.amdhsa_uses_dynamic_stack 0
		.amdhsa_enable_private_segment 0
		.amdhsa_system_sgpr_workgroup_id_x 1
		.amdhsa_system_sgpr_workgroup_id_y 0
		.amdhsa_system_sgpr_workgroup_id_z 0
		.amdhsa_system_sgpr_workgroup_info 0
		.amdhsa_system_vgpr_workitem_id 0
		.amdhsa_next_free_vgpr 1
		.amdhsa_next_free_sgpr 1
		.amdhsa_named_barrier_count 0
		.amdhsa_reserve_vcc 0
		.amdhsa_float_round_mode_32 0
		.amdhsa_float_round_mode_16_64 0
		.amdhsa_float_denorm_mode_32 3
		.amdhsa_float_denorm_mode_16_64 3
		.amdhsa_fp16_overflow 0
		.amdhsa_memory_ordered 1
		.amdhsa_forward_progress 1
		.amdhsa_inst_pref_size 0
		.amdhsa_round_robin_scheduling 0
		.amdhsa_exception_fp_ieee_invalid_op 0
		.amdhsa_exception_fp_denorm_src 0
		.amdhsa_exception_fp_ieee_div_zero 0
		.amdhsa_exception_fp_ieee_overflow 0
		.amdhsa_exception_fp_ieee_underflow 0
		.amdhsa_exception_fp_ieee_inexact 0
		.amdhsa_exception_int_div_zero 0
	.end_amdhsa_kernel
	.section	.text._ZN7rocprim17ROCPRIM_400000_NS6detail17trampoline_kernelINS0_14default_configENS1_35adjacent_difference_config_selectorILb1ElEEZNS1_24adjacent_difference_implIS3_Lb1ELb0EPlS7_ZN2at6native12_GLOBAL__N_124unique_dim_cuda_templateIsEESt5tupleIJNS8_6TensorESD_SD_EERKSD_lbbbEUlllE1_EE10hipError_tPvRmT2_T3_mT4_P12ihipStream_tbEUlT_E_NS1_11comp_targetILNS1_3genE9ELNS1_11target_archE1100ELNS1_3gpuE3ELNS1_3repE0EEENS1_30default_config_static_selectorELNS0_4arch9wavefront6targetE0EEEvT1_,"axG",@progbits,_ZN7rocprim17ROCPRIM_400000_NS6detail17trampoline_kernelINS0_14default_configENS1_35adjacent_difference_config_selectorILb1ElEEZNS1_24adjacent_difference_implIS3_Lb1ELb0EPlS7_ZN2at6native12_GLOBAL__N_124unique_dim_cuda_templateIsEESt5tupleIJNS8_6TensorESD_SD_EERKSD_lbbbEUlllE1_EE10hipError_tPvRmT2_T3_mT4_P12ihipStream_tbEUlT_E_NS1_11comp_targetILNS1_3genE9ELNS1_11target_archE1100ELNS1_3gpuE3ELNS1_3repE0EEENS1_30default_config_static_selectorELNS0_4arch9wavefront6targetE0EEEvT1_,comdat
.Lfunc_end683:
	.size	_ZN7rocprim17ROCPRIM_400000_NS6detail17trampoline_kernelINS0_14default_configENS1_35adjacent_difference_config_selectorILb1ElEEZNS1_24adjacent_difference_implIS3_Lb1ELb0EPlS7_ZN2at6native12_GLOBAL__N_124unique_dim_cuda_templateIsEESt5tupleIJNS8_6TensorESD_SD_EERKSD_lbbbEUlllE1_EE10hipError_tPvRmT2_T3_mT4_P12ihipStream_tbEUlT_E_NS1_11comp_targetILNS1_3genE9ELNS1_11target_archE1100ELNS1_3gpuE3ELNS1_3repE0EEENS1_30default_config_static_selectorELNS0_4arch9wavefront6targetE0EEEvT1_, .Lfunc_end683-_ZN7rocprim17ROCPRIM_400000_NS6detail17trampoline_kernelINS0_14default_configENS1_35adjacent_difference_config_selectorILb1ElEEZNS1_24adjacent_difference_implIS3_Lb1ELb0EPlS7_ZN2at6native12_GLOBAL__N_124unique_dim_cuda_templateIsEESt5tupleIJNS8_6TensorESD_SD_EERKSD_lbbbEUlllE1_EE10hipError_tPvRmT2_T3_mT4_P12ihipStream_tbEUlT_E_NS1_11comp_targetILNS1_3genE9ELNS1_11target_archE1100ELNS1_3gpuE3ELNS1_3repE0EEENS1_30default_config_static_selectorELNS0_4arch9wavefront6targetE0EEEvT1_
                                        ; -- End function
	.set _ZN7rocprim17ROCPRIM_400000_NS6detail17trampoline_kernelINS0_14default_configENS1_35adjacent_difference_config_selectorILb1ElEEZNS1_24adjacent_difference_implIS3_Lb1ELb0EPlS7_ZN2at6native12_GLOBAL__N_124unique_dim_cuda_templateIsEESt5tupleIJNS8_6TensorESD_SD_EERKSD_lbbbEUlllE1_EE10hipError_tPvRmT2_T3_mT4_P12ihipStream_tbEUlT_E_NS1_11comp_targetILNS1_3genE9ELNS1_11target_archE1100ELNS1_3gpuE3ELNS1_3repE0EEENS1_30default_config_static_selectorELNS0_4arch9wavefront6targetE0EEEvT1_.num_vgpr, 0
	.set _ZN7rocprim17ROCPRIM_400000_NS6detail17trampoline_kernelINS0_14default_configENS1_35adjacent_difference_config_selectorILb1ElEEZNS1_24adjacent_difference_implIS3_Lb1ELb0EPlS7_ZN2at6native12_GLOBAL__N_124unique_dim_cuda_templateIsEESt5tupleIJNS8_6TensorESD_SD_EERKSD_lbbbEUlllE1_EE10hipError_tPvRmT2_T3_mT4_P12ihipStream_tbEUlT_E_NS1_11comp_targetILNS1_3genE9ELNS1_11target_archE1100ELNS1_3gpuE3ELNS1_3repE0EEENS1_30default_config_static_selectorELNS0_4arch9wavefront6targetE0EEEvT1_.num_agpr, 0
	.set _ZN7rocprim17ROCPRIM_400000_NS6detail17trampoline_kernelINS0_14default_configENS1_35adjacent_difference_config_selectorILb1ElEEZNS1_24adjacent_difference_implIS3_Lb1ELb0EPlS7_ZN2at6native12_GLOBAL__N_124unique_dim_cuda_templateIsEESt5tupleIJNS8_6TensorESD_SD_EERKSD_lbbbEUlllE1_EE10hipError_tPvRmT2_T3_mT4_P12ihipStream_tbEUlT_E_NS1_11comp_targetILNS1_3genE9ELNS1_11target_archE1100ELNS1_3gpuE3ELNS1_3repE0EEENS1_30default_config_static_selectorELNS0_4arch9wavefront6targetE0EEEvT1_.numbered_sgpr, 0
	.set _ZN7rocprim17ROCPRIM_400000_NS6detail17trampoline_kernelINS0_14default_configENS1_35adjacent_difference_config_selectorILb1ElEEZNS1_24adjacent_difference_implIS3_Lb1ELb0EPlS7_ZN2at6native12_GLOBAL__N_124unique_dim_cuda_templateIsEESt5tupleIJNS8_6TensorESD_SD_EERKSD_lbbbEUlllE1_EE10hipError_tPvRmT2_T3_mT4_P12ihipStream_tbEUlT_E_NS1_11comp_targetILNS1_3genE9ELNS1_11target_archE1100ELNS1_3gpuE3ELNS1_3repE0EEENS1_30default_config_static_selectorELNS0_4arch9wavefront6targetE0EEEvT1_.num_named_barrier, 0
	.set _ZN7rocprim17ROCPRIM_400000_NS6detail17trampoline_kernelINS0_14default_configENS1_35adjacent_difference_config_selectorILb1ElEEZNS1_24adjacent_difference_implIS3_Lb1ELb0EPlS7_ZN2at6native12_GLOBAL__N_124unique_dim_cuda_templateIsEESt5tupleIJNS8_6TensorESD_SD_EERKSD_lbbbEUlllE1_EE10hipError_tPvRmT2_T3_mT4_P12ihipStream_tbEUlT_E_NS1_11comp_targetILNS1_3genE9ELNS1_11target_archE1100ELNS1_3gpuE3ELNS1_3repE0EEENS1_30default_config_static_selectorELNS0_4arch9wavefront6targetE0EEEvT1_.private_seg_size, 0
	.set _ZN7rocprim17ROCPRIM_400000_NS6detail17trampoline_kernelINS0_14default_configENS1_35adjacent_difference_config_selectorILb1ElEEZNS1_24adjacent_difference_implIS3_Lb1ELb0EPlS7_ZN2at6native12_GLOBAL__N_124unique_dim_cuda_templateIsEESt5tupleIJNS8_6TensorESD_SD_EERKSD_lbbbEUlllE1_EE10hipError_tPvRmT2_T3_mT4_P12ihipStream_tbEUlT_E_NS1_11comp_targetILNS1_3genE9ELNS1_11target_archE1100ELNS1_3gpuE3ELNS1_3repE0EEENS1_30default_config_static_selectorELNS0_4arch9wavefront6targetE0EEEvT1_.uses_vcc, 0
	.set _ZN7rocprim17ROCPRIM_400000_NS6detail17trampoline_kernelINS0_14default_configENS1_35adjacent_difference_config_selectorILb1ElEEZNS1_24adjacent_difference_implIS3_Lb1ELb0EPlS7_ZN2at6native12_GLOBAL__N_124unique_dim_cuda_templateIsEESt5tupleIJNS8_6TensorESD_SD_EERKSD_lbbbEUlllE1_EE10hipError_tPvRmT2_T3_mT4_P12ihipStream_tbEUlT_E_NS1_11comp_targetILNS1_3genE9ELNS1_11target_archE1100ELNS1_3gpuE3ELNS1_3repE0EEENS1_30default_config_static_selectorELNS0_4arch9wavefront6targetE0EEEvT1_.uses_flat_scratch, 0
	.set _ZN7rocprim17ROCPRIM_400000_NS6detail17trampoline_kernelINS0_14default_configENS1_35adjacent_difference_config_selectorILb1ElEEZNS1_24adjacent_difference_implIS3_Lb1ELb0EPlS7_ZN2at6native12_GLOBAL__N_124unique_dim_cuda_templateIsEESt5tupleIJNS8_6TensorESD_SD_EERKSD_lbbbEUlllE1_EE10hipError_tPvRmT2_T3_mT4_P12ihipStream_tbEUlT_E_NS1_11comp_targetILNS1_3genE9ELNS1_11target_archE1100ELNS1_3gpuE3ELNS1_3repE0EEENS1_30default_config_static_selectorELNS0_4arch9wavefront6targetE0EEEvT1_.has_dyn_sized_stack, 0
	.set _ZN7rocprim17ROCPRIM_400000_NS6detail17trampoline_kernelINS0_14default_configENS1_35adjacent_difference_config_selectorILb1ElEEZNS1_24adjacent_difference_implIS3_Lb1ELb0EPlS7_ZN2at6native12_GLOBAL__N_124unique_dim_cuda_templateIsEESt5tupleIJNS8_6TensorESD_SD_EERKSD_lbbbEUlllE1_EE10hipError_tPvRmT2_T3_mT4_P12ihipStream_tbEUlT_E_NS1_11comp_targetILNS1_3genE9ELNS1_11target_archE1100ELNS1_3gpuE3ELNS1_3repE0EEENS1_30default_config_static_selectorELNS0_4arch9wavefront6targetE0EEEvT1_.has_recursion, 0
	.set _ZN7rocprim17ROCPRIM_400000_NS6detail17trampoline_kernelINS0_14default_configENS1_35adjacent_difference_config_selectorILb1ElEEZNS1_24adjacent_difference_implIS3_Lb1ELb0EPlS7_ZN2at6native12_GLOBAL__N_124unique_dim_cuda_templateIsEESt5tupleIJNS8_6TensorESD_SD_EERKSD_lbbbEUlllE1_EE10hipError_tPvRmT2_T3_mT4_P12ihipStream_tbEUlT_E_NS1_11comp_targetILNS1_3genE9ELNS1_11target_archE1100ELNS1_3gpuE3ELNS1_3repE0EEENS1_30default_config_static_selectorELNS0_4arch9wavefront6targetE0EEEvT1_.has_indirect_call, 0
	.section	.AMDGPU.csdata,"",@progbits
; Kernel info:
; codeLenInByte = 0
; TotalNumSgprs: 0
; NumVgprs: 0
; ScratchSize: 0
; MemoryBound: 0
; FloatMode: 240
; IeeeMode: 1
; LDSByteSize: 0 bytes/workgroup (compile time only)
; SGPRBlocks: 0
; VGPRBlocks: 0
; NumSGPRsForWavesPerEU: 1
; NumVGPRsForWavesPerEU: 1
; NamedBarCnt: 0
; Occupancy: 16
; WaveLimiterHint : 0
; COMPUTE_PGM_RSRC2:SCRATCH_EN: 0
; COMPUTE_PGM_RSRC2:USER_SGPR: 2
; COMPUTE_PGM_RSRC2:TRAP_HANDLER: 0
; COMPUTE_PGM_RSRC2:TGID_X_EN: 1
; COMPUTE_PGM_RSRC2:TGID_Y_EN: 0
; COMPUTE_PGM_RSRC2:TGID_Z_EN: 0
; COMPUTE_PGM_RSRC2:TIDIG_COMP_CNT: 0
	.section	.text._ZN7rocprim17ROCPRIM_400000_NS6detail17trampoline_kernelINS0_14default_configENS1_35adjacent_difference_config_selectorILb1ElEEZNS1_24adjacent_difference_implIS3_Lb1ELb0EPlS7_ZN2at6native12_GLOBAL__N_124unique_dim_cuda_templateIsEESt5tupleIJNS8_6TensorESD_SD_EERKSD_lbbbEUlllE1_EE10hipError_tPvRmT2_T3_mT4_P12ihipStream_tbEUlT_E_NS1_11comp_targetILNS1_3genE8ELNS1_11target_archE1030ELNS1_3gpuE2ELNS1_3repE0EEENS1_30default_config_static_selectorELNS0_4arch9wavefront6targetE0EEEvT1_,"axG",@progbits,_ZN7rocprim17ROCPRIM_400000_NS6detail17trampoline_kernelINS0_14default_configENS1_35adjacent_difference_config_selectorILb1ElEEZNS1_24adjacent_difference_implIS3_Lb1ELb0EPlS7_ZN2at6native12_GLOBAL__N_124unique_dim_cuda_templateIsEESt5tupleIJNS8_6TensorESD_SD_EERKSD_lbbbEUlllE1_EE10hipError_tPvRmT2_T3_mT4_P12ihipStream_tbEUlT_E_NS1_11comp_targetILNS1_3genE8ELNS1_11target_archE1030ELNS1_3gpuE2ELNS1_3repE0EEENS1_30default_config_static_selectorELNS0_4arch9wavefront6targetE0EEEvT1_,comdat
	.globl	_ZN7rocprim17ROCPRIM_400000_NS6detail17trampoline_kernelINS0_14default_configENS1_35adjacent_difference_config_selectorILb1ElEEZNS1_24adjacent_difference_implIS3_Lb1ELb0EPlS7_ZN2at6native12_GLOBAL__N_124unique_dim_cuda_templateIsEESt5tupleIJNS8_6TensorESD_SD_EERKSD_lbbbEUlllE1_EE10hipError_tPvRmT2_T3_mT4_P12ihipStream_tbEUlT_E_NS1_11comp_targetILNS1_3genE8ELNS1_11target_archE1030ELNS1_3gpuE2ELNS1_3repE0EEENS1_30default_config_static_selectorELNS0_4arch9wavefront6targetE0EEEvT1_ ; -- Begin function _ZN7rocprim17ROCPRIM_400000_NS6detail17trampoline_kernelINS0_14default_configENS1_35adjacent_difference_config_selectorILb1ElEEZNS1_24adjacent_difference_implIS3_Lb1ELb0EPlS7_ZN2at6native12_GLOBAL__N_124unique_dim_cuda_templateIsEESt5tupleIJNS8_6TensorESD_SD_EERKSD_lbbbEUlllE1_EE10hipError_tPvRmT2_T3_mT4_P12ihipStream_tbEUlT_E_NS1_11comp_targetILNS1_3genE8ELNS1_11target_archE1030ELNS1_3gpuE2ELNS1_3repE0EEENS1_30default_config_static_selectorELNS0_4arch9wavefront6targetE0EEEvT1_
	.p2align	8
	.type	_ZN7rocprim17ROCPRIM_400000_NS6detail17trampoline_kernelINS0_14default_configENS1_35adjacent_difference_config_selectorILb1ElEEZNS1_24adjacent_difference_implIS3_Lb1ELb0EPlS7_ZN2at6native12_GLOBAL__N_124unique_dim_cuda_templateIsEESt5tupleIJNS8_6TensorESD_SD_EERKSD_lbbbEUlllE1_EE10hipError_tPvRmT2_T3_mT4_P12ihipStream_tbEUlT_E_NS1_11comp_targetILNS1_3genE8ELNS1_11target_archE1030ELNS1_3gpuE2ELNS1_3repE0EEENS1_30default_config_static_selectorELNS0_4arch9wavefront6targetE0EEEvT1_,@function
_ZN7rocprim17ROCPRIM_400000_NS6detail17trampoline_kernelINS0_14default_configENS1_35adjacent_difference_config_selectorILb1ElEEZNS1_24adjacent_difference_implIS3_Lb1ELb0EPlS7_ZN2at6native12_GLOBAL__N_124unique_dim_cuda_templateIsEESt5tupleIJNS8_6TensorESD_SD_EERKSD_lbbbEUlllE1_EE10hipError_tPvRmT2_T3_mT4_P12ihipStream_tbEUlT_E_NS1_11comp_targetILNS1_3genE8ELNS1_11target_archE1030ELNS1_3gpuE2ELNS1_3repE0EEENS1_30default_config_static_selectorELNS0_4arch9wavefront6targetE0EEEvT1_: ; @_ZN7rocprim17ROCPRIM_400000_NS6detail17trampoline_kernelINS0_14default_configENS1_35adjacent_difference_config_selectorILb1ElEEZNS1_24adjacent_difference_implIS3_Lb1ELb0EPlS7_ZN2at6native12_GLOBAL__N_124unique_dim_cuda_templateIsEESt5tupleIJNS8_6TensorESD_SD_EERKSD_lbbbEUlllE1_EE10hipError_tPvRmT2_T3_mT4_P12ihipStream_tbEUlT_E_NS1_11comp_targetILNS1_3genE8ELNS1_11target_archE1030ELNS1_3gpuE2ELNS1_3repE0EEENS1_30default_config_static_selectorELNS0_4arch9wavefront6targetE0EEEvT1_
; %bb.0:
	.section	.rodata,"a",@progbits
	.p2align	6, 0x0
	.amdhsa_kernel _ZN7rocprim17ROCPRIM_400000_NS6detail17trampoline_kernelINS0_14default_configENS1_35adjacent_difference_config_selectorILb1ElEEZNS1_24adjacent_difference_implIS3_Lb1ELb0EPlS7_ZN2at6native12_GLOBAL__N_124unique_dim_cuda_templateIsEESt5tupleIJNS8_6TensorESD_SD_EERKSD_lbbbEUlllE1_EE10hipError_tPvRmT2_T3_mT4_P12ihipStream_tbEUlT_E_NS1_11comp_targetILNS1_3genE8ELNS1_11target_archE1030ELNS1_3gpuE2ELNS1_3repE0EEENS1_30default_config_static_selectorELNS0_4arch9wavefront6targetE0EEEvT1_
		.amdhsa_group_segment_fixed_size 0
		.amdhsa_private_segment_fixed_size 0
		.amdhsa_kernarg_size 64
		.amdhsa_user_sgpr_count 2
		.amdhsa_user_sgpr_dispatch_ptr 0
		.amdhsa_user_sgpr_queue_ptr 0
		.amdhsa_user_sgpr_kernarg_segment_ptr 1
		.amdhsa_user_sgpr_dispatch_id 0
		.amdhsa_user_sgpr_kernarg_preload_length 0
		.amdhsa_user_sgpr_kernarg_preload_offset 0
		.amdhsa_user_sgpr_private_segment_size 0
		.amdhsa_wavefront_size32 1
		.amdhsa_uses_dynamic_stack 0
		.amdhsa_enable_private_segment 0
		.amdhsa_system_sgpr_workgroup_id_x 1
		.amdhsa_system_sgpr_workgroup_id_y 0
		.amdhsa_system_sgpr_workgroup_id_z 0
		.amdhsa_system_sgpr_workgroup_info 0
		.amdhsa_system_vgpr_workitem_id 0
		.amdhsa_next_free_vgpr 1
		.amdhsa_next_free_sgpr 1
		.amdhsa_named_barrier_count 0
		.amdhsa_reserve_vcc 0
		.amdhsa_float_round_mode_32 0
		.amdhsa_float_round_mode_16_64 0
		.amdhsa_float_denorm_mode_32 3
		.amdhsa_float_denorm_mode_16_64 3
		.amdhsa_fp16_overflow 0
		.amdhsa_memory_ordered 1
		.amdhsa_forward_progress 1
		.amdhsa_inst_pref_size 0
		.amdhsa_round_robin_scheduling 0
		.amdhsa_exception_fp_ieee_invalid_op 0
		.amdhsa_exception_fp_denorm_src 0
		.amdhsa_exception_fp_ieee_div_zero 0
		.amdhsa_exception_fp_ieee_overflow 0
		.amdhsa_exception_fp_ieee_underflow 0
		.amdhsa_exception_fp_ieee_inexact 0
		.amdhsa_exception_int_div_zero 0
	.end_amdhsa_kernel
	.section	.text._ZN7rocprim17ROCPRIM_400000_NS6detail17trampoline_kernelINS0_14default_configENS1_35adjacent_difference_config_selectorILb1ElEEZNS1_24adjacent_difference_implIS3_Lb1ELb0EPlS7_ZN2at6native12_GLOBAL__N_124unique_dim_cuda_templateIsEESt5tupleIJNS8_6TensorESD_SD_EERKSD_lbbbEUlllE1_EE10hipError_tPvRmT2_T3_mT4_P12ihipStream_tbEUlT_E_NS1_11comp_targetILNS1_3genE8ELNS1_11target_archE1030ELNS1_3gpuE2ELNS1_3repE0EEENS1_30default_config_static_selectorELNS0_4arch9wavefront6targetE0EEEvT1_,"axG",@progbits,_ZN7rocprim17ROCPRIM_400000_NS6detail17trampoline_kernelINS0_14default_configENS1_35adjacent_difference_config_selectorILb1ElEEZNS1_24adjacent_difference_implIS3_Lb1ELb0EPlS7_ZN2at6native12_GLOBAL__N_124unique_dim_cuda_templateIsEESt5tupleIJNS8_6TensorESD_SD_EERKSD_lbbbEUlllE1_EE10hipError_tPvRmT2_T3_mT4_P12ihipStream_tbEUlT_E_NS1_11comp_targetILNS1_3genE8ELNS1_11target_archE1030ELNS1_3gpuE2ELNS1_3repE0EEENS1_30default_config_static_selectorELNS0_4arch9wavefront6targetE0EEEvT1_,comdat
.Lfunc_end684:
	.size	_ZN7rocprim17ROCPRIM_400000_NS6detail17trampoline_kernelINS0_14default_configENS1_35adjacent_difference_config_selectorILb1ElEEZNS1_24adjacent_difference_implIS3_Lb1ELb0EPlS7_ZN2at6native12_GLOBAL__N_124unique_dim_cuda_templateIsEESt5tupleIJNS8_6TensorESD_SD_EERKSD_lbbbEUlllE1_EE10hipError_tPvRmT2_T3_mT4_P12ihipStream_tbEUlT_E_NS1_11comp_targetILNS1_3genE8ELNS1_11target_archE1030ELNS1_3gpuE2ELNS1_3repE0EEENS1_30default_config_static_selectorELNS0_4arch9wavefront6targetE0EEEvT1_, .Lfunc_end684-_ZN7rocprim17ROCPRIM_400000_NS6detail17trampoline_kernelINS0_14default_configENS1_35adjacent_difference_config_selectorILb1ElEEZNS1_24adjacent_difference_implIS3_Lb1ELb0EPlS7_ZN2at6native12_GLOBAL__N_124unique_dim_cuda_templateIsEESt5tupleIJNS8_6TensorESD_SD_EERKSD_lbbbEUlllE1_EE10hipError_tPvRmT2_T3_mT4_P12ihipStream_tbEUlT_E_NS1_11comp_targetILNS1_3genE8ELNS1_11target_archE1030ELNS1_3gpuE2ELNS1_3repE0EEENS1_30default_config_static_selectorELNS0_4arch9wavefront6targetE0EEEvT1_
                                        ; -- End function
	.set _ZN7rocprim17ROCPRIM_400000_NS6detail17trampoline_kernelINS0_14default_configENS1_35adjacent_difference_config_selectorILb1ElEEZNS1_24adjacent_difference_implIS3_Lb1ELb0EPlS7_ZN2at6native12_GLOBAL__N_124unique_dim_cuda_templateIsEESt5tupleIJNS8_6TensorESD_SD_EERKSD_lbbbEUlllE1_EE10hipError_tPvRmT2_T3_mT4_P12ihipStream_tbEUlT_E_NS1_11comp_targetILNS1_3genE8ELNS1_11target_archE1030ELNS1_3gpuE2ELNS1_3repE0EEENS1_30default_config_static_selectorELNS0_4arch9wavefront6targetE0EEEvT1_.num_vgpr, 0
	.set _ZN7rocprim17ROCPRIM_400000_NS6detail17trampoline_kernelINS0_14default_configENS1_35adjacent_difference_config_selectorILb1ElEEZNS1_24adjacent_difference_implIS3_Lb1ELb0EPlS7_ZN2at6native12_GLOBAL__N_124unique_dim_cuda_templateIsEESt5tupleIJNS8_6TensorESD_SD_EERKSD_lbbbEUlllE1_EE10hipError_tPvRmT2_T3_mT4_P12ihipStream_tbEUlT_E_NS1_11comp_targetILNS1_3genE8ELNS1_11target_archE1030ELNS1_3gpuE2ELNS1_3repE0EEENS1_30default_config_static_selectorELNS0_4arch9wavefront6targetE0EEEvT1_.num_agpr, 0
	.set _ZN7rocprim17ROCPRIM_400000_NS6detail17trampoline_kernelINS0_14default_configENS1_35adjacent_difference_config_selectorILb1ElEEZNS1_24adjacent_difference_implIS3_Lb1ELb0EPlS7_ZN2at6native12_GLOBAL__N_124unique_dim_cuda_templateIsEESt5tupleIJNS8_6TensorESD_SD_EERKSD_lbbbEUlllE1_EE10hipError_tPvRmT2_T3_mT4_P12ihipStream_tbEUlT_E_NS1_11comp_targetILNS1_3genE8ELNS1_11target_archE1030ELNS1_3gpuE2ELNS1_3repE0EEENS1_30default_config_static_selectorELNS0_4arch9wavefront6targetE0EEEvT1_.numbered_sgpr, 0
	.set _ZN7rocprim17ROCPRIM_400000_NS6detail17trampoline_kernelINS0_14default_configENS1_35adjacent_difference_config_selectorILb1ElEEZNS1_24adjacent_difference_implIS3_Lb1ELb0EPlS7_ZN2at6native12_GLOBAL__N_124unique_dim_cuda_templateIsEESt5tupleIJNS8_6TensorESD_SD_EERKSD_lbbbEUlllE1_EE10hipError_tPvRmT2_T3_mT4_P12ihipStream_tbEUlT_E_NS1_11comp_targetILNS1_3genE8ELNS1_11target_archE1030ELNS1_3gpuE2ELNS1_3repE0EEENS1_30default_config_static_selectorELNS0_4arch9wavefront6targetE0EEEvT1_.num_named_barrier, 0
	.set _ZN7rocprim17ROCPRIM_400000_NS6detail17trampoline_kernelINS0_14default_configENS1_35adjacent_difference_config_selectorILb1ElEEZNS1_24adjacent_difference_implIS3_Lb1ELb0EPlS7_ZN2at6native12_GLOBAL__N_124unique_dim_cuda_templateIsEESt5tupleIJNS8_6TensorESD_SD_EERKSD_lbbbEUlllE1_EE10hipError_tPvRmT2_T3_mT4_P12ihipStream_tbEUlT_E_NS1_11comp_targetILNS1_3genE8ELNS1_11target_archE1030ELNS1_3gpuE2ELNS1_3repE0EEENS1_30default_config_static_selectorELNS0_4arch9wavefront6targetE0EEEvT1_.private_seg_size, 0
	.set _ZN7rocprim17ROCPRIM_400000_NS6detail17trampoline_kernelINS0_14default_configENS1_35adjacent_difference_config_selectorILb1ElEEZNS1_24adjacent_difference_implIS3_Lb1ELb0EPlS7_ZN2at6native12_GLOBAL__N_124unique_dim_cuda_templateIsEESt5tupleIJNS8_6TensorESD_SD_EERKSD_lbbbEUlllE1_EE10hipError_tPvRmT2_T3_mT4_P12ihipStream_tbEUlT_E_NS1_11comp_targetILNS1_3genE8ELNS1_11target_archE1030ELNS1_3gpuE2ELNS1_3repE0EEENS1_30default_config_static_selectorELNS0_4arch9wavefront6targetE0EEEvT1_.uses_vcc, 0
	.set _ZN7rocprim17ROCPRIM_400000_NS6detail17trampoline_kernelINS0_14default_configENS1_35adjacent_difference_config_selectorILb1ElEEZNS1_24adjacent_difference_implIS3_Lb1ELb0EPlS7_ZN2at6native12_GLOBAL__N_124unique_dim_cuda_templateIsEESt5tupleIJNS8_6TensorESD_SD_EERKSD_lbbbEUlllE1_EE10hipError_tPvRmT2_T3_mT4_P12ihipStream_tbEUlT_E_NS1_11comp_targetILNS1_3genE8ELNS1_11target_archE1030ELNS1_3gpuE2ELNS1_3repE0EEENS1_30default_config_static_selectorELNS0_4arch9wavefront6targetE0EEEvT1_.uses_flat_scratch, 0
	.set _ZN7rocprim17ROCPRIM_400000_NS6detail17trampoline_kernelINS0_14default_configENS1_35adjacent_difference_config_selectorILb1ElEEZNS1_24adjacent_difference_implIS3_Lb1ELb0EPlS7_ZN2at6native12_GLOBAL__N_124unique_dim_cuda_templateIsEESt5tupleIJNS8_6TensorESD_SD_EERKSD_lbbbEUlllE1_EE10hipError_tPvRmT2_T3_mT4_P12ihipStream_tbEUlT_E_NS1_11comp_targetILNS1_3genE8ELNS1_11target_archE1030ELNS1_3gpuE2ELNS1_3repE0EEENS1_30default_config_static_selectorELNS0_4arch9wavefront6targetE0EEEvT1_.has_dyn_sized_stack, 0
	.set _ZN7rocprim17ROCPRIM_400000_NS6detail17trampoline_kernelINS0_14default_configENS1_35adjacent_difference_config_selectorILb1ElEEZNS1_24adjacent_difference_implIS3_Lb1ELb0EPlS7_ZN2at6native12_GLOBAL__N_124unique_dim_cuda_templateIsEESt5tupleIJNS8_6TensorESD_SD_EERKSD_lbbbEUlllE1_EE10hipError_tPvRmT2_T3_mT4_P12ihipStream_tbEUlT_E_NS1_11comp_targetILNS1_3genE8ELNS1_11target_archE1030ELNS1_3gpuE2ELNS1_3repE0EEENS1_30default_config_static_selectorELNS0_4arch9wavefront6targetE0EEEvT1_.has_recursion, 0
	.set _ZN7rocprim17ROCPRIM_400000_NS6detail17trampoline_kernelINS0_14default_configENS1_35adjacent_difference_config_selectorILb1ElEEZNS1_24adjacent_difference_implIS3_Lb1ELb0EPlS7_ZN2at6native12_GLOBAL__N_124unique_dim_cuda_templateIsEESt5tupleIJNS8_6TensorESD_SD_EERKSD_lbbbEUlllE1_EE10hipError_tPvRmT2_T3_mT4_P12ihipStream_tbEUlT_E_NS1_11comp_targetILNS1_3genE8ELNS1_11target_archE1030ELNS1_3gpuE2ELNS1_3repE0EEENS1_30default_config_static_selectorELNS0_4arch9wavefront6targetE0EEEvT1_.has_indirect_call, 0
	.section	.AMDGPU.csdata,"",@progbits
; Kernel info:
; codeLenInByte = 0
; TotalNumSgprs: 0
; NumVgprs: 0
; ScratchSize: 0
; MemoryBound: 0
; FloatMode: 240
; IeeeMode: 1
; LDSByteSize: 0 bytes/workgroup (compile time only)
; SGPRBlocks: 0
; VGPRBlocks: 0
; NumSGPRsForWavesPerEU: 1
; NumVGPRsForWavesPerEU: 1
; NamedBarCnt: 0
; Occupancy: 16
; WaveLimiterHint : 0
; COMPUTE_PGM_RSRC2:SCRATCH_EN: 0
; COMPUTE_PGM_RSRC2:USER_SGPR: 2
; COMPUTE_PGM_RSRC2:TRAP_HANDLER: 0
; COMPUTE_PGM_RSRC2:TGID_X_EN: 1
; COMPUTE_PGM_RSRC2:TGID_Y_EN: 0
; COMPUTE_PGM_RSRC2:TGID_Z_EN: 0
; COMPUTE_PGM_RSRC2:TIDIG_COMP_CNT: 0
	.section	.text._ZN7rocprim17ROCPRIM_400000_NS6detail17trampoline_kernelINS0_14default_configENS1_25partition_config_selectorILNS1_17partition_subalgoE8ElNS0_10empty_typeEbEEZZNS1_14partition_implILS5_8ELb0ES3_jPlPS6_PKS6_NS0_5tupleIJS9_S6_EEENSD_IJSA_SA_EEENS0_18inequality_wrapperIZN2at6native12_GLOBAL__N_124unique_dim_cuda_templateIsEESt5tupleIJNSH_6TensorESM_SM_EERKSM_lbbbEUlllE0_EEPmJS6_EEE10hipError_tPvRmT3_T4_T5_T6_T7_T9_mT8_P12ihipStream_tbDpT10_ENKUlT_T0_E_clISt17integral_constantIbLb0EES1C_EEDaS17_S18_EUlS17_E_NS1_11comp_targetILNS1_3genE0ELNS1_11target_archE4294967295ELNS1_3gpuE0ELNS1_3repE0EEENS1_30default_config_static_selectorELNS0_4arch9wavefront6targetE0EEEvT1_,"axG",@progbits,_ZN7rocprim17ROCPRIM_400000_NS6detail17trampoline_kernelINS0_14default_configENS1_25partition_config_selectorILNS1_17partition_subalgoE8ElNS0_10empty_typeEbEEZZNS1_14partition_implILS5_8ELb0ES3_jPlPS6_PKS6_NS0_5tupleIJS9_S6_EEENSD_IJSA_SA_EEENS0_18inequality_wrapperIZN2at6native12_GLOBAL__N_124unique_dim_cuda_templateIsEESt5tupleIJNSH_6TensorESM_SM_EERKSM_lbbbEUlllE0_EEPmJS6_EEE10hipError_tPvRmT3_T4_T5_T6_T7_T9_mT8_P12ihipStream_tbDpT10_ENKUlT_T0_E_clISt17integral_constantIbLb0EES1C_EEDaS17_S18_EUlS17_E_NS1_11comp_targetILNS1_3genE0ELNS1_11target_archE4294967295ELNS1_3gpuE0ELNS1_3repE0EEENS1_30default_config_static_selectorELNS0_4arch9wavefront6targetE0EEEvT1_,comdat
	.globl	_ZN7rocprim17ROCPRIM_400000_NS6detail17trampoline_kernelINS0_14default_configENS1_25partition_config_selectorILNS1_17partition_subalgoE8ElNS0_10empty_typeEbEEZZNS1_14partition_implILS5_8ELb0ES3_jPlPS6_PKS6_NS0_5tupleIJS9_S6_EEENSD_IJSA_SA_EEENS0_18inequality_wrapperIZN2at6native12_GLOBAL__N_124unique_dim_cuda_templateIsEESt5tupleIJNSH_6TensorESM_SM_EERKSM_lbbbEUlllE0_EEPmJS6_EEE10hipError_tPvRmT3_T4_T5_T6_T7_T9_mT8_P12ihipStream_tbDpT10_ENKUlT_T0_E_clISt17integral_constantIbLb0EES1C_EEDaS17_S18_EUlS17_E_NS1_11comp_targetILNS1_3genE0ELNS1_11target_archE4294967295ELNS1_3gpuE0ELNS1_3repE0EEENS1_30default_config_static_selectorELNS0_4arch9wavefront6targetE0EEEvT1_ ; -- Begin function _ZN7rocprim17ROCPRIM_400000_NS6detail17trampoline_kernelINS0_14default_configENS1_25partition_config_selectorILNS1_17partition_subalgoE8ElNS0_10empty_typeEbEEZZNS1_14partition_implILS5_8ELb0ES3_jPlPS6_PKS6_NS0_5tupleIJS9_S6_EEENSD_IJSA_SA_EEENS0_18inequality_wrapperIZN2at6native12_GLOBAL__N_124unique_dim_cuda_templateIsEESt5tupleIJNSH_6TensorESM_SM_EERKSM_lbbbEUlllE0_EEPmJS6_EEE10hipError_tPvRmT3_T4_T5_T6_T7_T9_mT8_P12ihipStream_tbDpT10_ENKUlT_T0_E_clISt17integral_constantIbLb0EES1C_EEDaS17_S18_EUlS17_E_NS1_11comp_targetILNS1_3genE0ELNS1_11target_archE4294967295ELNS1_3gpuE0ELNS1_3repE0EEENS1_30default_config_static_selectorELNS0_4arch9wavefront6targetE0EEEvT1_
	.p2align	8
	.type	_ZN7rocprim17ROCPRIM_400000_NS6detail17trampoline_kernelINS0_14default_configENS1_25partition_config_selectorILNS1_17partition_subalgoE8ElNS0_10empty_typeEbEEZZNS1_14partition_implILS5_8ELb0ES3_jPlPS6_PKS6_NS0_5tupleIJS9_S6_EEENSD_IJSA_SA_EEENS0_18inequality_wrapperIZN2at6native12_GLOBAL__N_124unique_dim_cuda_templateIsEESt5tupleIJNSH_6TensorESM_SM_EERKSM_lbbbEUlllE0_EEPmJS6_EEE10hipError_tPvRmT3_T4_T5_T6_T7_T9_mT8_P12ihipStream_tbDpT10_ENKUlT_T0_E_clISt17integral_constantIbLb0EES1C_EEDaS17_S18_EUlS17_E_NS1_11comp_targetILNS1_3genE0ELNS1_11target_archE4294967295ELNS1_3gpuE0ELNS1_3repE0EEENS1_30default_config_static_selectorELNS0_4arch9wavefront6targetE0EEEvT1_,@function
_ZN7rocprim17ROCPRIM_400000_NS6detail17trampoline_kernelINS0_14default_configENS1_25partition_config_selectorILNS1_17partition_subalgoE8ElNS0_10empty_typeEbEEZZNS1_14partition_implILS5_8ELb0ES3_jPlPS6_PKS6_NS0_5tupleIJS9_S6_EEENSD_IJSA_SA_EEENS0_18inequality_wrapperIZN2at6native12_GLOBAL__N_124unique_dim_cuda_templateIsEESt5tupleIJNSH_6TensorESM_SM_EERKSM_lbbbEUlllE0_EEPmJS6_EEE10hipError_tPvRmT3_T4_T5_T6_T7_T9_mT8_P12ihipStream_tbDpT10_ENKUlT_T0_E_clISt17integral_constantIbLb0EES1C_EEDaS17_S18_EUlS17_E_NS1_11comp_targetILNS1_3genE0ELNS1_11target_archE4294967295ELNS1_3gpuE0ELNS1_3repE0EEENS1_30default_config_static_selectorELNS0_4arch9wavefront6targetE0EEEvT1_: ; @_ZN7rocprim17ROCPRIM_400000_NS6detail17trampoline_kernelINS0_14default_configENS1_25partition_config_selectorILNS1_17partition_subalgoE8ElNS0_10empty_typeEbEEZZNS1_14partition_implILS5_8ELb0ES3_jPlPS6_PKS6_NS0_5tupleIJS9_S6_EEENSD_IJSA_SA_EEENS0_18inequality_wrapperIZN2at6native12_GLOBAL__N_124unique_dim_cuda_templateIsEESt5tupleIJNSH_6TensorESM_SM_EERKSM_lbbbEUlllE0_EEPmJS6_EEE10hipError_tPvRmT3_T4_T5_T6_T7_T9_mT8_P12ihipStream_tbDpT10_ENKUlT_T0_E_clISt17integral_constantIbLb0EES1C_EEDaS17_S18_EUlS17_E_NS1_11comp_targetILNS1_3genE0ELNS1_11target_archE4294967295ELNS1_3gpuE0ELNS1_3repE0EEENS1_30default_config_static_selectorELNS0_4arch9wavefront6targetE0EEEvT1_
; %bb.0:
	s_clause 0x3
	s_load_b128 s[4:7], s[0:1], 0x8
	s_load_b256 s[12:19], s[0:1], 0x40
	s_load_b32 s24, s[0:1], 0x70
	s_load_b128 s[8:11], s[0:1], 0x60
	s_bfe_u32 s20, ttmp6, 0x4000c
	s_and_b32 s2, ttmp6, 15
	s_add_co_i32 s20, s20, 1
	s_mov_b32 s3, 0
	s_mul_i32 s20, ttmp9, s20
	s_getreg_b32 s22, hwreg(HW_REG_IB_STS2, 6, 4)
	s_add_co_i32 s20, s2, s20
	s_mov_b32 s25, s3
	v_dual_mov_b32 v1, v0 :: v_dual_lshlrev_b32 v18, 3, v0
	s_mov_b32 s21, -1
	s_wait_kmcnt 0x0
	s_lshl_b64 s[26:27], s[6:7], 3
	s_load_b64 s[14:15], s[14:15], 0x0
	s_mul_i32 s2, s24, 0xe00
	s_cmp_eq_u32 s22, 0
	s_add_nc_u64 s[22:23], s[6:7], s[2:3]
	s_cselect_b32 s20, ttmp9, s20
	s_add_co_i32 s2, s2, s6
	v_cmp_le_u64_e64 s17, s[16:17], s[22:23]
	s_add_co_i32 s24, s24, -1
	s_sub_co_i32 s23, s16, s2
	s_cmp_eq_u32 s20, s24
	s_mul_i32 s24, s20, 0xe00
	s_cselect_b32 s16, -1, 0
	s_add_nc_u64 s[2:3], s[4:5], s[26:27]
	s_and_b32 s22, s16, s17
	s_lshl_b64 s[4:5], s[24:25], 3
	s_xor_b32 s17, s22, -1
	s_add_nc_u64 s[2:3], s[2:3], s[4:5]
	s_and_b32 vcc_lo, exec_lo, s17
	s_cbranch_vccz .LBB685_2
; %bb.1:
	s_clause 0x6
	global_load_b64 v[2:3], v0, s[2:3] scale_offset
	global_load_b64 v[4:5], v0, s[2:3] offset:4096 scale_offset
	global_load_b64 v[6:7], v0, s[2:3] offset:8192 scale_offset
	;; [unrolled: 1-line block ×6, first 2 shown]
	v_lshlrev_b32_e32 v16, 3, v0
	s_mov_b32 s21, 0
	s_wait_loadcnt 0x5
	ds_store_2addr_stride64_b64 v16, v[2:3], v[4:5] offset1:8
	s_wait_loadcnt 0x3
	ds_store_2addr_stride64_b64 v16, v[6:7], v[8:9] offset0:16 offset1:24
	s_wait_loadcnt 0x1
	ds_store_2addr_stride64_b64 v16, v[10:11], v[12:13] offset0:32 offset1:40
	s_wait_loadcnt 0x0
	ds_store_b64 v16, v[14:15] offset:24576
	s_wait_dscnt 0x0
	s_barrier_signal -1
	s_barrier_wait -1
.LBB685_2:
	s_and_not1_b32 vcc_lo, exec_lo, s21
	s_add_co_i32 s21, s23, 0xe00
	s_cbranch_vccnz .LBB685_18
; %bb.3:
	v_mov_b32_e32 v2, 0
	s_mov_b32 s4, exec_lo
	s_delay_alu instid0(VALU_DEP_1)
	v_dual_mov_b32 v3, v2 :: v_dual_mov_b32 v4, v2
	v_dual_mov_b32 v5, v2 :: v_dual_mov_b32 v6, v2
	;; [unrolled: 1-line block ×6, first 2 shown]
	v_mov_b32_e32 v15, v2
	v_cmpx_gt_u32_e64 s21, v0
	s_cbranch_execz .LBB685_5
; %bb.4:
	global_load_b64 v[4:5], v0, s[2:3] scale_offset
	v_dual_mov_b32 v6, v2 :: v_dual_mov_b32 v7, v2
	v_dual_mov_b32 v8, v2 :: v_dual_mov_b32 v9, v2
	;; [unrolled: 1-line block ×6, first 2 shown]
	s_wait_loadcnt 0x0
	v_mov_b64_e32 v[2:3], v[4:5]
	v_mov_b64_e32 v[4:5], v[6:7]
	;; [unrolled: 1-line block ×8, first 2 shown]
.LBB685_5:
	s_or_b32 exec_lo, exec_lo, s4
	v_or_b32_e32 v16, 0x200, v0
	s_mov_b32 s4, exec_lo
	s_delay_alu instid0(VALU_DEP_1)
	v_cmpx_gt_u32_e64 s21, v16
	s_cbranch_execz .LBB685_7
; %bb.6:
	global_load_b64 v[4:5], v0, s[2:3] offset:4096 scale_offset
.LBB685_7:
	s_wait_xcnt 0x0
	s_or_b32 exec_lo, exec_lo, s4
	v_or_b32_e32 v16, 0x400, v0
	s_mov_b32 s4, exec_lo
	s_delay_alu instid0(VALU_DEP_1)
	v_cmpx_gt_u32_e64 s21, v16
	s_cbranch_execz .LBB685_9
; %bb.8:
	global_load_b64 v[6:7], v0, s[2:3] offset:8192 scale_offset
.LBB685_9:
	s_wait_xcnt 0x0
	;; [unrolled: 10-line block ×6, first 2 shown]
	s_or_b32 exec_lo, exec_lo, s4
	v_lshlrev_b32_e32 v16, 3, v0
	s_wait_loadcnt 0x0
	ds_store_2addr_stride64_b64 v16, v[2:3], v[4:5] offset1:8
	ds_store_2addr_stride64_b64 v16, v[6:7], v[8:9] offset0:16 offset1:24
	ds_store_2addr_stride64_b64 v16, v[10:11], v[12:13] offset0:32 offset1:40
	ds_store_b64 v16, v[14:15] offset:24576
	s_wait_dscnt 0x0
	s_barrier_signal -1
	s_barrier_wait -1
.LBB685_18:
	v_mul_u32_u24_e32 v19, 7, v0
	s_cmp_lg_u32 s20, 0
	v_cmp_gt_i64_e64 s24, s[18:19], 0
	s_cselect_b32 s23, -1, 0
	v_lshlrev_b32_e32 v24, 3, v19
	s_cmp_lg_u64 s[6:7], 0
	s_mov_b32 s6, 0
	s_cselect_b32 s4, -1, 0
	ds_load_2addr_b64 v[10:13], v24 offset1:1
	ds_load_2addr_b64 v[6:9], v24 offset0:2 offset1:3
	ds_load_2addr_b64 v[2:5], v24 offset0:4 offset1:5
	ds_load_b64 v[14:15], v24 offset:48
	s_or_b32 s4, s23, s4
	s_wait_dscnt 0x0
	s_and_b32 vcc_lo, exec_lo, s4
	s_barrier_signal -1
	s_barrier_wait -1
	s_cbranch_vccz .LBB685_34
; %bb.19:
	s_add_nc_u64 s[2:3], s[2:3], -8
	v_cndmask_b32_e64 v25, 0, 1, s24
	s_load_b64 s[4:5], s[2:3], 0x0
	v_lshlrev_b32_e32 v26, 3, v0
	s_and_b32 vcc_lo, exec_lo, s17
	s_wait_xcnt 0x0
	v_cmp_ne_u32_e64 s2, 1, v25
	ds_store_b64 v26, v[14:15]
	s_cbranch_vccz .LBB685_36
; %bb.20:
	s_and_b32 vcc_lo, exec_lo, s2
	s_cbranch_vccnz .LBB685_37
; %bb.21:
	v_mul_u64_e32 v[16:17], s[18:19], v[4:5]
	v_mul_u64_e32 v[20:21], s[18:19], v[14:15]
	s_add_nc_u64 s[6:7], s[18:19], -1
	s_mov_b32 s26, 0
	s_mov_b64 s[2:3], s[6:7]
                                        ; implicit-def: $sgpr25
	s_delay_alu instid0(VALU_DEP_2) | instskip(NEXT) | instid1(VALU_DEP_2)
	v_lshl_add_u64 v[16:17], v[16:17], 1, s[8:9]
	v_lshl_add_u64 v[20:21], v[20:21], 1, s[8:9]
	s_delay_alu instid0(VALU_DEP_2)
	v_mov_b64_e32 v[22:23], v[16:17]
.LBB685_22:                             ; =>This Inner Loop Header: Depth=1
	global_load_u16 v27, v[22:23], off
	global_load_u16 v28, v[20:21], off
	s_cmp_eq_u64 s[2:3], 0
	s_add_nc_u64 s[28:29], s[2:3], -1
	s_cselect_b32 s3, -1, 0
	s_wait_xcnt 0x1
	v_add_nc_u64_e32 v[22:23], 2, v[22:23]
	s_wait_xcnt 0x0
	v_add_nc_u64_e32 v[20:21], 2, v[20:21]
	s_wait_loadcnt 0x0
	v_cmp_ne_u16_e32 vcc_lo, v27, v28
	v_cmp_eq_u16_e64 s2, v27, v28
	s_or_b32 s3, vcc_lo, s3
	s_delay_alu instid0(SALU_CYCLE_1) | instskip(NEXT) | instid1(SALU_CYCLE_1)
	s_and_b32 s3, exec_lo, s3
	s_or_b32 s26, s3, s26
	s_and_not1_b32 s25, s25, exec_lo
	s_and_b32 s27, s2, exec_lo
	s_mov_b64 s[2:3], s[28:29]
	s_or_b32 s25, s25, s27
	s_and_not1_b32 exec_lo, exec_lo, s26
	s_cbranch_execnz .LBB685_22
; %bb.23:
	s_or_b32 exec_lo, exec_lo, s26
	v_mul_u64_e32 v[20:21], s[18:19], v[2:3]
	s_mov_b32 s27, 0
	s_mov_b64 s[2:3], s[6:7]
                                        ; implicit-def: $sgpr26
	s_delay_alu instid0(VALU_DEP_1) | instskip(NEXT) | instid1(VALU_DEP_1)
	v_lshl_add_u64 v[20:21], v[20:21], 1, s[8:9]
	v_mov_b64_e32 v[22:23], v[20:21]
.LBB685_24:                             ; =>This Inner Loop Header: Depth=1
	global_load_u16 v27, v[22:23], off
	global_load_u16 v28, v[16:17], off
	s_cmp_eq_u64 s[2:3], 0
	s_add_nc_u64 s[28:29], s[2:3], -1
	s_cselect_b32 s3, -1, 0
	s_wait_xcnt 0x1
	v_add_nc_u64_e32 v[22:23], 2, v[22:23]
	s_wait_xcnt 0x0
	v_add_nc_u64_e32 v[16:17], 2, v[16:17]
	s_wait_loadcnt 0x0
	v_cmp_ne_u16_e32 vcc_lo, v27, v28
	v_cmp_eq_u16_e64 s2, v27, v28
	s_or_b32 s3, vcc_lo, s3
	s_delay_alu instid0(SALU_CYCLE_1) | instskip(NEXT) | instid1(SALU_CYCLE_1)
	s_and_b32 s3, exec_lo, s3
	s_or_b32 s27, s3, s27
	s_and_not1_b32 s26, s26, exec_lo
	s_and_b32 s30, s2, exec_lo
	s_mov_b64 s[2:3], s[28:29]
	s_or_b32 s26, s26, s30
	s_and_not1_b32 exec_lo, exec_lo, s27
	s_cbranch_execnz .LBB685_24
; %bb.25:
	s_or_b32 exec_lo, exec_lo, s27
	v_mul_u64_e32 v[16:17], s[18:19], v[8:9]
	s_mov_b32 s28, 0
	s_mov_b64 s[2:3], s[6:7]
                                        ; implicit-def: $sgpr27
	s_delay_alu instid0(VALU_DEP_1) | instskip(NEXT) | instid1(VALU_DEP_1)
	v_lshl_add_u64 v[16:17], v[16:17], 1, s[8:9]
	v_mov_b64_e32 v[22:23], v[16:17]
.LBB685_26:                             ; =>This Inner Loop Header: Depth=1
	global_load_u16 v27, v[22:23], off
	global_load_u16 v28, v[20:21], off
	s_cmp_eq_u64 s[2:3], 0
	s_add_nc_u64 s[30:31], s[2:3], -1
	s_cselect_b32 s3, -1, 0
	s_wait_xcnt 0x1
	v_add_nc_u64_e32 v[22:23], 2, v[22:23]
	s_wait_xcnt 0x0
	v_add_nc_u64_e32 v[20:21], 2, v[20:21]
	s_wait_loadcnt 0x0
	v_cmp_ne_u16_e32 vcc_lo, v27, v28
	v_cmp_eq_u16_e64 s2, v27, v28
	s_or_b32 s3, vcc_lo, s3
	s_delay_alu instid0(SALU_CYCLE_1) | instskip(NEXT) | instid1(SALU_CYCLE_1)
	s_and_b32 s3, exec_lo, s3
	s_or_b32 s28, s3, s28
	s_and_not1_b32 s27, s27, exec_lo
	s_and_b32 s29, s2, exec_lo
	s_mov_b64 s[2:3], s[30:31]
	s_or_b32 s27, s27, s29
	s_and_not1_b32 exec_lo, exec_lo, s28
	s_cbranch_execnz .LBB685_26
; %bb.27:
	s_or_b32 exec_lo, exec_lo, s28
	v_mul_u64_e32 v[20:21], s[18:19], v[6:7]
	s_mov_b32 s29, 0
	s_mov_b64 s[2:3], s[6:7]
                                        ; implicit-def: $sgpr28
	s_delay_alu instid0(VALU_DEP_1) | instskip(NEXT) | instid1(VALU_DEP_1)
	v_lshl_add_u64 v[20:21], v[20:21], 1, s[8:9]
	v_mov_b64_e32 v[22:23], v[20:21]
.LBB685_28:                             ; =>This Inner Loop Header: Depth=1
	global_load_u16 v27, v[22:23], off
	global_load_u16 v28, v[16:17], off
	s_cmp_eq_u64 s[2:3], 0
	s_add_nc_u64 s[30:31], s[2:3], -1
	s_cselect_b32 s3, -1, 0
	s_wait_xcnt 0x1
	v_add_nc_u64_e32 v[22:23], 2, v[22:23]
	s_wait_xcnt 0x0
	v_add_nc_u64_e32 v[16:17], 2, v[16:17]
	s_wait_loadcnt 0x0
	v_cmp_ne_u16_e32 vcc_lo, v27, v28
	v_cmp_eq_u16_e64 s2, v27, v28
	s_or_b32 s3, vcc_lo, s3
	s_delay_alu instid0(SALU_CYCLE_1) | instskip(NEXT) | instid1(SALU_CYCLE_1)
	s_and_b32 s3, exec_lo, s3
	s_or_b32 s29, s3, s29
	s_and_not1_b32 s28, s28, exec_lo
	s_and_b32 s33, s2, exec_lo
	s_mov_b64 s[2:3], s[30:31]
	s_or_b32 s28, s28, s33
	s_and_not1_b32 exec_lo, exec_lo, s29
	s_cbranch_execnz .LBB685_28
; %bb.29:
	s_or_b32 exec_lo, exec_lo, s29
	v_mul_u64_e32 v[16:17], s[18:19], v[12:13]
	s_mov_b32 s30, 0
	s_mov_b64 s[2:3], s[6:7]
                                        ; implicit-def: $sgpr29
	s_delay_alu instid0(VALU_DEP_1) | instskip(NEXT) | instid1(VALU_DEP_1)
	v_lshl_add_u64 v[16:17], v[16:17], 1, s[8:9]
	v_mov_b64_e32 v[22:23], v[16:17]
.LBB685_30:                             ; =>This Inner Loop Header: Depth=1
	global_load_u16 v27, v[22:23], off
	global_load_u16 v28, v[20:21], off
	s_cmp_eq_u64 s[2:3], 0
	s_add_nc_u64 s[34:35], s[2:3], -1
	s_cselect_b32 s3, -1, 0
	s_wait_xcnt 0x1
	v_add_nc_u64_e32 v[22:23], 2, v[22:23]
	s_wait_xcnt 0x0
	v_add_nc_u64_e32 v[20:21], 2, v[20:21]
	s_wait_loadcnt 0x0
	v_cmp_ne_u16_e32 vcc_lo, v27, v28
	v_cmp_eq_u16_e64 s2, v27, v28
	s_or_b32 s3, vcc_lo, s3
	s_delay_alu instid0(SALU_CYCLE_1) | instskip(NEXT) | instid1(SALU_CYCLE_1)
	s_and_b32 s3, exec_lo, s3
	s_or_b32 s30, s3, s30
	s_and_not1_b32 s29, s29, exec_lo
	s_and_b32 s31, s2, exec_lo
	s_mov_b64 s[2:3], s[34:35]
	s_or_b32 s29, s29, s31
	s_and_not1_b32 exec_lo, exec_lo, s30
	s_cbranch_execnz .LBB685_30
; %bb.31:
	s_or_b32 exec_lo, exec_lo, s30
	v_mul_u64_e32 v[20:21], s[18:19], v[10:11]
	s_mov_b32 s30, 0
                                        ; implicit-def: $sgpr3
	s_delay_alu instid0(VALU_DEP_1)
	v_lshl_add_u64 v[20:21], v[20:21], 1, s[8:9]
.LBB685_32:                             ; =>This Inner Loop Header: Depth=1
	global_load_u16 v22, v[20:21], off
	global_load_u16 v23, v[16:17], off
	s_cmp_eq_u64 s[6:7], 0
	s_add_nc_u64 s[34:35], s[6:7], -1
	s_cselect_b32 s6, -1, 0
	s_wait_xcnt 0x1
	v_add_nc_u64_e32 v[20:21], 2, v[20:21]
	s_wait_xcnt 0x0
	v_add_nc_u64_e32 v[16:17], 2, v[16:17]
	s_wait_loadcnt 0x0
	v_cmp_ne_u16_e32 vcc_lo, v22, v23
	v_cmp_eq_u16_e64 s2, v22, v23
	s_or_b32 s6, vcc_lo, s6
	s_delay_alu instid0(SALU_CYCLE_1) | instskip(NEXT) | instid1(SALU_CYCLE_1)
	s_and_b32 s6, exec_lo, s6
	s_or_b32 s30, s6, s30
	s_and_not1_b32 s3, s3, exec_lo
	s_and_b32 s2, s2, exec_lo
	s_mov_b64 s[6:7], s[34:35]
	s_or_b32 s3, s3, s2
	s_and_not1_b32 exec_lo, exec_lo, s30
	s_cbranch_execnz .LBB685_32
; %bb.33:
	s_or_b32 exec_lo, exec_lo, s30
	s_xor_b32 s2, s28, -1
	s_xor_b32 s3, s3, -1
	v_cndmask_b32_e64 v16, 0, 1, s2
	s_xor_b32 s2, s29, -1
	s_delay_alu instid0(SALU_CYCLE_1) | instskip(SKIP_1) | instid1(VALU_DEP_2)
	v_cndmask_b32_e64 v17, 0, 1, s2
	s_xor_b32 s2, s26, -1
	v_lshlrev_b16 v16, 8, v16
	v_cndmask_b32_e64 v31, 0, 1, s2
	s_xor_b32 s2, s25, -1
	s_delay_alu instid0(SALU_CYCLE_1) | instskip(NEXT) | instid1(VALU_DEP_3)
	v_cndmask_b32_e64 v30, 0, 1, s2
	v_lshrrev_b32_e32 v16, 8, v16
	s_xor_b32 s2, s27, -1
	s_delay_alu instid0(VALU_DEP_1) | instskip(NEXT) | instid1(VALU_DEP_1)
	v_and_b32_e32 v16, 1, v16
	v_lshlrev_b16 v16, 8, v16
	s_delay_alu instid0(VALU_DEP_1) | instskip(SKIP_1) | instid1(VALU_DEP_2)
	v_or_b32_e32 v16, v17, v16
	v_cndmask_b32_e64 v17, 0, 1, s2
	v_lshlrev_b32_e32 v16, 16, v16
	s_branch .LBB685_38
.LBB685_34:
                                        ; implicit-def: $sgpr2
                                        ; implicit-def: $vgpr30
                                        ; implicit-def: $vgpr31
                                        ; implicit-def: $vgpr17
                                        ; implicit-def: $vgpr21
	s_branch .LBB685_91
.LBB685_35:
                                        ; implicit-def: $vgpr33
                                        ; implicit-def: $vgpr32
                                        ; implicit-def: $vgpr20
	s_branch .LBB685_160
.LBB685_36:
                                        ; implicit-def: $sgpr2
                                        ; implicit-def: $vgpr30
                                        ; implicit-def: $vgpr31
                                        ; implicit-def: $vgpr17
                                        ; implicit-def: $vgpr21
	s_cbranch_execnz .LBB685_45
	s_branch .LBB685_90
.LBB685_37:
	v_dual_mov_b32 v16, 0 :: v_dual_mov_b32 v30, 0
	v_dual_mov_b32 v31, 0 :: v_dual_mov_b32 v17, 0
	s_mov_b32 s3, 0
.LBB685_38:
	s_wait_kmcnt 0x0
	v_mov_b64_e32 v[20:21], s[4:5]
	s_mov_b32 s2, 0
	s_mov_b32 s6, exec_lo
	s_wait_dscnt 0x0
	s_barrier_signal -1
	s_barrier_wait -1
	v_cmpx_ne_u32_e32 0, v0
; %bb.39:
	v_add_nc_u32_e32 v20, -8, v26
	ds_load_b64 v[20:21], v20
; %bb.40:
	s_or_b32 exec_lo, exec_lo, s6
	v_cndmask_b32_e64 v22, 0, 1, s3
	v_lshrrev_b32_e32 v23, 16, v16
	s_and_not1_b32 vcc_lo, exec_lo, s24
	s_delay_alu instid0(VALU_DEP_2) | instskip(NEXT) | instid1(VALU_DEP_1)
	v_lshlrev_b16 v22, 8, v22
	v_bitop3_b16 v22, v16, v22, 0xff bitop3:0xec
	s_delay_alu instid0(VALU_DEP_3) | instskip(NEXT) | instid1(VALU_DEP_2)
	v_perm_b32 v16, v23, v16, 0xc0c0304
	v_and_b32_e32 v27, 0xffff, v22
	s_cbranch_vccnz .LBB685_44
; %bb.41:
	s_wait_dscnt 0x0
	v_mul_u64_e32 v[20:21], s[18:19], v[20:21]
	v_mul_u64_e32 v[22:23], s[18:19], v[10:11]
	s_add_nc_u64 s[2:3], s[18:19], -1
	s_mov_b32 s6, 0
                                        ; implicit-def: $sgpr7
	s_delay_alu instid0(VALU_DEP_2) | instskip(NEXT) | instid1(VALU_DEP_2)
	v_lshl_add_u64 v[20:21], v[20:21], 1, s[8:9]
	v_lshl_add_u64 v[22:23], v[22:23], 1, s[8:9]
.LBB685_42:                             ; =>This Inner Loop Header: Depth=1
	global_load_u16 v28, v[20:21], off
	global_load_u16 v29, v[22:23], off
	s_cmp_eq_u64 s[2:3], 0
	s_add_nc_u64 s[26:27], s[2:3], -1
	s_cselect_b32 s3, -1, 0
	s_wait_xcnt 0x1
	v_add_nc_u64_e32 v[20:21], 2, v[20:21]
	s_wait_xcnt 0x0
	v_add_nc_u64_e32 v[22:23], 2, v[22:23]
	s_wait_loadcnt 0x0
	v_cmp_ne_u16_e32 vcc_lo, v28, v29
	v_cmp_eq_u16_e64 s2, v28, v29
	s_or_b32 s3, vcc_lo, s3
	s_delay_alu instid0(SALU_CYCLE_1) | instskip(NEXT) | instid1(SALU_CYCLE_1)
	s_and_b32 s3, exec_lo, s3
	s_or_b32 s6, s3, s6
	s_and_not1_b32 s7, s7, exec_lo
	s_and_b32 s25, s2, exec_lo
	s_mov_b64 s[2:3], s[26:27]
	s_or_b32 s7, s7, s25
	s_and_not1_b32 exec_lo, exec_lo, s6
	s_cbranch_execnz .LBB685_42
; %bb.43:
	s_or_b32 exec_lo, exec_lo, s6
	s_xor_b32 s2, s7, -1
.LBB685_44:
	s_wait_dscnt 0x0
	s_delay_alu instid0(VALU_DEP_1)
	v_lshl_or_b32 v21, v16, 16, v27
	s_branch .LBB685_90
.LBB685_45:
	v_add_nc_u32_e32 v16, 6, v19
	s_mov_b32 s7, 0
	s_mov_b32 s6, 0
	s_mov_b32 s25, exec_lo
	s_delay_alu instid0(VALU_DEP_1)
	v_cmpx_gt_u32_e64 s21, v16
	s_cbranch_execz .LBB685_51
; %bb.46:
	s_and_not1_b32 vcc_lo, exec_lo, s24
	s_mov_b32 s2, 0
	s_cbranch_vccnz .LBB685_50
; %bb.47:
	v_mul_u64_e32 v[16:17], s[18:19], v[4:5]
	v_mul_u64_e32 v[20:21], s[18:19], v[14:15]
	s_add_nc_u64 s[2:3], s[18:19], -1
                                        ; implicit-def: $sgpr24
	s_delay_alu instid0(VALU_DEP_2) | instskip(NEXT) | instid1(VALU_DEP_2)
	v_lshl_add_u64 v[16:17], v[16:17], 1, s[8:9]
	v_lshl_add_u64 v[20:21], v[20:21], 1, s[8:9]
.LBB685_48:                             ; =>This Inner Loop Header: Depth=1
	global_load_u16 v22, v[16:17], off
	global_load_u16 v23, v[20:21], off
	s_cmp_eq_u64 s[2:3], 0
	s_add_nc_u64 s[26:27], s[2:3], -1
	s_cselect_b32 s3, -1, 0
	s_wait_xcnt 0x1
	v_add_nc_u64_e32 v[16:17], 2, v[16:17]
	s_wait_xcnt 0x0
	v_add_nc_u64_e32 v[20:21], 2, v[20:21]
	s_wait_loadcnt 0x0
	v_cmp_ne_u16_e32 vcc_lo, v22, v23
	v_cmp_eq_u16_e64 s2, v22, v23
	s_or_b32 s3, vcc_lo, s3
	s_delay_alu instid0(SALU_CYCLE_1) | instskip(NEXT) | instid1(SALU_CYCLE_1)
	s_and_b32 s3, exec_lo, s3
	s_or_b32 s6, s3, s6
	s_and_not1_b32 s24, s24, exec_lo
	s_and_b32 s28, s2, exec_lo
	s_mov_b64 s[2:3], s[26:27]
	s_or_b32 s24, s24, s28
	s_and_not1_b32 exec_lo, exec_lo, s6
	s_cbranch_execnz .LBB685_48
; %bb.49:
	s_or_b32 exec_lo, exec_lo, s6
	s_xor_b32 s2, s24, -1
.LBB685_50:
	s_delay_alu instid0(SALU_CYCLE_1)
	s_and_b32 s6, s2, exec_lo
.LBB685_51:
	s_or_b32 exec_lo, exec_lo, s25
	v_add_nc_u32_e32 v16, 5, v19
	s_mov_b32 s24, exec_lo
	s_delay_alu instid0(VALU_DEP_1)
	v_cmpx_gt_u32_e64 s21, v16
	s_cbranch_execz .LBB685_57
; %bb.52:
	v_cmp_ne_u32_e32 vcc_lo, 1, v25
	s_mov_b32 s2, 0
	s_cbranch_vccnz .LBB685_56
; %bb.53:
	v_mul_u64_e32 v[16:17], s[18:19], v[2:3]
	v_mul_u64_e32 v[20:21], s[18:19], v[4:5]
	s_add_nc_u64 s[2:3], s[18:19], -1
	s_mov_b32 s7, 0
                                        ; implicit-def: $sgpr25
	s_delay_alu instid0(VALU_DEP_2) | instskip(NEXT) | instid1(VALU_DEP_2)
	v_lshl_add_u64 v[16:17], v[16:17], 1, s[8:9]
	v_lshl_add_u64 v[20:21], v[20:21], 1, s[8:9]
.LBB685_54:                             ; =>This Inner Loop Header: Depth=1
	global_load_u16 v22, v[16:17], off
	global_load_u16 v23, v[20:21], off
	s_cmp_eq_u64 s[2:3], 0
	s_add_nc_u64 s[26:27], s[2:3], -1
	s_cselect_b32 s3, -1, 0
	s_wait_xcnt 0x1
	v_add_nc_u64_e32 v[16:17], 2, v[16:17]
	s_wait_xcnt 0x0
	v_add_nc_u64_e32 v[20:21], 2, v[20:21]
	s_wait_loadcnt 0x0
	v_cmp_ne_u16_e32 vcc_lo, v22, v23
	v_cmp_eq_u16_e64 s2, v22, v23
	s_or_b32 s3, vcc_lo, s3
	s_delay_alu instid0(SALU_CYCLE_1) | instskip(NEXT) | instid1(SALU_CYCLE_1)
	s_and_b32 s3, exec_lo, s3
	s_or_b32 s7, s3, s7
	s_and_not1_b32 s25, s25, exec_lo
	s_and_b32 s28, s2, exec_lo
	s_mov_b64 s[2:3], s[26:27]
	s_or_b32 s25, s25, s28
	s_and_not1_b32 exec_lo, exec_lo, s7
	s_cbranch_execnz .LBB685_54
; %bb.55:
	s_or_b32 exec_lo, exec_lo, s7
	s_xor_b32 s2, s25, -1
.LBB685_56:
	s_delay_alu instid0(SALU_CYCLE_1)
	s_and_b32 s7, s2, exec_lo
.LBB685_57:
	s_or_b32 exec_lo, exec_lo, s24
	v_add_nc_u32_e32 v16, 4, v19
	s_mov_b32 s25, 0
	s_mov_b32 s24, 0
	s_mov_b32 s26, exec_lo
	s_delay_alu instid0(VALU_DEP_1)
	v_cmpx_gt_u32_e64 s21, v16
	s_cbranch_execz .LBB685_63
; %bb.58:
	v_cmp_ne_u32_e32 vcc_lo, 1, v25
	s_mov_b32 s2, 0
	s_cbranch_vccnz .LBB685_62
; %bb.59:
	v_mul_u64_e32 v[16:17], s[18:19], v[8:9]
	v_mul_u64_e32 v[20:21], s[18:19], v[2:3]
	s_add_nc_u64 s[2:3], s[18:19], -1
                                        ; implicit-def: $sgpr27
	s_delay_alu instid0(VALU_DEP_2) | instskip(NEXT) | instid1(VALU_DEP_2)
	v_lshl_add_u64 v[16:17], v[16:17], 1, s[8:9]
	v_lshl_add_u64 v[20:21], v[20:21], 1, s[8:9]
.LBB685_60:                             ; =>This Inner Loop Header: Depth=1
	global_load_u16 v22, v[16:17], off
	global_load_u16 v23, v[20:21], off
	s_cmp_eq_u64 s[2:3], 0
	s_add_nc_u64 s[28:29], s[2:3], -1
	s_cselect_b32 s3, -1, 0
	s_wait_xcnt 0x1
	v_add_nc_u64_e32 v[16:17], 2, v[16:17]
	s_wait_xcnt 0x0
	v_add_nc_u64_e32 v[20:21], 2, v[20:21]
	s_wait_loadcnt 0x0
	v_cmp_ne_u16_e32 vcc_lo, v22, v23
	v_cmp_eq_u16_e64 s2, v22, v23
	s_or_b32 s3, vcc_lo, s3
	s_delay_alu instid0(SALU_CYCLE_1) | instskip(NEXT) | instid1(SALU_CYCLE_1)
	s_and_b32 s3, exec_lo, s3
	s_or_b32 s24, s3, s24
	s_and_not1_b32 s27, s27, exec_lo
	s_and_b32 s30, s2, exec_lo
	s_mov_b64 s[2:3], s[28:29]
	s_or_b32 s27, s27, s30
	s_and_not1_b32 exec_lo, exec_lo, s24
	s_cbranch_execnz .LBB685_60
; %bb.61:
	s_or_b32 exec_lo, exec_lo, s24
	s_xor_b32 s2, s27, -1
.LBB685_62:
	s_delay_alu instid0(SALU_CYCLE_1)
	s_and_b32 s24, s2, exec_lo
.LBB685_63:
	s_or_b32 exec_lo, exec_lo, s26
	v_add_nc_u32_e32 v16, 3, v19
	s_mov_b32 s26, exec_lo
	s_delay_alu instid0(VALU_DEP_1)
	v_cmpx_gt_u32_e64 s21, v16
	s_cbranch_execz .LBB685_69
; %bb.64:
	v_cmp_ne_u32_e32 vcc_lo, 1, v25
	s_mov_b32 s2, 0
	s_cbranch_vccnz .LBB685_68
; %bb.65:
	v_mul_u64_e32 v[16:17], s[18:19], v[6:7]
	v_mul_u64_e32 v[20:21], s[18:19], v[8:9]
	s_add_nc_u64 s[2:3], s[18:19], -1
	s_mov_b32 s25, 0
                                        ; implicit-def: $sgpr27
	s_delay_alu instid0(VALU_DEP_2) | instskip(NEXT) | instid1(VALU_DEP_2)
	v_lshl_add_u64 v[16:17], v[16:17], 1, s[8:9]
	v_lshl_add_u64 v[20:21], v[20:21], 1, s[8:9]
.LBB685_66:                             ; =>This Inner Loop Header: Depth=1
	global_load_u16 v22, v[16:17], off
	global_load_u16 v23, v[20:21], off
	s_cmp_eq_u64 s[2:3], 0
	s_add_nc_u64 s[28:29], s[2:3], -1
	s_cselect_b32 s3, -1, 0
	s_wait_xcnt 0x1
	v_add_nc_u64_e32 v[16:17], 2, v[16:17]
	s_wait_xcnt 0x0
	v_add_nc_u64_e32 v[20:21], 2, v[20:21]
	s_wait_loadcnt 0x0
	v_cmp_ne_u16_e32 vcc_lo, v22, v23
	v_cmp_eq_u16_e64 s2, v22, v23
	s_or_b32 s3, vcc_lo, s3
	s_delay_alu instid0(SALU_CYCLE_1) | instskip(NEXT) | instid1(SALU_CYCLE_1)
	s_and_b32 s3, exec_lo, s3
	s_or_b32 s25, s3, s25
	s_and_not1_b32 s27, s27, exec_lo
	s_and_b32 s30, s2, exec_lo
	s_mov_b64 s[2:3], s[28:29]
	s_or_b32 s27, s27, s30
	s_and_not1_b32 exec_lo, exec_lo, s25
	s_cbranch_execnz .LBB685_66
; %bb.67:
	s_or_b32 exec_lo, exec_lo, s25
	s_xor_b32 s2, s27, -1
.LBB685_68:
	s_delay_alu instid0(SALU_CYCLE_1)
	s_and_b32 s25, s2, exec_lo
.LBB685_69:
	s_or_b32 exec_lo, exec_lo, s26
	v_add_nc_u32_e32 v16, 2, v19
	s_mov_b32 s26, 0
	s_mov_b32 s27, 0
	s_mov_b32 s28, exec_lo
	s_delay_alu instid0(VALU_DEP_1)
	v_cmpx_gt_u32_e64 s21, v16
	s_cbranch_execz .LBB685_75
; %bb.70:
	v_cmp_ne_u32_e32 vcc_lo, 1, v25
	s_mov_b32 s2, 0
	s_cbranch_vccnz .LBB685_74
; %bb.71:
	v_mul_u64_e32 v[16:17], s[18:19], v[12:13]
	v_mul_u64_e32 v[20:21], s[18:19], v[6:7]
	s_add_nc_u64 s[2:3], s[18:19], -1
                                        ; implicit-def: $sgpr29
	s_delay_alu instid0(VALU_DEP_2) | instskip(NEXT) | instid1(VALU_DEP_2)
	v_lshl_add_u64 v[16:17], v[16:17], 1, s[8:9]
	v_lshl_add_u64 v[20:21], v[20:21], 1, s[8:9]
.LBB685_72:                             ; =>This Inner Loop Header: Depth=1
	global_load_u16 v22, v[16:17], off
	global_load_u16 v23, v[20:21], off
	s_cmp_eq_u64 s[2:3], 0
	s_add_nc_u64 s[30:31], s[2:3], -1
	s_cselect_b32 s3, -1, 0
	s_wait_xcnt 0x1
	v_add_nc_u64_e32 v[16:17], 2, v[16:17]
	s_wait_xcnt 0x0
	v_add_nc_u64_e32 v[20:21], 2, v[20:21]
	s_wait_loadcnt 0x0
	v_cmp_ne_u16_e32 vcc_lo, v22, v23
	v_cmp_eq_u16_e64 s2, v22, v23
	s_or_b32 s3, vcc_lo, s3
	s_delay_alu instid0(SALU_CYCLE_1) | instskip(NEXT) | instid1(SALU_CYCLE_1)
	s_and_b32 s3, exec_lo, s3
	s_or_b32 s27, s3, s27
	s_and_not1_b32 s29, s29, exec_lo
	s_and_b32 s33, s2, exec_lo
	s_mov_b64 s[2:3], s[30:31]
	s_or_b32 s29, s29, s33
	s_and_not1_b32 exec_lo, exec_lo, s27
	s_cbranch_execnz .LBB685_72
; %bb.73:
	s_or_b32 exec_lo, exec_lo, s27
	s_xor_b32 s2, s29, -1
.LBB685_74:
	s_delay_alu instid0(SALU_CYCLE_1)
	s_and_b32 s27, s2, exec_lo
.LBB685_75:
	s_or_b32 exec_lo, exec_lo, s28
	v_add_nc_u32_e32 v16, 1, v19
	s_mov_b32 s28, exec_lo
	s_delay_alu instid0(VALU_DEP_1)
	v_cmpx_gt_u32_e64 s21, v16
	s_cbranch_execz .LBB685_81
; %bb.76:
	v_cmp_ne_u32_e32 vcc_lo, 1, v25
	s_mov_b32 s2, 0
	s_cbranch_vccnz .LBB685_80
; %bb.77:
	v_mul_u64_e32 v[16:17], s[18:19], v[10:11]
	v_mul_u64_e32 v[20:21], s[18:19], v[12:13]
	s_add_nc_u64 s[2:3], s[18:19], -1
	s_mov_b32 s26, 0
                                        ; implicit-def: $sgpr29
	s_delay_alu instid0(VALU_DEP_2) | instskip(NEXT) | instid1(VALU_DEP_2)
	v_lshl_add_u64 v[16:17], v[16:17], 1, s[8:9]
	v_lshl_add_u64 v[20:21], v[20:21], 1, s[8:9]
.LBB685_78:                             ; =>This Inner Loop Header: Depth=1
	global_load_u16 v22, v[16:17], off
	global_load_u16 v23, v[20:21], off
	s_cmp_eq_u64 s[2:3], 0
	s_add_nc_u64 s[30:31], s[2:3], -1
	s_cselect_b32 s3, -1, 0
	s_wait_xcnt 0x1
	v_add_nc_u64_e32 v[16:17], 2, v[16:17]
	s_wait_xcnt 0x0
	v_add_nc_u64_e32 v[20:21], 2, v[20:21]
	s_wait_loadcnt 0x0
	v_cmp_ne_u16_e32 vcc_lo, v22, v23
	v_cmp_eq_u16_e64 s2, v22, v23
	s_or_b32 s3, vcc_lo, s3
	s_delay_alu instid0(SALU_CYCLE_1) | instskip(NEXT) | instid1(SALU_CYCLE_1)
	s_and_b32 s3, exec_lo, s3
	s_or_b32 s26, s3, s26
	s_and_not1_b32 s29, s29, exec_lo
	s_and_b32 s33, s2, exec_lo
	s_mov_b64 s[2:3], s[30:31]
	s_or_b32 s29, s29, s33
	s_and_not1_b32 exec_lo, exec_lo, s26
	s_cbranch_execnz .LBB685_78
; %bb.79:
	s_or_b32 exec_lo, exec_lo, s26
	s_xor_b32 s2, s29, -1
.LBB685_80:
	s_delay_alu instid0(SALU_CYCLE_1)
	s_and_b32 s26, s2, exec_lo
.LBB685_81:
	s_or_b32 exec_lo, exec_lo, s28
	s_wait_kmcnt 0x0
	v_mov_b64_e32 v[16:17], s[4:5]
	s_mov_b32 s2, 0
	s_mov_b32 s3, exec_lo
	s_wait_dscnt 0x0
	s_barrier_signal -1
	s_barrier_wait -1
	v_cmpx_ne_u32_e32 0, v0
; %bb.82:
	v_add_nc_u32_e32 v16, -8, v26
	ds_load_b64 v[16:17], v16
; %bb.83:
	s_or_b32 exec_lo, exec_lo, s3
	v_cndmask_b32_e64 v20, 0, 1, s25
	v_cndmask_b32_e64 v21, 0, 1, s27
	;; [unrolled: 1-line block ×3, first 2 shown]
	s_mov_b32 s4, exec_lo
	s_delay_alu instid0(VALU_DEP_3) | instskip(NEXT) | instid1(VALU_DEP_2)
	v_lshlrev_b16 v20, 8, v20
	v_lshlrev_b16 v22, 8, v22
	s_delay_alu instid0(VALU_DEP_2) | instskip(NEXT) | instid1(VALU_DEP_2)
	v_or_b32_e32 v20, v21, v20
	v_and_b32_e32 v22, 0xffff, v22
	s_delay_alu instid0(VALU_DEP_2)
	v_lshlrev_b32_e32 v23, 16, v20
	v_cmpx_gt_u32_e64 s21, v19
	s_cbranch_execz .LBB685_89
; %bb.84:
	v_cmp_ne_u32_e32 vcc_lo, 1, v25
	s_cbranch_vccnz .LBB685_88
; %bb.85:
	s_wait_dscnt 0x0
	v_mul_u64_e32 v[16:17], s[18:19], v[16:17]
	v_mul_u64_e32 v[20:21], s[18:19], v[10:11]
	s_add_nc_u64 s[2:3], s[18:19], -1
	s_mov_b32 s5, 0
                                        ; implicit-def: $sgpr25
	s_delay_alu instid0(VALU_DEP_2) | instskip(NEXT) | instid1(VALU_DEP_2)
	v_lshl_add_u64 v[16:17], v[16:17], 1, s[8:9]
	v_lshl_add_u64 v[20:21], v[20:21], 1, s[8:9]
.LBB685_86:                             ; =>This Inner Loop Header: Depth=1
	global_load_u16 v25, v[16:17], off
	global_load_u16 v26, v[20:21], off
	s_cmp_eq_u64 s[2:3], 0
	s_add_nc_u64 s[26:27], s[2:3], -1
	s_cselect_b32 s3, -1, 0
	s_wait_xcnt 0x1
	v_add_nc_u64_e32 v[16:17], 2, v[16:17]
	s_wait_xcnt 0x0
	v_add_nc_u64_e32 v[20:21], 2, v[20:21]
	s_wait_loadcnt 0x0
	v_cmp_ne_u16_e32 vcc_lo, v25, v26
	v_cmp_eq_u16_e64 s2, v25, v26
	s_or_b32 s3, vcc_lo, s3
	s_delay_alu instid0(SALU_CYCLE_1) | instskip(NEXT) | instid1(SALU_CYCLE_1)
	s_and_b32 s3, exec_lo, s3
	s_or_b32 s5, s3, s5
	s_and_not1_b32 s25, s25, exec_lo
	s_and_b32 s28, s2, exec_lo
	s_mov_b64 s[2:3], s[26:27]
	s_or_b32 s25, s25, s28
	s_and_not1_b32 exec_lo, exec_lo, s5
	s_cbranch_execnz .LBB685_86
; %bb.87:
	s_or_b32 exec_lo, exec_lo, s5
	s_xor_b32 s2, s25, -1
.LBB685_88:
	s_delay_alu instid0(SALU_CYCLE_1)
	s_and_b32 s2, s2, exec_lo
.LBB685_89:
	s_or_b32 exec_lo, exec_lo, s4
	s_wait_dscnt 0x0
	v_cndmask_b32_e64 v17, 0, 1, s24
	v_cndmask_b32_e64 v31, 0, 1, s7
	v_cndmask_b32_e64 v30, 0, 1, s6
	v_or_b32_e32 v21, v22, v23
.LBB685_90:
	s_mov_b32 s6, -1
	s_cbranch_execnz .LBB685_35
.LBB685_91:
	v_cmp_gt_i64_e64 s7, s[18:19], 0
	v_mad_i32_i24 v26, 0xffffffd0, v0, v24
	s_and_b32 vcc_lo, exec_lo, s17
	ds_store_b64 v26, v[14:15]
	s_cbranch_vccz .LBB685_106
; %bb.92:
	s_and_not1_b32 vcc_lo, exec_lo, s7
	s_cbranch_vccnz .LBB685_107
; %bb.93:
	v_mul_u64_e32 v[16:17], s[18:19], v[4:5]
	v_mul_u64_e32 v[20:21], s[18:19], v[14:15]
	s_wait_kmcnt 0x0
	s_add_nc_u64 s[4:5], s[18:19], -1
	s_mov_b32 s25, 0
	s_mov_b64 s[2:3], s[4:5]
                                        ; implicit-def: $sgpr24
	s_delay_alu instid0(VALU_DEP_2) | instskip(NEXT) | instid1(VALU_DEP_2)
	v_lshl_add_u64 v[16:17], v[16:17], 1, s[8:9]
	v_lshl_add_u64 v[20:21], v[20:21], 1, s[8:9]
	s_delay_alu instid0(VALU_DEP_2)
	v_mov_b64_e32 v[22:23], v[16:17]
.LBB685_94:                             ; =>This Inner Loop Header: Depth=1
	global_load_u16 v24, v[22:23], off
	global_load_u16 v25, v[20:21], off
	s_cmp_eq_u64 s[2:3], 0
	s_add_nc_u64 s[26:27], s[2:3], -1
	s_cselect_b32 s3, -1, 0
	s_wait_xcnt 0x1
	v_add_nc_u64_e32 v[22:23], 2, v[22:23]
	s_wait_xcnt 0x0
	v_add_nc_u64_e32 v[20:21], 2, v[20:21]
	s_wait_loadcnt 0x0
	v_cmp_ne_u16_e32 vcc_lo, v24, v25
	v_cmp_eq_u16_e64 s2, v24, v25
	s_or_b32 s3, vcc_lo, s3
	s_delay_alu instid0(SALU_CYCLE_1) | instskip(NEXT) | instid1(SALU_CYCLE_1)
	s_and_b32 s3, exec_lo, s3
	s_or_b32 s25, s3, s25
	s_and_not1_b32 s24, s24, exec_lo
	s_and_b32 s28, s2, exec_lo
	s_mov_b64 s[2:3], s[26:27]
	s_or_b32 s24, s24, s28
	s_and_not1_b32 exec_lo, exec_lo, s25
	s_cbranch_execnz .LBB685_94
; %bb.95:
	s_or_b32 exec_lo, exec_lo, s25
	v_mul_u64_e32 v[20:21], s[18:19], v[2:3]
	s_mov_b32 s26, 0
	s_mov_b64 s[2:3], s[4:5]
                                        ; implicit-def: $sgpr25
	s_delay_alu instid0(VALU_DEP_1) | instskip(NEXT) | instid1(VALU_DEP_1)
	v_lshl_add_u64 v[20:21], v[20:21], 1, s[8:9]
	v_mov_b64_e32 v[22:23], v[20:21]
.LBB685_96:                             ; =>This Inner Loop Header: Depth=1
	global_load_u16 v24, v[22:23], off
	global_load_u16 v25, v[16:17], off
	s_cmp_eq_u64 s[2:3], 0
	s_add_nc_u64 s[28:29], s[2:3], -1
	s_cselect_b32 s3, -1, 0
	s_wait_xcnt 0x1
	v_add_nc_u64_e32 v[22:23], 2, v[22:23]
	s_wait_xcnt 0x0
	v_add_nc_u64_e32 v[16:17], 2, v[16:17]
	s_wait_loadcnt 0x0
	v_cmp_ne_u16_e32 vcc_lo, v24, v25
	v_cmp_eq_u16_e64 s2, v24, v25
	s_or_b32 s3, vcc_lo, s3
	s_delay_alu instid0(SALU_CYCLE_1) | instskip(NEXT) | instid1(SALU_CYCLE_1)
	s_and_b32 s3, exec_lo, s3
	s_or_b32 s26, s3, s26
	s_and_not1_b32 s25, s25, exec_lo
	s_and_b32 s27, s2, exec_lo
	s_mov_b64 s[2:3], s[28:29]
	s_or_b32 s25, s25, s27
	s_and_not1_b32 exec_lo, exec_lo, s26
	s_cbranch_execnz .LBB685_96
; %bb.97:
	s_or_b32 exec_lo, exec_lo, s26
	v_mul_u64_e32 v[16:17], s[18:19], v[8:9]
	s_mov_b32 s27, 0
	s_mov_b64 s[2:3], s[4:5]
                                        ; implicit-def: $sgpr26
	s_delay_alu instid0(VALU_DEP_1) | instskip(NEXT) | instid1(VALU_DEP_1)
	v_lshl_add_u64 v[16:17], v[16:17], 1, s[8:9]
	v_mov_b64_e32 v[22:23], v[16:17]
.LBB685_98:                             ; =>This Inner Loop Header: Depth=1
	global_load_u16 v24, v[22:23], off
	global_load_u16 v25, v[20:21], off
	s_cmp_eq_u64 s[2:3], 0
	s_add_nc_u64 s[28:29], s[2:3], -1
	s_cselect_b32 s3, -1, 0
	s_wait_xcnt 0x1
	v_add_nc_u64_e32 v[22:23], 2, v[22:23]
	s_wait_xcnt 0x0
	v_add_nc_u64_e32 v[20:21], 2, v[20:21]
	s_wait_loadcnt 0x0
	v_cmp_ne_u16_e32 vcc_lo, v24, v25
	v_cmp_eq_u16_e64 s2, v24, v25
	s_or_b32 s3, vcc_lo, s3
	s_delay_alu instid0(SALU_CYCLE_1) | instskip(NEXT) | instid1(SALU_CYCLE_1)
	s_and_b32 s3, exec_lo, s3
	s_or_b32 s27, s3, s27
	s_and_not1_b32 s26, s26, exec_lo
	s_and_b32 s30, s2, exec_lo
	s_mov_b64 s[2:3], s[28:29]
	s_or_b32 s26, s26, s30
	s_and_not1_b32 exec_lo, exec_lo, s27
	s_cbranch_execnz .LBB685_98
; %bb.99:
	s_or_b32 exec_lo, exec_lo, s27
	v_mul_u64_e32 v[20:21], s[18:19], v[6:7]
	s_mov_b32 s28, 0
	s_mov_b64 s[2:3], s[4:5]
                                        ; implicit-def: $sgpr27
	s_delay_alu instid0(VALU_DEP_1) | instskip(NEXT) | instid1(VALU_DEP_1)
	v_lshl_add_u64 v[20:21], v[20:21], 1, s[8:9]
	v_mov_b64_e32 v[22:23], v[20:21]
.LBB685_100:                            ; =>This Inner Loop Header: Depth=1
	global_load_u16 v24, v[22:23], off
	global_load_u16 v25, v[16:17], off
	s_cmp_eq_u64 s[2:3], 0
	s_add_nc_u64 s[30:31], s[2:3], -1
	s_cselect_b32 s3, -1, 0
	s_wait_xcnt 0x1
	v_add_nc_u64_e32 v[22:23], 2, v[22:23]
	s_wait_xcnt 0x0
	v_add_nc_u64_e32 v[16:17], 2, v[16:17]
	s_wait_loadcnt 0x0
	v_cmp_ne_u16_e32 vcc_lo, v24, v25
	v_cmp_eq_u16_e64 s2, v24, v25
	s_or_b32 s3, vcc_lo, s3
	s_delay_alu instid0(SALU_CYCLE_1) | instskip(NEXT) | instid1(SALU_CYCLE_1)
	s_and_b32 s3, exec_lo, s3
	s_or_b32 s28, s3, s28
	s_and_not1_b32 s27, s27, exec_lo
	s_and_b32 s29, s2, exec_lo
	s_mov_b64 s[2:3], s[30:31]
	s_or_b32 s27, s27, s29
	s_and_not1_b32 exec_lo, exec_lo, s28
	s_cbranch_execnz .LBB685_100
; %bb.101:
	s_or_b32 exec_lo, exec_lo, s28
	v_mul_u64_e32 v[16:17], s[18:19], v[12:13]
	s_mov_b32 s29, 0
	s_mov_b64 s[2:3], s[4:5]
                                        ; implicit-def: $sgpr28
	s_delay_alu instid0(VALU_DEP_1) | instskip(NEXT) | instid1(VALU_DEP_1)
	v_lshl_add_u64 v[16:17], v[16:17], 1, s[8:9]
	v_mov_b64_e32 v[22:23], v[16:17]
.LBB685_102:                            ; =>This Inner Loop Header: Depth=1
	global_load_u16 v24, v[22:23], off
	global_load_u16 v25, v[20:21], off
	s_cmp_eq_u64 s[2:3], 0
	s_add_nc_u64 s[30:31], s[2:3], -1
	s_cselect_b32 s3, -1, 0
	s_wait_xcnt 0x1
	v_add_nc_u64_e32 v[22:23], 2, v[22:23]
	s_wait_xcnt 0x0
	v_add_nc_u64_e32 v[20:21], 2, v[20:21]
	s_wait_loadcnt 0x0
	v_cmp_ne_u16_e32 vcc_lo, v24, v25
	v_cmp_eq_u16_e64 s2, v24, v25
	s_or_b32 s3, vcc_lo, s3
	s_delay_alu instid0(SALU_CYCLE_1) | instskip(NEXT) | instid1(SALU_CYCLE_1)
	s_and_b32 s3, exec_lo, s3
	s_or_b32 s29, s3, s29
	s_and_not1_b32 s28, s28, exec_lo
	s_and_b32 s33, s2, exec_lo
	s_mov_b64 s[2:3], s[30:31]
	s_or_b32 s28, s28, s33
	s_and_not1_b32 exec_lo, exec_lo, s29
	s_cbranch_execnz .LBB685_102
; %bb.103:
	s_or_b32 exec_lo, exec_lo, s29
	v_mul_u64_e32 v[20:21], s[18:19], v[10:11]
	s_mov_b32 s29, 0
                                        ; implicit-def: $sgpr3
	s_delay_alu instid0(VALU_DEP_1)
	v_lshl_add_u64 v[20:21], v[20:21], 1, s[8:9]
.LBB685_104:                            ; =>This Inner Loop Header: Depth=1
	global_load_u16 v22, v[20:21], off
	global_load_u16 v23, v[16:17], off
	s_cmp_eq_u64 s[4:5], 0
	s_add_nc_u64 s[30:31], s[4:5], -1
	s_cselect_b32 s4, -1, 0
	s_wait_xcnt 0x1
	v_add_nc_u64_e32 v[20:21], 2, v[20:21]
	s_wait_xcnt 0x0
	v_add_nc_u64_e32 v[16:17], 2, v[16:17]
	s_wait_loadcnt 0x0
	v_cmp_ne_u16_e32 vcc_lo, v22, v23
	v_cmp_eq_u16_e64 s2, v22, v23
	s_or_b32 s4, vcc_lo, s4
	s_delay_alu instid0(SALU_CYCLE_1) | instskip(NEXT) | instid1(SALU_CYCLE_1)
	s_and_b32 s4, exec_lo, s4
	s_or_b32 s29, s4, s29
	s_and_not1_b32 s3, s3, exec_lo
	s_and_b32 s2, s2, exec_lo
	s_mov_b64 s[4:5], s[30:31]
	s_or_b32 s3, s3, s2
	s_and_not1_b32 exec_lo, exec_lo, s29
	s_cbranch_execnz .LBB685_104
; %bb.105:
	s_or_b32 exec_lo, exec_lo, s29
	s_xor_b32 s2, s27, -1
	s_delay_alu instid0(SALU_CYCLE_1) | instskip(SKIP_1) | instid1(SALU_CYCLE_1)
	v_cndmask_b32_e64 v16, 0, 1, s2
	s_xor_b32 s2, s28, -1
	v_cndmask_b32_e64 v17, 0, 1, s2
	s_xor_b32 s2, s25, -1
	s_delay_alu instid0(VALU_DEP_2) | instskip(SKIP_2) | instid1(SALU_CYCLE_1)
	v_lshlrev_b16 v16, 8, v16
	v_cndmask_b32_e64 v31, 0, 1, s2
	s_xor_b32 s2, s24, -1
	v_cndmask_b32_e64 v30, 0, 1, s2
	s_delay_alu instid0(VALU_DEP_3) | instskip(SKIP_1) | instid1(VALU_DEP_1)
	v_lshrrev_b32_e32 v16, 8, v16
	s_xor_b32 s2, s26, -1
	v_and_b32_e32 v16, 1, v16
	s_delay_alu instid0(VALU_DEP_1) | instskip(NEXT) | instid1(VALU_DEP_1)
	v_lshlrev_b16 v16, 8, v16
	v_or_b32_e32 v16, v17, v16
	v_cndmask_b32_e64 v17, 0, 1, s2
	s_xor_b32 s2, s3, -1
	s_delay_alu instid0(VALU_DEP_2)
	v_lshlrev_b32_e32 v16, 16, v16
	s_branch .LBB685_108
.LBB685_106:
	s_wait_kmcnt 0x0
                                        ; implicit-def: $sgpr2
                                        ; implicit-def: $vgpr30
                                        ; implicit-def: $vgpr31
                                        ; implicit-def: $vgpr17
                                        ; implicit-def: $vgpr21
                                        ; implicit-def: $vgpr33
                                        ; implicit-def: $vgpr32
                                        ; implicit-def: $vgpr20
	s_cbranch_execnz .LBB685_115
	s_branch .LBB685_160
.LBB685_107:
	v_dual_mov_b32 v16, 0 :: v_dual_mov_b32 v30, 0
	v_dual_mov_b32 v31, 0 :: v_dual_mov_b32 v17, 0
	s_mov_b32 s2, 0
.LBB685_108:
	s_delay_alu instid0(VALU_DEP_1)
	v_dual_lshrrev_b32 v32, 16, v16 :: v_dual_lshrrev_b32 v20, 24, v16
	v_cndmask_b32_e64 v33, 0, 1, s2
	v_mov_b32_e32 v16, 1
	s_wait_kmcnt 0x0
	s_mov_b32 s4, 0
	s_wait_dscnt 0x0
	s_barrier_signal -1
	s_barrier_wait -1
                                        ; implicit-def: $sgpr2
                                        ; implicit-def: $vgpr21
	s_mov_b32 s3, exec_lo
	v_cmpx_ne_u32_e32 0, v0
	s_xor_b32 s5, exec_lo, s3
	s_cbranch_execz .LBB685_114
; %bb.109:
	v_lshlrev_b16 v21, 8, v20
	v_lshlrev_b16 v22, 8, v33
	s_and_not1_b32 vcc_lo, exec_lo, s7
	s_mov_b32 s2, 0
	s_delay_alu instid0(VALU_DEP_2) | instskip(NEXT) | instid1(VALU_DEP_1)
	v_bitop3_b16 v21, v32, v21, 0xff bitop3:0xec
	v_dual_lshlrev_b32 v21, 16, v21 :: v_dual_bitop2_b32 v22, 1, v22 bitop3:0x54
	s_delay_alu instid0(VALU_DEP_1) | instskip(NEXT) | instid1(VALU_DEP_1)
	v_and_b32_e32 v22, 0xffff, v22
	v_or_b32_e32 v21, v22, v21
	s_cbranch_vccnz .LBB685_113
; %bb.110:
	v_add_nc_u32_e32 v22, -8, v26
	v_mul_u64_e32 v[24:25], s[18:19], v[10:11]
	s_add_nc_u64 s[2:3], s[18:19], -1
	s_mov_b32 s24, 0
                                        ; implicit-def: $sgpr25
	ds_load_b64 v[22:23], v22
	s_wait_dscnt 0x0
	v_mul_u64_e32 v[22:23], s[18:19], v[22:23]
	v_lshl_add_u64 v[24:25], v[24:25], 1, s[8:9]
	s_delay_alu instid0(VALU_DEP_2)
	v_lshl_add_u64 v[22:23], v[22:23], 1, s[8:9]
.LBB685_111:                            ; =>This Inner Loop Header: Depth=1
	global_load_u16 v27, v[22:23], off
	global_load_u16 v28, v[24:25], off
	s_cmp_eq_u64 s[2:3], 0
	s_add_nc_u64 s[26:27], s[2:3], -1
	s_cselect_b32 s3, -1, 0
	s_wait_xcnt 0x1
	v_add_nc_u64_e32 v[22:23], 2, v[22:23]
	s_wait_xcnt 0x0
	v_add_nc_u64_e32 v[24:25], 2, v[24:25]
	s_wait_loadcnt 0x0
	v_cmp_ne_u16_e32 vcc_lo, v27, v28
	v_cmp_eq_u16_e64 s2, v27, v28
	s_or_b32 s3, vcc_lo, s3
	s_delay_alu instid0(SALU_CYCLE_1) | instskip(NEXT) | instid1(SALU_CYCLE_1)
	s_and_b32 s3, exec_lo, s3
	s_or_b32 s24, s3, s24
	s_and_not1_b32 s25, s25, exec_lo
	s_and_b32 s28, s2, exec_lo
	s_mov_b64 s[2:3], s[26:27]
	s_or_b32 s25, s25, s28
	s_and_not1_b32 exec_lo, exec_lo, s24
	s_cbranch_execnz .LBB685_111
; %bb.112:
	s_or_b32 exec_lo, exec_lo, s24
	s_xor_b32 s2, s25, -1
.LBB685_113:
	s_delay_alu instid0(VALU_DEP_1)
	v_perm_b32 v21, v21, v21, 0x3020104
	s_or_b32 s6, s6, exec_lo
.LBB685_114:
	s_or_b32 exec_lo, exec_lo, s5
	s_delay_alu instid0(SALU_CYCLE_1)
	s_and_b32 vcc_lo, exec_lo, s4
	s_cbranch_vccz .LBB685_160
.LBB685_115:
	v_add_nc_u32_e32 v16, 6, v19
	s_mov_b32 s5, 0
	s_mov_b32 s4, 0
	s_mov_b32 s24, exec_lo
	s_delay_alu instid0(VALU_DEP_1)
	v_cmpx_gt_u32_e64 s21, v16
	s_cbranch_execz .LBB685_121
; %bb.116:
	s_and_not1_b32 vcc_lo, exec_lo, s7
	s_mov_b32 s2, 0
	s_cbranch_vccnz .LBB685_120
; %bb.117:
	v_mul_u64_e32 v[16:17], s[18:19], v[4:5]
	v_mul_u64_e32 v[20:21], s[18:19], v[14:15]
	s_add_nc_u64 s[2:3], s[18:19], -1
                                        ; implicit-def: $sgpr25
	s_delay_alu instid0(VALU_DEP_2) | instskip(NEXT) | instid1(VALU_DEP_2)
	v_lshl_add_u64 v[16:17], v[16:17], 1, s[8:9]
	v_lshl_add_u64 v[20:21], v[20:21], 1, s[8:9]
.LBB685_118:                            ; =>This Inner Loop Header: Depth=1
	global_load_u16 v22, v[16:17], off
	global_load_u16 v23, v[20:21], off
	s_cmp_eq_u64 s[2:3], 0
	s_add_nc_u64 s[26:27], s[2:3], -1
	s_cselect_b32 s3, -1, 0
	s_wait_xcnt 0x1
	v_add_nc_u64_e32 v[16:17], 2, v[16:17]
	s_wait_xcnt 0x0
	v_add_nc_u64_e32 v[20:21], 2, v[20:21]
	s_wait_loadcnt 0x0
	v_cmp_ne_u16_e32 vcc_lo, v22, v23
	v_cmp_eq_u16_e64 s2, v22, v23
	s_or_b32 s3, vcc_lo, s3
	s_delay_alu instid0(SALU_CYCLE_1) | instskip(NEXT) | instid1(SALU_CYCLE_1)
	s_and_b32 s3, exec_lo, s3
	s_or_b32 s4, s3, s4
	s_and_not1_b32 s25, s25, exec_lo
	s_and_b32 s28, s2, exec_lo
	s_mov_b64 s[2:3], s[26:27]
	s_or_b32 s25, s25, s28
	s_and_not1_b32 exec_lo, exec_lo, s4
	s_cbranch_execnz .LBB685_118
; %bb.119:
	s_or_b32 exec_lo, exec_lo, s4
	s_xor_b32 s2, s25, -1
.LBB685_120:
	s_delay_alu instid0(SALU_CYCLE_1)
	s_and_b32 s4, s2, exec_lo
.LBB685_121:
	s_or_b32 exec_lo, exec_lo, s24
	v_add_nc_u32_e32 v16, 5, v19
	s_mov_b32 s24, exec_lo
	s_delay_alu instid0(VALU_DEP_1)
	v_cmpx_gt_u32_e64 s21, v16
	s_cbranch_execz .LBB685_127
; %bb.122:
	s_and_not1_b32 vcc_lo, exec_lo, s7
	s_mov_b32 s2, 0
	s_cbranch_vccnz .LBB685_126
; %bb.123:
	v_mul_u64_e32 v[16:17], s[18:19], v[2:3]
	v_mul_u64_e32 v[20:21], s[18:19], v[4:5]
	s_add_nc_u64 s[2:3], s[18:19], -1
	s_mov_b32 s5, 0
                                        ; implicit-def: $sgpr25
	s_delay_alu instid0(VALU_DEP_2) | instskip(NEXT) | instid1(VALU_DEP_2)
	v_lshl_add_u64 v[16:17], v[16:17], 1, s[8:9]
	v_lshl_add_u64 v[20:21], v[20:21], 1, s[8:9]
.LBB685_124:                            ; =>This Inner Loop Header: Depth=1
	global_load_u16 v22, v[16:17], off
	global_load_u16 v23, v[20:21], off
	s_cmp_eq_u64 s[2:3], 0
	s_add_nc_u64 s[26:27], s[2:3], -1
	s_cselect_b32 s3, -1, 0
	s_wait_xcnt 0x1
	v_add_nc_u64_e32 v[16:17], 2, v[16:17]
	s_wait_xcnt 0x0
	v_add_nc_u64_e32 v[20:21], 2, v[20:21]
	s_wait_loadcnt 0x0
	v_cmp_ne_u16_e32 vcc_lo, v22, v23
	v_cmp_eq_u16_e64 s2, v22, v23
	s_or_b32 s3, vcc_lo, s3
	s_delay_alu instid0(SALU_CYCLE_1) | instskip(NEXT) | instid1(SALU_CYCLE_1)
	s_and_b32 s3, exec_lo, s3
	s_or_b32 s5, s3, s5
	s_and_not1_b32 s25, s25, exec_lo
	s_and_b32 s28, s2, exec_lo
	s_mov_b64 s[2:3], s[26:27]
	s_or_b32 s25, s25, s28
	s_and_not1_b32 exec_lo, exec_lo, s5
	s_cbranch_execnz .LBB685_124
; %bb.125:
	s_or_b32 exec_lo, exec_lo, s5
	s_xor_b32 s2, s25, -1
.LBB685_126:
	s_delay_alu instid0(SALU_CYCLE_1)
	s_and_b32 s5, s2, exec_lo
.LBB685_127:
	s_or_b32 exec_lo, exec_lo, s24
	v_add_nc_u32_e32 v16, 4, v19
	s_mov_b32 s24, 0
	s_mov_b32 s25, 0
	s_mov_b32 s26, exec_lo
	s_delay_alu instid0(VALU_DEP_1)
	v_cmpx_gt_u32_e64 s21, v16
	s_cbranch_execz .LBB685_133
; %bb.128:
	s_and_not1_b32 vcc_lo, exec_lo, s7
	s_mov_b32 s2, 0
	s_cbranch_vccnz .LBB685_132
; %bb.129:
	v_mul_u64_e32 v[16:17], s[18:19], v[8:9]
	v_mul_u64_e32 v[20:21], s[18:19], v[2:3]
	s_add_nc_u64 s[2:3], s[18:19], -1
                                        ; implicit-def: $sgpr27
	s_delay_alu instid0(VALU_DEP_2) | instskip(NEXT) | instid1(VALU_DEP_2)
	v_lshl_add_u64 v[16:17], v[16:17], 1, s[8:9]
	v_lshl_add_u64 v[20:21], v[20:21], 1, s[8:9]
.LBB685_130:                            ; =>This Inner Loop Header: Depth=1
	global_load_u16 v22, v[16:17], off
	global_load_u16 v23, v[20:21], off
	s_cmp_eq_u64 s[2:3], 0
	s_add_nc_u64 s[28:29], s[2:3], -1
	s_cselect_b32 s3, -1, 0
	s_wait_xcnt 0x1
	v_add_nc_u64_e32 v[16:17], 2, v[16:17]
	s_wait_xcnt 0x0
	v_add_nc_u64_e32 v[20:21], 2, v[20:21]
	s_wait_loadcnt 0x0
	v_cmp_ne_u16_e32 vcc_lo, v22, v23
	v_cmp_eq_u16_e64 s2, v22, v23
	s_or_b32 s3, vcc_lo, s3
	s_delay_alu instid0(SALU_CYCLE_1) | instskip(NEXT) | instid1(SALU_CYCLE_1)
	s_and_b32 s3, exec_lo, s3
	s_or_b32 s25, s3, s25
	s_and_not1_b32 s27, s27, exec_lo
	s_and_b32 s30, s2, exec_lo
	s_mov_b64 s[2:3], s[28:29]
	s_or_b32 s27, s27, s30
	s_and_not1_b32 exec_lo, exec_lo, s25
	s_cbranch_execnz .LBB685_130
; %bb.131:
	s_or_b32 exec_lo, exec_lo, s25
	s_xor_b32 s2, s27, -1
.LBB685_132:
	s_delay_alu instid0(SALU_CYCLE_1)
	s_and_b32 s25, s2, exec_lo
.LBB685_133:
	s_or_b32 exec_lo, exec_lo, s26
	v_add_nc_u32_e32 v16, 3, v19
	s_mov_b32 s26, exec_lo
	s_delay_alu instid0(VALU_DEP_1)
	v_cmpx_gt_u32_e64 s21, v16
	s_cbranch_execz .LBB685_139
; %bb.134:
	s_and_not1_b32 vcc_lo, exec_lo, s7
	s_mov_b32 s2, 0
	s_cbranch_vccnz .LBB685_138
; %bb.135:
	v_mul_u64_e32 v[16:17], s[18:19], v[6:7]
	v_mul_u64_e32 v[20:21], s[18:19], v[8:9]
	s_add_nc_u64 s[2:3], s[18:19], -1
	s_mov_b32 s24, 0
                                        ; implicit-def: $sgpr27
	s_delay_alu instid0(VALU_DEP_2) | instskip(NEXT) | instid1(VALU_DEP_2)
	v_lshl_add_u64 v[16:17], v[16:17], 1, s[8:9]
	v_lshl_add_u64 v[20:21], v[20:21], 1, s[8:9]
.LBB685_136:                            ; =>This Inner Loop Header: Depth=1
	global_load_u16 v22, v[16:17], off
	global_load_u16 v23, v[20:21], off
	s_cmp_eq_u64 s[2:3], 0
	s_add_nc_u64 s[28:29], s[2:3], -1
	s_cselect_b32 s3, -1, 0
	s_wait_xcnt 0x1
	v_add_nc_u64_e32 v[16:17], 2, v[16:17]
	s_wait_xcnt 0x0
	v_add_nc_u64_e32 v[20:21], 2, v[20:21]
	s_wait_loadcnt 0x0
	v_cmp_ne_u16_e32 vcc_lo, v22, v23
	v_cmp_eq_u16_e64 s2, v22, v23
	s_or_b32 s3, vcc_lo, s3
	s_delay_alu instid0(SALU_CYCLE_1) | instskip(NEXT) | instid1(SALU_CYCLE_1)
	s_and_b32 s3, exec_lo, s3
	s_or_b32 s24, s3, s24
	s_and_not1_b32 s27, s27, exec_lo
	s_and_b32 s30, s2, exec_lo
	s_mov_b64 s[2:3], s[28:29]
	s_or_b32 s27, s27, s30
	s_and_not1_b32 exec_lo, exec_lo, s24
	s_cbranch_execnz .LBB685_136
; %bb.137:
	s_or_b32 exec_lo, exec_lo, s24
	s_xor_b32 s2, s27, -1
.LBB685_138:
	s_delay_alu instid0(SALU_CYCLE_1)
	s_and_b32 s24, s2, exec_lo
.LBB685_139:
	s_or_b32 exec_lo, exec_lo, s26
	v_add_nc_u32_e32 v16, 2, v19
	s_mov_b32 s26, 0
	s_mov_b32 s27, 0
	s_mov_b32 s28, exec_lo
	s_delay_alu instid0(VALU_DEP_1)
	v_cmpx_gt_u32_e64 s21, v16
	s_cbranch_execz .LBB685_145
; %bb.140:
	s_and_not1_b32 vcc_lo, exec_lo, s7
	s_mov_b32 s2, 0
	s_cbranch_vccnz .LBB685_144
; %bb.141:
	v_mul_u64_e32 v[16:17], s[18:19], v[12:13]
	v_mul_u64_e32 v[20:21], s[18:19], v[6:7]
	s_add_nc_u64 s[2:3], s[18:19], -1
                                        ; implicit-def: $sgpr29
	s_delay_alu instid0(VALU_DEP_2) | instskip(NEXT) | instid1(VALU_DEP_2)
	v_lshl_add_u64 v[16:17], v[16:17], 1, s[8:9]
	v_lshl_add_u64 v[20:21], v[20:21], 1, s[8:9]
.LBB685_142:                            ; =>This Inner Loop Header: Depth=1
	global_load_u16 v22, v[16:17], off
	global_load_u16 v23, v[20:21], off
	s_cmp_eq_u64 s[2:3], 0
	s_add_nc_u64 s[30:31], s[2:3], -1
	s_cselect_b32 s3, -1, 0
	s_wait_xcnt 0x1
	v_add_nc_u64_e32 v[16:17], 2, v[16:17]
	s_wait_xcnt 0x0
	v_add_nc_u64_e32 v[20:21], 2, v[20:21]
	s_wait_loadcnt 0x0
	v_cmp_ne_u16_e32 vcc_lo, v22, v23
	v_cmp_eq_u16_e64 s2, v22, v23
	s_or_b32 s3, vcc_lo, s3
	s_delay_alu instid0(SALU_CYCLE_1) | instskip(NEXT) | instid1(SALU_CYCLE_1)
	s_and_b32 s3, exec_lo, s3
	s_or_b32 s27, s3, s27
	s_and_not1_b32 s29, s29, exec_lo
	s_and_b32 s33, s2, exec_lo
	s_mov_b64 s[2:3], s[30:31]
	s_or_b32 s29, s29, s33
	s_and_not1_b32 exec_lo, exec_lo, s27
	s_cbranch_execnz .LBB685_142
; %bb.143:
	s_or_b32 exec_lo, exec_lo, s27
	s_xor_b32 s2, s29, -1
.LBB685_144:
	s_delay_alu instid0(SALU_CYCLE_1)
	s_and_b32 s27, s2, exec_lo
.LBB685_145:
	s_or_b32 exec_lo, exec_lo, s28
	v_add_nc_u32_e32 v16, 1, v19
	s_mov_b32 s28, exec_lo
	s_delay_alu instid0(VALU_DEP_1)
	v_cmpx_gt_u32_e64 s21, v16
	s_cbranch_execz .LBB685_151
; %bb.146:
	s_and_not1_b32 vcc_lo, exec_lo, s7
	s_mov_b32 s2, 0
	s_cbranch_vccnz .LBB685_150
; %bb.147:
	v_mul_u64_e32 v[16:17], s[18:19], v[10:11]
	v_mul_u64_e32 v[20:21], s[18:19], v[12:13]
	s_add_nc_u64 s[2:3], s[18:19], -1
	s_mov_b32 s26, 0
                                        ; implicit-def: $sgpr29
	s_delay_alu instid0(VALU_DEP_2) | instskip(NEXT) | instid1(VALU_DEP_2)
	v_lshl_add_u64 v[16:17], v[16:17], 1, s[8:9]
	v_lshl_add_u64 v[20:21], v[20:21], 1, s[8:9]
.LBB685_148:                            ; =>This Inner Loop Header: Depth=1
	global_load_u16 v22, v[16:17], off
	global_load_u16 v23, v[20:21], off
	s_cmp_eq_u64 s[2:3], 0
	s_add_nc_u64 s[30:31], s[2:3], -1
	s_cselect_b32 s3, -1, 0
	s_wait_xcnt 0x1
	v_add_nc_u64_e32 v[16:17], 2, v[16:17]
	s_wait_xcnt 0x0
	v_add_nc_u64_e32 v[20:21], 2, v[20:21]
	s_wait_loadcnt 0x0
	v_cmp_ne_u16_e32 vcc_lo, v22, v23
	v_cmp_eq_u16_e64 s2, v22, v23
	s_or_b32 s3, vcc_lo, s3
	s_delay_alu instid0(SALU_CYCLE_1) | instskip(NEXT) | instid1(SALU_CYCLE_1)
	s_and_b32 s3, exec_lo, s3
	s_or_b32 s26, s3, s26
	s_and_not1_b32 s29, s29, exec_lo
	s_and_b32 s33, s2, exec_lo
	s_mov_b64 s[2:3], s[30:31]
	s_or_b32 s29, s29, s33
	s_and_not1_b32 exec_lo, exec_lo, s26
	s_cbranch_execnz .LBB685_148
; %bb.149:
	s_or_b32 exec_lo, exec_lo, s26
	s_xor_b32 s2, s29, -1
.LBB685_150:
	s_delay_alu instid0(SALU_CYCLE_1)
	s_and_b32 s26, s2, exec_lo
.LBB685_151:
	s_or_b32 exec_lo, exec_lo, s28
	v_cndmask_b32_e64 v17, 0, 1, s25
	v_cndmask_b32_e64 v31, 0, 1, s5
	;; [unrolled: 1-line block ×6, first 2 shown]
	v_mov_b32_e32 v16, 1
	s_mov_b32 s2, 0
	s_mov_b32 s4, exec_lo
	s_wait_dscnt 0x0
	s_barrier_signal -1
	s_barrier_wait -1
                                        ; implicit-def: $vgpr21
	v_cmpx_ne_u32_e32 0, v0
	s_cbranch_execz .LBB685_159
; %bb.152:
	v_lshlrev_b16 v21, 8, v33
	v_lshlrev_b16 v22, 8, v20
	s_mov_b32 s5, exec_lo
	s_delay_alu instid0(VALU_DEP_1) | instskip(NEXT) | instid1(VALU_DEP_1)
	v_or_b32_e32 v22, v32, v22
	v_dual_lshlrev_b32 v22, 16, v22 :: v_dual_bitop2_b32 v21, 1, v21 bitop3:0x54
	s_delay_alu instid0(VALU_DEP_1) | instskip(NEXT) | instid1(VALU_DEP_1)
	v_and_b32_e32 v21, 0xffff, v21
	v_or_b32_e32 v21, v21, v22
	v_cmpx_gt_u32_e64 s21, v19
	s_cbranch_execz .LBB685_158
; %bb.153:
	s_and_not1_b32 vcc_lo, exec_lo, s7
	s_cbranch_vccnz .LBB685_157
; %bb.154:
	v_add_nc_u32_e32 v22, -8, v26
	v_mul_u64_e32 v[24:25], s[18:19], v[10:11]
	s_add_nc_u64 s[2:3], s[18:19], -1
	s_mov_b32 s7, 0
	ds_load_b64 v[22:23], v22
	s_wait_dscnt 0x0
	v_mul_u64_e32 v[22:23], s[18:19], v[22:23]
	v_lshl_add_u64 v[24:25], v[24:25], 1, s[8:9]
	s_delay_alu instid0(VALU_DEP_2)
	v_lshl_add_u64 v[22:23], v[22:23], 1, s[8:9]
                                        ; implicit-def: $sgpr8
.LBB685_155:                            ; =>This Inner Loop Header: Depth=1
	global_load_u16 v26, v[22:23], off
	global_load_u16 v27, v[24:25], off
	s_cmp_eq_u64 s[2:3], 0
	s_add_nc_u64 s[18:19], s[2:3], -1
	s_cselect_b32 s3, -1, 0
	s_wait_xcnt 0x1
	v_add_nc_u64_e32 v[22:23], 2, v[22:23]
	s_wait_xcnt 0x0
	v_add_nc_u64_e32 v[24:25], 2, v[24:25]
	s_wait_loadcnt 0x0
	v_cmp_ne_u16_e32 vcc_lo, v26, v27
	v_cmp_eq_u16_e64 s2, v26, v27
	s_or_b32 s3, vcc_lo, s3
	s_delay_alu instid0(SALU_CYCLE_1) | instskip(NEXT) | instid1(SALU_CYCLE_1)
	s_and_b32 s3, exec_lo, s3
	s_or_b32 s7, s3, s7
	s_and_not1_b32 s8, s8, exec_lo
	s_and_b32 s9, s2, exec_lo
	s_mov_b64 s[2:3], s[18:19]
	s_or_b32 s8, s8, s9
	s_and_not1_b32 exec_lo, exec_lo, s7
	s_cbranch_execnz .LBB685_155
; %bb.156:
	s_or_b32 exec_lo, exec_lo, s7
	s_xor_b32 s2, s8, -1
.LBB685_157:
	s_delay_alu instid0(SALU_CYCLE_1)
	s_and_b32 s2, s2, exec_lo
.LBB685_158:
	s_or_b32 exec_lo, exec_lo, s5
	s_delay_alu instid0(VALU_DEP_2)
	v_perm_b32 v21, v21, v21, 0x3020104
	s_or_b32 s6, s6, exec_lo
.LBB685_159:
	s_or_b32 exec_lo, exec_lo, s4
.LBB685_160:
	s_and_saveexec_b32 s3, s6
; %bb.161:
	s_delay_alu instid0(VALU_DEP_1)
	v_dual_lshrrev_b32 v20, 24, v21 :: v_dual_lshrrev_b32 v32, 16, v21
	v_lshrrev_b32_e32 v33, 8, v21
	v_cndmask_b32_e64 v16, 0, 1, s2
; %bb.162:
	s_or_b32 exec_lo, exec_lo, s3
	s_delay_alu instid0(SALU_CYCLE_1)
	s_and_not1_b32 vcc_lo, exec_lo, s22
	s_cbranch_vccnz .LBB685_166
; %bb.163:
	s_delay_alu instid0(VALU_DEP_1)
	v_perm_b32 v16, v16, v33, 0xc0c0004
	v_perm_b32 v20, v32, v20, 0xc0c0004
	v_cmp_gt_u32_e32 vcc_lo, s21, v19
	v_and_b32_e32 v22, 0xff, v30
	v_perm_b32 v17, v17, v31, 0xc0c0004
	v_add_nc_u32_e32 v21, 1, v19
	v_lshl_or_b32 v16, v20, 16, v16
	s_delay_alu instid0(VALU_DEP_1) | instskip(NEXT) | instid1(VALU_DEP_3)
	v_dual_cndmask_b32 v20, 0, v16 :: v_dual_add_nc_u32 v23, 4, v19
	v_cmp_gt_u32_e32 vcc_lo, s21, v21
	v_dual_lshlrev_b32 v21, 16, v22 :: v_dual_add_nc_u32 v22, 2, v19
	s_delay_alu instid0(VALU_DEP_3) | instskip(NEXT) | instid1(VALU_DEP_1)
	v_and_b32_e32 v20, 0xff, v20
	v_cndmask_b32_e32 v20, v20, v16, vcc_lo
	s_delay_alu instid0(VALU_DEP_3) | instskip(NEXT) | instid1(VALU_DEP_2)
	v_cmp_gt_u32_e32 vcc_lo, s21, v22
	v_and_b32_e32 v20, 0xffff, v20
	v_or_b32_e32 v24, v17, v21
	v_bitop3_b32 v17, v17, 0xffff00, v21 bitop3:0xc8
	s_delay_alu instid0(VALU_DEP_3) | instskip(SKIP_1) | instid1(VALU_DEP_2)
	v_dual_cndmask_b32 v20, v20, v16 :: v_dual_add_nc_u32 v21, 5, v19
	v_cmp_gt_u32_e32 vcc_lo, s21, v23
	v_cmp_gt_u32_e64 s2, s21, v21
	s_delay_alu instid0(VALU_DEP_3) | instskip(SKIP_3) | instid1(VALU_DEP_2)
	v_and_b32_e32 v20, 0xffffff, v20
	v_dual_cndmask_b32 v17, v17, v24 :: v_dual_add_nc_u32 v22, 3, v19
	s_or_b32 vcc_lo, s2, vcc_lo
	v_add_nc_u32_e32 v19, 6, v19
	v_cmp_gt_u32_e64 s3, s21, v22
	s_delay_alu instid0(VALU_DEP_3) | instskip(NEXT) | instid1(VALU_DEP_2)
	v_and_b32_e32 v17, 0xffff00ff, v17
	v_cndmask_b32_e64 v20, v20, v16, s3
	s_delay_alu instid0(VALU_DEP_2) | instskip(SKIP_1) | instid1(VALU_DEP_1)
	v_cndmask_b32_e64 v17, v17, v24, s2
	s_mov_b32 s2, exec_lo
	v_dual_cndmask_b32 v16, v20, v16, vcc_lo :: v_dual_lshrrev_b32 v30, 16, v17
	v_lshrrev_b32_e32 v31, 8, v17
	s_delay_alu instid0(VALU_DEP_2)
	v_lshrrev_b64 v[20:21], 24, v[16:17]
	v_dual_lshrrev_b32 v32, 16, v16 :: v_dual_lshrrev_b32 v33, 8, v16
	v_cmpx_le_u32_e64 s21, v19
; %bb.164:
	v_mov_b32_e32 v30, 0
; %bb.165:
	s_or_b32 exec_lo, exec_lo, s2
.LBB685_166:
	s_delay_alu instid0(VALU_DEP_1)
	v_and_b32_e32 v19, 0xff, v16
	v_and_b32_e32 v21, 0xff, v33
	;; [unrolled: 1-line block ×5, first 2 shown]
	v_mbcnt_lo_u32_b32 v38, -1, 0
	v_and_b32_e32 v37, 0xff, v31
	v_add3_u32 v22, v21, v19, v34
	v_and_b32_e32 v23, 0xff, v30
	s_delay_alu instid0(VALU_DEP_4) | instskip(SKIP_1) | instid1(VALU_DEP_3)
	v_dual_lshrrev_b32 v39, 5, v0 :: v_dual_bitop2_b32 v24, 15, v38 bitop3:0x40
	s_and_b32 vcc_lo, exec_lo, s23
	v_add3_u32 v22, v22, v35, v36
	s_mov_b32 s8, -1
	s_wait_dscnt 0x0
	v_cmp_eq_u32_e64 s2, 0, v24
	s_wait_kmcnt 0x0
	v_cmp_lt_u32_e64 s4, 1, v24
	v_add3_u32 v40, v22, v37, v23
	v_and_b32_e32 v22, 16, v38
	v_or_b32_e32 v23, 31, v0
	v_cmp_lt_u32_e64 s5, 3, v24
	v_cmp_lt_u32_e64 s3, 7, v24
	s_barrier_signal -1
	v_cmp_eq_u32_e64 s7, 0, v22
	v_cmp_eq_u32_e64 s6, v0, v23
	s_barrier_wait -1
                                        ; implicit-def: $vgpr25
                                        ; implicit-def: $vgpr26
                                        ; implicit-def: $vgpr27
                                        ; implicit-def: $vgpr28
                                        ; implicit-def: $vgpr29
                                        ; implicit-def: $vgpr41
                                        ; implicit-def: $vgpr42
                                        ; implicit-def: $vgpr24
                                        ; implicit-def: $vgpr22
	s_cbranch_vccz .LBB685_193
; %bb.167:
	v_mov_b32_dpp v22, v40 row_shr:1 row_mask:0xf bank_mask:0xf
	s_delay_alu instid0(VALU_DEP_1) | instskip(NEXT) | instid1(VALU_DEP_1)
	v_cndmask_b32_e64 v22, v22, 0, s2
	v_add_nc_u32_e32 v22, v22, v40
	s_delay_alu instid0(VALU_DEP_1) | instskip(NEXT) | instid1(VALU_DEP_1)
	v_mov_b32_dpp v23, v22 row_shr:2 row_mask:0xf bank_mask:0xf
	v_cndmask_b32_e64 v23, 0, v23, s4
	s_delay_alu instid0(VALU_DEP_1) | instskip(NEXT) | instid1(VALU_DEP_1)
	v_add_nc_u32_e32 v22, v22, v23
	v_mov_b32_dpp v23, v22 row_shr:4 row_mask:0xf bank_mask:0xf
	s_delay_alu instid0(VALU_DEP_1) | instskip(NEXT) | instid1(VALU_DEP_1)
	v_cndmask_b32_e64 v23, 0, v23, s5
	v_add_nc_u32_e32 v22, v22, v23
	s_delay_alu instid0(VALU_DEP_1) | instskip(NEXT) | instid1(VALU_DEP_1)
	v_mov_b32_dpp v23, v22 row_shr:8 row_mask:0xf bank_mask:0xf
	v_cndmask_b32_e64 v23, 0, v23, s3
	s_delay_alu instid0(VALU_DEP_1) | instskip(SKIP_3) | instid1(VALU_DEP_1)
	v_add_nc_u32_e32 v22, v22, v23
	ds_swizzle_b32 v23, v22 offset:swizzle(BROADCAST,32,15)
	s_wait_dscnt 0x0
	v_cndmask_b32_e64 v23, v23, 0, s7
	v_add_nc_u32_e32 v22, v22, v23
	s_and_saveexec_b32 s8, s6
; %bb.168:
	v_lshlrev_b32_e32 v23, 2, v39
	ds_store_b32 v23, v22
; %bb.169:
	s_or_b32 exec_lo, exec_lo, s8
	s_delay_alu instid0(SALU_CYCLE_1)
	s_mov_b32 s8, exec_lo
	s_wait_dscnt 0x0
	s_barrier_signal -1
	s_barrier_wait -1
	v_cmpx_gt_u32_e32 16, v0
	s_cbranch_execz .LBB685_171
; %bb.170:
	v_lshlrev_b32_e32 v23, 2, v0
	ds_load_b32 v24, v23
	s_wait_dscnt 0x0
	v_mov_b32_dpp v25, v24 row_shr:1 row_mask:0xf bank_mask:0xf
	s_delay_alu instid0(VALU_DEP_1) | instskip(NEXT) | instid1(VALU_DEP_1)
	v_cndmask_b32_e64 v25, v25, 0, s2
	v_add_nc_u32_e32 v24, v25, v24
	s_delay_alu instid0(VALU_DEP_1) | instskip(NEXT) | instid1(VALU_DEP_1)
	v_mov_b32_dpp v25, v24 row_shr:2 row_mask:0xf bank_mask:0xf
	v_cndmask_b32_e64 v25, 0, v25, s4
	s_delay_alu instid0(VALU_DEP_1) | instskip(NEXT) | instid1(VALU_DEP_1)
	v_add_nc_u32_e32 v24, v24, v25
	v_mov_b32_dpp v25, v24 row_shr:4 row_mask:0xf bank_mask:0xf
	s_delay_alu instid0(VALU_DEP_1) | instskip(NEXT) | instid1(VALU_DEP_1)
	v_cndmask_b32_e64 v25, 0, v25, s5
	v_add_nc_u32_e32 v24, v24, v25
	s_delay_alu instid0(VALU_DEP_1) | instskip(NEXT) | instid1(VALU_DEP_1)
	v_mov_b32_dpp v25, v24 row_shr:8 row_mask:0xf bank_mask:0xf
	v_cndmask_b32_e64 v25, 0, v25, s3
	s_delay_alu instid0(VALU_DEP_1)
	v_add_nc_u32_e32 v24, v24, v25
	ds_store_b32 v23, v24
.LBB685_171:
	s_or_b32 exec_lo, exec_lo, s8
	s_delay_alu instid0(SALU_CYCLE_1)
	s_mov_b32 s9, exec_lo
	v_cmp_gt_u32_e32 vcc_lo, 32, v0
	s_wait_dscnt 0x0
	s_barrier_signal -1
	s_barrier_wait -1
                                        ; implicit-def: $vgpr41
	v_cmpx_lt_u32_e32 31, v0
	s_cbranch_execz .LBB685_173
; %bb.172:
	v_lshl_add_u32 v23, v39, 2, -4
	ds_load_b32 v41, v23
	s_wait_dscnt 0x0
	v_add_nc_u32_e32 v22, v41, v22
.LBB685_173:
	s_or_b32 exec_lo, exec_lo, s9
	v_sub_co_u32 v23, s8, v38, 1
	s_delay_alu instid0(VALU_DEP_1) | instskip(NEXT) | instid1(VALU_DEP_1)
	v_cmp_gt_i32_e64 s9, 0, v23
	v_cndmask_b32_e64 v23, v23, v38, s9
	s_delay_alu instid0(VALU_DEP_1)
	v_lshlrev_b32_e32 v23, 2, v23
	ds_bpermute_b32 v42, v23, v22
	s_and_saveexec_b32 s9, vcc_lo
	s_cbranch_execz .LBB685_192
; %bb.174:
	v_mov_b32_e32 v29, 0
	ds_load_b32 v22, v29 offset:60
	s_and_saveexec_b32 s18, s8
	s_cbranch_execz .LBB685_176
; %bb.175:
	s_add_co_i32 s19, s20, 32
	s_delay_alu instid0(SALU_CYCLE_1)
	v_dual_mov_b32 v23, 1 :: v_dual_mov_b32 v24, s19
	s_wait_dscnt 0x0
	global_store_b64 v24, v[22:23], s[10:11] scale_offset scope:SCOPE_DEV
.LBB685_176:
	s_wait_xcnt 0x0
	s_or_b32 exec_lo, exec_lo, s18
	v_xad_u32 v24, v38, -1, s20
	s_mov_b32 s19, 0
	s_mov_b32 s18, exec_lo
	s_delay_alu instid0(VALU_DEP_1) | instskip(SKIP_4) | instid1(VALU_DEP_1)
	v_add_nc_u32_e32 v28, 32, v24
	global_load_b64 v[26:27], v28, s[10:11] scale_offset scope:SCOPE_DEV
	s_wait_loadcnt 0x0
	v_and_b32_e32 v23, 0xff, v27
	s_wait_xcnt 0x0
	v_cmpx_eq_u16_e32 0, v23
	s_cbranch_execz .LBB685_180
; %bb.177:
	v_lshl_add_u64 v[28:29], v[28:29], 3, s[10:11]
.LBB685_178:                            ; =>This Inner Loop Header: Depth=1
	global_load_b64 v[26:27], v[28:29], off scope:SCOPE_DEV
	s_wait_loadcnt 0x0
	v_and_b32_e32 v23, 0xff, v27
	s_delay_alu instid0(VALU_DEP_1)
	v_cmp_ne_u16_e32 vcc_lo, 0, v23
	s_or_b32 s19, vcc_lo, s19
	s_wait_xcnt 0x0
	s_and_not1_b32 exec_lo, exec_lo, s19
	s_cbranch_execnz .LBB685_178
; %bb.179:
	s_or_b32 exec_lo, exec_lo, s19
.LBB685_180:
	s_delay_alu instid0(SALU_CYCLE_1)
	s_or_b32 exec_lo, exec_lo, s18
	v_cmp_ne_u32_e32 vcc_lo, 31, v38
	v_lshlrev_b32_e64 v44, v38, -1
	v_dual_add_nc_u32 v46, 2, v38 :: v_dual_add_nc_u32 v48, 4, v38
	v_dual_add_nc_u32 v50, 8, v38 :: v_dual_add_nc_u32 v52, 16, v38
	v_add_co_ci_u32_e64 v23, null, 0, v38, vcc_lo
	v_lshl_or_b32 v51, v38, 2, 64
	s_delay_alu instid0(VALU_DEP_2)
	v_lshlrev_b32_e32 v43, 2, v23
	v_and_b32_e32 v23, 0xff, v27
	ds_bpermute_b32 v25, v43, v26
	v_cmp_eq_u16_e32 vcc_lo, 2, v23
	v_and_or_b32 v23, vcc_lo, v44, 0x80000000
	v_cmp_gt_u32_e32 vcc_lo, 30, v38
	s_delay_alu instid0(VALU_DEP_2) | instskip(SKIP_1) | instid1(VALU_DEP_2)
	v_ctz_i32_b32_e32 v23, v23
	v_cndmask_b32_e64 v28, 0, 2, vcc_lo
	v_cmp_lt_u32_e32 vcc_lo, v38, v23
	s_delay_alu instid0(VALU_DEP_2)
	v_add_lshl_u32 v45, v28, v38, 2
	s_wait_dscnt 0x0
	v_cndmask_b32_e32 v25, 0, v25, vcc_lo
	v_cmp_gt_u32_e32 vcc_lo, 28, v38
	v_cndmask_b32_e64 v28, 0, 4, vcc_lo
	v_cmp_le_u32_e32 vcc_lo, v46, v23
	s_delay_alu instid0(VALU_DEP_4) | instskip(NEXT) | instid1(VALU_DEP_3)
	v_add_nc_u32_e32 v25, v25, v26
	v_add_lshl_u32 v47, v28, v38, 2
	ds_bpermute_b32 v26, v45, v25
	s_wait_dscnt 0x0
	v_cndmask_b32_e32 v26, 0, v26, vcc_lo
	v_cmp_gt_u32_e32 vcc_lo, 24, v38
	v_cndmask_b32_e64 v28, 0, 8, vcc_lo
	v_cmp_le_u32_e32 vcc_lo, v48, v23
	s_delay_alu instid0(VALU_DEP_4) | instskip(NEXT) | instid1(VALU_DEP_3)
	v_add_nc_u32_e32 v25, v25, v26
	v_add_lshl_u32 v49, v28, v38, 2
	ds_bpermute_b32 v26, v47, v25
	s_wait_dscnt 0x0
	v_cndmask_b32_e32 v26, 0, v26, vcc_lo
	v_cmp_le_u32_e32 vcc_lo, v50, v23
	s_delay_alu instid0(VALU_DEP_2) | instskip(SKIP_4) | instid1(VALU_DEP_2)
	v_add_nc_u32_e32 v25, v25, v26
	ds_bpermute_b32 v26, v49, v25
	s_wait_dscnt 0x0
	v_cndmask_b32_e32 v26, 0, v26, vcc_lo
	v_cmp_le_u32_e32 vcc_lo, v52, v23
	v_add_nc_u32_e32 v25, v25, v26
	ds_bpermute_b32 v26, v51, v25
	s_wait_dscnt 0x0
	v_cndmask_b32_e32 v23, 0, v26, vcc_lo
	s_delay_alu instid0(VALU_DEP_1)
	v_dual_mov_b32 v25, 0 :: v_dual_add_nc_u32 v26, v25, v23
	s_branch .LBB685_183
.LBB685_181:                            ;   in Loop: Header=BB685_183 Depth=1
	s_or_b32 exec_lo, exec_lo, s18
	v_and_b32_e32 v28, 0xff, v27
	ds_bpermute_b32 v29, v43, v26
	v_subrev_nc_u32_e32 v24, 32, v24
	s_mov_b32 s18, 0
	v_cmp_eq_u16_e32 vcc_lo, 2, v28
	v_and_or_b32 v28, vcc_lo, v44, 0x80000000
	s_delay_alu instid0(VALU_DEP_1) | instskip(NEXT) | instid1(VALU_DEP_1)
	v_ctz_i32_b32_e32 v28, v28
	v_cmp_lt_u32_e32 vcc_lo, v38, v28
	s_wait_dscnt 0x0
	v_cndmask_b32_e32 v29, 0, v29, vcc_lo
	v_cmp_le_u32_e32 vcc_lo, v46, v28
	s_delay_alu instid0(VALU_DEP_2) | instskip(SKIP_4) | instid1(VALU_DEP_2)
	v_add_nc_u32_e32 v26, v29, v26
	ds_bpermute_b32 v29, v45, v26
	s_wait_dscnt 0x0
	v_cndmask_b32_e32 v29, 0, v29, vcc_lo
	v_cmp_le_u32_e32 vcc_lo, v48, v28
	v_add_nc_u32_e32 v26, v26, v29
	ds_bpermute_b32 v29, v47, v26
	s_wait_dscnt 0x0
	v_cndmask_b32_e32 v29, 0, v29, vcc_lo
	v_cmp_le_u32_e32 vcc_lo, v50, v28
	s_delay_alu instid0(VALU_DEP_2) | instskip(SKIP_4) | instid1(VALU_DEP_2)
	v_add_nc_u32_e32 v26, v26, v29
	ds_bpermute_b32 v29, v49, v26
	s_wait_dscnt 0x0
	v_cndmask_b32_e32 v29, 0, v29, vcc_lo
	v_cmp_le_u32_e32 vcc_lo, v52, v28
	v_add_nc_u32_e32 v26, v26, v29
	ds_bpermute_b32 v29, v51, v26
	s_wait_dscnt 0x0
	v_cndmask_b32_e32 v28, 0, v29, vcc_lo
	s_delay_alu instid0(VALU_DEP_1)
	v_add3_u32 v26, v28, v23, v26
.LBB685_182:                            ;   in Loop: Header=BB685_183 Depth=1
	s_and_b32 vcc_lo, exec_lo, s18
	s_cbranch_vccnz .LBB685_188
.LBB685_183:                            ; =>This Loop Header: Depth=1
                                        ;     Child Loop BB685_186 Depth 2
	v_and_b32_e32 v23, 0xff, v27
	s_mov_b32 s18, -1
                                        ; implicit-def: $vgpr27
	s_delay_alu instid0(VALU_DEP_1)
	v_cmp_ne_u16_e32 vcc_lo, 2, v23
	v_mov_b32_e32 v23, v26
                                        ; implicit-def: $vgpr26
	s_cmp_lg_u32 vcc_lo, exec_lo
	s_cbranch_scc1 .LBB685_182
; %bb.184:                              ;   in Loop: Header=BB685_183 Depth=1
	global_load_b64 v[26:27], v24, s[10:11] scale_offset scope:SCOPE_DEV
	s_mov_b32 s18, exec_lo
	s_wait_loadcnt 0x0
	v_and_b32_e32 v28, 0xff, v27
	s_wait_xcnt 0x0
	s_delay_alu instid0(VALU_DEP_1)
	v_cmpx_eq_u16_e32 0, v28
	s_cbranch_execz .LBB685_181
; %bb.185:                              ;   in Loop: Header=BB685_183 Depth=1
	v_lshl_add_u64 v[28:29], v[24:25], 3, s[10:11]
	s_mov_b32 s19, 0
.LBB685_186:                            ;   Parent Loop BB685_183 Depth=1
                                        ; =>  This Inner Loop Header: Depth=2
	global_load_b64 v[26:27], v[28:29], off scope:SCOPE_DEV
	s_wait_loadcnt 0x0
	v_and_b32_e32 v53, 0xff, v27
	s_delay_alu instid0(VALU_DEP_1)
	v_cmp_ne_u16_e32 vcc_lo, 0, v53
	s_or_b32 s19, vcc_lo, s19
	s_wait_xcnt 0x0
	s_and_not1_b32 exec_lo, exec_lo, s19
	s_cbranch_execnz .LBB685_186
; %bb.187:                              ;   in Loop: Header=BB685_183 Depth=1
	s_or_b32 exec_lo, exec_lo, s19
	s_branch .LBB685_181
.LBB685_188:
	s_and_saveexec_b32 s18, s8
	s_cbranch_execz .LBB685_190
; %bb.189:
	s_add_co_i32 s19, s20, 32
	v_dual_mov_b32 v25, 2 :: v_dual_add_nc_u32 v24, v23, v22
	v_dual_mov_b32 v26, s19 :: v_dual_mov_b32 v27, 0
	global_store_b64 v26, v[24:25], s[10:11] scale_offset scope:SCOPE_DEV
	ds_store_b64 v27, v[22:23] offset:28672
.LBB685_190:
	s_wait_xcnt 0x0
	s_or_b32 exec_lo, exec_lo, s18
	v_cmp_eq_u32_e32 vcc_lo, 0, v0
	s_and_b32 exec_lo, exec_lo, vcc_lo
; %bb.191:
	v_mov_b32_e32 v22, 0
	ds_store_b32 v22, v23 offset:60
.LBB685_192:
	s_or_b32 exec_lo, exec_lo, s9
	s_wait_dscnt 0x0
	v_dual_mov_b32 v22, 0 :: v_dual_cndmask_b32 v24, v42, v41, s8
	s_wait_storecnt 0x0
	s_barrier_signal -1
	s_barrier_wait -1
	ds_load_b32 v23, v22 offset:60
	v_cmp_ne_u32_e32 vcc_lo, 0, v0
	s_wait_dscnt 0x0
	s_barrier_signal -1
	s_barrier_wait -1
	v_cndmask_b32_e32 v24, 0, v24, vcc_lo
	s_mov_b32 s8, 0
	s_delay_alu instid0(VALU_DEP_1) | instskip(SKIP_2) | instid1(VALU_DEP_1)
	v_add_nc_u32_e32 v42, v23, v24
	ds_load_b64 v[22:23], v22 offset:28672
	v_add_nc_u32_e32 v41, v42, v19
	v_add_nc_u32_e32 v29, v41, v21
	s_delay_alu instid0(VALU_DEP_1) | instskip(SKIP_1) | instid1(VALU_DEP_1)
	v_add_nc_u32_e32 v28, v29, v34
	s_wait_dscnt 0x0
	v_dual_mov_b32 v24, v23 :: v_dual_add_nc_u32 v27, v28, v35
	s_delay_alu instid0(VALU_DEP_1) | instskip(NEXT) | instid1(VALU_DEP_1)
	v_add_nc_u32_e32 v26, v27, v36
	v_add_nc_u32_e32 v25, v26, v37
.LBB685_193:
	s_and_b32 vcc_lo, exec_lo, s8
	s_cbranch_vccz .LBB685_203
; %bb.194:
	v_mov_b32_dpp v22, v40 row_shr:1 row_mask:0xf bank_mask:0xf
	s_delay_alu instid0(VALU_DEP_1) | instskip(NEXT) | instid1(VALU_DEP_1)
	v_cndmask_b32_e64 v22, v22, 0, s2
	v_add_nc_u32_e32 v22, v22, v40
	s_delay_alu instid0(VALU_DEP_1) | instskip(NEXT) | instid1(VALU_DEP_1)
	v_mov_b32_dpp v23, v22 row_shr:2 row_mask:0xf bank_mask:0xf
	v_cndmask_b32_e64 v23, 0, v23, s4
	s_delay_alu instid0(VALU_DEP_1) | instskip(NEXT) | instid1(VALU_DEP_1)
	v_add_nc_u32_e32 v22, v22, v23
	v_mov_b32_dpp v23, v22 row_shr:4 row_mask:0xf bank_mask:0xf
	s_delay_alu instid0(VALU_DEP_1) | instskip(NEXT) | instid1(VALU_DEP_1)
	v_cndmask_b32_e64 v23, 0, v23, s5
	v_add_nc_u32_e32 v22, v22, v23
	s_delay_alu instid0(VALU_DEP_1) | instskip(NEXT) | instid1(VALU_DEP_1)
	v_mov_b32_dpp v23, v22 row_shr:8 row_mask:0xf bank_mask:0xf
	v_cndmask_b32_e64 v23, 0, v23, s3
	s_delay_alu instid0(VALU_DEP_1) | instskip(SKIP_3) | instid1(VALU_DEP_1)
	v_add_nc_u32_e32 v22, v22, v23
	ds_swizzle_b32 v23, v22 offset:swizzle(BROADCAST,32,15)
	s_wait_dscnt 0x0
	v_cndmask_b32_e64 v23, v23, 0, s7
	v_add_nc_u32_e32 v22, v22, v23
	s_and_saveexec_b32 s7, s6
; %bb.195:
	v_lshlrev_b32_e32 v23, 2, v39
	ds_store_b32 v23, v22
; %bb.196:
	s_or_b32 exec_lo, exec_lo, s7
	s_delay_alu instid0(SALU_CYCLE_1)
	s_mov_b32 s6, exec_lo
	s_wait_dscnt 0x0
	s_barrier_signal -1
	s_barrier_wait -1
	v_cmpx_gt_u32_e32 16, v0
	s_cbranch_execz .LBB685_198
; %bb.197:
	v_lshlrev_b32_e32 v23, 2, v0
	ds_load_b32 v24, v23
	s_wait_dscnt 0x0
	v_mov_b32_dpp v25, v24 row_shr:1 row_mask:0xf bank_mask:0xf
	s_delay_alu instid0(VALU_DEP_1) | instskip(NEXT) | instid1(VALU_DEP_1)
	v_cndmask_b32_e64 v25, v25, 0, s2
	v_add_nc_u32_e32 v24, v25, v24
	s_delay_alu instid0(VALU_DEP_1) | instskip(NEXT) | instid1(VALU_DEP_1)
	v_mov_b32_dpp v25, v24 row_shr:2 row_mask:0xf bank_mask:0xf
	v_cndmask_b32_e64 v25, 0, v25, s4
	s_delay_alu instid0(VALU_DEP_1) | instskip(NEXT) | instid1(VALU_DEP_1)
	v_add_nc_u32_e32 v24, v24, v25
	v_mov_b32_dpp v25, v24 row_shr:4 row_mask:0xf bank_mask:0xf
	s_delay_alu instid0(VALU_DEP_1) | instskip(NEXT) | instid1(VALU_DEP_1)
	v_cndmask_b32_e64 v25, 0, v25, s5
	v_add_nc_u32_e32 v24, v24, v25
	s_delay_alu instid0(VALU_DEP_1) | instskip(NEXT) | instid1(VALU_DEP_1)
	v_mov_b32_dpp v25, v24 row_shr:8 row_mask:0xf bank_mask:0xf
	v_cndmask_b32_e64 v25, 0, v25, s3
	s_delay_alu instid0(VALU_DEP_1)
	v_add_nc_u32_e32 v24, v24, v25
	ds_store_b32 v23, v24
.LBB685_198:
	s_or_b32 exec_lo, exec_lo, s6
	v_dual_mov_b32 v23, 0 :: v_dual_mov_b32 v24, 0
	s_mov_b32 s2, exec_lo
	s_wait_dscnt 0x0
	s_barrier_signal -1
	s_barrier_wait -1
	v_cmpx_lt_u32_e32 31, v0
; %bb.199:
	v_lshl_add_u32 v24, v39, 2, -4
	ds_load_b32 v24, v24
; %bb.200:
	s_or_b32 exec_lo, exec_lo, s2
	v_sub_co_u32 v25, vcc_lo, v38, 1
	s_delay_alu instid0(VALU_DEP_1) | instskip(NEXT) | instid1(VALU_DEP_1)
	v_cmp_gt_i32_e64 s2, 0, v25
	v_cndmask_b32_e64 v25, v25, v38, s2
	s_wait_dscnt 0x0
	v_add_nc_u32_e32 v22, v24, v22
	v_cmp_eq_u32_e64 s2, 0, v0
	s_delay_alu instid0(VALU_DEP_3)
	v_lshlrev_b32_e32 v25, 2, v25
	ds_bpermute_b32 v25, v25, v22
	ds_load_b32 v22, v23 offset:60
	s_and_saveexec_b32 s3, s2
	s_cbranch_execz .LBB685_202
; %bb.201:
	v_dual_mov_b32 v26, 0 :: v_dual_mov_b32 v23, 2
	s_wait_dscnt 0x0
	global_store_b64 v26, v[22:23], s[10:11] offset:256 scope:SCOPE_DEV
.LBB685_202:
	s_wait_xcnt 0x0
	s_or_b32 exec_lo, exec_lo, s3
	s_wait_dscnt 0x1
	v_cndmask_b32_e32 v23, v25, v24, vcc_lo
	s_wait_storecnt_dscnt 0x0
	s_barrier_signal -1
	s_barrier_wait -1
	s_delay_alu instid0(VALU_DEP_1) | instskip(NEXT) | instid1(VALU_DEP_1)
	v_cndmask_b32_e64 v42, v23, 0, s2
	v_dual_mov_b32 v24, 0 :: v_dual_add_nc_u32 v41, v42, v19
	s_delay_alu instid0(VALU_DEP_1) | instskip(NEXT) | instid1(VALU_DEP_1)
	v_add_nc_u32_e32 v29, v41, v21
	v_add_nc_u32_e32 v28, v29, v34
	s_delay_alu instid0(VALU_DEP_1) | instskip(NEXT) | instid1(VALU_DEP_1)
	v_add_nc_u32_e32 v27, v28, v35
	v_add_nc_u32_e32 v26, v27, v36
	s_delay_alu instid0(VALU_DEP_1)
	v_add_nc_u32_e32 v25, v26, v37
.LBB685_203:
	s_load_b64 s[2:3], s[0:1], 0x28
	v_and_b32_e32 v16, 1, v16
	v_cmp_gt_u32_e32 vcc_lo, 0x201, v22
	s_wait_xcnt 0x0
	s_mov_b32 s1, -1
	s_delay_alu instid0(VALU_DEP_2)
	v_cmp_eq_u32_e64 s0, 1, v16
	s_cbranch_vccnz .LBB685_207
; %bb.204:
	s_and_b32 vcc_lo, exec_lo, s1
	s_cbranch_vccnz .LBB685_222
.LBB685_205:
	v_cmp_eq_u32_e32 vcc_lo, 0, v0
	s_and_b32 s0, vcc_lo, s16
	s_delay_alu instid0(SALU_CYCLE_1)
	s_and_saveexec_b32 s1, s0
	s_cbranch_execnz .LBB685_239
.LBB685_206:
	s_endpgm
.LBB685_207:
	v_add_nc_u32_e32 v19, v24, v22
	s_delay_alu instid0(VALU_DEP_1) | instskip(SKIP_1) | instid1(SALU_CYCLE_1)
	v_cmp_lt_u32_e32 vcc_lo, v42, v19
	s_or_b32 s1, s17, vcc_lo
	s_and_b32 s1, s1, s0
	s_delay_alu instid0(SALU_CYCLE_1)
	s_and_saveexec_b32 s0, s1
	s_cbranch_execz .LBB685_209
; %bb.208:
	s_lshl_b64 s[4:5], s[14:15], 3
	s_wait_kmcnt 0x0
	s_add_nc_u64 s[4:5], s[2:3], s[4:5]
	global_store_b64 v42, v[10:11], s[4:5] scale_offset
.LBB685_209:
	s_wait_xcnt 0x0
	s_or_b32 exec_lo, exec_lo, s0
	v_and_b32_e32 v21, 1, v33
	v_cmp_lt_u32_e32 vcc_lo, v41, v19
	s_delay_alu instid0(VALU_DEP_2) | instskip(SKIP_1) | instid1(SALU_CYCLE_1)
	v_cmp_eq_u32_e64 s0, 1, v21
	s_or_b32 s1, s17, vcc_lo
	s_and_b32 s1, s1, s0
	s_delay_alu instid0(SALU_CYCLE_1)
	s_and_saveexec_b32 s0, s1
	s_cbranch_execz .LBB685_211
; %bb.210:
	s_lshl_b64 s[4:5], s[14:15], 3
	s_wait_kmcnt 0x0
	s_add_nc_u64 s[4:5], s[2:3], s[4:5]
	global_store_b64 v41, v[12:13], s[4:5] scale_offset
.LBB685_211:
	s_wait_xcnt 0x0
	s_or_b32 exec_lo, exec_lo, s0
	v_and_b32_e32 v21, 1, v32
	v_cmp_lt_u32_e32 vcc_lo, v29, v19
	s_delay_alu instid0(VALU_DEP_2) | instskip(SKIP_1) | instid1(SALU_CYCLE_1)
	v_cmp_eq_u32_e64 s0, 1, v21
	;; [unrolled: 17-line block ×6, first 2 shown]
	s_or_b32 s1, s17, vcc_lo
	s_and_b32 s1, s1, s0
	s_delay_alu instid0(SALU_CYCLE_1)
	s_and_saveexec_b32 s0, s1
	s_cbranch_execz .LBB685_221
; %bb.220:
	s_lshl_b64 s[4:5], s[14:15], 3
	s_wait_kmcnt 0x0
	s_add_nc_u64 s[4:5], s[2:3], s[4:5]
	global_store_b64 v25, v[14:15], s[4:5] scale_offset
.LBB685_221:
	s_wait_xcnt 0x0
	s_or_b32 exec_lo, exec_lo, s0
	s_branch .LBB685_205
.LBB685_222:
	s_mov_b32 s0, exec_lo
	v_cmpx_eq_u32_e32 1, v16
; %bb.223:
	v_sub_nc_u32_e32 v16, v42, v24
	s_delay_alu instid0(VALU_DEP_1)
	v_lshlrev_b32_e32 v16, 3, v16
	ds_store_b64 v16, v[10:11]
; %bb.224:
	s_or_b32 exec_lo, exec_lo, s0
	v_and_b32_e32 v10, 1, v33
	s_mov_b32 s0, exec_lo
	s_delay_alu instid0(VALU_DEP_1)
	v_cmpx_eq_u32_e32 1, v10
; %bb.225:
	v_sub_nc_u32_e32 v10, v41, v24
	s_delay_alu instid0(VALU_DEP_1)
	v_lshlrev_b32_e32 v10, 3, v10
	ds_store_b64 v10, v[12:13]
; %bb.226:
	s_or_b32 exec_lo, exec_lo, s0
	v_and_b32_e32 v10, 1, v32
	s_mov_b32 s0, exec_lo
	s_delay_alu instid0(VALU_DEP_1)
	;; [unrolled: 11-line block ×6, first 2 shown]
	v_cmpx_eq_u32_e32 1, v2
; %bb.235:
	v_sub_nc_u32_e32 v2, v25, v24
	s_delay_alu instid0(VALU_DEP_1)
	v_lshlrev_b32_e32 v2, 3, v2
	ds_store_b64 v2, v[14:15]
; %bb.236:
	s_or_b32 exec_lo, exec_lo, s0
	v_mov_b32_e32 v25, 0
	s_lshl_b64 s[0:1], s[14:15], 3
	s_wait_storecnt_dscnt 0x0
	s_barrier_signal -1
	s_barrier_wait -1
	v_lshlrev_b64_e32 v[2:3], 3, v[24:25]
	v_mov_b32_e32 v19, v25
	s_delay_alu instid0(VALU_DEP_2) | instskip(SKIP_2) | instid1(VALU_DEP_1)
	v_add_nc_u64_e32 v[2:3], s[0:1], v[2:3]
	s_mov_b32 s0, 0
	s_wait_kmcnt 0x0
	v_add_nc_u64_e32 v[2:3], s[2:3], v[2:3]
	s_delay_alu instid0(VALU_DEP_1)
	v_add_nc_u64_e32 v[2:3], v[2:3], v[18:19]
.LBB685_237:                            ; =>This Inner Loop Header: Depth=1
	ds_load_b64 v[4:5], v18
	v_add_nc_u32_e32 v1, 0x200, v1
	v_add_nc_u32_e32 v18, 0x1000, v18
	s_delay_alu instid0(VALU_DEP_2)
	v_cmp_ge_u32_e32 vcc_lo, v1, v22
	s_or_b32 s0, vcc_lo, s0
	s_wait_dscnt 0x0
	global_store_b64 v[2:3], v[4:5], off
	s_wait_xcnt 0x0
	v_add_nc_u64_e32 v[2:3], 0x1000, v[2:3]
	s_and_not1_b32 exec_lo, exec_lo, s0
	s_cbranch_execnz .LBB685_237
; %bb.238:
	s_or_b32 exec_lo, exec_lo, s0
	v_cmp_eq_u32_e32 vcc_lo, 0, v0
	s_and_b32 s0, vcc_lo, s16
	s_delay_alu instid0(SALU_CYCLE_1)
	s_and_saveexec_b32 s1, s0
	s_cbranch_execz .LBB685_206
.LBB685_239:
	v_mov_b32_e32 v23, 0
	s_delay_alu instid0(VALU_DEP_1) | instskip(SKIP_1) | instid1(VALU_DEP_1)
	v_add_nc_u64_e32 v[0:1], s[14:15], v[22:23]
	v_mov_b32_e32 v25, v23
	v_add_nc_u64_e32 v[0:1], v[0:1], v[24:25]
	global_store_b64 v23, v[0:1], s[12:13]
	s_endpgm
	.section	.rodata,"a",@progbits
	.p2align	6, 0x0
	.amdhsa_kernel _ZN7rocprim17ROCPRIM_400000_NS6detail17trampoline_kernelINS0_14default_configENS1_25partition_config_selectorILNS1_17partition_subalgoE8ElNS0_10empty_typeEbEEZZNS1_14partition_implILS5_8ELb0ES3_jPlPS6_PKS6_NS0_5tupleIJS9_S6_EEENSD_IJSA_SA_EEENS0_18inequality_wrapperIZN2at6native12_GLOBAL__N_124unique_dim_cuda_templateIsEESt5tupleIJNSH_6TensorESM_SM_EERKSM_lbbbEUlllE0_EEPmJS6_EEE10hipError_tPvRmT3_T4_T5_T6_T7_T9_mT8_P12ihipStream_tbDpT10_ENKUlT_T0_E_clISt17integral_constantIbLb0EES1C_EEDaS17_S18_EUlS17_E_NS1_11comp_targetILNS1_3genE0ELNS1_11target_archE4294967295ELNS1_3gpuE0ELNS1_3repE0EEENS1_30default_config_static_selectorELNS0_4arch9wavefront6targetE0EEEvT1_
		.amdhsa_group_segment_fixed_size 28680
		.amdhsa_private_segment_fixed_size 0
		.amdhsa_kernarg_size 120
		.amdhsa_user_sgpr_count 2
		.amdhsa_user_sgpr_dispatch_ptr 0
		.amdhsa_user_sgpr_queue_ptr 0
		.amdhsa_user_sgpr_kernarg_segment_ptr 1
		.amdhsa_user_sgpr_dispatch_id 0
		.amdhsa_user_sgpr_kernarg_preload_length 0
		.amdhsa_user_sgpr_kernarg_preload_offset 0
		.amdhsa_user_sgpr_private_segment_size 0
		.amdhsa_wavefront_size32 1
		.amdhsa_uses_dynamic_stack 0
		.amdhsa_enable_private_segment 0
		.amdhsa_system_sgpr_workgroup_id_x 1
		.amdhsa_system_sgpr_workgroup_id_y 0
		.amdhsa_system_sgpr_workgroup_id_z 0
		.amdhsa_system_sgpr_workgroup_info 0
		.amdhsa_system_vgpr_workitem_id 0
		.amdhsa_next_free_vgpr 54
		.amdhsa_next_free_sgpr 36
		.amdhsa_named_barrier_count 0
		.amdhsa_reserve_vcc 1
		.amdhsa_float_round_mode_32 0
		.amdhsa_float_round_mode_16_64 0
		.amdhsa_float_denorm_mode_32 3
		.amdhsa_float_denorm_mode_16_64 3
		.amdhsa_fp16_overflow 0
		.amdhsa_memory_ordered 1
		.amdhsa_forward_progress 1
		.amdhsa_inst_pref_size 82
		.amdhsa_round_robin_scheduling 0
		.amdhsa_exception_fp_ieee_invalid_op 0
		.amdhsa_exception_fp_denorm_src 0
		.amdhsa_exception_fp_ieee_div_zero 0
		.amdhsa_exception_fp_ieee_overflow 0
		.amdhsa_exception_fp_ieee_underflow 0
		.amdhsa_exception_fp_ieee_inexact 0
		.amdhsa_exception_int_div_zero 0
	.end_amdhsa_kernel
	.section	.text._ZN7rocprim17ROCPRIM_400000_NS6detail17trampoline_kernelINS0_14default_configENS1_25partition_config_selectorILNS1_17partition_subalgoE8ElNS0_10empty_typeEbEEZZNS1_14partition_implILS5_8ELb0ES3_jPlPS6_PKS6_NS0_5tupleIJS9_S6_EEENSD_IJSA_SA_EEENS0_18inequality_wrapperIZN2at6native12_GLOBAL__N_124unique_dim_cuda_templateIsEESt5tupleIJNSH_6TensorESM_SM_EERKSM_lbbbEUlllE0_EEPmJS6_EEE10hipError_tPvRmT3_T4_T5_T6_T7_T9_mT8_P12ihipStream_tbDpT10_ENKUlT_T0_E_clISt17integral_constantIbLb0EES1C_EEDaS17_S18_EUlS17_E_NS1_11comp_targetILNS1_3genE0ELNS1_11target_archE4294967295ELNS1_3gpuE0ELNS1_3repE0EEENS1_30default_config_static_selectorELNS0_4arch9wavefront6targetE0EEEvT1_,"axG",@progbits,_ZN7rocprim17ROCPRIM_400000_NS6detail17trampoline_kernelINS0_14default_configENS1_25partition_config_selectorILNS1_17partition_subalgoE8ElNS0_10empty_typeEbEEZZNS1_14partition_implILS5_8ELb0ES3_jPlPS6_PKS6_NS0_5tupleIJS9_S6_EEENSD_IJSA_SA_EEENS0_18inequality_wrapperIZN2at6native12_GLOBAL__N_124unique_dim_cuda_templateIsEESt5tupleIJNSH_6TensorESM_SM_EERKSM_lbbbEUlllE0_EEPmJS6_EEE10hipError_tPvRmT3_T4_T5_T6_T7_T9_mT8_P12ihipStream_tbDpT10_ENKUlT_T0_E_clISt17integral_constantIbLb0EES1C_EEDaS17_S18_EUlS17_E_NS1_11comp_targetILNS1_3genE0ELNS1_11target_archE4294967295ELNS1_3gpuE0ELNS1_3repE0EEENS1_30default_config_static_selectorELNS0_4arch9wavefront6targetE0EEEvT1_,comdat
.Lfunc_end685:
	.size	_ZN7rocprim17ROCPRIM_400000_NS6detail17trampoline_kernelINS0_14default_configENS1_25partition_config_selectorILNS1_17partition_subalgoE8ElNS0_10empty_typeEbEEZZNS1_14partition_implILS5_8ELb0ES3_jPlPS6_PKS6_NS0_5tupleIJS9_S6_EEENSD_IJSA_SA_EEENS0_18inequality_wrapperIZN2at6native12_GLOBAL__N_124unique_dim_cuda_templateIsEESt5tupleIJNSH_6TensorESM_SM_EERKSM_lbbbEUlllE0_EEPmJS6_EEE10hipError_tPvRmT3_T4_T5_T6_T7_T9_mT8_P12ihipStream_tbDpT10_ENKUlT_T0_E_clISt17integral_constantIbLb0EES1C_EEDaS17_S18_EUlS17_E_NS1_11comp_targetILNS1_3genE0ELNS1_11target_archE4294967295ELNS1_3gpuE0ELNS1_3repE0EEENS1_30default_config_static_selectorELNS0_4arch9wavefront6targetE0EEEvT1_, .Lfunc_end685-_ZN7rocprim17ROCPRIM_400000_NS6detail17trampoline_kernelINS0_14default_configENS1_25partition_config_selectorILNS1_17partition_subalgoE8ElNS0_10empty_typeEbEEZZNS1_14partition_implILS5_8ELb0ES3_jPlPS6_PKS6_NS0_5tupleIJS9_S6_EEENSD_IJSA_SA_EEENS0_18inequality_wrapperIZN2at6native12_GLOBAL__N_124unique_dim_cuda_templateIsEESt5tupleIJNSH_6TensorESM_SM_EERKSM_lbbbEUlllE0_EEPmJS6_EEE10hipError_tPvRmT3_T4_T5_T6_T7_T9_mT8_P12ihipStream_tbDpT10_ENKUlT_T0_E_clISt17integral_constantIbLb0EES1C_EEDaS17_S18_EUlS17_E_NS1_11comp_targetILNS1_3genE0ELNS1_11target_archE4294967295ELNS1_3gpuE0ELNS1_3repE0EEENS1_30default_config_static_selectorELNS0_4arch9wavefront6targetE0EEEvT1_
                                        ; -- End function
	.set _ZN7rocprim17ROCPRIM_400000_NS6detail17trampoline_kernelINS0_14default_configENS1_25partition_config_selectorILNS1_17partition_subalgoE8ElNS0_10empty_typeEbEEZZNS1_14partition_implILS5_8ELb0ES3_jPlPS6_PKS6_NS0_5tupleIJS9_S6_EEENSD_IJSA_SA_EEENS0_18inequality_wrapperIZN2at6native12_GLOBAL__N_124unique_dim_cuda_templateIsEESt5tupleIJNSH_6TensorESM_SM_EERKSM_lbbbEUlllE0_EEPmJS6_EEE10hipError_tPvRmT3_T4_T5_T6_T7_T9_mT8_P12ihipStream_tbDpT10_ENKUlT_T0_E_clISt17integral_constantIbLb0EES1C_EEDaS17_S18_EUlS17_E_NS1_11comp_targetILNS1_3genE0ELNS1_11target_archE4294967295ELNS1_3gpuE0ELNS1_3repE0EEENS1_30default_config_static_selectorELNS0_4arch9wavefront6targetE0EEEvT1_.num_vgpr, 54
	.set _ZN7rocprim17ROCPRIM_400000_NS6detail17trampoline_kernelINS0_14default_configENS1_25partition_config_selectorILNS1_17partition_subalgoE8ElNS0_10empty_typeEbEEZZNS1_14partition_implILS5_8ELb0ES3_jPlPS6_PKS6_NS0_5tupleIJS9_S6_EEENSD_IJSA_SA_EEENS0_18inequality_wrapperIZN2at6native12_GLOBAL__N_124unique_dim_cuda_templateIsEESt5tupleIJNSH_6TensorESM_SM_EERKSM_lbbbEUlllE0_EEPmJS6_EEE10hipError_tPvRmT3_T4_T5_T6_T7_T9_mT8_P12ihipStream_tbDpT10_ENKUlT_T0_E_clISt17integral_constantIbLb0EES1C_EEDaS17_S18_EUlS17_E_NS1_11comp_targetILNS1_3genE0ELNS1_11target_archE4294967295ELNS1_3gpuE0ELNS1_3repE0EEENS1_30default_config_static_selectorELNS0_4arch9wavefront6targetE0EEEvT1_.num_agpr, 0
	.set _ZN7rocprim17ROCPRIM_400000_NS6detail17trampoline_kernelINS0_14default_configENS1_25partition_config_selectorILNS1_17partition_subalgoE8ElNS0_10empty_typeEbEEZZNS1_14partition_implILS5_8ELb0ES3_jPlPS6_PKS6_NS0_5tupleIJS9_S6_EEENSD_IJSA_SA_EEENS0_18inequality_wrapperIZN2at6native12_GLOBAL__N_124unique_dim_cuda_templateIsEESt5tupleIJNSH_6TensorESM_SM_EERKSM_lbbbEUlllE0_EEPmJS6_EEE10hipError_tPvRmT3_T4_T5_T6_T7_T9_mT8_P12ihipStream_tbDpT10_ENKUlT_T0_E_clISt17integral_constantIbLb0EES1C_EEDaS17_S18_EUlS17_E_NS1_11comp_targetILNS1_3genE0ELNS1_11target_archE4294967295ELNS1_3gpuE0ELNS1_3repE0EEENS1_30default_config_static_selectorELNS0_4arch9wavefront6targetE0EEEvT1_.numbered_sgpr, 36
	.set _ZN7rocprim17ROCPRIM_400000_NS6detail17trampoline_kernelINS0_14default_configENS1_25partition_config_selectorILNS1_17partition_subalgoE8ElNS0_10empty_typeEbEEZZNS1_14partition_implILS5_8ELb0ES3_jPlPS6_PKS6_NS0_5tupleIJS9_S6_EEENSD_IJSA_SA_EEENS0_18inequality_wrapperIZN2at6native12_GLOBAL__N_124unique_dim_cuda_templateIsEESt5tupleIJNSH_6TensorESM_SM_EERKSM_lbbbEUlllE0_EEPmJS6_EEE10hipError_tPvRmT3_T4_T5_T6_T7_T9_mT8_P12ihipStream_tbDpT10_ENKUlT_T0_E_clISt17integral_constantIbLb0EES1C_EEDaS17_S18_EUlS17_E_NS1_11comp_targetILNS1_3genE0ELNS1_11target_archE4294967295ELNS1_3gpuE0ELNS1_3repE0EEENS1_30default_config_static_selectorELNS0_4arch9wavefront6targetE0EEEvT1_.num_named_barrier, 0
	.set _ZN7rocprim17ROCPRIM_400000_NS6detail17trampoline_kernelINS0_14default_configENS1_25partition_config_selectorILNS1_17partition_subalgoE8ElNS0_10empty_typeEbEEZZNS1_14partition_implILS5_8ELb0ES3_jPlPS6_PKS6_NS0_5tupleIJS9_S6_EEENSD_IJSA_SA_EEENS0_18inequality_wrapperIZN2at6native12_GLOBAL__N_124unique_dim_cuda_templateIsEESt5tupleIJNSH_6TensorESM_SM_EERKSM_lbbbEUlllE0_EEPmJS6_EEE10hipError_tPvRmT3_T4_T5_T6_T7_T9_mT8_P12ihipStream_tbDpT10_ENKUlT_T0_E_clISt17integral_constantIbLb0EES1C_EEDaS17_S18_EUlS17_E_NS1_11comp_targetILNS1_3genE0ELNS1_11target_archE4294967295ELNS1_3gpuE0ELNS1_3repE0EEENS1_30default_config_static_selectorELNS0_4arch9wavefront6targetE0EEEvT1_.private_seg_size, 0
	.set _ZN7rocprim17ROCPRIM_400000_NS6detail17trampoline_kernelINS0_14default_configENS1_25partition_config_selectorILNS1_17partition_subalgoE8ElNS0_10empty_typeEbEEZZNS1_14partition_implILS5_8ELb0ES3_jPlPS6_PKS6_NS0_5tupleIJS9_S6_EEENSD_IJSA_SA_EEENS0_18inequality_wrapperIZN2at6native12_GLOBAL__N_124unique_dim_cuda_templateIsEESt5tupleIJNSH_6TensorESM_SM_EERKSM_lbbbEUlllE0_EEPmJS6_EEE10hipError_tPvRmT3_T4_T5_T6_T7_T9_mT8_P12ihipStream_tbDpT10_ENKUlT_T0_E_clISt17integral_constantIbLb0EES1C_EEDaS17_S18_EUlS17_E_NS1_11comp_targetILNS1_3genE0ELNS1_11target_archE4294967295ELNS1_3gpuE0ELNS1_3repE0EEENS1_30default_config_static_selectorELNS0_4arch9wavefront6targetE0EEEvT1_.uses_vcc, 1
	.set _ZN7rocprim17ROCPRIM_400000_NS6detail17trampoline_kernelINS0_14default_configENS1_25partition_config_selectorILNS1_17partition_subalgoE8ElNS0_10empty_typeEbEEZZNS1_14partition_implILS5_8ELb0ES3_jPlPS6_PKS6_NS0_5tupleIJS9_S6_EEENSD_IJSA_SA_EEENS0_18inequality_wrapperIZN2at6native12_GLOBAL__N_124unique_dim_cuda_templateIsEESt5tupleIJNSH_6TensorESM_SM_EERKSM_lbbbEUlllE0_EEPmJS6_EEE10hipError_tPvRmT3_T4_T5_T6_T7_T9_mT8_P12ihipStream_tbDpT10_ENKUlT_T0_E_clISt17integral_constantIbLb0EES1C_EEDaS17_S18_EUlS17_E_NS1_11comp_targetILNS1_3genE0ELNS1_11target_archE4294967295ELNS1_3gpuE0ELNS1_3repE0EEENS1_30default_config_static_selectorELNS0_4arch9wavefront6targetE0EEEvT1_.uses_flat_scratch, 0
	.set _ZN7rocprim17ROCPRIM_400000_NS6detail17trampoline_kernelINS0_14default_configENS1_25partition_config_selectorILNS1_17partition_subalgoE8ElNS0_10empty_typeEbEEZZNS1_14partition_implILS5_8ELb0ES3_jPlPS6_PKS6_NS0_5tupleIJS9_S6_EEENSD_IJSA_SA_EEENS0_18inequality_wrapperIZN2at6native12_GLOBAL__N_124unique_dim_cuda_templateIsEESt5tupleIJNSH_6TensorESM_SM_EERKSM_lbbbEUlllE0_EEPmJS6_EEE10hipError_tPvRmT3_T4_T5_T6_T7_T9_mT8_P12ihipStream_tbDpT10_ENKUlT_T0_E_clISt17integral_constantIbLb0EES1C_EEDaS17_S18_EUlS17_E_NS1_11comp_targetILNS1_3genE0ELNS1_11target_archE4294967295ELNS1_3gpuE0ELNS1_3repE0EEENS1_30default_config_static_selectorELNS0_4arch9wavefront6targetE0EEEvT1_.has_dyn_sized_stack, 0
	.set _ZN7rocprim17ROCPRIM_400000_NS6detail17trampoline_kernelINS0_14default_configENS1_25partition_config_selectorILNS1_17partition_subalgoE8ElNS0_10empty_typeEbEEZZNS1_14partition_implILS5_8ELb0ES3_jPlPS6_PKS6_NS0_5tupleIJS9_S6_EEENSD_IJSA_SA_EEENS0_18inequality_wrapperIZN2at6native12_GLOBAL__N_124unique_dim_cuda_templateIsEESt5tupleIJNSH_6TensorESM_SM_EERKSM_lbbbEUlllE0_EEPmJS6_EEE10hipError_tPvRmT3_T4_T5_T6_T7_T9_mT8_P12ihipStream_tbDpT10_ENKUlT_T0_E_clISt17integral_constantIbLb0EES1C_EEDaS17_S18_EUlS17_E_NS1_11comp_targetILNS1_3genE0ELNS1_11target_archE4294967295ELNS1_3gpuE0ELNS1_3repE0EEENS1_30default_config_static_selectorELNS0_4arch9wavefront6targetE0EEEvT1_.has_recursion, 0
	.set _ZN7rocprim17ROCPRIM_400000_NS6detail17trampoline_kernelINS0_14default_configENS1_25partition_config_selectorILNS1_17partition_subalgoE8ElNS0_10empty_typeEbEEZZNS1_14partition_implILS5_8ELb0ES3_jPlPS6_PKS6_NS0_5tupleIJS9_S6_EEENSD_IJSA_SA_EEENS0_18inequality_wrapperIZN2at6native12_GLOBAL__N_124unique_dim_cuda_templateIsEESt5tupleIJNSH_6TensorESM_SM_EERKSM_lbbbEUlllE0_EEPmJS6_EEE10hipError_tPvRmT3_T4_T5_T6_T7_T9_mT8_P12ihipStream_tbDpT10_ENKUlT_T0_E_clISt17integral_constantIbLb0EES1C_EEDaS17_S18_EUlS17_E_NS1_11comp_targetILNS1_3genE0ELNS1_11target_archE4294967295ELNS1_3gpuE0ELNS1_3repE0EEENS1_30default_config_static_selectorELNS0_4arch9wavefront6targetE0EEEvT1_.has_indirect_call, 0
	.section	.AMDGPU.csdata,"",@progbits
; Kernel info:
; codeLenInByte = 10408
; TotalNumSgprs: 38
; NumVgprs: 54
; ScratchSize: 0
; MemoryBound: 0
; FloatMode: 240
; IeeeMode: 1
; LDSByteSize: 28680 bytes/workgroup (compile time only)
; SGPRBlocks: 0
; VGPRBlocks: 3
; NumSGPRsForWavesPerEU: 38
; NumVGPRsForWavesPerEU: 54
; NamedBarCnt: 0
; Occupancy: 16
; WaveLimiterHint : 1
; COMPUTE_PGM_RSRC2:SCRATCH_EN: 0
; COMPUTE_PGM_RSRC2:USER_SGPR: 2
; COMPUTE_PGM_RSRC2:TRAP_HANDLER: 0
; COMPUTE_PGM_RSRC2:TGID_X_EN: 1
; COMPUTE_PGM_RSRC2:TGID_Y_EN: 0
; COMPUTE_PGM_RSRC2:TGID_Z_EN: 0
; COMPUTE_PGM_RSRC2:TIDIG_COMP_CNT: 0
	.section	.text._ZN7rocprim17ROCPRIM_400000_NS6detail17trampoline_kernelINS0_14default_configENS1_25partition_config_selectorILNS1_17partition_subalgoE8ElNS0_10empty_typeEbEEZZNS1_14partition_implILS5_8ELb0ES3_jPlPS6_PKS6_NS0_5tupleIJS9_S6_EEENSD_IJSA_SA_EEENS0_18inequality_wrapperIZN2at6native12_GLOBAL__N_124unique_dim_cuda_templateIsEESt5tupleIJNSH_6TensorESM_SM_EERKSM_lbbbEUlllE0_EEPmJS6_EEE10hipError_tPvRmT3_T4_T5_T6_T7_T9_mT8_P12ihipStream_tbDpT10_ENKUlT_T0_E_clISt17integral_constantIbLb0EES1C_EEDaS17_S18_EUlS17_E_NS1_11comp_targetILNS1_3genE5ELNS1_11target_archE942ELNS1_3gpuE9ELNS1_3repE0EEENS1_30default_config_static_selectorELNS0_4arch9wavefront6targetE0EEEvT1_,"axG",@progbits,_ZN7rocprim17ROCPRIM_400000_NS6detail17trampoline_kernelINS0_14default_configENS1_25partition_config_selectorILNS1_17partition_subalgoE8ElNS0_10empty_typeEbEEZZNS1_14partition_implILS5_8ELb0ES3_jPlPS6_PKS6_NS0_5tupleIJS9_S6_EEENSD_IJSA_SA_EEENS0_18inequality_wrapperIZN2at6native12_GLOBAL__N_124unique_dim_cuda_templateIsEESt5tupleIJNSH_6TensorESM_SM_EERKSM_lbbbEUlllE0_EEPmJS6_EEE10hipError_tPvRmT3_T4_T5_T6_T7_T9_mT8_P12ihipStream_tbDpT10_ENKUlT_T0_E_clISt17integral_constantIbLb0EES1C_EEDaS17_S18_EUlS17_E_NS1_11comp_targetILNS1_3genE5ELNS1_11target_archE942ELNS1_3gpuE9ELNS1_3repE0EEENS1_30default_config_static_selectorELNS0_4arch9wavefront6targetE0EEEvT1_,comdat
	.globl	_ZN7rocprim17ROCPRIM_400000_NS6detail17trampoline_kernelINS0_14default_configENS1_25partition_config_selectorILNS1_17partition_subalgoE8ElNS0_10empty_typeEbEEZZNS1_14partition_implILS5_8ELb0ES3_jPlPS6_PKS6_NS0_5tupleIJS9_S6_EEENSD_IJSA_SA_EEENS0_18inequality_wrapperIZN2at6native12_GLOBAL__N_124unique_dim_cuda_templateIsEESt5tupleIJNSH_6TensorESM_SM_EERKSM_lbbbEUlllE0_EEPmJS6_EEE10hipError_tPvRmT3_T4_T5_T6_T7_T9_mT8_P12ihipStream_tbDpT10_ENKUlT_T0_E_clISt17integral_constantIbLb0EES1C_EEDaS17_S18_EUlS17_E_NS1_11comp_targetILNS1_3genE5ELNS1_11target_archE942ELNS1_3gpuE9ELNS1_3repE0EEENS1_30default_config_static_selectorELNS0_4arch9wavefront6targetE0EEEvT1_ ; -- Begin function _ZN7rocprim17ROCPRIM_400000_NS6detail17trampoline_kernelINS0_14default_configENS1_25partition_config_selectorILNS1_17partition_subalgoE8ElNS0_10empty_typeEbEEZZNS1_14partition_implILS5_8ELb0ES3_jPlPS6_PKS6_NS0_5tupleIJS9_S6_EEENSD_IJSA_SA_EEENS0_18inequality_wrapperIZN2at6native12_GLOBAL__N_124unique_dim_cuda_templateIsEESt5tupleIJNSH_6TensorESM_SM_EERKSM_lbbbEUlllE0_EEPmJS6_EEE10hipError_tPvRmT3_T4_T5_T6_T7_T9_mT8_P12ihipStream_tbDpT10_ENKUlT_T0_E_clISt17integral_constantIbLb0EES1C_EEDaS17_S18_EUlS17_E_NS1_11comp_targetILNS1_3genE5ELNS1_11target_archE942ELNS1_3gpuE9ELNS1_3repE0EEENS1_30default_config_static_selectorELNS0_4arch9wavefront6targetE0EEEvT1_
	.p2align	8
	.type	_ZN7rocprim17ROCPRIM_400000_NS6detail17trampoline_kernelINS0_14default_configENS1_25partition_config_selectorILNS1_17partition_subalgoE8ElNS0_10empty_typeEbEEZZNS1_14partition_implILS5_8ELb0ES3_jPlPS6_PKS6_NS0_5tupleIJS9_S6_EEENSD_IJSA_SA_EEENS0_18inequality_wrapperIZN2at6native12_GLOBAL__N_124unique_dim_cuda_templateIsEESt5tupleIJNSH_6TensorESM_SM_EERKSM_lbbbEUlllE0_EEPmJS6_EEE10hipError_tPvRmT3_T4_T5_T6_T7_T9_mT8_P12ihipStream_tbDpT10_ENKUlT_T0_E_clISt17integral_constantIbLb0EES1C_EEDaS17_S18_EUlS17_E_NS1_11comp_targetILNS1_3genE5ELNS1_11target_archE942ELNS1_3gpuE9ELNS1_3repE0EEENS1_30default_config_static_selectorELNS0_4arch9wavefront6targetE0EEEvT1_,@function
_ZN7rocprim17ROCPRIM_400000_NS6detail17trampoline_kernelINS0_14default_configENS1_25partition_config_selectorILNS1_17partition_subalgoE8ElNS0_10empty_typeEbEEZZNS1_14partition_implILS5_8ELb0ES3_jPlPS6_PKS6_NS0_5tupleIJS9_S6_EEENSD_IJSA_SA_EEENS0_18inequality_wrapperIZN2at6native12_GLOBAL__N_124unique_dim_cuda_templateIsEESt5tupleIJNSH_6TensorESM_SM_EERKSM_lbbbEUlllE0_EEPmJS6_EEE10hipError_tPvRmT3_T4_T5_T6_T7_T9_mT8_P12ihipStream_tbDpT10_ENKUlT_T0_E_clISt17integral_constantIbLb0EES1C_EEDaS17_S18_EUlS17_E_NS1_11comp_targetILNS1_3genE5ELNS1_11target_archE942ELNS1_3gpuE9ELNS1_3repE0EEENS1_30default_config_static_selectorELNS0_4arch9wavefront6targetE0EEEvT1_: ; @_ZN7rocprim17ROCPRIM_400000_NS6detail17trampoline_kernelINS0_14default_configENS1_25partition_config_selectorILNS1_17partition_subalgoE8ElNS0_10empty_typeEbEEZZNS1_14partition_implILS5_8ELb0ES3_jPlPS6_PKS6_NS0_5tupleIJS9_S6_EEENSD_IJSA_SA_EEENS0_18inequality_wrapperIZN2at6native12_GLOBAL__N_124unique_dim_cuda_templateIsEESt5tupleIJNSH_6TensorESM_SM_EERKSM_lbbbEUlllE0_EEPmJS6_EEE10hipError_tPvRmT3_T4_T5_T6_T7_T9_mT8_P12ihipStream_tbDpT10_ENKUlT_T0_E_clISt17integral_constantIbLb0EES1C_EEDaS17_S18_EUlS17_E_NS1_11comp_targetILNS1_3genE5ELNS1_11target_archE942ELNS1_3gpuE9ELNS1_3repE0EEENS1_30default_config_static_selectorELNS0_4arch9wavefront6targetE0EEEvT1_
; %bb.0:
	.section	.rodata,"a",@progbits
	.p2align	6, 0x0
	.amdhsa_kernel _ZN7rocprim17ROCPRIM_400000_NS6detail17trampoline_kernelINS0_14default_configENS1_25partition_config_selectorILNS1_17partition_subalgoE8ElNS0_10empty_typeEbEEZZNS1_14partition_implILS5_8ELb0ES3_jPlPS6_PKS6_NS0_5tupleIJS9_S6_EEENSD_IJSA_SA_EEENS0_18inequality_wrapperIZN2at6native12_GLOBAL__N_124unique_dim_cuda_templateIsEESt5tupleIJNSH_6TensorESM_SM_EERKSM_lbbbEUlllE0_EEPmJS6_EEE10hipError_tPvRmT3_T4_T5_T6_T7_T9_mT8_P12ihipStream_tbDpT10_ENKUlT_T0_E_clISt17integral_constantIbLb0EES1C_EEDaS17_S18_EUlS17_E_NS1_11comp_targetILNS1_3genE5ELNS1_11target_archE942ELNS1_3gpuE9ELNS1_3repE0EEENS1_30default_config_static_selectorELNS0_4arch9wavefront6targetE0EEEvT1_
		.amdhsa_group_segment_fixed_size 0
		.amdhsa_private_segment_fixed_size 0
		.amdhsa_kernarg_size 120
		.amdhsa_user_sgpr_count 2
		.amdhsa_user_sgpr_dispatch_ptr 0
		.amdhsa_user_sgpr_queue_ptr 0
		.amdhsa_user_sgpr_kernarg_segment_ptr 1
		.amdhsa_user_sgpr_dispatch_id 0
		.amdhsa_user_sgpr_kernarg_preload_length 0
		.amdhsa_user_sgpr_kernarg_preload_offset 0
		.amdhsa_user_sgpr_private_segment_size 0
		.amdhsa_wavefront_size32 1
		.amdhsa_uses_dynamic_stack 0
		.amdhsa_enable_private_segment 0
		.amdhsa_system_sgpr_workgroup_id_x 1
		.amdhsa_system_sgpr_workgroup_id_y 0
		.amdhsa_system_sgpr_workgroup_id_z 0
		.amdhsa_system_sgpr_workgroup_info 0
		.amdhsa_system_vgpr_workitem_id 0
		.amdhsa_next_free_vgpr 1
		.amdhsa_next_free_sgpr 1
		.amdhsa_named_barrier_count 0
		.amdhsa_reserve_vcc 0
		.amdhsa_float_round_mode_32 0
		.amdhsa_float_round_mode_16_64 0
		.amdhsa_float_denorm_mode_32 3
		.amdhsa_float_denorm_mode_16_64 3
		.amdhsa_fp16_overflow 0
		.amdhsa_memory_ordered 1
		.amdhsa_forward_progress 1
		.amdhsa_inst_pref_size 0
		.amdhsa_round_robin_scheduling 0
		.amdhsa_exception_fp_ieee_invalid_op 0
		.amdhsa_exception_fp_denorm_src 0
		.amdhsa_exception_fp_ieee_div_zero 0
		.amdhsa_exception_fp_ieee_overflow 0
		.amdhsa_exception_fp_ieee_underflow 0
		.amdhsa_exception_fp_ieee_inexact 0
		.amdhsa_exception_int_div_zero 0
	.end_amdhsa_kernel
	.section	.text._ZN7rocprim17ROCPRIM_400000_NS6detail17trampoline_kernelINS0_14default_configENS1_25partition_config_selectorILNS1_17partition_subalgoE8ElNS0_10empty_typeEbEEZZNS1_14partition_implILS5_8ELb0ES3_jPlPS6_PKS6_NS0_5tupleIJS9_S6_EEENSD_IJSA_SA_EEENS0_18inequality_wrapperIZN2at6native12_GLOBAL__N_124unique_dim_cuda_templateIsEESt5tupleIJNSH_6TensorESM_SM_EERKSM_lbbbEUlllE0_EEPmJS6_EEE10hipError_tPvRmT3_T4_T5_T6_T7_T9_mT8_P12ihipStream_tbDpT10_ENKUlT_T0_E_clISt17integral_constantIbLb0EES1C_EEDaS17_S18_EUlS17_E_NS1_11comp_targetILNS1_3genE5ELNS1_11target_archE942ELNS1_3gpuE9ELNS1_3repE0EEENS1_30default_config_static_selectorELNS0_4arch9wavefront6targetE0EEEvT1_,"axG",@progbits,_ZN7rocprim17ROCPRIM_400000_NS6detail17trampoline_kernelINS0_14default_configENS1_25partition_config_selectorILNS1_17partition_subalgoE8ElNS0_10empty_typeEbEEZZNS1_14partition_implILS5_8ELb0ES3_jPlPS6_PKS6_NS0_5tupleIJS9_S6_EEENSD_IJSA_SA_EEENS0_18inequality_wrapperIZN2at6native12_GLOBAL__N_124unique_dim_cuda_templateIsEESt5tupleIJNSH_6TensorESM_SM_EERKSM_lbbbEUlllE0_EEPmJS6_EEE10hipError_tPvRmT3_T4_T5_T6_T7_T9_mT8_P12ihipStream_tbDpT10_ENKUlT_T0_E_clISt17integral_constantIbLb0EES1C_EEDaS17_S18_EUlS17_E_NS1_11comp_targetILNS1_3genE5ELNS1_11target_archE942ELNS1_3gpuE9ELNS1_3repE0EEENS1_30default_config_static_selectorELNS0_4arch9wavefront6targetE0EEEvT1_,comdat
.Lfunc_end686:
	.size	_ZN7rocprim17ROCPRIM_400000_NS6detail17trampoline_kernelINS0_14default_configENS1_25partition_config_selectorILNS1_17partition_subalgoE8ElNS0_10empty_typeEbEEZZNS1_14partition_implILS5_8ELb0ES3_jPlPS6_PKS6_NS0_5tupleIJS9_S6_EEENSD_IJSA_SA_EEENS0_18inequality_wrapperIZN2at6native12_GLOBAL__N_124unique_dim_cuda_templateIsEESt5tupleIJNSH_6TensorESM_SM_EERKSM_lbbbEUlllE0_EEPmJS6_EEE10hipError_tPvRmT3_T4_T5_T6_T7_T9_mT8_P12ihipStream_tbDpT10_ENKUlT_T0_E_clISt17integral_constantIbLb0EES1C_EEDaS17_S18_EUlS17_E_NS1_11comp_targetILNS1_3genE5ELNS1_11target_archE942ELNS1_3gpuE9ELNS1_3repE0EEENS1_30default_config_static_selectorELNS0_4arch9wavefront6targetE0EEEvT1_, .Lfunc_end686-_ZN7rocprim17ROCPRIM_400000_NS6detail17trampoline_kernelINS0_14default_configENS1_25partition_config_selectorILNS1_17partition_subalgoE8ElNS0_10empty_typeEbEEZZNS1_14partition_implILS5_8ELb0ES3_jPlPS6_PKS6_NS0_5tupleIJS9_S6_EEENSD_IJSA_SA_EEENS0_18inequality_wrapperIZN2at6native12_GLOBAL__N_124unique_dim_cuda_templateIsEESt5tupleIJNSH_6TensorESM_SM_EERKSM_lbbbEUlllE0_EEPmJS6_EEE10hipError_tPvRmT3_T4_T5_T6_T7_T9_mT8_P12ihipStream_tbDpT10_ENKUlT_T0_E_clISt17integral_constantIbLb0EES1C_EEDaS17_S18_EUlS17_E_NS1_11comp_targetILNS1_3genE5ELNS1_11target_archE942ELNS1_3gpuE9ELNS1_3repE0EEENS1_30default_config_static_selectorELNS0_4arch9wavefront6targetE0EEEvT1_
                                        ; -- End function
	.set _ZN7rocprim17ROCPRIM_400000_NS6detail17trampoline_kernelINS0_14default_configENS1_25partition_config_selectorILNS1_17partition_subalgoE8ElNS0_10empty_typeEbEEZZNS1_14partition_implILS5_8ELb0ES3_jPlPS6_PKS6_NS0_5tupleIJS9_S6_EEENSD_IJSA_SA_EEENS0_18inequality_wrapperIZN2at6native12_GLOBAL__N_124unique_dim_cuda_templateIsEESt5tupleIJNSH_6TensorESM_SM_EERKSM_lbbbEUlllE0_EEPmJS6_EEE10hipError_tPvRmT3_T4_T5_T6_T7_T9_mT8_P12ihipStream_tbDpT10_ENKUlT_T0_E_clISt17integral_constantIbLb0EES1C_EEDaS17_S18_EUlS17_E_NS1_11comp_targetILNS1_3genE5ELNS1_11target_archE942ELNS1_3gpuE9ELNS1_3repE0EEENS1_30default_config_static_selectorELNS0_4arch9wavefront6targetE0EEEvT1_.num_vgpr, 0
	.set _ZN7rocprim17ROCPRIM_400000_NS6detail17trampoline_kernelINS0_14default_configENS1_25partition_config_selectorILNS1_17partition_subalgoE8ElNS0_10empty_typeEbEEZZNS1_14partition_implILS5_8ELb0ES3_jPlPS6_PKS6_NS0_5tupleIJS9_S6_EEENSD_IJSA_SA_EEENS0_18inequality_wrapperIZN2at6native12_GLOBAL__N_124unique_dim_cuda_templateIsEESt5tupleIJNSH_6TensorESM_SM_EERKSM_lbbbEUlllE0_EEPmJS6_EEE10hipError_tPvRmT3_T4_T5_T6_T7_T9_mT8_P12ihipStream_tbDpT10_ENKUlT_T0_E_clISt17integral_constantIbLb0EES1C_EEDaS17_S18_EUlS17_E_NS1_11comp_targetILNS1_3genE5ELNS1_11target_archE942ELNS1_3gpuE9ELNS1_3repE0EEENS1_30default_config_static_selectorELNS0_4arch9wavefront6targetE0EEEvT1_.num_agpr, 0
	.set _ZN7rocprim17ROCPRIM_400000_NS6detail17trampoline_kernelINS0_14default_configENS1_25partition_config_selectorILNS1_17partition_subalgoE8ElNS0_10empty_typeEbEEZZNS1_14partition_implILS5_8ELb0ES3_jPlPS6_PKS6_NS0_5tupleIJS9_S6_EEENSD_IJSA_SA_EEENS0_18inequality_wrapperIZN2at6native12_GLOBAL__N_124unique_dim_cuda_templateIsEESt5tupleIJNSH_6TensorESM_SM_EERKSM_lbbbEUlllE0_EEPmJS6_EEE10hipError_tPvRmT3_T4_T5_T6_T7_T9_mT8_P12ihipStream_tbDpT10_ENKUlT_T0_E_clISt17integral_constantIbLb0EES1C_EEDaS17_S18_EUlS17_E_NS1_11comp_targetILNS1_3genE5ELNS1_11target_archE942ELNS1_3gpuE9ELNS1_3repE0EEENS1_30default_config_static_selectorELNS0_4arch9wavefront6targetE0EEEvT1_.numbered_sgpr, 0
	.set _ZN7rocprim17ROCPRIM_400000_NS6detail17trampoline_kernelINS0_14default_configENS1_25partition_config_selectorILNS1_17partition_subalgoE8ElNS0_10empty_typeEbEEZZNS1_14partition_implILS5_8ELb0ES3_jPlPS6_PKS6_NS0_5tupleIJS9_S6_EEENSD_IJSA_SA_EEENS0_18inequality_wrapperIZN2at6native12_GLOBAL__N_124unique_dim_cuda_templateIsEESt5tupleIJNSH_6TensorESM_SM_EERKSM_lbbbEUlllE0_EEPmJS6_EEE10hipError_tPvRmT3_T4_T5_T6_T7_T9_mT8_P12ihipStream_tbDpT10_ENKUlT_T0_E_clISt17integral_constantIbLb0EES1C_EEDaS17_S18_EUlS17_E_NS1_11comp_targetILNS1_3genE5ELNS1_11target_archE942ELNS1_3gpuE9ELNS1_3repE0EEENS1_30default_config_static_selectorELNS0_4arch9wavefront6targetE0EEEvT1_.num_named_barrier, 0
	.set _ZN7rocprim17ROCPRIM_400000_NS6detail17trampoline_kernelINS0_14default_configENS1_25partition_config_selectorILNS1_17partition_subalgoE8ElNS0_10empty_typeEbEEZZNS1_14partition_implILS5_8ELb0ES3_jPlPS6_PKS6_NS0_5tupleIJS9_S6_EEENSD_IJSA_SA_EEENS0_18inequality_wrapperIZN2at6native12_GLOBAL__N_124unique_dim_cuda_templateIsEESt5tupleIJNSH_6TensorESM_SM_EERKSM_lbbbEUlllE0_EEPmJS6_EEE10hipError_tPvRmT3_T4_T5_T6_T7_T9_mT8_P12ihipStream_tbDpT10_ENKUlT_T0_E_clISt17integral_constantIbLb0EES1C_EEDaS17_S18_EUlS17_E_NS1_11comp_targetILNS1_3genE5ELNS1_11target_archE942ELNS1_3gpuE9ELNS1_3repE0EEENS1_30default_config_static_selectorELNS0_4arch9wavefront6targetE0EEEvT1_.private_seg_size, 0
	.set _ZN7rocprim17ROCPRIM_400000_NS6detail17trampoline_kernelINS0_14default_configENS1_25partition_config_selectorILNS1_17partition_subalgoE8ElNS0_10empty_typeEbEEZZNS1_14partition_implILS5_8ELb0ES3_jPlPS6_PKS6_NS0_5tupleIJS9_S6_EEENSD_IJSA_SA_EEENS0_18inequality_wrapperIZN2at6native12_GLOBAL__N_124unique_dim_cuda_templateIsEESt5tupleIJNSH_6TensorESM_SM_EERKSM_lbbbEUlllE0_EEPmJS6_EEE10hipError_tPvRmT3_T4_T5_T6_T7_T9_mT8_P12ihipStream_tbDpT10_ENKUlT_T0_E_clISt17integral_constantIbLb0EES1C_EEDaS17_S18_EUlS17_E_NS1_11comp_targetILNS1_3genE5ELNS1_11target_archE942ELNS1_3gpuE9ELNS1_3repE0EEENS1_30default_config_static_selectorELNS0_4arch9wavefront6targetE0EEEvT1_.uses_vcc, 0
	.set _ZN7rocprim17ROCPRIM_400000_NS6detail17trampoline_kernelINS0_14default_configENS1_25partition_config_selectorILNS1_17partition_subalgoE8ElNS0_10empty_typeEbEEZZNS1_14partition_implILS5_8ELb0ES3_jPlPS6_PKS6_NS0_5tupleIJS9_S6_EEENSD_IJSA_SA_EEENS0_18inequality_wrapperIZN2at6native12_GLOBAL__N_124unique_dim_cuda_templateIsEESt5tupleIJNSH_6TensorESM_SM_EERKSM_lbbbEUlllE0_EEPmJS6_EEE10hipError_tPvRmT3_T4_T5_T6_T7_T9_mT8_P12ihipStream_tbDpT10_ENKUlT_T0_E_clISt17integral_constantIbLb0EES1C_EEDaS17_S18_EUlS17_E_NS1_11comp_targetILNS1_3genE5ELNS1_11target_archE942ELNS1_3gpuE9ELNS1_3repE0EEENS1_30default_config_static_selectorELNS0_4arch9wavefront6targetE0EEEvT1_.uses_flat_scratch, 0
	.set _ZN7rocprim17ROCPRIM_400000_NS6detail17trampoline_kernelINS0_14default_configENS1_25partition_config_selectorILNS1_17partition_subalgoE8ElNS0_10empty_typeEbEEZZNS1_14partition_implILS5_8ELb0ES3_jPlPS6_PKS6_NS0_5tupleIJS9_S6_EEENSD_IJSA_SA_EEENS0_18inequality_wrapperIZN2at6native12_GLOBAL__N_124unique_dim_cuda_templateIsEESt5tupleIJNSH_6TensorESM_SM_EERKSM_lbbbEUlllE0_EEPmJS6_EEE10hipError_tPvRmT3_T4_T5_T6_T7_T9_mT8_P12ihipStream_tbDpT10_ENKUlT_T0_E_clISt17integral_constantIbLb0EES1C_EEDaS17_S18_EUlS17_E_NS1_11comp_targetILNS1_3genE5ELNS1_11target_archE942ELNS1_3gpuE9ELNS1_3repE0EEENS1_30default_config_static_selectorELNS0_4arch9wavefront6targetE0EEEvT1_.has_dyn_sized_stack, 0
	.set _ZN7rocprim17ROCPRIM_400000_NS6detail17trampoline_kernelINS0_14default_configENS1_25partition_config_selectorILNS1_17partition_subalgoE8ElNS0_10empty_typeEbEEZZNS1_14partition_implILS5_8ELb0ES3_jPlPS6_PKS6_NS0_5tupleIJS9_S6_EEENSD_IJSA_SA_EEENS0_18inequality_wrapperIZN2at6native12_GLOBAL__N_124unique_dim_cuda_templateIsEESt5tupleIJNSH_6TensorESM_SM_EERKSM_lbbbEUlllE0_EEPmJS6_EEE10hipError_tPvRmT3_T4_T5_T6_T7_T9_mT8_P12ihipStream_tbDpT10_ENKUlT_T0_E_clISt17integral_constantIbLb0EES1C_EEDaS17_S18_EUlS17_E_NS1_11comp_targetILNS1_3genE5ELNS1_11target_archE942ELNS1_3gpuE9ELNS1_3repE0EEENS1_30default_config_static_selectorELNS0_4arch9wavefront6targetE0EEEvT1_.has_recursion, 0
	.set _ZN7rocprim17ROCPRIM_400000_NS6detail17trampoline_kernelINS0_14default_configENS1_25partition_config_selectorILNS1_17partition_subalgoE8ElNS0_10empty_typeEbEEZZNS1_14partition_implILS5_8ELb0ES3_jPlPS6_PKS6_NS0_5tupleIJS9_S6_EEENSD_IJSA_SA_EEENS0_18inequality_wrapperIZN2at6native12_GLOBAL__N_124unique_dim_cuda_templateIsEESt5tupleIJNSH_6TensorESM_SM_EERKSM_lbbbEUlllE0_EEPmJS6_EEE10hipError_tPvRmT3_T4_T5_T6_T7_T9_mT8_P12ihipStream_tbDpT10_ENKUlT_T0_E_clISt17integral_constantIbLb0EES1C_EEDaS17_S18_EUlS17_E_NS1_11comp_targetILNS1_3genE5ELNS1_11target_archE942ELNS1_3gpuE9ELNS1_3repE0EEENS1_30default_config_static_selectorELNS0_4arch9wavefront6targetE0EEEvT1_.has_indirect_call, 0
	.section	.AMDGPU.csdata,"",@progbits
; Kernel info:
; codeLenInByte = 0
; TotalNumSgprs: 0
; NumVgprs: 0
; ScratchSize: 0
; MemoryBound: 0
; FloatMode: 240
; IeeeMode: 1
; LDSByteSize: 0 bytes/workgroup (compile time only)
; SGPRBlocks: 0
; VGPRBlocks: 0
; NumSGPRsForWavesPerEU: 1
; NumVGPRsForWavesPerEU: 1
; NamedBarCnt: 0
; Occupancy: 16
; WaveLimiterHint : 0
; COMPUTE_PGM_RSRC2:SCRATCH_EN: 0
; COMPUTE_PGM_RSRC2:USER_SGPR: 2
; COMPUTE_PGM_RSRC2:TRAP_HANDLER: 0
; COMPUTE_PGM_RSRC2:TGID_X_EN: 1
; COMPUTE_PGM_RSRC2:TGID_Y_EN: 0
; COMPUTE_PGM_RSRC2:TGID_Z_EN: 0
; COMPUTE_PGM_RSRC2:TIDIG_COMP_CNT: 0
	.section	.text._ZN7rocprim17ROCPRIM_400000_NS6detail17trampoline_kernelINS0_14default_configENS1_25partition_config_selectorILNS1_17partition_subalgoE8ElNS0_10empty_typeEbEEZZNS1_14partition_implILS5_8ELb0ES3_jPlPS6_PKS6_NS0_5tupleIJS9_S6_EEENSD_IJSA_SA_EEENS0_18inequality_wrapperIZN2at6native12_GLOBAL__N_124unique_dim_cuda_templateIsEESt5tupleIJNSH_6TensorESM_SM_EERKSM_lbbbEUlllE0_EEPmJS6_EEE10hipError_tPvRmT3_T4_T5_T6_T7_T9_mT8_P12ihipStream_tbDpT10_ENKUlT_T0_E_clISt17integral_constantIbLb0EES1C_EEDaS17_S18_EUlS17_E_NS1_11comp_targetILNS1_3genE4ELNS1_11target_archE910ELNS1_3gpuE8ELNS1_3repE0EEENS1_30default_config_static_selectorELNS0_4arch9wavefront6targetE0EEEvT1_,"axG",@progbits,_ZN7rocprim17ROCPRIM_400000_NS6detail17trampoline_kernelINS0_14default_configENS1_25partition_config_selectorILNS1_17partition_subalgoE8ElNS0_10empty_typeEbEEZZNS1_14partition_implILS5_8ELb0ES3_jPlPS6_PKS6_NS0_5tupleIJS9_S6_EEENSD_IJSA_SA_EEENS0_18inequality_wrapperIZN2at6native12_GLOBAL__N_124unique_dim_cuda_templateIsEESt5tupleIJNSH_6TensorESM_SM_EERKSM_lbbbEUlllE0_EEPmJS6_EEE10hipError_tPvRmT3_T4_T5_T6_T7_T9_mT8_P12ihipStream_tbDpT10_ENKUlT_T0_E_clISt17integral_constantIbLb0EES1C_EEDaS17_S18_EUlS17_E_NS1_11comp_targetILNS1_3genE4ELNS1_11target_archE910ELNS1_3gpuE8ELNS1_3repE0EEENS1_30default_config_static_selectorELNS0_4arch9wavefront6targetE0EEEvT1_,comdat
	.globl	_ZN7rocprim17ROCPRIM_400000_NS6detail17trampoline_kernelINS0_14default_configENS1_25partition_config_selectorILNS1_17partition_subalgoE8ElNS0_10empty_typeEbEEZZNS1_14partition_implILS5_8ELb0ES3_jPlPS6_PKS6_NS0_5tupleIJS9_S6_EEENSD_IJSA_SA_EEENS0_18inequality_wrapperIZN2at6native12_GLOBAL__N_124unique_dim_cuda_templateIsEESt5tupleIJNSH_6TensorESM_SM_EERKSM_lbbbEUlllE0_EEPmJS6_EEE10hipError_tPvRmT3_T4_T5_T6_T7_T9_mT8_P12ihipStream_tbDpT10_ENKUlT_T0_E_clISt17integral_constantIbLb0EES1C_EEDaS17_S18_EUlS17_E_NS1_11comp_targetILNS1_3genE4ELNS1_11target_archE910ELNS1_3gpuE8ELNS1_3repE0EEENS1_30default_config_static_selectorELNS0_4arch9wavefront6targetE0EEEvT1_ ; -- Begin function _ZN7rocprim17ROCPRIM_400000_NS6detail17trampoline_kernelINS0_14default_configENS1_25partition_config_selectorILNS1_17partition_subalgoE8ElNS0_10empty_typeEbEEZZNS1_14partition_implILS5_8ELb0ES3_jPlPS6_PKS6_NS0_5tupleIJS9_S6_EEENSD_IJSA_SA_EEENS0_18inequality_wrapperIZN2at6native12_GLOBAL__N_124unique_dim_cuda_templateIsEESt5tupleIJNSH_6TensorESM_SM_EERKSM_lbbbEUlllE0_EEPmJS6_EEE10hipError_tPvRmT3_T4_T5_T6_T7_T9_mT8_P12ihipStream_tbDpT10_ENKUlT_T0_E_clISt17integral_constantIbLb0EES1C_EEDaS17_S18_EUlS17_E_NS1_11comp_targetILNS1_3genE4ELNS1_11target_archE910ELNS1_3gpuE8ELNS1_3repE0EEENS1_30default_config_static_selectorELNS0_4arch9wavefront6targetE0EEEvT1_
	.p2align	8
	.type	_ZN7rocprim17ROCPRIM_400000_NS6detail17trampoline_kernelINS0_14default_configENS1_25partition_config_selectorILNS1_17partition_subalgoE8ElNS0_10empty_typeEbEEZZNS1_14partition_implILS5_8ELb0ES3_jPlPS6_PKS6_NS0_5tupleIJS9_S6_EEENSD_IJSA_SA_EEENS0_18inequality_wrapperIZN2at6native12_GLOBAL__N_124unique_dim_cuda_templateIsEESt5tupleIJNSH_6TensorESM_SM_EERKSM_lbbbEUlllE0_EEPmJS6_EEE10hipError_tPvRmT3_T4_T5_T6_T7_T9_mT8_P12ihipStream_tbDpT10_ENKUlT_T0_E_clISt17integral_constantIbLb0EES1C_EEDaS17_S18_EUlS17_E_NS1_11comp_targetILNS1_3genE4ELNS1_11target_archE910ELNS1_3gpuE8ELNS1_3repE0EEENS1_30default_config_static_selectorELNS0_4arch9wavefront6targetE0EEEvT1_,@function
_ZN7rocprim17ROCPRIM_400000_NS6detail17trampoline_kernelINS0_14default_configENS1_25partition_config_selectorILNS1_17partition_subalgoE8ElNS0_10empty_typeEbEEZZNS1_14partition_implILS5_8ELb0ES3_jPlPS6_PKS6_NS0_5tupleIJS9_S6_EEENSD_IJSA_SA_EEENS0_18inequality_wrapperIZN2at6native12_GLOBAL__N_124unique_dim_cuda_templateIsEESt5tupleIJNSH_6TensorESM_SM_EERKSM_lbbbEUlllE0_EEPmJS6_EEE10hipError_tPvRmT3_T4_T5_T6_T7_T9_mT8_P12ihipStream_tbDpT10_ENKUlT_T0_E_clISt17integral_constantIbLb0EES1C_EEDaS17_S18_EUlS17_E_NS1_11comp_targetILNS1_3genE4ELNS1_11target_archE910ELNS1_3gpuE8ELNS1_3repE0EEENS1_30default_config_static_selectorELNS0_4arch9wavefront6targetE0EEEvT1_: ; @_ZN7rocprim17ROCPRIM_400000_NS6detail17trampoline_kernelINS0_14default_configENS1_25partition_config_selectorILNS1_17partition_subalgoE8ElNS0_10empty_typeEbEEZZNS1_14partition_implILS5_8ELb0ES3_jPlPS6_PKS6_NS0_5tupleIJS9_S6_EEENSD_IJSA_SA_EEENS0_18inequality_wrapperIZN2at6native12_GLOBAL__N_124unique_dim_cuda_templateIsEESt5tupleIJNSH_6TensorESM_SM_EERKSM_lbbbEUlllE0_EEPmJS6_EEE10hipError_tPvRmT3_T4_T5_T6_T7_T9_mT8_P12ihipStream_tbDpT10_ENKUlT_T0_E_clISt17integral_constantIbLb0EES1C_EEDaS17_S18_EUlS17_E_NS1_11comp_targetILNS1_3genE4ELNS1_11target_archE910ELNS1_3gpuE8ELNS1_3repE0EEENS1_30default_config_static_selectorELNS0_4arch9wavefront6targetE0EEEvT1_
; %bb.0:
	.section	.rodata,"a",@progbits
	.p2align	6, 0x0
	.amdhsa_kernel _ZN7rocprim17ROCPRIM_400000_NS6detail17trampoline_kernelINS0_14default_configENS1_25partition_config_selectorILNS1_17partition_subalgoE8ElNS0_10empty_typeEbEEZZNS1_14partition_implILS5_8ELb0ES3_jPlPS6_PKS6_NS0_5tupleIJS9_S6_EEENSD_IJSA_SA_EEENS0_18inequality_wrapperIZN2at6native12_GLOBAL__N_124unique_dim_cuda_templateIsEESt5tupleIJNSH_6TensorESM_SM_EERKSM_lbbbEUlllE0_EEPmJS6_EEE10hipError_tPvRmT3_T4_T5_T6_T7_T9_mT8_P12ihipStream_tbDpT10_ENKUlT_T0_E_clISt17integral_constantIbLb0EES1C_EEDaS17_S18_EUlS17_E_NS1_11comp_targetILNS1_3genE4ELNS1_11target_archE910ELNS1_3gpuE8ELNS1_3repE0EEENS1_30default_config_static_selectorELNS0_4arch9wavefront6targetE0EEEvT1_
		.amdhsa_group_segment_fixed_size 0
		.amdhsa_private_segment_fixed_size 0
		.amdhsa_kernarg_size 120
		.amdhsa_user_sgpr_count 2
		.amdhsa_user_sgpr_dispatch_ptr 0
		.amdhsa_user_sgpr_queue_ptr 0
		.amdhsa_user_sgpr_kernarg_segment_ptr 1
		.amdhsa_user_sgpr_dispatch_id 0
		.amdhsa_user_sgpr_kernarg_preload_length 0
		.amdhsa_user_sgpr_kernarg_preload_offset 0
		.amdhsa_user_sgpr_private_segment_size 0
		.amdhsa_wavefront_size32 1
		.amdhsa_uses_dynamic_stack 0
		.amdhsa_enable_private_segment 0
		.amdhsa_system_sgpr_workgroup_id_x 1
		.amdhsa_system_sgpr_workgroup_id_y 0
		.amdhsa_system_sgpr_workgroup_id_z 0
		.amdhsa_system_sgpr_workgroup_info 0
		.amdhsa_system_vgpr_workitem_id 0
		.amdhsa_next_free_vgpr 1
		.amdhsa_next_free_sgpr 1
		.amdhsa_named_barrier_count 0
		.amdhsa_reserve_vcc 0
		.amdhsa_float_round_mode_32 0
		.amdhsa_float_round_mode_16_64 0
		.amdhsa_float_denorm_mode_32 3
		.amdhsa_float_denorm_mode_16_64 3
		.amdhsa_fp16_overflow 0
		.amdhsa_memory_ordered 1
		.amdhsa_forward_progress 1
		.amdhsa_inst_pref_size 0
		.amdhsa_round_robin_scheduling 0
		.amdhsa_exception_fp_ieee_invalid_op 0
		.amdhsa_exception_fp_denorm_src 0
		.amdhsa_exception_fp_ieee_div_zero 0
		.amdhsa_exception_fp_ieee_overflow 0
		.amdhsa_exception_fp_ieee_underflow 0
		.amdhsa_exception_fp_ieee_inexact 0
		.amdhsa_exception_int_div_zero 0
	.end_amdhsa_kernel
	.section	.text._ZN7rocprim17ROCPRIM_400000_NS6detail17trampoline_kernelINS0_14default_configENS1_25partition_config_selectorILNS1_17partition_subalgoE8ElNS0_10empty_typeEbEEZZNS1_14partition_implILS5_8ELb0ES3_jPlPS6_PKS6_NS0_5tupleIJS9_S6_EEENSD_IJSA_SA_EEENS0_18inequality_wrapperIZN2at6native12_GLOBAL__N_124unique_dim_cuda_templateIsEESt5tupleIJNSH_6TensorESM_SM_EERKSM_lbbbEUlllE0_EEPmJS6_EEE10hipError_tPvRmT3_T4_T5_T6_T7_T9_mT8_P12ihipStream_tbDpT10_ENKUlT_T0_E_clISt17integral_constantIbLb0EES1C_EEDaS17_S18_EUlS17_E_NS1_11comp_targetILNS1_3genE4ELNS1_11target_archE910ELNS1_3gpuE8ELNS1_3repE0EEENS1_30default_config_static_selectorELNS0_4arch9wavefront6targetE0EEEvT1_,"axG",@progbits,_ZN7rocprim17ROCPRIM_400000_NS6detail17trampoline_kernelINS0_14default_configENS1_25partition_config_selectorILNS1_17partition_subalgoE8ElNS0_10empty_typeEbEEZZNS1_14partition_implILS5_8ELb0ES3_jPlPS6_PKS6_NS0_5tupleIJS9_S6_EEENSD_IJSA_SA_EEENS0_18inequality_wrapperIZN2at6native12_GLOBAL__N_124unique_dim_cuda_templateIsEESt5tupleIJNSH_6TensorESM_SM_EERKSM_lbbbEUlllE0_EEPmJS6_EEE10hipError_tPvRmT3_T4_T5_T6_T7_T9_mT8_P12ihipStream_tbDpT10_ENKUlT_T0_E_clISt17integral_constantIbLb0EES1C_EEDaS17_S18_EUlS17_E_NS1_11comp_targetILNS1_3genE4ELNS1_11target_archE910ELNS1_3gpuE8ELNS1_3repE0EEENS1_30default_config_static_selectorELNS0_4arch9wavefront6targetE0EEEvT1_,comdat
.Lfunc_end687:
	.size	_ZN7rocprim17ROCPRIM_400000_NS6detail17trampoline_kernelINS0_14default_configENS1_25partition_config_selectorILNS1_17partition_subalgoE8ElNS0_10empty_typeEbEEZZNS1_14partition_implILS5_8ELb0ES3_jPlPS6_PKS6_NS0_5tupleIJS9_S6_EEENSD_IJSA_SA_EEENS0_18inequality_wrapperIZN2at6native12_GLOBAL__N_124unique_dim_cuda_templateIsEESt5tupleIJNSH_6TensorESM_SM_EERKSM_lbbbEUlllE0_EEPmJS6_EEE10hipError_tPvRmT3_T4_T5_T6_T7_T9_mT8_P12ihipStream_tbDpT10_ENKUlT_T0_E_clISt17integral_constantIbLb0EES1C_EEDaS17_S18_EUlS17_E_NS1_11comp_targetILNS1_3genE4ELNS1_11target_archE910ELNS1_3gpuE8ELNS1_3repE0EEENS1_30default_config_static_selectorELNS0_4arch9wavefront6targetE0EEEvT1_, .Lfunc_end687-_ZN7rocprim17ROCPRIM_400000_NS6detail17trampoline_kernelINS0_14default_configENS1_25partition_config_selectorILNS1_17partition_subalgoE8ElNS0_10empty_typeEbEEZZNS1_14partition_implILS5_8ELb0ES3_jPlPS6_PKS6_NS0_5tupleIJS9_S6_EEENSD_IJSA_SA_EEENS0_18inequality_wrapperIZN2at6native12_GLOBAL__N_124unique_dim_cuda_templateIsEESt5tupleIJNSH_6TensorESM_SM_EERKSM_lbbbEUlllE0_EEPmJS6_EEE10hipError_tPvRmT3_T4_T5_T6_T7_T9_mT8_P12ihipStream_tbDpT10_ENKUlT_T0_E_clISt17integral_constantIbLb0EES1C_EEDaS17_S18_EUlS17_E_NS1_11comp_targetILNS1_3genE4ELNS1_11target_archE910ELNS1_3gpuE8ELNS1_3repE0EEENS1_30default_config_static_selectorELNS0_4arch9wavefront6targetE0EEEvT1_
                                        ; -- End function
	.set _ZN7rocprim17ROCPRIM_400000_NS6detail17trampoline_kernelINS0_14default_configENS1_25partition_config_selectorILNS1_17partition_subalgoE8ElNS0_10empty_typeEbEEZZNS1_14partition_implILS5_8ELb0ES3_jPlPS6_PKS6_NS0_5tupleIJS9_S6_EEENSD_IJSA_SA_EEENS0_18inequality_wrapperIZN2at6native12_GLOBAL__N_124unique_dim_cuda_templateIsEESt5tupleIJNSH_6TensorESM_SM_EERKSM_lbbbEUlllE0_EEPmJS6_EEE10hipError_tPvRmT3_T4_T5_T6_T7_T9_mT8_P12ihipStream_tbDpT10_ENKUlT_T0_E_clISt17integral_constantIbLb0EES1C_EEDaS17_S18_EUlS17_E_NS1_11comp_targetILNS1_3genE4ELNS1_11target_archE910ELNS1_3gpuE8ELNS1_3repE0EEENS1_30default_config_static_selectorELNS0_4arch9wavefront6targetE0EEEvT1_.num_vgpr, 0
	.set _ZN7rocprim17ROCPRIM_400000_NS6detail17trampoline_kernelINS0_14default_configENS1_25partition_config_selectorILNS1_17partition_subalgoE8ElNS0_10empty_typeEbEEZZNS1_14partition_implILS5_8ELb0ES3_jPlPS6_PKS6_NS0_5tupleIJS9_S6_EEENSD_IJSA_SA_EEENS0_18inequality_wrapperIZN2at6native12_GLOBAL__N_124unique_dim_cuda_templateIsEESt5tupleIJNSH_6TensorESM_SM_EERKSM_lbbbEUlllE0_EEPmJS6_EEE10hipError_tPvRmT3_T4_T5_T6_T7_T9_mT8_P12ihipStream_tbDpT10_ENKUlT_T0_E_clISt17integral_constantIbLb0EES1C_EEDaS17_S18_EUlS17_E_NS1_11comp_targetILNS1_3genE4ELNS1_11target_archE910ELNS1_3gpuE8ELNS1_3repE0EEENS1_30default_config_static_selectorELNS0_4arch9wavefront6targetE0EEEvT1_.num_agpr, 0
	.set _ZN7rocprim17ROCPRIM_400000_NS6detail17trampoline_kernelINS0_14default_configENS1_25partition_config_selectorILNS1_17partition_subalgoE8ElNS0_10empty_typeEbEEZZNS1_14partition_implILS5_8ELb0ES3_jPlPS6_PKS6_NS0_5tupleIJS9_S6_EEENSD_IJSA_SA_EEENS0_18inequality_wrapperIZN2at6native12_GLOBAL__N_124unique_dim_cuda_templateIsEESt5tupleIJNSH_6TensorESM_SM_EERKSM_lbbbEUlllE0_EEPmJS6_EEE10hipError_tPvRmT3_T4_T5_T6_T7_T9_mT8_P12ihipStream_tbDpT10_ENKUlT_T0_E_clISt17integral_constantIbLb0EES1C_EEDaS17_S18_EUlS17_E_NS1_11comp_targetILNS1_3genE4ELNS1_11target_archE910ELNS1_3gpuE8ELNS1_3repE0EEENS1_30default_config_static_selectorELNS0_4arch9wavefront6targetE0EEEvT1_.numbered_sgpr, 0
	.set _ZN7rocprim17ROCPRIM_400000_NS6detail17trampoline_kernelINS0_14default_configENS1_25partition_config_selectorILNS1_17partition_subalgoE8ElNS0_10empty_typeEbEEZZNS1_14partition_implILS5_8ELb0ES3_jPlPS6_PKS6_NS0_5tupleIJS9_S6_EEENSD_IJSA_SA_EEENS0_18inequality_wrapperIZN2at6native12_GLOBAL__N_124unique_dim_cuda_templateIsEESt5tupleIJNSH_6TensorESM_SM_EERKSM_lbbbEUlllE0_EEPmJS6_EEE10hipError_tPvRmT3_T4_T5_T6_T7_T9_mT8_P12ihipStream_tbDpT10_ENKUlT_T0_E_clISt17integral_constantIbLb0EES1C_EEDaS17_S18_EUlS17_E_NS1_11comp_targetILNS1_3genE4ELNS1_11target_archE910ELNS1_3gpuE8ELNS1_3repE0EEENS1_30default_config_static_selectorELNS0_4arch9wavefront6targetE0EEEvT1_.num_named_barrier, 0
	.set _ZN7rocprim17ROCPRIM_400000_NS6detail17trampoline_kernelINS0_14default_configENS1_25partition_config_selectorILNS1_17partition_subalgoE8ElNS0_10empty_typeEbEEZZNS1_14partition_implILS5_8ELb0ES3_jPlPS6_PKS6_NS0_5tupleIJS9_S6_EEENSD_IJSA_SA_EEENS0_18inequality_wrapperIZN2at6native12_GLOBAL__N_124unique_dim_cuda_templateIsEESt5tupleIJNSH_6TensorESM_SM_EERKSM_lbbbEUlllE0_EEPmJS6_EEE10hipError_tPvRmT3_T4_T5_T6_T7_T9_mT8_P12ihipStream_tbDpT10_ENKUlT_T0_E_clISt17integral_constantIbLb0EES1C_EEDaS17_S18_EUlS17_E_NS1_11comp_targetILNS1_3genE4ELNS1_11target_archE910ELNS1_3gpuE8ELNS1_3repE0EEENS1_30default_config_static_selectorELNS0_4arch9wavefront6targetE0EEEvT1_.private_seg_size, 0
	.set _ZN7rocprim17ROCPRIM_400000_NS6detail17trampoline_kernelINS0_14default_configENS1_25partition_config_selectorILNS1_17partition_subalgoE8ElNS0_10empty_typeEbEEZZNS1_14partition_implILS5_8ELb0ES3_jPlPS6_PKS6_NS0_5tupleIJS9_S6_EEENSD_IJSA_SA_EEENS0_18inequality_wrapperIZN2at6native12_GLOBAL__N_124unique_dim_cuda_templateIsEESt5tupleIJNSH_6TensorESM_SM_EERKSM_lbbbEUlllE0_EEPmJS6_EEE10hipError_tPvRmT3_T4_T5_T6_T7_T9_mT8_P12ihipStream_tbDpT10_ENKUlT_T0_E_clISt17integral_constantIbLb0EES1C_EEDaS17_S18_EUlS17_E_NS1_11comp_targetILNS1_3genE4ELNS1_11target_archE910ELNS1_3gpuE8ELNS1_3repE0EEENS1_30default_config_static_selectorELNS0_4arch9wavefront6targetE0EEEvT1_.uses_vcc, 0
	.set _ZN7rocprim17ROCPRIM_400000_NS6detail17trampoline_kernelINS0_14default_configENS1_25partition_config_selectorILNS1_17partition_subalgoE8ElNS0_10empty_typeEbEEZZNS1_14partition_implILS5_8ELb0ES3_jPlPS6_PKS6_NS0_5tupleIJS9_S6_EEENSD_IJSA_SA_EEENS0_18inequality_wrapperIZN2at6native12_GLOBAL__N_124unique_dim_cuda_templateIsEESt5tupleIJNSH_6TensorESM_SM_EERKSM_lbbbEUlllE0_EEPmJS6_EEE10hipError_tPvRmT3_T4_T5_T6_T7_T9_mT8_P12ihipStream_tbDpT10_ENKUlT_T0_E_clISt17integral_constantIbLb0EES1C_EEDaS17_S18_EUlS17_E_NS1_11comp_targetILNS1_3genE4ELNS1_11target_archE910ELNS1_3gpuE8ELNS1_3repE0EEENS1_30default_config_static_selectorELNS0_4arch9wavefront6targetE0EEEvT1_.uses_flat_scratch, 0
	.set _ZN7rocprim17ROCPRIM_400000_NS6detail17trampoline_kernelINS0_14default_configENS1_25partition_config_selectorILNS1_17partition_subalgoE8ElNS0_10empty_typeEbEEZZNS1_14partition_implILS5_8ELb0ES3_jPlPS6_PKS6_NS0_5tupleIJS9_S6_EEENSD_IJSA_SA_EEENS0_18inequality_wrapperIZN2at6native12_GLOBAL__N_124unique_dim_cuda_templateIsEESt5tupleIJNSH_6TensorESM_SM_EERKSM_lbbbEUlllE0_EEPmJS6_EEE10hipError_tPvRmT3_T4_T5_T6_T7_T9_mT8_P12ihipStream_tbDpT10_ENKUlT_T0_E_clISt17integral_constantIbLb0EES1C_EEDaS17_S18_EUlS17_E_NS1_11comp_targetILNS1_3genE4ELNS1_11target_archE910ELNS1_3gpuE8ELNS1_3repE0EEENS1_30default_config_static_selectorELNS0_4arch9wavefront6targetE0EEEvT1_.has_dyn_sized_stack, 0
	.set _ZN7rocprim17ROCPRIM_400000_NS6detail17trampoline_kernelINS0_14default_configENS1_25partition_config_selectorILNS1_17partition_subalgoE8ElNS0_10empty_typeEbEEZZNS1_14partition_implILS5_8ELb0ES3_jPlPS6_PKS6_NS0_5tupleIJS9_S6_EEENSD_IJSA_SA_EEENS0_18inequality_wrapperIZN2at6native12_GLOBAL__N_124unique_dim_cuda_templateIsEESt5tupleIJNSH_6TensorESM_SM_EERKSM_lbbbEUlllE0_EEPmJS6_EEE10hipError_tPvRmT3_T4_T5_T6_T7_T9_mT8_P12ihipStream_tbDpT10_ENKUlT_T0_E_clISt17integral_constantIbLb0EES1C_EEDaS17_S18_EUlS17_E_NS1_11comp_targetILNS1_3genE4ELNS1_11target_archE910ELNS1_3gpuE8ELNS1_3repE0EEENS1_30default_config_static_selectorELNS0_4arch9wavefront6targetE0EEEvT1_.has_recursion, 0
	.set _ZN7rocprim17ROCPRIM_400000_NS6detail17trampoline_kernelINS0_14default_configENS1_25partition_config_selectorILNS1_17partition_subalgoE8ElNS0_10empty_typeEbEEZZNS1_14partition_implILS5_8ELb0ES3_jPlPS6_PKS6_NS0_5tupleIJS9_S6_EEENSD_IJSA_SA_EEENS0_18inequality_wrapperIZN2at6native12_GLOBAL__N_124unique_dim_cuda_templateIsEESt5tupleIJNSH_6TensorESM_SM_EERKSM_lbbbEUlllE0_EEPmJS6_EEE10hipError_tPvRmT3_T4_T5_T6_T7_T9_mT8_P12ihipStream_tbDpT10_ENKUlT_T0_E_clISt17integral_constantIbLb0EES1C_EEDaS17_S18_EUlS17_E_NS1_11comp_targetILNS1_3genE4ELNS1_11target_archE910ELNS1_3gpuE8ELNS1_3repE0EEENS1_30default_config_static_selectorELNS0_4arch9wavefront6targetE0EEEvT1_.has_indirect_call, 0
	.section	.AMDGPU.csdata,"",@progbits
; Kernel info:
; codeLenInByte = 0
; TotalNumSgprs: 0
; NumVgprs: 0
; ScratchSize: 0
; MemoryBound: 0
; FloatMode: 240
; IeeeMode: 1
; LDSByteSize: 0 bytes/workgroup (compile time only)
; SGPRBlocks: 0
; VGPRBlocks: 0
; NumSGPRsForWavesPerEU: 1
; NumVGPRsForWavesPerEU: 1
; NamedBarCnt: 0
; Occupancy: 16
; WaveLimiterHint : 0
; COMPUTE_PGM_RSRC2:SCRATCH_EN: 0
; COMPUTE_PGM_RSRC2:USER_SGPR: 2
; COMPUTE_PGM_RSRC2:TRAP_HANDLER: 0
; COMPUTE_PGM_RSRC2:TGID_X_EN: 1
; COMPUTE_PGM_RSRC2:TGID_Y_EN: 0
; COMPUTE_PGM_RSRC2:TGID_Z_EN: 0
; COMPUTE_PGM_RSRC2:TIDIG_COMP_CNT: 0
	.section	.text._ZN7rocprim17ROCPRIM_400000_NS6detail17trampoline_kernelINS0_14default_configENS1_25partition_config_selectorILNS1_17partition_subalgoE8ElNS0_10empty_typeEbEEZZNS1_14partition_implILS5_8ELb0ES3_jPlPS6_PKS6_NS0_5tupleIJS9_S6_EEENSD_IJSA_SA_EEENS0_18inequality_wrapperIZN2at6native12_GLOBAL__N_124unique_dim_cuda_templateIsEESt5tupleIJNSH_6TensorESM_SM_EERKSM_lbbbEUlllE0_EEPmJS6_EEE10hipError_tPvRmT3_T4_T5_T6_T7_T9_mT8_P12ihipStream_tbDpT10_ENKUlT_T0_E_clISt17integral_constantIbLb0EES1C_EEDaS17_S18_EUlS17_E_NS1_11comp_targetILNS1_3genE3ELNS1_11target_archE908ELNS1_3gpuE7ELNS1_3repE0EEENS1_30default_config_static_selectorELNS0_4arch9wavefront6targetE0EEEvT1_,"axG",@progbits,_ZN7rocprim17ROCPRIM_400000_NS6detail17trampoline_kernelINS0_14default_configENS1_25partition_config_selectorILNS1_17partition_subalgoE8ElNS0_10empty_typeEbEEZZNS1_14partition_implILS5_8ELb0ES3_jPlPS6_PKS6_NS0_5tupleIJS9_S6_EEENSD_IJSA_SA_EEENS0_18inequality_wrapperIZN2at6native12_GLOBAL__N_124unique_dim_cuda_templateIsEESt5tupleIJNSH_6TensorESM_SM_EERKSM_lbbbEUlllE0_EEPmJS6_EEE10hipError_tPvRmT3_T4_T5_T6_T7_T9_mT8_P12ihipStream_tbDpT10_ENKUlT_T0_E_clISt17integral_constantIbLb0EES1C_EEDaS17_S18_EUlS17_E_NS1_11comp_targetILNS1_3genE3ELNS1_11target_archE908ELNS1_3gpuE7ELNS1_3repE0EEENS1_30default_config_static_selectorELNS0_4arch9wavefront6targetE0EEEvT1_,comdat
	.globl	_ZN7rocprim17ROCPRIM_400000_NS6detail17trampoline_kernelINS0_14default_configENS1_25partition_config_selectorILNS1_17partition_subalgoE8ElNS0_10empty_typeEbEEZZNS1_14partition_implILS5_8ELb0ES3_jPlPS6_PKS6_NS0_5tupleIJS9_S6_EEENSD_IJSA_SA_EEENS0_18inequality_wrapperIZN2at6native12_GLOBAL__N_124unique_dim_cuda_templateIsEESt5tupleIJNSH_6TensorESM_SM_EERKSM_lbbbEUlllE0_EEPmJS6_EEE10hipError_tPvRmT3_T4_T5_T6_T7_T9_mT8_P12ihipStream_tbDpT10_ENKUlT_T0_E_clISt17integral_constantIbLb0EES1C_EEDaS17_S18_EUlS17_E_NS1_11comp_targetILNS1_3genE3ELNS1_11target_archE908ELNS1_3gpuE7ELNS1_3repE0EEENS1_30default_config_static_selectorELNS0_4arch9wavefront6targetE0EEEvT1_ ; -- Begin function _ZN7rocprim17ROCPRIM_400000_NS6detail17trampoline_kernelINS0_14default_configENS1_25partition_config_selectorILNS1_17partition_subalgoE8ElNS0_10empty_typeEbEEZZNS1_14partition_implILS5_8ELb0ES3_jPlPS6_PKS6_NS0_5tupleIJS9_S6_EEENSD_IJSA_SA_EEENS0_18inequality_wrapperIZN2at6native12_GLOBAL__N_124unique_dim_cuda_templateIsEESt5tupleIJNSH_6TensorESM_SM_EERKSM_lbbbEUlllE0_EEPmJS6_EEE10hipError_tPvRmT3_T4_T5_T6_T7_T9_mT8_P12ihipStream_tbDpT10_ENKUlT_T0_E_clISt17integral_constantIbLb0EES1C_EEDaS17_S18_EUlS17_E_NS1_11comp_targetILNS1_3genE3ELNS1_11target_archE908ELNS1_3gpuE7ELNS1_3repE0EEENS1_30default_config_static_selectorELNS0_4arch9wavefront6targetE0EEEvT1_
	.p2align	8
	.type	_ZN7rocprim17ROCPRIM_400000_NS6detail17trampoline_kernelINS0_14default_configENS1_25partition_config_selectorILNS1_17partition_subalgoE8ElNS0_10empty_typeEbEEZZNS1_14partition_implILS5_8ELb0ES3_jPlPS6_PKS6_NS0_5tupleIJS9_S6_EEENSD_IJSA_SA_EEENS0_18inequality_wrapperIZN2at6native12_GLOBAL__N_124unique_dim_cuda_templateIsEESt5tupleIJNSH_6TensorESM_SM_EERKSM_lbbbEUlllE0_EEPmJS6_EEE10hipError_tPvRmT3_T4_T5_T6_T7_T9_mT8_P12ihipStream_tbDpT10_ENKUlT_T0_E_clISt17integral_constantIbLb0EES1C_EEDaS17_S18_EUlS17_E_NS1_11comp_targetILNS1_3genE3ELNS1_11target_archE908ELNS1_3gpuE7ELNS1_3repE0EEENS1_30default_config_static_selectorELNS0_4arch9wavefront6targetE0EEEvT1_,@function
_ZN7rocprim17ROCPRIM_400000_NS6detail17trampoline_kernelINS0_14default_configENS1_25partition_config_selectorILNS1_17partition_subalgoE8ElNS0_10empty_typeEbEEZZNS1_14partition_implILS5_8ELb0ES3_jPlPS6_PKS6_NS0_5tupleIJS9_S6_EEENSD_IJSA_SA_EEENS0_18inequality_wrapperIZN2at6native12_GLOBAL__N_124unique_dim_cuda_templateIsEESt5tupleIJNSH_6TensorESM_SM_EERKSM_lbbbEUlllE0_EEPmJS6_EEE10hipError_tPvRmT3_T4_T5_T6_T7_T9_mT8_P12ihipStream_tbDpT10_ENKUlT_T0_E_clISt17integral_constantIbLb0EES1C_EEDaS17_S18_EUlS17_E_NS1_11comp_targetILNS1_3genE3ELNS1_11target_archE908ELNS1_3gpuE7ELNS1_3repE0EEENS1_30default_config_static_selectorELNS0_4arch9wavefront6targetE0EEEvT1_: ; @_ZN7rocprim17ROCPRIM_400000_NS6detail17trampoline_kernelINS0_14default_configENS1_25partition_config_selectorILNS1_17partition_subalgoE8ElNS0_10empty_typeEbEEZZNS1_14partition_implILS5_8ELb0ES3_jPlPS6_PKS6_NS0_5tupleIJS9_S6_EEENSD_IJSA_SA_EEENS0_18inequality_wrapperIZN2at6native12_GLOBAL__N_124unique_dim_cuda_templateIsEESt5tupleIJNSH_6TensorESM_SM_EERKSM_lbbbEUlllE0_EEPmJS6_EEE10hipError_tPvRmT3_T4_T5_T6_T7_T9_mT8_P12ihipStream_tbDpT10_ENKUlT_T0_E_clISt17integral_constantIbLb0EES1C_EEDaS17_S18_EUlS17_E_NS1_11comp_targetILNS1_3genE3ELNS1_11target_archE908ELNS1_3gpuE7ELNS1_3repE0EEENS1_30default_config_static_selectorELNS0_4arch9wavefront6targetE0EEEvT1_
; %bb.0:
	.section	.rodata,"a",@progbits
	.p2align	6, 0x0
	.amdhsa_kernel _ZN7rocprim17ROCPRIM_400000_NS6detail17trampoline_kernelINS0_14default_configENS1_25partition_config_selectorILNS1_17partition_subalgoE8ElNS0_10empty_typeEbEEZZNS1_14partition_implILS5_8ELb0ES3_jPlPS6_PKS6_NS0_5tupleIJS9_S6_EEENSD_IJSA_SA_EEENS0_18inequality_wrapperIZN2at6native12_GLOBAL__N_124unique_dim_cuda_templateIsEESt5tupleIJNSH_6TensorESM_SM_EERKSM_lbbbEUlllE0_EEPmJS6_EEE10hipError_tPvRmT3_T4_T5_T6_T7_T9_mT8_P12ihipStream_tbDpT10_ENKUlT_T0_E_clISt17integral_constantIbLb0EES1C_EEDaS17_S18_EUlS17_E_NS1_11comp_targetILNS1_3genE3ELNS1_11target_archE908ELNS1_3gpuE7ELNS1_3repE0EEENS1_30default_config_static_selectorELNS0_4arch9wavefront6targetE0EEEvT1_
		.amdhsa_group_segment_fixed_size 0
		.amdhsa_private_segment_fixed_size 0
		.amdhsa_kernarg_size 120
		.amdhsa_user_sgpr_count 2
		.amdhsa_user_sgpr_dispatch_ptr 0
		.amdhsa_user_sgpr_queue_ptr 0
		.amdhsa_user_sgpr_kernarg_segment_ptr 1
		.amdhsa_user_sgpr_dispatch_id 0
		.amdhsa_user_sgpr_kernarg_preload_length 0
		.amdhsa_user_sgpr_kernarg_preload_offset 0
		.amdhsa_user_sgpr_private_segment_size 0
		.amdhsa_wavefront_size32 1
		.amdhsa_uses_dynamic_stack 0
		.amdhsa_enable_private_segment 0
		.amdhsa_system_sgpr_workgroup_id_x 1
		.amdhsa_system_sgpr_workgroup_id_y 0
		.amdhsa_system_sgpr_workgroup_id_z 0
		.amdhsa_system_sgpr_workgroup_info 0
		.amdhsa_system_vgpr_workitem_id 0
		.amdhsa_next_free_vgpr 1
		.amdhsa_next_free_sgpr 1
		.amdhsa_named_barrier_count 0
		.amdhsa_reserve_vcc 0
		.amdhsa_float_round_mode_32 0
		.amdhsa_float_round_mode_16_64 0
		.amdhsa_float_denorm_mode_32 3
		.amdhsa_float_denorm_mode_16_64 3
		.amdhsa_fp16_overflow 0
		.amdhsa_memory_ordered 1
		.amdhsa_forward_progress 1
		.amdhsa_inst_pref_size 0
		.amdhsa_round_robin_scheduling 0
		.amdhsa_exception_fp_ieee_invalid_op 0
		.amdhsa_exception_fp_denorm_src 0
		.amdhsa_exception_fp_ieee_div_zero 0
		.amdhsa_exception_fp_ieee_overflow 0
		.amdhsa_exception_fp_ieee_underflow 0
		.amdhsa_exception_fp_ieee_inexact 0
		.amdhsa_exception_int_div_zero 0
	.end_amdhsa_kernel
	.section	.text._ZN7rocprim17ROCPRIM_400000_NS6detail17trampoline_kernelINS0_14default_configENS1_25partition_config_selectorILNS1_17partition_subalgoE8ElNS0_10empty_typeEbEEZZNS1_14partition_implILS5_8ELb0ES3_jPlPS6_PKS6_NS0_5tupleIJS9_S6_EEENSD_IJSA_SA_EEENS0_18inequality_wrapperIZN2at6native12_GLOBAL__N_124unique_dim_cuda_templateIsEESt5tupleIJNSH_6TensorESM_SM_EERKSM_lbbbEUlllE0_EEPmJS6_EEE10hipError_tPvRmT3_T4_T5_T6_T7_T9_mT8_P12ihipStream_tbDpT10_ENKUlT_T0_E_clISt17integral_constantIbLb0EES1C_EEDaS17_S18_EUlS17_E_NS1_11comp_targetILNS1_3genE3ELNS1_11target_archE908ELNS1_3gpuE7ELNS1_3repE0EEENS1_30default_config_static_selectorELNS0_4arch9wavefront6targetE0EEEvT1_,"axG",@progbits,_ZN7rocprim17ROCPRIM_400000_NS6detail17trampoline_kernelINS0_14default_configENS1_25partition_config_selectorILNS1_17partition_subalgoE8ElNS0_10empty_typeEbEEZZNS1_14partition_implILS5_8ELb0ES3_jPlPS6_PKS6_NS0_5tupleIJS9_S6_EEENSD_IJSA_SA_EEENS0_18inequality_wrapperIZN2at6native12_GLOBAL__N_124unique_dim_cuda_templateIsEESt5tupleIJNSH_6TensorESM_SM_EERKSM_lbbbEUlllE0_EEPmJS6_EEE10hipError_tPvRmT3_T4_T5_T6_T7_T9_mT8_P12ihipStream_tbDpT10_ENKUlT_T0_E_clISt17integral_constantIbLb0EES1C_EEDaS17_S18_EUlS17_E_NS1_11comp_targetILNS1_3genE3ELNS1_11target_archE908ELNS1_3gpuE7ELNS1_3repE0EEENS1_30default_config_static_selectorELNS0_4arch9wavefront6targetE0EEEvT1_,comdat
.Lfunc_end688:
	.size	_ZN7rocprim17ROCPRIM_400000_NS6detail17trampoline_kernelINS0_14default_configENS1_25partition_config_selectorILNS1_17partition_subalgoE8ElNS0_10empty_typeEbEEZZNS1_14partition_implILS5_8ELb0ES3_jPlPS6_PKS6_NS0_5tupleIJS9_S6_EEENSD_IJSA_SA_EEENS0_18inequality_wrapperIZN2at6native12_GLOBAL__N_124unique_dim_cuda_templateIsEESt5tupleIJNSH_6TensorESM_SM_EERKSM_lbbbEUlllE0_EEPmJS6_EEE10hipError_tPvRmT3_T4_T5_T6_T7_T9_mT8_P12ihipStream_tbDpT10_ENKUlT_T0_E_clISt17integral_constantIbLb0EES1C_EEDaS17_S18_EUlS17_E_NS1_11comp_targetILNS1_3genE3ELNS1_11target_archE908ELNS1_3gpuE7ELNS1_3repE0EEENS1_30default_config_static_selectorELNS0_4arch9wavefront6targetE0EEEvT1_, .Lfunc_end688-_ZN7rocprim17ROCPRIM_400000_NS6detail17trampoline_kernelINS0_14default_configENS1_25partition_config_selectorILNS1_17partition_subalgoE8ElNS0_10empty_typeEbEEZZNS1_14partition_implILS5_8ELb0ES3_jPlPS6_PKS6_NS0_5tupleIJS9_S6_EEENSD_IJSA_SA_EEENS0_18inequality_wrapperIZN2at6native12_GLOBAL__N_124unique_dim_cuda_templateIsEESt5tupleIJNSH_6TensorESM_SM_EERKSM_lbbbEUlllE0_EEPmJS6_EEE10hipError_tPvRmT3_T4_T5_T6_T7_T9_mT8_P12ihipStream_tbDpT10_ENKUlT_T0_E_clISt17integral_constantIbLb0EES1C_EEDaS17_S18_EUlS17_E_NS1_11comp_targetILNS1_3genE3ELNS1_11target_archE908ELNS1_3gpuE7ELNS1_3repE0EEENS1_30default_config_static_selectorELNS0_4arch9wavefront6targetE0EEEvT1_
                                        ; -- End function
	.set _ZN7rocprim17ROCPRIM_400000_NS6detail17trampoline_kernelINS0_14default_configENS1_25partition_config_selectorILNS1_17partition_subalgoE8ElNS0_10empty_typeEbEEZZNS1_14partition_implILS5_8ELb0ES3_jPlPS6_PKS6_NS0_5tupleIJS9_S6_EEENSD_IJSA_SA_EEENS0_18inequality_wrapperIZN2at6native12_GLOBAL__N_124unique_dim_cuda_templateIsEESt5tupleIJNSH_6TensorESM_SM_EERKSM_lbbbEUlllE0_EEPmJS6_EEE10hipError_tPvRmT3_T4_T5_T6_T7_T9_mT8_P12ihipStream_tbDpT10_ENKUlT_T0_E_clISt17integral_constantIbLb0EES1C_EEDaS17_S18_EUlS17_E_NS1_11comp_targetILNS1_3genE3ELNS1_11target_archE908ELNS1_3gpuE7ELNS1_3repE0EEENS1_30default_config_static_selectorELNS0_4arch9wavefront6targetE0EEEvT1_.num_vgpr, 0
	.set _ZN7rocprim17ROCPRIM_400000_NS6detail17trampoline_kernelINS0_14default_configENS1_25partition_config_selectorILNS1_17partition_subalgoE8ElNS0_10empty_typeEbEEZZNS1_14partition_implILS5_8ELb0ES3_jPlPS6_PKS6_NS0_5tupleIJS9_S6_EEENSD_IJSA_SA_EEENS0_18inequality_wrapperIZN2at6native12_GLOBAL__N_124unique_dim_cuda_templateIsEESt5tupleIJNSH_6TensorESM_SM_EERKSM_lbbbEUlllE0_EEPmJS6_EEE10hipError_tPvRmT3_T4_T5_T6_T7_T9_mT8_P12ihipStream_tbDpT10_ENKUlT_T0_E_clISt17integral_constantIbLb0EES1C_EEDaS17_S18_EUlS17_E_NS1_11comp_targetILNS1_3genE3ELNS1_11target_archE908ELNS1_3gpuE7ELNS1_3repE0EEENS1_30default_config_static_selectorELNS0_4arch9wavefront6targetE0EEEvT1_.num_agpr, 0
	.set _ZN7rocprim17ROCPRIM_400000_NS6detail17trampoline_kernelINS0_14default_configENS1_25partition_config_selectorILNS1_17partition_subalgoE8ElNS0_10empty_typeEbEEZZNS1_14partition_implILS5_8ELb0ES3_jPlPS6_PKS6_NS0_5tupleIJS9_S6_EEENSD_IJSA_SA_EEENS0_18inequality_wrapperIZN2at6native12_GLOBAL__N_124unique_dim_cuda_templateIsEESt5tupleIJNSH_6TensorESM_SM_EERKSM_lbbbEUlllE0_EEPmJS6_EEE10hipError_tPvRmT3_T4_T5_T6_T7_T9_mT8_P12ihipStream_tbDpT10_ENKUlT_T0_E_clISt17integral_constantIbLb0EES1C_EEDaS17_S18_EUlS17_E_NS1_11comp_targetILNS1_3genE3ELNS1_11target_archE908ELNS1_3gpuE7ELNS1_3repE0EEENS1_30default_config_static_selectorELNS0_4arch9wavefront6targetE0EEEvT1_.numbered_sgpr, 0
	.set _ZN7rocprim17ROCPRIM_400000_NS6detail17trampoline_kernelINS0_14default_configENS1_25partition_config_selectorILNS1_17partition_subalgoE8ElNS0_10empty_typeEbEEZZNS1_14partition_implILS5_8ELb0ES3_jPlPS6_PKS6_NS0_5tupleIJS9_S6_EEENSD_IJSA_SA_EEENS0_18inequality_wrapperIZN2at6native12_GLOBAL__N_124unique_dim_cuda_templateIsEESt5tupleIJNSH_6TensorESM_SM_EERKSM_lbbbEUlllE0_EEPmJS6_EEE10hipError_tPvRmT3_T4_T5_T6_T7_T9_mT8_P12ihipStream_tbDpT10_ENKUlT_T0_E_clISt17integral_constantIbLb0EES1C_EEDaS17_S18_EUlS17_E_NS1_11comp_targetILNS1_3genE3ELNS1_11target_archE908ELNS1_3gpuE7ELNS1_3repE0EEENS1_30default_config_static_selectorELNS0_4arch9wavefront6targetE0EEEvT1_.num_named_barrier, 0
	.set _ZN7rocprim17ROCPRIM_400000_NS6detail17trampoline_kernelINS0_14default_configENS1_25partition_config_selectorILNS1_17partition_subalgoE8ElNS0_10empty_typeEbEEZZNS1_14partition_implILS5_8ELb0ES3_jPlPS6_PKS6_NS0_5tupleIJS9_S6_EEENSD_IJSA_SA_EEENS0_18inequality_wrapperIZN2at6native12_GLOBAL__N_124unique_dim_cuda_templateIsEESt5tupleIJNSH_6TensorESM_SM_EERKSM_lbbbEUlllE0_EEPmJS6_EEE10hipError_tPvRmT3_T4_T5_T6_T7_T9_mT8_P12ihipStream_tbDpT10_ENKUlT_T0_E_clISt17integral_constantIbLb0EES1C_EEDaS17_S18_EUlS17_E_NS1_11comp_targetILNS1_3genE3ELNS1_11target_archE908ELNS1_3gpuE7ELNS1_3repE0EEENS1_30default_config_static_selectorELNS0_4arch9wavefront6targetE0EEEvT1_.private_seg_size, 0
	.set _ZN7rocprim17ROCPRIM_400000_NS6detail17trampoline_kernelINS0_14default_configENS1_25partition_config_selectorILNS1_17partition_subalgoE8ElNS0_10empty_typeEbEEZZNS1_14partition_implILS5_8ELb0ES3_jPlPS6_PKS6_NS0_5tupleIJS9_S6_EEENSD_IJSA_SA_EEENS0_18inequality_wrapperIZN2at6native12_GLOBAL__N_124unique_dim_cuda_templateIsEESt5tupleIJNSH_6TensorESM_SM_EERKSM_lbbbEUlllE0_EEPmJS6_EEE10hipError_tPvRmT3_T4_T5_T6_T7_T9_mT8_P12ihipStream_tbDpT10_ENKUlT_T0_E_clISt17integral_constantIbLb0EES1C_EEDaS17_S18_EUlS17_E_NS1_11comp_targetILNS1_3genE3ELNS1_11target_archE908ELNS1_3gpuE7ELNS1_3repE0EEENS1_30default_config_static_selectorELNS0_4arch9wavefront6targetE0EEEvT1_.uses_vcc, 0
	.set _ZN7rocprim17ROCPRIM_400000_NS6detail17trampoline_kernelINS0_14default_configENS1_25partition_config_selectorILNS1_17partition_subalgoE8ElNS0_10empty_typeEbEEZZNS1_14partition_implILS5_8ELb0ES3_jPlPS6_PKS6_NS0_5tupleIJS9_S6_EEENSD_IJSA_SA_EEENS0_18inequality_wrapperIZN2at6native12_GLOBAL__N_124unique_dim_cuda_templateIsEESt5tupleIJNSH_6TensorESM_SM_EERKSM_lbbbEUlllE0_EEPmJS6_EEE10hipError_tPvRmT3_T4_T5_T6_T7_T9_mT8_P12ihipStream_tbDpT10_ENKUlT_T0_E_clISt17integral_constantIbLb0EES1C_EEDaS17_S18_EUlS17_E_NS1_11comp_targetILNS1_3genE3ELNS1_11target_archE908ELNS1_3gpuE7ELNS1_3repE0EEENS1_30default_config_static_selectorELNS0_4arch9wavefront6targetE0EEEvT1_.uses_flat_scratch, 0
	.set _ZN7rocprim17ROCPRIM_400000_NS6detail17trampoline_kernelINS0_14default_configENS1_25partition_config_selectorILNS1_17partition_subalgoE8ElNS0_10empty_typeEbEEZZNS1_14partition_implILS5_8ELb0ES3_jPlPS6_PKS6_NS0_5tupleIJS9_S6_EEENSD_IJSA_SA_EEENS0_18inequality_wrapperIZN2at6native12_GLOBAL__N_124unique_dim_cuda_templateIsEESt5tupleIJNSH_6TensorESM_SM_EERKSM_lbbbEUlllE0_EEPmJS6_EEE10hipError_tPvRmT3_T4_T5_T6_T7_T9_mT8_P12ihipStream_tbDpT10_ENKUlT_T0_E_clISt17integral_constantIbLb0EES1C_EEDaS17_S18_EUlS17_E_NS1_11comp_targetILNS1_3genE3ELNS1_11target_archE908ELNS1_3gpuE7ELNS1_3repE0EEENS1_30default_config_static_selectorELNS0_4arch9wavefront6targetE0EEEvT1_.has_dyn_sized_stack, 0
	.set _ZN7rocprim17ROCPRIM_400000_NS6detail17trampoline_kernelINS0_14default_configENS1_25partition_config_selectorILNS1_17partition_subalgoE8ElNS0_10empty_typeEbEEZZNS1_14partition_implILS5_8ELb0ES3_jPlPS6_PKS6_NS0_5tupleIJS9_S6_EEENSD_IJSA_SA_EEENS0_18inequality_wrapperIZN2at6native12_GLOBAL__N_124unique_dim_cuda_templateIsEESt5tupleIJNSH_6TensorESM_SM_EERKSM_lbbbEUlllE0_EEPmJS6_EEE10hipError_tPvRmT3_T4_T5_T6_T7_T9_mT8_P12ihipStream_tbDpT10_ENKUlT_T0_E_clISt17integral_constantIbLb0EES1C_EEDaS17_S18_EUlS17_E_NS1_11comp_targetILNS1_3genE3ELNS1_11target_archE908ELNS1_3gpuE7ELNS1_3repE0EEENS1_30default_config_static_selectorELNS0_4arch9wavefront6targetE0EEEvT1_.has_recursion, 0
	.set _ZN7rocprim17ROCPRIM_400000_NS6detail17trampoline_kernelINS0_14default_configENS1_25partition_config_selectorILNS1_17partition_subalgoE8ElNS0_10empty_typeEbEEZZNS1_14partition_implILS5_8ELb0ES3_jPlPS6_PKS6_NS0_5tupleIJS9_S6_EEENSD_IJSA_SA_EEENS0_18inequality_wrapperIZN2at6native12_GLOBAL__N_124unique_dim_cuda_templateIsEESt5tupleIJNSH_6TensorESM_SM_EERKSM_lbbbEUlllE0_EEPmJS6_EEE10hipError_tPvRmT3_T4_T5_T6_T7_T9_mT8_P12ihipStream_tbDpT10_ENKUlT_T0_E_clISt17integral_constantIbLb0EES1C_EEDaS17_S18_EUlS17_E_NS1_11comp_targetILNS1_3genE3ELNS1_11target_archE908ELNS1_3gpuE7ELNS1_3repE0EEENS1_30default_config_static_selectorELNS0_4arch9wavefront6targetE0EEEvT1_.has_indirect_call, 0
	.section	.AMDGPU.csdata,"",@progbits
; Kernel info:
; codeLenInByte = 0
; TotalNumSgprs: 0
; NumVgprs: 0
; ScratchSize: 0
; MemoryBound: 0
; FloatMode: 240
; IeeeMode: 1
; LDSByteSize: 0 bytes/workgroup (compile time only)
; SGPRBlocks: 0
; VGPRBlocks: 0
; NumSGPRsForWavesPerEU: 1
; NumVGPRsForWavesPerEU: 1
; NamedBarCnt: 0
; Occupancy: 16
; WaveLimiterHint : 0
; COMPUTE_PGM_RSRC2:SCRATCH_EN: 0
; COMPUTE_PGM_RSRC2:USER_SGPR: 2
; COMPUTE_PGM_RSRC2:TRAP_HANDLER: 0
; COMPUTE_PGM_RSRC2:TGID_X_EN: 1
; COMPUTE_PGM_RSRC2:TGID_Y_EN: 0
; COMPUTE_PGM_RSRC2:TGID_Z_EN: 0
; COMPUTE_PGM_RSRC2:TIDIG_COMP_CNT: 0
	.section	.text._ZN7rocprim17ROCPRIM_400000_NS6detail17trampoline_kernelINS0_14default_configENS1_25partition_config_selectorILNS1_17partition_subalgoE8ElNS0_10empty_typeEbEEZZNS1_14partition_implILS5_8ELb0ES3_jPlPS6_PKS6_NS0_5tupleIJS9_S6_EEENSD_IJSA_SA_EEENS0_18inequality_wrapperIZN2at6native12_GLOBAL__N_124unique_dim_cuda_templateIsEESt5tupleIJNSH_6TensorESM_SM_EERKSM_lbbbEUlllE0_EEPmJS6_EEE10hipError_tPvRmT3_T4_T5_T6_T7_T9_mT8_P12ihipStream_tbDpT10_ENKUlT_T0_E_clISt17integral_constantIbLb0EES1C_EEDaS17_S18_EUlS17_E_NS1_11comp_targetILNS1_3genE2ELNS1_11target_archE906ELNS1_3gpuE6ELNS1_3repE0EEENS1_30default_config_static_selectorELNS0_4arch9wavefront6targetE0EEEvT1_,"axG",@progbits,_ZN7rocprim17ROCPRIM_400000_NS6detail17trampoline_kernelINS0_14default_configENS1_25partition_config_selectorILNS1_17partition_subalgoE8ElNS0_10empty_typeEbEEZZNS1_14partition_implILS5_8ELb0ES3_jPlPS6_PKS6_NS0_5tupleIJS9_S6_EEENSD_IJSA_SA_EEENS0_18inequality_wrapperIZN2at6native12_GLOBAL__N_124unique_dim_cuda_templateIsEESt5tupleIJNSH_6TensorESM_SM_EERKSM_lbbbEUlllE0_EEPmJS6_EEE10hipError_tPvRmT3_T4_T5_T6_T7_T9_mT8_P12ihipStream_tbDpT10_ENKUlT_T0_E_clISt17integral_constantIbLb0EES1C_EEDaS17_S18_EUlS17_E_NS1_11comp_targetILNS1_3genE2ELNS1_11target_archE906ELNS1_3gpuE6ELNS1_3repE0EEENS1_30default_config_static_selectorELNS0_4arch9wavefront6targetE0EEEvT1_,comdat
	.globl	_ZN7rocprim17ROCPRIM_400000_NS6detail17trampoline_kernelINS0_14default_configENS1_25partition_config_selectorILNS1_17partition_subalgoE8ElNS0_10empty_typeEbEEZZNS1_14partition_implILS5_8ELb0ES3_jPlPS6_PKS6_NS0_5tupleIJS9_S6_EEENSD_IJSA_SA_EEENS0_18inequality_wrapperIZN2at6native12_GLOBAL__N_124unique_dim_cuda_templateIsEESt5tupleIJNSH_6TensorESM_SM_EERKSM_lbbbEUlllE0_EEPmJS6_EEE10hipError_tPvRmT3_T4_T5_T6_T7_T9_mT8_P12ihipStream_tbDpT10_ENKUlT_T0_E_clISt17integral_constantIbLb0EES1C_EEDaS17_S18_EUlS17_E_NS1_11comp_targetILNS1_3genE2ELNS1_11target_archE906ELNS1_3gpuE6ELNS1_3repE0EEENS1_30default_config_static_selectorELNS0_4arch9wavefront6targetE0EEEvT1_ ; -- Begin function _ZN7rocprim17ROCPRIM_400000_NS6detail17trampoline_kernelINS0_14default_configENS1_25partition_config_selectorILNS1_17partition_subalgoE8ElNS0_10empty_typeEbEEZZNS1_14partition_implILS5_8ELb0ES3_jPlPS6_PKS6_NS0_5tupleIJS9_S6_EEENSD_IJSA_SA_EEENS0_18inequality_wrapperIZN2at6native12_GLOBAL__N_124unique_dim_cuda_templateIsEESt5tupleIJNSH_6TensorESM_SM_EERKSM_lbbbEUlllE0_EEPmJS6_EEE10hipError_tPvRmT3_T4_T5_T6_T7_T9_mT8_P12ihipStream_tbDpT10_ENKUlT_T0_E_clISt17integral_constantIbLb0EES1C_EEDaS17_S18_EUlS17_E_NS1_11comp_targetILNS1_3genE2ELNS1_11target_archE906ELNS1_3gpuE6ELNS1_3repE0EEENS1_30default_config_static_selectorELNS0_4arch9wavefront6targetE0EEEvT1_
	.p2align	8
	.type	_ZN7rocprim17ROCPRIM_400000_NS6detail17trampoline_kernelINS0_14default_configENS1_25partition_config_selectorILNS1_17partition_subalgoE8ElNS0_10empty_typeEbEEZZNS1_14partition_implILS5_8ELb0ES3_jPlPS6_PKS6_NS0_5tupleIJS9_S6_EEENSD_IJSA_SA_EEENS0_18inequality_wrapperIZN2at6native12_GLOBAL__N_124unique_dim_cuda_templateIsEESt5tupleIJNSH_6TensorESM_SM_EERKSM_lbbbEUlllE0_EEPmJS6_EEE10hipError_tPvRmT3_T4_T5_T6_T7_T9_mT8_P12ihipStream_tbDpT10_ENKUlT_T0_E_clISt17integral_constantIbLb0EES1C_EEDaS17_S18_EUlS17_E_NS1_11comp_targetILNS1_3genE2ELNS1_11target_archE906ELNS1_3gpuE6ELNS1_3repE0EEENS1_30default_config_static_selectorELNS0_4arch9wavefront6targetE0EEEvT1_,@function
_ZN7rocprim17ROCPRIM_400000_NS6detail17trampoline_kernelINS0_14default_configENS1_25partition_config_selectorILNS1_17partition_subalgoE8ElNS0_10empty_typeEbEEZZNS1_14partition_implILS5_8ELb0ES3_jPlPS6_PKS6_NS0_5tupleIJS9_S6_EEENSD_IJSA_SA_EEENS0_18inequality_wrapperIZN2at6native12_GLOBAL__N_124unique_dim_cuda_templateIsEESt5tupleIJNSH_6TensorESM_SM_EERKSM_lbbbEUlllE0_EEPmJS6_EEE10hipError_tPvRmT3_T4_T5_T6_T7_T9_mT8_P12ihipStream_tbDpT10_ENKUlT_T0_E_clISt17integral_constantIbLb0EES1C_EEDaS17_S18_EUlS17_E_NS1_11comp_targetILNS1_3genE2ELNS1_11target_archE906ELNS1_3gpuE6ELNS1_3repE0EEENS1_30default_config_static_selectorELNS0_4arch9wavefront6targetE0EEEvT1_: ; @_ZN7rocprim17ROCPRIM_400000_NS6detail17trampoline_kernelINS0_14default_configENS1_25partition_config_selectorILNS1_17partition_subalgoE8ElNS0_10empty_typeEbEEZZNS1_14partition_implILS5_8ELb0ES3_jPlPS6_PKS6_NS0_5tupleIJS9_S6_EEENSD_IJSA_SA_EEENS0_18inequality_wrapperIZN2at6native12_GLOBAL__N_124unique_dim_cuda_templateIsEESt5tupleIJNSH_6TensorESM_SM_EERKSM_lbbbEUlllE0_EEPmJS6_EEE10hipError_tPvRmT3_T4_T5_T6_T7_T9_mT8_P12ihipStream_tbDpT10_ENKUlT_T0_E_clISt17integral_constantIbLb0EES1C_EEDaS17_S18_EUlS17_E_NS1_11comp_targetILNS1_3genE2ELNS1_11target_archE906ELNS1_3gpuE6ELNS1_3repE0EEENS1_30default_config_static_selectorELNS0_4arch9wavefront6targetE0EEEvT1_
; %bb.0:
	.section	.rodata,"a",@progbits
	.p2align	6, 0x0
	.amdhsa_kernel _ZN7rocprim17ROCPRIM_400000_NS6detail17trampoline_kernelINS0_14default_configENS1_25partition_config_selectorILNS1_17partition_subalgoE8ElNS0_10empty_typeEbEEZZNS1_14partition_implILS5_8ELb0ES3_jPlPS6_PKS6_NS0_5tupleIJS9_S6_EEENSD_IJSA_SA_EEENS0_18inequality_wrapperIZN2at6native12_GLOBAL__N_124unique_dim_cuda_templateIsEESt5tupleIJNSH_6TensorESM_SM_EERKSM_lbbbEUlllE0_EEPmJS6_EEE10hipError_tPvRmT3_T4_T5_T6_T7_T9_mT8_P12ihipStream_tbDpT10_ENKUlT_T0_E_clISt17integral_constantIbLb0EES1C_EEDaS17_S18_EUlS17_E_NS1_11comp_targetILNS1_3genE2ELNS1_11target_archE906ELNS1_3gpuE6ELNS1_3repE0EEENS1_30default_config_static_selectorELNS0_4arch9wavefront6targetE0EEEvT1_
		.amdhsa_group_segment_fixed_size 0
		.amdhsa_private_segment_fixed_size 0
		.amdhsa_kernarg_size 120
		.amdhsa_user_sgpr_count 2
		.amdhsa_user_sgpr_dispatch_ptr 0
		.amdhsa_user_sgpr_queue_ptr 0
		.amdhsa_user_sgpr_kernarg_segment_ptr 1
		.amdhsa_user_sgpr_dispatch_id 0
		.amdhsa_user_sgpr_kernarg_preload_length 0
		.amdhsa_user_sgpr_kernarg_preload_offset 0
		.amdhsa_user_sgpr_private_segment_size 0
		.amdhsa_wavefront_size32 1
		.amdhsa_uses_dynamic_stack 0
		.amdhsa_enable_private_segment 0
		.amdhsa_system_sgpr_workgroup_id_x 1
		.amdhsa_system_sgpr_workgroup_id_y 0
		.amdhsa_system_sgpr_workgroup_id_z 0
		.amdhsa_system_sgpr_workgroup_info 0
		.amdhsa_system_vgpr_workitem_id 0
		.amdhsa_next_free_vgpr 1
		.amdhsa_next_free_sgpr 1
		.amdhsa_named_barrier_count 0
		.amdhsa_reserve_vcc 0
		.amdhsa_float_round_mode_32 0
		.amdhsa_float_round_mode_16_64 0
		.amdhsa_float_denorm_mode_32 3
		.amdhsa_float_denorm_mode_16_64 3
		.amdhsa_fp16_overflow 0
		.amdhsa_memory_ordered 1
		.amdhsa_forward_progress 1
		.amdhsa_inst_pref_size 0
		.amdhsa_round_robin_scheduling 0
		.amdhsa_exception_fp_ieee_invalid_op 0
		.amdhsa_exception_fp_denorm_src 0
		.amdhsa_exception_fp_ieee_div_zero 0
		.amdhsa_exception_fp_ieee_overflow 0
		.amdhsa_exception_fp_ieee_underflow 0
		.amdhsa_exception_fp_ieee_inexact 0
		.amdhsa_exception_int_div_zero 0
	.end_amdhsa_kernel
	.section	.text._ZN7rocprim17ROCPRIM_400000_NS6detail17trampoline_kernelINS0_14default_configENS1_25partition_config_selectorILNS1_17partition_subalgoE8ElNS0_10empty_typeEbEEZZNS1_14partition_implILS5_8ELb0ES3_jPlPS6_PKS6_NS0_5tupleIJS9_S6_EEENSD_IJSA_SA_EEENS0_18inequality_wrapperIZN2at6native12_GLOBAL__N_124unique_dim_cuda_templateIsEESt5tupleIJNSH_6TensorESM_SM_EERKSM_lbbbEUlllE0_EEPmJS6_EEE10hipError_tPvRmT3_T4_T5_T6_T7_T9_mT8_P12ihipStream_tbDpT10_ENKUlT_T0_E_clISt17integral_constantIbLb0EES1C_EEDaS17_S18_EUlS17_E_NS1_11comp_targetILNS1_3genE2ELNS1_11target_archE906ELNS1_3gpuE6ELNS1_3repE0EEENS1_30default_config_static_selectorELNS0_4arch9wavefront6targetE0EEEvT1_,"axG",@progbits,_ZN7rocprim17ROCPRIM_400000_NS6detail17trampoline_kernelINS0_14default_configENS1_25partition_config_selectorILNS1_17partition_subalgoE8ElNS0_10empty_typeEbEEZZNS1_14partition_implILS5_8ELb0ES3_jPlPS6_PKS6_NS0_5tupleIJS9_S6_EEENSD_IJSA_SA_EEENS0_18inequality_wrapperIZN2at6native12_GLOBAL__N_124unique_dim_cuda_templateIsEESt5tupleIJNSH_6TensorESM_SM_EERKSM_lbbbEUlllE0_EEPmJS6_EEE10hipError_tPvRmT3_T4_T5_T6_T7_T9_mT8_P12ihipStream_tbDpT10_ENKUlT_T0_E_clISt17integral_constantIbLb0EES1C_EEDaS17_S18_EUlS17_E_NS1_11comp_targetILNS1_3genE2ELNS1_11target_archE906ELNS1_3gpuE6ELNS1_3repE0EEENS1_30default_config_static_selectorELNS0_4arch9wavefront6targetE0EEEvT1_,comdat
.Lfunc_end689:
	.size	_ZN7rocprim17ROCPRIM_400000_NS6detail17trampoline_kernelINS0_14default_configENS1_25partition_config_selectorILNS1_17partition_subalgoE8ElNS0_10empty_typeEbEEZZNS1_14partition_implILS5_8ELb0ES3_jPlPS6_PKS6_NS0_5tupleIJS9_S6_EEENSD_IJSA_SA_EEENS0_18inequality_wrapperIZN2at6native12_GLOBAL__N_124unique_dim_cuda_templateIsEESt5tupleIJNSH_6TensorESM_SM_EERKSM_lbbbEUlllE0_EEPmJS6_EEE10hipError_tPvRmT3_T4_T5_T6_T7_T9_mT8_P12ihipStream_tbDpT10_ENKUlT_T0_E_clISt17integral_constantIbLb0EES1C_EEDaS17_S18_EUlS17_E_NS1_11comp_targetILNS1_3genE2ELNS1_11target_archE906ELNS1_3gpuE6ELNS1_3repE0EEENS1_30default_config_static_selectorELNS0_4arch9wavefront6targetE0EEEvT1_, .Lfunc_end689-_ZN7rocprim17ROCPRIM_400000_NS6detail17trampoline_kernelINS0_14default_configENS1_25partition_config_selectorILNS1_17partition_subalgoE8ElNS0_10empty_typeEbEEZZNS1_14partition_implILS5_8ELb0ES3_jPlPS6_PKS6_NS0_5tupleIJS9_S6_EEENSD_IJSA_SA_EEENS0_18inequality_wrapperIZN2at6native12_GLOBAL__N_124unique_dim_cuda_templateIsEESt5tupleIJNSH_6TensorESM_SM_EERKSM_lbbbEUlllE0_EEPmJS6_EEE10hipError_tPvRmT3_T4_T5_T6_T7_T9_mT8_P12ihipStream_tbDpT10_ENKUlT_T0_E_clISt17integral_constantIbLb0EES1C_EEDaS17_S18_EUlS17_E_NS1_11comp_targetILNS1_3genE2ELNS1_11target_archE906ELNS1_3gpuE6ELNS1_3repE0EEENS1_30default_config_static_selectorELNS0_4arch9wavefront6targetE0EEEvT1_
                                        ; -- End function
	.set _ZN7rocprim17ROCPRIM_400000_NS6detail17trampoline_kernelINS0_14default_configENS1_25partition_config_selectorILNS1_17partition_subalgoE8ElNS0_10empty_typeEbEEZZNS1_14partition_implILS5_8ELb0ES3_jPlPS6_PKS6_NS0_5tupleIJS9_S6_EEENSD_IJSA_SA_EEENS0_18inequality_wrapperIZN2at6native12_GLOBAL__N_124unique_dim_cuda_templateIsEESt5tupleIJNSH_6TensorESM_SM_EERKSM_lbbbEUlllE0_EEPmJS6_EEE10hipError_tPvRmT3_T4_T5_T6_T7_T9_mT8_P12ihipStream_tbDpT10_ENKUlT_T0_E_clISt17integral_constantIbLb0EES1C_EEDaS17_S18_EUlS17_E_NS1_11comp_targetILNS1_3genE2ELNS1_11target_archE906ELNS1_3gpuE6ELNS1_3repE0EEENS1_30default_config_static_selectorELNS0_4arch9wavefront6targetE0EEEvT1_.num_vgpr, 0
	.set _ZN7rocprim17ROCPRIM_400000_NS6detail17trampoline_kernelINS0_14default_configENS1_25partition_config_selectorILNS1_17partition_subalgoE8ElNS0_10empty_typeEbEEZZNS1_14partition_implILS5_8ELb0ES3_jPlPS6_PKS6_NS0_5tupleIJS9_S6_EEENSD_IJSA_SA_EEENS0_18inequality_wrapperIZN2at6native12_GLOBAL__N_124unique_dim_cuda_templateIsEESt5tupleIJNSH_6TensorESM_SM_EERKSM_lbbbEUlllE0_EEPmJS6_EEE10hipError_tPvRmT3_T4_T5_T6_T7_T9_mT8_P12ihipStream_tbDpT10_ENKUlT_T0_E_clISt17integral_constantIbLb0EES1C_EEDaS17_S18_EUlS17_E_NS1_11comp_targetILNS1_3genE2ELNS1_11target_archE906ELNS1_3gpuE6ELNS1_3repE0EEENS1_30default_config_static_selectorELNS0_4arch9wavefront6targetE0EEEvT1_.num_agpr, 0
	.set _ZN7rocprim17ROCPRIM_400000_NS6detail17trampoline_kernelINS0_14default_configENS1_25partition_config_selectorILNS1_17partition_subalgoE8ElNS0_10empty_typeEbEEZZNS1_14partition_implILS5_8ELb0ES3_jPlPS6_PKS6_NS0_5tupleIJS9_S6_EEENSD_IJSA_SA_EEENS0_18inequality_wrapperIZN2at6native12_GLOBAL__N_124unique_dim_cuda_templateIsEESt5tupleIJNSH_6TensorESM_SM_EERKSM_lbbbEUlllE0_EEPmJS6_EEE10hipError_tPvRmT3_T4_T5_T6_T7_T9_mT8_P12ihipStream_tbDpT10_ENKUlT_T0_E_clISt17integral_constantIbLb0EES1C_EEDaS17_S18_EUlS17_E_NS1_11comp_targetILNS1_3genE2ELNS1_11target_archE906ELNS1_3gpuE6ELNS1_3repE0EEENS1_30default_config_static_selectorELNS0_4arch9wavefront6targetE0EEEvT1_.numbered_sgpr, 0
	.set _ZN7rocprim17ROCPRIM_400000_NS6detail17trampoline_kernelINS0_14default_configENS1_25partition_config_selectorILNS1_17partition_subalgoE8ElNS0_10empty_typeEbEEZZNS1_14partition_implILS5_8ELb0ES3_jPlPS6_PKS6_NS0_5tupleIJS9_S6_EEENSD_IJSA_SA_EEENS0_18inequality_wrapperIZN2at6native12_GLOBAL__N_124unique_dim_cuda_templateIsEESt5tupleIJNSH_6TensorESM_SM_EERKSM_lbbbEUlllE0_EEPmJS6_EEE10hipError_tPvRmT3_T4_T5_T6_T7_T9_mT8_P12ihipStream_tbDpT10_ENKUlT_T0_E_clISt17integral_constantIbLb0EES1C_EEDaS17_S18_EUlS17_E_NS1_11comp_targetILNS1_3genE2ELNS1_11target_archE906ELNS1_3gpuE6ELNS1_3repE0EEENS1_30default_config_static_selectorELNS0_4arch9wavefront6targetE0EEEvT1_.num_named_barrier, 0
	.set _ZN7rocprim17ROCPRIM_400000_NS6detail17trampoline_kernelINS0_14default_configENS1_25partition_config_selectorILNS1_17partition_subalgoE8ElNS0_10empty_typeEbEEZZNS1_14partition_implILS5_8ELb0ES3_jPlPS6_PKS6_NS0_5tupleIJS9_S6_EEENSD_IJSA_SA_EEENS0_18inequality_wrapperIZN2at6native12_GLOBAL__N_124unique_dim_cuda_templateIsEESt5tupleIJNSH_6TensorESM_SM_EERKSM_lbbbEUlllE0_EEPmJS6_EEE10hipError_tPvRmT3_T4_T5_T6_T7_T9_mT8_P12ihipStream_tbDpT10_ENKUlT_T0_E_clISt17integral_constantIbLb0EES1C_EEDaS17_S18_EUlS17_E_NS1_11comp_targetILNS1_3genE2ELNS1_11target_archE906ELNS1_3gpuE6ELNS1_3repE0EEENS1_30default_config_static_selectorELNS0_4arch9wavefront6targetE0EEEvT1_.private_seg_size, 0
	.set _ZN7rocprim17ROCPRIM_400000_NS6detail17trampoline_kernelINS0_14default_configENS1_25partition_config_selectorILNS1_17partition_subalgoE8ElNS0_10empty_typeEbEEZZNS1_14partition_implILS5_8ELb0ES3_jPlPS6_PKS6_NS0_5tupleIJS9_S6_EEENSD_IJSA_SA_EEENS0_18inequality_wrapperIZN2at6native12_GLOBAL__N_124unique_dim_cuda_templateIsEESt5tupleIJNSH_6TensorESM_SM_EERKSM_lbbbEUlllE0_EEPmJS6_EEE10hipError_tPvRmT3_T4_T5_T6_T7_T9_mT8_P12ihipStream_tbDpT10_ENKUlT_T0_E_clISt17integral_constantIbLb0EES1C_EEDaS17_S18_EUlS17_E_NS1_11comp_targetILNS1_3genE2ELNS1_11target_archE906ELNS1_3gpuE6ELNS1_3repE0EEENS1_30default_config_static_selectorELNS0_4arch9wavefront6targetE0EEEvT1_.uses_vcc, 0
	.set _ZN7rocprim17ROCPRIM_400000_NS6detail17trampoline_kernelINS0_14default_configENS1_25partition_config_selectorILNS1_17partition_subalgoE8ElNS0_10empty_typeEbEEZZNS1_14partition_implILS5_8ELb0ES3_jPlPS6_PKS6_NS0_5tupleIJS9_S6_EEENSD_IJSA_SA_EEENS0_18inequality_wrapperIZN2at6native12_GLOBAL__N_124unique_dim_cuda_templateIsEESt5tupleIJNSH_6TensorESM_SM_EERKSM_lbbbEUlllE0_EEPmJS6_EEE10hipError_tPvRmT3_T4_T5_T6_T7_T9_mT8_P12ihipStream_tbDpT10_ENKUlT_T0_E_clISt17integral_constantIbLb0EES1C_EEDaS17_S18_EUlS17_E_NS1_11comp_targetILNS1_3genE2ELNS1_11target_archE906ELNS1_3gpuE6ELNS1_3repE0EEENS1_30default_config_static_selectorELNS0_4arch9wavefront6targetE0EEEvT1_.uses_flat_scratch, 0
	.set _ZN7rocprim17ROCPRIM_400000_NS6detail17trampoline_kernelINS0_14default_configENS1_25partition_config_selectorILNS1_17partition_subalgoE8ElNS0_10empty_typeEbEEZZNS1_14partition_implILS5_8ELb0ES3_jPlPS6_PKS6_NS0_5tupleIJS9_S6_EEENSD_IJSA_SA_EEENS0_18inequality_wrapperIZN2at6native12_GLOBAL__N_124unique_dim_cuda_templateIsEESt5tupleIJNSH_6TensorESM_SM_EERKSM_lbbbEUlllE0_EEPmJS6_EEE10hipError_tPvRmT3_T4_T5_T6_T7_T9_mT8_P12ihipStream_tbDpT10_ENKUlT_T0_E_clISt17integral_constantIbLb0EES1C_EEDaS17_S18_EUlS17_E_NS1_11comp_targetILNS1_3genE2ELNS1_11target_archE906ELNS1_3gpuE6ELNS1_3repE0EEENS1_30default_config_static_selectorELNS0_4arch9wavefront6targetE0EEEvT1_.has_dyn_sized_stack, 0
	.set _ZN7rocprim17ROCPRIM_400000_NS6detail17trampoline_kernelINS0_14default_configENS1_25partition_config_selectorILNS1_17partition_subalgoE8ElNS0_10empty_typeEbEEZZNS1_14partition_implILS5_8ELb0ES3_jPlPS6_PKS6_NS0_5tupleIJS9_S6_EEENSD_IJSA_SA_EEENS0_18inequality_wrapperIZN2at6native12_GLOBAL__N_124unique_dim_cuda_templateIsEESt5tupleIJNSH_6TensorESM_SM_EERKSM_lbbbEUlllE0_EEPmJS6_EEE10hipError_tPvRmT3_T4_T5_T6_T7_T9_mT8_P12ihipStream_tbDpT10_ENKUlT_T0_E_clISt17integral_constantIbLb0EES1C_EEDaS17_S18_EUlS17_E_NS1_11comp_targetILNS1_3genE2ELNS1_11target_archE906ELNS1_3gpuE6ELNS1_3repE0EEENS1_30default_config_static_selectorELNS0_4arch9wavefront6targetE0EEEvT1_.has_recursion, 0
	.set _ZN7rocprim17ROCPRIM_400000_NS6detail17trampoline_kernelINS0_14default_configENS1_25partition_config_selectorILNS1_17partition_subalgoE8ElNS0_10empty_typeEbEEZZNS1_14partition_implILS5_8ELb0ES3_jPlPS6_PKS6_NS0_5tupleIJS9_S6_EEENSD_IJSA_SA_EEENS0_18inequality_wrapperIZN2at6native12_GLOBAL__N_124unique_dim_cuda_templateIsEESt5tupleIJNSH_6TensorESM_SM_EERKSM_lbbbEUlllE0_EEPmJS6_EEE10hipError_tPvRmT3_T4_T5_T6_T7_T9_mT8_P12ihipStream_tbDpT10_ENKUlT_T0_E_clISt17integral_constantIbLb0EES1C_EEDaS17_S18_EUlS17_E_NS1_11comp_targetILNS1_3genE2ELNS1_11target_archE906ELNS1_3gpuE6ELNS1_3repE0EEENS1_30default_config_static_selectorELNS0_4arch9wavefront6targetE0EEEvT1_.has_indirect_call, 0
	.section	.AMDGPU.csdata,"",@progbits
; Kernel info:
; codeLenInByte = 0
; TotalNumSgprs: 0
; NumVgprs: 0
; ScratchSize: 0
; MemoryBound: 0
; FloatMode: 240
; IeeeMode: 1
; LDSByteSize: 0 bytes/workgroup (compile time only)
; SGPRBlocks: 0
; VGPRBlocks: 0
; NumSGPRsForWavesPerEU: 1
; NumVGPRsForWavesPerEU: 1
; NamedBarCnt: 0
; Occupancy: 16
; WaveLimiterHint : 0
; COMPUTE_PGM_RSRC2:SCRATCH_EN: 0
; COMPUTE_PGM_RSRC2:USER_SGPR: 2
; COMPUTE_PGM_RSRC2:TRAP_HANDLER: 0
; COMPUTE_PGM_RSRC2:TGID_X_EN: 1
; COMPUTE_PGM_RSRC2:TGID_Y_EN: 0
; COMPUTE_PGM_RSRC2:TGID_Z_EN: 0
; COMPUTE_PGM_RSRC2:TIDIG_COMP_CNT: 0
	.section	.text._ZN7rocprim17ROCPRIM_400000_NS6detail17trampoline_kernelINS0_14default_configENS1_25partition_config_selectorILNS1_17partition_subalgoE8ElNS0_10empty_typeEbEEZZNS1_14partition_implILS5_8ELb0ES3_jPlPS6_PKS6_NS0_5tupleIJS9_S6_EEENSD_IJSA_SA_EEENS0_18inequality_wrapperIZN2at6native12_GLOBAL__N_124unique_dim_cuda_templateIsEESt5tupleIJNSH_6TensorESM_SM_EERKSM_lbbbEUlllE0_EEPmJS6_EEE10hipError_tPvRmT3_T4_T5_T6_T7_T9_mT8_P12ihipStream_tbDpT10_ENKUlT_T0_E_clISt17integral_constantIbLb0EES1C_EEDaS17_S18_EUlS17_E_NS1_11comp_targetILNS1_3genE10ELNS1_11target_archE1200ELNS1_3gpuE4ELNS1_3repE0EEENS1_30default_config_static_selectorELNS0_4arch9wavefront6targetE0EEEvT1_,"axG",@progbits,_ZN7rocprim17ROCPRIM_400000_NS6detail17trampoline_kernelINS0_14default_configENS1_25partition_config_selectorILNS1_17partition_subalgoE8ElNS0_10empty_typeEbEEZZNS1_14partition_implILS5_8ELb0ES3_jPlPS6_PKS6_NS0_5tupleIJS9_S6_EEENSD_IJSA_SA_EEENS0_18inequality_wrapperIZN2at6native12_GLOBAL__N_124unique_dim_cuda_templateIsEESt5tupleIJNSH_6TensorESM_SM_EERKSM_lbbbEUlllE0_EEPmJS6_EEE10hipError_tPvRmT3_T4_T5_T6_T7_T9_mT8_P12ihipStream_tbDpT10_ENKUlT_T0_E_clISt17integral_constantIbLb0EES1C_EEDaS17_S18_EUlS17_E_NS1_11comp_targetILNS1_3genE10ELNS1_11target_archE1200ELNS1_3gpuE4ELNS1_3repE0EEENS1_30default_config_static_selectorELNS0_4arch9wavefront6targetE0EEEvT1_,comdat
	.globl	_ZN7rocprim17ROCPRIM_400000_NS6detail17trampoline_kernelINS0_14default_configENS1_25partition_config_selectorILNS1_17partition_subalgoE8ElNS0_10empty_typeEbEEZZNS1_14partition_implILS5_8ELb0ES3_jPlPS6_PKS6_NS0_5tupleIJS9_S6_EEENSD_IJSA_SA_EEENS0_18inequality_wrapperIZN2at6native12_GLOBAL__N_124unique_dim_cuda_templateIsEESt5tupleIJNSH_6TensorESM_SM_EERKSM_lbbbEUlllE0_EEPmJS6_EEE10hipError_tPvRmT3_T4_T5_T6_T7_T9_mT8_P12ihipStream_tbDpT10_ENKUlT_T0_E_clISt17integral_constantIbLb0EES1C_EEDaS17_S18_EUlS17_E_NS1_11comp_targetILNS1_3genE10ELNS1_11target_archE1200ELNS1_3gpuE4ELNS1_3repE0EEENS1_30default_config_static_selectorELNS0_4arch9wavefront6targetE0EEEvT1_ ; -- Begin function _ZN7rocprim17ROCPRIM_400000_NS6detail17trampoline_kernelINS0_14default_configENS1_25partition_config_selectorILNS1_17partition_subalgoE8ElNS0_10empty_typeEbEEZZNS1_14partition_implILS5_8ELb0ES3_jPlPS6_PKS6_NS0_5tupleIJS9_S6_EEENSD_IJSA_SA_EEENS0_18inequality_wrapperIZN2at6native12_GLOBAL__N_124unique_dim_cuda_templateIsEESt5tupleIJNSH_6TensorESM_SM_EERKSM_lbbbEUlllE0_EEPmJS6_EEE10hipError_tPvRmT3_T4_T5_T6_T7_T9_mT8_P12ihipStream_tbDpT10_ENKUlT_T0_E_clISt17integral_constantIbLb0EES1C_EEDaS17_S18_EUlS17_E_NS1_11comp_targetILNS1_3genE10ELNS1_11target_archE1200ELNS1_3gpuE4ELNS1_3repE0EEENS1_30default_config_static_selectorELNS0_4arch9wavefront6targetE0EEEvT1_
	.p2align	8
	.type	_ZN7rocprim17ROCPRIM_400000_NS6detail17trampoline_kernelINS0_14default_configENS1_25partition_config_selectorILNS1_17partition_subalgoE8ElNS0_10empty_typeEbEEZZNS1_14partition_implILS5_8ELb0ES3_jPlPS6_PKS6_NS0_5tupleIJS9_S6_EEENSD_IJSA_SA_EEENS0_18inequality_wrapperIZN2at6native12_GLOBAL__N_124unique_dim_cuda_templateIsEESt5tupleIJNSH_6TensorESM_SM_EERKSM_lbbbEUlllE0_EEPmJS6_EEE10hipError_tPvRmT3_T4_T5_T6_T7_T9_mT8_P12ihipStream_tbDpT10_ENKUlT_T0_E_clISt17integral_constantIbLb0EES1C_EEDaS17_S18_EUlS17_E_NS1_11comp_targetILNS1_3genE10ELNS1_11target_archE1200ELNS1_3gpuE4ELNS1_3repE0EEENS1_30default_config_static_selectorELNS0_4arch9wavefront6targetE0EEEvT1_,@function
_ZN7rocprim17ROCPRIM_400000_NS6detail17trampoline_kernelINS0_14default_configENS1_25partition_config_selectorILNS1_17partition_subalgoE8ElNS0_10empty_typeEbEEZZNS1_14partition_implILS5_8ELb0ES3_jPlPS6_PKS6_NS0_5tupleIJS9_S6_EEENSD_IJSA_SA_EEENS0_18inequality_wrapperIZN2at6native12_GLOBAL__N_124unique_dim_cuda_templateIsEESt5tupleIJNSH_6TensorESM_SM_EERKSM_lbbbEUlllE0_EEPmJS6_EEE10hipError_tPvRmT3_T4_T5_T6_T7_T9_mT8_P12ihipStream_tbDpT10_ENKUlT_T0_E_clISt17integral_constantIbLb0EES1C_EEDaS17_S18_EUlS17_E_NS1_11comp_targetILNS1_3genE10ELNS1_11target_archE1200ELNS1_3gpuE4ELNS1_3repE0EEENS1_30default_config_static_selectorELNS0_4arch9wavefront6targetE0EEEvT1_: ; @_ZN7rocprim17ROCPRIM_400000_NS6detail17trampoline_kernelINS0_14default_configENS1_25partition_config_selectorILNS1_17partition_subalgoE8ElNS0_10empty_typeEbEEZZNS1_14partition_implILS5_8ELb0ES3_jPlPS6_PKS6_NS0_5tupleIJS9_S6_EEENSD_IJSA_SA_EEENS0_18inequality_wrapperIZN2at6native12_GLOBAL__N_124unique_dim_cuda_templateIsEESt5tupleIJNSH_6TensorESM_SM_EERKSM_lbbbEUlllE0_EEPmJS6_EEE10hipError_tPvRmT3_T4_T5_T6_T7_T9_mT8_P12ihipStream_tbDpT10_ENKUlT_T0_E_clISt17integral_constantIbLb0EES1C_EEDaS17_S18_EUlS17_E_NS1_11comp_targetILNS1_3genE10ELNS1_11target_archE1200ELNS1_3gpuE4ELNS1_3repE0EEENS1_30default_config_static_selectorELNS0_4arch9wavefront6targetE0EEEvT1_
; %bb.0:
	.section	.rodata,"a",@progbits
	.p2align	6, 0x0
	.amdhsa_kernel _ZN7rocprim17ROCPRIM_400000_NS6detail17trampoline_kernelINS0_14default_configENS1_25partition_config_selectorILNS1_17partition_subalgoE8ElNS0_10empty_typeEbEEZZNS1_14partition_implILS5_8ELb0ES3_jPlPS6_PKS6_NS0_5tupleIJS9_S6_EEENSD_IJSA_SA_EEENS0_18inequality_wrapperIZN2at6native12_GLOBAL__N_124unique_dim_cuda_templateIsEESt5tupleIJNSH_6TensorESM_SM_EERKSM_lbbbEUlllE0_EEPmJS6_EEE10hipError_tPvRmT3_T4_T5_T6_T7_T9_mT8_P12ihipStream_tbDpT10_ENKUlT_T0_E_clISt17integral_constantIbLb0EES1C_EEDaS17_S18_EUlS17_E_NS1_11comp_targetILNS1_3genE10ELNS1_11target_archE1200ELNS1_3gpuE4ELNS1_3repE0EEENS1_30default_config_static_selectorELNS0_4arch9wavefront6targetE0EEEvT1_
		.amdhsa_group_segment_fixed_size 0
		.amdhsa_private_segment_fixed_size 0
		.amdhsa_kernarg_size 120
		.amdhsa_user_sgpr_count 2
		.amdhsa_user_sgpr_dispatch_ptr 0
		.amdhsa_user_sgpr_queue_ptr 0
		.amdhsa_user_sgpr_kernarg_segment_ptr 1
		.amdhsa_user_sgpr_dispatch_id 0
		.amdhsa_user_sgpr_kernarg_preload_length 0
		.amdhsa_user_sgpr_kernarg_preload_offset 0
		.amdhsa_user_sgpr_private_segment_size 0
		.amdhsa_wavefront_size32 1
		.amdhsa_uses_dynamic_stack 0
		.amdhsa_enable_private_segment 0
		.amdhsa_system_sgpr_workgroup_id_x 1
		.amdhsa_system_sgpr_workgroup_id_y 0
		.amdhsa_system_sgpr_workgroup_id_z 0
		.amdhsa_system_sgpr_workgroup_info 0
		.amdhsa_system_vgpr_workitem_id 0
		.amdhsa_next_free_vgpr 1
		.amdhsa_next_free_sgpr 1
		.amdhsa_named_barrier_count 0
		.amdhsa_reserve_vcc 0
		.amdhsa_float_round_mode_32 0
		.amdhsa_float_round_mode_16_64 0
		.amdhsa_float_denorm_mode_32 3
		.amdhsa_float_denorm_mode_16_64 3
		.amdhsa_fp16_overflow 0
		.amdhsa_memory_ordered 1
		.amdhsa_forward_progress 1
		.amdhsa_inst_pref_size 0
		.amdhsa_round_robin_scheduling 0
		.amdhsa_exception_fp_ieee_invalid_op 0
		.amdhsa_exception_fp_denorm_src 0
		.amdhsa_exception_fp_ieee_div_zero 0
		.amdhsa_exception_fp_ieee_overflow 0
		.amdhsa_exception_fp_ieee_underflow 0
		.amdhsa_exception_fp_ieee_inexact 0
		.amdhsa_exception_int_div_zero 0
	.end_amdhsa_kernel
	.section	.text._ZN7rocprim17ROCPRIM_400000_NS6detail17trampoline_kernelINS0_14default_configENS1_25partition_config_selectorILNS1_17partition_subalgoE8ElNS0_10empty_typeEbEEZZNS1_14partition_implILS5_8ELb0ES3_jPlPS6_PKS6_NS0_5tupleIJS9_S6_EEENSD_IJSA_SA_EEENS0_18inequality_wrapperIZN2at6native12_GLOBAL__N_124unique_dim_cuda_templateIsEESt5tupleIJNSH_6TensorESM_SM_EERKSM_lbbbEUlllE0_EEPmJS6_EEE10hipError_tPvRmT3_T4_T5_T6_T7_T9_mT8_P12ihipStream_tbDpT10_ENKUlT_T0_E_clISt17integral_constantIbLb0EES1C_EEDaS17_S18_EUlS17_E_NS1_11comp_targetILNS1_3genE10ELNS1_11target_archE1200ELNS1_3gpuE4ELNS1_3repE0EEENS1_30default_config_static_selectorELNS0_4arch9wavefront6targetE0EEEvT1_,"axG",@progbits,_ZN7rocprim17ROCPRIM_400000_NS6detail17trampoline_kernelINS0_14default_configENS1_25partition_config_selectorILNS1_17partition_subalgoE8ElNS0_10empty_typeEbEEZZNS1_14partition_implILS5_8ELb0ES3_jPlPS6_PKS6_NS0_5tupleIJS9_S6_EEENSD_IJSA_SA_EEENS0_18inequality_wrapperIZN2at6native12_GLOBAL__N_124unique_dim_cuda_templateIsEESt5tupleIJNSH_6TensorESM_SM_EERKSM_lbbbEUlllE0_EEPmJS6_EEE10hipError_tPvRmT3_T4_T5_T6_T7_T9_mT8_P12ihipStream_tbDpT10_ENKUlT_T0_E_clISt17integral_constantIbLb0EES1C_EEDaS17_S18_EUlS17_E_NS1_11comp_targetILNS1_3genE10ELNS1_11target_archE1200ELNS1_3gpuE4ELNS1_3repE0EEENS1_30default_config_static_selectorELNS0_4arch9wavefront6targetE0EEEvT1_,comdat
.Lfunc_end690:
	.size	_ZN7rocprim17ROCPRIM_400000_NS6detail17trampoline_kernelINS0_14default_configENS1_25partition_config_selectorILNS1_17partition_subalgoE8ElNS0_10empty_typeEbEEZZNS1_14partition_implILS5_8ELb0ES3_jPlPS6_PKS6_NS0_5tupleIJS9_S6_EEENSD_IJSA_SA_EEENS0_18inequality_wrapperIZN2at6native12_GLOBAL__N_124unique_dim_cuda_templateIsEESt5tupleIJNSH_6TensorESM_SM_EERKSM_lbbbEUlllE0_EEPmJS6_EEE10hipError_tPvRmT3_T4_T5_T6_T7_T9_mT8_P12ihipStream_tbDpT10_ENKUlT_T0_E_clISt17integral_constantIbLb0EES1C_EEDaS17_S18_EUlS17_E_NS1_11comp_targetILNS1_3genE10ELNS1_11target_archE1200ELNS1_3gpuE4ELNS1_3repE0EEENS1_30default_config_static_selectorELNS0_4arch9wavefront6targetE0EEEvT1_, .Lfunc_end690-_ZN7rocprim17ROCPRIM_400000_NS6detail17trampoline_kernelINS0_14default_configENS1_25partition_config_selectorILNS1_17partition_subalgoE8ElNS0_10empty_typeEbEEZZNS1_14partition_implILS5_8ELb0ES3_jPlPS6_PKS6_NS0_5tupleIJS9_S6_EEENSD_IJSA_SA_EEENS0_18inequality_wrapperIZN2at6native12_GLOBAL__N_124unique_dim_cuda_templateIsEESt5tupleIJNSH_6TensorESM_SM_EERKSM_lbbbEUlllE0_EEPmJS6_EEE10hipError_tPvRmT3_T4_T5_T6_T7_T9_mT8_P12ihipStream_tbDpT10_ENKUlT_T0_E_clISt17integral_constantIbLb0EES1C_EEDaS17_S18_EUlS17_E_NS1_11comp_targetILNS1_3genE10ELNS1_11target_archE1200ELNS1_3gpuE4ELNS1_3repE0EEENS1_30default_config_static_selectorELNS0_4arch9wavefront6targetE0EEEvT1_
                                        ; -- End function
	.set _ZN7rocprim17ROCPRIM_400000_NS6detail17trampoline_kernelINS0_14default_configENS1_25partition_config_selectorILNS1_17partition_subalgoE8ElNS0_10empty_typeEbEEZZNS1_14partition_implILS5_8ELb0ES3_jPlPS6_PKS6_NS0_5tupleIJS9_S6_EEENSD_IJSA_SA_EEENS0_18inequality_wrapperIZN2at6native12_GLOBAL__N_124unique_dim_cuda_templateIsEESt5tupleIJNSH_6TensorESM_SM_EERKSM_lbbbEUlllE0_EEPmJS6_EEE10hipError_tPvRmT3_T4_T5_T6_T7_T9_mT8_P12ihipStream_tbDpT10_ENKUlT_T0_E_clISt17integral_constantIbLb0EES1C_EEDaS17_S18_EUlS17_E_NS1_11comp_targetILNS1_3genE10ELNS1_11target_archE1200ELNS1_3gpuE4ELNS1_3repE0EEENS1_30default_config_static_selectorELNS0_4arch9wavefront6targetE0EEEvT1_.num_vgpr, 0
	.set _ZN7rocprim17ROCPRIM_400000_NS6detail17trampoline_kernelINS0_14default_configENS1_25partition_config_selectorILNS1_17partition_subalgoE8ElNS0_10empty_typeEbEEZZNS1_14partition_implILS5_8ELb0ES3_jPlPS6_PKS6_NS0_5tupleIJS9_S6_EEENSD_IJSA_SA_EEENS0_18inequality_wrapperIZN2at6native12_GLOBAL__N_124unique_dim_cuda_templateIsEESt5tupleIJNSH_6TensorESM_SM_EERKSM_lbbbEUlllE0_EEPmJS6_EEE10hipError_tPvRmT3_T4_T5_T6_T7_T9_mT8_P12ihipStream_tbDpT10_ENKUlT_T0_E_clISt17integral_constantIbLb0EES1C_EEDaS17_S18_EUlS17_E_NS1_11comp_targetILNS1_3genE10ELNS1_11target_archE1200ELNS1_3gpuE4ELNS1_3repE0EEENS1_30default_config_static_selectorELNS0_4arch9wavefront6targetE0EEEvT1_.num_agpr, 0
	.set _ZN7rocprim17ROCPRIM_400000_NS6detail17trampoline_kernelINS0_14default_configENS1_25partition_config_selectorILNS1_17partition_subalgoE8ElNS0_10empty_typeEbEEZZNS1_14partition_implILS5_8ELb0ES3_jPlPS6_PKS6_NS0_5tupleIJS9_S6_EEENSD_IJSA_SA_EEENS0_18inequality_wrapperIZN2at6native12_GLOBAL__N_124unique_dim_cuda_templateIsEESt5tupleIJNSH_6TensorESM_SM_EERKSM_lbbbEUlllE0_EEPmJS6_EEE10hipError_tPvRmT3_T4_T5_T6_T7_T9_mT8_P12ihipStream_tbDpT10_ENKUlT_T0_E_clISt17integral_constantIbLb0EES1C_EEDaS17_S18_EUlS17_E_NS1_11comp_targetILNS1_3genE10ELNS1_11target_archE1200ELNS1_3gpuE4ELNS1_3repE0EEENS1_30default_config_static_selectorELNS0_4arch9wavefront6targetE0EEEvT1_.numbered_sgpr, 0
	.set _ZN7rocprim17ROCPRIM_400000_NS6detail17trampoline_kernelINS0_14default_configENS1_25partition_config_selectorILNS1_17partition_subalgoE8ElNS0_10empty_typeEbEEZZNS1_14partition_implILS5_8ELb0ES3_jPlPS6_PKS6_NS0_5tupleIJS9_S6_EEENSD_IJSA_SA_EEENS0_18inequality_wrapperIZN2at6native12_GLOBAL__N_124unique_dim_cuda_templateIsEESt5tupleIJNSH_6TensorESM_SM_EERKSM_lbbbEUlllE0_EEPmJS6_EEE10hipError_tPvRmT3_T4_T5_T6_T7_T9_mT8_P12ihipStream_tbDpT10_ENKUlT_T0_E_clISt17integral_constantIbLb0EES1C_EEDaS17_S18_EUlS17_E_NS1_11comp_targetILNS1_3genE10ELNS1_11target_archE1200ELNS1_3gpuE4ELNS1_3repE0EEENS1_30default_config_static_selectorELNS0_4arch9wavefront6targetE0EEEvT1_.num_named_barrier, 0
	.set _ZN7rocprim17ROCPRIM_400000_NS6detail17trampoline_kernelINS0_14default_configENS1_25partition_config_selectorILNS1_17partition_subalgoE8ElNS0_10empty_typeEbEEZZNS1_14partition_implILS5_8ELb0ES3_jPlPS6_PKS6_NS0_5tupleIJS9_S6_EEENSD_IJSA_SA_EEENS0_18inequality_wrapperIZN2at6native12_GLOBAL__N_124unique_dim_cuda_templateIsEESt5tupleIJNSH_6TensorESM_SM_EERKSM_lbbbEUlllE0_EEPmJS6_EEE10hipError_tPvRmT3_T4_T5_T6_T7_T9_mT8_P12ihipStream_tbDpT10_ENKUlT_T0_E_clISt17integral_constantIbLb0EES1C_EEDaS17_S18_EUlS17_E_NS1_11comp_targetILNS1_3genE10ELNS1_11target_archE1200ELNS1_3gpuE4ELNS1_3repE0EEENS1_30default_config_static_selectorELNS0_4arch9wavefront6targetE0EEEvT1_.private_seg_size, 0
	.set _ZN7rocprim17ROCPRIM_400000_NS6detail17trampoline_kernelINS0_14default_configENS1_25partition_config_selectorILNS1_17partition_subalgoE8ElNS0_10empty_typeEbEEZZNS1_14partition_implILS5_8ELb0ES3_jPlPS6_PKS6_NS0_5tupleIJS9_S6_EEENSD_IJSA_SA_EEENS0_18inequality_wrapperIZN2at6native12_GLOBAL__N_124unique_dim_cuda_templateIsEESt5tupleIJNSH_6TensorESM_SM_EERKSM_lbbbEUlllE0_EEPmJS6_EEE10hipError_tPvRmT3_T4_T5_T6_T7_T9_mT8_P12ihipStream_tbDpT10_ENKUlT_T0_E_clISt17integral_constantIbLb0EES1C_EEDaS17_S18_EUlS17_E_NS1_11comp_targetILNS1_3genE10ELNS1_11target_archE1200ELNS1_3gpuE4ELNS1_3repE0EEENS1_30default_config_static_selectorELNS0_4arch9wavefront6targetE0EEEvT1_.uses_vcc, 0
	.set _ZN7rocprim17ROCPRIM_400000_NS6detail17trampoline_kernelINS0_14default_configENS1_25partition_config_selectorILNS1_17partition_subalgoE8ElNS0_10empty_typeEbEEZZNS1_14partition_implILS5_8ELb0ES3_jPlPS6_PKS6_NS0_5tupleIJS9_S6_EEENSD_IJSA_SA_EEENS0_18inequality_wrapperIZN2at6native12_GLOBAL__N_124unique_dim_cuda_templateIsEESt5tupleIJNSH_6TensorESM_SM_EERKSM_lbbbEUlllE0_EEPmJS6_EEE10hipError_tPvRmT3_T4_T5_T6_T7_T9_mT8_P12ihipStream_tbDpT10_ENKUlT_T0_E_clISt17integral_constantIbLb0EES1C_EEDaS17_S18_EUlS17_E_NS1_11comp_targetILNS1_3genE10ELNS1_11target_archE1200ELNS1_3gpuE4ELNS1_3repE0EEENS1_30default_config_static_selectorELNS0_4arch9wavefront6targetE0EEEvT1_.uses_flat_scratch, 0
	.set _ZN7rocprim17ROCPRIM_400000_NS6detail17trampoline_kernelINS0_14default_configENS1_25partition_config_selectorILNS1_17partition_subalgoE8ElNS0_10empty_typeEbEEZZNS1_14partition_implILS5_8ELb0ES3_jPlPS6_PKS6_NS0_5tupleIJS9_S6_EEENSD_IJSA_SA_EEENS0_18inequality_wrapperIZN2at6native12_GLOBAL__N_124unique_dim_cuda_templateIsEESt5tupleIJNSH_6TensorESM_SM_EERKSM_lbbbEUlllE0_EEPmJS6_EEE10hipError_tPvRmT3_T4_T5_T6_T7_T9_mT8_P12ihipStream_tbDpT10_ENKUlT_T0_E_clISt17integral_constantIbLb0EES1C_EEDaS17_S18_EUlS17_E_NS1_11comp_targetILNS1_3genE10ELNS1_11target_archE1200ELNS1_3gpuE4ELNS1_3repE0EEENS1_30default_config_static_selectorELNS0_4arch9wavefront6targetE0EEEvT1_.has_dyn_sized_stack, 0
	.set _ZN7rocprim17ROCPRIM_400000_NS6detail17trampoline_kernelINS0_14default_configENS1_25partition_config_selectorILNS1_17partition_subalgoE8ElNS0_10empty_typeEbEEZZNS1_14partition_implILS5_8ELb0ES3_jPlPS6_PKS6_NS0_5tupleIJS9_S6_EEENSD_IJSA_SA_EEENS0_18inequality_wrapperIZN2at6native12_GLOBAL__N_124unique_dim_cuda_templateIsEESt5tupleIJNSH_6TensorESM_SM_EERKSM_lbbbEUlllE0_EEPmJS6_EEE10hipError_tPvRmT3_T4_T5_T6_T7_T9_mT8_P12ihipStream_tbDpT10_ENKUlT_T0_E_clISt17integral_constantIbLb0EES1C_EEDaS17_S18_EUlS17_E_NS1_11comp_targetILNS1_3genE10ELNS1_11target_archE1200ELNS1_3gpuE4ELNS1_3repE0EEENS1_30default_config_static_selectorELNS0_4arch9wavefront6targetE0EEEvT1_.has_recursion, 0
	.set _ZN7rocprim17ROCPRIM_400000_NS6detail17trampoline_kernelINS0_14default_configENS1_25partition_config_selectorILNS1_17partition_subalgoE8ElNS0_10empty_typeEbEEZZNS1_14partition_implILS5_8ELb0ES3_jPlPS6_PKS6_NS0_5tupleIJS9_S6_EEENSD_IJSA_SA_EEENS0_18inequality_wrapperIZN2at6native12_GLOBAL__N_124unique_dim_cuda_templateIsEESt5tupleIJNSH_6TensorESM_SM_EERKSM_lbbbEUlllE0_EEPmJS6_EEE10hipError_tPvRmT3_T4_T5_T6_T7_T9_mT8_P12ihipStream_tbDpT10_ENKUlT_T0_E_clISt17integral_constantIbLb0EES1C_EEDaS17_S18_EUlS17_E_NS1_11comp_targetILNS1_3genE10ELNS1_11target_archE1200ELNS1_3gpuE4ELNS1_3repE0EEENS1_30default_config_static_selectorELNS0_4arch9wavefront6targetE0EEEvT1_.has_indirect_call, 0
	.section	.AMDGPU.csdata,"",@progbits
; Kernel info:
; codeLenInByte = 0
; TotalNumSgprs: 0
; NumVgprs: 0
; ScratchSize: 0
; MemoryBound: 0
; FloatMode: 240
; IeeeMode: 1
; LDSByteSize: 0 bytes/workgroup (compile time only)
; SGPRBlocks: 0
; VGPRBlocks: 0
; NumSGPRsForWavesPerEU: 1
; NumVGPRsForWavesPerEU: 1
; NamedBarCnt: 0
; Occupancy: 16
; WaveLimiterHint : 0
; COMPUTE_PGM_RSRC2:SCRATCH_EN: 0
; COMPUTE_PGM_RSRC2:USER_SGPR: 2
; COMPUTE_PGM_RSRC2:TRAP_HANDLER: 0
; COMPUTE_PGM_RSRC2:TGID_X_EN: 1
; COMPUTE_PGM_RSRC2:TGID_Y_EN: 0
; COMPUTE_PGM_RSRC2:TGID_Z_EN: 0
; COMPUTE_PGM_RSRC2:TIDIG_COMP_CNT: 0
	.section	.text._ZN7rocprim17ROCPRIM_400000_NS6detail17trampoline_kernelINS0_14default_configENS1_25partition_config_selectorILNS1_17partition_subalgoE8ElNS0_10empty_typeEbEEZZNS1_14partition_implILS5_8ELb0ES3_jPlPS6_PKS6_NS0_5tupleIJS9_S6_EEENSD_IJSA_SA_EEENS0_18inequality_wrapperIZN2at6native12_GLOBAL__N_124unique_dim_cuda_templateIsEESt5tupleIJNSH_6TensorESM_SM_EERKSM_lbbbEUlllE0_EEPmJS6_EEE10hipError_tPvRmT3_T4_T5_T6_T7_T9_mT8_P12ihipStream_tbDpT10_ENKUlT_T0_E_clISt17integral_constantIbLb0EES1C_EEDaS17_S18_EUlS17_E_NS1_11comp_targetILNS1_3genE9ELNS1_11target_archE1100ELNS1_3gpuE3ELNS1_3repE0EEENS1_30default_config_static_selectorELNS0_4arch9wavefront6targetE0EEEvT1_,"axG",@progbits,_ZN7rocprim17ROCPRIM_400000_NS6detail17trampoline_kernelINS0_14default_configENS1_25partition_config_selectorILNS1_17partition_subalgoE8ElNS0_10empty_typeEbEEZZNS1_14partition_implILS5_8ELb0ES3_jPlPS6_PKS6_NS0_5tupleIJS9_S6_EEENSD_IJSA_SA_EEENS0_18inequality_wrapperIZN2at6native12_GLOBAL__N_124unique_dim_cuda_templateIsEESt5tupleIJNSH_6TensorESM_SM_EERKSM_lbbbEUlllE0_EEPmJS6_EEE10hipError_tPvRmT3_T4_T5_T6_T7_T9_mT8_P12ihipStream_tbDpT10_ENKUlT_T0_E_clISt17integral_constantIbLb0EES1C_EEDaS17_S18_EUlS17_E_NS1_11comp_targetILNS1_3genE9ELNS1_11target_archE1100ELNS1_3gpuE3ELNS1_3repE0EEENS1_30default_config_static_selectorELNS0_4arch9wavefront6targetE0EEEvT1_,comdat
	.globl	_ZN7rocprim17ROCPRIM_400000_NS6detail17trampoline_kernelINS0_14default_configENS1_25partition_config_selectorILNS1_17partition_subalgoE8ElNS0_10empty_typeEbEEZZNS1_14partition_implILS5_8ELb0ES3_jPlPS6_PKS6_NS0_5tupleIJS9_S6_EEENSD_IJSA_SA_EEENS0_18inequality_wrapperIZN2at6native12_GLOBAL__N_124unique_dim_cuda_templateIsEESt5tupleIJNSH_6TensorESM_SM_EERKSM_lbbbEUlllE0_EEPmJS6_EEE10hipError_tPvRmT3_T4_T5_T6_T7_T9_mT8_P12ihipStream_tbDpT10_ENKUlT_T0_E_clISt17integral_constantIbLb0EES1C_EEDaS17_S18_EUlS17_E_NS1_11comp_targetILNS1_3genE9ELNS1_11target_archE1100ELNS1_3gpuE3ELNS1_3repE0EEENS1_30default_config_static_selectorELNS0_4arch9wavefront6targetE0EEEvT1_ ; -- Begin function _ZN7rocprim17ROCPRIM_400000_NS6detail17trampoline_kernelINS0_14default_configENS1_25partition_config_selectorILNS1_17partition_subalgoE8ElNS0_10empty_typeEbEEZZNS1_14partition_implILS5_8ELb0ES3_jPlPS6_PKS6_NS0_5tupleIJS9_S6_EEENSD_IJSA_SA_EEENS0_18inequality_wrapperIZN2at6native12_GLOBAL__N_124unique_dim_cuda_templateIsEESt5tupleIJNSH_6TensorESM_SM_EERKSM_lbbbEUlllE0_EEPmJS6_EEE10hipError_tPvRmT3_T4_T5_T6_T7_T9_mT8_P12ihipStream_tbDpT10_ENKUlT_T0_E_clISt17integral_constantIbLb0EES1C_EEDaS17_S18_EUlS17_E_NS1_11comp_targetILNS1_3genE9ELNS1_11target_archE1100ELNS1_3gpuE3ELNS1_3repE0EEENS1_30default_config_static_selectorELNS0_4arch9wavefront6targetE0EEEvT1_
	.p2align	8
	.type	_ZN7rocprim17ROCPRIM_400000_NS6detail17trampoline_kernelINS0_14default_configENS1_25partition_config_selectorILNS1_17partition_subalgoE8ElNS0_10empty_typeEbEEZZNS1_14partition_implILS5_8ELb0ES3_jPlPS6_PKS6_NS0_5tupleIJS9_S6_EEENSD_IJSA_SA_EEENS0_18inequality_wrapperIZN2at6native12_GLOBAL__N_124unique_dim_cuda_templateIsEESt5tupleIJNSH_6TensorESM_SM_EERKSM_lbbbEUlllE0_EEPmJS6_EEE10hipError_tPvRmT3_T4_T5_T6_T7_T9_mT8_P12ihipStream_tbDpT10_ENKUlT_T0_E_clISt17integral_constantIbLb0EES1C_EEDaS17_S18_EUlS17_E_NS1_11comp_targetILNS1_3genE9ELNS1_11target_archE1100ELNS1_3gpuE3ELNS1_3repE0EEENS1_30default_config_static_selectorELNS0_4arch9wavefront6targetE0EEEvT1_,@function
_ZN7rocprim17ROCPRIM_400000_NS6detail17trampoline_kernelINS0_14default_configENS1_25partition_config_selectorILNS1_17partition_subalgoE8ElNS0_10empty_typeEbEEZZNS1_14partition_implILS5_8ELb0ES3_jPlPS6_PKS6_NS0_5tupleIJS9_S6_EEENSD_IJSA_SA_EEENS0_18inequality_wrapperIZN2at6native12_GLOBAL__N_124unique_dim_cuda_templateIsEESt5tupleIJNSH_6TensorESM_SM_EERKSM_lbbbEUlllE0_EEPmJS6_EEE10hipError_tPvRmT3_T4_T5_T6_T7_T9_mT8_P12ihipStream_tbDpT10_ENKUlT_T0_E_clISt17integral_constantIbLb0EES1C_EEDaS17_S18_EUlS17_E_NS1_11comp_targetILNS1_3genE9ELNS1_11target_archE1100ELNS1_3gpuE3ELNS1_3repE0EEENS1_30default_config_static_selectorELNS0_4arch9wavefront6targetE0EEEvT1_: ; @_ZN7rocprim17ROCPRIM_400000_NS6detail17trampoline_kernelINS0_14default_configENS1_25partition_config_selectorILNS1_17partition_subalgoE8ElNS0_10empty_typeEbEEZZNS1_14partition_implILS5_8ELb0ES3_jPlPS6_PKS6_NS0_5tupleIJS9_S6_EEENSD_IJSA_SA_EEENS0_18inequality_wrapperIZN2at6native12_GLOBAL__N_124unique_dim_cuda_templateIsEESt5tupleIJNSH_6TensorESM_SM_EERKSM_lbbbEUlllE0_EEPmJS6_EEE10hipError_tPvRmT3_T4_T5_T6_T7_T9_mT8_P12ihipStream_tbDpT10_ENKUlT_T0_E_clISt17integral_constantIbLb0EES1C_EEDaS17_S18_EUlS17_E_NS1_11comp_targetILNS1_3genE9ELNS1_11target_archE1100ELNS1_3gpuE3ELNS1_3repE0EEENS1_30default_config_static_selectorELNS0_4arch9wavefront6targetE0EEEvT1_
; %bb.0:
	.section	.rodata,"a",@progbits
	.p2align	6, 0x0
	.amdhsa_kernel _ZN7rocprim17ROCPRIM_400000_NS6detail17trampoline_kernelINS0_14default_configENS1_25partition_config_selectorILNS1_17partition_subalgoE8ElNS0_10empty_typeEbEEZZNS1_14partition_implILS5_8ELb0ES3_jPlPS6_PKS6_NS0_5tupleIJS9_S6_EEENSD_IJSA_SA_EEENS0_18inequality_wrapperIZN2at6native12_GLOBAL__N_124unique_dim_cuda_templateIsEESt5tupleIJNSH_6TensorESM_SM_EERKSM_lbbbEUlllE0_EEPmJS6_EEE10hipError_tPvRmT3_T4_T5_T6_T7_T9_mT8_P12ihipStream_tbDpT10_ENKUlT_T0_E_clISt17integral_constantIbLb0EES1C_EEDaS17_S18_EUlS17_E_NS1_11comp_targetILNS1_3genE9ELNS1_11target_archE1100ELNS1_3gpuE3ELNS1_3repE0EEENS1_30default_config_static_selectorELNS0_4arch9wavefront6targetE0EEEvT1_
		.amdhsa_group_segment_fixed_size 0
		.amdhsa_private_segment_fixed_size 0
		.amdhsa_kernarg_size 120
		.amdhsa_user_sgpr_count 2
		.amdhsa_user_sgpr_dispatch_ptr 0
		.amdhsa_user_sgpr_queue_ptr 0
		.amdhsa_user_sgpr_kernarg_segment_ptr 1
		.amdhsa_user_sgpr_dispatch_id 0
		.amdhsa_user_sgpr_kernarg_preload_length 0
		.amdhsa_user_sgpr_kernarg_preload_offset 0
		.amdhsa_user_sgpr_private_segment_size 0
		.amdhsa_wavefront_size32 1
		.amdhsa_uses_dynamic_stack 0
		.amdhsa_enable_private_segment 0
		.amdhsa_system_sgpr_workgroup_id_x 1
		.amdhsa_system_sgpr_workgroup_id_y 0
		.amdhsa_system_sgpr_workgroup_id_z 0
		.amdhsa_system_sgpr_workgroup_info 0
		.amdhsa_system_vgpr_workitem_id 0
		.amdhsa_next_free_vgpr 1
		.amdhsa_next_free_sgpr 1
		.amdhsa_named_barrier_count 0
		.amdhsa_reserve_vcc 0
		.amdhsa_float_round_mode_32 0
		.amdhsa_float_round_mode_16_64 0
		.amdhsa_float_denorm_mode_32 3
		.amdhsa_float_denorm_mode_16_64 3
		.amdhsa_fp16_overflow 0
		.amdhsa_memory_ordered 1
		.amdhsa_forward_progress 1
		.amdhsa_inst_pref_size 0
		.amdhsa_round_robin_scheduling 0
		.amdhsa_exception_fp_ieee_invalid_op 0
		.amdhsa_exception_fp_denorm_src 0
		.amdhsa_exception_fp_ieee_div_zero 0
		.amdhsa_exception_fp_ieee_overflow 0
		.amdhsa_exception_fp_ieee_underflow 0
		.amdhsa_exception_fp_ieee_inexact 0
		.amdhsa_exception_int_div_zero 0
	.end_amdhsa_kernel
	.section	.text._ZN7rocprim17ROCPRIM_400000_NS6detail17trampoline_kernelINS0_14default_configENS1_25partition_config_selectorILNS1_17partition_subalgoE8ElNS0_10empty_typeEbEEZZNS1_14partition_implILS5_8ELb0ES3_jPlPS6_PKS6_NS0_5tupleIJS9_S6_EEENSD_IJSA_SA_EEENS0_18inequality_wrapperIZN2at6native12_GLOBAL__N_124unique_dim_cuda_templateIsEESt5tupleIJNSH_6TensorESM_SM_EERKSM_lbbbEUlllE0_EEPmJS6_EEE10hipError_tPvRmT3_T4_T5_T6_T7_T9_mT8_P12ihipStream_tbDpT10_ENKUlT_T0_E_clISt17integral_constantIbLb0EES1C_EEDaS17_S18_EUlS17_E_NS1_11comp_targetILNS1_3genE9ELNS1_11target_archE1100ELNS1_3gpuE3ELNS1_3repE0EEENS1_30default_config_static_selectorELNS0_4arch9wavefront6targetE0EEEvT1_,"axG",@progbits,_ZN7rocprim17ROCPRIM_400000_NS6detail17trampoline_kernelINS0_14default_configENS1_25partition_config_selectorILNS1_17partition_subalgoE8ElNS0_10empty_typeEbEEZZNS1_14partition_implILS5_8ELb0ES3_jPlPS6_PKS6_NS0_5tupleIJS9_S6_EEENSD_IJSA_SA_EEENS0_18inequality_wrapperIZN2at6native12_GLOBAL__N_124unique_dim_cuda_templateIsEESt5tupleIJNSH_6TensorESM_SM_EERKSM_lbbbEUlllE0_EEPmJS6_EEE10hipError_tPvRmT3_T4_T5_T6_T7_T9_mT8_P12ihipStream_tbDpT10_ENKUlT_T0_E_clISt17integral_constantIbLb0EES1C_EEDaS17_S18_EUlS17_E_NS1_11comp_targetILNS1_3genE9ELNS1_11target_archE1100ELNS1_3gpuE3ELNS1_3repE0EEENS1_30default_config_static_selectorELNS0_4arch9wavefront6targetE0EEEvT1_,comdat
.Lfunc_end691:
	.size	_ZN7rocprim17ROCPRIM_400000_NS6detail17trampoline_kernelINS0_14default_configENS1_25partition_config_selectorILNS1_17partition_subalgoE8ElNS0_10empty_typeEbEEZZNS1_14partition_implILS5_8ELb0ES3_jPlPS6_PKS6_NS0_5tupleIJS9_S6_EEENSD_IJSA_SA_EEENS0_18inequality_wrapperIZN2at6native12_GLOBAL__N_124unique_dim_cuda_templateIsEESt5tupleIJNSH_6TensorESM_SM_EERKSM_lbbbEUlllE0_EEPmJS6_EEE10hipError_tPvRmT3_T4_T5_T6_T7_T9_mT8_P12ihipStream_tbDpT10_ENKUlT_T0_E_clISt17integral_constantIbLb0EES1C_EEDaS17_S18_EUlS17_E_NS1_11comp_targetILNS1_3genE9ELNS1_11target_archE1100ELNS1_3gpuE3ELNS1_3repE0EEENS1_30default_config_static_selectorELNS0_4arch9wavefront6targetE0EEEvT1_, .Lfunc_end691-_ZN7rocprim17ROCPRIM_400000_NS6detail17trampoline_kernelINS0_14default_configENS1_25partition_config_selectorILNS1_17partition_subalgoE8ElNS0_10empty_typeEbEEZZNS1_14partition_implILS5_8ELb0ES3_jPlPS6_PKS6_NS0_5tupleIJS9_S6_EEENSD_IJSA_SA_EEENS0_18inequality_wrapperIZN2at6native12_GLOBAL__N_124unique_dim_cuda_templateIsEESt5tupleIJNSH_6TensorESM_SM_EERKSM_lbbbEUlllE0_EEPmJS6_EEE10hipError_tPvRmT3_T4_T5_T6_T7_T9_mT8_P12ihipStream_tbDpT10_ENKUlT_T0_E_clISt17integral_constantIbLb0EES1C_EEDaS17_S18_EUlS17_E_NS1_11comp_targetILNS1_3genE9ELNS1_11target_archE1100ELNS1_3gpuE3ELNS1_3repE0EEENS1_30default_config_static_selectorELNS0_4arch9wavefront6targetE0EEEvT1_
                                        ; -- End function
	.set _ZN7rocprim17ROCPRIM_400000_NS6detail17trampoline_kernelINS0_14default_configENS1_25partition_config_selectorILNS1_17partition_subalgoE8ElNS0_10empty_typeEbEEZZNS1_14partition_implILS5_8ELb0ES3_jPlPS6_PKS6_NS0_5tupleIJS9_S6_EEENSD_IJSA_SA_EEENS0_18inequality_wrapperIZN2at6native12_GLOBAL__N_124unique_dim_cuda_templateIsEESt5tupleIJNSH_6TensorESM_SM_EERKSM_lbbbEUlllE0_EEPmJS6_EEE10hipError_tPvRmT3_T4_T5_T6_T7_T9_mT8_P12ihipStream_tbDpT10_ENKUlT_T0_E_clISt17integral_constantIbLb0EES1C_EEDaS17_S18_EUlS17_E_NS1_11comp_targetILNS1_3genE9ELNS1_11target_archE1100ELNS1_3gpuE3ELNS1_3repE0EEENS1_30default_config_static_selectorELNS0_4arch9wavefront6targetE0EEEvT1_.num_vgpr, 0
	.set _ZN7rocprim17ROCPRIM_400000_NS6detail17trampoline_kernelINS0_14default_configENS1_25partition_config_selectorILNS1_17partition_subalgoE8ElNS0_10empty_typeEbEEZZNS1_14partition_implILS5_8ELb0ES3_jPlPS6_PKS6_NS0_5tupleIJS9_S6_EEENSD_IJSA_SA_EEENS0_18inequality_wrapperIZN2at6native12_GLOBAL__N_124unique_dim_cuda_templateIsEESt5tupleIJNSH_6TensorESM_SM_EERKSM_lbbbEUlllE0_EEPmJS6_EEE10hipError_tPvRmT3_T4_T5_T6_T7_T9_mT8_P12ihipStream_tbDpT10_ENKUlT_T0_E_clISt17integral_constantIbLb0EES1C_EEDaS17_S18_EUlS17_E_NS1_11comp_targetILNS1_3genE9ELNS1_11target_archE1100ELNS1_3gpuE3ELNS1_3repE0EEENS1_30default_config_static_selectorELNS0_4arch9wavefront6targetE0EEEvT1_.num_agpr, 0
	.set _ZN7rocprim17ROCPRIM_400000_NS6detail17trampoline_kernelINS0_14default_configENS1_25partition_config_selectorILNS1_17partition_subalgoE8ElNS0_10empty_typeEbEEZZNS1_14partition_implILS5_8ELb0ES3_jPlPS6_PKS6_NS0_5tupleIJS9_S6_EEENSD_IJSA_SA_EEENS0_18inequality_wrapperIZN2at6native12_GLOBAL__N_124unique_dim_cuda_templateIsEESt5tupleIJNSH_6TensorESM_SM_EERKSM_lbbbEUlllE0_EEPmJS6_EEE10hipError_tPvRmT3_T4_T5_T6_T7_T9_mT8_P12ihipStream_tbDpT10_ENKUlT_T0_E_clISt17integral_constantIbLb0EES1C_EEDaS17_S18_EUlS17_E_NS1_11comp_targetILNS1_3genE9ELNS1_11target_archE1100ELNS1_3gpuE3ELNS1_3repE0EEENS1_30default_config_static_selectorELNS0_4arch9wavefront6targetE0EEEvT1_.numbered_sgpr, 0
	.set _ZN7rocprim17ROCPRIM_400000_NS6detail17trampoline_kernelINS0_14default_configENS1_25partition_config_selectorILNS1_17partition_subalgoE8ElNS0_10empty_typeEbEEZZNS1_14partition_implILS5_8ELb0ES3_jPlPS6_PKS6_NS0_5tupleIJS9_S6_EEENSD_IJSA_SA_EEENS0_18inequality_wrapperIZN2at6native12_GLOBAL__N_124unique_dim_cuda_templateIsEESt5tupleIJNSH_6TensorESM_SM_EERKSM_lbbbEUlllE0_EEPmJS6_EEE10hipError_tPvRmT3_T4_T5_T6_T7_T9_mT8_P12ihipStream_tbDpT10_ENKUlT_T0_E_clISt17integral_constantIbLb0EES1C_EEDaS17_S18_EUlS17_E_NS1_11comp_targetILNS1_3genE9ELNS1_11target_archE1100ELNS1_3gpuE3ELNS1_3repE0EEENS1_30default_config_static_selectorELNS0_4arch9wavefront6targetE0EEEvT1_.num_named_barrier, 0
	.set _ZN7rocprim17ROCPRIM_400000_NS6detail17trampoline_kernelINS0_14default_configENS1_25partition_config_selectorILNS1_17partition_subalgoE8ElNS0_10empty_typeEbEEZZNS1_14partition_implILS5_8ELb0ES3_jPlPS6_PKS6_NS0_5tupleIJS9_S6_EEENSD_IJSA_SA_EEENS0_18inequality_wrapperIZN2at6native12_GLOBAL__N_124unique_dim_cuda_templateIsEESt5tupleIJNSH_6TensorESM_SM_EERKSM_lbbbEUlllE0_EEPmJS6_EEE10hipError_tPvRmT3_T4_T5_T6_T7_T9_mT8_P12ihipStream_tbDpT10_ENKUlT_T0_E_clISt17integral_constantIbLb0EES1C_EEDaS17_S18_EUlS17_E_NS1_11comp_targetILNS1_3genE9ELNS1_11target_archE1100ELNS1_3gpuE3ELNS1_3repE0EEENS1_30default_config_static_selectorELNS0_4arch9wavefront6targetE0EEEvT1_.private_seg_size, 0
	.set _ZN7rocprim17ROCPRIM_400000_NS6detail17trampoline_kernelINS0_14default_configENS1_25partition_config_selectorILNS1_17partition_subalgoE8ElNS0_10empty_typeEbEEZZNS1_14partition_implILS5_8ELb0ES3_jPlPS6_PKS6_NS0_5tupleIJS9_S6_EEENSD_IJSA_SA_EEENS0_18inequality_wrapperIZN2at6native12_GLOBAL__N_124unique_dim_cuda_templateIsEESt5tupleIJNSH_6TensorESM_SM_EERKSM_lbbbEUlllE0_EEPmJS6_EEE10hipError_tPvRmT3_T4_T5_T6_T7_T9_mT8_P12ihipStream_tbDpT10_ENKUlT_T0_E_clISt17integral_constantIbLb0EES1C_EEDaS17_S18_EUlS17_E_NS1_11comp_targetILNS1_3genE9ELNS1_11target_archE1100ELNS1_3gpuE3ELNS1_3repE0EEENS1_30default_config_static_selectorELNS0_4arch9wavefront6targetE0EEEvT1_.uses_vcc, 0
	.set _ZN7rocprim17ROCPRIM_400000_NS6detail17trampoline_kernelINS0_14default_configENS1_25partition_config_selectorILNS1_17partition_subalgoE8ElNS0_10empty_typeEbEEZZNS1_14partition_implILS5_8ELb0ES3_jPlPS6_PKS6_NS0_5tupleIJS9_S6_EEENSD_IJSA_SA_EEENS0_18inequality_wrapperIZN2at6native12_GLOBAL__N_124unique_dim_cuda_templateIsEESt5tupleIJNSH_6TensorESM_SM_EERKSM_lbbbEUlllE0_EEPmJS6_EEE10hipError_tPvRmT3_T4_T5_T6_T7_T9_mT8_P12ihipStream_tbDpT10_ENKUlT_T0_E_clISt17integral_constantIbLb0EES1C_EEDaS17_S18_EUlS17_E_NS1_11comp_targetILNS1_3genE9ELNS1_11target_archE1100ELNS1_3gpuE3ELNS1_3repE0EEENS1_30default_config_static_selectorELNS0_4arch9wavefront6targetE0EEEvT1_.uses_flat_scratch, 0
	.set _ZN7rocprim17ROCPRIM_400000_NS6detail17trampoline_kernelINS0_14default_configENS1_25partition_config_selectorILNS1_17partition_subalgoE8ElNS0_10empty_typeEbEEZZNS1_14partition_implILS5_8ELb0ES3_jPlPS6_PKS6_NS0_5tupleIJS9_S6_EEENSD_IJSA_SA_EEENS0_18inequality_wrapperIZN2at6native12_GLOBAL__N_124unique_dim_cuda_templateIsEESt5tupleIJNSH_6TensorESM_SM_EERKSM_lbbbEUlllE0_EEPmJS6_EEE10hipError_tPvRmT3_T4_T5_T6_T7_T9_mT8_P12ihipStream_tbDpT10_ENKUlT_T0_E_clISt17integral_constantIbLb0EES1C_EEDaS17_S18_EUlS17_E_NS1_11comp_targetILNS1_3genE9ELNS1_11target_archE1100ELNS1_3gpuE3ELNS1_3repE0EEENS1_30default_config_static_selectorELNS0_4arch9wavefront6targetE0EEEvT1_.has_dyn_sized_stack, 0
	.set _ZN7rocprim17ROCPRIM_400000_NS6detail17trampoline_kernelINS0_14default_configENS1_25partition_config_selectorILNS1_17partition_subalgoE8ElNS0_10empty_typeEbEEZZNS1_14partition_implILS5_8ELb0ES3_jPlPS6_PKS6_NS0_5tupleIJS9_S6_EEENSD_IJSA_SA_EEENS0_18inequality_wrapperIZN2at6native12_GLOBAL__N_124unique_dim_cuda_templateIsEESt5tupleIJNSH_6TensorESM_SM_EERKSM_lbbbEUlllE0_EEPmJS6_EEE10hipError_tPvRmT3_T4_T5_T6_T7_T9_mT8_P12ihipStream_tbDpT10_ENKUlT_T0_E_clISt17integral_constantIbLb0EES1C_EEDaS17_S18_EUlS17_E_NS1_11comp_targetILNS1_3genE9ELNS1_11target_archE1100ELNS1_3gpuE3ELNS1_3repE0EEENS1_30default_config_static_selectorELNS0_4arch9wavefront6targetE0EEEvT1_.has_recursion, 0
	.set _ZN7rocprim17ROCPRIM_400000_NS6detail17trampoline_kernelINS0_14default_configENS1_25partition_config_selectorILNS1_17partition_subalgoE8ElNS0_10empty_typeEbEEZZNS1_14partition_implILS5_8ELb0ES3_jPlPS6_PKS6_NS0_5tupleIJS9_S6_EEENSD_IJSA_SA_EEENS0_18inequality_wrapperIZN2at6native12_GLOBAL__N_124unique_dim_cuda_templateIsEESt5tupleIJNSH_6TensorESM_SM_EERKSM_lbbbEUlllE0_EEPmJS6_EEE10hipError_tPvRmT3_T4_T5_T6_T7_T9_mT8_P12ihipStream_tbDpT10_ENKUlT_T0_E_clISt17integral_constantIbLb0EES1C_EEDaS17_S18_EUlS17_E_NS1_11comp_targetILNS1_3genE9ELNS1_11target_archE1100ELNS1_3gpuE3ELNS1_3repE0EEENS1_30default_config_static_selectorELNS0_4arch9wavefront6targetE0EEEvT1_.has_indirect_call, 0
	.section	.AMDGPU.csdata,"",@progbits
; Kernel info:
; codeLenInByte = 0
; TotalNumSgprs: 0
; NumVgprs: 0
; ScratchSize: 0
; MemoryBound: 0
; FloatMode: 240
; IeeeMode: 1
; LDSByteSize: 0 bytes/workgroup (compile time only)
; SGPRBlocks: 0
; VGPRBlocks: 0
; NumSGPRsForWavesPerEU: 1
; NumVGPRsForWavesPerEU: 1
; NamedBarCnt: 0
; Occupancy: 16
; WaveLimiterHint : 0
; COMPUTE_PGM_RSRC2:SCRATCH_EN: 0
; COMPUTE_PGM_RSRC2:USER_SGPR: 2
; COMPUTE_PGM_RSRC2:TRAP_HANDLER: 0
; COMPUTE_PGM_RSRC2:TGID_X_EN: 1
; COMPUTE_PGM_RSRC2:TGID_Y_EN: 0
; COMPUTE_PGM_RSRC2:TGID_Z_EN: 0
; COMPUTE_PGM_RSRC2:TIDIG_COMP_CNT: 0
	.section	.text._ZN7rocprim17ROCPRIM_400000_NS6detail17trampoline_kernelINS0_14default_configENS1_25partition_config_selectorILNS1_17partition_subalgoE8ElNS0_10empty_typeEbEEZZNS1_14partition_implILS5_8ELb0ES3_jPlPS6_PKS6_NS0_5tupleIJS9_S6_EEENSD_IJSA_SA_EEENS0_18inequality_wrapperIZN2at6native12_GLOBAL__N_124unique_dim_cuda_templateIsEESt5tupleIJNSH_6TensorESM_SM_EERKSM_lbbbEUlllE0_EEPmJS6_EEE10hipError_tPvRmT3_T4_T5_T6_T7_T9_mT8_P12ihipStream_tbDpT10_ENKUlT_T0_E_clISt17integral_constantIbLb0EES1C_EEDaS17_S18_EUlS17_E_NS1_11comp_targetILNS1_3genE8ELNS1_11target_archE1030ELNS1_3gpuE2ELNS1_3repE0EEENS1_30default_config_static_selectorELNS0_4arch9wavefront6targetE0EEEvT1_,"axG",@progbits,_ZN7rocprim17ROCPRIM_400000_NS6detail17trampoline_kernelINS0_14default_configENS1_25partition_config_selectorILNS1_17partition_subalgoE8ElNS0_10empty_typeEbEEZZNS1_14partition_implILS5_8ELb0ES3_jPlPS6_PKS6_NS0_5tupleIJS9_S6_EEENSD_IJSA_SA_EEENS0_18inequality_wrapperIZN2at6native12_GLOBAL__N_124unique_dim_cuda_templateIsEESt5tupleIJNSH_6TensorESM_SM_EERKSM_lbbbEUlllE0_EEPmJS6_EEE10hipError_tPvRmT3_T4_T5_T6_T7_T9_mT8_P12ihipStream_tbDpT10_ENKUlT_T0_E_clISt17integral_constantIbLb0EES1C_EEDaS17_S18_EUlS17_E_NS1_11comp_targetILNS1_3genE8ELNS1_11target_archE1030ELNS1_3gpuE2ELNS1_3repE0EEENS1_30default_config_static_selectorELNS0_4arch9wavefront6targetE0EEEvT1_,comdat
	.globl	_ZN7rocprim17ROCPRIM_400000_NS6detail17trampoline_kernelINS0_14default_configENS1_25partition_config_selectorILNS1_17partition_subalgoE8ElNS0_10empty_typeEbEEZZNS1_14partition_implILS5_8ELb0ES3_jPlPS6_PKS6_NS0_5tupleIJS9_S6_EEENSD_IJSA_SA_EEENS0_18inequality_wrapperIZN2at6native12_GLOBAL__N_124unique_dim_cuda_templateIsEESt5tupleIJNSH_6TensorESM_SM_EERKSM_lbbbEUlllE0_EEPmJS6_EEE10hipError_tPvRmT3_T4_T5_T6_T7_T9_mT8_P12ihipStream_tbDpT10_ENKUlT_T0_E_clISt17integral_constantIbLb0EES1C_EEDaS17_S18_EUlS17_E_NS1_11comp_targetILNS1_3genE8ELNS1_11target_archE1030ELNS1_3gpuE2ELNS1_3repE0EEENS1_30default_config_static_selectorELNS0_4arch9wavefront6targetE0EEEvT1_ ; -- Begin function _ZN7rocprim17ROCPRIM_400000_NS6detail17trampoline_kernelINS0_14default_configENS1_25partition_config_selectorILNS1_17partition_subalgoE8ElNS0_10empty_typeEbEEZZNS1_14partition_implILS5_8ELb0ES3_jPlPS6_PKS6_NS0_5tupleIJS9_S6_EEENSD_IJSA_SA_EEENS0_18inequality_wrapperIZN2at6native12_GLOBAL__N_124unique_dim_cuda_templateIsEESt5tupleIJNSH_6TensorESM_SM_EERKSM_lbbbEUlllE0_EEPmJS6_EEE10hipError_tPvRmT3_T4_T5_T6_T7_T9_mT8_P12ihipStream_tbDpT10_ENKUlT_T0_E_clISt17integral_constantIbLb0EES1C_EEDaS17_S18_EUlS17_E_NS1_11comp_targetILNS1_3genE8ELNS1_11target_archE1030ELNS1_3gpuE2ELNS1_3repE0EEENS1_30default_config_static_selectorELNS0_4arch9wavefront6targetE0EEEvT1_
	.p2align	8
	.type	_ZN7rocprim17ROCPRIM_400000_NS6detail17trampoline_kernelINS0_14default_configENS1_25partition_config_selectorILNS1_17partition_subalgoE8ElNS0_10empty_typeEbEEZZNS1_14partition_implILS5_8ELb0ES3_jPlPS6_PKS6_NS0_5tupleIJS9_S6_EEENSD_IJSA_SA_EEENS0_18inequality_wrapperIZN2at6native12_GLOBAL__N_124unique_dim_cuda_templateIsEESt5tupleIJNSH_6TensorESM_SM_EERKSM_lbbbEUlllE0_EEPmJS6_EEE10hipError_tPvRmT3_T4_T5_T6_T7_T9_mT8_P12ihipStream_tbDpT10_ENKUlT_T0_E_clISt17integral_constantIbLb0EES1C_EEDaS17_S18_EUlS17_E_NS1_11comp_targetILNS1_3genE8ELNS1_11target_archE1030ELNS1_3gpuE2ELNS1_3repE0EEENS1_30default_config_static_selectorELNS0_4arch9wavefront6targetE0EEEvT1_,@function
_ZN7rocprim17ROCPRIM_400000_NS6detail17trampoline_kernelINS0_14default_configENS1_25partition_config_selectorILNS1_17partition_subalgoE8ElNS0_10empty_typeEbEEZZNS1_14partition_implILS5_8ELb0ES3_jPlPS6_PKS6_NS0_5tupleIJS9_S6_EEENSD_IJSA_SA_EEENS0_18inequality_wrapperIZN2at6native12_GLOBAL__N_124unique_dim_cuda_templateIsEESt5tupleIJNSH_6TensorESM_SM_EERKSM_lbbbEUlllE0_EEPmJS6_EEE10hipError_tPvRmT3_T4_T5_T6_T7_T9_mT8_P12ihipStream_tbDpT10_ENKUlT_T0_E_clISt17integral_constantIbLb0EES1C_EEDaS17_S18_EUlS17_E_NS1_11comp_targetILNS1_3genE8ELNS1_11target_archE1030ELNS1_3gpuE2ELNS1_3repE0EEENS1_30default_config_static_selectorELNS0_4arch9wavefront6targetE0EEEvT1_: ; @_ZN7rocprim17ROCPRIM_400000_NS6detail17trampoline_kernelINS0_14default_configENS1_25partition_config_selectorILNS1_17partition_subalgoE8ElNS0_10empty_typeEbEEZZNS1_14partition_implILS5_8ELb0ES3_jPlPS6_PKS6_NS0_5tupleIJS9_S6_EEENSD_IJSA_SA_EEENS0_18inequality_wrapperIZN2at6native12_GLOBAL__N_124unique_dim_cuda_templateIsEESt5tupleIJNSH_6TensorESM_SM_EERKSM_lbbbEUlllE0_EEPmJS6_EEE10hipError_tPvRmT3_T4_T5_T6_T7_T9_mT8_P12ihipStream_tbDpT10_ENKUlT_T0_E_clISt17integral_constantIbLb0EES1C_EEDaS17_S18_EUlS17_E_NS1_11comp_targetILNS1_3genE8ELNS1_11target_archE1030ELNS1_3gpuE2ELNS1_3repE0EEENS1_30default_config_static_selectorELNS0_4arch9wavefront6targetE0EEEvT1_
; %bb.0:
	.section	.rodata,"a",@progbits
	.p2align	6, 0x0
	.amdhsa_kernel _ZN7rocprim17ROCPRIM_400000_NS6detail17trampoline_kernelINS0_14default_configENS1_25partition_config_selectorILNS1_17partition_subalgoE8ElNS0_10empty_typeEbEEZZNS1_14partition_implILS5_8ELb0ES3_jPlPS6_PKS6_NS0_5tupleIJS9_S6_EEENSD_IJSA_SA_EEENS0_18inequality_wrapperIZN2at6native12_GLOBAL__N_124unique_dim_cuda_templateIsEESt5tupleIJNSH_6TensorESM_SM_EERKSM_lbbbEUlllE0_EEPmJS6_EEE10hipError_tPvRmT3_T4_T5_T6_T7_T9_mT8_P12ihipStream_tbDpT10_ENKUlT_T0_E_clISt17integral_constantIbLb0EES1C_EEDaS17_S18_EUlS17_E_NS1_11comp_targetILNS1_3genE8ELNS1_11target_archE1030ELNS1_3gpuE2ELNS1_3repE0EEENS1_30default_config_static_selectorELNS0_4arch9wavefront6targetE0EEEvT1_
		.amdhsa_group_segment_fixed_size 0
		.amdhsa_private_segment_fixed_size 0
		.amdhsa_kernarg_size 120
		.amdhsa_user_sgpr_count 2
		.amdhsa_user_sgpr_dispatch_ptr 0
		.amdhsa_user_sgpr_queue_ptr 0
		.amdhsa_user_sgpr_kernarg_segment_ptr 1
		.amdhsa_user_sgpr_dispatch_id 0
		.amdhsa_user_sgpr_kernarg_preload_length 0
		.amdhsa_user_sgpr_kernarg_preload_offset 0
		.amdhsa_user_sgpr_private_segment_size 0
		.amdhsa_wavefront_size32 1
		.amdhsa_uses_dynamic_stack 0
		.amdhsa_enable_private_segment 0
		.amdhsa_system_sgpr_workgroup_id_x 1
		.amdhsa_system_sgpr_workgroup_id_y 0
		.amdhsa_system_sgpr_workgroup_id_z 0
		.amdhsa_system_sgpr_workgroup_info 0
		.amdhsa_system_vgpr_workitem_id 0
		.amdhsa_next_free_vgpr 1
		.amdhsa_next_free_sgpr 1
		.amdhsa_named_barrier_count 0
		.amdhsa_reserve_vcc 0
		.amdhsa_float_round_mode_32 0
		.amdhsa_float_round_mode_16_64 0
		.amdhsa_float_denorm_mode_32 3
		.amdhsa_float_denorm_mode_16_64 3
		.amdhsa_fp16_overflow 0
		.amdhsa_memory_ordered 1
		.amdhsa_forward_progress 1
		.amdhsa_inst_pref_size 0
		.amdhsa_round_robin_scheduling 0
		.amdhsa_exception_fp_ieee_invalid_op 0
		.amdhsa_exception_fp_denorm_src 0
		.amdhsa_exception_fp_ieee_div_zero 0
		.amdhsa_exception_fp_ieee_overflow 0
		.amdhsa_exception_fp_ieee_underflow 0
		.amdhsa_exception_fp_ieee_inexact 0
		.amdhsa_exception_int_div_zero 0
	.end_amdhsa_kernel
	.section	.text._ZN7rocprim17ROCPRIM_400000_NS6detail17trampoline_kernelINS0_14default_configENS1_25partition_config_selectorILNS1_17partition_subalgoE8ElNS0_10empty_typeEbEEZZNS1_14partition_implILS5_8ELb0ES3_jPlPS6_PKS6_NS0_5tupleIJS9_S6_EEENSD_IJSA_SA_EEENS0_18inequality_wrapperIZN2at6native12_GLOBAL__N_124unique_dim_cuda_templateIsEESt5tupleIJNSH_6TensorESM_SM_EERKSM_lbbbEUlllE0_EEPmJS6_EEE10hipError_tPvRmT3_T4_T5_T6_T7_T9_mT8_P12ihipStream_tbDpT10_ENKUlT_T0_E_clISt17integral_constantIbLb0EES1C_EEDaS17_S18_EUlS17_E_NS1_11comp_targetILNS1_3genE8ELNS1_11target_archE1030ELNS1_3gpuE2ELNS1_3repE0EEENS1_30default_config_static_selectorELNS0_4arch9wavefront6targetE0EEEvT1_,"axG",@progbits,_ZN7rocprim17ROCPRIM_400000_NS6detail17trampoline_kernelINS0_14default_configENS1_25partition_config_selectorILNS1_17partition_subalgoE8ElNS0_10empty_typeEbEEZZNS1_14partition_implILS5_8ELb0ES3_jPlPS6_PKS6_NS0_5tupleIJS9_S6_EEENSD_IJSA_SA_EEENS0_18inequality_wrapperIZN2at6native12_GLOBAL__N_124unique_dim_cuda_templateIsEESt5tupleIJNSH_6TensorESM_SM_EERKSM_lbbbEUlllE0_EEPmJS6_EEE10hipError_tPvRmT3_T4_T5_T6_T7_T9_mT8_P12ihipStream_tbDpT10_ENKUlT_T0_E_clISt17integral_constantIbLb0EES1C_EEDaS17_S18_EUlS17_E_NS1_11comp_targetILNS1_3genE8ELNS1_11target_archE1030ELNS1_3gpuE2ELNS1_3repE0EEENS1_30default_config_static_selectorELNS0_4arch9wavefront6targetE0EEEvT1_,comdat
.Lfunc_end692:
	.size	_ZN7rocprim17ROCPRIM_400000_NS6detail17trampoline_kernelINS0_14default_configENS1_25partition_config_selectorILNS1_17partition_subalgoE8ElNS0_10empty_typeEbEEZZNS1_14partition_implILS5_8ELb0ES3_jPlPS6_PKS6_NS0_5tupleIJS9_S6_EEENSD_IJSA_SA_EEENS0_18inequality_wrapperIZN2at6native12_GLOBAL__N_124unique_dim_cuda_templateIsEESt5tupleIJNSH_6TensorESM_SM_EERKSM_lbbbEUlllE0_EEPmJS6_EEE10hipError_tPvRmT3_T4_T5_T6_T7_T9_mT8_P12ihipStream_tbDpT10_ENKUlT_T0_E_clISt17integral_constantIbLb0EES1C_EEDaS17_S18_EUlS17_E_NS1_11comp_targetILNS1_3genE8ELNS1_11target_archE1030ELNS1_3gpuE2ELNS1_3repE0EEENS1_30default_config_static_selectorELNS0_4arch9wavefront6targetE0EEEvT1_, .Lfunc_end692-_ZN7rocprim17ROCPRIM_400000_NS6detail17trampoline_kernelINS0_14default_configENS1_25partition_config_selectorILNS1_17partition_subalgoE8ElNS0_10empty_typeEbEEZZNS1_14partition_implILS5_8ELb0ES3_jPlPS6_PKS6_NS0_5tupleIJS9_S6_EEENSD_IJSA_SA_EEENS0_18inequality_wrapperIZN2at6native12_GLOBAL__N_124unique_dim_cuda_templateIsEESt5tupleIJNSH_6TensorESM_SM_EERKSM_lbbbEUlllE0_EEPmJS6_EEE10hipError_tPvRmT3_T4_T5_T6_T7_T9_mT8_P12ihipStream_tbDpT10_ENKUlT_T0_E_clISt17integral_constantIbLb0EES1C_EEDaS17_S18_EUlS17_E_NS1_11comp_targetILNS1_3genE8ELNS1_11target_archE1030ELNS1_3gpuE2ELNS1_3repE0EEENS1_30default_config_static_selectorELNS0_4arch9wavefront6targetE0EEEvT1_
                                        ; -- End function
	.set _ZN7rocprim17ROCPRIM_400000_NS6detail17trampoline_kernelINS0_14default_configENS1_25partition_config_selectorILNS1_17partition_subalgoE8ElNS0_10empty_typeEbEEZZNS1_14partition_implILS5_8ELb0ES3_jPlPS6_PKS6_NS0_5tupleIJS9_S6_EEENSD_IJSA_SA_EEENS0_18inequality_wrapperIZN2at6native12_GLOBAL__N_124unique_dim_cuda_templateIsEESt5tupleIJNSH_6TensorESM_SM_EERKSM_lbbbEUlllE0_EEPmJS6_EEE10hipError_tPvRmT3_T4_T5_T6_T7_T9_mT8_P12ihipStream_tbDpT10_ENKUlT_T0_E_clISt17integral_constantIbLb0EES1C_EEDaS17_S18_EUlS17_E_NS1_11comp_targetILNS1_3genE8ELNS1_11target_archE1030ELNS1_3gpuE2ELNS1_3repE0EEENS1_30default_config_static_selectorELNS0_4arch9wavefront6targetE0EEEvT1_.num_vgpr, 0
	.set _ZN7rocprim17ROCPRIM_400000_NS6detail17trampoline_kernelINS0_14default_configENS1_25partition_config_selectorILNS1_17partition_subalgoE8ElNS0_10empty_typeEbEEZZNS1_14partition_implILS5_8ELb0ES3_jPlPS6_PKS6_NS0_5tupleIJS9_S6_EEENSD_IJSA_SA_EEENS0_18inequality_wrapperIZN2at6native12_GLOBAL__N_124unique_dim_cuda_templateIsEESt5tupleIJNSH_6TensorESM_SM_EERKSM_lbbbEUlllE0_EEPmJS6_EEE10hipError_tPvRmT3_T4_T5_T6_T7_T9_mT8_P12ihipStream_tbDpT10_ENKUlT_T0_E_clISt17integral_constantIbLb0EES1C_EEDaS17_S18_EUlS17_E_NS1_11comp_targetILNS1_3genE8ELNS1_11target_archE1030ELNS1_3gpuE2ELNS1_3repE0EEENS1_30default_config_static_selectorELNS0_4arch9wavefront6targetE0EEEvT1_.num_agpr, 0
	.set _ZN7rocprim17ROCPRIM_400000_NS6detail17trampoline_kernelINS0_14default_configENS1_25partition_config_selectorILNS1_17partition_subalgoE8ElNS0_10empty_typeEbEEZZNS1_14partition_implILS5_8ELb0ES3_jPlPS6_PKS6_NS0_5tupleIJS9_S6_EEENSD_IJSA_SA_EEENS0_18inequality_wrapperIZN2at6native12_GLOBAL__N_124unique_dim_cuda_templateIsEESt5tupleIJNSH_6TensorESM_SM_EERKSM_lbbbEUlllE0_EEPmJS6_EEE10hipError_tPvRmT3_T4_T5_T6_T7_T9_mT8_P12ihipStream_tbDpT10_ENKUlT_T0_E_clISt17integral_constantIbLb0EES1C_EEDaS17_S18_EUlS17_E_NS1_11comp_targetILNS1_3genE8ELNS1_11target_archE1030ELNS1_3gpuE2ELNS1_3repE0EEENS1_30default_config_static_selectorELNS0_4arch9wavefront6targetE0EEEvT1_.numbered_sgpr, 0
	.set _ZN7rocprim17ROCPRIM_400000_NS6detail17trampoline_kernelINS0_14default_configENS1_25partition_config_selectorILNS1_17partition_subalgoE8ElNS0_10empty_typeEbEEZZNS1_14partition_implILS5_8ELb0ES3_jPlPS6_PKS6_NS0_5tupleIJS9_S6_EEENSD_IJSA_SA_EEENS0_18inequality_wrapperIZN2at6native12_GLOBAL__N_124unique_dim_cuda_templateIsEESt5tupleIJNSH_6TensorESM_SM_EERKSM_lbbbEUlllE0_EEPmJS6_EEE10hipError_tPvRmT3_T4_T5_T6_T7_T9_mT8_P12ihipStream_tbDpT10_ENKUlT_T0_E_clISt17integral_constantIbLb0EES1C_EEDaS17_S18_EUlS17_E_NS1_11comp_targetILNS1_3genE8ELNS1_11target_archE1030ELNS1_3gpuE2ELNS1_3repE0EEENS1_30default_config_static_selectorELNS0_4arch9wavefront6targetE0EEEvT1_.num_named_barrier, 0
	.set _ZN7rocprim17ROCPRIM_400000_NS6detail17trampoline_kernelINS0_14default_configENS1_25partition_config_selectorILNS1_17partition_subalgoE8ElNS0_10empty_typeEbEEZZNS1_14partition_implILS5_8ELb0ES3_jPlPS6_PKS6_NS0_5tupleIJS9_S6_EEENSD_IJSA_SA_EEENS0_18inequality_wrapperIZN2at6native12_GLOBAL__N_124unique_dim_cuda_templateIsEESt5tupleIJNSH_6TensorESM_SM_EERKSM_lbbbEUlllE0_EEPmJS6_EEE10hipError_tPvRmT3_T4_T5_T6_T7_T9_mT8_P12ihipStream_tbDpT10_ENKUlT_T0_E_clISt17integral_constantIbLb0EES1C_EEDaS17_S18_EUlS17_E_NS1_11comp_targetILNS1_3genE8ELNS1_11target_archE1030ELNS1_3gpuE2ELNS1_3repE0EEENS1_30default_config_static_selectorELNS0_4arch9wavefront6targetE0EEEvT1_.private_seg_size, 0
	.set _ZN7rocprim17ROCPRIM_400000_NS6detail17trampoline_kernelINS0_14default_configENS1_25partition_config_selectorILNS1_17partition_subalgoE8ElNS0_10empty_typeEbEEZZNS1_14partition_implILS5_8ELb0ES3_jPlPS6_PKS6_NS0_5tupleIJS9_S6_EEENSD_IJSA_SA_EEENS0_18inequality_wrapperIZN2at6native12_GLOBAL__N_124unique_dim_cuda_templateIsEESt5tupleIJNSH_6TensorESM_SM_EERKSM_lbbbEUlllE0_EEPmJS6_EEE10hipError_tPvRmT3_T4_T5_T6_T7_T9_mT8_P12ihipStream_tbDpT10_ENKUlT_T0_E_clISt17integral_constantIbLb0EES1C_EEDaS17_S18_EUlS17_E_NS1_11comp_targetILNS1_3genE8ELNS1_11target_archE1030ELNS1_3gpuE2ELNS1_3repE0EEENS1_30default_config_static_selectorELNS0_4arch9wavefront6targetE0EEEvT1_.uses_vcc, 0
	.set _ZN7rocprim17ROCPRIM_400000_NS6detail17trampoline_kernelINS0_14default_configENS1_25partition_config_selectorILNS1_17partition_subalgoE8ElNS0_10empty_typeEbEEZZNS1_14partition_implILS5_8ELb0ES3_jPlPS6_PKS6_NS0_5tupleIJS9_S6_EEENSD_IJSA_SA_EEENS0_18inequality_wrapperIZN2at6native12_GLOBAL__N_124unique_dim_cuda_templateIsEESt5tupleIJNSH_6TensorESM_SM_EERKSM_lbbbEUlllE0_EEPmJS6_EEE10hipError_tPvRmT3_T4_T5_T6_T7_T9_mT8_P12ihipStream_tbDpT10_ENKUlT_T0_E_clISt17integral_constantIbLb0EES1C_EEDaS17_S18_EUlS17_E_NS1_11comp_targetILNS1_3genE8ELNS1_11target_archE1030ELNS1_3gpuE2ELNS1_3repE0EEENS1_30default_config_static_selectorELNS0_4arch9wavefront6targetE0EEEvT1_.uses_flat_scratch, 0
	.set _ZN7rocprim17ROCPRIM_400000_NS6detail17trampoline_kernelINS0_14default_configENS1_25partition_config_selectorILNS1_17partition_subalgoE8ElNS0_10empty_typeEbEEZZNS1_14partition_implILS5_8ELb0ES3_jPlPS6_PKS6_NS0_5tupleIJS9_S6_EEENSD_IJSA_SA_EEENS0_18inequality_wrapperIZN2at6native12_GLOBAL__N_124unique_dim_cuda_templateIsEESt5tupleIJNSH_6TensorESM_SM_EERKSM_lbbbEUlllE0_EEPmJS6_EEE10hipError_tPvRmT3_T4_T5_T6_T7_T9_mT8_P12ihipStream_tbDpT10_ENKUlT_T0_E_clISt17integral_constantIbLb0EES1C_EEDaS17_S18_EUlS17_E_NS1_11comp_targetILNS1_3genE8ELNS1_11target_archE1030ELNS1_3gpuE2ELNS1_3repE0EEENS1_30default_config_static_selectorELNS0_4arch9wavefront6targetE0EEEvT1_.has_dyn_sized_stack, 0
	.set _ZN7rocprim17ROCPRIM_400000_NS6detail17trampoline_kernelINS0_14default_configENS1_25partition_config_selectorILNS1_17partition_subalgoE8ElNS0_10empty_typeEbEEZZNS1_14partition_implILS5_8ELb0ES3_jPlPS6_PKS6_NS0_5tupleIJS9_S6_EEENSD_IJSA_SA_EEENS0_18inequality_wrapperIZN2at6native12_GLOBAL__N_124unique_dim_cuda_templateIsEESt5tupleIJNSH_6TensorESM_SM_EERKSM_lbbbEUlllE0_EEPmJS6_EEE10hipError_tPvRmT3_T4_T5_T6_T7_T9_mT8_P12ihipStream_tbDpT10_ENKUlT_T0_E_clISt17integral_constantIbLb0EES1C_EEDaS17_S18_EUlS17_E_NS1_11comp_targetILNS1_3genE8ELNS1_11target_archE1030ELNS1_3gpuE2ELNS1_3repE0EEENS1_30default_config_static_selectorELNS0_4arch9wavefront6targetE0EEEvT1_.has_recursion, 0
	.set _ZN7rocprim17ROCPRIM_400000_NS6detail17trampoline_kernelINS0_14default_configENS1_25partition_config_selectorILNS1_17partition_subalgoE8ElNS0_10empty_typeEbEEZZNS1_14partition_implILS5_8ELb0ES3_jPlPS6_PKS6_NS0_5tupleIJS9_S6_EEENSD_IJSA_SA_EEENS0_18inequality_wrapperIZN2at6native12_GLOBAL__N_124unique_dim_cuda_templateIsEESt5tupleIJNSH_6TensorESM_SM_EERKSM_lbbbEUlllE0_EEPmJS6_EEE10hipError_tPvRmT3_T4_T5_T6_T7_T9_mT8_P12ihipStream_tbDpT10_ENKUlT_T0_E_clISt17integral_constantIbLb0EES1C_EEDaS17_S18_EUlS17_E_NS1_11comp_targetILNS1_3genE8ELNS1_11target_archE1030ELNS1_3gpuE2ELNS1_3repE0EEENS1_30default_config_static_selectorELNS0_4arch9wavefront6targetE0EEEvT1_.has_indirect_call, 0
	.section	.AMDGPU.csdata,"",@progbits
; Kernel info:
; codeLenInByte = 0
; TotalNumSgprs: 0
; NumVgprs: 0
; ScratchSize: 0
; MemoryBound: 0
; FloatMode: 240
; IeeeMode: 1
; LDSByteSize: 0 bytes/workgroup (compile time only)
; SGPRBlocks: 0
; VGPRBlocks: 0
; NumSGPRsForWavesPerEU: 1
; NumVGPRsForWavesPerEU: 1
; NamedBarCnt: 0
; Occupancy: 16
; WaveLimiterHint : 0
; COMPUTE_PGM_RSRC2:SCRATCH_EN: 0
; COMPUTE_PGM_RSRC2:USER_SGPR: 2
; COMPUTE_PGM_RSRC2:TRAP_HANDLER: 0
; COMPUTE_PGM_RSRC2:TGID_X_EN: 1
; COMPUTE_PGM_RSRC2:TGID_Y_EN: 0
; COMPUTE_PGM_RSRC2:TGID_Z_EN: 0
; COMPUTE_PGM_RSRC2:TIDIG_COMP_CNT: 0
	.section	.text._ZN7rocprim17ROCPRIM_400000_NS6detail17trampoline_kernelINS0_14default_configENS1_25partition_config_selectorILNS1_17partition_subalgoE8ElNS0_10empty_typeEbEEZZNS1_14partition_implILS5_8ELb0ES3_jPlPS6_PKS6_NS0_5tupleIJS9_S6_EEENSD_IJSA_SA_EEENS0_18inequality_wrapperIZN2at6native12_GLOBAL__N_124unique_dim_cuda_templateIsEESt5tupleIJNSH_6TensorESM_SM_EERKSM_lbbbEUlllE0_EEPmJS6_EEE10hipError_tPvRmT3_T4_T5_T6_T7_T9_mT8_P12ihipStream_tbDpT10_ENKUlT_T0_E_clISt17integral_constantIbLb1EES1C_EEDaS17_S18_EUlS17_E_NS1_11comp_targetILNS1_3genE0ELNS1_11target_archE4294967295ELNS1_3gpuE0ELNS1_3repE0EEENS1_30default_config_static_selectorELNS0_4arch9wavefront6targetE0EEEvT1_,"axG",@progbits,_ZN7rocprim17ROCPRIM_400000_NS6detail17trampoline_kernelINS0_14default_configENS1_25partition_config_selectorILNS1_17partition_subalgoE8ElNS0_10empty_typeEbEEZZNS1_14partition_implILS5_8ELb0ES3_jPlPS6_PKS6_NS0_5tupleIJS9_S6_EEENSD_IJSA_SA_EEENS0_18inequality_wrapperIZN2at6native12_GLOBAL__N_124unique_dim_cuda_templateIsEESt5tupleIJNSH_6TensorESM_SM_EERKSM_lbbbEUlllE0_EEPmJS6_EEE10hipError_tPvRmT3_T4_T5_T6_T7_T9_mT8_P12ihipStream_tbDpT10_ENKUlT_T0_E_clISt17integral_constantIbLb1EES1C_EEDaS17_S18_EUlS17_E_NS1_11comp_targetILNS1_3genE0ELNS1_11target_archE4294967295ELNS1_3gpuE0ELNS1_3repE0EEENS1_30default_config_static_selectorELNS0_4arch9wavefront6targetE0EEEvT1_,comdat
	.globl	_ZN7rocprim17ROCPRIM_400000_NS6detail17trampoline_kernelINS0_14default_configENS1_25partition_config_selectorILNS1_17partition_subalgoE8ElNS0_10empty_typeEbEEZZNS1_14partition_implILS5_8ELb0ES3_jPlPS6_PKS6_NS0_5tupleIJS9_S6_EEENSD_IJSA_SA_EEENS0_18inequality_wrapperIZN2at6native12_GLOBAL__N_124unique_dim_cuda_templateIsEESt5tupleIJNSH_6TensorESM_SM_EERKSM_lbbbEUlllE0_EEPmJS6_EEE10hipError_tPvRmT3_T4_T5_T6_T7_T9_mT8_P12ihipStream_tbDpT10_ENKUlT_T0_E_clISt17integral_constantIbLb1EES1C_EEDaS17_S18_EUlS17_E_NS1_11comp_targetILNS1_3genE0ELNS1_11target_archE4294967295ELNS1_3gpuE0ELNS1_3repE0EEENS1_30default_config_static_selectorELNS0_4arch9wavefront6targetE0EEEvT1_ ; -- Begin function _ZN7rocprim17ROCPRIM_400000_NS6detail17trampoline_kernelINS0_14default_configENS1_25partition_config_selectorILNS1_17partition_subalgoE8ElNS0_10empty_typeEbEEZZNS1_14partition_implILS5_8ELb0ES3_jPlPS6_PKS6_NS0_5tupleIJS9_S6_EEENSD_IJSA_SA_EEENS0_18inequality_wrapperIZN2at6native12_GLOBAL__N_124unique_dim_cuda_templateIsEESt5tupleIJNSH_6TensorESM_SM_EERKSM_lbbbEUlllE0_EEPmJS6_EEE10hipError_tPvRmT3_T4_T5_T6_T7_T9_mT8_P12ihipStream_tbDpT10_ENKUlT_T0_E_clISt17integral_constantIbLb1EES1C_EEDaS17_S18_EUlS17_E_NS1_11comp_targetILNS1_3genE0ELNS1_11target_archE4294967295ELNS1_3gpuE0ELNS1_3repE0EEENS1_30default_config_static_selectorELNS0_4arch9wavefront6targetE0EEEvT1_
	.p2align	8
	.type	_ZN7rocprim17ROCPRIM_400000_NS6detail17trampoline_kernelINS0_14default_configENS1_25partition_config_selectorILNS1_17partition_subalgoE8ElNS0_10empty_typeEbEEZZNS1_14partition_implILS5_8ELb0ES3_jPlPS6_PKS6_NS0_5tupleIJS9_S6_EEENSD_IJSA_SA_EEENS0_18inequality_wrapperIZN2at6native12_GLOBAL__N_124unique_dim_cuda_templateIsEESt5tupleIJNSH_6TensorESM_SM_EERKSM_lbbbEUlllE0_EEPmJS6_EEE10hipError_tPvRmT3_T4_T5_T6_T7_T9_mT8_P12ihipStream_tbDpT10_ENKUlT_T0_E_clISt17integral_constantIbLb1EES1C_EEDaS17_S18_EUlS17_E_NS1_11comp_targetILNS1_3genE0ELNS1_11target_archE4294967295ELNS1_3gpuE0ELNS1_3repE0EEENS1_30default_config_static_selectorELNS0_4arch9wavefront6targetE0EEEvT1_,@function
_ZN7rocprim17ROCPRIM_400000_NS6detail17trampoline_kernelINS0_14default_configENS1_25partition_config_selectorILNS1_17partition_subalgoE8ElNS0_10empty_typeEbEEZZNS1_14partition_implILS5_8ELb0ES3_jPlPS6_PKS6_NS0_5tupleIJS9_S6_EEENSD_IJSA_SA_EEENS0_18inequality_wrapperIZN2at6native12_GLOBAL__N_124unique_dim_cuda_templateIsEESt5tupleIJNSH_6TensorESM_SM_EERKSM_lbbbEUlllE0_EEPmJS6_EEE10hipError_tPvRmT3_T4_T5_T6_T7_T9_mT8_P12ihipStream_tbDpT10_ENKUlT_T0_E_clISt17integral_constantIbLb1EES1C_EEDaS17_S18_EUlS17_E_NS1_11comp_targetILNS1_3genE0ELNS1_11target_archE4294967295ELNS1_3gpuE0ELNS1_3repE0EEENS1_30default_config_static_selectorELNS0_4arch9wavefront6targetE0EEEvT1_: ; @_ZN7rocprim17ROCPRIM_400000_NS6detail17trampoline_kernelINS0_14default_configENS1_25partition_config_selectorILNS1_17partition_subalgoE8ElNS0_10empty_typeEbEEZZNS1_14partition_implILS5_8ELb0ES3_jPlPS6_PKS6_NS0_5tupleIJS9_S6_EEENSD_IJSA_SA_EEENS0_18inequality_wrapperIZN2at6native12_GLOBAL__N_124unique_dim_cuda_templateIsEESt5tupleIJNSH_6TensorESM_SM_EERKSM_lbbbEUlllE0_EEPmJS6_EEE10hipError_tPvRmT3_T4_T5_T6_T7_T9_mT8_P12ihipStream_tbDpT10_ENKUlT_T0_E_clISt17integral_constantIbLb1EES1C_EEDaS17_S18_EUlS17_E_NS1_11comp_targetILNS1_3genE0ELNS1_11target_archE4294967295ELNS1_3gpuE0ELNS1_3repE0EEENS1_30default_config_static_selectorELNS0_4arch9wavefront6targetE0EEEvT1_
; %bb.0:
	s_endpgm
	.section	.rodata,"a",@progbits
	.p2align	6, 0x0
	.amdhsa_kernel _ZN7rocprim17ROCPRIM_400000_NS6detail17trampoline_kernelINS0_14default_configENS1_25partition_config_selectorILNS1_17partition_subalgoE8ElNS0_10empty_typeEbEEZZNS1_14partition_implILS5_8ELb0ES3_jPlPS6_PKS6_NS0_5tupleIJS9_S6_EEENSD_IJSA_SA_EEENS0_18inequality_wrapperIZN2at6native12_GLOBAL__N_124unique_dim_cuda_templateIsEESt5tupleIJNSH_6TensorESM_SM_EERKSM_lbbbEUlllE0_EEPmJS6_EEE10hipError_tPvRmT3_T4_T5_T6_T7_T9_mT8_P12ihipStream_tbDpT10_ENKUlT_T0_E_clISt17integral_constantIbLb1EES1C_EEDaS17_S18_EUlS17_E_NS1_11comp_targetILNS1_3genE0ELNS1_11target_archE4294967295ELNS1_3gpuE0ELNS1_3repE0EEENS1_30default_config_static_selectorELNS0_4arch9wavefront6targetE0EEEvT1_
		.amdhsa_group_segment_fixed_size 0
		.amdhsa_private_segment_fixed_size 0
		.amdhsa_kernarg_size 136
		.amdhsa_user_sgpr_count 2
		.amdhsa_user_sgpr_dispatch_ptr 0
		.amdhsa_user_sgpr_queue_ptr 0
		.amdhsa_user_sgpr_kernarg_segment_ptr 1
		.amdhsa_user_sgpr_dispatch_id 0
		.amdhsa_user_sgpr_kernarg_preload_length 0
		.amdhsa_user_sgpr_kernarg_preload_offset 0
		.amdhsa_user_sgpr_private_segment_size 0
		.amdhsa_wavefront_size32 1
		.amdhsa_uses_dynamic_stack 0
		.amdhsa_enable_private_segment 0
		.amdhsa_system_sgpr_workgroup_id_x 1
		.amdhsa_system_sgpr_workgroup_id_y 0
		.amdhsa_system_sgpr_workgroup_id_z 0
		.amdhsa_system_sgpr_workgroup_info 0
		.amdhsa_system_vgpr_workitem_id 0
		.amdhsa_next_free_vgpr 1
		.amdhsa_next_free_sgpr 1
		.amdhsa_named_barrier_count 0
		.amdhsa_reserve_vcc 0
		.amdhsa_float_round_mode_32 0
		.amdhsa_float_round_mode_16_64 0
		.amdhsa_float_denorm_mode_32 3
		.amdhsa_float_denorm_mode_16_64 3
		.amdhsa_fp16_overflow 0
		.amdhsa_memory_ordered 1
		.amdhsa_forward_progress 1
		.amdhsa_inst_pref_size 1
		.amdhsa_round_robin_scheduling 0
		.amdhsa_exception_fp_ieee_invalid_op 0
		.amdhsa_exception_fp_denorm_src 0
		.amdhsa_exception_fp_ieee_div_zero 0
		.amdhsa_exception_fp_ieee_overflow 0
		.amdhsa_exception_fp_ieee_underflow 0
		.amdhsa_exception_fp_ieee_inexact 0
		.amdhsa_exception_int_div_zero 0
	.end_amdhsa_kernel
	.section	.text._ZN7rocprim17ROCPRIM_400000_NS6detail17trampoline_kernelINS0_14default_configENS1_25partition_config_selectorILNS1_17partition_subalgoE8ElNS0_10empty_typeEbEEZZNS1_14partition_implILS5_8ELb0ES3_jPlPS6_PKS6_NS0_5tupleIJS9_S6_EEENSD_IJSA_SA_EEENS0_18inequality_wrapperIZN2at6native12_GLOBAL__N_124unique_dim_cuda_templateIsEESt5tupleIJNSH_6TensorESM_SM_EERKSM_lbbbEUlllE0_EEPmJS6_EEE10hipError_tPvRmT3_T4_T5_T6_T7_T9_mT8_P12ihipStream_tbDpT10_ENKUlT_T0_E_clISt17integral_constantIbLb1EES1C_EEDaS17_S18_EUlS17_E_NS1_11comp_targetILNS1_3genE0ELNS1_11target_archE4294967295ELNS1_3gpuE0ELNS1_3repE0EEENS1_30default_config_static_selectorELNS0_4arch9wavefront6targetE0EEEvT1_,"axG",@progbits,_ZN7rocprim17ROCPRIM_400000_NS6detail17trampoline_kernelINS0_14default_configENS1_25partition_config_selectorILNS1_17partition_subalgoE8ElNS0_10empty_typeEbEEZZNS1_14partition_implILS5_8ELb0ES3_jPlPS6_PKS6_NS0_5tupleIJS9_S6_EEENSD_IJSA_SA_EEENS0_18inequality_wrapperIZN2at6native12_GLOBAL__N_124unique_dim_cuda_templateIsEESt5tupleIJNSH_6TensorESM_SM_EERKSM_lbbbEUlllE0_EEPmJS6_EEE10hipError_tPvRmT3_T4_T5_T6_T7_T9_mT8_P12ihipStream_tbDpT10_ENKUlT_T0_E_clISt17integral_constantIbLb1EES1C_EEDaS17_S18_EUlS17_E_NS1_11comp_targetILNS1_3genE0ELNS1_11target_archE4294967295ELNS1_3gpuE0ELNS1_3repE0EEENS1_30default_config_static_selectorELNS0_4arch9wavefront6targetE0EEEvT1_,comdat
.Lfunc_end693:
	.size	_ZN7rocprim17ROCPRIM_400000_NS6detail17trampoline_kernelINS0_14default_configENS1_25partition_config_selectorILNS1_17partition_subalgoE8ElNS0_10empty_typeEbEEZZNS1_14partition_implILS5_8ELb0ES3_jPlPS6_PKS6_NS0_5tupleIJS9_S6_EEENSD_IJSA_SA_EEENS0_18inequality_wrapperIZN2at6native12_GLOBAL__N_124unique_dim_cuda_templateIsEESt5tupleIJNSH_6TensorESM_SM_EERKSM_lbbbEUlllE0_EEPmJS6_EEE10hipError_tPvRmT3_T4_T5_T6_T7_T9_mT8_P12ihipStream_tbDpT10_ENKUlT_T0_E_clISt17integral_constantIbLb1EES1C_EEDaS17_S18_EUlS17_E_NS1_11comp_targetILNS1_3genE0ELNS1_11target_archE4294967295ELNS1_3gpuE0ELNS1_3repE0EEENS1_30default_config_static_selectorELNS0_4arch9wavefront6targetE0EEEvT1_, .Lfunc_end693-_ZN7rocprim17ROCPRIM_400000_NS6detail17trampoline_kernelINS0_14default_configENS1_25partition_config_selectorILNS1_17partition_subalgoE8ElNS0_10empty_typeEbEEZZNS1_14partition_implILS5_8ELb0ES3_jPlPS6_PKS6_NS0_5tupleIJS9_S6_EEENSD_IJSA_SA_EEENS0_18inequality_wrapperIZN2at6native12_GLOBAL__N_124unique_dim_cuda_templateIsEESt5tupleIJNSH_6TensorESM_SM_EERKSM_lbbbEUlllE0_EEPmJS6_EEE10hipError_tPvRmT3_T4_T5_T6_T7_T9_mT8_P12ihipStream_tbDpT10_ENKUlT_T0_E_clISt17integral_constantIbLb1EES1C_EEDaS17_S18_EUlS17_E_NS1_11comp_targetILNS1_3genE0ELNS1_11target_archE4294967295ELNS1_3gpuE0ELNS1_3repE0EEENS1_30default_config_static_selectorELNS0_4arch9wavefront6targetE0EEEvT1_
                                        ; -- End function
	.set _ZN7rocprim17ROCPRIM_400000_NS6detail17trampoline_kernelINS0_14default_configENS1_25partition_config_selectorILNS1_17partition_subalgoE8ElNS0_10empty_typeEbEEZZNS1_14partition_implILS5_8ELb0ES3_jPlPS6_PKS6_NS0_5tupleIJS9_S6_EEENSD_IJSA_SA_EEENS0_18inequality_wrapperIZN2at6native12_GLOBAL__N_124unique_dim_cuda_templateIsEESt5tupleIJNSH_6TensorESM_SM_EERKSM_lbbbEUlllE0_EEPmJS6_EEE10hipError_tPvRmT3_T4_T5_T6_T7_T9_mT8_P12ihipStream_tbDpT10_ENKUlT_T0_E_clISt17integral_constantIbLb1EES1C_EEDaS17_S18_EUlS17_E_NS1_11comp_targetILNS1_3genE0ELNS1_11target_archE4294967295ELNS1_3gpuE0ELNS1_3repE0EEENS1_30default_config_static_selectorELNS0_4arch9wavefront6targetE0EEEvT1_.num_vgpr, 0
	.set _ZN7rocprim17ROCPRIM_400000_NS6detail17trampoline_kernelINS0_14default_configENS1_25partition_config_selectorILNS1_17partition_subalgoE8ElNS0_10empty_typeEbEEZZNS1_14partition_implILS5_8ELb0ES3_jPlPS6_PKS6_NS0_5tupleIJS9_S6_EEENSD_IJSA_SA_EEENS0_18inequality_wrapperIZN2at6native12_GLOBAL__N_124unique_dim_cuda_templateIsEESt5tupleIJNSH_6TensorESM_SM_EERKSM_lbbbEUlllE0_EEPmJS6_EEE10hipError_tPvRmT3_T4_T5_T6_T7_T9_mT8_P12ihipStream_tbDpT10_ENKUlT_T0_E_clISt17integral_constantIbLb1EES1C_EEDaS17_S18_EUlS17_E_NS1_11comp_targetILNS1_3genE0ELNS1_11target_archE4294967295ELNS1_3gpuE0ELNS1_3repE0EEENS1_30default_config_static_selectorELNS0_4arch9wavefront6targetE0EEEvT1_.num_agpr, 0
	.set _ZN7rocprim17ROCPRIM_400000_NS6detail17trampoline_kernelINS0_14default_configENS1_25partition_config_selectorILNS1_17partition_subalgoE8ElNS0_10empty_typeEbEEZZNS1_14partition_implILS5_8ELb0ES3_jPlPS6_PKS6_NS0_5tupleIJS9_S6_EEENSD_IJSA_SA_EEENS0_18inequality_wrapperIZN2at6native12_GLOBAL__N_124unique_dim_cuda_templateIsEESt5tupleIJNSH_6TensorESM_SM_EERKSM_lbbbEUlllE0_EEPmJS6_EEE10hipError_tPvRmT3_T4_T5_T6_T7_T9_mT8_P12ihipStream_tbDpT10_ENKUlT_T0_E_clISt17integral_constantIbLb1EES1C_EEDaS17_S18_EUlS17_E_NS1_11comp_targetILNS1_3genE0ELNS1_11target_archE4294967295ELNS1_3gpuE0ELNS1_3repE0EEENS1_30default_config_static_selectorELNS0_4arch9wavefront6targetE0EEEvT1_.numbered_sgpr, 0
	.set _ZN7rocprim17ROCPRIM_400000_NS6detail17trampoline_kernelINS0_14default_configENS1_25partition_config_selectorILNS1_17partition_subalgoE8ElNS0_10empty_typeEbEEZZNS1_14partition_implILS5_8ELb0ES3_jPlPS6_PKS6_NS0_5tupleIJS9_S6_EEENSD_IJSA_SA_EEENS0_18inequality_wrapperIZN2at6native12_GLOBAL__N_124unique_dim_cuda_templateIsEESt5tupleIJNSH_6TensorESM_SM_EERKSM_lbbbEUlllE0_EEPmJS6_EEE10hipError_tPvRmT3_T4_T5_T6_T7_T9_mT8_P12ihipStream_tbDpT10_ENKUlT_T0_E_clISt17integral_constantIbLb1EES1C_EEDaS17_S18_EUlS17_E_NS1_11comp_targetILNS1_3genE0ELNS1_11target_archE4294967295ELNS1_3gpuE0ELNS1_3repE0EEENS1_30default_config_static_selectorELNS0_4arch9wavefront6targetE0EEEvT1_.num_named_barrier, 0
	.set _ZN7rocprim17ROCPRIM_400000_NS6detail17trampoline_kernelINS0_14default_configENS1_25partition_config_selectorILNS1_17partition_subalgoE8ElNS0_10empty_typeEbEEZZNS1_14partition_implILS5_8ELb0ES3_jPlPS6_PKS6_NS0_5tupleIJS9_S6_EEENSD_IJSA_SA_EEENS0_18inequality_wrapperIZN2at6native12_GLOBAL__N_124unique_dim_cuda_templateIsEESt5tupleIJNSH_6TensorESM_SM_EERKSM_lbbbEUlllE0_EEPmJS6_EEE10hipError_tPvRmT3_T4_T5_T6_T7_T9_mT8_P12ihipStream_tbDpT10_ENKUlT_T0_E_clISt17integral_constantIbLb1EES1C_EEDaS17_S18_EUlS17_E_NS1_11comp_targetILNS1_3genE0ELNS1_11target_archE4294967295ELNS1_3gpuE0ELNS1_3repE0EEENS1_30default_config_static_selectorELNS0_4arch9wavefront6targetE0EEEvT1_.private_seg_size, 0
	.set _ZN7rocprim17ROCPRIM_400000_NS6detail17trampoline_kernelINS0_14default_configENS1_25partition_config_selectorILNS1_17partition_subalgoE8ElNS0_10empty_typeEbEEZZNS1_14partition_implILS5_8ELb0ES3_jPlPS6_PKS6_NS0_5tupleIJS9_S6_EEENSD_IJSA_SA_EEENS0_18inequality_wrapperIZN2at6native12_GLOBAL__N_124unique_dim_cuda_templateIsEESt5tupleIJNSH_6TensorESM_SM_EERKSM_lbbbEUlllE0_EEPmJS6_EEE10hipError_tPvRmT3_T4_T5_T6_T7_T9_mT8_P12ihipStream_tbDpT10_ENKUlT_T0_E_clISt17integral_constantIbLb1EES1C_EEDaS17_S18_EUlS17_E_NS1_11comp_targetILNS1_3genE0ELNS1_11target_archE4294967295ELNS1_3gpuE0ELNS1_3repE0EEENS1_30default_config_static_selectorELNS0_4arch9wavefront6targetE0EEEvT1_.uses_vcc, 0
	.set _ZN7rocprim17ROCPRIM_400000_NS6detail17trampoline_kernelINS0_14default_configENS1_25partition_config_selectorILNS1_17partition_subalgoE8ElNS0_10empty_typeEbEEZZNS1_14partition_implILS5_8ELb0ES3_jPlPS6_PKS6_NS0_5tupleIJS9_S6_EEENSD_IJSA_SA_EEENS0_18inequality_wrapperIZN2at6native12_GLOBAL__N_124unique_dim_cuda_templateIsEESt5tupleIJNSH_6TensorESM_SM_EERKSM_lbbbEUlllE0_EEPmJS6_EEE10hipError_tPvRmT3_T4_T5_T6_T7_T9_mT8_P12ihipStream_tbDpT10_ENKUlT_T0_E_clISt17integral_constantIbLb1EES1C_EEDaS17_S18_EUlS17_E_NS1_11comp_targetILNS1_3genE0ELNS1_11target_archE4294967295ELNS1_3gpuE0ELNS1_3repE0EEENS1_30default_config_static_selectorELNS0_4arch9wavefront6targetE0EEEvT1_.uses_flat_scratch, 0
	.set _ZN7rocprim17ROCPRIM_400000_NS6detail17trampoline_kernelINS0_14default_configENS1_25partition_config_selectorILNS1_17partition_subalgoE8ElNS0_10empty_typeEbEEZZNS1_14partition_implILS5_8ELb0ES3_jPlPS6_PKS6_NS0_5tupleIJS9_S6_EEENSD_IJSA_SA_EEENS0_18inequality_wrapperIZN2at6native12_GLOBAL__N_124unique_dim_cuda_templateIsEESt5tupleIJNSH_6TensorESM_SM_EERKSM_lbbbEUlllE0_EEPmJS6_EEE10hipError_tPvRmT3_T4_T5_T6_T7_T9_mT8_P12ihipStream_tbDpT10_ENKUlT_T0_E_clISt17integral_constantIbLb1EES1C_EEDaS17_S18_EUlS17_E_NS1_11comp_targetILNS1_3genE0ELNS1_11target_archE4294967295ELNS1_3gpuE0ELNS1_3repE0EEENS1_30default_config_static_selectorELNS0_4arch9wavefront6targetE0EEEvT1_.has_dyn_sized_stack, 0
	.set _ZN7rocprim17ROCPRIM_400000_NS6detail17trampoline_kernelINS0_14default_configENS1_25partition_config_selectorILNS1_17partition_subalgoE8ElNS0_10empty_typeEbEEZZNS1_14partition_implILS5_8ELb0ES3_jPlPS6_PKS6_NS0_5tupleIJS9_S6_EEENSD_IJSA_SA_EEENS0_18inequality_wrapperIZN2at6native12_GLOBAL__N_124unique_dim_cuda_templateIsEESt5tupleIJNSH_6TensorESM_SM_EERKSM_lbbbEUlllE0_EEPmJS6_EEE10hipError_tPvRmT3_T4_T5_T6_T7_T9_mT8_P12ihipStream_tbDpT10_ENKUlT_T0_E_clISt17integral_constantIbLb1EES1C_EEDaS17_S18_EUlS17_E_NS1_11comp_targetILNS1_3genE0ELNS1_11target_archE4294967295ELNS1_3gpuE0ELNS1_3repE0EEENS1_30default_config_static_selectorELNS0_4arch9wavefront6targetE0EEEvT1_.has_recursion, 0
	.set _ZN7rocprim17ROCPRIM_400000_NS6detail17trampoline_kernelINS0_14default_configENS1_25partition_config_selectorILNS1_17partition_subalgoE8ElNS0_10empty_typeEbEEZZNS1_14partition_implILS5_8ELb0ES3_jPlPS6_PKS6_NS0_5tupleIJS9_S6_EEENSD_IJSA_SA_EEENS0_18inequality_wrapperIZN2at6native12_GLOBAL__N_124unique_dim_cuda_templateIsEESt5tupleIJNSH_6TensorESM_SM_EERKSM_lbbbEUlllE0_EEPmJS6_EEE10hipError_tPvRmT3_T4_T5_T6_T7_T9_mT8_P12ihipStream_tbDpT10_ENKUlT_T0_E_clISt17integral_constantIbLb1EES1C_EEDaS17_S18_EUlS17_E_NS1_11comp_targetILNS1_3genE0ELNS1_11target_archE4294967295ELNS1_3gpuE0ELNS1_3repE0EEENS1_30default_config_static_selectorELNS0_4arch9wavefront6targetE0EEEvT1_.has_indirect_call, 0
	.section	.AMDGPU.csdata,"",@progbits
; Kernel info:
; codeLenInByte = 4
; TotalNumSgprs: 0
; NumVgprs: 0
; ScratchSize: 0
; MemoryBound: 0
; FloatMode: 240
; IeeeMode: 1
; LDSByteSize: 0 bytes/workgroup (compile time only)
; SGPRBlocks: 0
; VGPRBlocks: 0
; NumSGPRsForWavesPerEU: 1
; NumVGPRsForWavesPerEU: 1
; NamedBarCnt: 0
; Occupancy: 16
; WaveLimiterHint : 0
; COMPUTE_PGM_RSRC2:SCRATCH_EN: 0
; COMPUTE_PGM_RSRC2:USER_SGPR: 2
; COMPUTE_PGM_RSRC2:TRAP_HANDLER: 0
; COMPUTE_PGM_RSRC2:TGID_X_EN: 1
; COMPUTE_PGM_RSRC2:TGID_Y_EN: 0
; COMPUTE_PGM_RSRC2:TGID_Z_EN: 0
; COMPUTE_PGM_RSRC2:TIDIG_COMP_CNT: 0
	.section	.text._ZN7rocprim17ROCPRIM_400000_NS6detail17trampoline_kernelINS0_14default_configENS1_25partition_config_selectorILNS1_17partition_subalgoE8ElNS0_10empty_typeEbEEZZNS1_14partition_implILS5_8ELb0ES3_jPlPS6_PKS6_NS0_5tupleIJS9_S6_EEENSD_IJSA_SA_EEENS0_18inequality_wrapperIZN2at6native12_GLOBAL__N_124unique_dim_cuda_templateIsEESt5tupleIJNSH_6TensorESM_SM_EERKSM_lbbbEUlllE0_EEPmJS6_EEE10hipError_tPvRmT3_T4_T5_T6_T7_T9_mT8_P12ihipStream_tbDpT10_ENKUlT_T0_E_clISt17integral_constantIbLb1EES1C_EEDaS17_S18_EUlS17_E_NS1_11comp_targetILNS1_3genE5ELNS1_11target_archE942ELNS1_3gpuE9ELNS1_3repE0EEENS1_30default_config_static_selectorELNS0_4arch9wavefront6targetE0EEEvT1_,"axG",@progbits,_ZN7rocprim17ROCPRIM_400000_NS6detail17trampoline_kernelINS0_14default_configENS1_25partition_config_selectorILNS1_17partition_subalgoE8ElNS0_10empty_typeEbEEZZNS1_14partition_implILS5_8ELb0ES3_jPlPS6_PKS6_NS0_5tupleIJS9_S6_EEENSD_IJSA_SA_EEENS0_18inequality_wrapperIZN2at6native12_GLOBAL__N_124unique_dim_cuda_templateIsEESt5tupleIJNSH_6TensorESM_SM_EERKSM_lbbbEUlllE0_EEPmJS6_EEE10hipError_tPvRmT3_T4_T5_T6_T7_T9_mT8_P12ihipStream_tbDpT10_ENKUlT_T0_E_clISt17integral_constantIbLb1EES1C_EEDaS17_S18_EUlS17_E_NS1_11comp_targetILNS1_3genE5ELNS1_11target_archE942ELNS1_3gpuE9ELNS1_3repE0EEENS1_30default_config_static_selectorELNS0_4arch9wavefront6targetE0EEEvT1_,comdat
	.globl	_ZN7rocprim17ROCPRIM_400000_NS6detail17trampoline_kernelINS0_14default_configENS1_25partition_config_selectorILNS1_17partition_subalgoE8ElNS0_10empty_typeEbEEZZNS1_14partition_implILS5_8ELb0ES3_jPlPS6_PKS6_NS0_5tupleIJS9_S6_EEENSD_IJSA_SA_EEENS0_18inequality_wrapperIZN2at6native12_GLOBAL__N_124unique_dim_cuda_templateIsEESt5tupleIJNSH_6TensorESM_SM_EERKSM_lbbbEUlllE0_EEPmJS6_EEE10hipError_tPvRmT3_T4_T5_T6_T7_T9_mT8_P12ihipStream_tbDpT10_ENKUlT_T0_E_clISt17integral_constantIbLb1EES1C_EEDaS17_S18_EUlS17_E_NS1_11comp_targetILNS1_3genE5ELNS1_11target_archE942ELNS1_3gpuE9ELNS1_3repE0EEENS1_30default_config_static_selectorELNS0_4arch9wavefront6targetE0EEEvT1_ ; -- Begin function _ZN7rocprim17ROCPRIM_400000_NS6detail17trampoline_kernelINS0_14default_configENS1_25partition_config_selectorILNS1_17partition_subalgoE8ElNS0_10empty_typeEbEEZZNS1_14partition_implILS5_8ELb0ES3_jPlPS6_PKS6_NS0_5tupleIJS9_S6_EEENSD_IJSA_SA_EEENS0_18inequality_wrapperIZN2at6native12_GLOBAL__N_124unique_dim_cuda_templateIsEESt5tupleIJNSH_6TensorESM_SM_EERKSM_lbbbEUlllE0_EEPmJS6_EEE10hipError_tPvRmT3_T4_T5_T6_T7_T9_mT8_P12ihipStream_tbDpT10_ENKUlT_T0_E_clISt17integral_constantIbLb1EES1C_EEDaS17_S18_EUlS17_E_NS1_11comp_targetILNS1_3genE5ELNS1_11target_archE942ELNS1_3gpuE9ELNS1_3repE0EEENS1_30default_config_static_selectorELNS0_4arch9wavefront6targetE0EEEvT1_
	.p2align	8
	.type	_ZN7rocprim17ROCPRIM_400000_NS6detail17trampoline_kernelINS0_14default_configENS1_25partition_config_selectorILNS1_17partition_subalgoE8ElNS0_10empty_typeEbEEZZNS1_14partition_implILS5_8ELb0ES3_jPlPS6_PKS6_NS0_5tupleIJS9_S6_EEENSD_IJSA_SA_EEENS0_18inequality_wrapperIZN2at6native12_GLOBAL__N_124unique_dim_cuda_templateIsEESt5tupleIJNSH_6TensorESM_SM_EERKSM_lbbbEUlllE0_EEPmJS6_EEE10hipError_tPvRmT3_T4_T5_T6_T7_T9_mT8_P12ihipStream_tbDpT10_ENKUlT_T0_E_clISt17integral_constantIbLb1EES1C_EEDaS17_S18_EUlS17_E_NS1_11comp_targetILNS1_3genE5ELNS1_11target_archE942ELNS1_3gpuE9ELNS1_3repE0EEENS1_30default_config_static_selectorELNS0_4arch9wavefront6targetE0EEEvT1_,@function
_ZN7rocprim17ROCPRIM_400000_NS6detail17trampoline_kernelINS0_14default_configENS1_25partition_config_selectorILNS1_17partition_subalgoE8ElNS0_10empty_typeEbEEZZNS1_14partition_implILS5_8ELb0ES3_jPlPS6_PKS6_NS0_5tupleIJS9_S6_EEENSD_IJSA_SA_EEENS0_18inequality_wrapperIZN2at6native12_GLOBAL__N_124unique_dim_cuda_templateIsEESt5tupleIJNSH_6TensorESM_SM_EERKSM_lbbbEUlllE0_EEPmJS6_EEE10hipError_tPvRmT3_T4_T5_T6_T7_T9_mT8_P12ihipStream_tbDpT10_ENKUlT_T0_E_clISt17integral_constantIbLb1EES1C_EEDaS17_S18_EUlS17_E_NS1_11comp_targetILNS1_3genE5ELNS1_11target_archE942ELNS1_3gpuE9ELNS1_3repE0EEENS1_30default_config_static_selectorELNS0_4arch9wavefront6targetE0EEEvT1_: ; @_ZN7rocprim17ROCPRIM_400000_NS6detail17trampoline_kernelINS0_14default_configENS1_25partition_config_selectorILNS1_17partition_subalgoE8ElNS0_10empty_typeEbEEZZNS1_14partition_implILS5_8ELb0ES3_jPlPS6_PKS6_NS0_5tupleIJS9_S6_EEENSD_IJSA_SA_EEENS0_18inequality_wrapperIZN2at6native12_GLOBAL__N_124unique_dim_cuda_templateIsEESt5tupleIJNSH_6TensorESM_SM_EERKSM_lbbbEUlllE0_EEPmJS6_EEE10hipError_tPvRmT3_T4_T5_T6_T7_T9_mT8_P12ihipStream_tbDpT10_ENKUlT_T0_E_clISt17integral_constantIbLb1EES1C_EEDaS17_S18_EUlS17_E_NS1_11comp_targetILNS1_3genE5ELNS1_11target_archE942ELNS1_3gpuE9ELNS1_3repE0EEENS1_30default_config_static_selectorELNS0_4arch9wavefront6targetE0EEEvT1_
; %bb.0:
	.section	.rodata,"a",@progbits
	.p2align	6, 0x0
	.amdhsa_kernel _ZN7rocprim17ROCPRIM_400000_NS6detail17trampoline_kernelINS0_14default_configENS1_25partition_config_selectorILNS1_17partition_subalgoE8ElNS0_10empty_typeEbEEZZNS1_14partition_implILS5_8ELb0ES3_jPlPS6_PKS6_NS0_5tupleIJS9_S6_EEENSD_IJSA_SA_EEENS0_18inequality_wrapperIZN2at6native12_GLOBAL__N_124unique_dim_cuda_templateIsEESt5tupleIJNSH_6TensorESM_SM_EERKSM_lbbbEUlllE0_EEPmJS6_EEE10hipError_tPvRmT3_T4_T5_T6_T7_T9_mT8_P12ihipStream_tbDpT10_ENKUlT_T0_E_clISt17integral_constantIbLb1EES1C_EEDaS17_S18_EUlS17_E_NS1_11comp_targetILNS1_3genE5ELNS1_11target_archE942ELNS1_3gpuE9ELNS1_3repE0EEENS1_30default_config_static_selectorELNS0_4arch9wavefront6targetE0EEEvT1_
		.amdhsa_group_segment_fixed_size 0
		.amdhsa_private_segment_fixed_size 0
		.amdhsa_kernarg_size 136
		.amdhsa_user_sgpr_count 2
		.amdhsa_user_sgpr_dispatch_ptr 0
		.amdhsa_user_sgpr_queue_ptr 0
		.amdhsa_user_sgpr_kernarg_segment_ptr 1
		.amdhsa_user_sgpr_dispatch_id 0
		.amdhsa_user_sgpr_kernarg_preload_length 0
		.amdhsa_user_sgpr_kernarg_preload_offset 0
		.amdhsa_user_sgpr_private_segment_size 0
		.amdhsa_wavefront_size32 1
		.amdhsa_uses_dynamic_stack 0
		.amdhsa_enable_private_segment 0
		.amdhsa_system_sgpr_workgroup_id_x 1
		.amdhsa_system_sgpr_workgroup_id_y 0
		.amdhsa_system_sgpr_workgroup_id_z 0
		.amdhsa_system_sgpr_workgroup_info 0
		.amdhsa_system_vgpr_workitem_id 0
		.amdhsa_next_free_vgpr 1
		.amdhsa_next_free_sgpr 1
		.amdhsa_named_barrier_count 0
		.amdhsa_reserve_vcc 0
		.amdhsa_float_round_mode_32 0
		.amdhsa_float_round_mode_16_64 0
		.amdhsa_float_denorm_mode_32 3
		.amdhsa_float_denorm_mode_16_64 3
		.amdhsa_fp16_overflow 0
		.amdhsa_memory_ordered 1
		.amdhsa_forward_progress 1
		.amdhsa_inst_pref_size 0
		.amdhsa_round_robin_scheduling 0
		.amdhsa_exception_fp_ieee_invalid_op 0
		.amdhsa_exception_fp_denorm_src 0
		.amdhsa_exception_fp_ieee_div_zero 0
		.amdhsa_exception_fp_ieee_overflow 0
		.amdhsa_exception_fp_ieee_underflow 0
		.amdhsa_exception_fp_ieee_inexact 0
		.amdhsa_exception_int_div_zero 0
	.end_amdhsa_kernel
	.section	.text._ZN7rocprim17ROCPRIM_400000_NS6detail17trampoline_kernelINS0_14default_configENS1_25partition_config_selectorILNS1_17partition_subalgoE8ElNS0_10empty_typeEbEEZZNS1_14partition_implILS5_8ELb0ES3_jPlPS6_PKS6_NS0_5tupleIJS9_S6_EEENSD_IJSA_SA_EEENS0_18inequality_wrapperIZN2at6native12_GLOBAL__N_124unique_dim_cuda_templateIsEESt5tupleIJNSH_6TensorESM_SM_EERKSM_lbbbEUlllE0_EEPmJS6_EEE10hipError_tPvRmT3_T4_T5_T6_T7_T9_mT8_P12ihipStream_tbDpT10_ENKUlT_T0_E_clISt17integral_constantIbLb1EES1C_EEDaS17_S18_EUlS17_E_NS1_11comp_targetILNS1_3genE5ELNS1_11target_archE942ELNS1_3gpuE9ELNS1_3repE0EEENS1_30default_config_static_selectorELNS0_4arch9wavefront6targetE0EEEvT1_,"axG",@progbits,_ZN7rocprim17ROCPRIM_400000_NS6detail17trampoline_kernelINS0_14default_configENS1_25partition_config_selectorILNS1_17partition_subalgoE8ElNS0_10empty_typeEbEEZZNS1_14partition_implILS5_8ELb0ES3_jPlPS6_PKS6_NS0_5tupleIJS9_S6_EEENSD_IJSA_SA_EEENS0_18inequality_wrapperIZN2at6native12_GLOBAL__N_124unique_dim_cuda_templateIsEESt5tupleIJNSH_6TensorESM_SM_EERKSM_lbbbEUlllE0_EEPmJS6_EEE10hipError_tPvRmT3_T4_T5_T6_T7_T9_mT8_P12ihipStream_tbDpT10_ENKUlT_T0_E_clISt17integral_constantIbLb1EES1C_EEDaS17_S18_EUlS17_E_NS1_11comp_targetILNS1_3genE5ELNS1_11target_archE942ELNS1_3gpuE9ELNS1_3repE0EEENS1_30default_config_static_selectorELNS0_4arch9wavefront6targetE0EEEvT1_,comdat
.Lfunc_end694:
	.size	_ZN7rocprim17ROCPRIM_400000_NS6detail17trampoline_kernelINS0_14default_configENS1_25partition_config_selectorILNS1_17partition_subalgoE8ElNS0_10empty_typeEbEEZZNS1_14partition_implILS5_8ELb0ES3_jPlPS6_PKS6_NS0_5tupleIJS9_S6_EEENSD_IJSA_SA_EEENS0_18inequality_wrapperIZN2at6native12_GLOBAL__N_124unique_dim_cuda_templateIsEESt5tupleIJNSH_6TensorESM_SM_EERKSM_lbbbEUlllE0_EEPmJS6_EEE10hipError_tPvRmT3_T4_T5_T6_T7_T9_mT8_P12ihipStream_tbDpT10_ENKUlT_T0_E_clISt17integral_constantIbLb1EES1C_EEDaS17_S18_EUlS17_E_NS1_11comp_targetILNS1_3genE5ELNS1_11target_archE942ELNS1_3gpuE9ELNS1_3repE0EEENS1_30default_config_static_selectorELNS0_4arch9wavefront6targetE0EEEvT1_, .Lfunc_end694-_ZN7rocprim17ROCPRIM_400000_NS6detail17trampoline_kernelINS0_14default_configENS1_25partition_config_selectorILNS1_17partition_subalgoE8ElNS0_10empty_typeEbEEZZNS1_14partition_implILS5_8ELb0ES3_jPlPS6_PKS6_NS0_5tupleIJS9_S6_EEENSD_IJSA_SA_EEENS0_18inequality_wrapperIZN2at6native12_GLOBAL__N_124unique_dim_cuda_templateIsEESt5tupleIJNSH_6TensorESM_SM_EERKSM_lbbbEUlllE0_EEPmJS6_EEE10hipError_tPvRmT3_T4_T5_T6_T7_T9_mT8_P12ihipStream_tbDpT10_ENKUlT_T0_E_clISt17integral_constantIbLb1EES1C_EEDaS17_S18_EUlS17_E_NS1_11comp_targetILNS1_3genE5ELNS1_11target_archE942ELNS1_3gpuE9ELNS1_3repE0EEENS1_30default_config_static_selectorELNS0_4arch9wavefront6targetE0EEEvT1_
                                        ; -- End function
	.set _ZN7rocprim17ROCPRIM_400000_NS6detail17trampoline_kernelINS0_14default_configENS1_25partition_config_selectorILNS1_17partition_subalgoE8ElNS0_10empty_typeEbEEZZNS1_14partition_implILS5_8ELb0ES3_jPlPS6_PKS6_NS0_5tupleIJS9_S6_EEENSD_IJSA_SA_EEENS0_18inequality_wrapperIZN2at6native12_GLOBAL__N_124unique_dim_cuda_templateIsEESt5tupleIJNSH_6TensorESM_SM_EERKSM_lbbbEUlllE0_EEPmJS6_EEE10hipError_tPvRmT3_T4_T5_T6_T7_T9_mT8_P12ihipStream_tbDpT10_ENKUlT_T0_E_clISt17integral_constantIbLb1EES1C_EEDaS17_S18_EUlS17_E_NS1_11comp_targetILNS1_3genE5ELNS1_11target_archE942ELNS1_3gpuE9ELNS1_3repE0EEENS1_30default_config_static_selectorELNS0_4arch9wavefront6targetE0EEEvT1_.num_vgpr, 0
	.set _ZN7rocprim17ROCPRIM_400000_NS6detail17trampoline_kernelINS0_14default_configENS1_25partition_config_selectorILNS1_17partition_subalgoE8ElNS0_10empty_typeEbEEZZNS1_14partition_implILS5_8ELb0ES3_jPlPS6_PKS6_NS0_5tupleIJS9_S6_EEENSD_IJSA_SA_EEENS0_18inequality_wrapperIZN2at6native12_GLOBAL__N_124unique_dim_cuda_templateIsEESt5tupleIJNSH_6TensorESM_SM_EERKSM_lbbbEUlllE0_EEPmJS6_EEE10hipError_tPvRmT3_T4_T5_T6_T7_T9_mT8_P12ihipStream_tbDpT10_ENKUlT_T0_E_clISt17integral_constantIbLb1EES1C_EEDaS17_S18_EUlS17_E_NS1_11comp_targetILNS1_3genE5ELNS1_11target_archE942ELNS1_3gpuE9ELNS1_3repE0EEENS1_30default_config_static_selectorELNS0_4arch9wavefront6targetE0EEEvT1_.num_agpr, 0
	.set _ZN7rocprim17ROCPRIM_400000_NS6detail17trampoline_kernelINS0_14default_configENS1_25partition_config_selectorILNS1_17partition_subalgoE8ElNS0_10empty_typeEbEEZZNS1_14partition_implILS5_8ELb0ES3_jPlPS6_PKS6_NS0_5tupleIJS9_S6_EEENSD_IJSA_SA_EEENS0_18inequality_wrapperIZN2at6native12_GLOBAL__N_124unique_dim_cuda_templateIsEESt5tupleIJNSH_6TensorESM_SM_EERKSM_lbbbEUlllE0_EEPmJS6_EEE10hipError_tPvRmT3_T4_T5_T6_T7_T9_mT8_P12ihipStream_tbDpT10_ENKUlT_T0_E_clISt17integral_constantIbLb1EES1C_EEDaS17_S18_EUlS17_E_NS1_11comp_targetILNS1_3genE5ELNS1_11target_archE942ELNS1_3gpuE9ELNS1_3repE0EEENS1_30default_config_static_selectorELNS0_4arch9wavefront6targetE0EEEvT1_.numbered_sgpr, 0
	.set _ZN7rocprim17ROCPRIM_400000_NS6detail17trampoline_kernelINS0_14default_configENS1_25partition_config_selectorILNS1_17partition_subalgoE8ElNS0_10empty_typeEbEEZZNS1_14partition_implILS5_8ELb0ES3_jPlPS6_PKS6_NS0_5tupleIJS9_S6_EEENSD_IJSA_SA_EEENS0_18inequality_wrapperIZN2at6native12_GLOBAL__N_124unique_dim_cuda_templateIsEESt5tupleIJNSH_6TensorESM_SM_EERKSM_lbbbEUlllE0_EEPmJS6_EEE10hipError_tPvRmT3_T4_T5_T6_T7_T9_mT8_P12ihipStream_tbDpT10_ENKUlT_T0_E_clISt17integral_constantIbLb1EES1C_EEDaS17_S18_EUlS17_E_NS1_11comp_targetILNS1_3genE5ELNS1_11target_archE942ELNS1_3gpuE9ELNS1_3repE0EEENS1_30default_config_static_selectorELNS0_4arch9wavefront6targetE0EEEvT1_.num_named_barrier, 0
	.set _ZN7rocprim17ROCPRIM_400000_NS6detail17trampoline_kernelINS0_14default_configENS1_25partition_config_selectorILNS1_17partition_subalgoE8ElNS0_10empty_typeEbEEZZNS1_14partition_implILS5_8ELb0ES3_jPlPS6_PKS6_NS0_5tupleIJS9_S6_EEENSD_IJSA_SA_EEENS0_18inequality_wrapperIZN2at6native12_GLOBAL__N_124unique_dim_cuda_templateIsEESt5tupleIJNSH_6TensorESM_SM_EERKSM_lbbbEUlllE0_EEPmJS6_EEE10hipError_tPvRmT3_T4_T5_T6_T7_T9_mT8_P12ihipStream_tbDpT10_ENKUlT_T0_E_clISt17integral_constantIbLb1EES1C_EEDaS17_S18_EUlS17_E_NS1_11comp_targetILNS1_3genE5ELNS1_11target_archE942ELNS1_3gpuE9ELNS1_3repE0EEENS1_30default_config_static_selectorELNS0_4arch9wavefront6targetE0EEEvT1_.private_seg_size, 0
	.set _ZN7rocprim17ROCPRIM_400000_NS6detail17trampoline_kernelINS0_14default_configENS1_25partition_config_selectorILNS1_17partition_subalgoE8ElNS0_10empty_typeEbEEZZNS1_14partition_implILS5_8ELb0ES3_jPlPS6_PKS6_NS0_5tupleIJS9_S6_EEENSD_IJSA_SA_EEENS0_18inequality_wrapperIZN2at6native12_GLOBAL__N_124unique_dim_cuda_templateIsEESt5tupleIJNSH_6TensorESM_SM_EERKSM_lbbbEUlllE0_EEPmJS6_EEE10hipError_tPvRmT3_T4_T5_T6_T7_T9_mT8_P12ihipStream_tbDpT10_ENKUlT_T0_E_clISt17integral_constantIbLb1EES1C_EEDaS17_S18_EUlS17_E_NS1_11comp_targetILNS1_3genE5ELNS1_11target_archE942ELNS1_3gpuE9ELNS1_3repE0EEENS1_30default_config_static_selectorELNS0_4arch9wavefront6targetE0EEEvT1_.uses_vcc, 0
	.set _ZN7rocprim17ROCPRIM_400000_NS6detail17trampoline_kernelINS0_14default_configENS1_25partition_config_selectorILNS1_17partition_subalgoE8ElNS0_10empty_typeEbEEZZNS1_14partition_implILS5_8ELb0ES3_jPlPS6_PKS6_NS0_5tupleIJS9_S6_EEENSD_IJSA_SA_EEENS0_18inequality_wrapperIZN2at6native12_GLOBAL__N_124unique_dim_cuda_templateIsEESt5tupleIJNSH_6TensorESM_SM_EERKSM_lbbbEUlllE0_EEPmJS6_EEE10hipError_tPvRmT3_T4_T5_T6_T7_T9_mT8_P12ihipStream_tbDpT10_ENKUlT_T0_E_clISt17integral_constantIbLb1EES1C_EEDaS17_S18_EUlS17_E_NS1_11comp_targetILNS1_3genE5ELNS1_11target_archE942ELNS1_3gpuE9ELNS1_3repE0EEENS1_30default_config_static_selectorELNS0_4arch9wavefront6targetE0EEEvT1_.uses_flat_scratch, 0
	.set _ZN7rocprim17ROCPRIM_400000_NS6detail17trampoline_kernelINS0_14default_configENS1_25partition_config_selectorILNS1_17partition_subalgoE8ElNS0_10empty_typeEbEEZZNS1_14partition_implILS5_8ELb0ES3_jPlPS6_PKS6_NS0_5tupleIJS9_S6_EEENSD_IJSA_SA_EEENS0_18inequality_wrapperIZN2at6native12_GLOBAL__N_124unique_dim_cuda_templateIsEESt5tupleIJNSH_6TensorESM_SM_EERKSM_lbbbEUlllE0_EEPmJS6_EEE10hipError_tPvRmT3_T4_T5_T6_T7_T9_mT8_P12ihipStream_tbDpT10_ENKUlT_T0_E_clISt17integral_constantIbLb1EES1C_EEDaS17_S18_EUlS17_E_NS1_11comp_targetILNS1_3genE5ELNS1_11target_archE942ELNS1_3gpuE9ELNS1_3repE0EEENS1_30default_config_static_selectorELNS0_4arch9wavefront6targetE0EEEvT1_.has_dyn_sized_stack, 0
	.set _ZN7rocprim17ROCPRIM_400000_NS6detail17trampoline_kernelINS0_14default_configENS1_25partition_config_selectorILNS1_17partition_subalgoE8ElNS0_10empty_typeEbEEZZNS1_14partition_implILS5_8ELb0ES3_jPlPS6_PKS6_NS0_5tupleIJS9_S6_EEENSD_IJSA_SA_EEENS0_18inequality_wrapperIZN2at6native12_GLOBAL__N_124unique_dim_cuda_templateIsEESt5tupleIJNSH_6TensorESM_SM_EERKSM_lbbbEUlllE0_EEPmJS6_EEE10hipError_tPvRmT3_T4_T5_T6_T7_T9_mT8_P12ihipStream_tbDpT10_ENKUlT_T0_E_clISt17integral_constantIbLb1EES1C_EEDaS17_S18_EUlS17_E_NS1_11comp_targetILNS1_3genE5ELNS1_11target_archE942ELNS1_3gpuE9ELNS1_3repE0EEENS1_30default_config_static_selectorELNS0_4arch9wavefront6targetE0EEEvT1_.has_recursion, 0
	.set _ZN7rocprim17ROCPRIM_400000_NS6detail17trampoline_kernelINS0_14default_configENS1_25partition_config_selectorILNS1_17partition_subalgoE8ElNS0_10empty_typeEbEEZZNS1_14partition_implILS5_8ELb0ES3_jPlPS6_PKS6_NS0_5tupleIJS9_S6_EEENSD_IJSA_SA_EEENS0_18inequality_wrapperIZN2at6native12_GLOBAL__N_124unique_dim_cuda_templateIsEESt5tupleIJNSH_6TensorESM_SM_EERKSM_lbbbEUlllE0_EEPmJS6_EEE10hipError_tPvRmT3_T4_T5_T6_T7_T9_mT8_P12ihipStream_tbDpT10_ENKUlT_T0_E_clISt17integral_constantIbLb1EES1C_EEDaS17_S18_EUlS17_E_NS1_11comp_targetILNS1_3genE5ELNS1_11target_archE942ELNS1_3gpuE9ELNS1_3repE0EEENS1_30default_config_static_selectorELNS0_4arch9wavefront6targetE0EEEvT1_.has_indirect_call, 0
	.section	.AMDGPU.csdata,"",@progbits
; Kernel info:
; codeLenInByte = 0
; TotalNumSgprs: 0
; NumVgprs: 0
; ScratchSize: 0
; MemoryBound: 0
; FloatMode: 240
; IeeeMode: 1
; LDSByteSize: 0 bytes/workgroup (compile time only)
; SGPRBlocks: 0
; VGPRBlocks: 0
; NumSGPRsForWavesPerEU: 1
; NumVGPRsForWavesPerEU: 1
; NamedBarCnt: 0
; Occupancy: 16
; WaveLimiterHint : 0
; COMPUTE_PGM_RSRC2:SCRATCH_EN: 0
; COMPUTE_PGM_RSRC2:USER_SGPR: 2
; COMPUTE_PGM_RSRC2:TRAP_HANDLER: 0
; COMPUTE_PGM_RSRC2:TGID_X_EN: 1
; COMPUTE_PGM_RSRC2:TGID_Y_EN: 0
; COMPUTE_PGM_RSRC2:TGID_Z_EN: 0
; COMPUTE_PGM_RSRC2:TIDIG_COMP_CNT: 0
	.section	.text._ZN7rocprim17ROCPRIM_400000_NS6detail17trampoline_kernelINS0_14default_configENS1_25partition_config_selectorILNS1_17partition_subalgoE8ElNS0_10empty_typeEbEEZZNS1_14partition_implILS5_8ELb0ES3_jPlPS6_PKS6_NS0_5tupleIJS9_S6_EEENSD_IJSA_SA_EEENS0_18inequality_wrapperIZN2at6native12_GLOBAL__N_124unique_dim_cuda_templateIsEESt5tupleIJNSH_6TensorESM_SM_EERKSM_lbbbEUlllE0_EEPmJS6_EEE10hipError_tPvRmT3_T4_T5_T6_T7_T9_mT8_P12ihipStream_tbDpT10_ENKUlT_T0_E_clISt17integral_constantIbLb1EES1C_EEDaS17_S18_EUlS17_E_NS1_11comp_targetILNS1_3genE4ELNS1_11target_archE910ELNS1_3gpuE8ELNS1_3repE0EEENS1_30default_config_static_selectorELNS0_4arch9wavefront6targetE0EEEvT1_,"axG",@progbits,_ZN7rocprim17ROCPRIM_400000_NS6detail17trampoline_kernelINS0_14default_configENS1_25partition_config_selectorILNS1_17partition_subalgoE8ElNS0_10empty_typeEbEEZZNS1_14partition_implILS5_8ELb0ES3_jPlPS6_PKS6_NS0_5tupleIJS9_S6_EEENSD_IJSA_SA_EEENS0_18inequality_wrapperIZN2at6native12_GLOBAL__N_124unique_dim_cuda_templateIsEESt5tupleIJNSH_6TensorESM_SM_EERKSM_lbbbEUlllE0_EEPmJS6_EEE10hipError_tPvRmT3_T4_T5_T6_T7_T9_mT8_P12ihipStream_tbDpT10_ENKUlT_T0_E_clISt17integral_constantIbLb1EES1C_EEDaS17_S18_EUlS17_E_NS1_11comp_targetILNS1_3genE4ELNS1_11target_archE910ELNS1_3gpuE8ELNS1_3repE0EEENS1_30default_config_static_selectorELNS0_4arch9wavefront6targetE0EEEvT1_,comdat
	.globl	_ZN7rocprim17ROCPRIM_400000_NS6detail17trampoline_kernelINS0_14default_configENS1_25partition_config_selectorILNS1_17partition_subalgoE8ElNS0_10empty_typeEbEEZZNS1_14partition_implILS5_8ELb0ES3_jPlPS6_PKS6_NS0_5tupleIJS9_S6_EEENSD_IJSA_SA_EEENS0_18inequality_wrapperIZN2at6native12_GLOBAL__N_124unique_dim_cuda_templateIsEESt5tupleIJNSH_6TensorESM_SM_EERKSM_lbbbEUlllE0_EEPmJS6_EEE10hipError_tPvRmT3_T4_T5_T6_T7_T9_mT8_P12ihipStream_tbDpT10_ENKUlT_T0_E_clISt17integral_constantIbLb1EES1C_EEDaS17_S18_EUlS17_E_NS1_11comp_targetILNS1_3genE4ELNS1_11target_archE910ELNS1_3gpuE8ELNS1_3repE0EEENS1_30default_config_static_selectorELNS0_4arch9wavefront6targetE0EEEvT1_ ; -- Begin function _ZN7rocprim17ROCPRIM_400000_NS6detail17trampoline_kernelINS0_14default_configENS1_25partition_config_selectorILNS1_17partition_subalgoE8ElNS0_10empty_typeEbEEZZNS1_14partition_implILS5_8ELb0ES3_jPlPS6_PKS6_NS0_5tupleIJS9_S6_EEENSD_IJSA_SA_EEENS0_18inequality_wrapperIZN2at6native12_GLOBAL__N_124unique_dim_cuda_templateIsEESt5tupleIJNSH_6TensorESM_SM_EERKSM_lbbbEUlllE0_EEPmJS6_EEE10hipError_tPvRmT3_T4_T5_T6_T7_T9_mT8_P12ihipStream_tbDpT10_ENKUlT_T0_E_clISt17integral_constantIbLb1EES1C_EEDaS17_S18_EUlS17_E_NS1_11comp_targetILNS1_3genE4ELNS1_11target_archE910ELNS1_3gpuE8ELNS1_3repE0EEENS1_30default_config_static_selectorELNS0_4arch9wavefront6targetE0EEEvT1_
	.p2align	8
	.type	_ZN7rocprim17ROCPRIM_400000_NS6detail17trampoline_kernelINS0_14default_configENS1_25partition_config_selectorILNS1_17partition_subalgoE8ElNS0_10empty_typeEbEEZZNS1_14partition_implILS5_8ELb0ES3_jPlPS6_PKS6_NS0_5tupleIJS9_S6_EEENSD_IJSA_SA_EEENS0_18inequality_wrapperIZN2at6native12_GLOBAL__N_124unique_dim_cuda_templateIsEESt5tupleIJNSH_6TensorESM_SM_EERKSM_lbbbEUlllE0_EEPmJS6_EEE10hipError_tPvRmT3_T4_T5_T6_T7_T9_mT8_P12ihipStream_tbDpT10_ENKUlT_T0_E_clISt17integral_constantIbLb1EES1C_EEDaS17_S18_EUlS17_E_NS1_11comp_targetILNS1_3genE4ELNS1_11target_archE910ELNS1_3gpuE8ELNS1_3repE0EEENS1_30default_config_static_selectorELNS0_4arch9wavefront6targetE0EEEvT1_,@function
_ZN7rocprim17ROCPRIM_400000_NS6detail17trampoline_kernelINS0_14default_configENS1_25partition_config_selectorILNS1_17partition_subalgoE8ElNS0_10empty_typeEbEEZZNS1_14partition_implILS5_8ELb0ES3_jPlPS6_PKS6_NS0_5tupleIJS9_S6_EEENSD_IJSA_SA_EEENS0_18inequality_wrapperIZN2at6native12_GLOBAL__N_124unique_dim_cuda_templateIsEESt5tupleIJNSH_6TensorESM_SM_EERKSM_lbbbEUlllE0_EEPmJS6_EEE10hipError_tPvRmT3_T4_T5_T6_T7_T9_mT8_P12ihipStream_tbDpT10_ENKUlT_T0_E_clISt17integral_constantIbLb1EES1C_EEDaS17_S18_EUlS17_E_NS1_11comp_targetILNS1_3genE4ELNS1_11target_archE910ELNS1_3gpuE8ELNS1_3repE0EEENS1_30default_config_static_selectorELNS0_4arch9wavefront6targetE0EEEvT1_: ; @_ZN7rocprim17ROCPRIM_400000_NS6detail17trampoline_kernelINS0_14default_configENS1_25partition_config_selectorILNS1_17partition_subalgoE8ElNS0_10empty_typeEbEEZZNS1_14partition_implILS5_8ELb0ES3_jPlPS6_PKS6_NS0_5tupleIJS9_S6_EEENSD_IJSA_SA_EEENS0_18inequality_wrapperIZN2at6native12_GLOBAL__N_124unique_dim_cuda_templateIsEESt5tupleIJNSH_6TensorESM_SM_EERKSM_lbbbEUlllE0_EEPmJS6_EEE10hipError_tPvRmT3_T4_T5_T6_T7_T9_mT8_P12ihipStream_tbDpT10_ENKUlT_T0_E_clISt17integral_constantIbLb1EES1C_EEDaS17_S18_EUlS17_E_NS1_11comp_targetILNS1_3genE4ELNS1_11target_archE910ELNS1_3gpuE8ELNS1_3repE0EEENS1_30default_config_static_selectorELNS0_4arch9wavefront6targetE0EEEvT1_
; %bb.0:
	.section	.rodata,"a",@progbits
	.p2align	6, 0x0
	.amdhsa_kernel _ZN7rocprim17ROCPRIM_400000_NS6detail17trampoline_kernelINS0_14default_configENS1_25partition_config_selectorILNS1_17partition_subalgoE8ElNS0_10empty_typeEbEEZZNS1_14partition_implILS5_8ELb0ES3_jPlPS6_PKS6_NS0_5tupleIJS9_S6_EEENSD_IJSA_SA_EEENS0_18inequality_wrapperIZN2at6native12_GLOBAL__N_124unique_dim_cuda_templateIsEESt5tupleIJNSH_6TensorESM_SM_EERKSM_lbbbEUlllE0_EEPmJS6_EEE10hipError_tPvRmT3_T4_T5_T6_T7_T9_mT8_P12ihipStream_tbDpT10_ENKUlT_T0_E_clISt17integral_constantIbLb1EES1C_EEDaS17_S18_EUlS17_E_NS1_11comp_targetILNS1_3genE4ELNS1_11target_archE910ELNS1_3gpuE8ELNS1_3repE0EEENS1_30default_config_static_selectorELNS0_4arch9wavefront6targetE0EEEvT1_
		.amdhsa_group_segment_fixed_size 0
		.amdhsa_private_segment_fixed_size 0
		.amdhsa_kernarg_size 136
		.amdhsa_user_sgpr_count 2
		.amdhsa_user_sgpr_dispatch_ptr 0
		.amdhsa_user_sgpr_queue_ptr 0
		.amdhsa_user_sgpr_kernarg_segment_ptr 1
		.amdhsa_user_sgpr_dispatch_id 0
		.amdhsa_user_sgpr_kernarg_preload_length 0
		.amdhsa_user_sgpr_kernarg_preload_offset 0
		.amdhsa_user_sgpr_private_segment_size 0
		.amdhsa_wavefront_size32 1
		.amdhsa_uses_dynamic_stack 0
		.amdhsa_enable_private_segment 0
		.amdhsa_system_sgpr_workgroup_id_x 1
		.amdhsa_system_sgpr_workgroup_id_y 0
		.amdhsa_system_sgpr_workgroup_id_z 0
		.amdhsa_system_sgpr_workgroup_info 0
		.amdhsa_system_vgpr_workitem_id 0
		.amdhsa_next_free_vgpr 1
		.amdhsa_next_free_sgpr 1
		.amdhsa_named_barrier_count 0
		.amdhsa_reserve_vcc 0
		.amdhsa_float_round_mode_32 0
		.amdhsa_float_round_mode_16_64 0
		.amdhsa_float_denorm_mode_32 3
		.amdhsa_float_denorm_mode_16_64 3
		.amdhsa_fp16_overflow 0
		.amdhsa_memory_ordered 1
		.amdhsa_forward_progress 1
		.amdhsa_inst_pref_size 0
		.amdhsa_round_robin_scheduling 0
		.amdhsa_exception_fp_ieee_invalid_op 0
		.amdhsa_exception_fp_denorm_src 0
		.amdhsa_exception_fp_ieee_div_zero 0
		.amdhsa_exception_fp_ieee_overflow 0
		.amdhsa_exception_fp_ieee_underflow 0
		.amdhsa_exception_fp_ieee_inexact 0
		.amdhsa_exception_int_div_zero 0
	.end_amdhsa_kernel
	.section	.text._ZN7rocprim17ROCPRIM_400000_NS6detail17trampoline_kernelINS0_14default_configENS1_25partition_config_selectorILNS1_17partition_subalgoE8ElNS0_10empty_typeEbEEZZNS1_14partition_implILS5_8ELb0ES3_jPlPS6_PKS6_NS0_5tupleIJS9_S6_EEENSD_IJSA_SA_EEENS0_18inequality_wrapperIZN2at6native12_GLOBAL__N_124unique_dim_cuda_templateIsEESt5tupleIJNSH_6TensorESM_SM_EERKSM_lbbbEUlllE0_EEPmJS6_EEE10hipError_tPvRmT3_T4_T5_T6_T7_T9_mT8_P12ihipStream_tbDpT10_ENKUlT_T0_E_clISt17integral_constantIbLb1EES1C_EEDaS17_S18_EUlS17_E_NS1_11comp_targetILNS1_3genE4ELNS1_11target_archE910ELNS1_3gpuE8ELNS1_3repE0EEENS1_30default_config_static_selectorELNS0_4arch9wavefront6targetE0EEEvT1_,"axG",@progbits,_ZN7rocprim17ROCPRIM_400000_NS6detail17trampoline_kernelINS0_14default_configENS1_25partition_config_selectorILNS1_17partition_subalgoE8ElNS0_10empty_typeEbEEZZNS1_14partition_implILS5_8ELb0ES3_jPlPS6_PKS6_NS0_5tupleIJS9_S6_EEENSD_IJSA_SA_EEENS0_18inequality_wrapperIZN2at6native12_GLOBAL__N_124unique_dim_cuda_templateIsEESt5tupleIJNSH_6TensorESM_SM_EERKSM_lbbbEUlllE0_EEPmJS6_EEE10hipError_tPvRmT3_T4_T5_T6_T7_T9_mT8_P12ihipStream_tbDpT10_ENKUlT_T0_E_clISt17integral_constantIbLb1EES1C_EEDaS17_S18_EUlS17_E_NS1_11comp_targetILNS1_3genE4ELNS1_11target_archE910ELNS1_3gpuE8ELNS1_3repE0EEENS1_30default_config_static_selectorELNS0_4arch9wavefront6targetE0EEEvT1_,comdat
.Lfunc_end695:
	.size	_ZN7rocprim17ROCPRIM_400000_NS6detail17trampoline_kernelINS0_14default_configENS1_25partition_config_selectorILNS1_17partition_subalgoE8ElNS0_10empty_typeEbEEZZNS1_14partition_implILS5_8ELb0ES3_jPlPS6_PKS6_NS0_5tupleIJS9_S6_EEENSD_IJSA_SA_EEENS0_18inequality_wrapperIZN2at6native12_GLOBAL__N_124unique_dim_cuda_templateIsEESt5tupleIJNSH_6TensorESM_SM_EERKSM_lbbbEUlllE0_EEPmJS6_EEE10hipError_tPvRmT3_T4_T5_T6_T7_T9_mT8_P12ihipStream_tbDpT10_ENKUlT_T0_E_clISt17integral_constantIbLb1EES1C_EEDaS17_S18_EUlS17_E_NS1_11comp_targetILNS1_3genE4ELNS1_11target_archE910ELNS1_3gpuE8ELNS1_3repE0EEENS1_30default_config_static_selectorELNS0_4arch9wavefront6targetE0EEEvT1_, .Lfunc_end695-_ZN7rocprim17ROCPRIM_400000_NS6detail17trampoline_kernelINS0_14default_configENS1_25partition_config_selectorILNS1_17partition_subalgoE8ElNS0_10empty_typeEbEEZZNS1_14partition_implILS5_8ELb0ES3_jPlPS6_PKS6_NS0_5tupleIJS9_S6_EEENSD_IJSA_SA_EEENS0_18inequality_wrapperIZN2at6native12_GLOBAL__N_124unique_dim_cuda_templateIsEESt5tupleIJNSH_6TensorESM_SM_EERKSM_lbbbEUlllE0_EEPmJS6_EEE10hipError_tPvRmT3_T4_T5_T6_T7_T9_mT8_P12ihipStream_tbDpT10_ENKUlT_T0_E_clISt17integral_constantIbLb1EES1C_EEDaS17_S18_EUlS17_E_NS1_11comp_targetILNS1_3genE4ELNS1_11target_archE910ELNS1_3gpuE8ELNS1_3repE0EEENS1_30default_config_static_selectorELNS0_4arch9wavefront6targetE0EEEvT1_
                                        ; -- End function
	.set _ZN7rocprim17ROCPRIM_400000_NS6detail17trampoline_kernelINS0_14default_configENS1_25partition_config_selectorILNS1_17partition_subalgoE8ElNS0_10empty_typeEbEEZZNS1_14partition_implILS5_8ELb0ES3_jPlPS6_PKS6_NS0_5tupleIJS9_S6_EEENSD_IJSA_SA_EEENS0_18inequality_wrapperIZN2at6native12_GLOBAL__N_124unique_dim_cuda_templateIsEESt5tupleIJNSH_6TensorESM_SM_EERKSM_lbbbEUlllE0_EEPmJS6_EEE10hipError_tPvRmT3_T4_T5_T6_T7_T9_mT8_P12ihipStream_tbDpT10_ENKUlT_T0_E_clISt17integral_constantIbLb1EES1C_EEDaS17_S18_EUlS17_E_NS1_11comp_targetILNS1_3genE4ELNS1_11target_archE910ELNS1_3gpuE8ELNS1_3repE0EEENS1_30default_config_static_selectorELNS0_4arch9wavefront6targetE0EEEvT1_.num_vgpr, 0
	.set _ZN7rocprim17ROCPRIM_400000_NS6detail17trampoline_kernelINS0_14default_configENS1_25partition_config_selectorILNS1_17partition_subalgoE8ElNS0_10empty_typeEbEEZZNS1_14partition_implILS5_8ELb0ES3_jPlPS6_PKS6_NS0_5tupleIJS9_S6_EEENSD_IJSA_SA_EEENS0_18inequality_wrapperIZN2at6native12_GLOBAL__N_124unique_dim_cuda_templateIsEESt5tupleIJNSH_6TensorESM_SM_EERKSM_lbbbEUlllE0_EEPmJS6_EEE10hipError_tPvRmT3_T4_T5_T6_T7_T9_mT8_P12ihipStream_tbDpT10_ENKUlT_T0_E_clISt17integral_constantIbLb1EES1C_EEDaS17_S18_EUlS17_E_NS1_11comp_targetILNS1_3genE4ELNS1_11target_archE910ELNS1_3gpuE8ELNS1_3repE0EEENS1_30default_config_static_selectorELNS0_4arch9wavefront6targetE0EEEvT1_.num_agpr, 0
	.set _ZN7rocprim17ROCPRIM_400000_NS6detail17trampoline_kernelINS0_14default_configENS1_25partition_config_selectorILNS1_17partition_subalgoE8ElNS0_10empty_typeEbEEZZNS1_14partition_implILS5_8ELb0ES3_jPlPS6_PKS6_NS0_5tupleIJS9_S6_EEENSD_IJSA_SA_EEENS0_18inequality_wrapperIZN2at6native12_GLOBAL__N_124unique_dim_cuda_templateIsEESt5tupleIJNSH_6TensorESM_SM_EERKSM_lbbbEUlllE0_EEPmJS6_EEE10hipError_tPvRmT3_T4_T5_T6_T7_T9_mT8_P12ihipStream_tbDpT10_ENKUlT_T0_E_clISt17integral_constantIbLb1EES1C_EEDaS17_S18_EUlS17_E_NS1_11comp_targetILNS1_3genE4ELNS1_11target_archE910ELNS1_3gpuE8ELNS1_3repE0EEENS1_30default_config_static_selectorELNS0_4arch9wavefront6targetE0EEEvT1_.numbered_sgpr, 0
	.set _ZN7rocprim17ROCPRIM_400000_NS6detail17trampoline_kernelINS0_14default_configENS1_25partition_config_selectorILNS1_17partition_subalgoE8ElNS0_10empty_typeEbEEZZNS1_14partition_implILS5_8ELb0ES3_jPlPS6_PKS6_NS0_5tupleIJS9_S6_EEENSD_IJSA_SA_EEENS0_18inequality_wrapperIZN2at6native12_GLOBAL__N_124unique_dim_cuda_templateIsEESt5tupleIJNSH_6TensorESM_SM_EERKSM_lbbbEUlllE0_EEPmJS6_EEE10hipError_tPvRmT3_T4_T5_T6_T7_T9_mT8_P12ihipStream_tbDpT10_ENKUlT_T0_E_clISt17integral_constantIbLb1EES1C_EEDaS17_S18_EUlS17_E_NS1_11comp_targetILNS1_3genE4ELNS1_11target_archE910ELNS1_3gpuE8ELNS1_3repE0EEENS1_30default_config_static_selectorELNS0_4arch9wavefront6targetE0EEEvT1_.num_named_barrier, 0
	.set _ZN7rocprim17ROCPRIM_400000_NS6detail17trampoline_kernelINS0_14default_configENS1_25partition_config_selectorILNS1_17partition_subalgoE8ElNS0_10empty_typeEbEEZZNS1_14partition_implILS5_8ELb0ES3_jPlPS6_PKS6_NS0_5tupleIJS9_S6_EEENSD_IJSA_SA_EEENS0_18inequality_wrapperIZN2at6native12_GLOBAL__N_124unique_dim_cuda_templateIsEESt5tupleIJNSH_6TensorESM_SM_EERKSM_lbbbEUlllE0_EEPmJS6_EEE10hipError_tPvRmT3_T4_T5_T6_T7_T9_mT8_P12ihipStream_tbDpT10_ENKUlT_T0_E_clISt17integral_constantIbLb1EES1C_EEDaS17_S18_EUlS17_E_NS1_11comp_targetILNS1_3genE4ELNS1_11target_archE910ELNS1_3gpuE8ELNS1_3repE0EEENS1_30default_config_static_selectorELNS0_4arch9wavefront6targetE0EEEvT1_.private_seg_size, 0
	.set _ZN7rocprim17ROCPRIM_400000_NS6detail17trampoline_kernelINS0_14default_configENS1_25partition_config_selectorILNS1_17partition_subalgoE8ElNS0_10empty_typeEbEEZZNS1_14partition_implILS5_8ELb0ES3_jPlPS6_PKS6_NS0_5tupleIJS9_S6_EEENSD_IJSA_SA_EEENS0_18inequality_wrapperIZN2at6native12_GLOBAL__N_124unique_dim_cuda_templateIsEESt5tupleIJNSH_6TensorESM_SM_EERKSM_lbbbEUlllE0_EEPmJS6_EEE10hipError_tPvRmT3_T4_T5_T6_T7_T9_mT8_P12ihipStream_tbDpT10_ENKUlT_T0_E_clISt17integral_constantIbLb1EES1C_EEDaS17_S18_EUlS17_E_NS1_11comp_targetILNS1_3genE4ELNS1_11target_archE910ELNS1_3gpuE8ELNS1_3repE0EEENS1_30default_config_static_selectorELNS0_4arch9wavefront6targetE0EEEvT1_.uses_vcc, 0
	.set _ZN7rocprim17ROCPRIM_400000_NS6detail17trampoline_kernelINS0_14default_configENS1_25partition_config_selectorILNS1_17partition_subalgoE8ElNS0_10empty_typeEbEEZZNS1_14partition_implILS5_8ELb0ES3_jPlPS6_PKS6_NS0_5tupleIJS9_S6_EEENSD_IJSA_SA_EEENS0_18inequality_wrapperIZN2at6native12_GLOBAL__N_124unique_dim_cuda_templateIsEESt5tupleIJNSH_6TensorESM_SM_EERKSM_lbbbEUlllE0_EEPmJS6_EEE10hipError_tPvRmT3_T4_T5_T6_T7_T9_mT8_P12ihipStream_tbDpT10_ENKUlT_T0_E_clISt17integral_constantIbLb1EES1C_EEDaS17_S18_EUlS17_E_NS1_11comp_targetILNS1_3genE4ELNS1_11target_archE910ELNS1_3gpuE8ELNS1_3repE0EEENS1_30default_config_static_selectorELNS0_4arch9wavefront6targetE0EEEvT1_.uses_flat_scratch, 0
	.set _ZN7rocprim17ROCPRIM_400000_NS6detail17trampoline_kernelINS0_14default_configENS1_25partition_config_selectorILNS1_17partition_subalgoE8ElNS0_10empty_typeEbEEZZNS1_14partition_implILS5_8ELb0ES3_jPlPS6_PKS6_NS0_5tupleIJS9_S6_EEENSD_IJSA_SA_EEENS0_18inequality_wrapperIZN2at6native12_GLOBAL__N_124unique_dim_cuda_templateIsEESt5tupleIJNSH_6TensorESM_SM_EERKSM_lbbbEUlllE0_EEPmJS6_EEE10hipError_tPvRmT3_T4_T5_T6_T7_T9_mT8_P12ihipStream_tbDpT10_ENKUlT_T0_E_clISt17integral_constantIbLb1EES1C_EEDaS17_S18_EUlS17_E_NS1_11comp_targetILNS1_3genE4ELNS1_11target_archE910ELNS1_3gpuE8ELNS1_3repE0EEENS1_30default_config_static_selectorELNS0_4arch9wavefront6targetE0EEEvT1_.has_dyn_sized_stack, 0
	.set _ZN7rocprim17ROCPRIM_400000_NS6detail17trampoline_kernelINS0_14default_configENS1_25partition_config_selectorILNS1_17partition_subalgoE8ElNS0_10empty_typeEbEEZZNS1_14partition_implILS5_8ELb0ES3_jPlPS6_PKS6_NS0_5tupleIJS9_S6_EEENSD_IJSA_SA_EEENS0_18inequality_wrapperIZN2at6native12_GLOBAL__N_124unique_dim_cuda_templateIsEESt5tupleIJNSH_6TensorESM_SM_EERKSM_lbbbEUlllE0_EEPmJS6_EEE10hipError_tPvRmT3_T4_T5_T6_T7_T9_mT8_P12ihipStream_tbDpT10_ENKUlT_T0_E_clISt17integral_constantIbLb1EES1C_EEDaS17_S18_EUlS17_E_NS1_11comp_targetILNS1_3genE4ELNS1_11target_archE910ELNS1_3gpuE8ELNS1_3repE0EEENS1_30default_config_static_selectorELNS0_4arch9wavefront6targetE0EEEvT1_.has_recursion, 0
	.set _ZN7rocprim17ROCPRIM_400000_NS6detail17trampoline_kernelINS0_14default_configENS1_25partition_config_selectorILNS1_17partition_subalgoE8ElNS0_10empty_typeEbEEZZNS1_14partition_implILS5_8ELb0ES3_jPlPS6_PKS6_NS0_5tupleIJS9_S6_EEENSD_IJSA_SA_EEENS0_18inequality_wrapperIZN2at6native12_GLOBAL__N_124unique_dim_cuda_templateIsEESt5tupleIJNSH_6TensorESM_SM_EERKSM_lbbbEUlllE0_EEPmJS6_EEE10hipError_tPvRmT3_T4_T5_T6_T7_T9_mT8_P12ihipStream_tbDpT10_ENKUlT_T0_E_clISt17integral_constantIbLb1EES1C_EEDaS17_S18_EUlS17_E_NS1_11comp_targetILNS1_3genE4ELNS1_11target_archE910ELNS1_3gpuE8ELNS1_3repE0EEENS1_30default_config_static_selectorELNS0_4arch9wavefront6targetE0EEEvT1_.has_indirect_call, 0
	.section	.AMDGPU.csdata,"",@progbits
; Kernel info:
; codeLenInByte = 0
; TotalNumSgprs: 0
; NumVgprs: 0
; ScratchSize: 0
; MemoryBound: 0
; FloatMode: 240
; IeeeMode: 1
; LDSByteSize: 0 bytes/workgroup (compile time only)
; SGPRBlocks: 0
; VGPRBlocks: 0
; NumSGPRsForWavesPerEU: 1
; NumVGPRsForWavesPerEU: 1
; NamedBarCnt: 0
; Occupancy: 16
; WaveLimiterHint : 0
; COMPUTE_PGM_RSRC2:SCRATCH_EN: 0
; COMPUTE_PGM_RSRC2:USER_SGPR: 2
; COMPUTE_PGM_RSRC2:TRAP_HANDLER: 0
; COMPUTE_PGM_RSRC2:TGID_X_EN: 1
; COMPUTE_PGM_RSRC2:TGID_Y_EN: 0
; COMPUTE_PGM_RSRC2:TGID_Z_EN: 0
; COMPUTE_PGM_RSRC2:TIDIG_COMP_CNT: 0
	.section	.text._ZN7rocprim17ROCPRIM_400000_NS6detail17trampoline_kernelINS0_14default_configENS1_25partition_config_selectorILNS1_17partition_subalgoE8ElNS0_10empty_typeEbEEZZNS1_14partition_implILS5_8ELb0ES3_jPlPS6_PKS6_NS0_5tupleIJS9_S6_EEENSD_IJSA_SA_EEENS0_18inequality_wrapperIZN2at6native12_GLOBAL__N_124unique_dim_cuda_templateIsEESt5tupleIJNSH_6TensorESM_SM_EERKSM_lbbbEUlllE0_EEPmJS6_EEE10hipError_tPvRmT3_T4_T5_T6_T7_T9_mT8_P12ihipStream_tbDpT10_ENKUlT_T0_E_clISt17integral_constantIbLb1EES1C_EEDaS17_S18_EUlS17_E_NS1_11comp_targetILNS1_3genE3ELNS1_11target_archE908ELNS1_3gpuE7ELNS1_3repE0EEENS1_30default_config_static_selectorELNS0_4arch9wavefront6targetE0EEEvT1_,"axG",@progbits,_ZN7rocprim17ROCPRIM_400000_NS6detail17trampoline_kernelINS0_14default_configENS1_25partition_config_selectorILNS1_17partition_subalgoE8ElNS0_10empty_typeEbEEZZNS1_14partition_implILS5_8ELb0ES3_jPlPS6_PKS6_NS0_5tupleIJS9_S6_EEENSD_IJSA_SA_EEENS0_18inequality_wrapperIZN2at6native12_GLOBAL__N_124unique_dim_cuda_templateIsEESt5tupleIJNSH_6TensorESM_SM_EERKSM_lbbbEUlllE0_EEPmJS6_EEE10hipError_tPvRmT3_T4_T5_T6_T7_T9_mT8_P12ihipStream_tbDpT10_ENKUlT_T0_E_clISt17integral_constantIbLb1EES1C_EEDaS17_S18_EUlS17_E_NS1_11comp_targetILNS1_3genE3ELNS1_11target_archE908ELNS1_3gpuE7ELNS1_3repE0EEENS1_30default_config_static_selectorELNS0_4arch9wavefront6targetE0EEEvT1_,comdat
	.globl	_ZN7rocprim17ROCPRIM_400000_NS6detail17trampoline_kernelINS0_14default_configENS1_25partition_config_selectorILNS1_17partition_subalgoE8ElNS0_10empty_typeEbEEZZNS1_14partition_implILS5_8ELb0ES3_jPlPS6_PKS6_NS0_5tupleIJS9_S6_EEENSD_IJSA_SA_EEENS0_18inequality_wrapperIZN2at6native12_GLOBAL__N_124unique_dim_cuda_templateIsEESt5tupleIJNSH_6TensorESM_SM_EERKSM_lbbbEUlllE0_EEPmJS6_EEE10hipError_tPvRmT3_T4_T5_T6_T7_T9_mT8_P12ihipStream_tbDpT10_ENKUlT_T0_E_clISt17integral_constantIbLb1EES1C_EEDaS17_S18_EUlS17_E_NS1_11comp_targetILNS1_3genE3ELNS1_11target_archE908ELNS1_3gpuE7ELNS1_3repE0EEENS1_30default_config_static_selectorELNS0_4arch9wavefront6targetE0EEEvT1_ ; -- Begin function _ZN7rocprim17ROCPRIM_400000_NS6detail17trampoline_kernelINS0_14default_configENS1_25partition_config_selectorILNS1_17partition_subalgoE8ElNS0_10empty_typeEbEEZZNS1_14partition_implILS5_8ELb0ES3_jPlPS6_PKS6_NS0_5tupleIJS9_S6_EEENSD_IJSA_SA_EEENS0_18inequality_wrapperIZN2at6native12_GLOBAL__N_124unique_dim_cuda_templateIsEESt5tupleIJNSH_6TensorESM_SM_EERKSM_lbbbEUlllE0_EEPmJS6_EEE10hipError_tPvRmT3_T4_T5_T6_T7_T9_mT8_P12ihipStream_tbDpT10_ENKUlT_T0_E_clISt17integral_constantIbLb1EES1C_EEDaS17_S18_EUlS17_E_NS1_11comp_targetILNS1_3genE3ELNS1_11target_archE908ELNS1_3gpuE7ELNS1_3repE0EEENS1_30default_config_static_selectorELNS0_4arch9wavefront6targetE0EEEvT1_
	.p2align	8
	.type	_ZN7rocprim17ROCPRIM_400000_NS6detail17trampoline_kernelINS0_14default_configENS1_25partition_config_selectorILNS1_17partition_subalgoE8ElNS0_10empty_typeEbEEZZNS1_14partition_implILS5_8ELb0ES3_jPlPS6_PKS6_NS0_5tupleIJS9_S6_EEENSD_IJSA_SA_EEENS0_18inequality_wrapperIZN2at6native12_GLOBAL__N_124unique_dim_cuda_templateIsEESt5tupleIJNSH_6TensorESM_SM_EERKSM_lbbbEUlllE0_EEPmJS6_EEE10hipError_tPvRmT3_T4_T5_T6_T7_T9_mT8_P12ihipStream_tbDpT10_ENKUlT_T0_E_clISt17integral_constantIbLb1EES1C_EEDaS17_S18_EUlS17_E_NS1_11comp_targetILNS1_3genE3ELNS1_11target_archE908ELNS1_3gpuE7ELNS1_3repE0EEENS1_30default_config_static_selectorELNS0_4arch9wavefront6targetE0EEEvT1_,@function
_ZN7rocprim17ROCPRIM_400000_NS6detail17trampoline_kernelINS0_14default_configENS1_25partition_config_selectorILNS1_17partition_subalgoE8ElNS0_10empty_typeEbEEZZNS1_14partition_implILS5_8ELb0ES3_jPlPS6_PKS6_NS0_5tupleIJS9_S6_EEENSD_IJSA_SA_EEENS0_18inequality_wrapperIZN2at6native12_GLOBAL__N_124unique_dim_cuda_templateIsEESt5tupleIJNSH_6TensorESM_SM_EERKSM_lbbbEUlllE0_EEPmJS6_EEE10hipError_tPvRmT3_T4_T5_T6_T7_T9_mT8_P12ihipStream_tbDpT10_ENKUlT_T0_E_clISt17integral_constantIbLb1EES1C_EEDaS17_S18_EUlS17_E_NS1_11comp_targetILNS1_3genE3ELNS1_11target_archE908ELNS1_3gpuE7ELNS1_3repE0EEENS1_30default_config_static_selectorELNS0_4arch9wavefront6targetE0EEEvT1_: ; @_ZN7rocprim17ROCPRIM_400000_NS6detail17trampoline_kernelINS0_14default_configENS1_25partition_config_selectorILNS1_17partition_subalgoE8ElNS0_10empty_typeEbEEZZNS1_14partition_implILS5_8ELb0ES3_jPlPS6_PKS6_NS0_5tupleIJS9_S6_EEENSD_IJSA_SA_EEENS0_18inequality_wrapperIZN2at6native12_GLOBAL__N_124unique_dim_cuda_templateIsEESt5tupleIJNSH_6TensorESM_SM_EERKSM_lbbbEUlllE0_EEPmJS6_EEE10hipError_tPvRmT3_T4_T5_T6_T7_T9_mT8_P12ihipStream_tbDpT10_ENKUlT_T0_E_clISt17integral_constantIbLb1EES1C_EEDaS17_S18_EUlS17_E_NS1_11comp_targetILNS1_3genE3ELNS1_11target_archE908ELNS1_3gpuE7ELNS1_3repE0EEENS1_30default_config_static_selectorELNS0_4arch9wavefront6targetE0EEEvT1_
; %bb.0:
	.section	.rodata,"a",@progbits
	.p2align	6, 0x0
	.amdhsa_kernel _ZN7rocprim17ROCPRIM_400000_NS6detail17trampoline_kernelINS0_14default_configENS1_25partition_config_selectorILNS1_17partition_subalgoE8ElNS0_10empty_typeEbEEZZNS1_14partition_implILS5_8ELb0ES3_jPlPS6_PKS6_NS0_5tupleIJS9_S6_EEENSD_IJSA_SA_EEENS0_18inequality_wrapperIZN2at6native12_GLOBAL__N_124unique_dim_cuda_templateIsEESt5tupleIJNSH_6TensorESM_SM_EERKSM_lbbbEUlllE0_EEPmJS6_EEE10hipError_tPvRmT3_T4_T5_T6_T7_T9_mT8_P12ihipStream_tbDpT10_ENKUlT_T0_E_clISt17integral_constantIbLb1EES1C_EEDaS17_S18_EUlS17_E_NS1_11comp_targetILNS1_3genE3ELNS1_11target_archE908ELNS1_3gpuE7ELNS1_3repE0EEENS1_30default_config_static_selectorELNS0_4arch9wavefront6targetE0EEEvT1_
		.amdhsa_group_segment_fixed_size 0
		.amdhsa_private_segment_fixed_size 0
		.amdhsa_kernarg_size 136
		.amdhsa_user_sgpr_count 2
		.amdhsa_user_sgpr_dispatch_ptr 0
		.amdhsa_user_sgpr_queue_ptr 0
		.amdhsa_user_sgpr_kernarg_segment_ptr 1
		.amdhsa_user_sgpr_dispatch_id 0
		.amdhsa_user_sgpr_kernarg_preload_length 0
		.amdhsa_user_sgpr_kernarg_preload_offset 0
		.amdhsa_user_sgpr_private_segment_size 0
		.amdhsa_wavefront_size32 1
		.amdhsa_uses_dynamic_stack 0
		.amdhsa_enable_private_segment 0
		.amdhsa_system_sgpr_workgroup_id_x 1
		.amdhsa_system_sgpr_workgroup_id_y 0
		.amdhsa_system_sgpr_workgroup_id_z 0
		.amdhsa_system_sgpr_workgroup_info 0
		.amdhsa_system_vgpr_workitem_id 0
		.amdhsa_next_free_vgpr 1
		.amdhsa_next_free_sgpr 1
		.amdhsa_named_barrier_count 0
		.amdhsa_reserve_vcc 0
		.amdhsa_float_round_mode_32 0
		.amdhsa_float_round_mode_16_64 0
		.amdhsa_float_denorm_mode_32 3
		.amdhsa_float_denorm_mode_16_64 3
		.amdhsa_fp16_overflow 0
		.amdhsa_memory_ordered 1
		.amdhsa_forward_progress 1
		.amdhsa_inst_pref_size 0
		.amdhsa_round_robin_scheduling 0
		.amdhsa_exception_fp_ieee_invalid_op 0
		.amdhsa_exception_fp_denorm_src 0
		.amdhsa_exception_fp_ieee_div_zero 0
		.amdhsa_exception_fp_ieee_overflow 0
		.amdhsa_exception_fp_ieee_underflow 0
		.amdhsa_exception_fp_ieee_inexact 0
		.amdhsa_exception_int_div_zero 0
	.end_amdhsa_kernel
	.section	.text._ZN7rocprim17ROCPRIM_400000_NS6detail17trampoline_kernelINS0_14default_configENS1_25partition_config_selectorILNS1_17partition_subalgoE8ElNS0_10empty_typeEbEEZZNS1_14partition_implILS5_8ELb0ES3_jPlPS6_PKS6_NS0_5tupleIJS9_S6_EEENSD_IJSA_SA_EEENS0_18inequality_wrapperIZN2at6native12_GLOBAL__N_124unique_dim_cuda_templateIsEESt5tupleIJNSH_6TensorESM_SM_EERKSM_lbbbEUlllE0_EEPmJS6_EEE10hipError_tPvRmT3_T4_T5_T6_T7_T9_mT8_P12ihipStream_tbDpT10_ENKUlT_T0_E_clISt17integral_constantIbLb1EES1C_EEDaS17_S18_EUlS17_E_NS1_11comp_targetILNS1_3genE3ELNS1_11target_archE908ELNS1_3gpuE7ELNS1_3repE0EEENS1_30default_config_static_selectorELNS0_4arch9wavefront6targetE0EEEvT1_,"axG",@progbits,_ZN7rocprim17ROCPRIM_400000_NS6detail17trampoline_kernelINS0_14default_configENS1_25partition_config_selectorILNS1_17partition_subalgoE8ElNS0_10empty_typeEbEEZZNS1_14partition_implILS5_8ELb0ES3_jPlPS6_PKS6_NS0_5tupleIJS9_S6_EEENSD_IJSA_SA_EEENS0_18inequality_wrapperIZN2at6native12_GLOBAL__N_124unique_dim_cuda_templateIsEESt5tupleIJNSH_6TensorESM_SM_EERKSM_lbbbEUlllE0_EEPmJS6_EEE10hipError_tPvRmT3_T4_T5_T6_T7_T9_mT8_P12ihipStream_tbDpT10_ENKUlT_T0_E_clISt17integral_constantIbLb1EES1C_EEDaS17_S18_EUlS17_E_NS1_11comp_targetILNS1_3genE3ELNS1_11target_archE908ELNS1_3gpuE7ELNS1_3repE0EEENS1_30default_config_static_selectorELNS0_4arch9wavefront6targetE0EEEvT1_,comdat
.Lfunc_end696:
	.size	_ZN7rocprim17ROCPRIM_400000_NS6detail17trampoline_kernelINS0_14default_configENS1_25partition_config_selectorILNS1_17partition_subalgoE8ElNS0_10empty_typeEbEEZZNS1_14partition_implILS5_8ELb0ES3_jPlPS6_PKS6_NS0_5tupleIJS9_S6_EEENSD_IJSA_SA_EEENS0_18inequality_wrapperIZN2at6native12_GLOBAL__N_124unique_dim_cuda_templateIsEESt5tupleIJNSH_6TensorESM_SM_EERKSM_lbbbEUlllE0_EEPmJS6_EEE10hipError_tPvRmT3_T4_T5_T6_T7_T9_mT8_P12ihipStream_tbDpT10_ENKUlT_T0_E_clISt17integral_constantIbLb1EES1C_EEDaS17_S18_EUlS17_E_NS1_11comp_targetILNS1_3genE3ELNS1_11target_archE908ELNS1_3gpuE7ELNS1_3repE0EEENS1_30default_config_static_selectorELNS0_4arch9wavefront6targetE0EEEvT1_, .Lfunc_end696-_ZN7rocprim17ROCPRIM_400000_NS6detail17trampoline_kernelINS0_14default_configENS1_25partition_config_selectorILNS1_17partition_subalgoE8ElNS0_10empty_typeEbEEZZNS1_14partition_implILS5_8ELb0ES3_jPlPS6_PKS6_NS0_5tupleIJS9_S6_EEENSD_IJSA_SA_EEENS0_18inequality_wrapperIZN2at6native12_GLOBAL__N_124unique_dim_cuda_templateIsEESt5tupleIJNSH_6TensorESM_SM_EERKSM_lbbbEUlllE0_EEPmJS6_EEE10hipError_tPvRmT3_T4_T5_T6_T7_T9_mT8_P12ihipStream_tbDpT10_ENKUlT_T0_E_clISt17integral_constantIbLb1EES1C_EEDaS17_S18_EUlS17_E_NS1_11comp_targetILNS1_3genE3ELNS1_11target_archE908ELNS1_3gpuE7ELNS1_3repE0EEENS1_30default_config_static_selectorELNS0_4arch9wavefront6targetE0EEEvT1_
                                        ; -- End function
	.set _ZN7rocprim17ROCPRIM_400000_NS6detail17trampoline_kernelINS0_14default_configENS1_25partition_config_selectorILNS1_17partition_subalgoE8ElNS0_10empty_typeEbEEZZNS1_14partition_implILS5_8ELb0ES3_jPlPS6_PKS6_NS0_5tupleIJS9_S6_EEENSD_IJSA_SA_EEENS0_18inequality_wrapperIZN2at6native12_GLOBAL__N_124unique_dim_cuda_templateIsEESt5tupleIJNSH_6TensorESM_SM_EERKSM_lbbbEUlllE0_EEPmJS6_EEE10hipError_tPvRmT3_T4_T5_T6_T7_T9_mT8_P12ihipStream_tbDpT10_ENKUlT_T0_E_clISt17integral_constantIbLb1EES1C_EEDaS17_S18_EUlS17_E_NS1_11comp_targetILNS1_3genE3ELNS1_11target_archE908ELNS1_3gpuE7ELNS1_3repE0EEENS1_30default_config_static_selectorELNS0_4arch9wavefront6targetE0EEEvT1_.num_vgpr, 0
	.set _ZN7rocprim17ROCPRIM_400000_NS6detail17trampoline_kernelINS0_14default_configENS1_25partition_config_selectorILNS1_17partition_subalgoE8ElNS0_10empty_typeEbEEZZNS1_14partition_implILS5_8ELb0ES3_jPlPS6_PKS6_NS0_5tupleIJS9_S6_EEENSD_IJSA_SA_EEENS0_18inequality_wrapperIZN2at6native12_GLOBAL__N_124unique_dim_cuda_templateIsEESt5tupleIJNSH_6TensorESM_SM_EERKSM_lbbbEUlllE0_EEPmJS6_EEE10hipError_tPvRmT3_T4_T5_T6_T7_T9_mT8_P12ihipStream_tbDpT10_ENKUlT_T0_E_clISt17integral_constantIbLb1EES1C_EEDaS17_S18_EUlS17_E_NS1_11comp_targetILNS1_3genE3ELNS1_11target_archE908ELNS1_3gpuE7ELNS1_3repE0EEENS1_30default_config_static_selectorELNS0_4arch9wavefront6targetE0EEEvT1_.num_agpr, 0
	.set _ZN7rocprim17ROCPRIM_400000_NS6detail17trampoline_kernelINS0_14default_configENS1_25partition_config_selectorILNS1_17partition_subalgoE8ElNS0_10empty_typeEbEEZZNS1_14partition_implILS5_8ELb0ES3_jPlPS6_PKS6_NS0_5tupleIJS9_S6_EEENSD_IJSA_SA_EEENS0_18inequality_wrapperIZN2at6native12_GLOBAL__N_124unique_dim_cuda_templateIsEESt5tupleIJNSH_6TensorESM_SM_EERKSM_lbbbEUlllE0_EEPmJS6_EEE10hipError_tPvRmT3_T4_T5_T6_T7_T9_mT8_P12ihipStream_tbDpT10_ENKUlT_T0_E_clISt17integral_constantIbLb1EES1C_EEDaS17_S18_EUlS17_E_NS1_11comp_targetILNS1_3genE3ELNS1_11target_archE908ELNS1_3gpuE7ELNS1_3repE0EEENS1_30default_config_static_selectorELNS0_4arch9wavefront6targetE0EEEvT1_.numbered_sgpr, 0
	.set _ZN7rocprim17ROCPRIM_400000_NS6detail17trampoline_kernelINS0_14default_configENS1_25partition_config_selectorILNS1_17partition_subalgoE8ElNS0_10empty_typeEbEEZZNS1_14partition_implILS5_8ELb0ES3_jPlPS6_PKS6_NS0_5tupleIJS9_S6_EEENSD_IJSA_SA_EEENS0_18inequality_wrapperIZN2at6native12_GLOBAL__N_124unique_dim_cuda_templateIsEESt5tupleIJNSH_6TensorESM_SM_EERKSM_lbbbEUlllE0_EEPmJS6_EEE10hipError_tPvRmT3_T4_T5_T6_T7_T9_mT8_P12ihipStream_tbDpT10_ENKUlT_T0_E_clISt17integral_constantIbLb1EES1C_EEDaS17_S18_EUlS17_E_NS1_11comp_targetILNS1_3genE3ELNS1_11target_archE908ELNS1_3gpuE7ELNS1_3repE0EEENS1_30default_config_static_selectorELNS0_4arch9wavefront6targetE0EEEvT1_.num_named_barrier, 0
	.set _ZN7rocprim17ROCPRIM_400000_NS6detail17trampoline_kernelINS0_14default_configENS1_25partition_config_selectorILNS1_17partition_subalgoE8ElNS0_10empty_typeEbEEZZNS1_14partition_implILS5_8ELb0ES3_jPlPS6_PKS6_NS0_5tupleIJS9_S6_EEENSD_IJSA_SA_EEENS0_18inequality_wrapperIZN2at6native12_GLOBAL__N_124unique_dim_cuda_templateIsEESt5tupleIJNSH_6TensorESM_SM_EERKSM_lbbbEUlllE0_EEPmJS6_EEE10hipError_tPvRmT3_T4_T5_T6_T7_T9_mT8_P12ihipStream_tbDpT10_ENKUlT_T0_E_clISt17integral_constantIbLb1EES1C_EEDaS17_S18_EUlS17_E_NS1_11comp_targetILNS1_3genE3ELNS1_11target_archE908ELNS1_3gpuE7ELNS1_3repE0EEENS1_30default_config_static_selectorELNS0_4arch9wavefront6targetE0EEEvT1_.private_seg_size, 0
	.set _ZN7rocprim17ROCPRIM_400000_NS6detail17trampoline_kernelINS0_14default_configENS1_25partition_config_selectorILNS1_17partition_subalgoE8ElNS0_10empty_typeEbEEZZNS1_14partition_implILS5_8ELb0ES3_jPlPS6_PKS6_NS0_5tupleIJS9_S6_EEENSD_IJSA_SA_EEENS0_18inequality_wrapperIZN2at6native12_GLOBAL__N_124unique_dim_cuda_templateIsEESt5tupleIJNSH_6TensorESM_SM_EERKSM_lbbbEUlllE0_EEPmJS6_EEE10hipError_tPvRmT3_T4_T5_T6_T7_T9_mT8_P12ihipStream_tbDpT10_ENKUlT_T0_E_clISt17integral_constantIbLb1EES1C_EEDaS17_S18_EUlS17_E_NS1_11comp_targetILNS1_3genE3ELNS1_11target_archE908ELNS1_3gpuE7ELNS1_3repE0EEENS1_30default_config_static_selectorELNS0_4arch9wavefront6targetE0EEEvT1_.uses_vcc, 0
	.set _ZN7rocprim17ROCPRIM_400000_NS6detail17trampoline_kernelINS0_14default_configENS1_25partition_config_selectorILNS1_17partition_subalgoE8ElNS0_10empty_typeEbEEZZNS1_14partition_implILS5_8ELb0ES3_jPlPS6_PKS6_NS0_5tupleIJS9_S6_EEENSD_IJSA_SA_EEENS0_18inequality_wrapperIZN2at6native12_GLOBAL__N_124unique_dim_cuda_templateIsEESt5tupleIJNSH_6TensorESM_SM_EERKSM_lbbbEUlllE0_EEPmJS6_EEE10hipError_tPvRmT3_T4_T5_T6_T7_T9_mT8_P12ihipStream_tbDpT10_ENKUlT_T0_E_clISt17integral_constantIbLb1EES1C_EEDaS17_S18_EUlS17_E_NS1_11comp_targetILNS1_3genE3ELNS1_11target_archE908ELNS1_3gpuE7ELNS1_3repE0EEENS1_30default_config_static_selectorELNS0_4arch9wavefront6targetE0EEEvT1_.uses_flat_scratch, 0
	.set _ZN7rocprim17ROCPRIM_400000_NS6detail17trampoline_kernelINS0_14default_configENS1_25partition_config_selectorILNS1_17partition_subalgoE8ElNS0_10empty_typeEbEEZZNS1_14partition_implILS5_8ELb0ES3_jPlPS6_PKS6_NS0_5tupleIJS9_S6_EEENSD_IJSA_SA_EEENS0_18inequality_wrapperIZN2at6native12_GLOBAL__N_124unique_dim_cuda_templateIsEESt5tupleIJNSH_6TensorESM_SM_EERKSM_lbbbEUlllE0_EEPmJS6_EEE10hipError_tPvRmT3_T4_T5_T6_T7_T9_mT8_P12ihipStream_tbDpT10_ENKUlT_T0_E_clISt17integral_constantIbLb1EES1C_EEDaS17_S18_EUlS17_E_NS1_11comp_targetILNS1_3genE3ELNS1_11target_archE908ELNS1_3gpuE7ELNS1_3repE0EEENS1_30default_config_static_selectorELNS0_4arch9wavefront6targetE0EEEvT1_.has_dyn_sized_stack, 0
	.set _ZN7rocprim17ROCPRIM_400000_NS6detail17trampoline_kernelINS0_14default_configENS1_25partition_config_selectorILNS1_17partition_subalgoE8ElNS0_10empty_typeEbEEZZNS1_14partition_implILS5_8ELb0ES3_jPlPS6_PKS6_NS0_5tupleIJS9_S6_EEENSD_IJSA_SA_EEENS0_18inequality_wrapperIZN2at6native12_GLOBAL__N_124unique_dim_cuda_templateIsEESt5tupleIJNSH_6TensorESM_SM_EERKSM_lbbbEUlllE0_EEPmJS6_EEE10hipError_tPvRmT3_T4_T5_T6_T7_T9_mT8_P12ihipStream_tbDpT10_ENKUlT_T0_E_clISt17integral_constantIbLb1EES1C_EEDaS17_S18_EUlS17_E_NS1_11comp_targetILNS1_3genE3ELNS1_11target_archE908ELNS1_3gpuE7ELNS1_3repE0EEENS1_30default_config_static_selectorELNS0_4arch9wavefront6targetE0EEEvT1_.has_recursion, 0
	.set _ZN7rocprim17ROCPRIM_400000_NS6detail17trampoline_kernelINS0_14default_configENS1_25partition_config_selectorILNS1_17partition_subalgoE8ElNS0_10empty_typeEbEEZZNS1_14partition_implILS5_8ELb0ES3_jPlPS6_PKS6_NS0_5tupleIJS9_S6_EEENSD_IJSA_SA_EEENS0_18inequality_wrapperIZN2at6native12_GLOBAL__N_124unique_dim_cuda_templateIsEESt5tupleIJNSH_6TensorESM_SM_EERKSM_lbbbEUlllE0_EEPmJS6_EEE10hipError_tPvRmT3_T4_T5_T6_T7_T9_mT8_P12ihipStream_tbDpT10_ENKUlT_T0_E_clISt17integral_constantIbLb1EES1C_EEDaS17_S18_EUlS17_E_NS1_11comp_targetILNS1_3genE3ELNS1_11target_archE908ELNS1_3gpuE7ELNS1_3repE0EEENS1_30default_config_static_selectorELNS0_4arch9wavefront6targetE0EEEvT1_.has_indirect_call, 0
	.section	.AMDGPU.csdata,"",@progbits
; Kernel info:
; codeLenInByte = 0
; TotalNumSgprs: 0
; NumVgprs: 0
; ScratchSize: 0
; MemoryBound: 0
; FloatMode: 240
; IeeeMode: 1
; LDSByteSize: 0 bytes/workgroup (compile time only)
; SGPRBlocks: 0
; VGPRBlocks: 0
; NumSGPRsForWavesPerEU: 1
; NumVGPRsForWavesPerEU: 1
; NamedBarCnt: 0
; Occupancy: 16
; WaveLimiterHint : 0
; COMPUTE_PGM_RSRC2:SCRATCH_EN: 0
; COMPUTE_PGM_RSRC2:USER_SGPR: 2
; COMPUTE_PGM_RSRC2:TRAP_HANDLER: 0
; COMPUTE_PGM_RSRC2:TGID_X_EN: 1
; COMPUTE_PGM_RSRC2:TGID_Y_EN: 0
; COMPUTE_PGM_RSRC2:TGID_Z_EN: 0
; COMPUTE_PGM_RSRC2:TIDIG_COMP_CNT: 0
	.section	.text._ZN7rocprim17ROCPRIM_400000_NS6detail17trampoline_kernelINS0_14default_configENS1_25partition_config_selectorILNS1_17partition_subalgoE8ElNS0_10empty_typeEbEEZZNS1_14partition_implILS5_8ELb0ES3_jPlPS6_PKS6_NS0_5tupleIJS9_S6_EEENSD_IJSA_SA_EEENS0_18inequality_wrapperIZN2at6native12_GLOBAL__N_124unique_dim_cuda_templateIsEESt5tupleIJNSH_6TensorESM_SM_EERKSM_lbbbEUlllE0_EEPmJS6_EEE10hipError_tPvRmT3_T4_T5_T6_T7_T9_mT8_P12ihipStream_tbDpT10_ENKUlT_T0_E_clISt17integral_constantIbLb1EES1C_EEDaS17_S18_EUlS17_E_NS1_11comp_targetILNS1_3genE2ELNS1_11target_archE906ELNS1_3gpuE6ELNS1_3repE0EEENS1_30default_config_static_selectorELNS0_4arch9wavefront6targetE0EEEvT1_,"axG",@progbits,_ZN7rocprim17ROCPRIM_400000_NS6detail17trampoline_kernelINS0_14default_configENS1_25partition_config_selectorILNS1_17partition_subalgoE8ElNS0_10empty_typeEbEEZZNS1_14partition_implILS5_8ELb0ES3_jPlPS6_PKS6_NS0_5tupleIJS9_S6_EEENSD_IJSA_SA_EEENS0_18inequality_wrapperIZN2at6native12_GLOBAL__N_124unique_dim_cuda_templateIsEESt5tupleIJNSH_6TensorESM_SM_EERKSM_lbbbEUlllE0_EEPmJS6_EEE10hipError_tPvRmT3_T4_T5_T6_T7_T9_mT8_P12ihipStream_tbDpT10_ENKUlT_T0_E_clISt17integral_constantIbLb1EES1C_EEDaS17_S18_EUlS17_E_NS1_11comp_targetILNS1_3genE2ELNS1_11target_archE906ELNS1_3gpuE6ELNS1_3repE0EEENS1_30default_config_static_selectorELNS0_4arch9wavefront6targetE0EEEvT1_,comdat
	.globl	_ZN7rocprim17ROCPRIM_400000_NS6detail17trampoline_kernelINS0_14default_configENS1_25partition_config_selectorILNS1_17partition_subalgoE8ElNS0_10empty_typeEbEEZZNS1_14partition_implILS5_8ELb0ES3_jPlPS6_PKS6_NS0_5tupleIJS9_S6_EEENSD_IJSA_SA_EEENS0_18inequality_wrapperIZN2at6native12_GLOBAL__N_124unique_dim_cuda_templateIsEESt5tupleIJNSH_6TensorESM_SM_EERKSM_lbbbEUlllE0_EEPmJS6_EEE10hipError_tPvRmT3_T4_T5_T6_T7_T9_mT8_P12ihipStream_tbDpT10_ENKUlT_T0_E_clISt17integral_constantIbLb1EES1C_EEDaS17_S18_EUlS17_E_NS1_11comp_targetILNS1_3genE2ELNS1_11target_archE906ELNS1_3gpuE6ELNS1_3repE0EEENS1_30default_config_static_selectorELNS0_4arch9wavefront6targetE0EEEvT1_ ; -- Begin function _ZN7rocprim17ROCPRIM_400000_NS6detail17trampoline_kernelINS0_14default_configENS1_25partition_config_selectorILNS1_17partition_subalgoE8ElNS0_10empty_typeEbEEZZNS1_14partition_implILS5_8ELb0ES3_jPlPS6_PKS6_NS0_5tupleIJS9_S6_EEENSD_IJSA_SA_EEENS0_18inequality_wrapperIZN2at6native12_GLOBAL__N_124unique_dim_cuda_templateIsEESt5tupleIJNSH_6TensorESM_SM_EERKSM_lbbbEUlllE0_EEPmJS6_EEE10hipError_tPvRmT3_T4_T5_T6_T7_T9_mT8_P12ihipStream_tbDpT10_ENKUlT_T0_E_clISt17integral_constantIbLb1EES1C_EEDaS17_S18_EUlS17_E_NS1_11comp_targetILNS1_3genE2ELNS1_11target_archE906ELNS1_3gpuE6ELNS1_3repE0EEENS1_30default_config_static_selectorELNS0_4arch9wavefront6targetE0EEEvT1_
	.p2align	8
	.type	_ZN7rocprim17ROCPRIM_400000_NS6detail17trampoline_kernelINS0_14default_configENS1_25partition_config_selectorILNS1_17partition_subalgoE8ElNS0_10empty_typeEbEEZZNS1_14partition_implILS5_8ELb0ES3_jPlPS6_PKS6_NS0_5tupleIJS9_S6_EEENSD_IJSA_SA_EEENS0_18inequality_wrapperIZN2at6native12_GLOBAL__N_124unique_dim_cuda_templateIsEESt5tupleIJNSH_6TensorESM_SM_EERKSM_lbbbEUlllE0_EEPmJS6_EEE10hipError_tPvRmT3_T4_T5_T6_T7_T9_mT8_P12ihipStream_tbDpT10_ENKUlT_T0_E_clISt17integral_constantIbLb1EES1C_EEDaS17_S18_EUlS17_E_NS1_11comp_targetILNS1_3genE2ELNS1_11target_archE906ELNS1_3gpuE6ELNS1_3repE0EEENS1_30default_config_static_selectorELNS0_4arch9wavefront6targetE0EEEvT1_,@function
_ZN7rocprim17ROCPRIM_400000_NS6detail17trampoline_kernelINS0_14default_configENS1_25partition_config_selectorILNS1_17partition_subalgoE8ElNS0_10empty_typeEbEEZZNS1_14partition_implILS5_8ELb0ES3_jPlPS6_PKS6_NS0_5tupleIJS9_S6_EEENSD_IJSA_SA_EEENS0_18inequality_wrapperIZN2at6native12_GLOBAL__N_124unique_dim_cuda_templateIsEESt5tupleIJNSH_6TensorESM_SM_EERKSM_lbbbEUlllE0_EEPmJS6_EEE10hipError_tPvRmT3_T4_T5_T6_T7_T9_mT8_P12ihipStream_tbDpT10_ENKUlT_T0_E_clISt17integral_constantIbLb1EES1C_EEDaS17_S18_EUlS17_E_NS1_11comp_targetILNS1_3genE2ELNS1_11target_archE906ELNS1_3gpuE6ELNS1_3repE0EEENS1_30default_config_static_selectorELNS0_4arch9wavefront6targetE0EEEvT1_: ; @_ZN7rocprim17ROCPRIM_400000_NS6detail17trampoline_kernelINS0_14default_configENS1_25partition_config_selectorILNS1_17partition_subalgoE8ElNS0_10empty_typeEbEEZZNS1_14partition_implILS5_8ELb0ES3_jPlPS6_PKS6_NS0_5tupleIJS9_S6_EEENSD_IJSA_SA_EEENS0_18inequality_wrapperIZN2at6native12_GLOBAL__N_124unique_dim_cuda_templateIsEESt5tupleIJNSH_6TensorESM_SM_EERKSM_lbbbEUlllE0_EEPmJS6_EEE10hipError_tPvRmT3_T4_T5_T6_T7_T9_mT8_P12ihipStream_tbDpT10_ENKUlT_T0_E_clISt17integral_constantIbLb1EES1C_EEDaS17_S18_EUlS17_E_NS1_11comp_targetILNS1_3genE2ELNS1_11target_archE906ELNS1_3gpuE6ELNS1_3repE0EEENS1_30default_config_static_selectorELNS0_4arch9wavefront6targetE0EEEvT1_
; %bb.0:
	.section	.rodata,"a",@progbits
	.p2align	6, 0x0
	.amdhsa_kernel _ZN7rocprim17ROCPRIM_400000_NS6detail17trampoline_kernelINS0_14default_configENS1_25partition_config_selectorILNS1_17partition_subalgoE8ElNS0_10empty_typeEbEEZZNS1_14partition_implILS5_8ELb0ES3_jPlPS6_PKS6_NS0_5tupleIJS9_S6_EEENSD_IJSA_SA_EEENS0_18inequality_wrapperIZN2at6native12_GLOBAL__N_124unique_dim_cuda_templateIsEESt5tupleIJNSH_6TensorESM_SM_EERKSM_lbbbEUlllE0_EEPmJS6_EEE10hipError_tPvRmT3_T4_T5_T6_T7_T9_mT8_P12ihipStream_tbDpT10_ENKUlT_T0_E_clISt17integral_constantIbLb1EES1C_EEDaS17_S18_EUlS17_E_NS1_11comp_targetILNS1_3genE2ELNS1_11target_archE906ELNS1_3gpuE6ELNS1_3repE0EEENS1_30default_config_static_selectorELNS0_4arch9wavefront6targetE0EEEvT1_
		.amdhsa_group_segment_fixed_size 0
		.amdhsa_private_segment_fixed_size 0
		.amdhsa_kernarg_size 136
		.amdhsa_user_sgpr_count 2
		.amdhsa_user_sgpr_dispatch_ptr 0
		.amdhsa_user_sgpr_queue_ptr 0
		.amdhsa_user_sgpr_kernarg_segment_ptr 1
		.amdhsa_user_sgpr_dispatch_id 0
		.amdhsa_user_sgpr_kernarg_preload_length 0
		.amdhsa_user_sgpr_kernarg_preload_offset 0
		.amdhsa_user_sgpr_private_segment_size 0
		.amdhsa_wavefront_size32 1
		.amdhsa_uses_dynamic_stack 0
		.amdhsa_enable_private_segment 0
		.amdhsa_system_sgpr_workgroup_id_x 1
		.amdhsa_system_sgpr_workgroup_id_y 0
		.amdhsa_system_sgpr_workgroup_id_z 0
		.amdhsa_system_sgpr_workgroup_info 0
		.amdhsa_system_vgpr_workitem_id 0
		.amdhsa_next_free_vgpr 1
		.amdhsa_next_free_sgpr 1
		.amdhsa_named_barrier_count 0
		.amdhsa_reserve_vcc 0
		.amdhsa_float_round_mode_32 0
		.amdhsa_float_round_mode_16_64 0
		.amdhsa_float_denorm_mode_32 3
		.amdhsa_float_denorm_mode_16_64 3
		.amdhsa_fp16_overflow 0
		.amdhsa_memory_ordered 1
		.amdhsa_forward_progress 1
		.amdhsa_inst_pref_size 0
		.amdhsa_round_robin_scheduling 0
		.amdhsa_exception_fp_ieee_invalid_op 0
		.amdhsa_exception_fp_denorm_src 0
		.amdhsa_exception_fp_ieee_div_zero 0
		.amdhsa_exception_fp_ieee_overflow 0
		.amdhsa_exception_fp_ieee_underflow 0
		.amdhsa_exception_fp_ieee_inexact 0
		.amdhsa_exception_int_div_zero 0
	.end_amdhsa_kernel
	.section	.text._ZN7rocprim17ROCPRIM_400000_NS6detail17trampoline_kernelINS0_14default_configENS1_25partition_config_selectorILNS1_17partition_subalgoE8ElNS0_10empty_typeEbEEZZNS1_14partition_implILS5_8ELb0ES3_jPlPS6_PKS6_NS0_5tupleIJS9_S6_EEENSD_IJSA_SA_EEENS0_18inequality_wrapperIZN2at6native12_GLOBAL__N_124unique_dim_cuda_templateIsEESt5tupleIJNSH_6TensorESM_SM_EERKSM_lbbbEUlllE0_EEPmJS6_EEE10hipError_tPvRmT3_T4_T5_T6_T7_T9_mT8_P12ihipStream_tbDpT10_ENKUlT_T0_E_clISt17integral_constantIbLb1EES1C_EEDaS17_S18_EUlS17_E_NS1_11comp_targetILNS1_3genE2ELNS1_11target_archE906ELNS1_3gpuE6ELNS1_3repE0EEENS1_30default_config_static_selectorELNS0_4arch9wavefront6targetE0EEEvT1_,"axG",@progbits,_ZN7rocprim17ROCPRIM_400000_NS6detail17trampoline_kernelINS0_14default_configENS1_25partition_config_selectorILNS1_17partition_subalgoE8ElNS0_10empty_typeEbEEZZNS1_14partition_implILS5_8ELb0ES3_jPlPS6_PKS6_NS0_5tupleIJS9_S6_EEENSD_IJSA_SA_EEENS0_18inequality_wrapperIZN2at6native12_GLOBAL__N_124unique_dim_cuda_templateIsEESt5tupleIJNSH_6TensorESM_SM_EERKSM_lbbbEUlllE0_EEPmJS6_EEE10hipError_tPvRmT3_T4_T5_T6_T7_T9_mT8_P12ihipStream_tbDpT10_ENKUlT_T0_E_clISt17integral_constantIbLb1EES1C_EEDaS17_S18_EUlS17_E_NS1_11comp_targetILNS1_3genE2ELNS1_11target_archE906ELNS1_3gpuE6ELNS1_3repE0EEENS1_30default_config_static_selectorELNS0_4arch9wavefront6targetE0EEEvT1_,comdat
.Lfunc_end697:
	.size	_ZN7rocprim17ROCPRIM_400000_NS6detail17trampoline_kernelINS0_14default_configENS1_25partition_config_selectorILNS1_17partition_subalgoE8ElNS0_10empty_typeEbEEZZNS1_14partition_implILS5_8ELb0ES3_jPlPS6_PKS6_NS0_5tupleIJS9_S6_EEENSD_IJSA_SA_EEENS0_18inequality_wrapperIZN2at6native12_GLOBAL__N_124unique_dim_cuda_templateIsEESt5tupleIJNSH_6TensorESM_SM_EERKSM_lbbbEUlllE0_EEPmJS6_EEE10hipError_tPvRmT3_T4_T5_T6_T7_T9_mT8_P12ihipStream_tbDpT10_ENKUlT_T0_E_clISt17integral_constantIbLb1EES1C_EEDaS17_S18_EUlS17_E_NS1_11comp_targetILNS1_3genE2ELNS1_11target_archE906ELNS1_3gpuE6ELNS1_3repE0EEENS1_30default_config_static_selectorELNS0_4arch9wavefront6targetE0EEEvT1_, .Lfunc_end697-_ZN7rocprim17ROCPRIM_400000_NS6detail17trampoline_kernelINS0_14default_configENS1_25partition_config_selectorILNS1_17partition_subalgoE8ElNS0_10empty_typeEbEEZZNS1_14partition_implILS5_8ELb0ES3_jPlPS6_PKS6_NS0_5tupleIJS9_S6_EEENSD_IJSA_SA_EEENS0_18inequality_wrapperIZN2at6native12_GLOBAL__N_124unique_dim_cuda_templateIsEESt5tupleIJNSH_6TensorESM_SM_EERKSM_lbbbEUlllE0_EEPmJS6_EEE10hipError_tPvRmT3_T4_T5_T6_T7_T9_mT8_P12ihipStream_tbDpT10_ENKUlT_T0_E_clISt17integral_constantIbLb1EES1C_EEDaS17_S18_EUlS17_E_NS1_11comp_targetILNS1_3genE2ELNS1_11target_archE906ELNS1_3gpuE6ELNS1_3repE0EEENS1_30default_config_static_selectorELNS0_4arch9wavefront6targetE0EEEvT1_
                                        ; -- End function
	.set _ZN7rocprim17ROCPRIM_400000_NS6detail17trampoline_kernelINS0_14default_configENS1_25partition_config_selectorILNS1_17partition_subalgoE8ElNS0_10empty_typeEbEEZZNS1_14partition_implILS5_8ELb0ES3_jPlPS6_PKS6_NS0_5tupleIJS9_S6_EEENSD_IJSA_SA_EEENS0_18inequality_wrapperIZN2at6native12_GLOBAL__N_124unique_dim_cuda_templateIsEESt5tupleIJNSH_6TensorESM_SM_EERKSM_lbbbEUlllE0_EEPmJS6_EEE10hipError_tPvRmT3_T4_T5_T6_T7_T9_mT8_P12ihipStream_tbDpT10_ENKUlT_T0_E_clISt17integral_constantIbLb1EES1C_EEDaS17_S18_EUlS17_E_NS1_11comp_targetILNS1_3genE2ELNS1_11target_archE906ELNS1_3gpuE6ELNS1_3repE0EEENS1_30default_config_static_selectorELNS0_4arch9wavefront6targetE0EEEvT1_.num_vgpr, 0
	.set _ZN7rocprim17ROCPRIM_400000_NS6detail17trampoline_kernelINS0_14default_configENS1_25partition_config_selectorILNS1_17partition_subalgoE8ElNS0_10empty_typeEbEEZZNS1_14partition_implILS5_8ELb0ES3_jPlPS6_PKS6_NS0_5tupleIJS9_S6_EEENSD_IJSA_SA_EEENS0_18inequality_wrapperIZN2at6native12_GLOBAL__N_124unique_dim_cuda_templateIsEESt5tupleIJNSH_6TensorESM_SM_EERKSM_lbbbEUlllE0_EEPmJS6_EEE10hipError_tPvRmT3_T4_T5_T6_T7_T9_mT8_P12ihipStream_tbDpT10_ENKUlT_T0_E_clISt17integral_constantIbLb1EES1C_EEDaS17_S18_EUlS17_E_NS1_11comp_targetILNS1_3genE2ELNS1_11target_archE906ELNS1_3gpuE6ELNS1_3repE0EEENS1_30default_config_static_selectorELNS0_4arch9wavefront6targetE0EEEvT1_.num_agpr, 0
	.set _ZN7rocprim17ROCPRIM_400000_NS6detail17trampoline_kernelINS0_14default_configENS1_25partition_config_selectorILNS1_17partition_subalgoE8ElNS0_10empty_typeEbEEZZNS1_14partition_implILS5_8ELb0ES3_jPlPS6_PKS6_NS0_5tupleIJS9_S6_EEENSD_IJSA_SA_EEENS0_18inequality_wrapperIZN2at6native12_GLOBAL__N_124unique_dim_cuda_templateIsEESt5tupleIJNSH_6TensorESM_SM_EERKSM_lbbbEUlllE0_EEPmJS6_EEE10hipError_tPvRmT3_T4_T5_T6_T7_T9_mT8_P12ihipStream_tbDpT10_ENKUlT_T0_E_clISt17integral_constantIbLb1EES1C_EEDaS17_S18_EUlS17_E_NS1_11comp_targetILNS1_3genE2ELNS1_11target_archE906ELNS1_3gpuE6ELNS1_3repE0EEENS1_30default_config_static_selectorELNS0_4arch9wavefront6targetE0EEEvT1_.numbered_sgpr, 0
	.set _ZN7rocprim17ROCPRIM_400000_NS6detail17trampoline_kernelINS0_14default_configENS1_25partition_config_selectorILNS1_17partition_subalgoE8ElNS0_10empty_typeEbEEZZNS1_14partition_implILS5_8ELb0ES3_jPlPS6_PKS6_NS0_5tupleIJS9_S6_EEENSD_IJSA_SA_EEENS0_18inequality_wrapperIZN2at6native12_GLOBAL__N_124unique_dim_cuda_templateIsEESt5tupleIJNSH_6TensorESM_SM_EERKSM_lbbbEUlllE0_EEPmJS6_EEE10hipError_tPvRmT3_T4_T5_T6_T7_T9_mT8_P12ihipStream_tbDpT10_ENKUlT_T0_E_clISt17integral_constantIbLb1EES1C_EEDaS17_S18_EUlS17_E_NS1_11comp_targetILNS1_3genE2ELNS1_11target_archE906ELNS1_3gpuE6ELNS1_3repE0EEENS1_30default_config_static_selectorELNS0_4arch9wavefront6targetE0EEEvT1_.num_named_barrier, 0
	.set _ZN7rocprim17ROCPRIM_400000_NS6detail17trampoline_kernelINS0_14default_configENS1_25partition_config_selectorILNS1_17partition_subalgoE8ElNS0_10empty_typeEbEEZZNS1_14partition_implILS5_8ELb0ES3_jPlPS6_PKS6_NS0_5tupleIJS9_S6_EEENSD_IJSA_SA_EEENS0_18inequality_wrapperIZN2at6native12_GLOBAL__N_124unique_dim_cuda_templateIsEESt5tupleIJNSH_6TensorESM_SM_EERKSM_lbbbEUlllE0_EEPmJS6_EEE10hipError_tPvRmT3_T4_T5_T6_T7_T9_mT8_P12ihipStream_tbDpT10_ENKUlT_T0_E_clISt17integral_constantIbLb1EES1C_EEDaS17_S18_EUlS17_E_NS1_11comp_targetILNS1_3genE2ELNS1_11target_archE906ELNS1_3gpuE6ELNS1_3repE0EEENS1_30default_config_static_selectorELNS0_4arch9wavefront6targetE0EEEvT1_.private_seg_size, 0
	.set _ZN7rocprim17ROCPRIM_400000_NS6detail17trampoline_kernelINS0_14default_configENS1_25partition_config_selectorILNS1_17partition_subalgoE8ElNS0_10empty_typeEbEEZZNS1_14partition_implILS5_8ELb0ES3_jPlPS6_PKS6_NS0_5tupleIJS9_S6_EEENSD_IJSA_SA_EEENS0_18inequality_wrapperIZN2at6native12_GLOBAL__N_124unique_dim_cuda_templateIsEESt5tupleIJNSH_6TensorESM_SM_EERKSM_lbbbEUlllE0_EEPmJS6_EEE10hipError_tPvRmT3_T4_T5_T6_T7_T9_mT8_P12ihipStream_tbDpT10_ENKUlT_T0_E_clISt17integral_constantIbLb1EES1C_EEDaS17_S18_EUlS17_E_NS1_11comp_targetILNS1_3genE2ELNS1_11target_archE906ELNS1_3gpuE6ELNS1_3repE0EEENS1_30default_config_static_selectorELNS0_4arch9wavefront6targetE0EEEvT1_.uses_vcc, 0
	.set _ZN7rocprim17ROCPRIM_400000_NS6detail17trampoline_kernelINS0_14default_configENS1_25partition_config_selectorILNS1_17partition_subalgoE8ElNS0_10empty_typeEbEEZZNS1_14partition_implILS5_8ELb0ES3_jPlPS6_PKS6_NS0_5tupleIJS9_S6_EEENSD_IJSA_SA_EEENS0_18inequality_wrapperIZN2at6native12_GLOBAL__N_124unique_dim_cuda_templateIsEESt5tupleIJNSH_6TensorESM_SM_EERKSM_lbbbEUlllE0_EEPmJS6_EEE10hipError_tPvRmT3_T4_T5_T6_T7_T9_mT8_P12ihipStream_tbDpT10_ENKUlT_T0_E_clISt17integral_constantIbLb1EES1C_EEDaS17_S18_EUlS17_E_NS1_11comp_targetILNS1_3genE2ELNS1_11target_archE906ELNS1_3gpuE6ELNS1_3repE0EEENS1_30default_config_static_selectorELNS0_4arch9wavefront6targetE0EEEvT1_.uses_flat_scratch, 0
	.set _ZN7rocprim17ROCPRIM_400000_NS6detail17trampoline_kernelINS0_14default_configENS1_25partition_config_selectorILNS1_17partition_subalgoE8ElNS0_10empty_typeEbEEZZNS1_14partition_implILS5_8ELb0ES3_jPlPS6_PKS6_NS0_5tupleIJS9_S6_EEENSD_IJSA_SA_EEENS0_18inequality_wrapperIZN2at6native12_GLOBAL__N_124unique_dim_cuda_templateIsEESt5tupleIJNSH_6TensorESM_SM_EERKSM_lbbbEUlllE0_EEPmJS6_EEE10hipError_tPvRmT3_T4_T5_T6_T7_T9_mT8_P12ihipStream_tbDpT10_ENKUlT_T0_E_clISt17integral_constantIbLb1EES1C_EEDaS17_S18_EUlS17_E_NS1_11comp_targetILNS1_3genE2ELNS1_11target_archE906ELNS1_3gpuE6ELNS1_3repE0EEENS1_30default_config_static_selectorELNS0_4arch9wavefront6targetE0EEEvT1_.has_dyn_sized_stack, 0
	.set _ZN7rocprim17ROCPRIM_400000_NS6detail17trampoline_kernelINS0_14default_configENS1_25partition_config_selectorILNS1_17partition_subalgoE8ElNS0_10empty_typeEbEEZZNS1_14partition_implILS5_8ELb0ES3_jPlPS6_PKS6_NS0_5tupleIJS9_S6_EEENSD_IJSA_SA_EEENS0_18inequality_wrapperIZN2at6native12_GLOBAL__N_124unique_dim_cuda_templateIsEESt5tupleIJNSH_6TensorESM_SM_EERKSM_lbbbEUlllE0_EEPmJS6_EEE10hipError_tPvRmT3_T4_T5_T6_T7_T9_mT8_P12ihipStream_tbDpT10_ENKUlT_T0_E_clISt17integral_constantIbLb1EES1C_EEDaS17_S18_EUlS17_E_NS1_11comp_targetILNS1_3genE2ELNS1_11target_archE906ELNS1_3gpuE6ELNS1_3repE0EEENS1_30default_config_static_selectorELNS0_4arch9wavefront6targetE0EEEvT1_.has_recursion, 0
	.set _ZN7rocprim17ROCPRIM_400000_NS6detail17trampoline_kernelINS0_14default_configENS1_25partition_config_selectorILNS1_17partition_subalgoE8ElNS0_10empty_typeEbEEZZNS1_14partition_implILS5_8ELb0ES3_jPlPS6_PKS6_NS0_5tupleIJS9_S6_EEENSD_IJSA_SA_EEENS0_18inequality_wrapperIZN2at6native12_GLOBAL__N_124unique_dim_cuda_templateIsEESt5tupleIJNSH_6TensorESM_SM_EERKSM_lbbbEUlllE0_EEPmJS6_EEE10hipError_tPvRmT3_T4_T5_T6_T7_T9_mT8_P12ihipStream_tbDpT10_ENKUlT_T0_E_clISt17integral_constantIbLb1EES1C_EEDaS17_S18_EUlS17_E_NS1_11comp_targetILNS1_3genE2ELNS1_11target_archE906ELNS1_3gpuE6ELNS1_3repE0EEENS1_30default_config_static_selectorELNS0_4arch9wavefront6targetE0EEEvT1_.has_indirect_call, 0
	.section	.AMDGPU.csdata,"",@progbits
; Kernel info:
; codeLenInByte = 0
; TotalNumSgprs: 0
; NumVgprs: 0
; ScratchSize: 0
; MemoryBound: 0
; FloatMode: 240
; IeeeMode: 1
; LDSByteSize: 0 bytes/workgroup (compile time only)
; SGPRBlocks: 0
; VGPRBlocks: 0
; NumSGPRsForWavesPerEU: 1
; NumVGPRsForWavesPerEU: 1
; NamedBarCnt: 0
; Occupancy: 16
; WaveLimiterHint : 0
; COMPUTE_PGM_RSRC2:SCRATCH_EN: 0
; COMPUTE_PGM_RSRC2:USER_SGPR: 2
; COMPUTE_PGM_RSRC2:TRAP_HANDLER: 0
; COMPUTE_PGM_RSRC2:TGID_X_EN: 1
; COMPUTE_PGM_RSRC2:TGID_Y_EN: 0
; COMPUTE_PGM_RSRC2:TGID_Z_EN: 0
; COMPUTE_PGM_RSRC2:TIDIG_COMP_CNT: 0
	.section	.text._ZN7rocprim17ROCPRIM_400000_NS6detail17trampoline_kernelINS0_14default_configENS1_25partition_config_selectorILNS1_17partition_subalgoE8ElNS0_10empty_typeEbEEZZNS1_14partition_implILS5_8ELb0ES3_jPlPS6_PKS6_NS0_5tupleIJS9_S6_EEENSD_IJSA_SA_EEENS0_18inequality_wrapperIZN2at6native12_GLOBAL__N_124unique_dim_cuda_templateIsEESt5tupleIJNSH_6TensorESM_SM_EERKSM_lbbbEUlllE0_EEPmJS6_EEE10hipError_tPvRmT3_T4_T5_T6_T7_T9_mT8_P12ihipStream_tbDpT10_ENKUlT_T0_E_clISt17integral_constantIbLb1EES1C_EEDaS17_S18_EUlS17_E_NS1_11comp_targetILNS1_3genE10ELNS1_11target_archE1200ELNS1_3gpuE4ELNS1_3repE0EEENS1_30default_config_static_selectorELNS0_4arch9wavefront6targetE0EEEvT1_,"axG",@progbits,_ZN7rocprim17ROCPRIM_400000_NS6detail17trampoline_kernelINS0_14default_configENS1_25partition_config_selectorILNS1_17partition_subalgoE8ElNS0_10empty_typeEbEEZZNS1_14partition_implILS5_8ELb0ES3_jPlPS6_PKS6_NS0_5tupleIJS9_S6_EEENSD_IJSA_SA_EEENS0_18inequality_wrapperIZN2at6native12_GLOBAL__N_124unique_dim_cuda_templateIsEESt5tupleIJNSH_6TensorESM_SM_EERKSM_lbbbEUlllE0_EEPmJS6_EEE10hipError_tPvRmT3_T4_T5_T6_T7_T9_mT8_P12ihipStream_tbDpT10_ENKUlT_T0_E_clISt17integral_constantIbLb1EES1C_EEDaS17_S18_EUlS17_E_NS1_11comp_targetILNS1_3genE10ELNS1_11target_archE1200ELNS1_3gpuE4ELNS1_3repE0EEENS1_30default_config_static_selectorELNS0_4arch9wavefront6targetE0EEEvT1_,comdat
	.globl	_ZN7rocprim17ROCPRIM_400000_NS6detail17trampoline_kernelINS0_14default_configENS1_25partition_config_selectorILNS1_17partition_subalgoE8ElNS0_10empty_typeEbEEZZNS1_14partition_implILS5_8ELb0ES3_jPlPS6_PKS6_NS0_5tupleIJS9_S6_EEENSD_IJSA_SA_EEENS0_18inequality_wrapperIZN2at6native12_GLOBAL__N_124unique_dim_cuda_templateIsEESt5tupleIJNSH_6TensorESM_SM_EERKSM_lbbbEUlllE0_EEPmJS6_EEE10hipError_tPvRmT3_T4_T5_T6_T7_T9_mT8_P12ihipStream_tbDpT10_ENKUlT_T0_E_clISt17integral_constantIbLb1EES1C_EEDaS17_S18_EUlS17_E_NS1_11comp_targetILNS1_3genE10ELNS1_11target_archE1200ELNS1_3gpuE4ELNS1_3repE0EEENS1_30default_config_static_selectorELNS0_4arch9wavefront6targetE0EEEvT1_ ; -- Begin function _ZN7rocprim17ROCPRIM_400000_NS6detail17trampoline_kernelINS0_14default_configENS1_25partition_config_selectorILNS1_17partition_subalgoE8ElNS0_10empty_typeEbEEZZNS1_14partition_implILS5_8ELb0ES3_jPlPS6_PKS6_NS0_5tupleIJS9_S6_EEENSD_IJSA_SA_EEENS0_18inequality_wrapperIZN2at6native12_GLOBAL__N_124unique_dim_cuda_templateIsEESt5tupleIJNSH_6TensorESM_SM_EERKSM_lbbbEUlllE0_EEPmJS6_EEE10hipError_tPvRmT3_T4_T5_T6_T7_T9_mT8_P12ihipStream_tbDpT10_ENKUlT_T0_E_clISt17integral_constantIbLb1EES1C_EEDaS17_S18_EUlS17_E_NS1_11comp_targetILNS1_3genE10ELNS1_11target_archE1200ELNS1_3gpuE4ELNS1_3repE0EEENS1_30default_config_static_selectorELNS0_4arch9wavefront6targetE0EEEvT1_
	.p2align	8
	.type	_ZN7rocprim17ROCPRIM_400000_NS6detail17trampoline_kernelINS0_14default_configENS1_25partition_config_selectorILNS1_17partition_subalgoE8ElNS0_10empty_typeEbEEZZNS1_14partition_implILS5_8ELb0ES3_jPlPS6_PKS6_NS0_5tupleIJS9_S6_EEENSD_IJSA_SA_EEENS0_18inequality_wrapperIZN2at6native12_GLOBAL__N_124unique_dim_cuda_templateIsEESt5tupleIJNSH_6TensorESM_SM_EERKSM_lbbbEUlllE0_EEPmJS6_EEE10hipError_tPvRmT3_T4_T5_T6_T7_T9_mT8_P12ihipStream_tbDpT10_ENKUlT_T0_E_clISt17integral_constantIbLb1EES1C_EEDaS17_S18_EUlS17_E_NS1_11comp_targetILNS1_3genE10ELNS1_11target_archE1200ELNS1_3gpuE4ELNS1_3repE0EEENS1_30default_config_static_selectorELNS0_4arch9wavefront6targetE0EEEvT1_,@function
_ZN7rocprim17ROCPRIM_400000_NS6detail17trampoline_kernelINS0_14default_configENS1_25partition_config_selectorILNS1_17partition_subalgoE8ElNS0_10empty_typeEbEEZZNS1_14partition_implILS5_8ELb0ES3_jPlPS6_PKS6_NS0_5tupleIJS9_S6_EEENSD_IJSA_SA_EEENS0_18inequality_wrapperIZN2at6native12_GLOBAL__N_124unique_dim_cuda_templateIsEESt5tupleIJNSH_6TensorESM_SM_EERKSM_lbbbEUlllE0_EEPmJS6_EEE10hipError_tPvRmT3_T4_T5_T6_T7_T9_mT8_P12ihipStream_tbDpT10_ENKUlT_T0_E_clISt17integral_constantIbLb1EES1C_EEDaS17_S18_EUlS17_E_NS1_11comp_targetILNS1_3genE10ELNS1_11target_archE1200ELNS1_3gpuE4ELNS1_3repE0EEENS1_30default_config_static_selectorELNS0_4arch9wavefront6targetE0EEEvT1_: ; @_ZN7rocprim17ROCPRIM_400000_NS6detail17trampoline_kernelINS0_14default_configENS1_25partition_config_selectorILNS1_17partition_subalgoE8ElNS0_10empty_typeEbEEZZNS1_14partition_implILS5_8ELb0ES3_jPlPS6_PKS6_NS0_5tupleIJS9_S6_EEENSD_IJSA_SA_EEENS0_18inequality_wrapperIZN2at6native12_GLOBAL__N_124unique_dim_cuda_templateIsEESt5tupleIJNSH_6TensorESM_SM_EERKSM_lbbbEUlllE0_EEPmJS6_EEE10hipError_tPvRmT3_T4_T5_T6_T7_T9_mT8_P12ihipStream_tbDpT10_ENKUlT_T0_E_clISt17integral_constantIbLb1EES1C_EEDaS17_S18_EUlS17_E_NS1_11comp_targetILNS1_3genE10ELNS1_11target_archE1200ELNS1_3gpuE4ELNS1_3repE0EEENS1_30default_config_static_selectorELNS0_4arch9wavefront6targetE0EEEvT1_
; %bb.0:
	.section	.rodata,"a",@progbits
	.p2align	6, 0x0
	.amdhsa_kernel _ZN7rocprim17ROCPRIM_400000_NS6detail17trampoline_kernelINS0_14default_configENS1_25partition_config_selectorILNS1_17partition_subalgoE8ElNS0_10empty_typeEbEEZZNS1_14partition_implILS5_8ELb0ES3_jPlPS6_PKS6_NS0_5tupleIJS9_S6_EEENSD_IJSA_SA_EEENS0_18inequality_wrapperIZN2at6native12_GLOBAL__N_124unique_dim_cuda_templateIsEESt5tupleIJNSH_6TensorESM_SM_EERKSM_lbbbEUlllE0_EEPmJS6_EEE10hipError_tPvRmT3_T4_T5_T6_T7_T9_mT8_P12ihipStream_tbDpT10_ENKUlT_T0_E_clISt17integral_constantIbLb1EES1C_EEDaS17_S18_EUlS17_E_NS1_11comp_targetILNS1_3genE10ELNS1_11target_archE1200ELNS1_3gpuE4ELNS1_3repE0EEENS1_30default_config_static_selectorELNS0_4arch9wavefront6targetE0EEEvT1_
		.amdhsa_group_segment_fixed_size 0
		.amdhsa_private_segment_fixed_size 0
		.amdhsa_kernarg_size 136
		.amdhsa_user_sgpr_count 2
		.amdhsa_user_sgpr_dispatch_ptr 0
		.amdhsa_user_sgpr_queue_ptr 0
		.amdhsa_user_sgpr_kernarg_segment_ptr 1
		.amdhsa_user_sgpr_dispatch_id 0
		.amdhsa_user_sgpr_kernarg_preload_length 0
		.amdhsa_user_sgpr_kernarg_preload_offset 0
		.amdhsa_user_sgpr_private_segment_size 0
		.amdhsa_wavefront_size32 1
		.amdhsa_uses_dynamic_stack 0
		.amdhsa_enable_private_segment 0
		.amdhsa_system_sgpr_workgroup_id_x 1
		.amdhsa_system_sgpr_workgroup_id_y 0
		.amdhsa_system_sgpr_workgroup_id_z 0
		.amdhsa_system_sgpr_workgroup_info 0
		.amdhsa_system_vgpr_workitem_id 0
		.amdhsa_next_free_vgpr 1
		.amdhsa_next_free_sgpr 1
		.amdhsa_named_barrier_count 0
		.amdhsa_reserve_vcc 0
		.amdhsa_float_round_mode_32 0
		.amdhsa_float_round_mode_16_64 0
		.amdhsa_float_denorm_mode_32 3
		.amdhsa_float_denorm_mode_16_64 3
		.amdhsa_fp16_overflow 0
		.amdhsa_memory_ordered 1
		.amdhsa_forward_progress 1
		.amdhsa_inst_pref_size 0
		.amdhsa_round_robin_scheduling 0
		.amdhsa_exception_fp_ieee_invalid_op 0
		.amdhsa_exception_fp_denorm_src 0
		.amdhsa_exception_fp_ieee_div_zero 0
		.amdhsa_exception_fp_ieee_overflow 0
		.amdhsa_exception_fp_ieee_underflow 0
		.amdhsa_exception_fp_ieee_inexact 0
		.amdhsa_exception_int_div_zero 0
	.end_amdhsa_kernel
	.section	.text._ZN7rocprim17ROCPRIM_400000_NS6detail17trampoline_kernelINS0_14default_configENS1_25partition_config_selectorILNS1_17partition_subalgoE8ElNS0_10empty_typeEbEEZZNS1_14partition_implILS5_8ELb0ES3_jPlPS6_PKS6_NS0_5tupleIJS9_S6_EEENSD_IJSA_SA_EEENS0_18inequality_wrapperIZN2at6native12_GLOBAL__N_124unique_dim_cuda_templateIsEESt5tupleIJNSH_6TensorESM_SM_EERKSM_lbbbEUlllE0_EEPmJS6_EEE10hipError_tPvRmT3_T4_T5_T6_T7_T9_mT8_P12ihipStream_tbDpT10_ENKUlT_T0_E_clISt17integral_constantIbLb1EES1C_EEDaS17_S18_EUlS17_E_NS1_11comp_targetILNS1_3genE10ELNS1_11target_archE1200ELNS1_3gpuE4ELNS1_3repE0EEENS1_30default_config_static_selectorELNS0_4arch9wavefront6targetE0EEEvT1_,"axG",@progbits,_ZN7rocprim17ROCPRIM_400000_NS6detail17trampoline_kernelINS0_14default_configENS1_25partition_config_selectorILNS1_17partition_subalgoE8ElNS0_10empty_typeEbEEZZNS1_14partition_implILS5_8ELb0ES3_jPlPS6_PKS6_NS0_5tupleIJS9_S6_EEENSD_IJSA_SA_EEENS0_18inequality_wrapperIZN2at6native12_GLOBAL__N_124unique_dim_cuda_templateIsEESt5tupleIJNSH_6TensorESM_SM_EERKSM_lbbbEUlllE0_EEPmJS6_EEE10hipError_tPvRmT3_T4_T5_T6_T7_T9_mT8_P12ihipStream_tbDpT10_ENKUlT_T0_E_clISt17integral_constantIbLb1EES1C_EEDaS17_S18_EUlS17_E_NS1_11comp_targetILNS1_3genE10ELNS1_11target_archE1200ELNS1_3gpuE4ELNS1_3repE0EEENS1_30default_config_static_selectorELNS0_4arch9wavefront6targetE0EEEvT1_,comdat
.Lfunc_end698:
	.size	_ZN7rocprim17ROCPRIM_400000_NS6detail17trampoline_kernelINS0_14default_configENS1_25partition_config_selectorILNS1_17partition_subalgoE8ElNS0_10empty_typeEbEEZZNS1_14partition_implILS5_8ELb0ES3_jPlPS6_PKS6_NS0_5tupleIJS9_S6_EEENSD_IJSA_SA_EEENS0_18inequality_wrapperIZN2at6native12_GLOBAL__N_124unique_dim_cuda_templateIsEESt5tupleIJNSH_6TensorESM_SM_EERKSM_lbbbEUlllE0_EEPmJS6_EEE10hipError_tPvRmT3_T4_T5_T6_T7_T9_mT8_P12ihipStream_tbDpT10_ENKUlT_T0_E_clISt17integral_constantIbLb1EES1C_EEDaS17_S18_EUlS17_E_NS1_11comp_targetILNS1_3genE10ELNS1_11target_archE1200ELNS1_3gpuE4ELNS1_3repE0EEENS1_30default_config_static_selectorELNS0_4arch9wavefront6targetE0EEEvT1_, .Lfunc_end698-_ZN7rocprim17ROCPRIM_400000_NS6detail17trampoline_kernelINS0_14default_configENS1_25partition_config_selectorILNS1_17partition_subalgoE8ElNS0_10empty_typeEbEEZZNS1_14partition_implILS5_8ELb0ES3_jPlPS6_PKS6_NS0_5tupleIJS9_S6_EEENSD_IJSA_SA_EEENS0_18inequality_wrapperIZN2at6native12_GLOBAL__N_124unique_dim_cuda_templateIsEESt5tupleIJNSH_6TensorESM_SM_EERKSM_lbbbEUlllE0_EEPmJS6_EEE10hipError_tPvRmT3_T4_T5_T6_T7_T9_mT8_P12ihipStream_tbDpT10_ENKUlT_T0_E_clISt17integral_constantIbLb1EES1C_EEDaS17_S18_EUlS17_E_NS1_11comp_targetILNS1_3genE10ELNS1_11target_archE1200ELNS1_3gpuE4ELNS1_3repE0EEENS1_30default_config_static_selectorELNS0_4arch9wavefront6targetE0EEEvT1_
                                        ; -- End function
	.set _ZN7rocprim17ROCPRIM_400000_NS6detail17trampoline_kernelINS0_14default_configENS1_25partition_config_selectorILNS1_17partition_subalgoE8ElNS0_10empty_typeEbEEZZNS1_14partition_implILS5_8ELb0ES3_jPlPS6_PKS6_NS0_5tupleIJS9_S6_EEENSD_IJSA_SA_EEENS0_18inequality_wrapperIZN2at6native12_GLOBAL__N_124unique_dim_cuda_templateIsEESt5tupleIJNSH_6TensorESM_SM_EERKSM_lbbbEUlllE0_EEPmJS6_EEE10hipError_tPvRmT3_T4_T5_T6_T7_T9_mT8_P12ihipStream_tbDpT10_ENKUlT_T0_E_clISt17integral_constantIbLb1EES1C_EEDaS17_S18_EUlS17_E_NS1_11comp_targetILNS1_3genE10ELNS1_11target_archE1200ELNS1_3gpuE4ELNS1_3repE0EEENS1_30default_config_static_selectorELNS0_4arch9wavefront6targetE0EEEvT1_.num_vgpr, 0
	.set _ZN7rocprim17ROCPRIM_400000_NS6detail17trampoline_kernelINS0_14default_configENS1_25partition_config_selectorILNS1_17partition_subalgoE8ElNS0_10empty_typeEbEEZZNS1_14partition_implILS5_8ELb0ES3_jPlPS6_PKS6_NS0_5tupleIJS9_S6_EEENSD_IJSA_SA_EEENS0_18inequality_wrapperIZN2at6native12_GLOBAL__N_124unique_dim_cuda_templateIsEESt5tupleIJNSH_6TensorESM_SM_EERKSM_lbbbEUlllE0_EEPmJS6_EEE10hipError_tPvRmT3_T4_T5_T6_T7_T9_mT8_P12ihipStream_tbDpT10_ENKUlT_T0_E_clISt17integral_constantIbLb1EES1C_EEDaS17_S18_EUlS17_E_NS1_11comp_targetILNS1_3genE10ELNS1_11target_archE1200ELNS1_3gpuE4ELNS1_3repE0EEENS1_30default_config_static_selectorELNS0_4arch9wavefront6targetE0EEEvT1_.num_agpr, 0
	.set _ZN7rocprim17ROCPRIM_400000_NS6detail17trampoline_kernelINS0_14default_configENS1_25partition_config_selectorILNS1_17partition_subalgoE8ElNS0_10empty_typeEbEEZZNS1_14partition_implILS5_8ELb0ES3_jPlPS6_PKS6_NS0_5tupleIJS9_S6_EEENSD_IJSA_SA_EEENS0_18inequality_wrapperIZN2at6native12_GLOBAL__N_124unique_dim_cuda_templateIsEESt5tupleIJNSH_6TensorESM_SM_EERKSM_lbbbEUlllE0_EEPmJS6_EEE10hipError_tPvRmT3_T4_T5_T6_T7_T9_mT8_P12ihipStream_tbDpT10_ENKUlT_T0_E_clISt17integral_constantIbLb1EES1C_EEDaS17_S18_EUlS17_E_NS1_11comp_targetILNS1_3genE10ELNS1_11target_archE1200ELNS1_3gpuE4ELNS1_3repE0EEENS1_30default_config_static_selectorELNS0_4arch9wavefront6targetE0EEEvT1_.numbered_sgpr, 0
	.set _ZN7rocprim17ROCPRIM_400000_NS6detail17trampoline_kernelINS0_14default_configENS1_25partition_config_selectorILNS1_17partition_subalgoE8ElNS0_10empty_typeEbEEZZNS1_14partition_implILS5_8ELb0ES3_jPlPS6_PKS6_NS0_5tupleIJS9_S6_EEENSD_IJSA_SA_EEENS0_18inequality_wrapperIZN2at6native12_GLOBAL__N_124unique_dim_cuda_templateIsEESt5tupleIJNSH_6TensorESM_SM_EERKSM_lbbbEUlllE0_EEPmJS6_EEE10hipError_tPvRmT3_T4_T5_T6_T7_T9_mT8_P12ihipStream_tbDpT10_ENKUlT_T0_E_clISt17integral_constantIbLb1EES1C_EEDaS17_S18_EUlS17_E_NS1_11comp_targetILNS1_3genE10ELNS1_11target_archE1200ELNS1_3gpuE4ELNS1_3repE0EEENS1_30default_config_static_selectorELNS0_4arch9wavefront6targetE0EEEvT1_.num_named_barrier, 0
	.set _ZN7rocprim17ROCPRIM_400000_NS6detail17trampoline_kernelINS0_14default_configENS1_25partition_config_selectorILNS1_17partition_subalgoE8ElNS0_10empty_typeEbEEZZNS1_14partition_implILS5_8ELb0ES3_jPlPS6_PKS6_NS0_5tupleIJS9_S6_EEENSD_IJSA_SA_EEENS0_18inequality_wrapperIZN2at6native12_GLOBAL__N_124unique_dim_cuda_templateIsEESt5tupleIJNSH_6TensorESM_SM_EERKSM_lbbbEUlllE0_EEPmJS6_EEE10hipError_tPvRmT3_T4_T5_T6_T7_T9_mT8_P12ihipStream_tbDpT10_ENKUlT_T0_E_clISt17integral_constantIbLb1EES1C_EEDaS17_S18_EUlS17_E_NS1_11comp_targetILNS1_3genE10ELNS1_11target_archE1200ELNS1_3gpuE4ELNS1_3repE0EEENS1_30default_config_static_selectorELNS0_4arch9wavefront6targetE0EEEvT1_.private_seg_size, 0
	.set _ZN7rocprim17ROCPRIM_400000_NS6detail17trampoline_kernelINS0_14default_configENS1_25partition_config_selectorILNS1_17partition_subalgoE8ElNS0_10empty_typeEbEEZZNS1_14partition_implILS5_8ELb0ES3_jPlPS6_PKS6_NS0_5tupleIJS9_S6_EEENSD_IJSA_SA_EEENS0_18inequality_wrapperIZN2at6native12_GLOBAL__N_124unique_dim_cuda_templateIsEESt5tupleIJNSH_6TensorESM_SM_EERKSM_lbbbEUlllE0_EEPmJS6_EEE10hipError_tPvRmT3_T4_T5_T6_T7_T9_mT8_P12ihipStream_tbDpT10_ENKUlT_T0_E_clISt17integral_constantIbLb1EES1C_EEDaS17_S18_EUlS17_E_NS1_11comp_targetILNS1_3genE10ELNS1_11target_archE1200ELNS1_3gpuE4ELNS1_3repE0EEENS1_30default_config_static_selectorELNS0_4arch9wavefront6targetE0EEEvT1_.uses_vcc, 0
	.set _ZN7rocprim17ROCPRIM_400000_NS6detail17trampoline_kernelINS0_14default_configENS1_25partition_config_selectorILNS1_17partition_subalgoE8ElNS0_10empty_typeEbEEZZNS1_14partition_implILS5_8ELb0ES3_jPlPS6_PKS6_NS0_5tupleIJS9_S6_EEENSD_IJSA_SA_EEENS0_18inequality_wrapperIZN2at6native12_GLOBAL__N_124unique_dim_cuda_templateIsEESt5tupleIJNSH_6TensorESM_SM_EERKSM_lbbbEUlllE0_EEPmJS6_EEE10hipError_tPvRmT3_T4_T5_T6_T7_T9_mT8_P12ihipStream_tbDpT10_ENKUlT_T0_E_clISt17integral_constantIbLb1EES1C_EEDaS17_S18_EUlS17_E_NS1_11comp_targetILNS1_3genE10ELNS1_11target_archE1200ELNS1_3gpuE4ELNS1_3repE0EEENS1_30default_config_static_selectorELNS0_4arch9wavefront6targetE0EEEvT1_.uses_flat_scratch, 0
	.set _ZN7rocprim17ROCPRIM_400000_NS6detail17trampoline_kernelINS0_14default_configENS1_25partition_config_selectorILNS1_17partition_subalgoE8ElNS0_10empty_typeEbEEZZNS1_14partition_implILS5_8ELb0ES3_jPlPS6_PKS6_NS0_5tupleIJS9_S6_EEENSD_IJSA_SA_EEENS0_18inequality_wrapperIZN2at6native12_GLOBAL__N_124unique_dim_cuda_templateIsEESt5tupleIJNSH_6TensorESM_SM_EERKSM_lbbbEUlllE0_EEPmJS6_EEE10hipError_tPvRmT3_T4_T5_T6_T7_T9_mT8_P12ihipStream_tbDpT10_ENKUlT_T0_E_clISt17integral_constantIbLb1EES1C_EEDaS17_S18_EUlS17_E_NS1_11comp_targetILNS1_3genE10ELNS1_11target_archE1200ELNS1_3gpuE4ELNS1_3repE0EEENS1_30default_config_static_selectorELNS0_4arch9wavefront6targetE0EEEvT1_.has_dyn_sized_stack, 0
	.set _ZN7rocprim17ROCPRIM_400000_NS6detail17trampoline_kernelINS0_14default_configENS1_25partition_config_selectorILNS1_17partition_subalgoE8ElNS0_10empty_typeEbEEZZNS1_14partition_implILS5_8ELb0ES3_jPlPS6_PKS6_NS0_5tupleIJS9_S6_EEENSD_IJSA_SA_EEENS0_18inequality_wrapperIZN2at6native12_GLOBAL__N_124unique_dim_cuda_templateIsEESt5tupleIJNSH_6TensorESM_SM_EERKSM_lbbbEUlllE0_EEPmJS6_EEE10hipError_tPvRmT3_T4_T5_T6_T7_T9_mT8_P12ihipStream_tbDpT10_ENKUlT_T0_E_clISt17integral_constantIbLb1EES1C_EEDaS17_S18_EUlS17_E_NS1_11comp_targetILNS1_3genE10ELNS1_11target_archE1200ELNS1_3gpuE4ELNS1_3repE0EEENS1_30default_config_static_selectorELNS0_4arch9wavefront6targetE0EEEvT1_.has_recursion, 0
	.set _ZN7rocprim17ROCPRIM_400000_NS6detail17trampoline_kernelINS0_14default_configENS1_25partition_config_selectorILNS1_17partition_subalgoE8ElNS0_10empty_typeEbEEZZNS1_14partition_implILS5_8ELb0ES3_jPlPS6_PKS6_NS0_5tupleIJS9_S6_EEENSD_IJSA_SA_EEENS0_18inequality_wrapperIZN2at6native12_GLOBAL__N_124unique_dim_cuda_templateIsEESt5tupleIJNSH_6TensorESM_SM_EERKSM_lbbbEUlllE0_EEPmJS6_EEE10hipError_tPvRmT3_T4_T5_T6_T7_T9_mT8_P12ihipStream_tbDpT10_ENKUlT_T0_E_clISt17integral_constantIbLb1EES1C_EEDaS17_S18_EUlS17_E_NS1_11comp_targetILNS1_3genE10ELNS1_11target_archE1200ELNS1_3gpuE4ELNS1_3repE0EEENS1_30default_config_static_selectorELNS0_4arch9wavefront6targetE0EEEvT1_.has_indirect_call, 0
	.section	.AMDGPU.csdata,"",@progbits
; Kernel info:
; codeLenInByte = 0
; TotalNumSgprs: 0
; NumVgprs: 0
; ScratchSize: 0
; MemoryBound: 0
; FloatMode: 240
; IeeeMode: 1
; LDSByteSize: 0 bytes/workgroup (compile time only)
; SGPRBlocks: 0
; VGPRBlocks: 0
; NumSGPRsForWavesPerEU: 1
; NumVGPRsForWavesPerEU: 1
; NamedBarCnt: 0
; Occupancy: 16
; WaveLimiterHint : 0
; COMPUTE_PGM_RSRC2:SCRATCH_EN: 0
; COMPUTE_PGM_RSRC2:USER_SGPR: 2
; COMPUTE_PGM_RSRC2:TRAP_HANDLER: 0
; COMPUTE_PGM_RSRC2:TGID_X_EN: 1
; COMPUTE_PGM_RSRC2:TGID_Y_EN: 0
; COMPUTE_PGM_RSRC2:TGID_Z_EN: 0
; COMPUTE_PGM_RSRC2:TIDIG_COMP_CNT: 0
	.section	.text._ZN7rocprim17ROCPRIM_400000_NS6detail17trampoline_kernelINS0_14default_configENS1_25partition_config_selectorILNS1_17partition_subalgoE8ElNS0_10empty_typeEbEEZZNS1_14partition_implILS5_8ELb0ES3_jPlPS6_PKS6_NS0_5tupleIJS9_S6_EEENSD_IJSA_SA_EEENS0_18inequality_wrapperIZN2at6native12_GLOBAL__N_124unique_dim_cuda_templateIsEESt5tupleIJNSH_6TensorESM_SM_EERKSM_lbbbEUlllE0_EEPmJS6_EEE10hipError_tPvRmT3_T4_T5_T6_T7_T9_mT8_P12ihipStream_tbDpT10_ENKUlT_T0_E_clISt17integral_constantIbLb1EES1C_EEDaS17_S18_EUlS17_E_NS1_11comp_targetILNS1_3genE9ELNS1_11target_archE1100ELNS1_3gpuE3ELNS1_3repE0EEENS1_30default_config_static_selectorELNS0_4arch9wavefront6targetE0EEEvT1_,"axG",@progbits,_ZN7rocprim17ROCPRIM_400000_NS6detail17trampoline_kernelINS0_14default_configENS1_25partition_config_selectorILNS1_17partition_subalgoE8ElNS0_10empty_typeEbEEZZNS1_14partition_implILS5_8ELb0ES3_jPlPS6_PKS6_NS0_5tupleIJS9_S6_EEENSD_IJSA_SA_EEENS0_18inequality_wrapperIZN2at6native12_GLOBAL__N_124unique_dim_cuda_templateIsEESt5tupleIJNSH_6TensorESM_SM_EERKSM_lbbbEUlllE0_EEPmJS6_EEE10hipError_tPvRmT3_T4_T5_T6_T7_T9_mT8_P12ihipStream_tbDpT10_ENKUlT_T0_E_clISt17integral_constantIbLb1EES1C_EEDaS17_S18_EUlS17_E_NS1_11comp_targetILNS1_3genE9ELNS1_11target_archE1100ELNS1_3gpuE3ELNS1_3repE0EEENS1_30default_config_static_selectorELNS0_4arch9wavefront6targetE0EEEvT1_,comdat
	.globl	_ZN7rocprim17ROCPRIM_400000_NS6detail17trampoline_kernelINS0_14default_configENS1_25partition_config_selectorILNS1_17partition_subalgoE8ElNS0_10empty_typeEbEEZZNS1_14partition_implILS5_8ELb0ES3_jPlPS6_PKS6_NS0_5tupleIJS9_S6_EEENSD_IJSA_SA_EEENS0_18inequality_wrapperIZN2at6native12_GLOBAL__N_124unique_dim_cuda_templateIsEESt5tupleIJNSH_6TensorESM_SM_EERKSM_lbbbEUlllE0_EEPmJS6_EEE10hipError_tPvRmT3_T4_T5_T6_T7_T9_mT8_P12ihipStream_tbDpT10_ENKUlT_T0_E_clISt17integral_constantIbLb1EES1C_EEDaS17_S18_EUlS17_E_NS1_11comp_targetILNS1_3genE9ELNS1_11target_archE1100ELNS1_3gpuE3ELNS1_3repE0EEENS1_30default_config_static_selectorELNS0_4arch9wavefront6targetE0EEEvT1_ ; -- Begin function _ZN7rocprim17ROCPRIM_400000_NS6detail17trampoline_kernelINS0_14default_configENS1_25partition_config_selectorILNS1_17partition_subalgoE8ElNS0_10empty_typeEbEEZZNS1_14partition_implILS5_8ELb0ES3_jPlPS6_PKS6_NS0_5tupleIJS9_S6_EEENSD_IJSA_SA_EEENS0_18inequality_wrapperIZN2at6native12_GLOBAL__N_124unique_dim_cuda_templateIsEESt5tupleIJNSH_6TensorESM_SM_EERKSM_lbbbEUlllE0_EEPmJS6_EEE10hipError_tPvRmT3_T4_T5_T6_T7_T9_mT8_P12ihipStream_tbDpT10_ENKUlT_T0_E_clISt17integral_constantIbLb1EES1C_EEDaS17_S18_EUlS17_E_NS1_11comp_targetILNS1_3genE9ELNS1_11target_archE1100ELNS1_3gpuE3ELNS1_3repE0EEENS1_30default_config_static_selectorELNS0_4arch9wavefront6targetE0EEEvT1_
	.p2align	8
	.type	_ZN7rocprim17ROCPRIM_400000_NS6detail17trampoline_kernelINS0_14default_configENS1_25partition_config_selectorILNS1_17partition_subalgoE8ElNS0_10empty_typeEbEEZZNS1_14partition_implILS5_8ELb0ES3_jPlPS6_PKS6_NS0_5tupleIJS9_S6_EEENSD_IJSA_SA_EEENS0_18inequality_wrapperIZN2at6native12_GLOBAL__N_124unique_dim_cuda_templateIsEESt5tupleIJNSH_6TensorESM_SM_EERKSM_lbbbEUlllE0_EEPmJS6_EEE10hipError_tPvRmT3_T4_T5_T6_T7_T9_mT8_P12ihipStream_tbDpT10_ENKUlT_T0_E_clISt17integral_constantIbLb1EES1C_EEDaS17_S18_EUlS17_E_NS1_11comp_targetILNS1_3genE9ELNS1_11target_archE1100ELNS1_3gpuE3ELNS1_3repE0EEENS1_30default_config_static_selectorELNS0_4arch9wavefront6targetE0EEEvT1_,@function
_ZN7rocprim17ROCPRIM_400000_NS6detail17trampoline_kernelINS0_14default_configENS1_25partition_config_selectorILNS1_17partition_subalgoE8ElNS0_10empty_typeEbEEZZNS1_14partition_implILS5_8ELb0ES3_jPlPS6_PKS6_NS0_5tupleIJS9_S6_EEENSD_IJSA_SA_EEENS0_18inequality_wrapperIZN2at6native12_GLOBAL__N_124unique_dim_cuda_templateIsEESt5tupleIJNSH_6TensorESM_SM_EERKSM_lbbbEUlllE0_EEPmJS6_EEE10hipError_tPvRmT3_T4_T5_T6_T7_T9_mT8_P12ihipStream_tbDpT10_ENKUlT_T0_E_clISt17integral_constantIbLb1EES1C_EEDaS17_S18_EUlS17_E_NS1_11comp_targetILNS1_3genE9ELNS1_11target_archE1100ELNS1_3gpuE3ELNS1_3repE0EEENS1_30default_config_static_selectorELNS0_4arch9wavefront6targetE0EEEvT1_: ; @_ZN7rocprim17ROCPRIM_400000_NS6detail17trampoline_kernelINS0_14default_configENS1_25partition_config_selectorILNS1_17partition_subalgoE8ElNS0_10empty_typeEbEEZZNS1_14partition_implILS5_8ELb0ES3_jPlPS6_PKS6_NS0_5tupleIJS9_S6_EEENSD_IJSA_SA_EEENS0_18inequality_wrapperIZN2at6native12_GLOBAL__N_124unique_dim_cuda_templateIsEESt5tupleIJNSH_6TensorESM_SM_EERKSM_lbbbEUlllE0_EEPmJS6_EEE10hipError_tPvRmT3_T4_T5_T6_T7_T9_mT8_P12ihipStream_tbDpT10_ENKUlT_T0_E_clISt17integral_constantIbLb1EES1C_EEDaS17_S18_EUlS17_E_NS1_11comp_targetILNS1_3genE9ELNS1_11target_archE1100ELNS1_3gpuE3ELNS1_3repE0EEENS1_30default_config_static_selectorELNS0_4arch9wavefront6targetE0EEEvT1_
; %bb.0:
	.section	.rodata,"a",@progbits
	.p2align	6, 0x0
	.amdhsa_kernel _ZN7rocprim17ROCPRIM_400000_NS6detail17trampoline_kernelINS0_14default_configENS1_25partition_config_selectorILNS1_17partition_subalgoE8ElNS0_10empty_typeEbEEZZNS1_14partition_implILS5_8ELb0ES3_jPlPS6_PKS6_NS0_5tupleIJS9_S6_EEENSD_IJSA_SA_EEENS0_18inequality_wrapperIZN2at6native12_GLOBAL__N_124unique_dim_cuda_templateIsEESt5tupleIJNSH_6TensorESM_SM_EERKSM_lbbbEUlllE0_EEPmJS6_EEE10hipError_tPvRmT3_T4_T5_T6_T7_T9_mT8_P12ihipStream_tbDpT10_ENKUlT_T0_E_clISt17integral_constantIbLb1EES1C_EEDaS17_S18_EUlS17_E_NS1_11comp_targetILNS1_3genE9ELNS1_11target_archE1100ELNS1_3gpuE3ELNS1_3repE0EEENS1_30default_config_static_selectorELNS0_4arch9wavefront6targetE0EEEvT1_
		.amdhsa_group_segment_fixed_size 0
		.amdhsa_private_segment_fixed_size 0
		.amdhsa_kernarg_size 136
		.amdhsa_user_sgpr_count 2
		.amdhsa_user_sgpr_dispatch_ptr 0
		.amdhsa_user_sgpr_queue_ptr 0
		.amdhsa_user_sgpr_kernarg_segment_ptr 1
		.amdhsa_user_sgpr_dispatch_id 0
		.amdhsa_user_sgpr_kernarg_preload_length 0
		.amdhsa_user_sgpr_kernarg_preload_offset 0
		.amdhsa_user_sgpr_private_segment_size 0
		.amdhsa_wavefront_size32 1
		.amdhsa_uses_dynamic_stack 0
		.amdhsa_enable_private_segment 0
		.amdhsa_system_sgpr_workgroup_id_x 1
		.amdhsa_system_sgpr_workgroup_id_y 0
		.amdhsa_system_sgpr_workgroup_id_z 0
		.amdhsa_system_sgpr_workgroup_info 0
		.amdhsa_system_vgpr_workitem_id 0
		.amdhsa_next_free_vgpr 1
		.amdhsa_next_free_sgpr 1
		.amdhsa_named_barrier_count 0
		.amdhsa_reserve_vcc 0
		.amdhsa_float_round_mode_32 0
		.amdhsa_float_round_mode_16_64 0
		.amdhsa_float_denorm_mode_32 3
		.amdhsa_float_denorm_mode_16_64 3
		.amdhsa_fp16_overflow 0
		.amdhsa_memory_ordered 1
		.amdhsa_forward_progress 1
		.amdhsa_inst_pref_size 0
		.amdhsa_round_robin_scheduling 0
		.amdhsa_exception_fp_ieee_invalid_op 0
		.amdhsa_exception_fp_denorm_src 0
		.amdhsa_exception_fp_ieee_div_zero 0
		.amdhsa_exception_fp_ieee_overflow 0
		.amdhsa_exception_fp_ieee_underflow 0
		.amdhsa_exception_fp_ieee_inexact 0
		.amdhsa_exception_int_div_zero 0
	.end_amdhsa_kernel
	.section	.text._ZN7rocprim17ROCPRIM_400000_NS6detail17trampoline_kernelINS0_14default_configENS1_25partition_config_selectorILNS1_17partition_subalgoE8ElNS0_10empty_typeEbEEZZNS1_14partition_implILS5_8ELb0ES3_jPlPS6_PKS6_NS0_5tupleIJS9_S6_EEENSD_IJSA_SA_EEENS0_18inequality_wrapperIZN2at6native12_GLOBAL__N_124unique_dim_cuda_templateIsEESt5tupleIJNSH_6TensorESM_SM_EERKSM_lbbbEUlllE0_EEPmJS6_EEE10hipError_tPvRmT3_T4_T5_T6_T7_T9_mT8_P12ihipStream_tbDpT10_ENKUlT_T0_E_clISt17integral_constantIbLb1EES1C_EEDaS17_S18_EUlS17_E_NS1_11comp_targetILNS1_3genE9ELNS1_11target_archE1100ELNS1_3gpuE3ELNS1_3repE0EEENS1_30default_config_static_selectorELNS0_4arch9wavefront6targetE0EEEvT1_,"axG",@progbits,_ZN7rocprim17ROCPRIM_400000_NS6detail17trampoline_kernelINS0_14default_configENS1_25partition_config_selectorILNS1_17partition_subalgoE8ElNS0_10empty_typeEbEEZZNS1_14partition_implILS5_8ELb0ES3_jPlPS6_PKS6_NS0_5tupleIJS9_S6_EEENSD_IJSA_SA_EEENS0_18inequality_wrapperIZN2at6native12_GLOBAL__N_124unique_dim_cuda_templateIsEESt5tupleIJNSH_6TensorESM_SM_EERKSM_lbbbEUlllE0_EEPmJS6_EEE10hipError_tPvRmT3_T4_T5_T6_T7_T9_mT8_P12ihipStream_tbDpT10_ENKUlT_T0_E_clISt17integral_constantIbLb1EES1C_EEDaS17_S18_EUlS17_E_NS1_11comp_targetILNS1_3genE9ELNS1_11target_archE1100ELNS1_3gpuE3ELNS1_3repE0EEENS1_30default_config_static_selectorELNS0_4arch9wavefront6targetE0EEEvT1_,comdat
.Lfunc_end699:
	.size	_ZN7rocprim17ROCPRIM_400000_NS6detail17trampoline_kernelINS0_14default_configENS1_25partition_config_selectorILNS1_17partition_subalgoE8ElNS0_10empty_typeEbEEZZNS1_14partition_implILS5_8ELb0ES3_jPlPS6_PKS6_NS0_5tupleIJS9_S6_EEENSD_IJSA_SA_EEENS0_18inequality_wrapperIZN2at6native12_GLOBAL__N_124unique_dim_cuda_templateIsEESt5tupleIJNSH_6TensorESM_SM_EERKSM_lbbbEUlllE0_EEPmJS6_EEE10hipError_tPvRmT3_T4_T5_T6_T7_T9_mT8_P12ihipStream_tbDpT10_ENKUlT_T0_E_clISt17integral_constantIbLb1EES1C_EEDaS17_S18_EUlS17_E_NS1_11comp_targetILNS1_3genE9ELNS1_11target_archE1100ELNS1_3gpuE3ELNS1_3repE0EEENS1_30default_config_static_selectorELNS0_4arch9wavefront6targetE0EEEvT1_, .Lfunc_end699-_ZN7rocprim17ROCPRIM_400000_NS6detail17trampoline_kernelINS0_14default_configENS1_25partition_config_selectorILNS1_17partition_subalgoE8ElNS0_10empty_typeEbEEZZNS1_14partition_implILS5_8ELb0ES3_jPlPS6_PKS6_NS0_5tupleIJS9_S6_EEENSD_IJSA_SA_EEENS0_18inequality_wrapperIZN2at6native12_GLOBAL__N_124unique_dim_cuda_templateIsEESt5tupleIJNSH_6TensorESM_SM_EERKSM_lbbbEUlllE0_EEPmJS6_EEE10hipError_tPvRmT3_T4_T5_T6_T7_T9_mT8_P12ihipStream_tbDpT10_ENKUlT_T0_E_clISt17integral_constantIbLb1EES1C_EEDaS17_S18_EUlS17_E_NS1_11comp_targetILNS1_3genE9ELNS1_11target_archE1100ELNS1_3gpuE3ELNS1_3repE0EEENS1_30default_config_static_selectorELNS0_4arch9wavefront6targetE0EEEvT1_
                                        ; -- End function
	.set _ZN7rocprim17ROCPRIM_400000_NS6detail17trampoline_kernelINS0_14default_configENS1_25partition_config_selectorILNS1_17partition_subalgoE8ElNS0_10empty_typeEbEEZZNS1_14partition_implILS5_8ELb0ES3_jPlPS6_PKS6_NS0_5tupleIJS9_S6_EEENSD_IJSA_SA_EEENS0_18inequality_wrapperIZN2at6native12_GLOBAL__N_124unique_dim_cuda_templateIsEESt5tupleIJNSH_6TensorESM_SM_EERKSM_lbbbEUlllE0_EEPmJS6_EEE10hipError_tPvRmT3_T4_T5_T6_T7_T9_mT8_P12ihipStream_tbDpT10_ENKUlT_T0_E_clISt17integral_constantIbLb1EES1C_EEDaS17_S18_EUlS17_E_NS1_11comp_targetILNS1_3genE9ELNS1_11target_archE1100ELNS1_3gpuE3ELNS1_3repE0EEENS1_30default_config_static_selectorELNS0_4arch9wavefront6targetE0EEEvT1_.num_vgpr, 0
	.set _ZN7rocprim17ROCPRIM_400000_NS6detail17trampoline_kernelINS0_14default_configENS1_25partition_config_selectorILNS1_17partition_subalgoE8ElNS0_10empty_typeEbEEZZNS1_14partition_implILS5_8ELb0ES3_jPlPS6_PKS6_NS0_5tupleIJS9_S6_EEENSD_IJSA_SA_EEENS0_18inequality_wrapperIZN2at6native12_GLOBAL__N_124unique_dim_cuda_templateIsEESt5tupleIJNSH_6TensorESM_SM_EERKSM_lbbbEUlllE0_EEPmJS6_EEE10hipError_tPvRmT3_T4_T5_T6_T7_T9_mT8_P12ihipStream_tbDpT10_ENKUlT_T0_E_clISt17integral_constantIbLb1EES1C_EEDaS17_S18_EUlS17_E_NS1_11comp_targetILNS1_3genE9ELNS1_11target_archE1100ELNS1_3gpuE3ELNS1_3repE0EEENS1_30default_config_static_selectorELNS0_4arch9wavefront6targetE0EEEvT1_.num_agpr, 0
	.set _ZN7rocprim17ROCPRIM_400000_NS6detail17trampoline_kernelINS0_14default_configENS1_25partition_config_selectorILNS1_17partition_subalgoE8ElNS0_10empty_typeEbEEZZNS1_14partition_implILS5_8ELb0ES3_jPlPS6_PKS6_NS0_5tupleIJS9_S6_EEENSD_IJSA_SA_EEENS0_18inequality_wrapperIZN2at6native12_GLOBAL__N_124unique_dim_cuda_templateIsEESt5tupleIJNSH_6TensorESM_SM_EERKSM_lbbbEUlllE0_EEPmJS6_EEE10hipError_tPvRmT3_T4_T5_T6_T7_T9_mT8_P12ihipStream_tbDpT10_ENKUlT_T0_E_clISt17integral_constantIbLb1EES1C_EEDaS17_S18_EUlS17_E_NS1_11comp_targetILNS1_3genE9ELNS1_11target_archE1100ELNS1_3gpuE3ELNS1_3repE0EEENS1_30default_config_static_selectorELNS0_4arch9wavefront6targetE0EEEvT1_.numbered_sgpr, 0
	.set _ZN7rocprim17ROCPRIM_400000_NS6detail17trampoline_kernelINS0_14default_configENS1_25partition_config_selectorILNS1_17partition_subalgoE8ElNS0_10empty_typeEbEEZZNS1_14partition_implILS5_8ELb0ES3_jPlPS6_PKS6_NS0_5tupleIJS9_S6_EEENSD_IJSA_SA_EEENS0_18inequality_wrapperIZN2at6native12_GLOBAL__N_124unique_dim_cuda_templateIsEESt5tupleIJNSH_6TensorESM_SM_EERKSM_lbbbEUlllE0_EEPmJS6_EEE10hipError_tPvRmT3_T4_T5_T6_T7_T9_mT8_P12ihipStream_tbDpT10_ENKUlT_T0_E_clISt17integral_constantIbLb1EES1C_EEDaS17_S18_EUlS17_E_NS1_11comp_targetILNS1_3genE9ELNS1_11target_archE1100ELNS1_3gpuE3ELNS1_3repE0EEENS1_30default_config_static_selectorELNS0_4arch9wavefront6targetE0EEEvT1_.num_named_barrier, 0
	.set _ZN7rocprim17ROCPRIM_400000_NS6detail17trampoline_kernelINS0_14default_configENS1_25partition_config_selectorILNS1_17partition_subalgoE8ElNS0_10empty_typeEbEEZZNS1_14partition_implILS5_8ELb0ES3_jPlPS6_PKS6_NS0_5tupleIJS9_S6_EEENSD_IJSA_SA_EEENS0_18inequality_wrapperIZN2at6native12_GLOBAL__N_124unique_dim_cuda_templateIsEESt5tupleIJNSH_6TensorESM_SM_EERKSM_lbbbEUlllE0_EEPmJS6_EEE10hipError_tPvRmT3_T4_T5_T6_T7_T9_mT8_P12ihipStream_tbDpT10_ENKUlT_T0_E_clISt17integral_constantIbLb1EES1C_EEDaS17_S18_EUlS17_E_NS1_11comp_targetILNS1_3genE9ELNS1_11target_archE1100ELNS1_3gpuE3ELNS1_3repE0EEENS1_30default_config_static_selectorELNS0_4arch9wavefront6targetE0EEEvT1_.private_seg_size, 0
	.set _ZN7rocprim17ROCPRIM_400000_NS6detail17trampoline_kernelINS0_14default_configENS1_25partition_config_selectorILNS1_17partition_subalgoE8ElNS0_10empty_typeEbEEZZNS1_14partition_implILS5_8ELb0ES3_jPlPS6_PKS6_NS0_5tupleIJS9_S6_EEENSD_IJSA_SA_EEENS0_18inequality_wrapperIZN2at6native12_GLOBAL__N_124unique_dim_cuda_templateIsEESt5tupleIJNSH_6TensorESM_SM_EERKSM_lbbbEUlllE0_EEPmJS6_EEE10hipError_tPvRmT3_T4_T5_T6_T7_T9_mT8_P12ihipStream_tbDpT10_ENKUlT_T0_E_clISt17integral_constantIbLb1EES1C_EEDaS17_S18_EUlS17_E_NS1_11comp_targetILNS1_3genE9ELNS1_11target_archE1100ELNS1_3gpuE3ELNS1_3repE0EEENS1_30default_config_static_selectorELNS0_4arch9wavefront6targetE0EEEvT1_.uses_vcc, 0
	.set _ZN7rocprim17ROCPRIM_400000_NS6detail17trampoline_kernelINS0_14default_configENS1_25partition_config_selectorILNS1_17partition_subalgoE8ElNS0_10empty_typeEbEEZZNS1_14partition_implILS5_8ELb0ES3_jPlPS6_PKS6_NS0_5tupleIJS9_S6_EEENSD_IJSA_SA_EEENS0_18inequality_wrapperIZN2at6native12_GLOBAL__N_124unique_dim_cuda_templateIsEESt5tupleIJNSH_6TensorESM_SM_EERKSM_lbbbEUlllE0_EEPmJS6_EEE10hipError_tPvRmT3_T4_T5_T6_T7_T9_mT8_P12ihipStream_tbDpT10_ENKUlT_T0_E_clISt17integral_constantIbLb1EES1C_EEDaS17_S18_EUlS17_E_NS1_11comp_targetILNS1_3genE9ELNS1_11target_archE1100ELNS1_3gpuE3ELNS1_3repE0EEENS1_30default_config_static_selectorELNS0_4arch9wavefront6targetE0EEEvT1_.uses_flat_scratch, 0
	.set _ZN7rocprim17ROCPRIM_400000_NS6detail17trampoline_kernelINS0_14default_configENS1_25partition_config_selectorILNS1_17partition_subalgoE8ElNS0_10empty_typeEbEEZZNS1_14partition_implILS5_8ELb0ES3_jPlPS6_PKS6_NS0_5tupleIJS9_S6_EEENSD_IJSA_SA_EEENS0_18inequality_wrapperIZN2at6native12_GLOBAL__N_124unique_dim_cuda_templateIsEESt5tupleIJNSH_6TensorESM_SM_EERKSM_lbbbEUlllE0_EEPmJS6_EEE10hipError_tPvRmT3_T4_T5_T6_T7_T9_mT8_P12ihipStream_tbDpT10_ENKUlT_T0_E_clISt17integral_constantIbLb1EES1C_EEDaS17_S18_EUlS17_E_NS1_11comp_targetILNS1_3genE9ELNS1_11target_archE1100ELNS1_3gpuE3ELNS1_3repE0EEENS1_30default_config_static_selectorELNS0_4arch9wavefront6targetE0EEEvT1_.has_dyn_sized_stack, 0
	.set _ZN7rocprim17ROCPRIM_400000_NS6detail17trampoline_kernelINS0_14default_configENS1_25partition_config_selectorILNS1_17partition_subalgoE8ElNS0_10empty_typeEbEEZZNS1_14partition_implILS5_8ELb0ES3_jPlPS6_PKS6_NS0_5tupleIJS9_S6_EEENSD_IJSA_SA_EEENS0_18inequality_wrapperIZN2at6native12_GLOBAL__N_124unique_dim_cuda_templateIsEESt5tupleIJNSH_6TensorESM_SM_EERKSM_lbbbEUlllE0_EEPmJS6_EEE10hipError_tPvRmT3_T4_T5_T6_T7_T9_mT8_P12ihipStream_tbDpT10_ENKUlT_T0_E_clISt17integral_constantIbLb1EES1C_EEDaS17_S18_EUlS17_E_NS1_11comp_targetILNS1_3genE9ELNS1_11target_archE1100ELNS1_3gpuE3ELNS1_3repE0EEENS1_30default_config_static_selectorELNS0_4arch9wavefront6targetE0EEEvT1_.has_recursion, 0
	.set _ZN7rocprim17ROCPRIM_400000_NS6detail17trampoline_kernelINS0_14default_configENS1_25partition_config_selectorILNS1_17partition_subalgoE8ElNS0_10empty_typeEbEEZZNS1_14partition_implILS5_8ELb0ES3_jPlPS6_PKS6_NS0_5tupleIJS9_S6_EEENSD_IJSA_SA_EEENS0_18inequality_wrapperIZN2at6native12_GLOBAL__N_124unique_dim_cuda_templateIsEESt5tupleIJNSH_6TensorESM_SM_EERKSM_lbbbEUlllE0_EEPmJS6_EEE10hipError_tPvRmT3_T4_T5_T6_T7_T9_mT8_P12ihipStream_tbDpT10_ENKUlT_T0_E_clISt17integral_constantIbLb1EES1C_EEDaS17_S18_EUlS17_E_NS1_11comp_targetILNS1_3genE9ELNS1_11target_archE1100ELNS1_3gpuE3ELNS1_3repE0EEENS1_30default_config_static_selectorELNS0_4arch9wavefront6targetE0EEEvT1_.has_indirect_call, 0
	.section	.AMDGPU.csdata,"",@progbits
; Kernel info:
; codeLenInByte = 0
; TotalNumSgprs: 0
; NumVgprs: 0
; ScratchSize: 0
; MemoryBound: 0
; FloatMode: 240
; IeeeMode: 1
; LDSByteSize: 0 bytes/workgroup (compile time only)
; SGPRBlocks: 0
; VGPRBlocks: 0
; NumSGPRsForWavesPerEU: 1
; NumVGPRsForWavesPerEU: 1
; NamedBarCnt: 0
; Occupancy: 16
; WaveLimiterHint : 0
; COMPUTE_PGM_RSRC2:SCRATCH_EN: 0
; COMPUTE_PGM_RSRC2:USER_SGPR: 2
; COMPUTE_PGM_RSRC2:TRAP_HANDLER: 0
; COMPUTE_PGM_RSRC2:TGID_X_EN: 1
; COMPUTE_PGM_RSRC2:TGID_Y_EN: 0
; COMPUTE_PGM_RSRC2:TGID_Z_EN: 0
; COMPUTE_PGM_RSRC2:TIDIG_COMP_CNT: 0
	.section	.text._ZN7rocprim17ROCPRIM_400000_NS6detail17trampoline_kernelINS0_14default_configENS1_25partition_config_selectorILNS1_17partition_subalgoE8ElNS0_10empty_typeEbEEZZNS1_14partition_implILS5_8ELb0ES3_jPlPS6_PKS6_NS0_5tupleIJS9_S6_EEENSD_IJSA_SA_EEENS0_18inequality_wrapperIZN2at6native12_GLOBAL__N_124unique_dim_cuda_templateIsEESt5tupleIJNSH_6TensorESM_SM_EERKSM_lbbbEUlllE0_EEPmJS6_EEE10hipError_tPvRmT3_T4_T5_T6_T7_T9_mT8_P12ihipStream_tbDpT10_ENKUlT_T0_E_clISt17integral_constantIbLb1EES1C_EEDaS17_S18_EUlS17_E_NS1_11comp_targetILNS1_3genE8ELNS1_11target_archE1030ELNS1_3gpuE2ELNS1_3repE0EEENS1_30default_config_static_selectorELNS0_4arch9wavefront6targetE0EEEvT1_,"axG",@progbits,_ZN7rocprim17ROCPRIM_400000_NS6detail17trampoline_kernelINS0_14default_configENS1_25partition_config_selectorILNS1_17partition_subalgoE8ElNS0_10empty_typeEbEEZZNS1_14partition_implILS5_8ELb0ES3_jPlPS6_PKS6_NS0_5tupleIJS9_S6_EEENSD_IJSA_SA_EEENS0_18inequality_wrapperIZN2at6native12_GLOBAL__N_124unique_dim_cuda_templateIsEESt5tupleIJNSH_6TensorESM_SM_EERKSM_lbbbEUlllE0_EEPmJS6_EEE10hipError_tPvRmT3_T4_T5_T6_T7_T9_mT8_P12ihipStream_tbDpT10_ENKUlT_T0_E_clISt17integral_constantIbLb1EES1C_EEDaS17_S18_EUlS17_E_NS1_11comp_targetILNS1_3genE8ELNS1_11target_archE1030ELNS1_3gpuE2ELNS1_3repE0EEENS1_30default_config_static_selectorELNS0_4arch9wavefront6targetE0EEEvT1_,comdat
	.globl	_ZN7rocprim17ROCPRIM_400000_NS6detail17trampoline_kernelINS0_14default_configENS1_25partition_config_selectorILNS1_17partition_subalgoE8ElNS0_10empty_typeEbEEZZNS1_14partition_implILS5_8ELb0ES3_jPlPS6_PKS6_NS0_5tupleIJS9_S6_EEENSD_IJSA_SA_EEENS0_18inequality_wrapperIZN2at6native12_GLOBAL__N_124unique_dim_cuda_templateIsEESt5tupleIJNSH_6TensorESM_SM_EERKSM_lbbbEUlllE0_EEPmJS6_EEE10hipError_tPvRmT3_T4_T5_T6_T7_T9_mT8_P12ihipStream_tbDpT10_ENKUlT_T0_E_clISt17integral_constantIbLb1EES1C_EEDaS17_S18_EUlS17_E_NS1_11comp_targetILNS1_3genE8ELNS1_11target_archE1030ELNS1_3gpuE2ELNS1_3repE0EEENS1_30default_config_static_selectorELNS0_4arch9wavefront6targetE0EEEvT1_ ; -- Begin function _ZN7rocprim17ROCPRIM_400000_NS6detail17trampoline_kernelINS0_14default_configENS1_25partition_config_selectorILNS1_17partition_subalgoE8ElNS0_10empty_typeEbEEZZNS1_14partition_implILS5_8ELb0ES3_jPlPS6_PKS6_NS0_5tupleIJS9_S6_EEENSD_IJSA_SA_EEENS0_18inequality_wrapperIZN2at6native12_GLOBAL__N_124unique_dim_cuda_templateIsEESt5tupleIJNSH_6TensorESM_SM_EERKSM_lbbbEUlllE0_EEPmJS6_EEE10hipError_tPvRmT3_T4_T5_T6_T7_T9_mT8_P12ihipStream_tbDpT10_ENKUlT_T0_E_clISt17integral_constantIbLb1EES1C_EEDaS17_S18_EUlS17_E_NS1_11comp_targetILNS1_3genE8ELNS1_11target_archE1030ELNS1_3gpuE2ELNS1_3repE0EEENS1_30default_config_static_selectorELNS0_4arch9wavefront6targetE0EEEvT1_
	.p2align	8
	.type	_ZN7rocprim17ROCPRIM_400000_NS6detail17trampoline_kernelINS0_14default_configENS1_25partition_config_selectorILNS1_17partition_subalgoE8ElNS0_10empty_typeEbEEZZNS1_14partition_implILS5_8ELb0ES3_jPlPS6_PKS6_NS0_5tupleIJS9_S6_EEENSD_IJSA_SA_EEENS0_18inequality_wrapperIZN2at6native12_GLOBAL__N_124unique_dim_cuda_templateIsEESt5tupleIJNSH_6TensorESM_SM_EERKSM_lbbbEUlllE0_EEPmJS6_EEE10hipError_tPvRmT3_T4_T5_T6_T7_T9_mT8_P12ihipStream_tbDpT10_ENKUlT_T0_E_clISt17integral_constantIbLb1EES1C_EEDaS17_S18_EUlS17_E_NS1_11comp_targetILNS1_3genE8ELNS1_11target_archE1030ELNS1_3gpuE2ELNS1_3repE0EEENS1_30default_config_static_selectorELNS0_4arch9wavefront6targetE0EEEvT1_,@function
_ZN7rocprim17ROCPRIM_400000_NS6detail17trampoline_kernelINS0_14default_configENS1_25partition_config_selectorILNS1_17partition_subalgoE8ElNS0_10empty_typeEbEEZZNS1_14partition_implILS5_8ELb0ES3_jPlPS6_PKS6_NS0_5tupleIJS9_S6_EEENSD_IJSA_SA_EEENS0_18inequality_wrapperIZN2at6native12_GLOBAL__N_124unique_dim_cuda_templateIsEESt5tupleIJNSH_6TensorESM_SM_EERKSM_lbbbEUlllE0_EEPmJS6_EEE10hipError_tPvRmT3_T4_T5_T6_T7_T9_mT8_P12ihipStream_tbDpT10_ENKUlT_T0_E_clISt17integral_constantIbLb1EES1C_EEDaS17_S18_EUlS17_E_NS1_11comp_targetILNS1_3genE8ELNS1_11target_archE1030ELNS1_3gpuE2ELNS1_3repE0EEENS1_30default_config_static_selectorELNS0_4arch9wavefront6targetE0EEEvT1_: ; @_ZN7rocprim17ROCPRIM_400000_NS6detail17trampoline_kernelINS0_14default_configENS1_25partition_config_selectorILNS1_17partition_subalgoE8ElNS0_10empty_typeEbEEZZNS1_14partition_implILS5_8ELb0ES3_jPlPS6_PKS6_NS0_5tupleIJS9_S6_EEENSD_IJSA_SA_EEENS0_18inequality_wrapperIZN2at6native12_GLOBAL__N_124unique_dim_cuda_templateIsEESt5tupleIJNSH_6TensorESM_SM_EERKSM_lbbbEUlllE0_EEPmJS6_EEE10hipError_tPvRmT3_T4_T5_T6_T7_T9_mT8_P12ihipStream_tbDpT10_ENKUlT_T0_E_clISt17integral_constantIbLb1EES1C_EEDaS17_S18_EUlS17_E_NS1_11comp_targetILNS1_3genE8ELNS1_11target_archE1030ELNS1_3gpuE2ELNS1_3repE0EEENS1_30default_config_static_selectorELNS0_4arch9wavefront6targetE0EEEvT1_
; %bb.0:
	.section	.rodata,"a",@progbits
	.p2align	6, 0x0
	.amdhsa_kernel _ZN7rocprim17ROCPRIM_400000_NS6detail17trampoline_kernelINS0_14default_configENS1_25partition_config_selectorILNS1_17partition_subalgoE8ElNS0_10empty_typeEbEEZZNS1_14partition_implILS5_8ELb0ES3_jPlPS6_PKS6_NS0_5tupleIJS9_S6_EEENSD_IJSA_SA_EEENS0_18inequality_wrapperIZN2at6native12_GLOBAL__N_124unique_dim_cuda_templateIsEESt5tupleIJNSH_6TensorESM_SM_EERKSM_lbbbEUlllE0_EEPmJS6_EEE10hipError_tPvRmT3_T4_T5_T6_T7_T9_mT8_P12ihipStream_tbDpT10_ENKUlT_T0_E_clISt17integral_constantIbLb1EES1C_EEDaS17_S18_EUlS17_E_NS1_11comp_targetILNS1_3genE8ELNS1_11target_archE1030ELNS1_3gpuE2ELNS1_3repE0EEENS1_30default_config_static_selectorELNS0_4arch9wavefront6targetE0EEEvT1_
		.amdhsa_group_segment_fixed_size 0
		.amdhsa_private_segment_fixed_size 0
		.amdhsa_kernarg_size 136
		.amdhsa_user_sgpr_count 2
		.amdhsa_user_sgpr_dispatch_ptr 0
		.amdhsa_user_sgpr_queue_ptr 0
		.amdhsa_user_sgpr_kernarg_segment_ptr 1
		.amdhsa_user_sgpr_dispatch_id 0
		.amdhsa_user_sgpr_kernarg_preload_length 0
		.amdhsa_user_sgpr_kernarg_preload_offset 0
		.amdhsa_user_sgpr_private_segment_size 0
		.amdhsa_wavefront_size32 1
		.amdhsa_uses_dynamic_stack 0
		.amdhsa_enable_private_segment 0
		.amdhsa_system_sgpr_workgroup_id_x 1
		.amdhsa_system_sgpr_workgroup_id_y 0
		.amdhsa_system_sgpr_workgroup_id_z 0
		.amdhsa_system_sgpr_workgroup_info 0
		.amdhsa_system_vgpr_workitem_id 0
		.amdhsa_next_free_vgpr 1
		.amdhsa_next_free_sgpr 1
		.amdhsa_named_barrier_count 0
		.amdhsa_reserve_vcc 0
		.amdhsa_float_round_mode_32 0
		.amdhsa_float_round_mode_16_64 0
		.amdhsa_float_denorm_mode_32 3
		.amdhsa_float_denorm_mode_16_64 3
		.amdhsa_fp16_overflow 0
		.amdhsa_memory_ordered 1
		.amdhsa_forward_progress 1
		.amdhsa_inst_pref_size 0
		.amdhsa_round_robin_scheduling 0
		.amdhsa_exception_fp_ieee_invalid_op 0
		.amdhsa_exception_fp_denorm_src 0
		.amdhsa_exception_fp_ieee_div_zero 0
		.amdhsa_exception_fp_ieee_overflow 0
		.amdhsa_exception_fp_ieee_underflow 0
		.amdhsa_exception_fp_ieee_inexact 0
		.amdhsa_exception_int_div_zero 0
	.end_amdhsa_kernel
	.section	.text._ZN7rocprim17ROCPRIM_400000_NS6detail17trampoline_kernelINS0_14default_configENS1_25partition_config_selectorILNS1_17partition_subalgoE8ElNS0_10empty_typeEbEEZZNS1_14partition_implILS5_8ELb0ES3_jPlPS6_PKS6_NS0_5tupleIJS9_S6_EEENSD_IJSA_SA_EEENS0_18inequality_wrapperIZN2at6native12_GLOBAL__N_124unique_dim_cuda_templateIsEESt5tupleIJNSH_6TensorESM_SM_EERKSM_lbbbEUlllE0_EEPmJS6_EEE10hipError_tPvRmT3_T4_T5_T6_T7_T9_mT8_P12ihipStream_tbDpT10_ENKUlT_T0_E_clISt17integral_constantIbLb1EES1C_EEDaS17_S18_EUlS17_E_NS1_11comp_targetILNS1_3genE8ELNS1_11target_archE1030ELNS1_3gpuE2ELNS1_3repE0EEENS1_30default_config_static_selectorELNS0_4arch9wavefront6targetE0EEEvT1_,"axG",@progbits,_ZN7rocprim17ROCPRIM_400000_NS6detail17trampoline_kernelINS0_14default_configENS1_25partition_config_selectorILNS1_17partition_subalgoE8ElNS0_10empty_typeEbEEZZNS1_14partition_implILS5_8ELb0ES3_jPlPS6_PKS6_NS0_5tupleIJS9_S6_EEENSD_IJSA_SA_EEENS0_18inequality_wrapperIZN2at6native12_GLOBAL__N_124unique_dim_cuda_templateIsEESt5tupleIJNSH_6TensorESM_SM_EERKSM_lbbbEUlllE0_EEPmJS6_EEE10hipError_tPvRmT3_T4_T5_T6_T7_T9_mT8_P12ihipStream_tbDpT10_ENKUlT_T0_E_clISt17integral_constantIbLb1EES1C_EEDaS17_S18_EUlS17_E_NS1_11comp_targetILNS1_3genE8ELNS1_11target_archE1030ELNS1_3gpuE2ELNS1_3repE0EEENS1_30default_config_static_selectorELNS0_4arch9wavefront6targetE0EEEvT1_,comdat
.Lfunc_end700:
	.size	_ZN7rocprim17ROCPRIM_400000_NS6detail17trampoline_kernelINS0_14default_configENS1_25partition_config_selectorILNS1_17partition_subalgoE8ElNS0_10empty_typeEbEEZZNS1_14partition_implILS5_8ELb0ES3_jPlPS6_PKS6_NS0_5tupleIJS9_S6_EEENSD_IJSA_SA_EEENS0_18inequality_wrapperIZN2at6native12_GLOBAL__N_124unique_dim_cuda_templateIsEESt5tupleIJNSH_6TensorESM_SM_EERKSM_lbbbEUlllE0_EEPmJS6_EEE10hipError_tPvRmT3_T4_T5_T6_T7_T9_mT8_P12ihipStream_tbDpT10_ENKUlT_T0_E_clISt17integral_constantIbLb1EES1C_EEDaS17_S18_EUlS17_E_NS1_11comp_targetILNS1_3genE8ELNS1_11target_archE1030ELNS1_3gpuE2ELNS1_3repE0EEENS1_30default_config_static_selectorELNS0_4arch9wavefront6targetE0EEEvT1_, .Lfunc_end700-_ZN7rocprim17ROCPRIM_400000_NS6detail17trampoline_kernelINS0_14default_configENS1_25partition_config_selectorILNS1_17partition_subalgoE8ElNS0_10empty_typeEbEEZZNS1_14partition_implILS5_8ELb0ES3_jPlPS6_PKS6_NS0_5tupleIJS9_S6_EEENSD_IJSA_SA_EEENS0_18inequality_wrapperIZN2at6native12_GLOBAL__N_124unique_dim_cuda_templateIsEESt5tupleIJNSH_6TensorESM_SM_EERKSM_lbbbEUlllE0_EEPmJS6_EEE10hipError_tPvRmT3_T4_T5_T6_T7_T9_mT8_P12ihipStream_tbDpT10_ENKUlT_T0_E_clISt17integral_constantIbLb1EES1C_EEDaS17_S18_EUlS17_E_NS1_11comp_targetILNS1_3genE8ELNS1_11target_archE1030ELNS1_3gpuE2ELNS1_3repE0EEENS1_30default_config_static_selectorELNS0_4arch9wavefront6targetE0EEEvT1_
                                        ; -- End function
	.set _ZN7rocprim17ROCPRIM_400000_NS6detail17trampoline_kernelINS0_14default_configENS1_25partition_config_selectorILNS1_17partition_subalgoE8ElNS0_10empty_typeEbEEZZNS1_14partition_implILS5_8ELb0ES3_jPlPS6_PKS6_NS0_5tupleIJS9_S6_EEENSD_IJSA_SA_EEENS0_18inequality_wrapperIZN2at6native12_GLOBAL__N_124unique_dim_cuda_templateIsEESt5tupleIJNSH_6TensorESM_SM_EERKSM_lbbbEUlllE0_EEPmJS6_EEE10hipError_tPvRmT3_T4_T5_T6_T7_T9_mT8_P12ihipStream_tbDpT10_ENKUlT_T0_E_clISt17integral_constantIbLb1EES1C_EEDaS17_S18_EUlS17_E_NS1_11comp_targetILNS1_3genE8ELNS1_11target_archE1030ELNS1_3gpuE2ELNS1_3repE0EEENS1_30default_config_static_selectorELNS0_4arch9wavefront6targetE0EEEvT1_.num_vgpr, 0
	.set _ZN7rocprim17ROCPRIM_400000_NS6detail17trampoline_kernelINS0_14default_configENS1_25partition_config_selectorILNS1_17partition_subalgoE8ElNS0_10empty_typeEbEEZZNS1_14partition_implILS5_8ELb0ES3_jPlPS6_PKS6_NS0_5tupleIJS9_S6_EEENSD_IJSA_SA_EEENS0_18inequality_wrapperIZN2at6native12_GLOBAL__N_124unique_dim_cuda_templateIsEESt5tupleIJNSH_6TensorESM_SM_EERKSM_lbbbEUlllE0_EEPmJS6_EEE10hipError_tPvRmT3_T4_T5_T6_T7_T9_mT8_P12ihipStream_tbDpT10_ENKUlT_T0_E_clISt17integral_constantIbLb1EES1C_EEDaS17_S18_EUlS17_E_NS1_11comp_targetILNS1_3genE8ELNS1_11target_archE1030ELNS1_3gpuE2ELNS1_3repE0EEENS1_30default_config_static_selectorELNS0_4arch9wavefront6targetE0EEEvT1_.num_agpr, 0
	.set _ZN7rocprim17ROCPRIM_400000_NS6detail17trampoline_kernelINS0_14default_configENS1_25partition_config_selectorILNS1_17partition_subalgoE8ElNS0_10empty_typeEbEEZZNS1_14partition_implILS5_8ELb0ES3_jPlPS6_PKS6_NS0_5tupleIJS9_S6_EEENSD_IJSA_SA_EEENS0_18inequality_wrapperIZN2at6native12_GLOBAL__N_124unique_dim_cuda_templateIsEESt5tupleIJNSH_6TensorESM_SM_EERKSM_lbbbEUlllE0_EEPmJS6_EEE10hipError_tPvRmT3_T4_T5_T6_T7_T9_mT8_P12ihipStream_tbDpT10_ENKUlT_T0_E_clISt17integral_constantIbLb1EES1C_EEDaS17_S18_EUlS17_E_NS1_11comp_targetILNS1_3genE8ELNS1_11target_archE1030ELNS1_3gpuE2ELNS1_3repE0EEENS1_30default_config_static_selectorELNS0_4arch9wavefront6targetE0EEEvT1_.numbered_sgpr, 0
	.set _ZN7rocprim17ROCPRIM_400000_NS6detail17trampoline_kernelINS0_14default_configENS1_25partition_config_selectorILNS1_17partition_subalgoE8ElNS0_10empty_typeEbEEZZNS1_14partition_implILS5_8ELb0ES3_jPlPS6_PKS6_NS0_5tupleIJS9_S6_EEENSD_IJSA_SA_EEENS0_18inequality_wrapperIZN2at6native12_GLOBAL__N_124unique_dim_cuda_templateIsEESt5tupleIJNSH_6TensorESM_SM_EERKSM_lbbbEUlllE0_EEPmJS6_EEE10hipError_tPvRmT3_T4_T5_T6_T7_T9_mT8_P12ihipStream_tbDpT10_ENKUlT_T0_E_clISt17integral_constantIbLb1EES1C_EEDaS17_S18_EUlS17_E_NS1_11comp_targetILNS1_3genE8ELNS1_11target_archE1030ELNS1_3gpuE2ELNS1_3repE0EEENS1_30default_config_static_selectorELNS0_4arch9wavefront6targetE0EEEvT1_.num_named_barrier, 0
	.set _ZN7rocprim17ROCPRIM_400000_NS6detail17trampoline_kernelINS0_14default_configENS1_25partition_config_selectorILNS1_17partition_subalgoE8ElNS0_10empty_typeEbEEZZNS1_14partition_implILS5_8ELb0ES3_jPlPS6_PKS6_NS0_5tupleIJS9_S6_EEENSD_IJSA_SA_EEENS0_18inequality_wrapperIZN2at6native12_GLOBAL__N_124unique_dim_cuda_templateIsEESt5tupleIJNSH_6TensorESM_SM_EERKSM_lbbbEUlllE0_EEPmJS6_EEE10hipError_tPvRmT3_T4_T5_T6_T7_T9_mT8_P12ihipStream_tbDpT10_ENKUlT_T0_E_clISt17integral_constantIbLb1EES1C_EEDaS17_S18_EUlS17_E_NS1_11comp_targetILNS1_3genE8ELNS1_11target_archE1030ELNS1_3gpuE2ELNS1_3repE0EEENS1_30default_config_static_selectorELNS0_4arch9wavefront6targetE0EEEvT1_.private_seg_size, 0
	.set _ZN7rocprim17ROCPRIM_400000_NS6detail17trampoline_kernelINS0_14default_configENS1_25partition_config_selectorILNS1_17partition_subalgoE8ElNS0_10empty_typeEbEEZZNS1_14partition_implILS5_8ELb0ES3_jPlPS6_PKS6_NS0_5tupleIJS9_S6_EEENSD_IJSA_SA_EEENS0_18inequality_wrapperIZN2at6native12_GLOBAL__N_124unique_dim_cuda_templateIsEESt5tupleIJNSH_6TensorESM_SM_EERKSM_lbbbEUlllE0_EEPmJS6_EEE10hipError_tPvRmT3_T4_T5_T6_T7_T9_mT8_P12ihipStream_tbDpT10_ENKUlT_T0_E_clISt17integral_constantIbLb1EES1C_EEDaS17_S18_EUlS17_E_NS1_11comp_targetILNS1_3genE8ELNS1_11target_archE1030ELNS1_3gpuE2ELNS1_3repE0EEENS1_30default_config_static_selectorELNS0_4arch9wavefront6targetE0EEEvT1_.uses_vcc, 0
	.set _ZN7rocprim17ROCPRIM_400000_NS6detail17trampoline_kernelINS0_14default_configENS1_25partition_config_selectorILNS1_17partition_subalgoE8ElNS0_10empty_typeEbEEZZNS1_14partition_implILS5_8ELb0ES3_jPlPS6_PKS6_NS0_5tupleIJS9_S6_EEENSD_IJSA_SA_EEENS0_18inequality_wrapperIZN2at6native12_GLOBAL__N_124unique_dim_cuda_templateIsEESt5tupleIJNSH_6TensorESM_SM_EERKSM_lbbbEUlllE0_EEPmJS6_EEE10hipError_tPvRmT3_T4_T5_T6_T7_T9_mT8_P12ihipStream_tbDpT10_ENKUlT_T0_E_clISt17integral_constantIbLb1EES1C_EEDaS17_S18_EUlS17_E_NS1_11comp_targetILNS1_3genE8ELNS1_11target_archE1030ELNS1_3gpuE2ELNS1_3repE0EEENS1_30default_config_static_selectorELNS0_4arch9wavefront6targetE0EEEvT1_.uses_flat_scratch, 0
	.set _ZN7rocprim17ROCPRIM_400000_NS6detail17trampoline_kernelINS0_14default_configENS1_25partition_config_selectorILNS1_17partition_subalgoE8ElNS0_10empty_typeEbEEZZNS1_14partition_implILS5_8ELb0ES3_jPlPS6_PKS6_NS0_5tupleIJS9_S6_EEENSD_IJSA_SA_EEENS0_18inequality_wrapperIZN2at6native12_GLOBAL__N_124unique_dim_cuda_templateIsEESt5tupleIJNSH_6TensorESM_SM_EERKSM_lbbbEUlllE0_EEPmJS6_EEE10hipError_tPvRmT3_T4_T5_T6_T7_T9_mT8_P12ihipStream_tbDpT10_ENKUlT_T0_E_clISt17integral_constantIbLb1EES1C_EEDaS17_S18_EUlS17_E_NS1_11comp_targetILNS1_3genE8ELNS1_11target_archE1030ELNS1_3gpuE2ELNS1_3repE0EEENS1_30default_config_static_selectorELNS0_4arch9wavefront6targetE0EEEvT1_.has_dyn_sized_stack, 0
	.set _ZN7rocprim17ROCPRIM_400000_NS6detail17trampoline_kernelINS0_14default_configENS1_25partition_config_selectorILNS1_17partition_subalgoE8ElNS0_10empty_typeEbEEZZNS1_14partition_implILS5_8ELb0ES3_jPlPS6_PKS6_NS0_5tupleIJS9_S6_EEENSD_IJSA_SA_EEENS0_18inequality_wrapperIZN2at6native12_GLOBAL__N_124unique_dim_cuda_templateIsEESt5tupleIJNSH_6TensorESM_SM_EERKSM_lbbbEUlllE0_EEPmJS6_EEE10hipError_tPvRmT3_T4_T5_T6_T7_T9_mT8_P12ihipStream_tbDpT10_ENKUlT_T0_E_clISt17integral_constantIbLb1EES1C_EEDaS17_S18_EUlS17_E_NS1_11comp_targetILNS1_3genE8ELNS1_11target_archE1030ELNS1_3gpuE2ELNS1_3repE0EEENS1_30default_config_static_selectorELNS0_4arch9wavefront6targetE0EEEvT1_.has_recursion, 0
	.set _ZN7rocprim17ROCPRIM_400000_NS6detail17trampoline_kernelINS0_14default_configENS1_25partition_config_selectorILNS1_17partition_subalgoE8ElNS0_10empty_typeEbEEZZNS1_14partition_implILS5_8ELb0ES3_jPlPS6_PKS6_NS0_5tupleIJS9_S6_EEENSD_IJSA_SA_EEENS0_18inequality_wrapperIZN2at6native12_GLOBAL__N_124unique_dim_cuda_templateIsEESt5tupleIJNSH_6TensorESM_SM_EERKSM_lbbbEUlllE0_EEPmJS6_EEE10hipError_tPvRmT3_T4_T5_T6_T7_T9_mT8_P12ihipStream_tbDpT10_ENKUlT_T0_E_clISt17integral_constantIbLb1EES1C_EEDaS17_S18_EUlS17_E_NS1_11comp_targetILNS1_3genE8ELNS1_11target_archE1030ELNS1_3gpuE2ELNS1_3repE0EEENS1_30default_config_static_selectorELNS0_4arch9wavefront6targetE0EEEvT1_.has_indirect_call, 0
	.section	.AMDGPU.csdata,"",@progbits
; Kernel info:
; codeLenInByte = 0
; TotalNumSgprs: 0
; NumVgprs: 0
; ScratchSize: 0
; MemoryBound: 0
; FloatMode: 240
; IeeeMode: 1
; LDSByteSize: 0 bytes/workgroup (compile time only)
; SGPRBlocks: 0
; VGPRBlocks: 0
; NumSGPRsForWavesPerEU: 1
; NumVGPRsForWavesPerEU: 1
; NamedBarCnt: 0
; Occupancy: 16
; WaveLimiterHint : 0
; COMPUTE_PGM_RSRC2:SCRATCH_EN: 0
; COMPUTE_PGM_RSRC2:USER_SGPR: 2
; COMPUTE_PGM_RSRC2:TRAP_HANDLER: 0
; COMPUTE_PGM_RSRC2:TGID_X_EN: 1
; COMPUTE_PGM_RSRC2:TGID_Y_EN: 0
; COMPUTE_PGM_RSRC2:TGID_Z_EN: 0
; COMPUTE_PGM_RSRC2:TIDIG_COMP_CNT: 0
	.section	.text._ZN7rocprim17ROCPRIM_400000_NS6detail17trampoline_kernelINS0_14default_configENS1_25partition_config_selectorILNS1_17partition_subalgoE8ElNS0_10empty_typeEbEEZZNS1_14partition_implILS5_8ELb0ES3_jPlPS6_PKS6_NS0_5tupleIJS9_S6_EEENSD_IJSA_SA_EEENS0_18inequality_wrapperIZN2at6native12_GLOBAL__N_124unique_dim_cuda_templateIsEESt5tupleIJNSH_6TensorESM_SM_EERKSM_lbbbEUlllE0_EEPmJS6_EEE10hipError_tPvRmT3_T4_T5_T6_T7_T9_mT8_P12ihipStream_tbDpT10_ENKUlT_T0_E_clISt17integral_constantIbLb1EES1B_IbLb0EEEEDaS17_S18_EUlS17_E_NS1_11comp_targetILNS1_3genE0ELNS1_11target_archE4294967295ELNS1_3gpuE0ELNS1_3repE0EEENS1_30default_config_static_selectorELNS0_4arch9wavefront6targetE0EEEvT1_,"axG",@progbits,_ZN7rocprim17ROCPRIM_400000_NS6detail17trampoline_kernelINS0_14default_configENS1_25partition_config_selectorILNS1_17partition_subalgoE8ElNS0_10empty_typeEbEEZZNS1_14partition_implILS5_8ELb0ES3_jPlPS6_PKS6_NS0_5tupleIJS9_S6_EEENSD_IJSA_SA_EEENS0_18inequality_wrapperIZN2at6native12_GLOBAL__N_124unique_dim_cuda_templateIsEESt5tupleIJNSH_6TensorESM_SM_EERKSM_lbbbEUlllE0_EEPmJS6_EEE10hipError_tPvRmT3_T4_T5_T6_T7_T9_mT8_P12ihipStream_tbDpT10_ENKUlT_T0_E_clISt17integral_constantIbLb1EES1B_IbLb0EEEEDaS17_S18_EUlS17_E_NS1_11comp_targetILNS1_3genE0ELNS1_11target_archE4294967295ELNS1_3gpuE0ELNS1_3repE0EEENS1_30default_config_static_selectorELNS0_4arch9wavefront6targetE0EEEvT1_,comdat
	.globl	_ZN7rocprim17ROCPRIM_400000_NS6detail17trampoline_kernelINS0_14default_configENS1_25partition_config_selectorILNS1_17partition_subalgoE8ElNS0_10empty_typeEbEEZZNS1_14partition_implILS5_8ELb0ES3_jPlPS6_PKS6_NS0_5tupleIJS9_S6_EEENSD_IJSA_SA_EEENS0_18inequality_wrapperIZN2at6native12_GLOBAL__N_124unique_dim_cuda_templateIsEESt5tupleIJNSH_6TensorESM_SM_EERKSM_lbbbEUlllE0_EEPmJS6_EEE10hipError_tPvRmT3_T4_T5_T6_T7_T9_mT8_P12ihipStream_tbDpT10_ENKUlT_T0_E_clISt17integral_constantIbLb1EES1B_IbLb0EEEEDaS17_S18_EUlS17_E_NS1_11comp_targetILNS1_3genE0ELNS1_11target_archE4294967295ELNS1_3gpuE0ELNS1_3repE0EEENS1_30default_config_static_selectorELNS0_4arch9wavefront6targetE0EEEvT1_ ; -- Begin function _ZN7rocprim17ROCPRIM_400000_NS6detail17trampoline_kernelINS0_14default_configENS1_25partition_config_selectorILNS1_17partition_subalgoE8ElNS0_10empty_typeEbEEZZNS1_14partition_implILS5_8ELb0ES3_jPlPS6_PKS6_NS0_5tupleIJS9_S6_EEENSD_IJSA_SA_EEENS0_18inequality_wrapperIZN2at6native12_GLOBAL__N_124unique_dim_cuda_templateIsEESt5tupleIJNSH_6TensorESM_SM_EERKSM_lbbbEUlllE0_EEPmJS6_EEE10hipError_tPvRmT3_T4_T5_T6_T7_T9_mT8_P12ihipStream_tbDpT10_ENKUlT_T0_E_clISt17integral_constantIbLb1EES1B_IbLb0EEEEDaS17_S18_EUlS17_E_NS1_11comp_targetILNS1_3genE0ELNS1_11target_archE4294967295ELNS1_3gpuE0ELNS1_3repE0EEENS1_30default_config_static_selectorELNS0_4arch9wavefront6targetE0EEEvT1_
	.p2align	8
	.type	_ZN7rocprim17ROCPRIM_400000_NS6detail17trampoline_kernelINS0_14default_configENS1_25partition_config_selectorILNS1_17partition_subalgoE8ElNS0_10empty_typeEbEEZZNS1_14partition_implILS5_8ELb0ES3_jPlPS6_PKS6_NS0_5tupleIJS9_S6_EEENSD_IJSA_SA_EEENS0_18inequality_wrapperIZN2at6native12_GLOBAL__N_124unique_dim_cuda_templateIsEESt5tupleIJNSH_6TensorESM_SM_EERKSM_lbbbEUlllE0_EEPmJS6_EEE10hipError_tPvRmT3_T4_T5_T6_T7_T9_mT8_P12ihipStream_tbDpT10_ENKUlT_T0_E_clISt17integral_constantIbLb1EES1B_IbLb0EEEEDaS17_S18_EUlS17_E_NS1_11comp_targetILNS1_3genE0ELNS1_11target_archE4294967295ELNS1_3gpuE0ELNS1_3repE0EEENS1_30default_config_static_selectorELNS0_4arch9wavefront6targetE0EEEvT1_,@function
_ZN7rocprim17ROCPRIM_400000_NS6detail17trampoline_kernelINS0_14default_configENS1_25partition_config_selectorILNS1_17partition_subalgoE8ElNS0_10empty_typeEbEEZZNS1_14partition_implILS5_8ELb0ES3_jPlPS6_PKS6_NS0_5tupleIJS9_S6_EEENSD_IJSA_SA_EEENS0_18inequality_wrapperIZN2at6native12_GLOBAL__N_124unique_dim_cuda_templateIsEESt5tupleIJNSH_6TensorESM_SM_EERKSM_lbbbEUlllE0_EEPmJS6_EEE10hipError_tPvRmT3_T4_T5_T6_T7_T9_mT8_P12ihipStream_tbDpT10_ENKUlT_T0_E_clISt17integral_constantIbLb1EES1B_IbLb0EEEEDaS17_S18_EUlS17_E_NS1_11comp_targetILNS1_3genE0ELNS1_11target_archE4294967295ELNS1_3gpuE0ELNS1_3repE0EEENS1_30default_config_static_selectorELNS0_4arch9wavefront6targetE0EEEvT1_: ; @_ZN7rocprim17ROCPRIM_400000_NS6detail17trampoline_kernelINS0_14default_configENS1_25partition_config_selectorILNS1_17partition_subalgoE8ElNS0_10empty_typeEbEEZZNS1_14partition_implILS5_8ELb0ES3_jPlPS6_PKS6_NS0_5tupleIJS9_S6_EEENSD_IJSA_SA_EEENS0_18inequality_wrapperIZN2at6native12_GLOBAL__N_124unique_dim_cuda_templateIsEESt5tupleIJNSH_6TensorESM_SM_EERKSM_lbbbEUlllE0_EEPmJS6_EEE10hipError_tPvRmT3_T4_T5_T6_T7_T9_mT8_P12ihipStream_tbDpT10_ENKUlT_T0_E_clISt17integral_constantIbLb1EES1B_IbLb0EEEEDaS17_S18_EUlS17_E_NS1_11comp_targetILNS1_3genE0ELNS1_11target_archE4294967295ELNS1_3gpuE0ELNS1_3repE0EEENS1_30default_config_static_selectorELNS0_4arch9wavefront6targetE0EEEvT1_
; %bb.0:
	s_endpgm
	.section	.rodata,"a",@progbits
	.p2align	6, 0x0
	.amdhsa_kernel _ZN7rocprim17ROCPRIM_400000_NS6detail17trampoline_kernelINS0_14default_configENS1_25partition_config_selectorILNS1_17partition_subalgoE8ElNS0_10empty_typeEbEEZZNS1_14partition_implILS5_8ELb0ES3_jPlPS6_PKS6_NS0_5tupleIJS9_S6_EEENSD_IJSA_SA_EEENS0_18inequality_wrapperIZN2at6native12_GLOBAL__N_124unique_dim_cuda_templateIsEESt5tupleIJNSH_6TensorESM_SM_EERKSM_lbbbEUlllE0_EEPmJS6_EEE10hipError_tPvRmT3_T4_T5_T6_T7_T9_mT8_P12ihipStream_tbDpT10_ENKUlT_T0_E_clISt17integral_constantIbLb1EES1B_IbLb0EEEEDaS17_S18_EUlS17_E_NS1_11comp_targetILNS1_3genE0ELNS1_11target_archE4294967295ELNS1_3gpuE0ELNS1_3repE0EEENS1_30default_config_static_selectorELNS0_4arch9wavefront6targetE0EEEvT1_
		.amdhsa_group_segment_fixed_size 0
		.amdhsa_private_segment_fixed_size 0
		.amdhsa_kernarg_size 120
		.amdhsa_user_sgpr_count 2
		.amdhsa_user_sgpr_dispatch_ptr 0
		.amdhsa_user_sgpr_queue_ptr 0
		.amdhsa_user_sgpr_kernarg_segment_ptr 1
		.amdhsa_user_sgpr_dispatch_id 0
		.amdhsa_user_sgpr_kernarg_preload_length 0
		.amdhsa_user_sgpr_kernarg_preload_offset 0
		.amdhsa_user_sgpr_private_segment_size 0
		.amdhsa_wavefront_size32 1
		.amdhsa_uses_dynamic_stack 0
		.amdhsa_enable_private_segment 0
		.amdhsa_system_sgpr_workgroup_id_x 1
		.amdhsa_system_sgpr_workgroup_id_y 0
		.amdhsa_system_sgpr_workgroup_id_z 0
		.amdhsa_system_sgpr_workgroup_info 0
		.amdhsa_system_vgpr_workitem_id 0
		.amdhsa_next_free_vgpr 1
		.amdhsa_next_free_sgpr 1
		.amdhsa_named_barrier_count 0
		.amdhsa_reserve_vcc 0
		.amdhsa_float_round_mode_32 0
		.amdhsa_float_round_mode_16_64 0
		.amdhsa_float_denorm_mode_32 3
		.amdhsa_float_denorm_mode_16_64 3
		.amdhsa_fp16_overflow 0
		.amdhsa_memory_ordered 1
		.amdhsa_forward_progress 1
		.amdhsa_inst_pref_size 1
		.amdhsa_round_robin_scheduling 0
		.amdhsa_exception_fp_ieee_invalid_op 0
		.amdhsa_exception_fp_denorm_src 0
		.amdhsa_exception_fp_ieee_div_zero 0
		.amdhsa_exception_fp_ieee_overflow 0
		.amdhsa_exception_fp_ieee_underflow 0
		.amdhsa_exception_fp_ieee_inexact 0
		.amdhsa_exception_int_div_zero 0
	.end_amdhsa_kernel
	.section	.text._ZN7rocprim17ROCPRIM_400000_NS6detail17trampoline_kernelINS0_14default_configENS1_25partition_config_selectorILNS1_17partition_subalgoE8ElNS0_10empty_typeEbEEZZNS1_14partition_implILS5_8ELb0ES3_jPlPS6_PKS6_NS0_5tupleIJS9_S6_EEENSD_IJSA_SA_EEENS0_18inequality_wrapperIZN2at6native12_GLOBAL__N_124unique_dim_cuda_templateIsEESt5tupleIJNSH_6TensorESM_SM_EERKSM_lbbbEUlllE0_EEPmJS6_EEE10hipError_tPvRmT3_T4_T5_T6_T7_T9_mT8_P12ihipStream_tbDpT10_ENKUlT_T0_E_clISt17integral_constantIbLb1EES1B_IbLb0EEEEDaS17_S18_EUlS17_E_NS1_11comp_targetILNS1_3genE0ELNS1_11target_archE4294967295ELNS1_3gpuE0ELNS1_3repE0EEENS1_30default_config_static_selectorELNS0_4arch9wavefront6targetE0EEEvT1_,"axG",@progbits,_ZN7rocprim17ROCPRIM_400000_NS6detail17trampoline_kernelINS0_14default_configENS1_25partition_config_selectorILNS1_17partition_subalgoE8ElNS0_10empty_typeEbEEZZNS1_14partition_implILS5_8ELb0ES3_jPlPS6_PKS6_NS0_5tupleIJS9_S6_EEENSD_IJSA_SA_EEENS0_18inequality_wrapperIZN2at6native12_GLOBAL__N_124unique_dim_cuda_templateIsEESt5tupleIJNSH_6TensorESM_SM_EERKSM_lbbbEUlllE0_EEPmJS6_EEE10hipError_tPvRmT3_T4_T5_T6_T7_T9_mT8_P12ihipStream_tbDpT10_ENKUlT_T0_E_clISt17integral_constantIbLb1EES1B_IbLb0EEEEDaS17_S18_EUlS17_E_NS1_11comp_targetILNS1_3genE0ELNS1_11target_archE4294967295ELNS1_3gpuE0ELNS1_3repE0EEENS1_30default_config_static_selectorELNS0_4arch9wavefront6targetE0EEEvT1_,comdat
.Lfunc_end701:
	.size	_ZN7rocprim17ROCPRIM_400000_NS6detail17trampoline_kernelINS0_14default_configENS1_25partition_config_selectorILNS1_17partition_subalgoE8ElNS0_10empty_typeEbEEZZNS1_14partition_implILS5_8ELb0ES3_jPlPS6_PKS6_NS0_5tupleIJS9_S6_EEENSD_IJSA_SA_EEENS0_18inequality_wrapperIZN2at6native12_GLOBAL__N_124unique_dim_cuda_templateIsEESt5tupleIJNSH_6TensorESM_SM_EERKSM_lbbbEUlllE0_EEPmJS6_EEE10hipError_tPvRmT3_T4_T5_T6_T7_T9_mT8_P12ihipStream_tbDpT10_ENKUlT_T0_E_clISt17integral_constantIbLb1EES1B_IbLb0EEEEDaS17_S18_EUlS17_E_NS1_11comp_targetILNS1_3genE0ELNS1_11target_archE4294967295ELNS1_3gpuE0ELNS1_3repE0EEENS1_30default_config_static_selectorELNS0_4arch9wavefront6targetE0EEEvT1_, .Lfunc_end701-_ZN7rocprim17ROCPRIM_400000_NS6detail17trampoline_kernelINS0_14default_configENS1_25partition_config_selectorILNS1_17partition_subalgoE8ElNS0_10empty_typeEbEEZZNS1_14partition_implILS5_8ELb0ES3_jPlPS6_PKS6_NS0_5tupleIJS9_S6_EEENSD_IJSA_SA_EEENS0_18inequality_wrapperIZN2at6native12_GLOBAL__N_124unique_dim_cuda_templateIsEESt5tupleIJNSH_6TensorESM_SM_EERKSM_lbbbEUlllE0_EEPmJS6_EEE10hipError_tPvRmT3_T4_T5_T6_T7_T9_mT8_P12ihipStream_tbDpT10_ENKUlT_T0_E_clISt17integral_constantIbLb1EES1B_IbLb0EEEEDaS17_S18_EUlS17_E_NS1_11comp_targetILNS1_3genE0ELNS1_11target_archE4294967295ELNS1_3gpuE0ELNS1_3repE0EEENS1_30default_config_static_selectorELNS0_4arch9wavefront6targetE0EEEvT1_
                                        ; -- End function
	.set _ZN7rocprim17ROCPRIM_400000_NS6detail17trampoline_kernelINS0_14default_configENS1_25partition_config_selectorILNS1_17partition_subalgoE8ElNS0_10empty_typeEbEEZZNS1_14partition_implILS5_8ELb0ES3_jPlPS6_PKS6_NS0_5tupleIJS9_S6_EEENSD_IJSA_SA_EEENS0_18inequality_wrapperIZN2at6native12_GLOBAL__N_124unique_dim_cuda_templateIsEESt5tupleIJNSH_6TensorESM_SM_EERKSM_lbbbEUlllE0_EEPmJS6_EEE10hipError_tPvRmT3_T4_T5_T6_T7_T9_mT8_P12ihipStream_tbDpT10_ENKUlT_T0_E_clISt17integral_constantIbLb1EES1B_IbLb0EEEEDaS17_S18_EUlS17_E_NS1_11comp_targetILNS1_3genE0ELNS1_11target_archE4294967295ELNS1_3gpuE0ELNS1_3repE0EEENS1_30default_config_static_selectorELNS0_4arch9wavefront6targetE0EEEvT1_.num_vgpr, 0
	.set _ZN7rocprim17ROCPRIM_400000_NS6detail17trampoline_kernelINS0_14default_configENS1_25partition_config_selectorILNS1_17partition_subalgoE8ElNS0_10empty_typeEbEEZZNS1_14partition_implILS5_8ELb0ES3_jPlPS6_PKS6_NS0_5tupleIJS9_S6_EEENSD_IJSA_SA_EEENS0_18inequality_wrapperIZN2at6native12_GLOBAL__N_124unique_dim_cuda_templateIsEESt5tupleIJNSH_6TensorESM_SM_EERKSM_lbbbEUlllE0_EEPmJS6_EEE10hipError_tPvRmT3_T4_T5_T6_T7_T9_mT8_P12ihipStream_tbDpT10_ENKUlT_T0_E_clISt17integral_constantIbLb1EES1B_IbLb0EEEEDaS17_S18_EUlS17_E_NS1_11comp_targetILNS1_3genE0ELNS1_11target_archE4294967295ELNS1_3gpuE0ELNS1_3repE0EEENS1_30default_config_static_selectorELNS0_4arch9wavefront6targetE0EEEvT1_.num_agpr, 0
	.set _ZN7rocprim17ROCPRIM_400000_NS6detail17trampoline_kernelINS0_14default_configENS1_25partition_config_selectorILNS1_17partition_subalgoE8ElNS0_10empty_typeEbEEZZNS1_14partition_implILS5_8ELb0ES3_jPlPS6_PKS6_NS0_5tupleIJS9_S6_EEENSD_IJSA_SA_EEENS0_18inequality_wrapperIZN2at6native12_GLOBAL__N_124unique_dim_cuda_templateIsEESt5tupleIJNSH_6TensorESM_SM_EERKSM_lbbbEUlllE0_EEPmJS6_EEE10hipError_tPvRmT3_T4_T5_T6_T7_T9_mT8_P12ihipStream_tbDpT10_ENKUlT_T0_E_clISt17integral_constantIbLb1EES1B_IbLb0EEEEDaS17_S18_EUlS17_E_NS1_11comp_targetILNS1_3genE0ELNS1_11target_archE4294967295ELNS1_3gpuE0ELNS1_3repE0EEENS1_30default_config_static_selectorELNS0_4arch9wavefront6targetE0EEEvT1_.numbered_sgpr, 0
	.set _ZN7rocprim17ROCPRIM_400000_NS6detail17trampoline_kernelINS0_14default_configENS1_25partition_config_selectorILNS1_17partition_subalgoE8ElNS0_10empty_typeEbEEZZNS1_14partition_implILS5_8ELb0ES3_jPlPS6_PKS6_NS0_5tupleIJS9_S6_EEENSD_IJSA_SA_EEENS0_18inequality_wrapperIZN2at6native12_GLOBAL__N_124unique_dim_cuda_templateIsEESt5tupleIJNSH_6TensorESM_SM_EERKSM_lbbbEUlllE0_EEPmJS6_EEE10hipError_tPvRmT3_T4_T5_T6_T7_T9_mT8_P12ihipStream_tbDpT10_ENKUlT_T0_E_clISt17integral_constantIbLb1EES1B_IbLb0EEEEDaS17_S18_EUlS17_E_NS1_11comp_targetILNS1_3genE0ELNS1_11target_archE4294967295ELNS1_3gpuE0ELNS1_3repE0EEENS1_30default_config_static_selectorELNS0_4arch9wavefront6targetE0EEEvT1_.num_named_barrier, 0
	.set _ZN7rocprim17ROCPRIM_400000_NS6detail17trampoline_kernelINS0_14default_configENS1_25partition_config_selectorILNS1_17partition_subalgoE8ElNS0_10empty_typeEbEEZZNS1_14partition_implILS5_8ELb0ES3_jPlPS6_PKS6_NS0_5tupleIJS9_S6_EEENSD_IJSA_SA_EEENS0_18inequality_wrapperIZN2at6native12_GLOBAL__N_124unique_dim_cuda_templateIsEESt5tupleIJNSH_6TensorESM_SM_EERKSM_lbbbEUlllE0_EEPmJS6_EEE10hipError_tPvRmT3_T4_T5_T6_T7_T9_mT8_P12ihipStream_tbDpT10_ENKUlT_T0_E_clISt17integral_constantIbLb1EES1B_IbLb0EEEEDaS17_S18_EUlS17_E_NS1_11comp_targetILNS1_3genE0ELNS1_11target_archE4294967295ELNS1_3gpuE0ELNS1_3repE0EEENS1_30default_config_static_selectorELNS0_4arch9wavefront6targetE0EEEvT1_.private_seg_size, 0
	.set _ZN7rocprim17ROCPRIM_400000_NS6detail17trampoline_kernelINS0_14default_configENS1_25partition_config_selectorILNS1_17partition_subalgoE8ElNS0_10empty_typeEbEEZZNS1_14partition_implILS5_8ELb0ES3_jPlPS6_PKS6_NS0_5tupleIJS9_S6_EEENSD_IJSA_SA_EEENS0_18inequality_wrapperIZN2at6native12_GLOBAL__N_124unique_dim_cuda_templateIsEESt5tupleIJNSH_6TensorESM_SM_EERKSM_lbbbEUlllE0_EEPmJS6_EEE10hipError_tPvRmT3_T4_T5_T6_T7_T9_mT8_P12ihipStream_tbDpT10_ENKUlT_T0_E_clISt17integral_constantIbLb1EES1B_IbLb0EEEEDaS17_S18_EUlS17_E_NS1_11comp_targetILNS1_3genE0ELNS1_11target_archE4294967295ELNS1_3gpuE0ELNS1_3repE0EEENS1_30default_config_static_selectorELNS0_4arch9wavefront6targetE0EEEvT1_.uses_vcc, 0
	.set _ZN7rocprim17ROCPRIM_400000_NS6detail17trampoline_kernelINS0_14default_configENS1_25partition_config_selectorILNS1_17partition_subalgoE8ElNS0_10empty_typeEbEEZZNS1_14partition_implILS5_8ELb0ES3_jPlPS6_PKS6_NS0_5tupleIJS9_S6_EEENSD_IJSA_SA_EEENS0_18inequality_wrapperIZN2at6native12_GLOBAL__N_124unique_dim_cuda_templateIsEESt5tupleIJNSH_6TensorESM_SM_EERKSM_lbbbEUlllE0_EEPmJS6_EEE10hipError_tPvRmT3_T4_T5_T6_T7_T9_mT8_P12ihipStream_tbDpT10_ENKUlT_T0_E_clISt17integral_constantIbLb1EES1B_IbLb0EEEEDaS17_S18_EUlS17_E_NS1_11comp_targetILNS1_3genE0ELNS1_11target_archE4294967295ELNS1_3gpuE0ELNS1_3repE0EEENS1_30default_config_static_selectorELNS0_4arch9wavefront6targetE0EEEvT1_.uses_flat_scratch, 0
	.set _ZN7rocprim17ROCPRIM_400000_NS6detail17trampoline_kernelINS0_14default_configENS1_25partition_config_selectorILNS1_17partition_subalgoE8ElNS0_10empty_typeEbEEZZNS1_14partition_implILS5_8ELb0ES3_jPlPS6_PKS6_NS0_5tupleIJS9_S6_EEENSD_IJSA_SA_EEENS0_18inequality_wrapperIZN2at6native12_GLOBAL__N_124unique_dim_cuda_templateIsEESt5tupleIJNSH_6TensorESM_SM_EERKSM_lbbbEUlllE0_EEPmJS6_EEE10hipError_tPvRmT3_T4_T5_T6_T7_T9_mT8_P12ihipStream_tbDpT10_ENKUlT_T0_E_clISt17integral_constantIbLb1EES1B_IbLb0EEEEDaS17_S18_EUlS17_E_NS1_11comp_targetILNS1_3genE0ELNS1_11target_archE4294967295ELNS1_3gpuE0ELNS1_3repE0EEENS1_30default_config_static_selectorELNS0_4arch9wavefront6targetE0EEEvT1_.has_dyn_sized_stack, 0
	.set _ZN7rocprim17ROCPRIM_400000_NS6detail17trampoline_kernelINS0_14default_configENS1_25partition_config_selectorILNS1_17partition_subalgoE8ElNS0_10empty_typeEbEEZZNS1_14partition_implILS5_8ELb0ES3_jPlPS6_PKS6_NS0_5tupleIJS9_S6_EEENSD_IJSA_SA_EEENS0_18inequality_wrapperIZN2at6native12_GLOBAL__N_124unique_dim_cuda_templateIsEESt5tupleIJNSH_6TensorESM_SM_EERKSM_lbbbEUlllE0_EEPmJS6_EEE10hipError_tPvRmT3_T4_T5_T6_T7_T9_mT8_P12ihipStream_tbDpT10_ENKUlT_T0_E_clISt17integral_constantIbLb1EES1B_IbLb0EEEEDaS17_S18_EUlS17_E_NS1_11comp_targetILNS1_3genE0ELNS1_11target_archE4294967295ELNS1_3gpuE0ELNS1_3repE0EEENS1_30default_config_static_selectorELNS0_4arch9wavefront6targetE0EEEvT1_.has_recursion, 0
	.set _ZN7rocprim17ROCPRIM_400000_NS6detail17trampoline_kernelINS0_14default_configENS1_25partition_config_selectorILNS1_17partition_subalgoE8ElNS0_10empty_typeEbEEZZNS1_14partition_implILS5_8ELb0ES3_jPlPS6_PKS6_NS0_5tupleIJS9_S6_EEENSD_IJSA_SA_EEENS0_18inequality_wrapperIZN2at6native12_GLOBAL__N_124unique_dim_cuda_templateIsEESt5tupleIJNSH_6TensorESM_SM_EERKSM_lbbbEUlllE0_EEPmJS6_EEE10hipError_tPvRmT3_T4_T5_T6_T7_T9_mT8_P12ihipStream_tbDpT10_ENKUlT_T0_E_clISt17integral_constantIbLb1EES1B_IbLb0EEEEDaS17_S18_EUlS17_E_NS1_11comp_targetILNS1_3genE0ELNS1_11target_archE4294967295ELNS1_3gpuE0ELNS1_3repE0EEENS1_30default_config_static_selectorELNS0_4arch9wavefront6targetE0EEEvT1_.has_indirect_call, 0
	.section	.AMDGPU.csdata,"",@progbits
; Kernel info:
; codeLenInByte = 4
; TotalNumSgprs: 0
; NumVgprs: 0
; ScratchSize: 0
; MemoryBound: 0
; FloatMode: 240
; IeeeMode: 1
; LDSByteSize: 0 bytes/workgroup (compile time only)
; SGPRBlocks: 0
; VGPRBlocks: 0
; NumSGPRsForWavesPerEU: 1
; NumVGPRsForWavesPerEU: 1
; NamedBarCnt: 0
; Occupancy: 16
; WaveLimiterHint : 0
; COMPUTE_PGM_RSRC2:SCRATCH_EN: 0
; COMPUTE_PGM_RSRC2:USER_SGPR: 2
; COMPUTE_PGM_RSRC2:TRAP_HANDLER: 0
; COMPUTE_PGM_RSRC2:TGID_X_EN: 1
; COMPUTE_PGM_RSRC2:TGID_Y_EN: 0
; COMPUTE_PGM_RSRC2:TGID_Z_EN: 0
; COMPUTE_PGM_RSRC2:TIDIG_COMP_CNT: 0
	.section	.text._ZN7rocprim17ROCPRIM_400000_NS6detail17trampoline_kernelINS0_14default_configENS1_25partition_config_selectorILNS1_17partition_subalgoE8ElNS0_10empty_typeEbEEZZNS1_14partition_implILS5_8ELb0ES3_jPlPS6_PKS6_NS0_5tupleIJS9_S6_EEENSD_IJSA_SA_EEENS0_18inequality_wrapperIZN2at6native12_GLOBAL__N_124unique_dim_cuda_templateIsEESt5tupleIJNSH_6TensorESM_SM_EERKSM_lbbbEUlllE0_EEPmJS6_EEE10hipError_tPvRmT3_T4_T5_T6_T7_T9_mT8_P12ihipStream_tbDpT10_ENKUlT_T0_E_clISt17integral_constantIbLb1EES1B_IbLb0EEEEDaS17_S18_EUlS17_E_NS1_11comp_targetILNS1_3genE5ELNS1_11target_archE942ELNS1_3gpuE9ELNS1_3repE0EEENS1_30default_config_static_selectorELNS0_4arch9wavefront6targetE0EEEvT1_,"axG",@progbits,_ZN7rocprim17ROCPRIM_400000_NS6detail17trampoline_kernelINS0_14default_configENS1_25partition_config_selectorILNS1_17partition_subalgoE8ElNS0_10empty_typeEbEEZZNS1_14partition_implILS5_8ELb0ES3_jPlPS6_PKS6_NS0_5tupleIJS9_S6_EEENSD_IJSA_SA_EEENS0_18inequality_wrapperIZN2at6native12_GLOBAL__N_124unique_dim_cuda_templateIsEESt5tupleIJNSH_6TensorESM_SM_EERKSM_lbbbEUlllE0_EEPmJS6_EEE10hipError_tPvRmT3_T4_T5_T6_T7_T9_mT8_P12ihipStream_tbDpT10_ENKUlT_T0_E_clISt17integral_constantIbLb1EES1B_IbLb0EEEEDaS17_S18_EUlS17_E_NS1_11comp_targetILNS1_3genE5ELNS1_11target_archE942ELNS1_3gpuE9ELNS1_3repE0EEENS1_30default_config_static_selectorELNS0_4arch9wavefront6targetE0EEEvT1_,comdat
	.globl	_ZN7rocprim17ROCPRIM_400000_NS6detail17trampoline_kernelINS0_14default_configENS1_25partition_config_selectorILNS1_17partition_subalgoE8ElNS0_10empty_typeEbEEZZNS1_14partition_implILS5_8ELb0ES3_jPlPS6_PKS6_NS0_5tupleIJS9_S6_EEENSD_IJSA_SA_EEENS0_18inequality_wrapperIZN2at6native12_GLOBAL__N_124unique_dim_cuda_templateIsEESt5tupleIJNSH_6TensorESM_SM_EERKSM_lbbbEUlllE0_EEPmJS6_EEE10hipError_tPvRmT3_T4_T5_T6_T7_T9_mT8_P12ihipStream_tbDpT10_ENKUlT_T0_E_clISt17integral_constantIbLb1EES1B_IbLb0EEEEDaS17_S18_EUlS17_E_NS1_11comp_targetILNS1_3genE5ELNS1_11target_archE942ELNS1_3gpuE9ELNS1_3repE0EEENS1_30default_config_static_selectorELNS0_4arch9wavefront6targetE0EEEvT1_ ; -- Begin function _ZN7rocprim17ROCPRIM_400000_NS6detail17trampoline_kernelINS0_14default_configENS1_25partition_config_selectorILNS1_17partition_subalgoE8ElNS0_10empty_typeEbEEZZNS1_14partition_implILS5_8ELb0ES3_jPlPS6_PKS6_NS0_5tupleIJS9_S6_EEENSD_IJSA_SA_EEENS0_18inequality_wrapperIZN2at6native12_GLOBAL__N_124unique_dim_cuda_templateIsEESt5tupleIJNSH_6TensorESM_SM_EERKSM_lbbbEUlllE0_EEPmJS6_EEE10hipError_tPvRmT3_T4_T5_T6_T7_T9_mT8_P12ihipStream_tbDpT10_ENKUlT_T0_E_clISt17integral_constantIbLb1EES1B_IbLb0EEEEDaS17_S18_EUlS17_E_NS1_11comp_targetILNS1_3genE5ELNS1_11target_archE942ELNS1_3gpuE9ELNS1_3repE0EEENS1_30default_config_static_selectorELNS0_4arch9wavefront6targetE0EEEvT1_
	.p2align	8
	.type	_ZN7rocprim17ROCPRIM_400000_NS6detail17trampoline_kernelINS0_14default_configENS1_25partition_config_selectorILNS1_17partition_subalgoE8ElNS0_10empty_typeEbEEZZNS1_14partition_implILS5_8ELb0ES3_jPlPS6_PKS6_NS0_5tupleIJS9_S6_EEENSD_IJSA_SA_EEENS0_18inequality_wrapperIZN2at6native12_GLOBAL__N_124unique_dim_cuda_templateIsEESt5tupleIJNSH_6TensorESM_SM_EERKSM_lbbbEUlllE0_EEPmJS6_EEE10hipError_tPvRmT3_T4_T5_T6_T7_T9_mT8_P12ihipStream_tbDpT10_ENKUlT_T0_E_clISt17integral_constantIbLb1EES1B_IbLb0EEEEDaS17_S18_EUlS17_E_NS1_11comp_targetILNS1_3genE5ELNS1_11target_archE942ELNS1_3gpuE9ELNS1_3repE0EEENS1_30default_config_static_selectorELNS0_4arch9wavefront6targetE0EEEvT1_,@function
_ZN7rocprim17ROCPRIM_400000_NS6detail17trampoline_kernelINS0_14default_configENS1_25partition_config_selectorILNS1_17partition_subalgoE8ElNS0_10empty_typeEbEEZZNS1_14partition_implILS5_8ELb0ES3_jPlPS6_PKS6_NS0_5tupleIJS9_S6_EEENSD_IJSA_SA_EEENS0_18inequality_wrapperIZN2at6native12_GLOBAL__N_124unique_dim_cuda_templateIsEESt5tupleIJNSH_6TensorESM_SM_EERKSM_lbbbEUlllE0_EEPmJS6_EEE10hipError_tPvRmT3_T4_T5_T6_T7_T9_mT8_P12ihipStream_tbDpT10_ENKUlT_T0_E_clISt17integral_constantIbLb1EES1B_IbLb0EEEEDaS17_S18_EUlS17_E_NS1_11comp_targetILNS1_3genE5ELNS1_11target_archE942ELNS1_3gpuE9ELNS1_3repE0EEENS1_30default_config_static_selectorELNS0_4arch9wavefront6targetE0EEEvT1_: ; @_ZN7rocprim17ROCPRIM_400000_NS6detail17trampoline_kernelINS0_14default_configENS1_25partition_config_selectorILNS1_17partition_subalgoE8ElNS0_10empty_typeEbEEZZNS1_14partition_implILS5_8ELb0ES3_jPlPS6_PKS6_NS0_5tupleIJS9_S6_EEENSD_IJSA_SA_EEENS0_18inequality_wrapperIZN2at6native12_GLOBAL__N_124unique_dim_cuda_templateIsEESt5tupleIJNSH_6TensorESM_SM_EERKSM_lbbbEUlllE0_EEPmJS6_EEE10hipError_tPvRmT3_T4_T5_T6_T7_T9_mT8_P12ihipStream_tbDpT10_ENKUlT_T0_E_clISt17integral_constantIbLb1EES1B_IbLb0EEEEDaS17_S18_EUlS17_E_NS1_11comp_targetILNS1_3genE5ELNS1_11target_archE942ELNS1_3gpuE9ELNS1_3repE0EEENS1_30default_config_static_selectorELNS0_4arch9wavefront6targetE0EEEvT1_
; %bb.0:
	.section	.rodata,"a",@progbits
	.p2align	6, 0x0
	.amdhsa_kernel _ZN7rocprim17ROCPRIM_400000_NS6detail17trampoline_kernelINS0_14default_configENS1_25partition_config_selectorILNS1_17partition_subalgoE8ElNS0_10empty_typeEbEEZZNS1_14partition_implILS5_8ELb0ES3_jPlPS6_PKS6_NS0_5tupleIJS9_S6_EEENSD_IJSA_SA_EEENS0_18inequality_wrapperIZN2at6native12_GLOBAL__N_124unique_dim_cuda_templateIsEESt5tupleIJNSH_6TensorESM_SM_EERKSM_lbbbEUlllE0_EEPmJS6_EEE10hipError_tPvRmT3_T4_T5_T6_T7_T9_mT8_P12ihipStream_tbDpT10_ENKUlT_T0_E_clISt17integral_constantIbLb1EES1B_IbLb0EEEEDaS17_S18_EUlS17_E_NS1_11comp_targetILNS1_3genE5ELNS1_11target_archE942ELNS1_3gpuE9ELNS1_3repE0EEENS1_30default_config_static_selectorELNS0_4arch9wavefront6targetE0EEEvT1_
		.amdhsa_group_segment_fixed_size 0
		.amdhsa_private_segment_fixed_size 0
		.amdhsa_kernarg_size 120
		.amdhsa_user_sgpr_count 2
		.amdhsa_user_sgpr_dispatch_ptr 0
		.amdhsa_user_sgpr_queue_ptr 0
		.amdhsa_user_sgpr_kernarg_segment_ptr 1
		.amdhsa_user_sgpr_dispatch_id 0
		.amdhsa_user_sgpr_kernarg_preload_length 0
		.amdhsa_user_sgpr_kernarg_preload_offset 0
		.amdhsa_user_sgpr_private_segment_size 0
		.amdhsa_wavefront_size32 1
		.amdhsa_uses_dynamic_stack 0
		.amdhsa_enable_private_segment 0
		.amdhsa_system_sgpr_workgroup_id_x 1
		.amdhsa_system_sgpr_workgroup_id_y 0
		.amdhsa_system_sgpr_workgroup_id_z 0
		.amdhsa_system_sgpr_workgroup_info 0
		.amdhsa_system_vgpr_workitem_id 0
		.amdhsa_next_free_vgpr 1
		.amdhsa_next_free_sgpr 1
		.amdhsa_named_barrier_count 0
		.amdhsa_reserve_vcc 0
		.amdhsa_float_round_mode_32 0
		.amdhsa_float_round_mode_16_64 0
		.amdhsa_float_denorm_mode_32 3
		.amdhsa_float_denorm_mode_16_64 3
		.amdhsa_fp16_overflow 0
		.amdhsa_memory_ordered 1
		.amdhsa_forward_progress 1
		.amdhsa_inst_pref_size 0
		.amdhsa_round_robin_scheduling 0
		.amdhsa_exception_fp_ieee_invalid_op 0
		.amdhsa_exception_fp_denorm_src 0
		.amdhsa_exception_fp_ieee_div_zero 0
		.amdhsa_exception_fp_ieee_overflow 0
		.amdhsa_exception_fp_ieee_underflow 0
		.amdhsa_exception_fp_ieee_inexact 0
		.amdhsa_exception_int_div_zero 0
	.end_amdhsa_kernel
	.section	.text._ZN7rocprim17ROCPRIM_400000_NS6detail17trampoline_kernelINS0_14default_configENS1_25partition_config_selectorILNS1_17partition_subalgoE8ElNS0_10empty_typeEbEEZZNS1_14partition_implILS5_8ELb0ES3_jPlPS6_PKS6_NS0_5tupleIJS9_S6_EEENSD_IJSA_SA_EEENS0_18inequality_wrapperIZN2at6native12_GLOBAL__N_124unique_dim_cuda_templateIsEESt5tupleIJNSH_6TensorESM_SM_EERKSM_lbbbEUlllE0_EEPmJS6_EEE10hipError_tPvRmT3_T4_T5_T6_T7_T9_mT8_P12ihipStream_tbDpT10_ENKUlT_T0_E_clISt17integral_constantIbLb1EES1B_IbLb0EEEEDaS17_S18_EUlS17_E_NS1_11comp_targetILNS1_3genE5ELNS1_11target_archE942ELNS1_3gpuE9ELNS1_3repE0EEENS1_30default_config_static_selectorELNS0_4arch9wavefront6targetE0EEEvT1_,"axG",@progbits,_ZN7rocprim17ROCPRIM_400000_NS6detail17trampoline_kernelINS0_14default_configENS1_25partition_config_selectorILNS1_17partition_subalgoE8ElNS0_10empty_typeEbEEZZNS1_14partition_implILS5_8ELb0ES3_jPlPS6_PKS6_NS0_5tupleIJS9_S6_EEENSD_IJSA_SA_EEENS0_18inequality_wrapperIZN2at6native12_GLOBAL__N_124unique_dim_cuda_templateIsEESt5tupleIJNSH_6TensorESM_SM_EERKSM_lbbbEUlllE0_EEPmJS6_EEE10hipError_tPvRmT3_T4_T5_T6_T7_T9_mT8_P12ihipStream_tbDpT10_ENKUlT_T0_E_clISt17integral_constantIbLb1EES1B_IbLb0EEEEDaS17_S18_EUlS17_E_NS1_11comp_targetILNS1_3genE5ELNS1_11target_archE942ELNS1_3gpuE9ELNS1_3repE0EEENS1_30default_config_static_selectorELNS0_4arch9wavefront6targetE0EEEvT1_,comdat
.Lfunc_end702:
	.size	_ZN7rocprim17ROCPRIM_400000_NS6detail17trampoline_kernelINS0_14default_configENS1_25partition_config_selectorILNS1_17partition_subalgoE8ElNS0_10empty_typeEbEEZZNS1_14partition_implILS5_8ELb0ES3_jPlPS6_PKS6_NS0_5tupleIJS9_S6_EEENSD_IJSA_SA_EEENS0_18inequality_wrapperIZN2at6native12_GLOBAL__N_124unique_dim_cuda_templateIsEESt5tupleIJNSH_6TensorESM_SM_EERKSM_lbbbEUlllE0_EEPmJS6_EEE10hipError_tPvRmT3_T4_T5_T6_T7_T9_mT8_P12ihipStream_tbDpT10_ENKUlT_T0_E_clISt17integral_constantIbLb1EES1B_IbLb0EEEEDaS17_S18_EUlS17_E_NS1_11comp_targetILNS1_3genE5ELNS1_11target_archE942ELNS1_3gpuE9ELNS1_3repE0EEENS1_30default_config_static_selectorELNS0_4arch9wavefront6targetE0EEEvT1_, .Lfunc_end702-_ZN7rocprim17ROCPRIM_400000_NS6detail17trampoline_kernelINS0_14default_configENS1_25partition_config_selectorILNS1_17partition_subalgoE8ElNS0_10empty_typeEbEEZZNS1_14partition_implILS5_8ELb0ES3_jPlPS6_PKS6_NS0_5tupleIJS9_S6_EEENSD_IJSA_SA_EEENS0_18inequality_wrapperIZN2at6native12_GLOBAL__N_124unique_dim_cuda_templateIsEESt5tupleIJNSH_6TensorESM_SM_EERKSM_lbbbEUlllE0_EEPmJS6_EEE10hipError_tPvRmT3_T4_T5_T6_T7_T9_mT8_P12ihipStream_tbDpT10_ENKUlT_T0_E_clISt17integral_constantIbLb1EES1B_IbLb0EEEEDaS17_S18_EUlS17_E_NS1_11comp_targetILNS1_3genE5ELNS1_11target_archE942ELNS1_3gpuE9ELNS1_3repE0EEENS1_30default_config_static_selectorELNS0_4arch9wavefront6targetE0EEEvT1_
                                        ; -- End function
	.set _ZN7rocprim17ROCPRIM_400000_NS6detail17trampoline_kernelINS0_14default_configENS1_25partition_config_selectorILNS1_17partition_subalgoE8ElNS0_10empty_typeEbEEZZNS1_14partition_implILS5_8ELb0ES3_jPlPS6_PKS6_NS0_5tupleIJS9_S6_EEENSD_IJSA_SA_EEENS0_18inequality_wrapperIZN2at6native12_GLOBAL__N_124unique_dim_cuda_templateIsEESt5tupleIJNSH_6TensorESM_SM_EERKSM_lbbbEUlllE0_EEPmJS6_EEE10hipError_tPvRmT3_T4_T5_T6_T7_T9_mT8_P12ihipStream_tbDpT10_ENKUlT_T0_E_clISt17integral_constantIbLb1EES1B_IbLb0EEEEDaS17_S18_EUlS17_E_NS1_11comp_targetILNS1_3genE5ELNS1_11target_archE942ELNS1_3gpuE9ELNS1_3repE0EEENS1_30default_config_static_selectorELNS0_4arch9wavefront6targetE0EEEvT1_.num_vgpr, 0
	.set _ZN7rocprim17ROCPRIM_400000_NS6detail17trampoline_kernelINS0_14default_configENS1_25partition_config_selectorILNS1_17partition_subalgoE8ElNS0_10empty_typeEbEEZZNS1_14partition_implILS5_8ELb0ES3_jPlPS6_PKS6_NS0_5tupleIJS9_S6_EEENSD_IJSA_SA_EEENS0_18inequality_wrapperIZN2at6native12_GLOBAL__N_124unique_dim_cuda_templateIsEESt5tupleIJNSH_6TensorESM_SM_EERKSM_lbbbEUlllE0_EEPmJS6_EEE10hipError_tPvRmT3_T4_T5_T6_T7_T9_mT8_P12ihipStream_tbDpT10_ENKUlT_T0_E_clISt17integral_constantIbLb1EES1B_IbLb0EEEEDaS17_S18_EUlS17_E_NS1_11comp_targetILNS1_3genE5ELNS1_11target_archE942ELNS1_3gpuE9ELNS1_3repE0EEENS1_30default_config_static_selectorELNS0_4arch9wavefront6targetE0EEEvT1_.num_agpr, 0
	.set _ZN7rocprim17ROCPRIM_400000_NS6detail17trampoline_kernelINS0_14default_configENS1_25partition_config_selectorILNS1_17partition_subalgoE8ElNS0_10empty_typeEbEEZZNS1_14partition_implILS5_8ELb0ES3_jPlPS6_PKS6_NS0_5tupleIJS9_S6_EEENSD_IJSA_SA_EEENS0_18inequality_wrapperIZN2at6native12_GLOBAL__N_124unique_dim_cuda_templateIsEESt5tupleIJNSH_6TensorESM_SM_EERKSM_lbbbEUlllE0_EEPmJS6_EEE10hipError_tPvRmT3_T4_T5_T6_T7_T9_mT8_P12ihipStream_tbDpT10_ENKUlT_T0_E_clISt17integral_constantIbLb1EES1B_IbLb0EEEEDaS17_S18_EUlS17_E_NS1_11comp_targetILNS1_3genE5ELNS1_11target_archE942ELNS1_3gpuE9ELNS1_3repE0EEENS1_30default_config_static_selectorELNS0_4arch9wavefront6targetE0EEEvT1_.numbered_sgpr, 0
	.set _ZN7rocprim17ROCPRIM_400000_NS6detail17trampoline_kernelINS0_14default_configENS1_25partition_config_selectorILNS1_17partition_subalgoE8ElNS0_10empty_typeEbEEZZNS1_14partition_implILS5_8ELb0ES3_jPlPS6_PKS6_NS0_5tupleIJS9_S6_EEENSD_IJSA_SA_EEENS0_18inequality_wrapperIZN2at6native12_GLOBAL__N_124unique_dim_cuda_templateIsEESt5tupleIJNSH_6TensorESM_SM_EERKSM_lbbbEUlllE0_EEPmJS6_EEE10hipError_tPvRmT3_T4_T5_T6_T7_T9_mT8_P12ihipStream_tbDpT10_ENKUlT_T0_E_clISt17integral_constantIbLb1EES1B_IbLb0EEEEDaS17_S18_EUlS17_E_NS1_11comp_targetILNS1_3genE5ELNS1_11target_archE942ELNS1_3gpuE9ELNS1_3repE0EEENS1_30default_config_static_selectorELNS0_4arch9wavefront6targetE0EEEvT1_.num_named_barrier, 0
	.set _ZN7rocprim17ROCPRIM_400000_NS6detail17trampoline_kernelINS0_14default_configENS1_25partition_config_selectorILNS1_17partition_subalgoE8ElNS0_10empty_typeEbEEZZNS1_14partition_implILS5_8ELb0ES3_jPlPS6_PKS6_NS0_5tupleIJS9_S6_EEENSD_IJSA_SA_EEENS0_18inequality_wrapperIZN2at6native12_GLOBAL__N_124unique_dim_cuda_templateIsEESt5tupleIJNSH_6TensorESM_SM_EERKSM_lbbbEUlllE0_EEPmJS6_EEE10hipError_tPvRmT3_T4_T5_T6_T7_T9_mT8_P12ihipStream_tbDpT10_ENKUlT_T0_E_clISt17integral_constantIbLb1EES1B_IbLb0EEEEDaS17_S18_EUlS17_E_NS1_11comp_targetILNS1_3genE5ELNS1_11target_archE942ELNS1_3gpuE9ELNS1_3repE0EEENS1_30default_config_static_selectorELNS0_4arch9wavefront6targetE0EEEvT1_.private_seg_size, 0
	.set _ZN7rocprim17ROCPRIM_400000_NS6detail17trampoline_kernelINS0_14default_configENS1_25partition_config_selectorILNS1_17partition_subalgoE8ElNS0_10empty_typeEbEEZZNS1_14partition_implILS5_8ELb0ES3_jPlPS6_PKS6_NS0_5tupleIJS9_S6_EEENSD_IJSA_SA_EEENS0_18inequality_wrapperIZN2at6native12_GLOBAL__N_124unique_dim_cuda_templateIsEESt5tupleIJNSH_6TensorESM_SM_EERKSM_lbbbEUlllE0_EEPmJS6_EEE10hipError_tPvRmT3_T4_T5_T6_T7_T9_mT8_P12ihipStream_tbDpT10_ENKUlT_T0_E_clISt17integral_constantIbLb1EES1B_IbLb0EEEEDaS17_S18_EUlS17_E_NS1_11comp_targetILNS1_3genE5ELNS1_11target_archE942ELNS1_3gpuE9ELNS1_3repE0EEENS1_30default_config_static_selectorELNS0_4arch9wavefront6targetE0EEEvT1_.uses_vcc, 0
	.set _ZN7rocprim17ROCPRIM_400000_NS6detail17trampoline_kernelINS0_14default_configENS1_25partition_config_selectorILNS1_17partition_subalgoE8ElNS0_10empty_typeEbEEZZNS1_14partition_implILS5_8ELb0ES3_jPlPS6_PKS6_NS0_5tupleIJS9_S6_EEENSD_IJSA_SA_EEENS0_18inequality_wrapperIZN2at6native12_GLOBAL__N_124unique_dim_cuda_templateIsEESt5tupleIJNSH_6TensorESM_SM_EERKSM_lbbbEUlllE0_EEPmJS6_EEE10hipError_tPvRmT3_T4_T5_T6_T7_T9_mT8_P12ihipStream_tbDpT10_ENKUlT_T0_E_clISt17integral_constantIbLb1EES1B_IbLb0EEEEDaS17_S18_EUlS17_E_NS1_11comp_targetILNS1_3genE5ELNS1_11target_archE942ELNS1_3gpuE9ELNS1_3repE0EEENS1_30default_config_static_selectorELNS0_4arch9wavefront6targetE0EEEvT1_.uses_flat_scratch, 0
	.set _ZN7rocprim17ROCPRIM_400000_NS6detail17trampoline_kernelINS0_14default_configENS1_25partition_config_selectorILNS1_17partition_subalgoE8ElNS0_10empty_typeEbEEZZNS1_14partition_implILS5_8ELb0ES3_jPlPS6_PKS6_NS0_5tupleIJS9_S6_EEENSD_IJSA_SA_EEENS0_18inequality_wrapperIZN2at6native12_GLOBAL__N_124unique_dim_cuda_templateIsEESt5tupleIJNSH_6TensorESM_SM_EERKSM_lbbbEUlllE0_EEPmJS6_EEE10hipError_tPvRmT3_T4_T5_T6_T7_T9_mT8_P12ihipStream_tbDpT10_ENKUlT_T0_E_clISt17integral_constantIbLb1EES1B_IbLb0EEEEDaS17_S18_EUlS17_E_NS1_11comp_targetILNS1_3genE5ELNS1_11target_archE942ELNS1_3gpuE9ELNS1_3repE0EEENS1_30default_config_static_selectorELNS0_4arch9wavefront6targetE0EEEvT1_.has_dyn_sized_stack, 0
	.set _ZN7rocprim17ROCPRIM_400000_NS6detail17trampoline_kernelINS0_14default_configENS1_25partition_config_selectorILNS1_17partition_subalgoE8ElNS0_10empty_typeEbEEZZNS1_14partition_implILS5_8ELb0ES3_jPlPS6_PKS6_NS0_5tupleIJS9_S6_EEENSD_IJSA_SA_EEENS0_18inequality_wrapperIZN2at6native12_GLOBAL__N_124unique_dim_cuda_templateIsEESt5tupleIJNSH_6TensorESM_SM_EERKSM_lbbbEUlllE0_EEPmJS6_EEE10hipError_tPvRmT3_T4_T5_T6_T7_T9_mT8_P12ihipStream_tbDpT10_ENKUlT_T0_E_clISt17integral_constantIbLb1EES1B_IbLb0EEEEDaS17_S18_EUlS17_E_NS1_11comp_targetILNS1_3genE5ELNS1_11target_archE942ELNS1_3gpuE9ELNS1_3repE0EEENS1_30default_config_static_selectorELNS0_4arch9wavefront6targetE0EEEvT1_.has_recursion, 0
	.set _ZN7rocprim17ROCPRIM_400000_NS6detail17trampoline_kernelINS0_14default_configENS1_25partition_config_selectorILNS1_17partition_subalgoE8ElNS0_10empty_typeEbEEZZNS1_14partition_implILS5_8ELb0ES3_jPlPS6_PKS6_NS0_5tupleIJS9_S6_EEENSD_IJSA_SA_EEENS0_18inequality_wrapperIZN2at6native12_GLOBAL__N_124unique_dim_cuda_templateIsEESt5tupleIJNSH_6TensorESM_SM_EERKSM_lbbbEUlllE0_EEPmJS6_EEE10hipError_tPvRmT3_T4_T5_T6_T7_T9_mT8_P12ihipStream_tbDpT10_ENKUlT_T0_E_clISt17integral_constantIbLb1EES1B_IbLb0EEEEDaS17_S18_EUlS17_E_NS1_11comp_targetILNS1_3genE5ELNS1_11target_archE942ELNS1_3gpuE9ELNS1_3repE0EEENS1_30default_config_static_selectorELNS0_4arch9wavefront6targetE0EEEvT1_.has_indirect_call, 0
	.section	.AMDGPU.csdata,"",@progbits
; Kernel info:
; codeLenInByte = 0
; TotalNumSgprs: 0
; NumVgprs: 0
; ScratchSize: 0
; MemoryBound: 0
; FloatMode: 240
; IeeeMode: 1
; LDSByteSize: 0 bytes/workgroup (compile time only)
; SGPRBlocks: 0
; VGPRBlocks: 0
; NumSGPRsForWavesPerEU: 1
; NumVGPRsForWavesPerEU: 1
; NamedBarCnt: 0
; Occupancy: 16
; WaveLimiterHint : 0
; COMPUTE_PGM_RSRC2:SCRATCH_EN: 0
; COMPUTE_PGM_RSRC2:USER_SGPR: 2
; COMPUTE_PGM_RSRC2:TRAP_HANDLER: 0
; COMPUTE_PGM_RSRC2:TGID_X_EN: 1
; COMPUTE_PGM_RSRC2:TGID_Y_EN: 0
; COMPUTE_PGM_RSRC2:TGID_Z_EN: 0
; COMPUTE_PGM_RSRC2:TIDIG_COMP_CNT: 0
	.section	.text._ZN7rocprim17ROCPRIM_400000_NS6detail17trampoline_kernelINS0_14default_configENS1_25partition_config_selectorILNS1_17partition_subalgoE8ElNS0_10empty_typeEbEEZZNS1_14partition_implILS5_8ELb0ES3_jPlPS6_PKS6_NS0_5tupleIJS9_S6_EEENSD_IJSA_SA_EEENS0_18inequality_wrapperIZN2at6native12_GLOBAL__N_124unique_dim_cuda_templateIsEESt5tupleIJNSH_6TensorESM_SM_EERKSM_lbbbEUlllE0_EEPmJS6_EEE10hipError_tPvRmT3_T4_T5_T6_T7_T9_mT8_P12ihipStream_tbDpT10_ENKUlT_T0_E_clISt17integral_constantIbLb1EES1B_IbLb0EEEEDaS17_S18_EUlS17_E_NS1_11comp_targetILNS1_3genE4ELNS1_11target_archE910ELNS1_3gpuE8ELNS1_3repE0EEENS1_30default_config_static_selectorELNS0_4arch9wavefront6targetE0EEEvT1_,"axG",@progbits,_ZN7rocprim17ROCPRIM_400000_NS6detail17trampoline_kernelINS0_14default_configENS1_25partition_config_selectorILNS1_17partition_subalgoE8ElNS0_10empty_typeEbEEZZNS1_14partition_implILS5_8ELb0ES3_jPlPS6_PKS6_NS0_5tupleIJS9_S6_EEENSD_IJSA_SA_EEENS0_18inequality_wrapperIZN2at6native12_GLOBAL__N_124unique_dim_cuda_templateIsEESt5tupleIJNSH_6TensorESM_SM_EERKSM_lbbbEUlllE0_EEPmJS6_EEE10hipError_tPvRmT3_T4_T5_T6_T7_T9_mT8_P12ihipStream_tbDpT10_ENKUlT_T0_E_clISt17integral_constantIbLb1EES1B_IbLb0EEEEDaS17_S18_EUlS17_E_NS1_11comp_targetILNS1_3genE4ELNS1_11target_archE910ELNS1_3gpuE8ELNS1_3repE0EEENS1_30default_config_static_selectorELNS0_4arch9wavefront6targetE0EEEvT1_,comdat
	.globl	_ZN7rocprim17ROCPRIM_400000_NS6detail17trampoline_kernelINS0_14default_configENS1_25partition_config_selectorILNS1_17partition_subalgoE8ElNS0_10empty_typeEbEEZZNS1_14partition_implILS5_8ELb0ES3_jPlPS6_PKS6_NS0_5tupleIJS9_S6_EEENSD_IJSA_SA_EEENS0_18inequality_wrapperIZN2at6native12_GLOBAL__N_124unique_dim_cuda_templateIsEESt5tupleIJNSH_6TensorESM_SM_EERKSM_lbbbEUlllE0_EEPmJS6_EEE10hipError_tPvRmT3_T4_T5_T6_T7_T9_mT8_P12ihipStream_tbDpT10_ENKUlT_T0_E_clISt17integral_constantIbLb1EES1B_IbLb0EEEEDaS17_S18_EUlS17_E_NS1_11comp_targetILNS1_3genE4ELNS1_11target_archE910ELNS1_3gpuE8ELNS1_3repE0EEENS1_30default_config_static_selectorELNS0_4arch9wavefront6targetE0EEEvT1_ ; -- Begin function _ZN7rocprim17ROCPRIM_400000_NS6detail17trampoline_kernelINS0_14default_configENS1_25partition_config_selectorILNS1_17partition_subalgoE8ElNS0_10empty_typeEbEEZZNS1_14partition_implILS5_8ELb0ES3_jPlPS6_PKS6_NS0_5tupleIJS9_S6_EEENSD_IJSA_SA_EEENS0_18inequality_wrapperIZN2at6native12_GLOBAL__N_124unique_dim_cuda_templateIsEESt5tupleIJNSH_6TensorESM_SM_EERKSM_lbbbEUlllE0_EEPmJS6_EEE10hipError_tPvRmT3_T4_T5_T6_T7_T9_mT8_P12ihipStream_tbDpT10_ENKUlT_T0_E_clISt17integral_constantIbLb1EES1B_IbLb0EEEEDaS17_S18_EUlS17_E_NS1_11comp_targetILNS1_3genE4ELNS1_11target_archE910ELNS1_3gpuE8ELNS1_3repE0EEENS1_30default_config_static_selectorELNS0_4arch9wavefront6targetE0EEEvT1_
	.p2align	8
	.type	_ZN7rocprim17ROCPRIM_400000_NS6detail17trampoline_kernelINS0_14default_configENS1_25partition_config_selectorILNS1_17partition_subalgoE8ElNS0_10empty_typeEbEEZZNS1_14partition_implILS5_8ELb0ES3_jPlPS6_PKS6_NS0_5tupleIJS9_S6_EEENSD_IJSA_SA_EEENS0_18inequality_wrapperIZN2at6native12_GLOBAL__N_124unique_dim_cuda_templateIsEESt5tupleIJNSH_6TensorESM_SM_EERKSM_lbbbEUlllE0_EEPmJS6_EEE10hipError_tPvRmT3_T4_T5_T6_T7_T9_mT8_P12ihipStream_tbDpT10_ENKUlT_T0_E_clISt17integral_constantIbLb1EES1B_IbLb0EEEEDaS17_S18_EUlS17_E_NS1_11comp_targetILNS1_3genE4ELNS1_11target_archE910ELNS1_3gpuE8ELNS1_3repE0EEENS1_30default_config_static_selectorELNS0_4arch9wavefront6targetE0EEEvT1_,@function
_ZN7rocprim17ROCPRIM_400000_NS6detail17trampoline_kernelINS0_14default_configENS1_25partition_config_selectorILNS1_17partition_subalgoE8ElNS0_10empty_typeEbEEZZNS1_14partition_implILS5_8ELb0ES3_jPlPS6_PKS6_NS0_5tupleIJS9_S6_EEENSD_IJSA_SA_EEENS0_18inequality_wrapperIZN2at6native12_GLOBAL__N_124unique_dim_cuda_templateIsEESt5tupleIJNSH_6TensorESM_SM_EERKSM_lbbbEUlllE0_EEPmJS6_EEE10hipError_tPvRmT3_T4_T5_T6_T7_T9_mT8_P12ihipStream_tbDpT10_ENKUlT_T0_E_clISt17integral_constantIbLb1EES1B_IbLb0EEEEDaS17_S18_EUlS17_E_NS1_11comp_targetILNS1_3genE4ELNS1_11target_archE910ELNS1_3gpuE8ELNS1_3repE0EEENS1_30default_config_static_selectorELNS0_4arch9wavefront6targetE0EEEvT1_: ; @_ZN7rocprim17ROCPRIM_400000_NS6detail17trampoline_kernelINS0_14default_configENS1_25partition_config_selectorILNS1_17partition_subalgoE8ElNS0_10empty_typeEbEEZZNS1_14partition_implILS5_8ELb0ES3_jPlPS6_PKS6_NS0_5tupleIJS9_S6_EEENSD_IJSA_SA_EEENS0_18inequality_wrapperIZN2at6native12_GLOBAL__N_124unique_dim_cuda_templateIsEESt5tupleIJNSH_6TensorESM_SM_EERKSM_lbbbEUlllE0_EEPmJS6_EEE10hipError_tPvRmT3_T4_T5_T6_T7_T9_mT8_P12ihipStream_tbDpT10_ENKUlT_T0_E_clISt17integral_constantIbLb1EES1B_IbLb0EEEEDaS17_S18_EUlS17_E_NS1_11comp_targetILNS1_3genE4ELNS1_11target_archE910ELNS1_3gpuE8ELNS1_3repE0EEENS1_30default_config_static_selectorELNS0_4arch9wavefront6targetE0EEEvT1_
; %bb.0:
	.section	.rodata,"a",@progbits
	.p2align	6, 0x0
	.amdhsa_kernel _ZN7rocprim17ROCPRIM_400000_NS6detail17trampoline_kernelINS0_14default_configENS1_25partition_config_selectorILNS1_17partition_subalgoE8ElNS0_10empty_typeEbEEZZNS1_14partition_implILS5_8ELb0ES3_jPlPS6_PKS6_NS0_5tupleIJS9_S6_EEENSD_IJSA_SA_EEENS0_18inequality_wrapperIZN2at6native12_GLOBAL__N_124unique_dim_cuda_templateIsEESt5tupleIJNSH_6TensorESM_SM_EERKSM_lbbbEUlllE0_EEPmJS6_EEE10hipError_tPvRmT3_T4_T5_T6_T7_T9_mT8_P12ihipStream_tbDpT10_ENKUlT_T0_E_clISt17integral_constantIbLb1EES1B_IbLb0EEEEDaS17_S18_EUlS17_E_NS1_11comp_targetILNS1_3genE4ELNS1_11target_archE910ELNS1_3gpuE8ELNS1_3repE0EEENS1_30default_config_static_selectorELNS0_4arch9wavefront6targetE0EEEvT1_
		.amdhsa_group_segment_fixed_size 0
		.amdhsa_private_segment_fixed_size 0
		.amdhsa_kernarg_size 120
		.amdhsa_user_sgpr_count 2
		.amdhsa_user_sgpr_dispatch_ptr 0
		.amdhsa_user_sgpr_queue_ptr 0
		.amdhsa_user_sgpr_kernarg_segment_ptr 1
		.amdhsa_user_sgpr_dispatch_id 0
		.amdhsa_user_sgpr_kernarg_preload_length 0
		.amdhsa_user_sgpr_kernarg_preload_offset 0
		.amdhsa_user_sgpr_private_segment_size 0
		.amdhsa_wavefront_size32 1
		.amdhsa_uses_dynamic_stack 0
		.amdhsa_enable_private_segment 0
		.amdhsa_system_sgpr_workgroup_id_x 1
		.amdhsa_system_sgpr_workgroup_id_y 0
		.amdhsa_system_sgpr_workgroup_id_z 0
		.amdhsa_system_sgpr_workgroup_info 0
		.amdhsa_system_vgpr_workitem_id 0
		.amdhsa_next_free_vgpr 1
		.amdhsa_next_free_sgpr 1
		.amdhsa_named_barrier_count 0
		.amdhsa_reserve_vcc 0
		.amdhsa_float_round_mode_32 0
		.amdhsa_float_round_mode_16_64 0
		.amdhsa_float_denorm_mode_32 3
		.amdhsa_float_denorm_mode_16_64 3
		.amdhsa_fp16_overflow 0
		.amdhsa_memory_ordered 1
		.amdhsa_forward_progress 1
		.amdhsa_inst_pref_size 0
		.amdhsa_round_robin_scheduling 0
		.amdhsa_exception_fp_ieee_invalid_op 0
		.amdhsa_exception_fp_denorm_src 0
		.amdhsa_exception_fp_ieee_div_zero 0
		.amdhsa_exception_fp_ieee_overflow 0
		.amdhsa_exception_fp_ieee_underflow 0
		.amdhsa_exception_fp_ieee_inexact 0
		.amdhsa_exception_int_div_zero 0
	.end_amdhsa_kernel
	.section	.text._ZN7rocprim17ROCPRIM_400000_NS6detail17trampoline_kernelINS0_14default_configENS1_25partition_config_selectorILNS1_17partition_subalgoE8ElNS0_10empty_typeEbEEZZNS1_14partition_implILS5_8ELb0ES3_jPlPS6_PKS6_NS0_5tupleIJS9_S6_EEENSD_IJSA_SA_EEENS0_18inequality_wrapperIZN2at6native12_GLOBAL__N_124unique_dim_cuda_templateIsEESt5tupleIJNSH_6TensorESM_SM_EERKSM_lbbbEUlllE0_EEPmJS6_EEE10hipError_tPvRmT3_T4_T5_T6_T7_T9_mT8_P12ihipStream_tbDpT10_ENKUlT_T0_E_clISt17integral_constantIbLb1EES1B_IbLb0EEEEDaS17_S18_EUlS17_E_NS1_11comp_targetILNS1_3genE4ELNS1_11target_archE910ELNS1_3gpuE8ELNS1_3repE0EEENS1_30default_config_static_selectorELNS0_4arch9wavefront6targetE0EEEvT1_,"axG",@progbits,_ZN7rocprim17ROCPRIM_400000_NS6detail17trampoline_kernelINS0_14default_configENS1_25partition_config_selectorILNS1_17partition_subalgoE8ElNS0_10empty_typeEbEEZZNS1_14partition_implILS5_8ELb0ES3_jPlPS6_PKS6_NS0_5tupleIJS9_S6_EEENSD_IJSA_SA_EEENS0_18inequality_wrapperIZN2at6native12_GLOBAL__N_124unique_dim_cuda_templateIsEESt5tupleIJNSH_6TensorESM_SM_EERKSM_lbbbEUlllE0_EEPmJS6_EEE10hipError_tPvRmT3_T4_T5_T6_T7_T9_mT8_P12ihipStream_tbDpT10_ENKUlT_T0_E_clISt17integral_constantIbLb1EES1B_IbLb0EEEEDaS17_S18_EUlS17_E_NS1_11comp_targetILNS1_3genE4ELNS1_11target_archE910ELNS1_3gpuE8ELNS1_3repE0EEENS1_30default_config_static_selectorELNS0_4arch9wavefront6targetE0EEEvT1_,comdat
.Lfunc_end703:
	.size	_ZN7rocprim17ROCPRIM_400000_NS6detail17trampoline_kernelINS0_14default_configENS1_25partition_config_selectorILNS1_17partition_subalgoE8ElNS0_10empty_typeEbEEZZNS1_14partition_implILS5_8ELb0ES3_jPlPS6_PKS6_NS0_5tupleIJS9_S6_EEENSD_IJSA_SA_EEENS0_18inequality_wrapperIZN2at6native12_GLOBAL__N_124unique_dim_cuda_templateIsEESt5tupleIJNSH_6TensorESM_SM_EERKSM_lbbbEUlllE0_EEPmJS6_EEE10hipError_tPvRmT3_T4_T5_T6_T7_T9_mT8_P12ihipStream_tbDpT10_ENKUlT_T0_E_clISt17integral_constantIbLb1EES1B_IbLb0EEEEDaS17_S18_EUlS17_E_NS1_11comp_targetILNS1_3genE4ELNS1_11target_archE910ELNS1_3gpuE8ELNS1_3repE0EEENS1_30default_config_static_selectorELNS0_4arch9wavefront6targetE0EEEvT1_, .Lfunc_end703-_ZN7rocprim17ROCPRIM_400000_NS6detail17trampoline_kernelINS0_14default_configENS1_25partition_config_selectorILNS1_17partition_subalgoE8ElNS0_10empty_typeEbEEZZNS1_14partition_implILS5_8ELb0ES3_jPlPS6_PKS6_NS0_5tupleIJS9_S6_EEENSD_IJSA_SA_EEENS0_18inequality_wrapperIZN2at6native12_GLOBAL__N_124unique_dim_cuda_templateIsEESt5tupleIJNSH_6TensorESM_SM_EERKSM_lbbbEUlllE0_EEPmJS6_EEE10hipError_tPvRmT3_T4_T5_T6_T7_T9_mT8_P12ihipStream_tbDpT10_ENKUlT_T0_E_clISt17integral_constantIbLb1EES1B_IbLb0EEEEDaS17_S18_EUlS17_E_NS1_11comp_targetILNS1_3genE4ELNS1_11target_archE910ELNS1_3gpuE8ELNS1_3repE0EEENS1_30default_config_static_selectorELNS0_4arch9wavefront6targetE0EEEvT1_
                                        ; -- End function
	.set _ZN7rocprim17ROCPRIM_400000_NS6detail17trampoline_kernelINS0_14default_configENS1_25partition_config_selectorILNS1_17partition_subalgoE8ElNS0_10empty_typeEbEEZZNS1_14partition_implILS5_8ELb0ES3_jPlPS6_PKS6_NS0_5tupleIJS9_S6_EEENSD_IJSA_SA_EEENS0_18inequality_wrapperIZN2at6native12_GLOBAL__N_124unique_dim_cuda_templateIsEESt5tupleIJNSH_6TensorESM_SM_EERKSM_lbbbEUlllE0_EEPmJS6_EEE10hipError_tPvRmT3_T4_T5_T6_T7_T9_mT8_P12ihipStream_tbDpT10_ENKUlT_T0_E_clISt17integral_constantIbLb1EES1B_IbLb0EEEEDaS17_S18_EUlS17_E_NS1_11comp_targetILNS1_3genE4ELNS1_11target_archE910ELNS1_3gpuE8ELNS1_3repE0EEENS1_30default_config_static_selectorELNS0_4arch9wavefront6targetE0EEEvT1_.num_vgpr, 0
	.set _ZN7rocprim17ROCPRIM_400000_NS6detail17trampoline_kernelINS0_14default_configENS1_25partition_config_selectorILNS1_17partition_subalgoE8ElNS0_10empty_typeEbEEZZNS1_14partition_implILS5_8ELb0ES3_jPlPS6_PKS6_NS0_5tupleIJS9_S6_EEENSD_IJSA_SA_EEENS0_18inequality_wrapperIZN2at6native12_GLOBAL__N_124unique_dim_cuda_templateIsEESt5tupleIJNSH_6TensorESM_SM_EERKSM_lbbbEUlllE0_EEPmJS6_EEE10hipError_tPvRmT3_T4_T5_T6_T7_T9_mT8_P12ihipStream_tbDpT10_ENKUlT_T0_E_clISt17integral_constantIbLb1EES1B_IbLb0EEEEDaS17_S18_EUlS17_E_NS1_11comp_targetILNS1_3genE4ELNS1_11target_archE910ELNS1_3gpuE8ELNS1_3repE0EEENS1_30default_config_static_selectorELNS0_4arch9wavefront6targetE0EEEvT1_.num_agpr, 0
	.set _ZN7rocprim17ROCPRIM_400000_NS6detail17trampoline_kernelINS0_14default_configENS1_25partition_config_selectorILNS1_17partition_subalgoE8ElNS0_10empty_typeEbEEZZNS1_14partition_implILS5_8ELb0ES3_jPlPS6_PKS6_NS0_5tupleIJS9_S6_EEENSD_IJSA_SA_EEENS0_18inequality_wrapperIZN2at6native12_GLOBAL__N_124unique_dim_cuda_templateIsEESt5tupleIJNSH_6TensorESM_SM_EERKSM_lbbbEUlllE0_EEPmJS6_EEE10hipError_tPvRmT3_T4_T5_T6_T7_T9_mT8_P12ihipStream_tbDpT10_ENKUlT_T0_E_clISt17integral_constantIbLb1EES1B_IbLb0EEEEDaS17_S18_EUlS17_E_NS1_11comp_targetILNS1_3genE4ELNS1_11target_archE910ELNS1_3gpuE8ELNS1_3repE0EEENS1_30default_config_static_selectorELNS0_4arch9wavefront6targetE0EEEvT1_.numbered_sgpr, 0
	.set _ZN7rocprim17ROCPRIM_400000_NS6detail17trampoline_kernelINS0_14default_configENS1_25partition_config_selectorILNS1_17partition_subalgoE8ElNS0_10empty_typeEbEEZZNS1_14partition_implILS5_8ELb0ES3_jPlPS6_PKS6_NS0_5tupleIJS9_S6_EEENSD_IJSA_SA_EEENS0_18inequality_wrapperIZN2at6native12_GLOBAL__N_124unique_dim_cuda_templateIsEESt5tupleIJNSH_6TensorESM_SM_EERKSM_lbbbEUlllE0_EEPmJS6_EEE10hipError_tPvRmT3_T4_T5_T6_T7_T9_mT8_P12ihipStream_tbDpT10_ENKUlT_T0_E_clISt17integral_constantIbLb1EES1B_IbLb0EEEEDaS17_S18_EUlS17_E_NS1_11comp_targetILNS1_3genE4ELNS1_11target_archE910ELNS1_3gpuE8ELNS1_3repE0EEENS1_30default_config_static_selectorELNS0_4arch9wavefront6targetE0EEEvT1_.num_named_barrier, 0
	.set _ZN7rocprim17ROCPRIM_400000_NS6detail17trampoline_kernelINS0_14default_configENS1_25partition_config_selectorILNS1_17partition_subalgoE8ElNS0_10empty_typeEbEEZZNS1_14partition_implILS5_8ELb0ES3_jPlPS6_PKS6_NS0_5tupleIJS9_S6_EEENSD_IJSA_SA_EEENS0_18inequality_wrapperIZN2at6native12_GLOBAL__N_124unique_dim_cuda_templateIsEESt5tupleIJNSH_6TensorESM_SM_EERKSM_lbbbEUlllE0_EEPmJS6_EEE10hipError_tPvRmT3_T4_T5_T6_T7_T9_mT8_P12ihipStream_tbDpT10_ENKUlT_T0_E_clISt17integral_constantIbLb1EES1B_IbLb0EEEEDaS17_S18_EUlS17_E_NS1_11comp_targetILNS1_3genE4ELNS1_11target_archE910ELNS1_3gpuE8ELNS1_3repE0EEENS1_30default_config_static_selectorELNS0_4arch9wavefront6targetE0EEEvT1_.private_seg_size, 0
	.set _ZN7rocprim17ROCPRIM_400000_NS6detail17trampoline_kernelINS0_14default_configENS1_25partition_config_selectorILNS1_17partition_subalgoE8ElNS0_10empty_typeEbEEZZNS1_14partition_implILS5_8ELb0ES3_jPlPS6_PKS6_NS0_5tupleIJS9_S6_EEENSD_IJSA_SA_EEENS0_18inequality_wrapperIZN2at6native12_GLOBAL__N_124unique_dim_cuda_templateIsEESt5tupleIJNSH_6TensorESM_SM_EERKSM_lbbbEUlllE0_EEPmJS6_EEE10hipError_tPvRmT3_T4_T5_T6_T7_T9_mT8_P12ihipStream_tbDpT10_ENKUlT_T0_E_clISt17integral_constantIbLb1EES1B_IbLb0EEEEDaS17_S18_EUlS17_E_NS1_11comp_targetILNS1_3genE4ELNS1_11target_archE910ELNS1_3gpuE8ELNS1_3repE0EEENS1_30default_config_static_selectorELNS0_4arch9wavefront6targetE0EEEvT1_.uses_vcc, 0
	.set _ZN7rocprim17ROCPRIM_400000_NS6detail17trampoline_kernelINS0_14default_configENS1_25partition_config_selectorILNS1_17partition_subalgoE8ElNS0_10empty_typeEbEEZZNS1_14partition_implILS5_8ELb0ES3_jPlPS6_PKS6_NS0_5tupleIJS9_S6_EEENSD_IJSA_SA_EEENS0_18inequality_wrapperIZN2at6native12_GLOBAL__N_124unique_dim_cuda_templateIsEESt5tupleIJNSH_6TensorESM_SM_EERKSM_lbbbEUlllE0_EEPmJS6_EEE10hipError_tPvRmT3_T4_T5_T6_T7_T9_mT8_P12ihipStream_tbDpT10_ENKUlT_T0_E_clISt17integral_constantIbLb1EES1B_IbLb0EEEEDaS17_S18_EUlS17_E_NS1_11comp_targetILNS1_3genE4ELNS1_11target_archE910ELNS1_3gpuE8ELNS1_3repE0EEENS1_30default_config_static_selectorELNS0_4arch9wavefront6targetE0EEEvT1_.uses_flat_scratch, 0
	.set _ZN7rocprim17ROCPRIM_400000_NS6detail17trampoline_kernelINS0_14default_configENS1_25partition_config_selectorILNS1_17partition_subalgoE8ElNS0_10empty_typeEbEEZZNS1_14partition_implILS5_8ELb0ES3_jPlPS6_PKS6_NS0_5tupleIJS9_S6_EEENSD_IJSA_SA_EEENS0_18inequality_wrapperIZN2at6native12_GLOBAL__N_124unique_dim_cuda_templateIsEESt5tupleIJNSH_6TensorESM_SM_EERKSM_lbbbEUlllE0_EEPmJS6_EEE10hipError_tPvRmT3_T4_T5_T6_T7_T9_mT8_P12ihipStream_tbDpT10_ENKUlT_T0_E_clISt17integral_constantIbLb1EES1B_IbLb0EEEEDaS17_S18_EUlS17_E_NS1_11comp_targetILNS1_3genE4ELNS1_11target_archE910ELNS1_3gpuE8ELNS1_3repE0EEENS1_30default_config_static_selectorELNS0_4arch9wavefront6targetE0EEEvT1_.has_dyn_sized_stack, 0
	.set _ZN7rocprim17ROCPRIM_400000_NS6detail17trampoline_kernelINS0_14default_configENS1_25partition_config_selectorILNS1_17partition_subalgoE8ElNS0_10empty_typeEbEEZZNS1_14partition_implILS5_8ELb0ES3_jPlPS6_PKS6_NS0_5tupleIJS9_S6_EEENSD_IJSA_SA_EEENS0_18inequality_wrapperIZN2at6native12_GLOBAL__N_124unique_dim_cuda_templateIsEESt5tupleIJNSH_6TensorESM_SM_EERKSM_lbbbEUlllE0_EEPmJS6_EEE10hipError_tPvRmT3_T4_T5_T6_T7_T9_mT8_P12ihipStream_tbDpT10_ENKUlT_T0_E_clISt17integral_constantIbLb1EES1B_IbLb0EEEEDaS17_S18_EUlS17_E_NS1_11comp_targetILNS1_3genE4ELNS1_11target_archE910ELNS1_3gpuE8ELNS1_3repE0EEENS1_30default_config_static_selectorELNS0_4arch9wavefront6targetE0EEEvT1_.has_recursion, 0
	.set _ZN7rocprim17ROCPRIM_400000_NS6detail17trampoline_kernelINS0_14default_configENS1_25partition_config_selectorILNS1_17partition_subalgoE8ElNS0_10empty_typeEbEEZZNS1_14partition_implILS5_8ELb0ES3_jPlPS6_PKS6_NS0_5tupleIJS9_S6_EEENSD_IJSA_SA_EEENS0_18inequality_wrapperIZN2at6native12_GLOBAL__N_124unique_dim_cuda_templateIsEESt5tupleIJNSH_6TensorESM_SM_EERKSM_lbbbEUlllE0_EEPmJS6_EEE10hipError_tPvRmT3_T4_T5_T6_T7_T9_mT8_P12ihipStream_tbDpT10_ENKUlT_T0_E_clISt17integral_constantIbLb1EES1B_IbLb0EEEEDaS17_S18_EUlS17_E_NS1_11comp_targetILNS1_3genE4ELNS1_11target_archE910ELNS1_3gpuE8ELNS1_3repE0EEENS1_30default_config_static_selectorELNS0_4arch9wavefront6targetE0EEEvT1_.has_indirect_call, 0
	.section	.AMDGPU.csdata,"",@progbits
; Kernel info:
; codeLenInByte = 0
; TotalNumSgprs: 0
; NumVgprs: 0
; ScratchSize: 0
; MemoryBound: 0
; FloatMode: 240
; IeeeMode: 1
; LDSByteSize: 0 bytes/workgroup (compile time only)
; SGPRBlocks: 0
; VGPRBlocks: 0
; NumSGPRsForWavesPerEU: 1
; NumVGPRsForWavesPerEU: 1
; NamedBarCnt: 0
; Occupancy: 16
; WaveLimiterHint : 0
; COMPUTE_PGM_RSRC2:SCRATCH_EN: 0
; COMPUTE_PGM_RSRC2:USER_SGPR: 2
; COMPUTE_PGM_RSRC2:TRAP_HANDLER: 0
; COMPUTE_PGM_RSRC2:TGID_X_EN: 1
; COMPUTE_PGM_RSRC2:TGID_Y_EN: 0
; COMPUTE_PGM_RSRC2:TGID_Z_EN: 0
; COMPUTE_PGM_RSRC2:TIDIG_COMP_CNT: 0
	.section	.text._ZN7rocprim17ROCPRIM_400000_NS6detail17trampoline_kernelINS0_14default_configENS1_25partition_config_selectorILNS1_17partition_subalgoE8ElNS0_10empty_typeEbEEZZNS1_14partition_implILS5_8ELb0ES3_jPlPS6_PKS6_NS0_5tupleIJS9_S6_EEENSD_IJSA_SA_EEENS0_18inequality_wrapperIZN2at6native12_GLOBAL__N_124unique_dim_cuda_templateIsEESt5tupleIJNSH_6TensorESM_SM_EERKSM_lbbbEUlllE0_EEPmJS6_EEE10hipError_tPvRmT3_T4_T5_T6_T7_T9_mT8_P12ihipStream_tbDpT10_ENKUlT_T0_E_clISt17integral_constantIbLb1EES1B_IbLb0EEEEDaS17_S18_EUlS17_E_NS1_11comp_targetILNS1_3genE3ELNS1_11target_archE908ELNS1_3gpuE7ELNS1_3repE0EEENS1_30default_config_static_selectorELNS0_4arch9wavefront6targetE0EEEvT1_,"axG",@progbits,_ZN7rocprim17ROCPRIM_400000_NS6detail17trampoline_kernelINS0_14default_configENS1_25partition_config_selectorILNS1_17partition_subalgoE8ElNS0_10empty_typeEbEEZZNS1_14partition_implILS5_8ELb0ES3_jPlPS6_PKS6_NS0_5tupleIJS9_S6_EEENSD_IJSA_SA_EEENS0_18inequality_wrapperIZN2at6native12_GLOBAL__N_124unique_dim_cuda_templateIsEESt5tupleIJNSH_6TensorESM_SM_EERKSM_lbbbEUlllE0_EEPmJS6_EEE10hipError_tPvRmT3_T4_T5_T6_T7_T9_mT8_P12ihipStream_tbDpT10_ENKUlT_T0_E_clISt17integral_constantIbLb1EES1B_IbLb0EEEEDaS17_S18_EUlS17_E_NS1_11comp_targetILNS1_3genE3ELNS1_11target_archE908ELNS1_3gpuE7ELNS1_3repE0EEENS1_30default_config_static_selectorELNS0_4arch9wavefront6targetE0EEEvT1_,comdat
	.globl	_ZN7rocprim17ROCPRIM_400000_NS6detail17trampoline_kernelINS0_14default_configENS1_25partition_config_selectorILNS1_17partition_subalgoE8ElNS0_10empty_typeEbEEZZNS1_14partition_implILS5_8ELb0ES3_jPlPS6_PKS6_NS0_5tupleIJS9_S6_EEENSD_IJSA_SA_EEENS0_18inequality_wrapperIZN2at6native12_GLOBAL__N_124unique_dim_cuda_templateIsEESt5tupleIJNSH_6TensorESM_SM_EERKSM_lbbbEUlllE0_EEPmJS6_EEE10hipError_tPvRmT3_T4_T5_T6_T7_T9_mT8_P12ihipStream_tbDpT10_ENKUlT_T0_E_clISt17integral_constantIbLb1EES1B_IbLb0EEEEDaS17_S18_EUlS17_E_NS1_11comp_targetILNS1_3genE3ELNS1_11target_archE908ELNS1_3gpuE7ELNS1_3repE0EEENS1_30default_config_static_selectorELNS0_4arch9wavefront6targetE0EEEvT1_ ; -- Begin function _ZN7rocprim17ROCPRIM_400000_NS6detail17trampoline_kernelINS0_14default_configENS1_25partition_config_selectorILNS1_17partition_subalgoE8ElNS0_10empty_typeEbEEZZNS1_14partition_implILS5_8ELb0ES3_jPlPS6_PKS6_NS0_5tupleIJS9_S6_EEENSD_IJSA_SA_EEENS0_18inequality_wrapperIZN2at6native12_GLOBAL__N_124unique_dim_cuda_templateIsEESt5tupleIJNSH_6TensorESM_SM_EERKSM_lbbbEUlllE0_EEPmJS6_EEE10hipError_tPvRmT3_T4_T5_T6_T7_T9_mT8_P12ihipStream_tbDpT10_ENKUlT_T0_E_clISt17integral_constantIbLb1EES1B_IbLb0EEEEDaS17_S18_EUlS17_E_NS1_11comp_targetILNS1_3genE3ELNS1_11target_archE908ELNS1_3gpuE7ELNS1_3repE0EEENS1_30default_config_static_selectorELNS0_4arch9wavefront6targetE0EEEvT1_
	.p2align	8
	.type	_ZN7rocprim17ROCPRIM_400000_NS6detail17trampoline_kernelINS0_14default_configENS1_25partition_config_selectorILNS1_17partition_subalgoE8ElNS0_10empty_typeEbEEZZNS1_14partition_implILS5_8ELb0ES3_jPlPS6_PKS6_NS0_5tupleIJS9_S6_EEENSD_IJSA_SA_EEENS0_18inequality_wrapperIZN2at6native12_GLOBAL__N_124unique_dim_cuda_templateIsEESt5tupleIJNSH_6TensorESM_SM_EERKSM_lbbbEUlllE0_EEPmJS6_EEE10hipError_tPvRmT3_T4_T5_T6_T7_T9_mT8_P12ihipStream_tbDpT10_ENKUlT_T0_E_clISt17integral_constantIbLb1EES1B_IbLb0EEEEDaS17_S18_EUlS17_E_NS1_11comp_targetILNS1_3genE3ELNS1_11target_archE908ELNS1_3gpuE7ELNS1_3repE0EEENS1_30default_config_static_selectorELNS0_4arch9wavefront6targetE0EEEvT1_,@function
_ZN7rocprim17ROCPRIM_400000_NS6detail17trampoline_kernelINS0_14default_configENS1_25partition_config_selectorILNS1_17partition_subalgoE8ElNS0_10empty_typeEbEEZZNS1_14partition_implILS5_8ELb0ES3_jPlPS6_PKS6_NS0_5tupleIJS9_S6_EEENSD_IJSA_SA_EEENS0_18inequality_wrapperIZN2at6native12_GLOBAL__N_124unique_dim_cuda_templateIsEESt5tupleIJNSH_6TensorESM_SM_EERKSM_lbbbEUlllE0_EEPmJS6_EEE10hipError_tPvRmT3_T4_T5_T6_T7_T9_mT8_P12ihipStream_tbDpT10_ENKUlT_T0_E_clISt17integral_constantIbLb1EES1B_IbLb0EEEEDaS17_S18_EUlS17_E_NS1_11comp_targetILNS1_3genE3ELNS1_11target_archE908ELNS1_3gpuE7ELNS1_3repE0EEENS1_30default_config_static_selectorELNS0_4arch9wavefront6targetE0EEEvT1_: ; @_ZN7rocprim17ROCPRIM_400000_NS6detail17trampoline_kernelINS0_14default_configENS1_25partition_config_selectorILNS1_17partition_subalgoE8ElNS0_10empty_typeEbEEZZNS1_14partition_implILS5_8ELb0ES3_jPlPS6_PKS6_NS0_5tupleIJS9_S6_EEENSD_IJSA_SA_EEENS0_18inequality_wrapperIZN2at6native12_GLOBAL__N_124unique_dim_cuda_templateIsEESt5tupleIJNSH_6TensorESM_SM_EERKSM_lbbbEUlllE0_EEPmJS6_EEE10hipError_tPvRmT3_T4_T5_T6_T7_T9_mT8_P12ihipStream_tbDpT10_ENKUlT_T0_E_clISt17integral_constantIbLb1EES1B_IbLb0EEEEDaS17_S18_EUlS17_E_NS1_11comp_targetILNS1_3genE3ELNS1_11target_archE908ELNS1_3gpuE7ELNS1_3repE0EEENS1_30default_config_static_selectorELNS0_4arch9wavefront6targetE0EEEvT1_
; %bb.0:
	.section	.rodata,"a",@progbits
	.p2align	6, 0x0
	.amdhsa_kernel _ZN7rocprim17ROCPRIM_400000_NS6detail17trampoline_kernelINS0_14default_configENS1_25partition_config_selectorILNS1_17partition_subalgoE8ElNS0_10empty_typeEbEEZZNS1_14partition_implILS5_8ELb0ES3_jPlPS6_PKS6_NS0_5tupleIJS9_S6_EEENSD_IJSA_SA_EEENS0_18inequality_wrapperIZN2at6native12_GLOBAL__N_124unique_dim_cuda_templateIsEESt5tupleIJNSH_6TensorESM_SM_EERKSM_lbbbEUlllE0_EEPmJS6_EEE10hipError_tPvRmT3_T4_T5_T6_T7_T9_mT8_P12ihipStream_tbDpT10_ENKUlT_T0_E_clISt17integral_constantIbLb1EES1B_IbLb0EEEEDaS17_S18_EUlS17_E_NS1_11comp_targetILNS1_3genE3ELNS1_11target_archE908ELNS1_3gpuE7ELNS1_3repE0EEENS1_30default_config_static_selectorELNS0_4arch9wavefront6targetE0EEEvT1_
		.amdhsa_group_segment_fixed_size 0
		.amdhsa_private_segment_fixed_size 0
		.amdhsa_kernarg_size 120
		.amdhsa_user_sgpr_count 2
		.amdhsa_user_sgpr_dispatch_ptr 0
		.amdhsa_user_sgpr_queue_ptr 0
		.amdhsa_user_sgpr_kernarg_segment_ptr 1
		.amdhsa_user_sgpr_dispatch_id 0
		.amdhsa_user_sgpr_kernarg_preload_length 0
		.amdhsa_user_sgpr_kernarg_preload_offset 0
		.amdhsa_user_sgpr_private_segment_size 0
		.amdhsa_wavefront_size32 1
		.amdhsa_uses_dynamic_stack 0
		.amdhsa_enable_private_segment 0
		.amdhsa_system_sgpr_workgroup_id_x 1
		.amdhsa_system_sgpr_workgroup_id_y 0
		.amdhsa_system_sgpr_workgroup_id_z 0
		.amdhsa_system_sgpr_workgroup_info 0
		.amdhsa_system_vgpr_workitem_id 0
		.amdhsa_next_free_vgpr 1
		.amdhsa_next_free_sgpr 1
		.amdhsa_named_barrier_count 0
		.amdhsa_reserve_vcc 0
		.amdhsa_float_round_mode_32 0
		.amdhsa_float_round_mode_16_64 0
		.amdhsa_float_denorm_mode_32 3
		.amdhsa_float_denorm_mode_16_64 3
		.amdhsa_fp16_overflow 0
		.amdhsa_memory_ordered 1
		.amdhsa_forward_progress 1
		.amdhsa_inst_pref_size 0
		.amdhsa_round_robin_scheduling 0
		.amdhsa_exception_fp_ieee_invalid_op 0
		.amdhsa_exception_fp_denorm_src 0
		.amdhsa_exception_fp_ieee_div_zero 0
		.amdhsa_exception_fp_ieee_overflow 0
		.amdhsa_exception_fp_ieee_underflow 0
		.amdhsa_exception_fp_ieee_inexact 0
		.amdhsa_exception_int_div_zero 0
	.end_amdhsa_kernel
	.section	.text._ZN7rocprim17ROCPRIM_400000_NS6detail17trampoline_kernelINS0_14default_configENS1_25partition_config_selectorILNS1_17partition_subalgoE8ElNS0_10empty_typeEbEEZZNS1_14partition_implILS5_8ELb0ES3_jPlPS6_PKS6_NS0_5tupleIJS9_S6_EEENSD_IJSA_SA_EEENS0_18inequality_wrapperIZN2at6native12_GLOBAL__N_124unique_dim_cuda_templateIsEESt5tupleIJNSH_6TensorESM_SM_EERKSM_lbbbEUlllE0_EEPmJS6_EEE10hipError_tPvRmT3_T4_T5_T6_T7_T9_mT8_P12ihipStream_tbDpT10_ENKUlT_T0_E_clISt17integral_constantIbLb1EES1B_IbLb0EEEEDaS17_S18_EUlS17_E_NS1_11comp_targetILNS1_3genE3ELNS1_11target_archE908ELNS1_3gpuE7ELNS1_3repE0EEENS1_30default_config_static_selectorELNS0_4arch9wavefront6targetE0EEEvT1_,"axG",@progbits,_ZN7rocprim17ROCPRIM_400000_NS6detail17trampoline_kernelINS0_14default_configENS1_25partition_config_selectorILNS1_17partition_subalgoE8ElNS0_10empty_typeEbEEZZNS1_14partition_implILS5_8ELb0ES3_jPlPS6_PKS6_NS0_5tupleIJS9_S6_EEENSD_IJSA_SA_EEENS0_18inequality_wrapperIZN2at6native12_GLOBAL__N_124unique_dim_cuda_templateIsEESt5tupleIJNSH_6TensorESM_SM_EERKSM_lbbbEUlllE0_EEPmJS6_EEE10hipError_tPvRmT3_T4_T5_T6_T7_T9_mT8_P12ihipStream_tbDpT10_ENKUlT_T0_E_clISt17integral_constantIbLb1EES1B_IbLb0EEEEDaS17_S18_EUlS17_E_NS1_11comp_targetILNS1_3genE3ELNS1_11target_archE908ELNS1_3gpuE7ELNS1_3repE0EEENS1_30default_config_static_selectorELNS0_4arch9wavefront6targetE0EEEvT1_,comdat
.Lfunc_end704:
	.size	_ZN7rocprim17ROCPRIM_400000_NS6detail17trampoline_kernelINS0_14default_configENS1_25partition_config_selectorILNS1_17partition_subalgoE8ElNS0_10empty_typeEbEEZZNS1_14partition_implILS5_8ELb0ES3_jPlPS6_PKS6_NS0_5tupleIJS9_S6_EEENSD_IJSA_SA_EEENS0_18inequality_wrapperIZN2at6native12_GLOBAL__N_124unique_dim_cuda_templateIsEESt5tupleIJNSH_6TensorESM_SM_EERKSM_lbbbEUlllE0_EEPmJS6_EEE10hipError_tPvRmT3_T4_T5_T6_T7_T9_mT8_P12ihipStream_tbDpT10_ENKUlT_T0_E_clISt17integral_constantIbLb1EES1B_IbLb0EEEEDaS17_S18_EUlS17_E_NS1_11comp_targetILNS1_3genE3ELNS1_11target_archE908ELNS1_3gpuE7ELNS1_3repE0EEENS1_30default_config_static_selectorELNS0_4arch9wavefront6targetE0EEEvT1_, .Lfunc_end704-_ZN7rocprim17ROCPRIM_400000_NS6detail17trampoline_kernelINS0_14default_configENS1_25partition_config_selectorILNS1_17partition_subalgoE8ElNS0_10empty_typeEbEEZZNS1_14partition_implILS5_8ELb0ES3_jPlPS6_PKS6_NS0_5tupleIJS9_S6_EEENSD_IJSA_SA_EEENS0_18inequality_wrapperIZN2at6native12_GLOBAL__N_124unique_dim_cuda_templateIsEESt5tupleIJNSH_6TensorESM_SM_EERKSM_lbbbEUlllE0_EEPmJS6_EEE10hipError_tPvRmT3_T4_T5_T6_T7_T9_mT8_P12ihipStream_tbDpT10_ENKUlT_T0_E_clISt17integral_constantIbLb1EES1B_IbLb0EEEEDaS17_S18_EUlS17_E_NS1_11comp_targetILNS1_3genE3ELNS1_11target_archE908ELNS1_3gpuE7ELNS1_3repE0EEENS1_30default_config_static_selectorELNS0_4arch9wavefront6targetE0EEEvT1_
                                        ; -- End function
	.set _ZN7rocprim17ROCPRIM_400000_NS6detail17trampoline_kernelINS0_14default_configENS1_25partition_config_selectorILNS1_17partition_subalgoE8ElNS0_10empty_typeEbEEZZNS1_14partition_implILS5_8ELb0ES3_jPlPS6_PKS6_NS0_5tupleIJS9_S6_EEENSD_IJSA_SA_EEENS0_18inequality_wrapperIZN2at6native12_GLOBAL__N_124unique_dim_cuda_templateIsEESt5tupleIJNSH_6TensorESM_SM_EERKSM_lbbbEUlllE0_EEPmJS6_EEE10hipError_tPvRmT3_T4_T5_T6_T7_T9_mT8_P12ihipStream_tbDpT10_ENKUlT_T0_E_clISt17integral_constantIbLb1EES1B_IbLb0EEEEDaS17_S18_EUlS17_E_NS1_11comp_targetILNS1_3genE3ELNS1_11target_archE908ELNS1_3gpuE7ELNS1_3repE0EEENS1_30default_config_static_selectorELNS0_4arch9wavefront6targetE0EEEvT1_.num_vgpr, 0
	.set _ZN7rocprim17ROCPRIM_400000_NS6detail17trampoline_kernelINS0_14default_configENS1_25partition_config_selectorILNS1_17partition_subalgoE8ElNS0_10empty_typeEbEEZZNS1_14partition_implILS5_8ELb0ES3_jPlPS6_PKS6_NS0_5tupleIJS9_S6_EEENSD_IJSA_SA_EEENS0_18inequality_wrapperIZN2at6native12_GLOBAL__N_124unique_dim_cuda_templateIsEESt5tupleIJNSH_6TensorESM_SM_EERKSM_lbbbEUlllE0_EEPmJS6_EEE10hipError_tPvRmT3_T4_T5_T6_T7_T9_mT8_P12ihipStream_tbDpT10_ENKUlT_T0_E_clISt17integral_constantIbLb1EES1B_IbLb0EEEEDaS17_S18_EUlS17_E_NS1_11comp_targetILNS1_3genE3ELNS1_11target_archE908ELNS1_3gpuE7ELNS1_3repE0EEENS1_30default_config_static_selectorELNS0_4arch9wavefront6targetE0EEEvT1_.num_agpr, 0
	.set _ZN7rocprim17ROCPRIM_400000_NS6detail17trampoline_kernelINS0_14default_configENS1_25partition_config_selectorILNS1_17partition_subalgoE8ElNS0_10empty_typeEbEEZZNS1_14partition_implILS5_8ELb0ES3_jPlPS6_PKS6_NS0_5tupleIJS9_S6_EEENSD_IJSA_SA_EEENS0_18inequality_wrapperIZN2at6native12_GLOBAL__N_124unique_dim_cuda_templateIsEESt5tupleIJNSH_6TensorESM_SM_EERKSM_lbbbEUlllE0_EEPmJS6_EEE10hipError_tPvRmT3_T4_T5_T6_T7_T9_mT8_P12ihipStream_tbDpT10_ENKUlT_T0_E_clISt17integral_constantIbLb1EES1B_IbLb0EEEEDaS17_S18_EUlS17_E_NS1_11comp_targetILNS1_3genE3ELNS1_11target_archE908ELNS1_3gpuE7ELNS1_3repE0EEENS1_30default_config_static_selectorELNS0_4arch9wavefront6targetE0EEEvT1_.numbered_sgpr, 0
	.set _ZN7rocprim17ROCPRIM_400000_NS6detail17trampoline_kernelINS0_14default_configENS1_25partition_config_selectorILNS1_17partition_subalgoE8ElNS0_10empty_typeEbEEZZNS1_14partition_implILS5_8ELb0ES3_jPlPS6_PKS6_NS0_5tupleIJS9_S6_EEENSD_IJSA_SA_EEENS0_18inequality_wrapperIZN2at6native12_GLOBAL__N_124unique_dim_cuda_templateIsEESt5tupleIJNSH_6TensorESM_SM_EERKSM_lbbbEUlllE0_EEPmJS6_EEE10hipError_tPvRmT3_T4_T5_T6_T7_T9_mT8_P12ihipStream_tbDpT10_ENKUlT_T0_E_clISt17integral_constantIbLb1EES1B_IbLb0EEEEDaS17_S18_EUlS17_E_NS1_11comp_targetILNS1_3genE3ELNS1_11target_archE908ELNS1_3gpuE7ELNS1_3repE0EEENS1_30default_config_static_selectorELNS0_4arch9wavefront6targetE0EEEvT1_.num_named_barrier, 0
	.set _ZN7rocprim17ROCPRIM_400000_NS6detail17trampoline_kernelINS0_14default_configENS1_25partition_config_selectorILNS1_17partition_subalgoE8ElNS0_10empty_typeEbEEZZNS1_14partition_implILS5_8ELb0ES3_jPlPS6_PKS6_NS0_5tupleIJS9_S6_EEENSD_IJSA_SA_EEENS0_18inequality_wrapperIZN2at6native12_GLOBAL__N_124unique_dim_cuda_templateIsEESt5tupleIJNSH_6TensorESM_SM_EERKSM_lbbbEUlllE0_EEPmJS6_EEE10hipError_tPvRmT3_T4_T5_T6_T7_T9_mT8_P12ihipStream_tbDpT10_ENKUlT_T0_E_clISt17integral_constantIbLb1EES1B_IbLb0EEEEDaS17_S18_EUlS17_E_NS1_11comp_targetILNS1_3genE3ELNS1_11target_archE908ELNS1_3gpuE7ELNS1_3repE0EEENS1_30default_config_static_selectorELNS0_4arch9wavefront6targetE0EEEvT1_.private_seg_size, 0
	.set _ZN7rocprim17ROCPRIM_400000_NS6detail17trampoline_kernelINS0_14default_configENS1_25partition_config_selectorILNS1_17partition_subalgoE8ElNS0_10empty_typeEbEEZZNS1_14partition_implILS5_8ELb0ES3_jPlPS6_PKS6_NS0_5tupleIJS9_S6_EEENSD_IJSA_SA_EEENS0_18inequality_wrapperIZN2at6native12_GLOBAL__N_124unique_dim_cuda_templateIsEESt5tupleIJNSH_6TensorESM_SM_EERKSM_lbbbEUlllE0_EEPmJS6_EEE10hipError_tPvRmT3_T4_T5_T6_T7_T9_mT8_P12ihipStream_tbDpT10_ENKUlT_T0_E_clISt17integral_constantIbLb1EES1B_IbLb0EEEEDaS17_S18_EUlS17_E_NS1_11comp_targetILNS1_3genE3ELNS1_11target_archE908ELNS1_3gpuE7ELNS1_3repE0EEENS1_30default_config_static_selectorELNS0_4arch9wavefront6targetE0EEEvT1_.uses_vcc, 0
	.set _ZN7rocprim17ROCPRIM_400000_NS6detail17trampoline_kernelINS0_14default_configENS1_25partition_config_selectorILNS1_17partition_subalgoE8ElNS0_10empty_typeEbEEZZNS1_14partition_implILS5_8ELb0ES3_jPlPS6_PKS6_NS0_5tupleIJS9_S6_EEENSD_IJSA_SA_EEENS0_18inequality_wrapperIZN2at6native12_GLOBAL__N_124unique_dim_cuda_templateIsEESt5tupleIJNSH_6TensorESM_SM_EERKSM_lbbbEUlllE0_EEPmJS6_EEE10hipError_tPvRmT3_T4_T5_T6_T7_T9_mT8_P12ihipStream_tbDpT10_ENKUlT_T0_E_clISt17integral_constantIbLb1EES1B_IbLb0EEEEDaS17_S18_EUlS17_E_NS1_11comp_targetILNS1_3genE3ELNS1_11target_archE908ELNS1_3gpuE7ELNS1_3repE0EEENS1_30default_config_static_selectorELNS0_4arch9wavefront6targetE0EEEvT1_.uses_flat_scratch, 0
	.set _ZN7rocprim17ROCPRIM_400000_NS6detail17trampoline_kernelINS0_14default_configENS1_25partition_config_selectorILNS1_17partition_subalgoE8ElNS0_10empty_typeEbEEZZNS1_14partition_implILS5_8ELb0ES3_jPlPS6_PKS6_NS0_5tupleIJS9_S6_EEENSD_IJSA_SA_EEENS0_18inequality_wrapperIZN2at6native12_GLOBAL__N_124unique_dim_cuda_templateIsEESt5tupleIJNSH_6TensorESM_SM_EERKSM_lbbbEUlllE0_EEPmJS6_EEE10hipError_tPvRmT3_T4_T5_T6_T7_T9_mT8_P12ihipStream_tbDpT10_ENKUlT_T0_E_clISt17integral_constantIbLb1EES1B_IbLb0EEEEDaS17_S18_EUlS17_E_NS1_11comp_targetILNS1_3genE3ELNS1_11target_archE908ELNS1_3gpuE7ELNS1_3repE0EEENS1_30default_config_static_selectorELNS0_4arch9wavefront6targetE0EEEvT1_.has_dyn_sized_stack, 0
	.set _ZN7rocprim17ROCPRIM_400000_NS6detail17trampoline_kernelINS0_14default_configENS1_25partition_config_selectorILNS1_17partition_subalgoE8ElNS0_10empty_typeEbEEZZNS1_14partition_implILS5_8ELb0ES3_jPlPS6_PKS6_NS0_5tupleIJS9_S6_EEENSD_IJSA_SA_EEENS0_18inequality_wrapperIZN2at6native12_GLOBAL__N_124unique_dim_cuda_templateIsEESt5tupleIJNSH_6TensorESM_SM_EERKSM_lbbbEUlllE0_EEPmJS6_EEE10hipError_tPvRmT3_T4_T5_T6_T7_T9_mT8_P12ihipStream_tbDpT10_ENKUlT_T0_E_clISt17integral_constantIbLb1EES1B_IbLb0EEEEDaS17_S18_EUlS17_E_NS1_11comp_targetILNS1_3genE3ELNS1_11target_archE908ELNS1_3gpuE7ELNS1_3repE0EEENS1_30default_config_static_selectorELNS0_4arch9wavefront6targetE0EEEvT1_.has_recursion, 0
	.set _ZN7rocprim17ROCPRIM_400000_NS6detail17trampoline_kernelINS0_14default_configENS1_25partition_config_selectorILNS1_17partition_subalgoE8ElNS0_10empty_typeEbEEZZNS1_14partition_implILS5_8ELb0ES3_jPlPS6_PKS6_NS0_5tupleIJS9_S6_EEENSD_IJSA_SA_EEENS0_18inequality_wrapperIZN2at6native12_GLOBAL__N_124unique_dim_cuda_templateIsEESt5tupleIJNSH_6TensorESM_SM_EERKSM_lbbbEUlllE0_EEPmJS6_EEE10hipError_tPvRmT3_T4_T5_T6_T7_T9_mT8_P12ihipStream_tbDpT10_ENKUlT_T0_E_clISt17integral_constantIbLb1EES1B_IbLb0EEEEDaS17_S18_EUlS17_E_NS1_11comp_targetILNS1_3genE3ELNS1_11target_archE908ELNS1_3gpuE7ELNS1_3repE0EEENS1_30default_config_static_selectorELNS0_4arch9wavefront6targetE0EEEvT1_.has_indirect_call, 0
	.section	.AMDGPU.csdata,"",@progbits
; Kernel info:
; codeLenInByte = 0
; TotalNumSgprs: 0
; NumVgprs: 0
; ScratchSize: 0
; MemoryBound: 0
; FloatMode: 240
; IeeeMode: 1
; LDSByteSize: 0 bytes/workgroup (compile time only)
; SGPRBlocks: 0
; VGPRBlocks: 0
; NumSGPRsForWavesPerEU: 1
; NumVGPRsForWavesPerEU: 1
; NamedBarCnt: 0
; Occupancy: 16
; WaveLimiterHint : 0
; COMPUTE_PGM_RSRC2:SCRATCH_EN: 0
; COMPUTE_PGM_RSRC2:USER_SGPR: 2
; COMPUTE_PGM_RSRC2:TRAP_HANDLER: 0
; COMPUTE_PGM_RSRC2:TGID_X_EN: 1
; COMPUTE_PGM_RSRC2:TGID_Y_EN: 0
; COMPUTE_PGM_RSRC2:TGID_Z_EN: 0
; COMPUTE_PGM_RSRC2:TIDIG_COMP_CNT: 0
	.section	.text._ZN7rocprim17ROCPRIM_400000_NS6detail17trampoline_kernelINS0_14default_configENS1_25partition_config_selectorILNS1_17partition_subalgoE8ElNS0_10empty_typeEbEEZZNS1_14partition_implILS5_8ELb0ES3_jPlPS6_PKS6_NS0_5tupleIJS9_S6_EEENSD_IJSA_SA_EEENS0_18inequality_wrapperIZN2at6native12_GLOBAL__N_124unique_dim_cuda_templateIsEESt5tupleIJNSH_6TensorESM_SM_EERKSM_lbbbEUlllE0_EEPmJS6_EEE10hipError_tPvRmT3_T4_T5_T6_T7_T9_mT8_P12ihipStream_tbDpT10_ENKUlT_T0_E_clISt17integral_constantIbLb1EES1B_IbLb0EEEEDaS17_S18_EUlS17_E_NS1_11comp_targetILNS1_3genE2ELNS1_11target_archE906ELNS1_3gpuE6ELNS1_3repE0EEENS1_30default_config_static_selectorELNS0_4arch9wavefront6targetE0EEEvT1_,"axG",@progbits,_ZN7rocprim17ROCPRIM_400000_NS6detail17trampoline_kernelINS0_14default_configENS1_25partition_config_selectorILNS1_17partition_subalgoE8ElNS0_10empty_typeEbEEZZNS1_14partition_implILS5_8ELb0ES3_jPlPS6_PKS6_NS0_5tupleIJS9_S6_EEENSD_IJSA_SA_EEENS0_18inequality_wrapperIZN2at6native12_GLOBAL__N_124unique_dim_cuda_templateIsEESt5tupleIJNSH_6TensorESM_SM_EERKSM_lbbbEUlllE0_EEPmJS6_EEE10hipError_tPvRmT3_T4_T5_T6_T7_T9_mT8_P12ihipStream_tbDpT10_ENKUlT_T0_E_clISt17integral_constantIbLb1EES1B_IbLb0EEEEDaS17_S18_EUlS17_E_NS1_11comp_targetILNS1_3genE2ELNS1_11target_archE906ELNS1_3gpuE6ELNS1_3repE0EEENS1_30default_config_static_selectorELNS0_4arch9wavefront6targetE0EEEvT1_,comdat
	.globl	_ZN7rocprim17ROCPRIM_400000_NS6detail17trampoline_kernelINS0_14default_configENS1_25partition_config_selectorILNS1_17partition_subalgoE8ElNS0_10empty_typeEbEEZZNS1_14partition_implILS5_8ELb0ES3_jPlPS6_PKS6_NS0_5tupleIJS9_S6_EEENSD_IJSA_SA_EEENS0_18inequality_wrapperIZN2at6native12_GLOBAL__N_124unique_dim_cuda_templateIsEESt5tupleIJNSH_6TensorESM_SM_EERKSM_lbbbEUlllE0_EEPmJS6_EEE10hipError_tPvRmT3_T4_T5_T6_T7_T9_mT8_P12ihipStream_tbDpT10_ENKUlT_T0_E_clISt17integral_constantIbLb1EES1B_IbLb0EEEEDaS17_S18_EUlS17_E_NS1_11comp_targetILNS1_3genE2ELNS1_11target_archE906ELNS1_3gpuE6ELNS1_3repE0EEENS1_30default_config_static_selectorELNS0_4arch9wavefront6targetE0EEEvT1_ ; -- Begin function _ZN7rocprim17ROCPRIM_400000_NS6detail17trampoline_kernelINS0_14default_configENS1_25partition_config_selectorILNS1_17partition_subalgoE8ElNS0_10empty_typeEbEEZZNS1_14partition_implILS5_8ELb0ES3_jPlPS6_PKS6_NS0_5tupleIJS9_S6_EEENSD_IJSA_SA_EEENS0_18inequality_wrapperIZN2at6native12_GLOBAL__N_124unique_dim_cuda_templateIsEESt5tupleIJNSH_6TensorESM_SM_EERKSM_lbbbEUlllE0_EEPmJS6_EEE10hipError_tPvRmT3_T4_T5_T6_T7_T9_mT8_P12ihipStream_tbDpT10_ENKUlT_T0_E_clISt17integral_constantIbLb1EES1B_IbLb0EEEEDaS17_S18_EUlS17_E_NS1_11comp_targetILNS1_3genE2ELNS1_11target_archE906ELNS1_3gpuE6ELNS1_3repE0EEENS1_30default_config_static_selectorELNS0_4arch9wavefront6targetE0EEEvT1_
	.p2align	8
	.type	_ZN7rocprim17ROCPRIM_400000_NS6detail17trampoline_kernelINS0_14default_configENS1_25partition_config_selectorILNS1_17partition_subalgoE8ElNS0_10empty_typeEbEEZZNS1_14partition_implILS5_8ELb0ES3_jPlPS6_PKS6_NS0_5tupleIJS9_S6_EEENSD_IJSA_SA_EEENS0_18inequality_wrapperIZN2at6native12_GLOBAL__N_124unique_dim_cuda_templateIsEESt5tupleIJNSH_6TensorESM_SM_EERKSM_lbbbEUlllE0_EEPmJS6_EEE10hipError_tPvRmT3_T4_T5_T6_T7_T9_mT8_P12ihipStream_tbDpT10_ENKUlT_T0_E_clISt17integral_constantIbLb1EES1B_IbLb0EEEEDaS17_S18_EUlS17_E_NS1_11comp_targetILNS1_3genE2ELNS1_11target_archE906ELNS1_3gpuE6ELNS1_3repE0EEENS1_30default_config_static_selectorELNS0_4arch9wavefront6targetE0EEEvT1_,@function
_ZN7rocprim17ROCPRIM_400000_NS6detail17trampoline_kernelINS0_14default_configENS1_25partition_config_selectorILNS1_17partition_subalgoE8ElNS0_10empty_typeEbEEZZNS1_14partition_implILS5_8ELb0ES3_jPlPS6_PKS6_NS0_5tupleIJS9_S6_EEENSD_IJSA_SA_EEENS0_18inequality_wrapperIZN2at6native12_GLOBAL__N_124unique_dim_cuda_templateIsEESt5tupleIJNSH_6TensorESM_SM_EERKSM_lbbbEUlllE0_EEPmJS6_EEE10hipError_tPvRmT3_T4_T5_T6_T7_T9_mT8_P12ihipStream_tbDpT10_ENKUlT_T0_E_clISt17integral_constantIbLb1EES1B_IbLb0EEEEDaS17_S18_EUlS17_E_NS1_11comp_targetILNS1_3genE2ELNS1_11target_archE906ELNS1_3gpuE6ELNS1_3repE0EEENS1_30default_config_static_selectorELNS0_4arch9wavefront6targetE0EEEvT1_: ; @_ZN7rocprim17ROCPRIM_400000_NS6detail17trampoline_kernelINS0_14default_configENS1_25partition_config_selectorILNS1_17partition_subalgoE8ElNS0_10empty_typeEbEEZZNS1_14partition_implILS5_8ELb0ES3_jPlPS6_PKS6_NS0_5tupleIJS9_S6_EEENSD_IJSA_SA_EEENS0_18inequality_wrapperIZN2at6native12_GLOBAL__N_124unique_dim_cuda_templateIsEESt5tupleIJNSH_6TensorESM_SM_EERKSM_lbbbEUlllE0_EEPmJS6_EEE10hipError_tPvRmT3_T4_T5_T6_T7_T9_mT8_P12ihipStream_tbDpT10_ENKUlT_T0_E_clISt17integral_constantIbLb1EES1B_IbLb0EEEEDaS17_S18_EUlS17_E_NS1_11comp_targetILNS1_3genE2ELNS1_11target_archE906ELNS1_3gpuE6ELNS1_3repE0EEENS1_30default_config_static_selectorELNS0_4arch9wavefront6targetE0EEEvT1_
; %bb.0:
	.section	.rodata,"a",@progbits
	.p2align	6, 0x0
	.amdhsa_kernel _ZN7rocprim17ROCPRIM_400000_NS6detail17trampoline_kernelINS0_14default_configENS1_25partition_config_selectorILNS1_17partition_subalgoE8ElNS0_10empty_typeEbEEZZNS1_14partition_implILS5_8ELb0ES3_jPlPS6_PKS6_NS0_5tupleIJS9_S6_EEENSD_IJSA_SA_EEENS0_18inequality_wrapperIZN2at6native12_GLOBAL__N_124unique_dim_cuda_templateIsEESt5tupleIJNSH_6TensorESM_SM_EERKSM_lbbbEUlllE0_EEPmJS6_EEE10hipError_tPvRmT3_T4_T5_T6_T7_T9_mT8_P12ihipStream_tbDpT10_ENKUlT_T0_E_clISt17integral_constantIbLb1EES1B_IbLb0EEEEDaS17_S18_EUlS17_E_NS1_11comp_targetILNS1_3genE2ELNS1_11target_archE906ELNS1_3gpuE6ELNS1_3repE0EEENS1_30default_config_static_selectorELNS0_4arch9wavefront6targetE0EEEvT1_
		.amdhsa_group_segment_fixed_size 0
		.amdhsa_private_segment_fixed_size 0
		.amdhsa_kernarg_size 120
		.amdhsa_user_sgpr_count 2
		.amdhsa_user_sgpr_dispatch_ptr 0
		.amdhsa_user_sgpr_queue_ptr 0
		.amdhsa_user_sgpr_kernarg_segment_ptr 1
		.amdhsa_user_sgpr_dispatch_id 0
		.amdhsa_user_sgpr_kernarg_preload_length 0
		.amdhsa_user_sgpr_kernarg_preload_offset 0
		.amdhsa_user_sgpr_private_segment_size 0
		.amdhsa_wavefront_size32 1
		.amdhsa_uses_dynamic_stack 0
		.amdhsa_enable_private_segment 0
		.amdhsa_system_sgpr_workgroup_id_x 1
		.amdhsa_system_sgpr_workgroup_id_y 0
		.amdhsa_system_sgpr_workgroup_id_z 0
		.amdhsa_system_sgpr_workgroup_info 0
		.amdhsa_system_vgpr_workitem_id 0
		.amdhsa_next_free_vgpr 1
		.amdhsa_next_free_sgpr 1
		.amdhsa_named_barrier_count 0
		.amdhsa_reserve_vcc 0
		.amdhsa_float_round_mode_32 0
		.amdhsa_float_round_mode_16_64 0
		.amdhsa_float_denorm_mode_32 3
		.amdhsa_float_denorm_mode_16_64 3
		.amdhsa_fp16_overflow 0
		.amdhsa_memory_ordered 1
		.amdhsa_forward_progress 1
		.amdhsa_inst_pref_size 0
		.amdhsa_round_robin_scheduling 0
		.amdhsa_exception_fp_ieee_invalid_op 0
		.amdhsa_exception_fp_denorm_src 0
		.amdhsa_exception_fp_ieee_div_zero 0
		.amdhsa_exception_fp_ieee_overflow 0
		.amdhsa_exception_fp_ieee_underflow 0
		.amdhsa_exception_fp_ieee_inexact 0
		.amdhsa_exception_int_div_zero 0
	.end_amdhsa_kernel
	.section	.text._ZN7rocprim17ROCPRIM_400000_NS6detail17trampoline_kernelINS0_14default_configENS1_25partition_config_selectorILNS1_17partition_subalgoE8ElNS0_10empty_typeEbEEZZNS1_14partition_implILS5_8ELb0ES3_jPlPS6_PKS6_NS0_5tupleIJS9_S6_EEENSD_IJSA_SA_EEENS0_18inequality_wrapperIZN2at6native12_GLOBAL__N_124unique_dim_cuda_templateIsEESt5tupleIJNSH_6TensorESM_SM_EERKSM_lbbbEUlllE0_EEPmJS6_EEE10hipError_tPvRmT3_T4_T5_T6_T7_T9_mT8_P12ihipStream_tbDpT10_ENKUlT_T0_E_clISt17integral_constantIbLb1EES1B_IbLb0EEEEDaS17_S18_EUlS17_E_NS1_11comp_targetILNS1_3genE2ELNS1_11target_archE906ELNS1_3gpuE6ELNS1_3repE0EEENS1_30default_config_static_selectorELNS0_4arch9wavefront6targetE0EEEvT1_,"axG",@progbits,_ZN7rocprim17ROCPRIM_400000_NS6detail17trampoline_kernelINS0_14default_configENS1_25partition_config_selectorILNS1_17partition_subalgoE8ElNS0_10empty_typeEbEEZZNS1_14partition_implILS5_8ELb0ES3_jPlPS6_PKS6_NS0_5tupleIJS9_S6_EEENSD_IJSA_SA_EEENS0_18inequality_wrapperIZN2at6native12_GLOBAL__N_124unique_dim_cuda_templateIsEESt5tupleIJNSH_6TensorESM_SM_EERKSM_lbbbEUlllE0_EEPmJS6_EEE10hipError_tPvRmT3_T4_T5_T6_T7_T9_mT8_P12ihipStream_tbDpT10_ENKUlT_T0_E_clISt17integral_constantIbLb1EES1B_IbLb0EEEEDaS17_S18_EUlS17_E_NS1_11comp_targetILNS1_3genE2ELNS1_11target_archE906ELNS1_3gpuE6ELNS1_3repE0EEENS1_30default_config_static_selectorELNS0_4arch9wavefront6targetE0EEEvT1_,comdat
.Lfunc_end705:
	.size	_ZN7rocprim17ROCPRIM_400000_NS6detail17trampoline_kernelINS0_14default_configENS1_25partition_config_selectorILNS1_17partition_subalgoE8ElNS0_10empty_typeEbEEZZNS1_14partition_implILS5_8ELb0ES3_jPlPS6_PKS6_NS0_5tupleIJS9_S6_EEENSD_IJSA_SA_EEENS0_18inequality_wrapperIZN2at6native12_GLOBAL__N_124unique_dim_cuda_templateIsEESt5tupleIJNSH_6TensorESM_SM_EERKSM_lbbbEUlllE0_EEPmJS6_EEE10hipError_tPvRmT3_T4_T5_T6_T7_T9_mT8_P12ihipStream_tbDpT10_ENKUlT_T0_E_clISt17integral_constantIbLb1EES1B_IbLb0EEEEDaS17_S18_EUlS17_E_NS1_11comp_targetILNS1_3genE2ELNS1_11target_archE906ELNS1_3gpuE6ELNS1_3repE0EEENS1_30default_config_static_selectorELNS0_4arch9wavefront6targetE0EEEvT1_, .Lfunc_end705-_ZN7rocprim17ROCPRIM_400000_NS6detail17trampoline_kernelINS0_14default_configENS1_25partition_config_selectorILNS1_17partition_subalgoE8ElNS0_10empty_typeEbEEZZNS1_14partition_implILS5_8ELb0ES3_jPlPS6_PKS6_NS0_5tupleIJS9_S6_EEENSD_IJSA_SA_EEENS0_18inequality_wrapperIZN2at6native12_GLOBAL__N_124unique_dim_cuda_templateIsEESt5tupleIJNSH_6TensorESM_SM_EERKSM_lbbbEUlllE0_EEPmJS6_EEE10hipError_tPvRmT3_T4_T5_T6_T7_T9_mT8_P12ihipStream_tbDpT10_ENKUlT_T0_E_clISt17integral_constantIbLb1EES1B_IbLb0EEEEDaS17_S18_EUlS17_E_NS1_11comp_targetILNS1_3genE2ELNS1_11target_archE906ELNS1_3gpuE6ELNS1_3repE0EEENS1_30default_config_static_selectorELNS0_4arch9wavefront6targetE0EEEvT1_
                                        ; -- End function
	.set _ZN7rocprim17ROCPRIM_400000_NS6detail17trampoline_kernelINS0_14default_configENS1_25partition_config_selectorILNS1_17partition_subalgoE8ElNS0_10empty_typeEbEEZZNS1_14partition_implILS5_8ELb0ES3_jPlPS6_PKS6_NS0_5tupleIJS9_S6_EEENSD_IJSA_SA_EEENS0_18inequality_wrapperIZN2at6native12_GLOBAL__N_124unique_dim_cuda_templateIsEESt5tupleIJNSH_6TensorESM_SM_EERKSM_lbbbEUlllE0_EEPmJS6_EEE10hipError_tPvRmT3_T4_T5_T6_T7_T9_mT8_P12ihipStream_tbDpT10_ENKUlT_T0_E_clISt17integral_constantIbLb1EES1B_IbLb0EEEEDaS17_S18_EUlS17_E_NS1_11comp_targetILNS1_3genE2ELNS1_11target_archE906ELNS1_3gpuE6ELNS1_3repE0EEENS1_30default_config_static_selectorELNS0_4arch9wavefront6targetE0EEEvT1_.num_vgpr, 0
	.set _ZN7rocprim17ROCPRIM_400000_NS6detail17trampoline_kernelINS0_14default_configENS1_25partition_config_selectorILNS1_17partition_subalgoE8ElNS0_10empty_typeEbEEZZNS1_14partition_implILS5_8ELb0ES3_jPlPS6_PKS6_NS0_5tupleIJS9_S6_EEENSD_IJSA_SA_EEENS0_18inequality_wrapperIZN2at6native12_GLOBAL__N_124unique_dim_cuda_templateIsEESt5tupleIJNSH_6TensorESM_SM_EERKSM_lbbbEUlllE0_EEPmJS6_EEE10hipError_tPvRmT3_T4_T5_T6_T7_T9_mT8_P12ihipStream_tbDpT10_ENKUlT_T0_E_clISt17integral_constantIbLb1EES1B_IbLb0EEEEDaS17_S18_EUlS17_E_NS1_11comp_targetILNS1_3genE2ELNS1_11target_archE906ELNS1_3gpuE6ELNS1_3repE0EEENS1_30default_config_static_selectorELNS0_4arch9wavefront6targetE0EEEvT1_.num_agpr, 0
	.set _ZN7rocprim17ROCPRIM_400000_NS6detail17trampoline_kernelINS0_14default_configENS1_25partition_config_selectorILNS1_17partition_subalgoE8ElNS0_10empty_typeEbEEZZNS1_14partition_implILS5_8ELb0ES3_jPlPS6_PKS6_NS0_5tupleIJS9_S6_EEENSD_IJSA_SA_EEENS0_18inequality_wrapperIZN2at6native12_GLOBAL__N_124unique_dim_cuda_templateIsEESt5tupleIJNSH_6TensorESM_SM_EERKSM_lbbbEUlllE0_EEPmJS6_EEE10hipError_tPvRmT3_T4_T5_T6_T7_T9_mT8_P12ihipStream_tbDpT10_ENKUlT_T0_E_clISt17integral_constantIbLb1EES1B_IbLb0EEEEDaS17_S18_EUlS17_E_NS1_11comp_targetILNS1_3genE2ELNS1_11target_archE906ELNS1_3gpuE6ELNS1_3repE0EEENS1_30default_config_static_selectorELNS0_4arch9wavefront6targetE0EEEvT1_.numbered_sgpr, 0
	.set _ZN7rocprim17ROCPRIM_400000_NS6detail17trampoline_kernelINS0_14default_configENS1_25partition_config_selectorILNS1_17partition_subalgoE8ElNS0_10empty_typeEbEEZZNS1_14partition_implILS5_8ELb0ES3_jPlPS6_PKS6_NS0_5tupleIJS9_S6_EEENSD_IJSA_SA_EEENS0_18inequality_wrapperIZN2at6native12_GLOBAL__N_124unique_dim_cuda_templateIsEESt5tupleIJNSH_6TensorESM_SM_EERKSM_lbbbEUlllE0_EEPmJS6_EEE10hipError_tPvRmT3_T4_T5_T6_T7_T9_mT8_P12ihipStream_tbDpT10_ENKUlT_T0_E_clISt17integral_constantIbLb1EES1B_IbLb0EEEEDaS17_S18_EUlS17_E_NS1_11comp_targetILNS1_3genE2ELNS1_11target_archE906ELNS1_3gpuE6ELNS1_3repE0EEENS1_30default_config_static_selectorELNS0_4arch9wavefront6targetE0EEEvT1_.num_named_barrier, 0
	.set _ZN7rocprim17ROCPRIM_400000_NS6detail17trampoline_kernelINS0_14default_configENS1_25partition_config_selectorILNS1_17partition_subalgoE8ElNS0_10empty_typeEbEEZZNS1_14partition_implILS5_8ELb0ES3_jPlPS6_PKS6_NS0_5tupleIJS9_S6_EEENSD_IJSA_SA_EEENS0_18inequality_wrapperIZN2at6native12_GLOBAL__N_124unique_dim_cuda_templateIsEESt5tupleIJNSH_6TensorESM_SM_EERKSM_lbbbEUlllE0_EEPmJS6_EEE10hipError_tPvRmT3_T4_T5_T6_T7_T9_mT8_P12ihipStream_tbDpT10_ENKUlT_T0_E_clISt17integral_constantIbLb1EES1B_IbLb0EEEEDaS17_S18_EUlS17_E_NS1_11comp_targetILNS1_3genE2ELNS1_11target_archE906ELNS1_3gpuE6ELNS1_3repE0EEENS1_30default_config_static_selectorELNS0_4arch9wavefront6targetE0EEEvT1_.private_seg_size, 0
	.set _ZN7rocprim17ROCPRIM_400000_NS6detail17trampoline_kernelINS0_14default_configENS1_25partition_config_selectorILNS1_17partition_subalgoE8ElNS0_10empty_typeEbEEZZNS1_14partition_implILS5_8ELb0ES3_jPlPS6_PKS6_NS0_5tupleIJS9_S6_EEENSD_IJSA_SA_EEENS0_18inequality_wrapperIZN2at6native12_GLOBAL__N_124unique_dim_cuda_templateIsEESt5tupleIJNSH_6TensorESM_SM_EERKSM_lbbbEUlllE0_EEPmJS6_EEE10hipError_tPvRmT3_T4_T5_T6_T7_T9_mT8_P12ihipStream_tbDpT10_ENKUlT_T0_E_clISt17integral_constantIbLb1EES1B_IbLb0EEEEDaS17_S18_EUlS17_E_NS1_11comp_targetILNS1_3genE2ELNS1_11target_archE906ELNS1_3gpuE6ELNS1_3repE0EEENS1_30default_config_static_selectorELNS0_4arch9wavefront6targetE0EEEvT1_.uses_vcc, 0
	.set _ZN7rocprim17ROCPRIM_400000_NS6detail17trampoline_kernelINS0_14default_configENS1_25partition_config_selectorILNS1_17partition_subalgoE8ElNS0_10empty_typeEbEEZZNS1_14partition_implILS5_8ELb0ES3_jPlPS6_PKS6_NS0_5tupleIJS9_S6_EEENSD_IJSA_SA_EEENS0_18inequality_wrapperIZN2at6native12_GLOBAL__N_124unique_dim_cuda_templateIsEESt5tupleIJNSH_6TensorESM_SM_EERKSM_lbbbEUlllE0_EEPmJS6_EEE10hipError_tPvRmT3_T4_T5_T6_T7_T9_mT8_P12ihipStream_tbDpT10_ENKUlT_T0_E_clISt17integral_constantIbLb1EES1B_IbLb0EEEEDaS17_S18_EUlS17_E_NS1_11comp_targetILNS1_3genE2ELNS1_11target_archE906ELNS1_3gpuE6ELNS1_3repE0EEENS1_30default_config_static_selectorELNS0_4arch9wavefront6targetE0EEEvT1_.uses_flat_scratch, 0
	.set _ZN7rocprim17ROCPRIM_400000_NS6detail17trampoline_kernelINS0_14default_configENS1_25partition_config_selectorILNS1_17partition_subalgoE8ElNS0_10empty_typeEbEEZZNS1_14partition_implILS5_8ELb0ES3_jPlPS6_PKS6_NS0_5tupleIJS9_S6_EEENSD_IJSA_SA_EEENS0_18inequality_wrapperIZN2at6native12_GLOBAL__N_124unique_dim_cuda_templateIsEESt5tupleIJNSH_6TensorESM_SM_EERKSM_lbbbEUlllE0_EEPmJS6_EEE10hipError_tPvRmT3_T4_T5_T6_T7_T9_mT8_P12ihipStream_tbDpT10_ENKUlT_T0_E_clISt17integral_constantIbLb1EES1B_IbLb0EEEEDaS17_S18_EUlS17_E_NS1_11comp_targetILNS1_3genE2ELNS1_11target_archE906ELNS1_3gpuE6ELNS1_3repE0EEENS1_30default_config_static_selectorELNS0_4arch9wavefront6targetE0EEEvT1_.has_dyn_sized_stack, 0
	.set _ZN7rocprim17ROCPRIM_400000_NS6detail17trampoline_kernelINS0_14default_configENS1_25partition_config_selectorILNS1_17partition_subalgoE8ElNS0_10empty_typeEbEEZZNS1_14partition_implILS5_8ELb0ES3_jPlPS6_PKS6_NS0_5tupleIJS9_S6_EEENSD_IJSA_SA_EEENS0_18inequality_wrapperIZN2at6native12_GLOBAL__N_124unique_dim_cuda_templateIsEESt5tupleIJNSH_6TensorESM_SM_EERKSM_lbbbEUlllE0_EEPmJS6_EEE10hipError_tPvRmT3_T4_T5_T6_T7_T9_mT8_P12ihipStream_tbDpT10_ENKUlT_T0_E_clISt17integral_constantIbLb1EES1B_IbLb0EEEEDaS17_S18_EUlS17_E_NS1_11comp_targetILNS1_3genE2ELNS1_11target_archE906ELNS1_3gpuE6ELNS1_3repE0EEENS1_30default_config_static_selectorELNS0_4arch9wavefront6targetE0EEEvT1_.has_recursion, 0
	.set _ZN7rocprim17ROCPRIM_400000_NS6detail17trampoline_kernelINS0_14default_configENS1_25partition_config_selectorILNS1_17partition_subalgoE8ElNS0_10empty_typeEbEEZZNS1_14partition_implILS5_8ELb0ES3_jPlPS6_PKS6_NS0_5tupleIJS9_S6_EEENSD_IJSA_SA_EEENS0_18inequality_wrapperIZN2at6native12_GLOBAL__N_124unique_dim_cuda_templateIsEESt5tupleIJNSH_6TensorESM_SM_EERKSM_lbbbEUlllE0_EEPmJS6_EEE10hipError_tPvRmT3_T4_T5_T6_T7_T9_mT8_P12ihipStream_tbDpT10_ENKUlT_T0_E_clISt17integral_constantIbLb1EES1B_IbLb0EEEEDaS17_S18_EUlS17_E_NS1_11comp_targetILNS1_3genE2ELNS1_11target_archE906ELNS1_3gpuE6ELNS1_3repE0EEENS1_30default_config_static_selectorELNS0_4arch9wavefront6targetE0EEEvT1_.has_indirect_call, 0
	.section	.AMDGPU.csdata,"",@progbits
; Kernel info:
; codeLenInByte = 0
; TotalNumSgprs: 0
; NumVgprs: 0
; ScratchSize: 0
; MemoryBound: 0
; FloatMode: 240
; IeeeMode: 1
; LDSByteSize: 0 bytes/workgroup (compile time only)
; SGPRBlocks: 0
; VGPRBlocks: 0
; NumSGPRsForWavesPerEU: 1
; NumVGPRsForWavesPerEU: 1
; NamedBarCnt: 0
; Occupancy: 16
; WaveLimiterHint : 0
; COMPUTE_PGM_RSRC2:SCRATCH_EN: 0
; COMPUTE_PGM_RSRC2:USER_SGPR: 2
; COMPUTE_PGM_RSRC2:TRAP_HANDLER: 0
; COMPUTE_PGM_RSRC2:TGID_X_EN: 1
; COMPUTE_PGM_RSRC2:TGID_Y_EN: 0
; COMPUTE_PGM_RSRC2:TGID_Z_EN: 0
; COMPUTE_PGM_RSRC2:TIDIG_COMP_CNT: 0
	.section	.text._ZN7rocprim17ROCPRIM_400000_NS6detail17trampoline_kernelINS0_14default_configENS1_25partition_config_selectorILNS1_17partition_subalgoE8ElNS0_10empty_typeEbEEZZNS1_14partition_implILS5_8ELb0ES3_jPlPS6_PKS6_NS0_5tupleIJS9_S6_EEENSD_IJSA_SA_EEENS0_18inequality_wrapperIZN2at6native12_GLOBAL__N_124unique_dim_cuda_templateIsEESt5tupleIJNSH_6TensorESM_SM_EERKSM_lbbbEUlllE0_EEPmJS6_EEE10hipError_tPvRmT3_T4_T5_T6_T7_T9_mT8_P12ihipStream_tbDpT10_ENKUlT_T0_E_clISt17integral_constantIbLb1EES1B_IbLb0EEEEDaS17_S18_EUlS17_E_NS1_11comp_targetILNS1_3genE10ELNS1_11target_archE1200ELNS1_3gpuE4ELNS1_3repE0EEENS1_30default_config_static_selectorELNS0_4arch9wavefront6targetE0EEEvT1_,"axG",@progbits,_ZN7rocprim17ROCPRIM_400000_NS6detail17trampoline_kernelINS0_14default_configENS1_25partition_config_selectorILNS1_17partition_subalgoE8ElNS0_10empty_typeEbEEZZNS1_14partition_implILS5_8ELb0ES3_jPlPS6_PKS6_NS0_5tupleIJS9_S6_EEENSD_IJSA_SA_EEENS0_18inequality_wrapperIZN2at6native12_GLOBAL__N_124unique_dim_cuda_templateIsEESt5tupleIJNSH_6TensorESM_SM_EERKSM_lbbbEUlllE0_EEPmJS6_EEE10hipError_tPvRmT3_T4_T5_T6_T7_T9_mT8_P12ihipStream_tbDpT10_ENKUlT_T0_E_clISt17integral_constantIbLb1EES1B_IbLb0EEEEDaS17_S18_EUlS17_E_NS1_11comp_targetILNS1_3genE10ELNS1_11target_archE1200ELNS1_3gpuE4ELNS1_3repE0EEENS1_30default_config_static_selectorELNS0_4arch9wavefront6targetE0EEEvT1_,comdat
	.globl	_ZN7rocprim17ROCPRIM_400000_NS6detail17trampoline_kernelINS0_14default_configENS1_25partition_config_selectorILNS1_17partition_subalgoE8ElNS0_10empty_typeEbEEZZNS1_14partition_implILS5_8ELb0ES3_jPlPS6_PKS6_NS0_5tupleIJS9_S6_EEENSD_IJSA_SA_EEENS0_18inequality_wrapperIZN2at6native12_GLOBAL__N_124unique_dim_cuda_templateIsEESt5tupleIJNSH_6TensorESM_SM_EERKSM_lbbbEUlllE0_EEPmJS6_EEE10hipError_tPvRmT3_T4_T5_T6_T7_T9_mT8_P12ihipStream_tbDpT10_ENKUlT_T0_E_clISt17integral_constantIbLb1EES1B_IbLb0EEEEDaS17_S18_EUlS17_E_NS1_11comp_targetILNS1_3genE10ELNS1_11target_archE1200ELNS1_3gpuE4ELNS1_3repE0EEENS1_30default_config_static_selectorELNS0_4arch9wavefront6targetE0EEEvT1_ ; -- Begin function _ZN7rocprim17ROCPRIM_400000_NS6detail17trampoline_kernelINS0_14default_configENS1_25partition_config_selectorILNS1_17partition_subalgoE8ElNS0_10empty_typeEbEEZZNS1_14partition_implILS5_8ELb0ES3_jPlPS6_PKS6_NS0_5tupleIJS9_S6_EEENSD_IJSA_SA_EEENS0_18inequality_wrapperIZN2at6native12_GLOBAL__N_124unique_dim_cuda_templateIsEESt5tupleIJNSH_6TensorESM_SM_EERKSM_lbbbEUlllE0_EEPmJS6_EEE10hipError_tPvRmT3_T4_T5_T6_T7_T9_mT8_P12ihipStream_tbDpT10_ENKUlT_T0_E_clISt17integral_constantIbLb1EES1B_IbLb0EEEEDaS17_S18_EUlS17_E_NS1_11comp_targetILNS1_3genE10ELNS1_11target_archE1200ELNS1_3gpuE4ELNS1_3repE0EEENS1_30default_config_static_selectorELNS0_4arch9wavefront6targetE0EEEvT1_
	.p2align	8
	.type	_ZN7rocprim17ROCPRIM_400000_NS6detail17trampoline_kernelINS0_14default_configENS1_25partition_config_selectorILNS1_17partition_subalgoE8ElNS0_10empty_typeEbEEZZNS1_14partition_implILS5_8ELb0ES3_jPlPS6_PKS6_NS0_5tupleIJS9_S6_EEENSD_IJSA_SA_EEENS0_18inequality_wrapperIZN2at6native12_GLOBAL__N_124unique_dim_cuda_templateIsEESt5tupleIJNSH_6TensorESM_SM_EERKSM_lbbbEUlllE0_EEPmJS6_EEE10hipError_tPvRmT3_T4_T5_T6_T7_T9_mT8_P12ihipStream_tbDpT10_ENKUlT_T0_E_clISt17integral_constantIbLb1EES1B_IbLb0EEEEDaS17_S18_EUlS17_E_NS1_11comp_targetILNS1_3genE10ELNS1_11target_archE1200ELNS1_3gpuE4ELNS1_3repE0EEENS1_30default_config_static_selectorELNS0_4arch9wavefront6targetE0EEEvT1_,@function
_ZN7rocprim17ROCPRIM_400000_NS6detail17trampoline_kernelINS0_14default_configENS1_25partition_config_selectorILNS1_17partition_subalgoE8ElNS0_10empty_typeEbEEZZNS1_14partition_implILS5_8ELb0ES3_jPlPS6_PKS6_NS0_5tupleIJS9_S6_EEENSD_IJSA_SA_EEENS0_18inequality_wrapperIZN2at6native12_GLOBAL__N_124unique_dim_cuda_templateIsEESt5tupleIJNSH_6TensorESM_SM_EERKSM_lbbbEUlllE0_EEPmJS6_EEE10hipError_tPvRmT3_T4_T5_T6_T7_T9_mT8_P12ihipStream_tbDpT10_ENKUlT_T0_E_clISt17integral_constantIbLb1EES1B_IbLb0EEEEDaS17_S18_EUlS17_E_NS1_11comp_targetILNS1_3genE10ELNS1_11target_archE1200ELNS1_3gpuE4ELNS1_3repE0EEENS1_30default_config_static_selectorELNS0_4arch9wavefront6targetE0EEEvT1_: ; @_ZN7rocprim17ROCPRIM_400000_NS6detail17trampoline_kernelINS0_14default_configENS1_25partition_config_selectorILNS1_17partition_subalgoE8ElNS0_10empty_typeEbEEZZNS1_14partition_implILS5_8ELb0ES3_jPlPS6_PKS6_NS0_5tupleIJS9_S6_EEENSD_IJSA_SA_EEENS0_18inequality_wrapperIZN2at6native12_GLOBAL__N_124unique_dim_cuda_templateIsEESt5tupleIJNSH_6TensorESM_SM_EERKSM_lbbbEUlllE0_EEPmJS6_EEE10hipError_tPvRmT3_T4_T5_T6_T7_T9_mT8_P12ihipStream_tbDpT10_ENKUlT_T0_E_clISt17integral_constantIbLb1EES1B_IbLb0EEEEDaS17_S18_EUlS17_E_NS1_11comp_targetILNS1_3genE10ELNS1_11target_archE1200ELNS1_3gpuE4ELNS1_3repE0EEENS1_30default_config_static_selectorELNS0_4arch9wavefront6targetE0EEEvT1_
; %bb.0:
	.section	.rodata,"a",@progbits
	.p2align	6, 0x0
	.amdhsa_kernel _ZN7rocprim17ROCPRIM_400000_NS6detail17trampoline_kernelINS0_14default_configENS1_25partition_config_selectorILNS1_17partition_subalgoE8ElNS0_10empty_typeEbEEZZNS1_14partition_implILS5_8ELb0ES3_jPlPS6_PKS6_NS0_5tupleIJS9_S6_EEENSD_IJSA_SA_EEENS0_18inequality_wrapperIZN2at6native12_GLOBAL__N_124unique_dim_cuda_templateIsEESt5tupleIJNSH_6TensorESM_SM_EERKSM_lbbbEUlllE0_EEPmJS6_EEE10hipError_tPvRmT3_T4_T5_T6_T7_T9_mT8_P12ihipStream_tbDpT10_ENKUlT_T0_E_clISt17integral_constantIbLb1EES1B_IbLb0EEEEDaS17_S18_EUlS17_E_NS1_11comp_targetILNS1_3genE10ELNS1_11target_archE1200ELNS1_3gpuE4ELNS1_3repE0EEENS1_30default_config_static_selectorELNS0_4arch9wavefront6targetE0EEEvT1_
		.amdhsa_group_segment_fixed_size 0
		.amdhsa_private_segment_fixed_size 0
		.amdhsa_kernarg_size 120
		.amdhsa_user_sgpr_count 2
		.amdhsa_user_sgpr_dispatch_ptr 0
		.amdhsa_user_sgpr_queue_ptr 0
		.amdhsa_user_sgpr_kernarg_segment_ptr 1
		.amdhsa_user_sgpr_dispatch_id 0
		.amdhsa_user_sgpr_kernarg_preload_length 0
		.amdhsa_user_sgpr_kernarg_preload_offset 0
		.amdhsa_user_sgpr_private_segment_size 0
		.amdhsa_wavefront_size32 1
		.amdhsa_uses_dynamic_stack 0
		.amdhsa_enable_private_segment 0
		.amdhsa_system_sgpr_workgroup_id_x 1
		.amdhsa_system_sgpr_workgroup_id_y 0
		.amdhsa_system_sgpr_workgroup_id_z 0
		.amdhsa_system_sgpr_workgroup_info 0
		.amdhsa_system_vgpr_workitem_id 0
		.amdhsa_next_free_vgpr 1
		.amdhsa_next_free_sgpr 1
		.amdhsa_named_barrier_count 0
		.amdhsa_reserve_vcc 0
		.amdhsa_float_round_mode_32 0
		.amdhsa_float_round_mode_16_64 0
		.amdhsa_float_denorm_mode_32 3
		.amdhsa_float_denorm_mode_16_64 3
		.amdhsa_fp16_overflow 0
		.amdhsa_memory_ordered 1
		.amdhsa_forward_progress 1
		.amdhsa_inst_pref_size 0
		.amdhsa_round_robin_scheduling 0
		.amdhsa_exception_fp_ieee_invalid_op 0
		.amdhsa_exception_fp_denorm_src 0
		.amdhsa_exception_fp_ieee_div_zero 0
		.amdhsa_exception_fp_ieee_overflow 0
		.amdhsa_exception_fp_ieee_underflow 0
		.amdhsa_exception_fp_ieee_inexact 0
		.amdhsa_exception_int_div_zero 0
	.end_amdhsa_kernel
	.section	.text._ZN7rocprim17ROCPRIM_400000_NS6detail17trampoline_kernelINS0_14default_configENS1_25partition_config_selectorILNS1_17partition_subalgoE8ElNS0_10empty_typeEbEEZZNS1_14partition_implILS5_8ELb0ES3_jPlPS6_PKS6_NS0_5tupleIJS9_S6_EEENSD_IJSA_SA_EEENS0_18inequality_wrapperIZN2at6native12_GLOBAL__N_124unique_dim_cuda_templateIsEESt5tupleIJNSH_6TensorESM_SM_EERKSM_lbbbEUlllE0_EEPmJS6_EEE10hipError_tPvRmT3_T4_T5_T6_T7_T9_mT8_P12ihipStream_tbDpT10_ENKUlT_T0_E_clISt17integral_constantIbLb1EES1B_IbLb0EEEEDaS17_S18_EUlS17_E_NS1_11comp_targetILNS1_3genE10ELNS1_11target_archE1200ELNS1_3gpuE4ELNS1_3repE0EEENS1_30default_config_static_selectorELNS0_4arch9wavefront6targetE0EEEvT1_,"axG",@progbits,_ZN7rocprim17ROCPRIM_400000_NS6detail17trampoline_kernelINS0_14default_configENS1_25partition_config_selectorILNS1_17partition_subalgoE8ElNS0_10empty_typeEbEEZZNS1_14partition_implILS5_8ELb0ES3_jPlPS6_PKS6_NS0_5tupleIJS9_S6_EEENSD_IJSA_SA_EEENS0_18inequality_wrapperIZN2at6native12_GLOBAL__N_124unique_dim_cuda_templateIsEESt5tupleIJNSH_6TensorESM_SM_EERKSM_lbbbEUlllE0_EEPmJS6_EEE10hipError_tPvRmT3_T4_T5_T6_T7_T9_mT8_P12ihipStream_tbDpT10_ENKUlT_T0_E_clISt17integral_constantIbLb1EES1B_IbLb0EEEEDaS17_S18_EUlS17_E_NS1_11comp_targetILNS1_3genE10ELNS1_11target_archE1200ELNS1_3gpuE4ELNS1_3repE0EEENS1_30default_config_static_selectorELNS0_4arch9wavefront6targetE0EEEvT1_,comdat
.Lfunc_end706:
	.size	_ZN7rocprim17ROCPRIM_400000_NS6detail17trampoline_kernelINS0_14default_configENS1_25partition_config_selectorILNS1_17partition_subalgoE8ElNS0_10empty_typeEbEEZZNS1_14partition_implILS5_8ELb0ES3_jPlPS6_PKS6_NS0_5tupleIJS9_S6_EEENSD_IJSA_SA_EEENS0_18inequality_wrapperIZN2at6native12_GLOBAL__N_124unique_dim_cuda_templateIsEESt5tupleIJNSH_6TensorESM_SM_EERKSM_lbbbEUlllE0_EEPmJS6_EEE10hipError_tPvRmT3_T4_T5_T6_T7_T9_mT8_P12ihipStream_tbDpT10_ENKUlT_T0_E_clISt17integral_constantIbLb1EES1B_IbLb0EEEEDaS17_S18_EUlS17_E_NS1_11comp_targetILNS1_3genE10ELNS1_11target_archE1200ELNS1_3gpuE4ELNS1_3repE0EEENS1_30default_config_static_selectorELNS0_4arch9wavefront6targetE0EEEvT1_, .Lfunc_end706-_ZN7rocprim17ROCPRIM_400000_NS6detail17trampoline_kernelINS0_14default_configENS1_25partition_config_selectorILNS1_17partition_subalgoE8ElNS0_10empty_typeEbEEZZNS1_14partition_implILS5_8ELb0ES3_jPlPS6_PKS6_NS0_5tupleIJS9_S6_EEENSD_IJSA_SA_EEENS0_18inequality_wrapperIZN2at6native12_GLOBAL__N_124unique_dim_cuda_templateIsEESt5tupleIJNSH_6TensorESM_SM_EERKSM_lbbbEUlllE0_EEPmJS6_EEE10hipError_tPvRmT3_T4_T5_T6_T7_T9_mT8_P12ihipStream_tbDpT10_ENKUlT_T0_E_clISt17integral_constantIbLb1EES1B_IbLb0EEEEDaS17_S18_EUlS17_E_NS1_11comp_targetILNS1_3genE10ELNS1_11target_archE1200ELNS1_3gpuE4ELNS1_3repE0EEENS1_30default_config_static_selectorELNS0_4arch9wavefront6targetE0EEEvT1_
                                        ; -- End function
	.set _ZN7rocprim17ROCPRIM_400000_NS6detail17trampoline_kernelINS0_14default_configENS1_25partition_config_selectorILNS1_17partition_subalgoE8ElNS0_10empty_typeEbEEZZNS1_14partition_implILS5_8ELb0ES3_jPlPS6_PKS6_NS0_5tupleIJS9_S6_EEENSD_IJSA_SA_EEENS0_18inequality_wrapperIZN2at6native12_GLOBAL__N_124unique_dim_cuda_templateIsEESt5tupleIJNSH_6TensorESM_SM_EERKSM_lbbbEUlllE0_EEPmJS6_EEE10hipError_tPvRmT3_T4_T5_T6_T7_T9_mT8_P12ihipStream_tbDpT10_ENKUlT_T0_E_clISt17integral_constantIbLb1EES1B_IbLb0EEEEDaS17_S18_EUlS17_E_NS1_11comp_targetILNS1_3genE10ELNS1_11target_archE1200ELNS1_3gpuE4ELNS1_3repE0EEENS1_30default_config_static_selectorELNS0_4arch9wavefront6targetE0EEEvT1_.num_vgpr, 0
	.set _ZN7rocprim17ROCPRIM_400000_NS6detail17trampoline_kernelINS0_14default_configENS1_25partition_config_selectorILNS1_17partition_subalgoE8ElNS0_10empty_typeEbEEZZNS1_14partition_implILS5_8ELb0ES3_jPlPS6_PKS6_NS0_5tupleIJS9_S6_EEENSD_IJSA_SA_EEENS0_18inequality_wrapperIZN2at6native12_GLOBAL__N_124unique_dim_cuda_templateIsEESt5tupleIJNSH_6TensorESM_SM_EERKSM_lbbbEUlllE0_EEPmJS6_EEE10hipError_tPvRmT3_T4_T5_T6_T7_T9_mT8_P12ihipStream_tbDpT10_ENKUlT_T0_E_clISt17integral_constantIbLb1EES1B_IbLb0EEEEDaS17_S18_EUlS17_E_NS1_11comp_targetILNS1_3genE10ELNS1_11target_archE1200ELNS1_3gpuE4ELNS1_3repE0EEENS1_30default_config_static_selectorELNS0_4arch9wavefront6targetE0EEEvT1_.num_agpr, 0
	.set _ZN7rocprim17ROCPRIM_400000_NS6detail17trampoline_kernelINS0_14default_configENS1_25partition_config_selectorILNS1_17partition_subalgoE8ElNS0_10empty_typeEbEEZZNS1_14partition_implILS5_8ELb0ES3_jPlPS6_PKS6_NS0_5tupleIJS9_S6_EEENSD_IJSA_SA_EEENS0_18inequality_wrapperIZN2at6native12_GLOBAL__N_124unique_dim_cuda_templateIsEESt5tupleIJNSH_6TensorESM_SM_EERKSM_lbbbEUlllE0_EEPmJS6_EEE10hipError_tPvRmT3_T4_T5_T6_T7_T9_mT8_P12ihipStream_tbDpT10_ENKUlT_T0_E_clISt17integral_constantIbLb1EES1B_IbLb0EEEEDaS17_S18_EUlS17_E_NS1_11comp_targetILNS1_3genE10ELNS1_11target_archE1200ELNS1_3gpuE4ELNS1_3repE0EEENS1_30default_config_static_selectorELNS0_4arch9wavefront6targetE0EEEvT1_.numbered_sgpr, 0
	.set _ZN7rocprim17ROCPRIM_400000_NS6detail17trampoline_kernelINS0_14default_configENS1_25partition_config_selectorILNS1_17partition_subalgoE8ElNS0_10empty_typeEbEEZZNS1_14partition_implILS5_8ELb0ES3_jPlPS6_PKS6_NS0_5tupleIJS9_S6_EEENSD_IJSA_SA_EEENS0_18inequality_wrapperIZN2at6native12_GLOBAL__N_124unique_dim_cuda_templateIsEESt5tupleIJNSH_6TensorESM_SM_EERKSM_lbbbEUlllE0_EEPmJS6_EEE10hipError_tPvRmT3_T4_T5_T6_T7_T9_mT8_P12ihipStream_tbDpT10_ENKUlT_T0_E_clISt17integral_constantIbLb1EES1B_IbLb0EEEEDaS17_S18_EUlS17_E_NS1_11comp_targetILNS1_3genE10ELNS1_11target_archE1200ELNS1_3gpuE4ELNS1_3repE0EEENS1_30default_config_static_selectorELNS0_4arch9wavefront6targetE0EEEvT1_.num_named_barrier, 0
	.set _ZN7rocprim17ROCPRIM_400000_NS6detail17trampoline_kernelINS0_14default_configENS1_25partition_config_selectorILNS1_17partition_subalgoE8ElNS0_10empty_typeEbEEZZNS1_14partition_implILS5_8ELb0ES3_jPlPS6_PKS6_NS0_5tupleIJS9_S6_EEENSD_IJSA_SA_EEENS0_18inequality_wrapperIZN2at6native12_GLOBAL__N_124unique_dim_cuda_templateIsEESt5tupleIJNSH_6TensorESM_SM_EERKSM_lbbbEUlllE0_EEPmJS6_EEE10hipError_tPvRmT3_T4_T5_T6_T7_T9_mT8_P12ihipStream_tbDpT10_ENKUlT_T0_E_clISt17integral_constantIbLb1EES1B_IbLb0EEEEDaS17_S18_EUlS17_E_NS1_11comp_targetILNS1_3genE10ELNS1_11target_archE1200ELNS1_3gpuE4ELNS1_3repE0EEENS1_30default_config_static_selectorELNS0_4arch9wavefront6targetE0EEEvT1_.private_seg_size, 0
	.set _ZN7rocprim17ROCPRIM_400000_NS6detail17trampoline_kernelINS0_14default_configENS1_25partition_config_selectorILNS1_17partition_subalgoE8ElNS0_10empty_typeEbEEZZNS1_14partition_implILS5_8ELb0ES3_jPlPS6_PKS6_NS0_5tupleIJS9_S6_EEENSD_IJSA_SA_EEENS0_18inequality_wrapperIZN2at6native12_GLOBAL__N_124unique_dim_cuda_templateIsEESt5tupleIJNSH_6TensorESM_SM_EERKSM_lbbbEUlllE0_EEPmJS6_EEE10hipError_tPvRmT3_T4_T5_T6_T7_T9_mT8_P12ihipStream_tbDpT10_ENKUlT_T0_E_clISt17integral_constantIbLb1EES1B_IbLb0EEEEDaS17_S18_EUlS17_E_NS1_11comp_targetILNS1_3genE10ELNS1_11target_archE1200ELNS1_3gpuE4ELNS1_3repE0EEENS1_30default_config_static_selectorELNS0_4arch9wavefront6targetE0EEEvT1_.uses_vcc, 0
	.set _ZN7rocprim17ROCPRIM_400000_NS6detail17trampoline_kernelINS0_14default_configENS1_25partition_config_selectorILNS1_17partition_subalgoE8ElNS0_10empty_typeEbEEZZNS1_14partition_implILS5_8ELb0ES3_jPlPS6_PKS6_NS0_5tupleIJS9_S6_EEENSD_IJSA_SA_EEENS0_18inequality_wrapperIZN2at6native12_GLOBAL__N_124unique_dim_cuda_templateIsEESt5tupleIJNSH_6TensorESM_SM_EERKSM_lbbbEUlllE0_EEPmJS6_EEE10hipError_tPvRmT3_T4_T5_T6_T7_T9_mT8_P12ihipStream_tbDpT10_ENKUlT_T0_E_clISt17integral_constantIbLb1EES1B_IbLb0EEEEDaS17_S18_EUlS17_E_NS1_11comp_targetILNS1_3genE10ELNS1_11target_archE1200ELNS1_3gpuE4ELNS1_3repE0EEENS1_30default_config_static_selectorELNS0_4arch9wavefront6targetE0EEEvT1_.uses_flat_scratch, 0
	.set _ZN7rocprim17ROCPRIM_400000_NS6detail17trampoline_kernelINS0_14default_configENS1_25partition_config_selectorILNS1_17partition_subalgoE8ElNS0_10empty_typeEbEEZZNS1_14partition_implILS5_8ELb0ES3_jPlPS6_PKS6_NS0_5tupleIJS9_S6_EEENSD_IJSA_SA_EEENS0_18inequality_wrapperIZN2at6native12_GLOBAL__N_124unique_dim_cuda_templateIsEESt5tupleIJNSH_6TensorESM_SM_EERKSM_lbbbEUlllE0_EEPmJS6_EEE10hipError_tPvRmT3_T4_T5_T6_T7_T9_mT8_P12ihipStream_tbDpT10_ENKUlT_T0_E_clISt17integral_constantIbLb1EES1B_IbLb0EEEEDaS17_S18_EUlS17_E_NS1_11comp_targetILNS1_3genE10ELNS1_11target_archE1200ELNS1_3gpuE4ELNS1_3repE0EEENS1_30default_config_static_selectorELNS0_4arch9wavefront6targetE0EEEvT1_.has_dyn_sized_stack, 0
	.set _ZN7rocprim17ROCPRIM_400000_NS6detail17trampoline_kernelINS0_14default_configENS1_25partition_config_selectorILNS1_17partition_subalgoE8ElNS0_10empty_typeEbEEZZNS1_14partition_implILS5_8ELb0ES3_jPlPS6_PKS6_NS0_5tupleIJS9_S6_EEENSD_IJSA_SA_EEENS0_18inequality_wrapperIZN2at6native12_GLOBAL__N_124unique_dim_cuda_templateIsEESt5tupleIJNSH_6TensorESM_SM_EERKSM_lbbbEUlllE0_EEPmJS6_EEE10hipError_tPvRmT3_T4_T5_T6_T7_T9_mT8_P12ihipStream_tbDpT10_ENKUlT_T0_E_clISt17integral_constantIbLb1EES1B_IbLb0EEEEDaS17_S18_EUlS17_E_NS1_11comp_targetILNS1_3genE10ELNS1_11target_archE1200ELNS1_3gpuE4ELNS1_3repE0EEENS1_30default_config_static_selectorELNS0_4arch9wavefront6targetE0EEEvT1_.has_recursion, 0
	.set _ZN7rocprim17ROCPRIM_400000_NS6detail17trampoline_kernelINS0_14default_configENS1_25partition_config_selectorILNS1_17partition_subalgoE8ElNS0_10empty_typeEbEEZZNS1_14partition_implILS5_8ELb0ES3_jPlPS6_PKS6_NS0_5tupleIJS9_S6_EEENSD_IJSA_SA_EEENS0_18inequality_wrapperIZN2at6native12_GLOBAL__N_124unique_dim_cuda_templateIsEESt5tupleIJNSH_6TensorESM_SM_EERKSM_lbbbEUlllE0_EEPmJS6_EEE10hipError_tPvRmT3_T4_T5_T6_T7_T9_mT8_P12ihipStream_tbDpT10_ENKUlT_T0_E_clISt17integral_constantIbLb1EES1B_IbLb0EEEEDaS17_S18_EUlS17_E_NS1_11comp_targetILNS1_3genE10ELNS1_11target_archE1200ELNS1_3gpuE4ELNS1_3repE0EEENS1_30default_config_static_selectorELNS0_4arch9wavefront6targetE0EEEvT1_.has_indirect_call, 0
	.section	.AMDGPU.csdata,"",@progbits
; Kernel info:
; codeLenInByte = 0
; TotalNumSgprs: 0
; NumVgprs: 0
; ScratchSize: 0
; MemoryBound: 0
; FloatMode: 240
; IeeeMode: 1
; LDSByteSize: 0 bytes/workgroup (compile time only)
; SGPRBlocks: 0
; VGPRBlocks: 0
; NumSGPRsForWavesPerEU: 1
; NumVGPRsForWavesPerEU: 1
; NamedBarCnt: 0
; Occupancy: 16
; WaveLimiterHint : 0
; COMPUTE_PGM_RSRC2:SCRATCH_EN: 0
; COMPUTE_PGM_RSRC2:USER_SGPR: 2
; COMPUTE_PGM_RSRC2:TRAP_HANDLER: 0
; COMPUTE_PGM_RSRC2:TGID_X_EN: 1
; COMPUTE_PGM_RSRC2:TGID_Y_EN: 0
; COMPUTE_PGM_RSRC2:TGID_Z_EN: 0
; COMPUTE_PGM_RSRC2:TIDIG_COMP_CNT: 0
	.section	.text._ZN7rocprim17ROCPRIM_400000_NS6detail17trampoline_kernelINS0_14default_configENS1_25partition_config_selectorILNS1_17partition_subalgoE8ElNS0_10empty_typeEbEEZZNS1_14partition_implILS5_8ELb0ES3_jPlPS6_PKS6_NS0_5tupleIJS9_S6_EEENSD_IJSA_SA_EEENS0_18inequality_wrapperIZN2at6native12_GLOBAL__N_124unique_dim_cuda_templateIsEESt5tupleIJNSH_6TensorESM_SM_EERKSM_lbbbEUlllE0_EEPmJS6_EEE10hipError_tPvRmT3_T4_T5_T6_T7_T9_mT8_P12ihipStream_tbDpT10_ENKUlT_T0_E_clISt17integral_constantIbLb1EES1B_IbLb0EEEEDaS17_S18_EUlS17_E_NS1_11comp_targetILNS1_3genE9ELNS1_11target_archE1100ELNS1_3gpuE3ELNS1_3repE0EEENS1_30default_config_static_selectorELNS0_4arch9wavefront6targetE0EEEvT1_,"axG",@progbits,_ZN7rocprim17ROCPRIM_400000_NS6detail17trampoline_kernelINS0_14default_configENS1_25partition_config_selectorILNS1_17partition_subalgoE8ElNS0_10empty_typeEbEEZZNS1_14partition_implILS5_8ELb0ES3_jPlPS6_PKS6_NS0_5tupleIJS9_S6_EEENSD_IJSA_SA_EEENS0_18inequality_wrapperIZN2at6native12_GLOBAL__N_124unique_dim_cuda_templateIsEESt5tupleIJNSH_6TensorESM_SM_EERKSM_lbbbEUlllE0_EEPmJS6_EEE10hipError_tPvRmT3_T4_T5_T6_T7_T9_mT8_P12ihipStream_tbDpT10_ENKUlT_T0_E_clISt17integral_constantIbLb1EES1B_IbLb0EEEEDaS17_S18_EUlS17_E_NS1_11comp_targetILNS1_3genE9ELNS1_11target_archE1100ELNS1_3gpuE3ELNS1_3repE0EEENS1_30default_config_static_selectorELNS0_4arch9wavefront6targetE0EEEvT1_,comdat
	.globl	_ZN7rocprim17ROCPRIM_400000_NS6detail17trampoline_kernelINS0_14default_configENS1_25partition_config_selectorILNS1_17partition_subalgoE8ElNS0_10empty_typeEbEEZZNS1_14partition_implILS5_8ELb0ES3_jPlPS6_PKS6_NS0_5tupleIJS9_S6_EEENSD_IJSA_SA_EEENS0_18inequality_wrapperIZN2at6native12_GLOBAL__N_124unique_dim_cuda_templateIsEESt5tupleIJNSH_6TensorESM_SM_EERKSM_lbbbEUlllE0_EEPmJS6_EEE10hipError_tPvRmT3_T4_T5_T6_T7_T9_mT8_P12ihipStream_tbDpT10_ENKUlT_T0_E_clISt17integral_constantIbLb1EES1B_IbLb0EEEEDaS17_S18_EUlS17_E_NS1_11comp_targetILNS1_3genE9ELNS1_11target_archE1100ELNS1_3gpuE3ELNS1_3repE0EEENS1_30default_config_static_selectorELNS0_4arch9wavefront6targetE0EEEvT1_ ; -- Begin function _ZN7rocprim17ROCPRIM_400000_NS6detail17trampoline_kernelINS0_14default_configENS1_25partition_config_selectorILNS1_17partition_subalgoE8ElNS0_10empty_typeEbEEZZNS1_14partition_implILS5_8ELb0ES3_jPlPS6_PKS6_NS0_5tupleIJS9_S6_EEENSD_IJSA_SA_EEENS0_18inequality_wrapperIZN2at6native12_GLOBAL__N_124unique_dim_cuda_templateIsEESt5tupleIJNSH_6TensorESM_SM_EERKSM_lbbbEUlllE0_EEPmJS6_EEE10hipError_tPvRmT3_T4_T5_T6_T7_T9_mT8_P12ihipStream_tbDpT10_ENKUlT_T0_E_clISt17integral_constantIbLb1EES1B_IbLb0EEEEDaS17_S18_EUlS17_E_NS1_11comp_targetILNS1_3genE9ELNS1_11target_archE1100ELNS1_3gpuE3ELNS1_3repE0EEENS1_30default_config_static_selectorELNS0_4arch9wavefront6targetE0EEEvT1_
	.p2align	8
	.type	_ZN7rocprim17ROCPRIM_400000_NS6detail17trampoline_kernelINS0_14default_configENS1_25partition_config_selectorILNS1_17partition_subalgoE8ElNS0_10empty_typeEbEEZZNS1_14partition_implILS5_8ELb0ES3_jPlPS6_PKS6_NS0_5tupleIJS9_S6_EEENSD_IJSA_SA_EEENS0_18inequality_wrapperIZN2at6native12_GLOBAL__N_124unique_dim_cuda_templateIsEESt5tupleIJNSH_6TensorESM_SM_EERKSM_lbbbEUlllE0_EEPmJS6_EEE10hipError_tPvRmT3_T4_T5_T6_T7_T9_mT8_P12ihipStream_tbDpT10_ENKUlT_T0_E_clISt17integral_constantIbLb1EES1B_IbLb0EEEEDaS17_S18_EUlS17_E_NS1_11comp_targetILNS1_3genE9ELNS1_11target_archE1100ELNS1_3gpuE3ELNS1_3repE0EEENS1_30default_config_static_selectorELNS0_4arch9wavefront6targetE0EEEvT1_,@function
_ZN7rocprim17ROCPRIM_400000_NS6detail17trampoline_kernelINS0_14default_configENS1_25partition_config_selectorILNS1_17partition_subalgoE8ElNS0_10empty_typeEbEEZZNS1_14partition_implILS5_8ELb0ES3_jPlPS6_PKS6_NS0_5tupleIJS9_S6_EEENSD_IJSA_SA_EEENS0_18inequality_wrapperIZN2at6native12_GLOBAL__N_124unique_dim_cuda_templateIsEESt5tupleIJNSH_6TensorESM_SM_EERKSM_lbbbEUlllE0_EEPmJS6_EEE10hipError_tPvRmT3_T4_T5_T6_T7_T9_mT8_P12ihipStream_tbDpT10_ENKUlT_T0_E_clISt17integral_constantIbLb1EES1B_IbLb0EEEEDaS17_S18_EUlS17_E_NS1_11comp_targetILNS1_3genE9ELNS1_11target_archE1100ELNS1_3gpuE3ELNS1_3repE0EEENS1_30default_config_static_selectorELNS0_4arch9wavefront6targetE0EEEvT1_: ; @_ZN7rocprim17ROCPRIM_400000_NS6detail17trampoline_kernelINS0_14default_configENS1_25partition_config_selectorILNS1_17partition_subalgoE8ElNS0_10empty_typeEbEEZZNS1_14partition_implILS5_8ELb0ES3_jPlPS6_PKS6_NS0_5tupleIJS9_S6_EEENSD_IJSA_SA_EEENS0_18inequality_wrapperIZN2at6native12_GLOBAL__N_124unique_dim_cuda_templateIsEESt5tupleIJNSH_6TensorESM_SM_EERKSM_lbbbEUlllE0_EEPmJS6_EEE10hipError_tPvRmT3_T4_T5_T6_T7_T9_mT8_P12ihipStream_tbDpT10_ENKUlT_T0_E_clISt17integral_constantIbLb1EES1B_IbLb0EEEEDaS17_S18_EUlS17_E_NS1_11comp_targetILNS1_3genE9ELNS1_11target_archE1100ELNS1_3gpuE3ELNS1_3repE0EEENS1_30default_config_static_selectorELNS0_4arch9wavefront6targetE0EEEvT1_
; %bb.0:
	.section	.rodata,"a",@progbits
	.p2align	6, 0x0
	.amdhsa_kernel _ZN7rocprim17ROCPRIM_400000_NS6detail17trampoline_kernelINS0_14default_configENS1_25partition_config_selectorILNS1_17partition_subalgoE8ElNS0_10empty_typeEbEEZZNS1_14partition_implILS5_8ELb0ES3_jPlPS6_PKS6_NS0_5tupleIJS9_S6_EEENSD_IJSA_SA_EEENS0_18inequality_wrapperIZN2at6native12_GLOBAL__N_124unique_dim_cuda_templateIsEESt5tupleIJNSH_6TensorESM_SM_EERKSM_lbbbEUlllE0_EEPmJS6_EEE10hipError_tPvRmT3_T4_T5_T6_T7_T9_mT8_P12ihipStream_tbDpT10_ENKUlT_T0_E_clISt17integral_constantIbLb1EES1B_IbLb0EEEEDaS17_S18_EUlS17_E_NS1_11comp_targetILNS1_3genE9ELNS1_11target_archE1100ELNS1_3gpuE3ELNS1_3repE0EEENS1_30default_config_static_selectorELNS0_4arch9wavefront6targetE0EEEvT1_
		.amdhsa_group_segment_fixed_size 0
		.amdhsa_private_segment_fixed_size 0
		.amdhsa_kernarg_size 120
		.amdhsa_user_sgpr_count 2
		.amdhsa_user_sgpr_dispatch_ptr 0
		.amdhsa_user_sgpr_queue_ptr 0
		.amdhsa_user_sgpr_kernarg_segment_ptr 1
		.amdhsa_user_sgpr_dispatch_id 0
		.amdhsa_user_sgpr_kernarg_preload_length 0
		.amdhsa_user_sgpr_kernarg_preload_offset 0
		.amdhsa_user_sgpr_private_segment_size 0
		.amdhsa_wavefront_size32 1
		.amdhsa_uses_dynamic_stack 0
		.amdhsa_enable_private_segment 0
		.amdhsa_system_sgpr_workgroup_id_x 1
		.amdhsa_system_sgpr_workgroup_id_y 0
		.amdhsa_system_sgpr_workgroup_id_z 0
		.amdhsa_system_sgpr_workgroup_info 0
		.amdhsa_system_vgpr_workitem_id 0
		.amdhsa_next_free_vgpr 1
		.amdhsa_next_free_sgpr 1
		.amdhsa_named_barrier_count 0
		.amdhsa_reserve_vcc 0
		.amdhsa_float_round_mode_32 0
		.amdhsa_float_round_mode_16_64 0
		.amdhsa_float_denorm_mode_32 3
		.amdhsa_float_denorm_mode_16_64 3
		.amdhsa_fp16_overflow 0
		.amdhsa_memory_ordered 1
		.amdhsa_forward_progress 1
		.amdhsa_inst_pref_size 0
		.amdhsa_round_robin_scheduling 0
		.amdhsa_exception_fp_ieee_invalid_op 0
		.amdhsa_exception_fp_denorm_src 0
		.amdhsa_exception_fp_ieee_div_zero 0
		.amdhsa_exception_fp_ieee_overflow 0
		.amdhsa_exception_fp_ieee_underflow 0
		.amdhsa_exception_fp_ieee_inexact 0
		.amdhsa_exception_int_div_zero 0
	.end_amdhsa_kernel
	.section	.text._ZN7rocprim17ROCPRIM_400000_NS6detail17trampoline_kernelINS0_14default_configENS1_25partition_config_selectorILNS1_17partition_subalgoE8ElNS0_10empty_typeEbEEZZNS1_14partition_implILS5_8ELb0ES3_jPlPS6_PKS6_NS0_5tupleIJS9_S6_EEENSD_IJSA_SA_EEENS0_18inequality_wrapperIZN2at6native12_GLOBAL__N_124unique_dim_cuda_templateIsEESt5tupleIJNSH_6TensorESM_SM_EERKSM_lbbbEUlllE0_EEPmJS6_EEE10hipError_tPvRmT3_T4_T5_T6_T7_T9_mT8_P12ihipStream_tbDpT10_ENKUlT_T0_E_clISt17integral_constantIbLb1EES1B_IbLb0EEEEDaS17_S18_EUlS17_E_NS1_11comp_targetILNS1_3genE9ELNS1_11target_archE1100ELNS1_3gpuE3ELNS1_3repE0EEENS1_30default_config_static_selectorELNS0_4arch9wavefront6targetE0EEEvT1_,"axG",@progbits,_ZN7rocprim17ROCPRIM_400000_NS6detail17trampoline_kernelINS0_14default_configENS1_25partition_config_selectorILNS1_17partition_subalgoE8ElNS0_10empty_typeEbEEZZNS1_14partition_implILS5_8ELb0ES3_jPlPS6_PKS6_NS0_5tupleIJS9_S6_EEENSD_IJSA_SA_EEENS0_18inequality_wrapperIZN2at6native12_GLOBAL__N_124unique_dim_cuda_templateIsEESt5tupleIJNSH_6TensorESM_SM_EERKSM_lbbbEUlllE0_EEPmJS6_EEE10hipError_tPvRmT3_T4_T5_T6_T7_T9_mT8_P12ihipStream_tbDpT10_ENKUlT_T0_E_clISt17integral_constantIbLb1EES1B_IbLb0EEEEDaS17_S18_EUlS17_E_NS1_11comp_targetILNS1_3genE9ELNS1_11target_archE1100ELNS1_3gpuE3ELNS1_3repE0EEENS1_30default_config_static_selectorELNS0_4arch9wavefront6targetE0EEEvT1_,comdat
.Lfunc_end707:
	.size	_ZN7rocprim17ROCPRIM_400000_NS6detail17trampoline_kernelINS0_14default_configENS1_25partition_config_selectorILNS1_17partition_subalgoE8ElNS0_10empty_typeEbEEZZNS1_14partition_implILS5_8ELb0ES3_jPlPS6_PKS6_NS0_5tupleIJS9_S6_EEENSD_IJSA_SA_EEENS0_18inequality_wrapperIZN2at6native12_GLOBAL__N_124unique_dim_cuda_templateIsEESt5tupleIJNSH_6TensorESM_SM_EERKSM_lbbbEUlllE0_EEPmJS6_EEE10hipError_tPvRmT3_T4_T5_T6_T7_T9_mT8_P12ihipStream_tbDpT10_ENKUlT_T0_E_clISt17integral_constantIbLb1EES1B_IbLb0EEEEDaS17_S18_EUlS17_E_NS1_11comp_targetILNS1_3genE9ELNS1_11target_archE1100ELNS1_3gpuE3ELNS1_3repE0EEENS1_30default_config_static_selectorELNS0_4arch9wavefront6targetE0EEEvT1_, .Lfunc_end707-_ZN7rocprim17ROCPRIM_400000_NS6detail17trampoline_kernelINS0_14default_configENS1_25partition_config_selectorILNS1_17partition_subalgoE8ElNS0_10empty_typeEbEEZZNS1_14partition_implILS5_8ELb0ES3_jPlPS6_PKS6_NS0_5tupleIJS9_S6_EEENSD_IJSA_SA_EEENS0_18inequality_wrapperIZN2at6native12_GLOBAL__N_124unique_dim_cuda_templateIsEESt5tupleIJNSH_6TensorESM_SM_EERKSM_lbbbEUlllE0_EEPmJS6_EEE10hipError_tPvRmT3_T4_T5_T6_T7_T9_mT8_P12ihipStream_tbDpT10_ENKUlT_T0_E_clISt17integral_constantIbLb1EES1B_IbLb0EEEEDaS17_S18_EUlS17_E_NS1_11comp_targetILNS1_3genE9ELNS1_11target_archE1100ELNS1_3gpuE3ELNS1_3repE0EEENS1_30default_config_static_selectorELNS0_4arch9wavefront6targetE0EEEvT1_
                                        ; -- End function
	.set _ZN7rocprim17ROCPRIM_400000_NS6detail17trampoline_kernelINS0_14default_configENS1_25partition_config_selectorILNS1_17partition_subalgoE8ElNS0_10empty_typeEbEEZZNS1_14partition_implILS5_8ELb0ES3_jPlPS6_PKS6_NS0_5tupleIJS9_S6_EEENSD_IJSA_SA_EEENS0_18inequality_wrapperIZN2at6native12_GLOBAL__N_124unique_dim_cuda_templateIsEESt5tupleIJNSH_6TensorESM_SM_EERKSM_lbbbEUlllE0_EEPmJS6_EEE10hipError_tPvRmT3_T4_T5_T6_T7_T9_mT8_P12ihipStream_tbDpT10_ENKUlT_T0_E_clISt17integral_constantIbLb1EES1B_IbLb0EEEEDaS17_S18_EUlS17_E_NS1_11comp_targetILNS1_3genE9ELNS1_11target_archE1100ELNS1_3gpuE3ELNS1_3repE0EEENS1_30default_config_static_selectorELNS0_4arch9wavefront6targetE0EEEvT1_.num_vgpr, 0
	.set _ZN7rocprim17ROCPRIM_400000_NS6detail17trampoline_kernelINS0_14default_configENS1_25partition_config_selectorILNS1_17partition_subalgoE8ElNS0_10empty_typeEbEEZZNS1_14partition_implILS5_8ELb0ES3_jPlPS6_PKS6_NS0_5tupleIJS9_S6_EEENSD_IJSA_SA_EEENS0_18inequality_wrapperIZN2at6native12_GLOBAL__N_124unique_dim_cuda_templateIsEESt5tupleIJNSH_6TensorESM_SM_EERKSM_lbbbEUlllE0_EEPmJS6_EEE10hipError_tPvRmT3_T4_T5_T6_T7_T9_mT8_P12ihipStream_tbDpT10_ENKUlT_T0_E_clISt17integral_constantIbLb1EES1B_IbLb0EEEEDaS17_S18_EUlS17_E_NS1_11comp_targetILNS1_3genE9ELNS1_11target_archE1100ELNS1_3gpuE3ELNS1_3repE0EEENS1_30default_config_static_selectorELNS0_4arch9wavefront6targetE0EEEvT1_.num_agpr, 0
	.set _ZN7rocprim17ROCPRIM_400000_NS6detail17trampoline_kernelINS0_14default_configENS1_25partition_config_selectorILNS1_17partition_subalgoE8ElNS0_10empty_typeEbEEZZNS1_14partition_implILS5_8ELb0ES3_jPlPS6_PKS6_NS0_5tupleIJS9_S6_EEENSD_IJSA_SA_EEENS0_18inequality_wrapperIZN2at6native12_GLOBAL__N_124unique_dim_cuda_templateIsEESt5tupleIJNSH_6TensorESM_SM_EERKSM_lbbbEUlllE0_EEPmJS6_EEE10hipError_tPvRmT3_T4_T5_T6_T7_T9_mT8_P12ihipStream_tbDpT10_ENKUlT_T0_E_clISt17integral_constantIbLb1EES1B_IbLb0EEEEDaS17_S18_EUlS17_E_NS1_11comp_targetILNS1_3genE9ELNS1_11target_archE1100ELNS1_3gpuE3ELNS1_3repE0EEENS1_30default_config_static_selectorELNS0_4arch9wavefront6targetE0EEEvT1_.numbered_sgpr, 0
	.set _ZN7rocprim17ROCPRIM_400000_NS6detail17trampoline_kernelINS0_14default_configENS1_25partition_config_selectorILNS1_17partition_subalgoE8ElNS0_10empty_typeEbEEZZNS1_14partition_implILS5_8ELb0ES3_jPlPS6_PKS6_NS0_5tupleIJS9_S6_EEENSD_IJSA_SA_EEENS0_18inequality_wrapperIZN2at6native12_GLOBAL__N_124unique_dim_cuda_templateIsEESt5tupleIJNSH_6TensorESM_SM_EERKSM_lbbbEUlllE0_EEPmJS6_EEE10hipError_tPvRmT3_T4_T5_T6_T7_T9_mT8_P12ihipStream_tbDpT10_ENKUlT_T0_E_clISt17integral_constantIbLb1EES1B_IbLb0EEEEDaS17_S18_EUlS17_E_NS1_11comp_targetILNS1_3genE9ELNS1_11target_archE1100ELNS1_3gpuE3ELNS1_3repE0EEENS1_30default_config_static_selectorELNS0_4arch9wavefront6targetE0EEEvT1_.num_named_barrier, 0
	.set _ZN7rocprim17ROCPRIM_400000_NS6detail17trampoline_kernelINS0_14default_configENS1_25partition_config_selectorILNS1_17partition_subalgoE8ElNS0_10empty_typeEbEEZZNS1_14partition_implILS5_8ELb0ES3_jPlPS6_PKS6_NS0_5tupleIJS9_S6_EEENSD_IJSA_SA_EEENS0_18inequality_wrapperIZN2at6native12_GLOBAL__N_124unique_dim_cuda_templateIsEESt5tupleIJNSH_6TensorESM_SM_EERKSM_lbbbEUlllE0_EEPmJS6_EEE10hipError_tPvRmT3_T4_T5_T6_T7_T9_mT8_P12ihipStream_tbDpT10_ENKUlT_T0_E_clISt17integral_constantIbLb1EES1B_IbLb0EEEEDaS17_S18_EUlS17_E_NS1_11comp_targetILNS1_3genE9ELNS1_11target_archE1100ELNS1_3gpuE3ELNS1_3repE0EEENS1_30default_config_static_selectorELNS0_4arch9wavefront6targetE0EEEvT1_.private_seg_size, 0
	.set _ZN7rocprim17ROCPRIM_400000_NS6detail17trampoline_kernelINS0_14default_configENS1_25partition_config_selectorILNS1_17partition_subalgoE8ElNS0_10empty_typeEbEEZZNS1_14partition_implILS5_8ELb0ES3_jPlPS6_PKS6_NS0_5tupleIJS9_S6_EEENSD_IJSA_SA_EEENS0_18inequality_wrapperIZN2at6native12_GLOBAL__N_124unique_dim_cuda_templateIsEESt5tupleIJNSH_6TensorESM_SM_EERKSM_lbbbEUlllE0_EEPmJS6_EEE10hipError_tPvRmT3_T4_T5_T6_T7_T9_mT8_P12ihipStream_tbDpT10_ENKUlT_T0_E_clISt17integral_constantIbLb1EES1B_IbLb0EEEEDaS17_S18_EUlS17_E_NS1_11comp_targetILNS1_3genE9ELNS1_11target_archE1100ELNS1_3gpuE3ELNS1_3repE0EEENS1_30default_config_static_selectorELNS0_4arch9wavefront6targetE0EEEvT1_.uses_vcc, 0
	.set _ZN7rocprim17ROCPRIM_400000_NS6detail17trampoline_kernelINS0_14default_configENS1_25partition_config_selectorILNS1_17partition_subalgoE8ElNS0_10empty_typeEbEEZZNS1_14partition_implILS5_8ELb0ES3_jPlPS6_PKS6_NS0_5tupleIJS9_S6_EEENSD_IJSA_SA_EEENS0_18inequality_wrapperIZN2at6native12_GLOBAL__N_124unique_dim_cuda_templateIsEESt5tupleIJNSH_6TensorESM_SM_EERKSM_lbbbEUlllE0_EEPmJS6_EEE10hipError_tPvRmT3_T4_T5_T6_T7_T9_mT8_P12ihipStream_tbDpT10_ENKUlT_T0_E_clISt17integral_constantIbLb1EES1B_IbLb0EEEEDaS17_S18_EUlS17_E_NS1_11comp_targetILNS1_3genE9ELNS1_11target_archE1100ELNS1_3gpuE3ELNS1_3repE0EEENS1_30default_config_static_selectorELNS0_4arch9wavefront6targetE0EEEvT1_.uses_flat_scratch, 0
	.set _ZN7rocprim17ROCPRIM_400000_NS6detail17trampoline_kernelINS0_14default_configENS1_25partition_config_selectorILNS1_17partition_subalgoE8ElNS0_10empty_typeEbEEZZNS1_14partition_implILS5_8ELb0ES3_jPlPS6_PKS6_NS0_5tupleIJS9_S6_EEENSD_IJSA_SA_EEENS0_18inequality_wrapperIZN2at6native12_GLOBAL__N_124unique_dim_cuda_templateIsEESt5tupleIJNSH_6TensorESM_SM_EERKSM_lbbbEUlllE0_EEPmJS6_EEE10hipError_tPvRmT3_T4_T5_T6_T7_T9_mT8_P12ihipStream_tbDpT10_ENKUlT_T0_E_clISt17integral_constantIbLb1EES1B_IbLb0EEEEDaS17_S18_EUlS17_E_NS1_11comp_targetILNS1_3genE9ELNS1_11target_archE1100ELNS1_3gpuE3ELNS1_3repE0EEENS1_30default_config_static_selectorELNS0_4arch9wavefront6targetE0EEEvT1_.has_dyn_sized_stack, 0
	.set _ZN7rocprim17ROCPRIM_400000_NS6detail17trampoline_kernelINS0_14default_configENS1_25partition_config_selectorILNS1_17partition_subalgoE8ElNS0_10empty_typeEbEEZZNS1_14partition_implILS5_8ELb0ES3_jPlPS6_PKS6_NS0_5tupleIJS9_S6_EEENSD_IJSA_SA_EEENS0_18inequality_wrapperIZN2at6native12_GLOBAL__N_124unique_dim_cuda_templateIsEESt5tupleIJNSH_6TensorESM_SM_EERKSM_lbbbEUlllE0_EEPmJS6_EEE10hipError_tPvRmT3_T4_T5_T6_T7_T9_mT8_P12ihipStream_tbDpT10_ENKUlT_T0_E_clISt17integral_constantIbLb1EES1B_IbLb0EEEEDaS17_S18_EUlS17_E_NS1_11comp_targetILNS1_3genE9ELNS1_11target_archE1100ELNS1_3gpuE3ELNS1_3repE0EEENS1_30default_config_static_selectorELNS0_4arch9wavefront6targetE0EEEvT1_.has_recursion, 0
	.set _ZN7rocprim17ROCPRIM_400000_NS6detail17trampoline_kernelINS0_14default_configENS1_25partition_config_selectorILNS1_17partition_subalgoE8ElNS0_10empty_typeEbEEZZNS1_14partition_implILS5_8ELb0ES3_jPlPS6_PKS6_NS0_5tupleIJS9_S6_EEENSD_IJSA_SA_EEENS0_18inequality_wrapperIZN2at6native12_GLOBAL__N_124unique_dim_cuda_templateIsEESt5tupleIJNSH_6TensorESM_SM_EERKSM_lbbbEUlllE0_EEPmJS6_EEE10hipError_tPvRmT3_T4_T5_T6_T7_T9_mT8_P12ihipStream_tbDpT10_ENKUlT_T0_E_clISt17integral_constantIbLb1EES1B_IbLb0EEEEDaS17_S18_EUlS17_E_NS1_11comp_targetILNS1_3genE9ELNS1_11target_archE1100ELNS1_3gpuE3ELNS1_3repE0EEENS1_30default_config_static_selectorELNS0_4arch9wavefront6targetE0EEEvT1_.has_indirect_call, 0
	.section	.AMDGPU.csdata,"",@progbits
; Kernel info:
; codeLenInByte = 0
; TotalNumSgprs: 0
; NumVgprs: 0
; ScratchSize: 0
; MemoryBound: 0
; FloatMode: 240
; IeeeMode: 1
; LDSByteSize: 0 bytes/workgroup (compile time only)
; SGPRBlocks: 0
; VGPRBlocks: 0
; NumSGPRsForWavesPerEU: 1
; NumVGPRsForWavesPerEU: 1
; NamedBarCnt: 0
; Occupancy: 16
; WaveLimiterHint : 0
; COMPUTE_PGM_RSRC2:SCRATCH_EN: 0
; COMPUTE_PGM_RSRC2:USER_SGPR: 2
; COMPUTE_PGM_RSRC2:TRAP_HANDLER: 0
; COMPUTE_PGM_RSRC2:TGID_X_EN: 1
; COMPUTE_PGM_RSRC2:TGID_Y_EN: 0
; COMPUTE_PGM_RSRC2:TGID_Z_EN: 0
; COMPUTE_PGM_RSRC2:TIDIG_COMP_CNT: 0
	.section	.text._ZN7rocprim17ROCPRIM_400000_NS6detail17trampoline_kernelINS0_14default_configENS1_25partition_config_selectorILNS1_17partition_subalgoE8ElNS0_10empty_typeEbEEZZNS1_14partition_implILS5_8ELb0ES3_jPlPS6_PKS6_NS0_5tupleIJS9_S6_EEENSD_IJSA_SA_EEENS0_18inequality_wrapperIZN2at6native12_GLOBAL__N_124unique_dim_cuda_templateIsEESt5tupleIJNSH_6TensorESM_SM_EERKSM_lbbbEUlllE0_EEPmJS6_EEE10hipError_tPvRmT3_T4_T5_T6_T7_T9_mT8_P12ihipStream_tbDpT10_ENKUlT_T0_E_clISt17integral_constantIbLb1EES1B_IbLb0EEEEDaS17_S18_EUlS17_E_NS1_11comp_targetILNS1_3genE8ELNS1_11target_archE1030ELNS1_3gpuE2ELNS1_3repE0EEENS1_30default_config_static_selectorELNS0_4arch9wavefront6targetE0EEEvT1_,"axG",@progbits,_ZN7rocprim17ROCPRIM_400000_NS6detail17trampoline_kernelINS0_14default_configENS1_25partition_config_selectorILNS1_17partition_subalgoE8ElNS0_10empty_typeEbEEZZNS1_14partition_implILS5_8ELb0ES3_jPlPS6_PKS6_NS0_5tupleIJS9_S6_EEENSD_IJSA_SA_EEENS0_18inequality_wrapperIZN2at6native12_GLOBAL__N_124unique_dim_cuda_templateIsEESt5tupleIJNSH_6TensorESM_SM_EERKSM_lbbbEUlllE0_EEPmJS6_EEE10hipError_tPvRmT3_T4_T5_T6_T7_T9_mT8_P12ihipStream_tbDpT10_ENKUlT_T0_E_clISt17integral_constantIbLb1EES1B_IbLb0EEEEDaS17_S18_EUlS17_E_NS1_11comp_targetILNS1_3genE8ELNS1_11target_archE1030ELNS1_3gpuE2ELNS1_3repE0EEENS1_30default_config_static_selectorELNS0_4arch9wavefront6targetE0EEEvT1_,comdat
	.globl	_ZN7rocprim17ROCPRIM_400000_NS6detail17trampoline_kernelINS0_14default_configENS1_25partition_config_selectorILNS1_17partition_subalgoE8ElNS0_10empty_typeEbEEZZNS1_14partition_implILS5_8ELb0ES3_jPlPS6_PKS6_NS0_5tupleIJS9_S6_EEENSD_IJSA_SA_EEENS0_18inequality_wrapperIZN2at6native12_GLOBAL__N_124unique_dim_cuda_templateIsEESt5tupleIJNSH_6TensorESM_SM_EERKSM_lbbbEUlllE0_EEPmJS6_EEE10hipError_tPvRmT3_T4_T5_T6_T7_T9_mT8_P12ihipStream_tbDpT10_ENKUlT_T0_E_clISt17integral_constantIbLb1EES1B_IbLb0EEEEDaS17_S18_EUlS17_E_NS1_11comp_targetILNS1_3genE8ELNS1_11target_archE1030ELNS1_3gpuE2ELNS1_3repE0EEENS1_30default_config_static_selectorELNS0_4arch9wavefront6targetE0EEEvT1_ ; -- Begin function _ZN7rocprim17ROCPRIM_400000_NS6detail17trampoline_kernelINS0_14default_configENS1_25partition_config_selectorILNS1_17partition_subalgoE8ElNS0_10empty_typeEbEEZZNS1_14partition_implILS5_8ELb0ES3_jPlPS6_PKS6_NS0_5tupleIJS9_S6_EEENSD_IJSA_SA_EEENS0_18inequality_wrapperIZN2at6native12_GLOBAL__N_124unique_dim_cuda_templateIsEESt5tupleIJNSH_6TensorESM_SM_EERKSM_lbbbEUlllE0_EEPmJS6_EEE10hipError_tPvRmT3_T4_T5_T6_T7_T9_mT8_P12ihipStream_tbDpT10_ENKUlT_T0_E_clISt17integral_constantIbLb1EES1B_IbLb0EEEEDaS17_S18_EUlS17_E_NS1_11comp_targetILNS1_3genE8ELNS1_11target_archE1030ELNS1_3gpuE2ELNS1_3repE0EEENS1_30default_config_static_selectorELNS0_4arch9wavefront6targetE0EEEvT1_
	.p2align	8
	.type	_ZN7rocprim17ROCPRIM_400000_NS6detail17trampoline_kernelINS0_14default_configENS1_25partition_config_selectorILNS1_17partition_subalgoE8ElNS0_10empty_typeEbEEZZNS1_14partition_implILS5_8ELb0ES3_jPlPS6_PKS6_NS0_5tupleIJS9_S6_EEENSD_IJSA_SA_EEENS0_18inequality_wrapperIZN2at6native12_GLOBAL__N_124unique_dim_cuda_templateIsEESt5tupleIJNSH_6TensorESM_SM_EERKSM_lbbbEUlllE0_EEPmJS6_EEE10hipError_tPvRmT3_T4_T5_T6_T7_T9_mT8_P12ihipStream_tbDpT10_ENKUlT_T0_E_clISt17integral_constantIbLb1EES1B_IbLb0EEEEDaS17_S18_EUlS17_E_NS1_11comp_targetILNS1_3genE8ELNS1_11target_archE1030ELNS1_3gpuE2ELNS1_3repE0EEENS1_30default_config_static_selectorELNS0_4arch9wavefront6targetE0EEEvT1_,@function
_ZN7rocprim17ROCPRIM_400000_NS6detail17trampoline_kernelINS0_14default_configENS1_25partition_config_selectorILNS1_17partition_subalgoE8ElNS0_10empty_typeEbEEZZNS1_14partition_implILS5_8ELb0ES3_jPlPS6_PKS6_NS0_5tupleIJS9_S6_EEENSD_IJSA_SA_EEENS0_18inequality_wrapperIZN2at6native12_GLOBAL__N_124unique_dim_cuda_templateIsEESt5tupleIJNSH_6TensorESM_SM_EERKSM_lbbbEUlllE0_EEPmJS6_EEE10hipError_tPvRmT3_T4_T5_T6_T7_T9_mT8_P12ihipStream_tbDpT10_ENKUlT_T0_E_clISt17integral_constantIbLb1EES1B_IbLb0EEEEDaS17_S18_EUlS17_E_NS1_11comp_targetILNS1_3genE8ELNS1_11target_archE1030ELNS1_3gpuE2ELNS1_3repE0EEENS1_30default_config_static_selectorELNS0_4arch9wavefront6targetE0EEEvT1_: ; @_ZN7rocprim17ROCPRIM_400000_NS6detail17trampoline_kernelINS0_14default_configENS1_25partition_config_selectorILNS1_17partition_subalgoE8ElNS0_10empty_typeEbEEZZNS1_14partition_implILS5_8ELb0ES3_jPlPS6_PKS6_NS0_5tupleIJS9_S6_EEENSD_IJSA_SA_EEENS0_18inequality_wrapperIZN2at6native12_GLOBAL__N_124unique_dim_cuda_templateIsEESt5tupleIJNSH_6TensorESM_SM_EERKSM_lbbbEUlllE0_EEPmJS6_EEE10hipError_tPvRmT3_T4_T5_T6_T7_T9_mT8_P12ihipStream_tbDpT10_ENKUlT_T0_E_clISt17integral_constantIbLb1EES1B_IbLb0EEEEDaS17_S18_EUlS17_E_NS1_11comp_targetILNS1_3genE8ELNS1_11target_archE1030ELNS1_3gpuE2ELNS1_3repE0EEENS1_30default_config_static_selectorELNS0_4arch9wavefront6targetE0EEEvT1_
; %bb.0:
	.section	.rodata,"a",@progbits
	.p2align	6, 0x0
	.amdhsa_kernel _ZN7rocprim17ROCPRIM_400000_NS6detail17trampoline_kernelINS0_14default_configENS1_25partition_config_selectorILNS1_17partition_subalgoE8ElNS0_10empty_typeEbEEZZNS1_14partition_implILS5_8ELb0ES3_jPlPS6_PKS6_NS0_5tupleIJS9_S6_EEENSD_IJSA_SA_EEENS0_18inequality_wrapperIZN2at6native12_GLOBAL__N_124unique_dim_cuda_templateIsEESt5tupleIJNSH_6TensorESM_SM_EERKSM_lbbbEUlllE0_EEPmJS6_EEE10hipError_tPvRmT3_T4_T5_T6_T7_T9_mT8_P12ihipStream_tbDpT10_ENKUlT_T0_E_clISt17integral_constantIbLb1EES1B_IbLb0EEEEDaS17_S18_EUlS17_E_NS1_11comp_targetILNS1_3genE8ELNS1_11target_archE1030ELNS1_3gpuE2ELNS1_3repE0EEENS1_30default_config_static_selectorELNS0_4arch9wavefront6targetE0EEEvT1_
		.amdhsa_group_segment_fixed_size 0
		.amdhsa_private_segment_fixed_size 0
		.amdhsa_kernarg_size 120
		.amdhsa_user_sgpr_count 2
		.amdhsa_user_sgpr_dispatch_ptr 0
		.amdhsa_user_sgpr_queue_ptr 0
		.amdhsa_user_sgpr_kernarg_segment_ptr 1
		.amdhsa_user_sgpr_dispatch_id 0
		.amdhsa_user_sgpr_kernarg_preload_length 0
		.amdhsa_user_sgpr_kernarg_preload_offset 0
		.amdhsa_user_sgpr_private_segment_size 0
		.amdhsa_wavefront_size32 1
		.amdhsa_uses_dynamic_stack 0
		.amdhsa_enable_private_segment 0
		.amdhsa_system_sgpr_workgroup_id_x 1
		.amdhsa_system_sgpr_workgroup_id_y 0
		.amdhsa_system_sgpr_workgroup_id_z 0
		.amdhsa_system_sgpr_workgroup_info 0
		.amdhsa_system_vgpr_workitem_id 0
		.amdhsa_next_free_vgpr 1
		.amdhsa_next_free_sgpr 1
		.amdhsa_named_barrier_count 0
		.amdhsa_reserve_vcc 0
		.amdhsa_float_round_mode_32 0
		.amdhsa_float_round_mode_16_64 0
		.amdhsa_float_denorm_mode_32 3
		.amdhsa_float_denorm_mode_16_64 3
		.amdhsa_fp16_overflow 0
		.amdhsa_memory_ordered 1
		.amdhsa_forward_progress 1
		.amdhsa_inst_pref_size 0
		.amdhsa_round_robin_scheduling 0
		.amdhsa_exception_fp_ieee_invalid_op 0
		.amdhsa_exception_fp_denorm_src 0
		.amdhsa_exception_fp_ieee_div_zero 0
		.amdhsa_exception_fp_ieee_overflow 0
		.amdhsa_exception_fp_ieee_underflow 0
		.amdhsa_exception_fp_ieee_inexact 0
		.amdhsa_exception_int_div_zero 0
	.end_amdhsa_kernel
	.section	.text._ZN7rocprim17ROCPRIM_400000_NS6detail17trampoline_kernelINS0_14default_configENS1_25partition_config_selectorILNS1_17partition_subalgoE8ElNS0_10empty_typeEbEEZZNS1_14partition_implILS5_8ELb0ES3_jPlPS6_PKS6_NS0_5tupleIJS9_S6_EEENSD_IJSA_SA_EEENS0_18inequality_wrapperIZN2at6native12_GLOBAL__N_124unique_dim_cuda_templateIsEESt5tupleIJNSH_6TensorESM_SM_EERKSM_lbbbEUlllE0_EEPmJS6_EEE10hipError_tPvRmT3_T4_T5_T6_T7_T9_mT8_P12ihipStream_tbDpT10_ENKUlT_T0_E_clISt17integral_constantIbLb1EES1B_IbLb0EEEEDaS17_S18_EUlS17_E_NS1_11comp_targetILNS1_3genE8ELNS1_11target_archE1030ELNS1_3gpuE2ELNS1_3repE0EEENS1_30default_config_static_selectorELNS0_4arch9wavefront6targetE0EEEvT1_,"axG",@progbits,_ZN7rocprim17ROCPRIM_400000_NS6detail17trampoline_kernelINS0_14default_configENS1_25partition_config_selectorILNS1_17partition_subalgoE8ElNS0_10empty_typeEbEEZZNS1_14partition_implILS5_8ELb0ES3_jPlPS6_PKS6_NS0_5tupleIJS9_S6_EEENSD_IJSA_SA_EEENS0_18inequality_wrapperIZN2at6native12_GLOBAL__N_124unique_dim_cuda_templateIsEESt5tupleIJNSH_6TensorESM_SM_EERKSM_lbbbEUlllE0_EEPmJS6_EEE10hipError_tPvRmT3_T4_T5_T6_T7_T9_mT8_P12ihipStream_tbDpT10_ENKUlT_T0_E_clISt17integral_constantIbLb1EES1B_IbLb0EEEEDaS17_S18_EUlS17_E_NS1_11comp_targetILNS1_3genE8ELNS1_11target_archE1030ELNS1_3gpuE2ELNS1_3repE0EEENS1_30default_config_static_selectorELNS0_4arch9wavefront6targetE0EEEvT1_,comdat
.Lfunc_end708:
	.size	_ZN7rocprim17ROCPRIM_400000_NS6detail17trampoline_kernelINS0_14default_configENS1_25partition_config_selectorILNS1_17partition_subalgoE8ElNS0_10empty_typeEbEEZZNS1_14partition_implILS5_8ELb0ES3_jPlPS6_PKS6_NS0_5tupleIJS9_S6_EEENSD_IJSA_SA_EEENS0_18inequality_wrapperIZN2at6native12_GLOBAL__N_124unique_dim_cuda_templateIsEESt5tupleIJNSH_6TensorESM_SM_EERKSM_lbbbEUlllE0_EEPmJS6_EEE10hipError_tPvRmT3_T4_T5_T6_T7_T9_mT8_P12ihipStream_tbDpT10_ENKUlT_T0_E_clISt17integral_constantIbLb1EES1B_IbLb0EEEEDaS17_S18_EUlS17_E_NS1_11comp_targetILNS1_3genE8ELNS1_11target_archE1030ELNS1_3gpuE2ELNS1_3repE0EEENS1_30default_config_static_selectorELNS0_4arch9wavefront6targetE0EEEvT1_, .Lfunc_end708-_ZN7rocprim17ROCPRIM_400000_NS6detail17trampoline_kernelINS0_14default_configENS1_25partition_config_selectorILNS1_17partition_subalgoE8ElNS0_10empty_typeEbEEZZNS1_14partition_implILS5_8ELb0ES3_jPlPS6_PKS6_NS0_5tupleIJS9_S6_EEENSD_IJSA_SA_EEENS0_18inequality_wrapperIZN2at6native12_GLOBAL__N_124unique_dim_cuda_templateIsEESt5tupleIJNSH_6TensorESM_SM_EERKSM_lbbbEUlllE0_EEPmJS6_EEE10hipError_tPvRmT3_T4_T5_T6_T7_T9_mT8_P12ihipStream_tbDpT10_ENKUlT_T0_E_clISt17integral_constantIbLb1EES1B_IbLb0EEEEDaS17_S18_EUlS17_E_NS1_11comp_targetILNS1_3genE8ELNS1_11target_archE1030ELNS1_3gpuE2ELNS1_3repE0EEENS1_30default_config_static_selectorELNS0_4arch9wavefront6targetE0EEEvT1_
                                        ; -- End function
	.set _ZN7rocprim17ROCPRIM_400000_NS6detail17trampoline_kernelINS0_14default_configENS1_25partition_config_selectorILNS1_17partition_subalgoE8ElNS0_10empty_typeEbEEZZNS1_14partition_implILS5_8ELb0ES3_jPlPS6_PKS6_NS0_5tupleIJS9_S6_EEENSD_IJSA_SA_EEENS0_18inequality_wrapperIZN2at6native12_GLOBAL__N_124unique_dim_cuda_templateIsEESt5tupleIJNSH_6TensorESM_SM_EERKSM_lbbbEUlllE0_EEPmJS6_EEE10hipError_tPvRmT3_T4_T5_T6_T7_T9_mT8_P12ihipStream_tbDpT10_ENKUlT_T0_E_clISt17integral_constantIbLb1EES1B_IbLb0EEEEDaS17_S18_EUlS17_E_NS1_11comp_targetILNS1_3genE8ELNS1_11target_archE1030ELNS1_3gpuE2ELNS1_3repE0EEENS1_30default_config_static_selectorELNS0_4arch9wavefront6targetE0EEEvT1_.num_vgpr, 0
	.set _ZN7rocprim17ROCPRIM_400000_NS6detail17trampoline_kernelINS0_14default_configENS1_25partition_config_selectorILNS1_17partition_subalgoE8ElNS0_10empty_typeEbEEZZNS1_14partition_implILS5_8ELb0ES3_jPlPS6_PKS6_NS0_5tupleIJS9_S6_EEENSD_IJSA_SA_EEENS0_18inequality_wrapperIZN2at6native12_GLOBAL__N_124unique_dim_cuda_templateIsEESt5tupleIJNSH_6TensorESM_SM_EERKSM_lbbbEUlllE0_EEPmJS6_EEE10hipError_tPvRmT3_T4_T5_T6_T7_T9_mT8_P12ihipStream_tbDpT10_ENKUlT_T0_E_clISt17integral_constantIbLb1EES1B_IbLb0EEEEDaS17_S18_EUlS17_E_NS1_11comp_targetILNS1_3genE8ELNS1_11target_archE1030ELNS1_3gpuE2ELNS1_3repE0EEENS1_30default_config_static_selectorELNS0_4arch9wavefront6targetE0EEEvT1_.num_agpr, 0
	.set _ZN7rocprim17ROCPRIM_400000_NS6detail17trampoline_kernelINS0_14default_configENS1_25partition_config_selectorILNS1_17partition_subalgoE8ElNS0_10empty_typeEbEEZZNS1_14partition_implILS5_8ELb0ES3_jPlPS6_PKS6_NS0_5tupleIJS9_S6_EEENSD_IJSA_SA_EEENS0_18inequality_wrapperIZN2at6native12_GLOBAL__N_124unique_dim_cuda_templateIsEESt5tupleIJNSH_6TensorESM_SM_EERKSM_lbbbEUlllE0_EEPmJS6_EEE10hipError_tPvRmT3_T4_T5_T6_T7_T9_mT8_P12ihipStream_tbDpT10_ENKUlT_T0_E_clISt17integral_constantIbLb1EES1B_IbLb0EEEEDaS17_S18_EUlS17_E_NS1_11comp_targetILNS1_3genE8ELNS1_11target_archE1030ELNS1_3gpuE2ELNS1_3repE0EEENS1_30default_config_static_selectorELNS0_4arch9wavefront6targetE0EEEvT1_.numbered_sgpr, 0
	.set _ZN7rocprim17ROCPRIM_400000_NS6detail17trampoline_kernelINS0_14default_configENS1_25partition_config_selectorILNS1_17partition_subalgoE8ElNS0_10empty_typeEbEEZZNS1_14partition_implILS5_8ELb0ES3_jPlPS6_PKS6_NS0_5tupleIJS9_S6_EEENSD_IJSA_SA_EEENS0_18inequality_wrapperIZN2at6native12_GLOBAL__N_124unique_dim_cuda_templateIsEESt5tupleIJNSH_6TensorESM_SM_EERKSM_lbbbEUlllE0_EEPmJS6_EEE10hipError_tPvRmT3_T4_T5_T6_T7_T9_mT8_P12ihipStream_tbDpT10_ENKUlT_T0_E_clISt17integral_constantIbLb1EES1B_IbLb0EEEEDaS17_S18_EUlS17_E_NS1_11comp_targetILNS1_3genE8ELNS1_11target_archE1030ELNS1_3gpuE2ELNS1_3repE0EEENS1_30default_config_static_selectorELNS0_4arch9wavefront6targetE0EEEvT1_.num_named_barrier, 0
	.set _ZN7rocprim17ROCPRIM_400000_NS6detail17trampoline_kernelINS0_14default_configENS1_25partition_config_selectorILNS1_17partition_subalgoE8ElNS0_10empty_typeEbEEZZNS1_14partition_implILS5_8ELb0ES3_jPlPS6_PKS6_NS0_5tupleIJS9_S6_EEENSD_IJSA_SA_EEENS0_18inequality_wrapperIZN2at6native12_GLOBAL__N_124unique_dim_cuda_templateIsEESt5tupleIJNSH_6TensorESM_SM_EERKSM_lbbbEUlllE0_EEPmJS6_EEE10hipError_tPvRmT3_T4_T5_T6_T7_T9_mT8_P12ihipStream_tbDpT10_ENKUlT_T0_E_clISt17integral_constantIbLb1EES1B_IbLb0EEEEDaS17_S18_EUlS17_E_NS1_11comp_targetILNS1_3genE8ELNS1_11target_archE1030ELNS1_3gpuE2ELNS1_3repE0EEENS1_30default_config_static_selectorELNS0_4arch9wavefront6targetE0EEEvT1_.private_seg_size, 0
	.set _ZN7rocprim17ROCPRIM_400000_NS6detail17trampoline_kernelINS0_14default_configENS1_25partition_config_selectorILNS1_17partition_subalgoE8ElNS0_10empty_typeEbEEZZNS1_14partition_implILS5_8ELb0ES3_jPlPS6_PKS6_NS0_5tupleIJS9_S6_EEENSD_IJSA_SA_EEENS0_18inequality_wrapperIZN2at6native12_GLOBAL__N_124unique_dim_cuda_templateIsEESt5tupleIJNSH_6TensorESM_SM_EERKSM_lbbbEUlllE0_EEPmJS6_EEE10hipError_tPvRmT3_T4_T5_T6_T7_T9_mT8_P12ihipStream_tbDpT10_ENKUlT_T0_E_clISt17integral_constantIbLb1EES1B_IbLb0EEEEDaS17_S18_EUlS17_E_NS1_11comp_targetILNS1_3genE8ELNS1_11target_archE1030ELNS1_3gpuE2ELNS1_3repE0EEENS1_30default_config_static_selectorELNS0_4arch9wavefront6targetE0EEEvT1_.uses_vcc, 0
	.set _ZN7rocprim17ROCPRIM_400000_NS6detail17trampoline_kernelINS0_14default_configENS1_25partition_config_selectorILNS1_17partition_subalgoE8ElNS0_10empty_typeEbEEZZNS1_14partition_implILS5_8ELb0ES3_jPlPS6_PKS6_NS0_5tupleIJS9_S6_EEENSD_IJSA_SA_EEENS0_18inequality_wrapperIZN2at6native12_GLOBAL__N_124unique_dim_cuda_templateIsEESt5tupleIJNSH_6TensorESM_SM_EERKSM_lbbbEUlllE0_EEPmJS6_EEE10hipError_tPvRmT3_T4_T5_T6_T7_T9_mT8_P12ihipStream_tbDpT10_ENKUlT_T0_E_clISt17integral_constantIbLb1EES1B_IbLb0EEEEDaS17_S18_EUlS17_E_NS1_11comp_targetILNS1_3genE8ELNS1_11target_archE1030ELNS1_3gpuE2ELNS1_3repE0EEENS1_30default_config_static_selectorELNS0_4arch9wavefront6targetE0EEEvT1_.uses_flat_scratch, 0
	.set _ZN7rocprim17ROCPRIM_400000_NS6detail17trampoline_kernelINS0_14default_configENS1_25partition_config_selectorILNS1_17partition_subalgoE8ElNS0_10empty_typeEbEEZZNS1_14partition_implILS5_8ELb0ES3_jPlPS6_PKS6_NS0_5tupleIJS9_S6_EEENSD_IJSA_SA_EEENS0_18inequality_wrapperIZN2at6native12_GLOBAL__N_124unique_dim_cuda_templateIsEESt5tupleIJNSH_6TensorESM_SM_EERKSM_lbbbEUlllE0_EEPmJS6_EEE10hipError_tPvRmT3_T4_T5_T6_T7_T9_mT8_P12ihipStream_tbDpT10_ENKUlT_T0_E_clISt17integral_constantIbLb1EES1B_IbLb0EEEEDaS17_S18_EUlS17_E_NS1_11comp_targetILNS1_3genE8ELNS1_11target_archE1030ELNS1_3gpuE2ELNS1_3repE0EEENS1_30default_config_static_selectorELNS0_4arch9wavefront6targetE0EEEvT1_.has_dyn_sized_stack, 0
	.set _ZN7rocprim17ROCPRIM_400000_NS6detail17trampoline_kernelINS0_14default_configENS1_25partition_config_selectorILNS1_17partition_subalgoE8ElNS0_10empty_typeEbEEZZNS1_14partition_implILS5_8ELb0ES3_jPlPS6_PKS6_NS0_5tupleIJS9_S6_EEENSD_IJSA_SA_EEENS0_18inequality_wrapperIZN2at6native12_GLOBAL__N_124unique_dim_cuda_templateIsEESt5tupleIJNSH_6TensorESM_SM_EERKSM_lbbbEUlllE0_EEPmJS6_EEE10hipError_tPvRmT3_T4_T5_T6_T7_T9_mT8_P12ihipStream_tbDpT10_ENKUlT_T0_E_clISt17integral_constantIbLb1EES1B_IbLb0EEEEDaS17_S18_EUlS17_E_NS1_11comp_targetILNS1_3genE8ELNS1_11target_archE1030ELNS1_3gpuE2ELNS1_3repE0EEENS1_30default_config_static_selectorELNS0_4arch9wavefront6targetE0EEEvT1_.has_recursion, 0
	.set _ZN7rocprim17ROCPRIM_400000_NS6detail17trampoline_kernelINS0_14default_configENS1_25partition_config_selectorILNS1_17partition_subalgoE8ElNS0_10empty_typeEbEEZZNS1_14partition_implILS5_8ELb0ES3_jPlPS6_PKS6_NS0_5tupleIJS9_S6_EEENSD_IJSA_SA_EEENS0_18inequality_wrapperIZN2at6native12_GLOBAL__N_124unique_dim_cuda_templateIsEESt5tupleIJNSH_6TensorESM_SM_EERKSM_lbbbEUlllE0_EEPmJS6_EEE10hipError_tPvRmT3_T4_T5_T6_T7_T9_mT8_P12ihipStream_tbDpT10_ENKUlT_T0_E_clISt17integral_constantIbLb1EES1B_IbLb0EEEEDaS17_S18_EUlS17_E_NS1_11comp_targetILNS1_3genE8ELNS1_11target_archE1030ELNS1_3gpuE2ELNS1_3repE0EEENS1_30default_config_static_selectorELNS0_4arch9wavefront6targetE0EEEvT1_.has_indirect_call, 0
	.section	.AMDGPU.csdata,"",@progbits
; Kernel info:
; codeLenInByte = 0
; TotalNumSgprs: 0
; NumVgprs: 0
; ScratchSize: 0
; MemoryBound: 0
; FloatMode: 240
; IeeeMode: 1
; LDSByteSize: 0 bytes/workgroup (compile time only)
; SGPRBlocks: 0
; VGPRBlocks: 0
; NumSGPRsForWavesPerEU: 1
; NumVGPRsForWavesPerEU: 1
; NamedBarCnt: 0
; Occupancy: 16
; WaveLimiterHint : 0
; COMPUTE_PGM_RSRC2:SCRATCH_EN: 0
; COMPUTE_PGM_RSRC2:USER_SGPR: 2
; COMPUTE_PGM_RSRC2:TRAP_HANDLER: 0
; COMPUTE_PGM_RSRC2:TGID_X_EN: 1
; COMPUTE_PGM_RSRC2:TGID_Y_EN: 0
; COMPUTE_PGM_RSRC2:TGID_Z_EN: 0
; COMPUTE_PGM_RSRC2:TIDIG_COMP_CNT: 0
	.section	.text._ZN7rocprim17ROCPRIM_400000_NS6detail17trampoline_kernelINS0_14default_configENS1_25partition_config_selectorILNS1_17partition_subalgoE8ElNS0_10empty_typeEbEEZZNS1_14partition_implILS5_8ELb0ES3_jPlPS6_PKS6_NS0_5tupleIJS9_S6_EEENSD_IJSA_SA_EEENS0_18inequality_wrapperIZN2at6native12_GLOBAL__N_124unique_dim_cuda_templateIsEESt5tupleIJNSH_6TensorESM_SM_EERKSM_lbbbEUlllE0_EEPmJS6_EEE10hipError_tPvRmT3_T4_T5_T6_T7_T9_mT8_P12ihipStream_tbDpT10_ENKUlT_T0_E_clISt17integral_constantIbLb0EES1B_IbLb1EEEEDaS17_S18_EUlS17_E_NS1_11comp_targetILNS1_3genE0ELNS1_11target_archE4294967295ELNS1_3gpuE0ELNS1_3repE0EEENS1_30default_config_static_selectorELNS0_4arch9wavefront6targetE0EEEvT1_,"axG",@progbits,_ZN7rocprim17ROCPRIM_400000_NS6detail17trampoline_kernelINS0_14default_configENS1_25partition_config_selectorILNS1_17partition_subalgoE8ElNS0_10empty_typeEbEEZZNS1_14partition_implILS5_8ELb0ES3_jPlPS6_PKS6_NS0_5tupleIJS9_S6_EEENSD_IJSA_SA_EEENS0_18inequality_wrapperIZN2at6native12_GLOBAL__N_124unique_dim_cuda_templateIsEESt5tupleIJNSH_6TensorESM_SM_EERKSM_lbbbEUlllE0_EEPmJS6_EEE10hipError_tPvRmT3_T4_T5_T6_T7_T9_mT8_P12ihipStream_tbDpT10_ENKUlT_T0_E_clISt17integral_constantIbLb0EES1B_IbLb1EEEEDaS17_S18_EUlS17_E_NS1_11comp_targetILNS1_3genE0ELNS1_11target_archE4294967295ELNS1_3gpuE0ELNS1_3repE0EEENS1_30default_config_static_selectorELNS0_4arch9wavefront6targetE0EEEvT1_,comdat
	.globl	_ZN7rocprim17ROCPRIM_400000_NS6detail17trampoline_kernelINS0_14default_configENS1_25partition_config_selectorILNS1_17partition_subalgoE8ElNS0_10empty_typeEbEEZZNS1_14partition_implILS5_8ELb0ES3_jPlPS6_PKS6_NS0_5tupleIJS9_S6_EEENSD_IJSA_SA_EEENS0_18inequality_wrapperIZN2at6native12_GLOBAL__N_124unique_dim_cuda_templateIsEESt5tupleIJNSH_6TensorESM_SM_EERKSM_lbbbEUlllE0_EEPmJS6_EEE10hipError_tPvRmT3_T4_T5_T6_T7_T9_mT8_P12ihipStream_tbDpT10_ENKUlT_T0_E_clISt17integral_constantIbLb0EES1B_IbLb1EEEEDaS17_S18_EUlS17_E_NS1_11comp_targetILNS1_3genE0ELNS1_11target_archE4294967295ELNS1_3gpuE0ELNS1_3repE0EEENS1_30default_config_static_selectorELNS0_4arch9wavefront6targetE0EEEvT1_ ; -- Begin function _ZN7rocprim17ROCPRIM_400000_NS6detail17trampoline_kernelINS0_14default_configENS1_25partition_config_selectorILNS1_17partition_subalgoE8ElNS0_10empty_typeEbEEZZNS1_14partition_implILS5_8ELb0ES3_jPlPS6_PKS6_NS0_5tupleIJS9_S6_EEENSD_IJSA_SA_EEENS0_18inequality_wrapperIZN2at6native12_GLOBAL__N_124unique_dim_cuda_templateIsEESt5tupleIJNSH_6TensorESM_SM_EERKSM_lbbbEUlllE0_EEPmJS6_EEE10hipError_tPvRmT3_T4_T5_T6_T7_T9_mT8_P12ihipStream_tbDpT10_ENKUlT_T0_E_clISt17integral_constantIbLb0EES1B_IbLb1EEEEDaS17_S18_EUlS17_E_NS1_11comp_targetILNS1_3genE0ELNS1_11target_archE4294967295ELNS1_3gpuE0ELNS1_3repE0EEENS1_30default_config_static_selectorELNS0_4arch9wavefront6targetE0EEEvT1_
	.p2align	8
	.type	_ZN7rocprim17ROCPRIM_400000_NS6detail17trampoline_kernelINS0_14default_configENS1_25partition_config_selectorILNS1_17partition_subalgoE8ElNS0_10empty_typeEbEEZZNS1_14partition_implILS5_8ELb0ES3_jPlPS6_PKS6_NS0_5tupleIJS9_S6_EEENSD_IJSA_SA_EEENS0_18inequality_wrapperIZN2at6native12_GLOBAL__N_124unique_dim_cuda_templateIsEESt5tupleIJNSH_6TensorESM_SM_EERKSM_lbbbEUlllE0_EEPmJS6_EEE10hipError_tPvRmT3_T4_T5_T6_T7_T9_mT8_P12ihipStream_tbDpT10_ENKUlT_T0_E_clISt17integral_constantIbLb0EES1B_IbLb1EEEEDaS17_S18_EUlS17_E_NS1_11comp_targetILNS1_3genE0ELNS1_11target_archE4294967295ELNS1_3gpuE0ELNS1_3repE0EEENS1_30default_config_static_selectorELNS0_4arch9wavefront6targetE0EEEvT1_,@function
_ZN7rocprim17ROCPRIM_400000_NS6detail17trampoline_kernelINS0_14default_configENS1_25partition_config_selectorILNS1_17partition_subalgoE8ElNS0_10empty_typeEbEEZZNS1_14partition_implILS5_8ELb0ES3_jPlPS6_PKS6_NS0_5tupleIJS9_S6_EEENSD_IJSA_SA_EEENS0_18inequality_wrapperIZN2at6native12_GLOBAL__N_124unique_dim_cuda_templateIsEESt5tupleIJNSH_6TensorESM_SM_EERKSM_lbbbEUlllE0_EEPmJS6_EEE10hipError_tPvRmT3_T4_T5_T6_T7_T9_mT8_P12ihipStream_tbDpT10_ENKUlT_T0_E_clISt17integral_constantIbLb0EES1B_IbLb1EEEEDaS17_S18_EUlS17_E_NS1_11comp_targetILNS1_3genE0ELNS1_11target_archE4294967295ELNS1_3gpuE0ELNS1_3repE0EEENS1_30default_config_static_selectorELNS0_4arch9wavefront6targetE0EEEvT1_: ; @_ZN7rocprim17ROCPRIM_400000_NS6detail17trampoline_kernelINS0_14default_configENS1_25partition_config_selectorILNS1_17partition_subalgoE8ElNS0_10empty_typeEbEEZZNS1_14partition_implILS5_8ELb0ES3_jPlPS6_PKS6_NS0_5tupleIJS9_S6_EEENSD_IJSA_SA_EEENS0_18inequality_wrapperIZN2at6native12_GLOBAL__N_124unique_dim_cuda_templateIsEESt5tupleIJNSH_6TensorESM_SM_EERKSM_lbbbEUlllE0_EEPmJS6_EEE10hipError_tPvRmT3_T4_T5_T6_T7_T9_mT8_P12ihipStream_tbDpT10_ENKUlT_T0_E_clISt17integral_constantIbLb0EES1B_IbLb1EEEEDaS17_S18_EUlS17_E_NS1_11comp_targetILNS1_3genE0ELNS1_11target_archE4294967295ELNS1_3gpuE0ELNS1_3repE0EEENS1_30default_config_static_selectorELNS0_4arch9wavefront6targetE0EEEvT1_
; %bb.0:
	s_clause 0x1
	s_load_b256 s[12:19], s[0:1], 0x40
	s_load_b128 s[8:11], s[0:1], 0x60
	v_cmp_ne_u32_e64 s3, 0, v0
	v_cmp_eq_u32_e64 s2, 0, v0
	s_and_saveexec_b32 s4, s2
	s_cbranch_execz .LBB709_4
; %bb.1:
	s_mov_b32 s6, exec_lo
	s_mov_b32 s5, exec_lo
	v_mbcnt_lo_u32_b32 v1, s6, 0
                                        ; implicit-def: $vgpr2
	s_delay_alu instid0(VALU_DEP_1)
	v_cmpx_eq_u32_e32 0, v1
	s_cbranch_execz .LBB709_3
; %bb.2:
	s_load_b64 s[20:21], s[0:1], 0x78
	s_bcnt1_i32_b32 s6, s6
	s_delay_alu instid0(SALU_CYCLE_1)
	v_dual_mov_b32 v2, 0 :: v_dual_mov_b32 v3, s6
	s_wait_xcnt 0x0
	s_wait_kmcnt 0x0
	global_atomic_add_u32 v2, v2, v3, s[20:21] th:TH_ATOMIC_RETURN scope:SCOPE_DEV
.LBB709_3:
	s_wait_xcnt 0x0
	s_or_b32 exec_lo, exec_lo, s5
	s_wait_loadcnt 0x0
	v_readfirstlane_b32 s5, v2
	s_delay_alu instid0(VALU_DEP_1)
	v_dual_mov_b32 v2, 0 :: v_dual_add_nc_u32 v1, s5, v1
	ds_store_b32 v2, v1
.LBB709_4:
	s_or_b32 exec_lo, exec_lo, s4
	v_dual_mov_b32 v3, 0 :: v_dual_lshlrev_b32 v18, 3, v0
	s_clause 0x2
	s_load_b128 s[4:7], s[0:1], 0x8
	s_load_b64 s[20:21], s[0:1], 0x28
	s_load_b32 s22, s[0:1], 0x70
	s_wait_dscnt 0x0
	s_barrier_signal -1
	s_barrier_wait -1
	ds_load_b32 v1, v3
	s_wait_dscnt 0x0
	s_barrier_signal -1
	s_barrier_wait -1
	s_wait_kmcnt 0x0
	global_load_b64 v[4:5], v3, s[14:15]
	s_wait_xcnt 0x0
	s_mov_b32 s15, 0
	s_lshl_b64 s[0:1], s[6:7], 3
	s_mul_i32 s14, s22, 0xe00
	s_add_co_i32 s26, s22, -1
	s_add_nc_u64 s[24:25], s[6:7], s[14:15]
	s_add_co_i32 s14, s14, s6
	v_cmp_le_u64_e64 s15, s[16:17], s[24:25]
	v_mul_lo_u32 v2, 0xe00, v1
	v_readfirstlane_b32 s22, v1
	s_sub_co_i32 s23, s16, s14
	s_add_nc_u64 s[0:1], s[4:5], s[0:1]
	s_cmp_eq_u32 s22, s26
	s_cselect_b32 s16, -1, 0
	s_delay_alu instid0(SALU_CYCLE_1) | instskip(SKIP_2) | instid1(SALU_CYCLE_1)
	s_and_b32 s24, s15, s16
	v_lshlrev_b64_e32 v[2:3], 3, v[2:3]
	s_xor_b32 s17, s24, -1
	s_and_b32 vcc_lo, exec_lo, s17
	s_delay_alu instid0(VALU_DEP_1)
	v_add_nc_u64_e32 v[20:21], s[0:1], v[2:3]
	s_mov_b32 s0, -1
	s_wait_loadcnt 0x0
	v_readfirstlane_b32 s14, v4
	v_readfirstlane_b32 s15, v5
	s_cbranch_vccz .LBB709_6
; %bb.5:
	v_readfirstlane_b32 s0, v20
	v_readfirstlane_b32 s1, v21
	v_lshlrev_b32_e32 v1, 3, v0
	s_clause 0x6
	global_load_b64 v[2:3], v0, s[0:1] scale_offset
	global_load_b64 v[4:5], v0, s[0:1] offset:4096 scale_offset
	global_load_b64 v[6:7], v0, s[0:1] offset:8192 scale_offset
	;; [unrolled: 1-line block ×6, first 2 shown]
	s_wait_xcnt 0x0
	s_mov_b32 s0, 0
	s_wait_loadcnt 0x5
	ds_store_2addr_stride64_b64 v1, v[2:3], v[4:5] offset1:8
	s_wait_loadcnt 0x3
	ds_store_2addr_stride64_b64 v1, v[6:7], v[8:9] offset0:16 offset1:24
	s_wait_loadcnt 0x1
	ds_store_2addr_stride64_b64 v1, v[10:11], v[12:13] offset0:32 offset1:40
	s_wait_loadcnt 0x0
	ds_store_b64 v1, v[14:15] offset:24576
	s_wait_dscnt 0x0
	s_barrier_signal -1
	s_barrier_wait -1
.LBB709_6:
	s_and_not1_b32 vcc_lo, exec_lo, s0
	s_addk_co_i32 s23, 0xe00
	s_cbranch_vccnz .LBB709_22
; %bb.7:
	v_mov_b32_e32 v2, 0
	s_mov_b32 s0, exec_lo
	s_delay_alu instid0(VALU_DEP_1)
	v_dual_mov_b32 v3, v2 :: v_dual_mov_b32 v4, v2
	v_dual_mov_b32 v5, v2 :: v_dual_mov_b32 v6, v2
	v_dual_mov_b32 v7, v2 :: v_dual_mov_b32 v8, v2
	v_dual_mov_b32 v9, v2 :: v_dual_mov_b32 v10, v2
	v_dual_mov_b32 v11, v2 :: v_dual_mov_b32 v12, v2
	v_dual_mov_b32 v13, v2 :: v_dual_mov_b32 v14, v2
	v_mov_b32_e32 v15, v2
	v_cmpx_gt_u32_e64 s23, v0
	s_cbranch_execz .LBB709_9
; %bb.8:
	v_readfirstlane_b32 s4, v20
	v_readfirstlane_b32 s5, v21
	v_dual_mov_b32 v6, v2 :: v_dual_mov_b32 v7, v2
	v_dual_mov_b32 v8, v2 :: v_dual_mov_b32 v9, v2
	global_load_b64 v[4:5], v0, s[4:5] scale_offset
	v_dual_mov_b32 v10, v2 :: v_dual_mov_b32 v11, v2
	v_dual_mov_b32 v12, v2 :: v_dual_mov_b32 v13, v2
	;; [unrolled: 1-line block ×4, first 2 shown]
	s_wait_loadcnt 0x0
	v_mov_b64_e32 v[2:3], v[4:5]
	v_mov_b64_e32 v[4:5], v[6:7]
	;; [unrolled: 1-line block ×8, first 2 shown]
.LBB709_9:
	s_or_b32 exec_lo, exec_lo, s0
	v_or_b32_e32 v1, 0x200, v0
	s_mov_b32 s0, exec_lo
	s_delay_alu instid0(VALU_DEP_1)
	v_cmpx_gt_u32_e64 s23, v1
	s_cbranch_execz .LBB709_11
; %bb.10:
	v_readfirstlane_b32 s4, v20
	v_readfirstlane_b32 s5, v21
	global_load_b64 v[4:5], v0, s[4:5] offset:4096 scale_offset
.LBB709_11:
	s_wait_xcnt 0x0
	s_or_b32 exec_lo, exec_lo, s0
	v_or_b32_e32 v1, 0x400, v0
	s_mov_b32 s0, exec_lo
	s_delay_alu instid0(VALU_DEP_1)
	v_cmpx_gt_u32_e64 s23, v1
	s_cbranch_execz .LBB709_13
; %bb.12:
	v_readfirstlane_b32 s4, v20
	v_readfirstlane_b32 s5, v21
	global_load_b64 v[6:7], v0, s[4:5] offset:8192 scale_offset
.LBB709_13:
	s_wait_xcnt 0x0
	;; [unrolled: 12-line block ×6, first 2 shown]
	s_or_b32 exec_lo, exec_lo, s0
	v_lshlrev_b32_e32 v1, 3, v0
	s_wait_loadcnt 0x0
	ds_store_2addr_stride64_b64 v1, v[2:3], v[4:5] offset1:8
	ds_store_2addr_stride64_b64 v1, v[6:7], v[8:9] offset0:16 offset1:24
	ds_store_2addr_stride64_b64 v1, v[10:11], v[12:13] offset0:32 offset1:40
	ds_store_b64 v1, v[14:15] offset:24576
	s_wait_dscnt 0x0
	s_barrier_signal -1
	s_barrier_wait -1
.LBB709_22:
	v_mul_u32_u24_e32 v1, 7, v0
	s_cmp_lg_u32 s22, 0
	s_cselect_b32 s25, -1, 0
	s_delay_alu instid0(VALU_DEP_1)
	v_lshlrev_b32_e32 v26, 3, v1
	s_cmp_lg_u64 s[6:7], 0
	v_cmp_gt_i64_e64 s7, s[18:19], 0
	s_cselect_b32 s0, -1, 0
	s_mov_b32 s6, 0
	ds_load_2addr_b64 v[10:13], v26 offset1:1
	ds_load_2addr_b64 v[6:9], v26 offset0:2 offset1:3
	ds_load_2addr_b64 v[2:5], v26 offset0:4 offset1:5
	ds_load_b64 v[14:15], v26 offset:48
	s_or_b32 s0, s0, s25
	s_wait_dscnt 0x0
	s_and_b32 vcc_lo, exec_lo, s0
	s_barrier_signal -1
	s_barrier_wait -1
	s_cbranch_vccz .LBB709_38
; %bb.23:
	global_load_b64 v[20:21], v[20:21], off offset:-8
	v_cndmask_b32_e64 v27, 0, 1, s7
	v_lshlrev_b32_e32 v28, 3, v0
	s_and_b32 vcc_lo, exec_lo, s17
	s_delay_alu instid0(VALU_DEP_2)
	v_cmp_ne_u32_e64 s0, 1, v27
	ds_store_b64 v28, v[14:15]
	s_cbranch_vccz .LBB709_40
; %bb.24:
	s_and_b32 vcc_lo, exec_lo, s0
	s_cbranch_vccnz .LBB709_41
; %bb.25:
	v_mul_u64_e32 v[16:17], s[18:19], v[4:5]
	v_mul_u64_e32 v[22:23], s[18:19], v[14:15]
	s_add_nc_u64 s[4:5], s[18:19], -1
	s_mov_b32 s26, 0
	s_mov_b64 s[0:1], s[4:5]
                                        ; implicit-def: $sgpr6
	s_delay_alu instid0(VALU_DEP_2) | instskip(NEXT) | instid1(VALU_DEP_2)
	v_lshl_add_u64 v[16:17], v[16:17], 1, s[8:9]
	v_lshl_add_u64 v[22:23], v[22:23], 1, s[8:9]
	s_delay_alu instid0(VALU_DEP_2)
	v_mov_b64_e32 v[24:25], v[16:17]
.LBB709_26:                             ; =>This Inner Loop Header: Depth=1
	global_load_u16 v19, v[24:25], off
	global_load_u16 v29, v[22:23], off
	s_cmp_eq_u64 s[0:1], 0
	s_add_nc_u64 s[28:29], s[0:1], -1
	s_cselect_b32 s1, -1, 0
	s_wait_xcnt 0x1
	v_add_nc_u64_e32 v[24:25], 2, v[24:25]
	s_wait_xcnt 0x0
	v_add_nc_u64_e32 v[22:23], 2, v[22:23]
	s_wait_loadcnt 0x0
	v_cmp_ne_u16_e32 vcc_lo, v19, v29
	v_cmp_eq_u16_e64 s0, v19, v29
	s_or_b32 s1, vcc_lo, s1
	s_delay_alu instid0(SALU_CYCLE_1) | instskip(NEXT) | instid1(SALU_CYCLE_1)
	s_and_b32 s1, exec_lo, s1
	s_or_b32 s26, s1, s26
	s_and_not1_b32 s6, s6, exec_lo
	s_and_b32 s27, s0, exec_lo
	s_mov_b64 s[0:1], s[28:29]
	s_or_b32 s6, s6, s27
	s_and_not1_b32 exec_lo, exec_lo, s26
	s_cbranch_execnz .LBB709_26
; %bb.27:
	s_or_b32 exec_lo, exec_lo, s26
	v_mul_u64_e32 v[22:23], s[18:19], v[2:3]
	s_mov_b32 s27, 0
	s_mov_b64 s[0:1], s[4:5]
                                        ; implicit-def: $sgpr26
	s_delay_alu instid0(VALU_DEP_1) | instskip(NEXT) | instid1(VALU_DEP_1)
	v_lshl_add_u64 v[22:23], v[22:23], 1, s[8:9]
	v_mov_b64_e32 v[24:25], v[22:23]
.LBB709_28:                             ; =>This Inner Loop Header: Depth=1
	global_load_u16 v19, v[24:25], off
	global_load_u16 v29, v[16:17], off
	s_cmp_eq_u64 s[0:1], 0
	s_add_nc_u64 s[28:29], s[0:1], -1
	s_cselect_b32 s1, -1, 0
	s_wait_xcnt 0x1
	v_add_nc_u64_e32 v[24:25], 2, v[24:25]
	s_wait_xcnt 0x0
	v_add_nc_u64_e32 v[16:17], 2, v[16:17]
	s_wait_loadcnt 0x0
	v_cmp_ne_u16_e32 vcc_lo, v19, v29
	v_cmp_eq_u16_e64 s0, v19, v29
	s_or_b32 s1, vcc_lo, s1
	s_delay_alu instid0(SALU_CYCLE_1) | instskip(NEXT) | instid1(SALU_CYCLE_1)
	s_and_b32 s1, exec_lo, s1
	s_or_b32 s27, s1, s27
	s_and_not1_b32 s26, s26, exec_lo
	s_and_b32 s30, s0, exec_lo
	s_mov_b64 s[0:1], s[28:29]
	s_or_b32 s26, s26, s30
	s_and_not1_b32 exec_lo, exec_lo, s27
	s_cbranch_execnz .LBB709_28
; %bb.29:
	s_or_b32 exec_lo, exec_lo, s27
	v_mul_u64_e32 v[16:17], s[18:19], v[8:9]
	s_mov_b32 s28, 0
	s_mov_b64 s[0:1], s[4:5]
                                        ; implicit-def: $sgpr27
	s_delay_alu instid0(VALU_DEP_1) | instskip(NEXT) | instid1(VALU_DEP_1)
	v_lshl_add_u64 v[16:17], v[16:17], 1, s[8:9]
	v_mov_b64_e32 v[24:25], v[16:17]
.LBB709_30:                             ; =>This Inner Loop Header: Depth=1
	global_load_u16 v19, v[24:25], off
	global_load_u16 v29, v[22:23], off
	s_cmp_eq_u64 s[0:1], 0
	s_add_nc_u64 s[30:31], s[0:1], -1
	s_cselect_b32 s1, -1, 0
	s_wait_xcnt 0x1
	v_add_nc_u64_e32 v[24:25], 2, v[24:25]
	s_wait_xcnt 0x0
	v_add_nc_u64_e32 v[22:23], 2, v[22:23]
	s_wait_loadcnt 0x0
	v_cmp_ne_u16_e32 vcc_lo, v19, v29
	v_cmp_eq_u16_e64 s0, v19, v29
	s_or_b32 s1, vcc_lo, s1
	s_delay_alu instid0(SALU_CYCLE_1) | instskip(NEXT) | instid1(SALU_CYCLE_1)
	s_and_b32 s1, exec_lo, s1
	s_or_b32 s28, s1, s28
	s_and_not1_b32 s27, s27, exec_lo
	s_and_b32 s29, s0, exec_lo
	s_mov_b64 s[0:1], s[30:31]
	s_or_b32 s27, s27, s29
	s_and_not1_b32 exec_lo, exec_lo, s28
	s_cbranch_execnz .LBB709_30
; %bb.31:
	s_or_b32 exec_lo, exec_lo, s28
	v_mul_u64_e32 v[22:23], s[18:19], v[6:7]
	s_mov_b32 s29, 0
	s_mov_b64 s[0:1], s[4:5]
                                        ; implicit-def: $sgpr28
	s_delay_alu instid0(VALU_DEP_1) | instskip(NEXT) | instid1(VALU_DEP_1)
	v_lshl_add_u64 v[22:23], v[22:23], 1, s[8:9]
	v_mov_b64_e32 v[24:25], v[22:23]
.LBB709_32:                             ; =>This Inner Loop Header: Depth=1
	global_load_u16 v19, v[24:25], off
	global_load_u16 v29, v[16:17], off
	s_cmp_eq_u64 s[0:1], 0
	s_add_nc_u64 s[30:31], s[0:1], -1
	s_cselect_b32 s1, -1, 0
	s_wait_xcnt 0x1
	v_add_nc_u64_e32 v[24:25], 2, v[24:25]
	s_wait_xcnt 0x0
	v_add_nc_u64_e32 v[16:17], 2, v[16:17]
	s_wait_loadcnt 0x0
	v_cmp_ne_u16_e32 vcc_lo, v19, v29
	v_cmp_eq_u16_e64 s0, v19, v29
	s_or_b32 s1, vcc_lo, s1
	s_delay_alu instid0(SALU_CYCLE_1) | instskip(NEXT) | instid1(SALU_CYCLE_1)
	s_and_b32 s1, exec_lo, s1
	s_or_b32 s29, s1, s29
	s_and_not1_b32 s28, s28, exec_lo
	s_and_b32 s33, s0, exec_lo
	s_mov_b64 s[0:1], s[30:31]
	s_or_b32 s28, s28, s33
	s_and_not1_b32 exec_lo, exec_lo, s29
	s_cbranch_execnz .LBB709_32
; %bb.33:
	s_or_b32 exec_lo, exec_lo, s29
	v_mul_u64_e32 v[16:17], s[18:19], v[12:13]
	s_mov_b32 s30, 0
	s_mov_b64 s[0:1], s[4:5]
                                        ; implicit-def: $sgpr29
	s_delay_alu instid0(VALU_DEP_1) | instskip(NEXT) | instid1(VALU_DEP_1)
	v_lshl_add_u64 v[16:17], v[16:17], 1, s[8:9]
	v_mov_b64_e32 v[24:25], v[16:17]
.LBB709_34:                             ; =>This Inner Loop Header: Depth=1
	global_load_u16 v19, v[24:25], off
	global_load_u16 v29, v[22:23], off
	s_cmp_eq_u64 s[0:1], 0
	s_add_nc_u64 s[34:35], s[0:1], -1
	s_cselect_b32 s1, -1, 0
	s_wait_xcnt 0x1
	v_add_nc_u64_e32 v[24:25], 2, v[24:25]
	s_wait_xcnt 0x0
	v_add_nc_u64_e32 v[22:23], 2, v[22:23]
	s_wait_loadcnt 0x0
	v_cmp_ne_u16_e32 vcc_lo, v19, v29
	v_cmp_eq_u16_e64 s0, v19, v29
	s_or_b32 s1, vcc_lo, s1
	s_delay_alu instid0(SALU_CYCLE_1) | instskip(NEXT) | instid1(SALU_CYCLE_1)
	s_and_b32 s1, exec_lo, s1
	s_or_b32 s30, s1, s30
	s_and_not1_b32 s29, s29, exec_lo
	s_and_b32 s31, s0, exec_lo
	s_mov_b64 s[0:1], s[34:35]
	s_or_b32 s29, s29, s31
	s_and_not1_b32 exec_lo, exec_lo, s30
	s_cbranch_execnz .LBB709_34
; %bb.35:
	s_or_b32 exec_lo, exec_lo, s30
	v_mul_u64_e32 v[22:23], s[18:19], v[10:11]
	s_mov_b32 s30, 0
                                        ; implicit-def: $sgpr1
	s_delay_alu instid0(VALU_DEP_1)
	v_lshl_add_u64 v[22:23], v[22:23], 1, s[8:9]
.LBB709_36:                             ; =>This Inner Loop Header: Depth=1
	global_load_u16 v19, v[22:23], off
	global_load_u16 v24, v[16:17], off
	s_cmp_eq_u64 s[4:5], 0
	s_add_nc_u64 s[34:35], s[4:5], -1
	s_cselect_b32 s4, -1, 0
	s_wait_xcnt 0x1
	v_add_nc_u64_e32 v[22:23], 2, v[22:23]
	s_wait_xcnt 0x0
	v_add_nc_u64_e32 v[16:17], 2, v[16:17]
	s_wait_loadcnt 0x0
	v_cmp_ne_u16_e32 vcc_lo, v19, v24
	v_cmp_eq_u16_e64 s0, v19, v24
	s_or_b32 s4, vcc_lo, s4
	s_delay_alu instid0(SALU_CYCLE_1) | instskip(NEXT) | instid1(SALU_CYCLE_1)
	s_and_b32 s4, exec_lo, s4
	s_or_b32 s30, s4, s30
	s_and_not1_b32 s1, s1, exec_lo
	s_and_b32 s0, s0, exec_lo
	s_mov_b64 s[4:5], s[34:35]
	s_or_b32 s1, s1, s0
	s_and_not1_b32 exec_lo, exec_lo, s30
	s_cbranch_execnz .LBB709_36
; %bb.37:
	s_or_b32 exec_lo, exec_lo, s30
	s_xor_b32 s0, s28, -1
	s_delay_alu instid0(SALU_CYCLE_1) | instskip(SKIP_1) | instid1(SALU_CYCLE_1)
	v_cndmask_b32_e64 v16, 0, 1, s0
	s_xor_b32 s0, s29, -1
	v_cndmask_b32_e64 v17, 0, 1, s0
	s_xor_b32 s0, s26, -1
	s_delay_alu instid0(VALU_DEP_2) | instskip(SKIP_2) | instid1(SALU_CYCLE_1)
	v_lshlrev_b16 v16, 8, v16
	v_cndmask_b32_e64 v30, 0, 1, s0
	s_xor_b32 s0, s6, -1
	v_cndmask_b32_e64 v19, 0, 1, s0
	s_delay_alu instid0(VALU_DEP_3) | instskip(SKIP_1) | instid1(VALU_DEP_1)
	v_lshrrev_b32_e32 v16, 8, v16
	s_xor_b32 s0, s27, -1
	v_and_b32_e32 v16, 1, v16
	s_delay_alu instid0(VALU_DEP_1) | instskip(NEXT) | instid1(VALU_DEP_1)
	v_lshlrev_b16 v16, 8, v16
	v_or_b32_e32 v16, v17, v16
	v_cndmask_b32_e64 v17, 0, 1, s0
	s_xor_b32 s0, s1, -1
	s_delay_alu instid0(VALU_DEP_2)
	v_lshlrev_b32_e32 v16, 16, v16
	s_branch .LBB709_42
.LBB709_38:
                                        ; implicit-def: $sgpr0
                                        ; implicit-def: $vgpr19
                                        ; implicit-def: $vgpr30
                                        ; implicit-def: $vgpr17
                                        ; implicit-def: $vgpr22
	s_branch .LBB709_95
.LBB709_39:
                                        ; implicit-def: $vgpr32
                                        ; implicit-def: $vgpr31
                                        ; implicit-def: $vgpr20
	s_branch .LBB709_164
.LBB709_40:
                                        ; implicit-def: $sgpr0
                                        ; implicit-def: $vgpr19
                                        ; implicit-def: $vgpr30
                                        ; implicit-def: $vgpr17
                                        ; implicit-def: $vgpr22
	s_cbranch_execnz .LBB709_49
	s_branch .LBB709_94
.LBB709_41:
	v_dual_mov_b32 v16, 0 :: v_dual_mov_b32 v19, 0
	v_dual_mov_b32 v30, 0 :: v_dual_mov_b32 v17, 0
	s_mov_b32 s0, 0
.LBB709_42:
	s_wait_loadcnt 0x0
	v_mov_b64_e32 v[22:23], v[20:21]
	s_wait_dscnt 0x0
	s_barrier_signal -1
	s_barrier_wait -1
	s_and_saveexec_b32 s1, s3
; %bb.43:
	v_add_nc_u32_e32 v22, -8, v28
	ds_load_b64 v[22:23], v22
; %bb.44:
	s_or_b32 exec_lo, exec_lo, s1
	v_cndmask_b32_e64 v24, 0, 1, s0
	v_lshrrev_b32_e32 v25, 16, v16
	s_mov_b32 s4, 0
	s_and_not1_b32 vcc_lo, exec_lo, s7
	s_mov_b32 s0, 0
	v_lshlrev_b16 v24, 8, v24
	s_delay_alu instid0(VALU_DEP_1) | instskip(SKIP_1) | instid1(VALU_DEP_2)
	v_bitop3_b16 v24, v16, v24, 0xff bitop3:0xec
	v_perm_b32 v16, v25, v16, 0xc0c0304
	v_and_b32_e32 v29, 0xffff, v24
	s_cbranch_vccnz .LBB709_48
; %bb.45:
	s_wait_dscnt 0x0
	v_mul_u64_e32 v[22:23], s[18:19], v[22:23]
	v_mul_u64_e32 v[24:25], s[18:19], v[10:11]
	s_add_nc_u64 s[0:1], s[18:19], -1
	s_mov_b32 s5, 0
                                        ; implicit-def: $sgpr6
	s_delay_alu instid0(VALU_DEP_2) | instskip(NEXT) | instid1(VALU_DEP_2)
	v_lshl_add_u64 v[22:23], v[22:23], 1, s[8:9]
	v_lshl_add_u64 v[24:25], v[24:25], 1, s[8:9]
.LBB709_46:                             ; =>This Inner Loop Header: Depth=1
	global_load_u16 v31, v[22:23], off
	global_load_u16 v32, v[24:25], off
	s_cmp_eq_u64 s[0:1], 0
	s_add_nc_u64 s[26:27], s[0:1], -1
	s_cselect_b32 s1, -1, 0
	s_wait_xcnt 0x1
	v_add_nc_u64_e32 v[22:23], 2, v[22:23]
	s_wait_xcnt 0x0
	v_add_nc_u64_e32 v[24:25], 2, v[24:25]
	s_wait_loadcnt 0x0
	v_cmp_ne_u16_e32 vcc_lo, v31, v32
	v_cmp_eq_u16_e64 s0, v31, v32
	s_or_b32 s1, vcc_lo, s1
	s_delay_alu instid0(SALU_CYCLE_1) | instskip(NEXT) | instid1(SALU_CYCLE_1)
	s_and_b32 s1, exec_lo, s1
	s_or_b32 s5, s1, s5
	s_and_not1_b32 s6, s6, exec_lo
	s_and_b32 s28, s0, exec_lo
	s_mov_b64 s[0:1], s[26:27]
	s_or_b32 s6, s6, s28
	s_and_not1_b32 exec_lo, exec_lo, s5
	s_cbranch_execnz .LBB709_46
; %bb.47:
	s_or_b32 exec_lo, exec_lo, s5
	s_xor_b32 s0, s6, -1
.LBB709_48:
	s_wait_dscnt 0x0
	s_delay_alu instid0(VALU_DEP_1)
	v_lshl_or_b32 v22, v16, 16, v29
	s_and_b32 vcc_lo, exec_lo, s4
	s_cbranch_vccz .LBB709_94
.LBB709_49:
	v_add_nc_u32_e32 v16, 6, v1
	s_mov_b32 s5, 0
	s_mov_b32 s4, 0
	s_mov_b32 s6, exec_lo
	s_wait_xcnt 0x0
	v_cmpx_gt_u32_e64 s23, v16
	s_cbranch_execz .LBB709_55
; %bb.50:
	s_and_not1_b32 vcc_lo, exec_lo, s7
	s_mov_b32 s0, 0
	s_cbranch_vccnz .LBB709_54
; %bb.51:
	v_mul_u64_e32 v[16:17], s[18:19], v[4:5]
	v_mul_u64_e32 v[22:23], s[18:19], v[14:15]
	s_add_nc_u64 s[0:1], s[18:19], -1
                                        ; implicit-def: $sgpr7
	s_delay_alu instid0(VALU_DEP_2) | instskip(NEXT) | instid1(VALU_DEP_2)
	v_lshl_add_u64 v[16:17], v[16:17], 1, s[8:9]
	v_lshl_add_u64 v[22:23], v[22:23], 1, s[8:9]
.LBB709_52:                             ; =>This Inner Loop Header: Depth=1
	global_load_u16 v19, v[16:17], off
	global_load_u16 v24, v[22:23], off
	s_cmp_eq_u64 s[0:1], 0
	s_add_nc_u64 s[26:27], s[0:1], -1
	s_cselect_b32 s1, -1, 0
	s_wait_xcnt 0x1
	v_add_nc_u64_e32 v[16:17], 2, v[16:17]
	s_wait_xcnt 0x0
	v_add_nc_u64_e32 v[22:23], 2, v[22:23]
	s_wait_loadcnt 0x0
	v_cmp_ne_u16_e32 vcc_lo, v19, v24
	v_cmp_eq_u16_e64 s0, v19, v24
	s_or_b32 s1, vcc_lo, s1
	s_delay_alu instid0(SALU_CYCLE_1) | instskip(NEXT) | instid1(SALU_CYCLE_1)
	s_and_b32 s1, exec_lo, s1
	s_or_b32 s4, s1, s4
	s_and_not1_b32 s7, s7, exec_lo
	s_and_b32 s28, s0, exec_lo
	s_mov_b64 s[0:1], s[26:27]
	s_or_b32 s7, s7, s28
	s_and_not1_b32 exec_lo, exec_lo, s4
	s_cbranch_execnz .LBB709_52
; %bb.53:
	s_or_b32 exec_lo, exec_lo, s4
	s_xor_b32 s0, s7, -1
.LBB709_54:
	s_delay_alu instid0(SALU_CYCLE_1)
	s_and_b32 s4, s0, exec_lo
.LBB709_55:
	s_or_b32 exec_lo, exec_lo, s6
	v_add_nc_u32_e32 v16, 5, v1
	s_mov_b32 s6, exec_lo
	s_delay_alu instid0(VALU_DEP_1)
	v_cmpx_gt_u32_e64 s23, v16
	s_cbranch_execz .LBB709_61
; %bb.56:
	v_cmp_ne_u32_e32 vcc_lo, 1, v27
	s_mov_b32 s0, 0
	s_cbranch_vccnz .LBB709_60
; %bb.57:
	v_mul_u64_e32 v[16:17], s[18:19], v[2:3]
	v_mul_u64_e32 v[22:23], s[18:19], v[4:5]
	s_add_nc_u64 s[0:1], s[18:19], -1
	s_mov_b32 s5, 0
                                        ; implicit-def: $sgpr7
	s_delay_alu instid0(VALU_DEP_2) | instskip(NEXT) | instid1(VALU_DEP_2)
	v_lshl_add_u64 v[16:17], v[16:17], 1, s[8:9]
	v_lshl_add_u64 v[22:23], v[22:23], 1, s[8:9]
.LBB709_58:                             ; =>This Inner Loop Header: Depth=1
	global_load_u16 v19, v[16:17], off
	global_load_u16 v24, v[22:23], off
	s_cmp_eq_u64 s[0:1], 0
	s_add_nc_u64 s[26:27], s[0:1], -1
	s_cselect_b32 s1, -1, 0
	s_wait_xcnt 0x1
	v_add_nc_u64_e32 v[16:17], 2, v[16:17]
	s_wait_xcnt 0x0
	v_add_nc_u64_e32 v[22:23], 2, v[22:23]
	s_wait_loadcnt 0x0
	v_cmp_ne_u16_e32 vcc_lo, v19, v24
	v_cmp_eq_u16_e64 s0, v19, v24
	s_or_b32 s1, vcc_lo, s1
	s_delay_alu instid0(SALU_CYCLE_1) | instskip(NEXT) | instid1(SALU_CYCLE_1)
	s_and_b32 s1, exec_lo, s1
	s_or_b32 s5, s1, s5
	s_and_not1_b32 s7, s7, exec_lo
	s_and_b32 s28, s0, exec_lo
	s_mov_b64 s[0:1], s[26:27]
	s_or_b32 s7, s7, s28
	s_and_not1_b32 exec_lo, exec_lo, s5
	s_cbranch_execnz .LBB709_58
; %bb.59:
	s_or_b32 exec_lo, exec_lo, s5
	s_xor_b32 s0, s7, -1
.LBB709_60:
	s_delay_alu instid0(SALU_CYCLE_1)
	s_and_b32 s5, s0, exec_lo
.LBB709_61:
	s_or_b32 exec_lo, exec_lo, s6
	v_add_nc_u32_e32 v16, 4, v1
	s_mov_b32 s7, 0
	s_mov_b32 s6, 0
	s_mov_b32 s26, exec_lo
	s_delay_alu instid0(VALU_DEP_1)
	v_cmpx_gt_u32_e64 s23, v16
	s_cbranch_execz .LBB709_67
; %bb.62:
	v_cmp_ne_u32_e32 vcc_lo, 1, v27
	s_mov_b32 s0, 0
	s_cbranch_vccnz .LBB709_66
; %bb.63:
	v_mul_u64_e32 v[16:17], s[18:19], v[8:9]
	v_mul_u64_e32 v[22:23], s[18:19], v[2:3]
	s_add_nc_u64 s[0:1], s[18:19], -1
                                        ; implicit-def: $sgpr27
	s_delay_alu instid0(VALU_DEP_2) | instskip(NEXT) | instid1(VALU_DEP_2)
	v_lshl_add_u64 v[16:17], v[16:17], 1, s[8:9]
	v_lshl_add_u64 v[22:23], v[22:23], 1, s[8:9]
.LBB709_64:                             ; =>This Inner Loop Header: Depth=1
	global_load_u16 v19, v[16:17], off
	global_load_u16 v24, v[22:23], off
	s_cmp_eq_u64 s[0:1], 0
	s_add_nc_u64 s[28:29], s[0:1], -1
	s_cselect_b32 s1, -1, 0
	s_wait_xcnt 0x1
	v_add_nc_u64_e32 v[16:17], 2, v[16:17]
	s_wait_xcnt 0x0
	v_add_nc_u64_e32 v[22:23], 2, v[22:23]
	s_wait_loadcnt 0x0
	v_cmp_ne_u16_e32 vcc_lo, v19, v24
	v_cmp_eq_u16_e64 s0, v19, v24
	s_or_b32 s1, vcc_lo, s1
	s_delay_alu instid0(SALU_CYCLE_1) | instskip(NEXT) | instid1(SALU_CYCLE_1)
	s_and_b32 s1, exec_lo, s1
	s_or_b32 s6, s1, s6
	s_and_not1_b32 s27, s27, exec_lo
	s_and_b32 s30, s0, exec_lo
	s_mov_b64 s[0:1], s[28:29]
	s_or_b32 s27, s27, s30
	s_and_not1_b32 exec_lo, exec_lo, s6
	s_cbranch_execnz .LBB709_64
; %bb.65:
	s_or_b32 exec_lo, exec_lo, s6
	s_xor_b32 s0, s27, -1
.LBB709_66:
	s_delay_alu instid0(SALU_CYCLE_1)
	s_and_b32 s6, s0, exec_lo
.LBB709_67:
	s_or_b32 exec_lo, exec_lo, s26
	v_add_nc_u32_e32 v16, 3, v1
	s_mov_b32 s26, exec_lo
	s_delay_alu instid0(VALU_DEP_1)
	v_cmpx_gt_u32_e64 s23, v16
	s_cbranch_execz .LBB709_73
; %bb.68:
	v_cmp_ne_u32_e32 vcc_lo, 1, v27
	s_mov_b32 s0, 0
	s_cbranch_vccnz .LBB709_72
; %bb.69:
	v_mul_u64_e32 v[16:17], s[18:19], v[6:7]
	v_mul_u64_e32 v[22:23], s[18:19], v[8:9]
	s_add_nc_u64 s[0:1], s[18:19], -1
	s_mov_b32 s7, 0
                                        ; implicit-def: $sgpr27
	s_delay_alu instid0(VALU_DEP_2) | instskip(NEXT) | instid1(VALU_DEP_2)
	v_lshl_add_u64 v[16:17], v[16:17], 1, s[8:9]
	v_lshl_add_u64 v[22:23], v[22:23], 1, s[8:9]
.LBB709_70:                             ; =>This Inner Loop Header: Depth=1
	global_load_u16 v19, v[16:17], off
	global_load_u16 v24, v[22:23], off
	s_cmp_eq_u64 s[0:1], 0
	s_add_nc_u64 s[28:29], s[0:1], -1
	s_cselect_b32 s1, -1, 0
	s_wait_xcnt 0x1
	v_add_nc_u64_e32 v[16:17], 2, v[16:17]
	s_wait_xcnt 0x0
	v_add_nc_u64_e32 v[22:23], 2, v[22:23]
	s_wait_loadcnt 0x0
	v_cmp_ne_u16_e32 vcc_lo, v19, v24
	v_cmp_eq_u16_e64 s0, v19, v24
	s_or_b32 s1, vcc_lo, s1
	s_delay_alu instid0(SALU_CYCLE_1) | instskip(NEXT) | instid1(SALU_CYCLE_1)
	s_and_b32 s1, exec_lo, s1
	s_or_b32 s7, s1, s7
	s_and_not1_b32 s27, s27, exec_lo
	s_and_b32 s30, s0, exec_lo
	s_mov_b64 s[0:1], s[28:29]
	s_or_b32 s27, s27, s30
	s_and_not1_b32 exec_lo, exec_lo, s7
	s_cbranch_execnz .LBB709_70
; %bb.71:
	s_or_b32 exec_lo, exec_lo, s7
	s_xor_b32 s0, s27, -1
.LBB709_72:
	s_delay_alu instid0(SALU_CYCLE_1)
	s_and_b32 s7, s0, exec_lo
.LBB709_73:
	s_or_b32 exec_lo, exec_lo, s26
	v_add_nc_u32_e32 v16, 2, v1
	s_mov_b32 s26, 0
	s_mov_b32 s27, 0
	s_mov_b32 s28, exec_lo
	s_delay_alu instid0(VALU_DEP_1)
	v_cmpx_gt_u32_e64 s23, v16
	s_cbranch_execz .LBB709_79
; %bb.74:
	v_cmp_ne_u32_e32 vcc_lo, 1, v27
	s_mov_b32 s0, 0
	s_cbranch_vccnz .LBB709_78
; %bb.75:
	v_mul_u64_e32 v[16:17], s[18:19], v[12:13]
	v_mul_u64_e32 v[22:23], s[18:19], v[6:7]
	s_add_nc_u64 s[0:1], s[18:19], -1
                                        ; implicit-def: $sgpr29
	s_delay_alu instid0(VALU_DEP_2) | instskip(NEXT) | instid1(VALU_DEP_2)
	v_lshl_add_u64 v[16:17], v[16:17], 1, s[8:9]
	v_lshl_add_u64 v[22:23], v[22:23], 1, s[8:9]
.LBB709_76:                             ; =>This Inner Loop Header: Depth=1
	global_load_u16 v19, v[16:17], off
	global_load_u16 v24, v[22:23], off
	s_cmp_eq_u64 s[0:1], 0
	s_add_nc_u64 s[30:31], s[0:1], -1
	s_cselect_b32 s1, -1, 0
	s_wait_xcnt 0x1
	v_add_nc_u64_e32 v[16:17], 2, v[16:17]
	s_wait_xcnt 0x0
	v_add_nc_u64_e32 v[22:23], 2, v[22:23]
	s_wait_loadcnt 0x0
	v_cmp_ne_u16_e32 vcc_lo, v19, v24
	v_cmp_eq_u16_e64 s0, v19, v24
	s_or_b32 s1, vcc_lo, s1
	s_delay_alu instid0(SALU_CYCLE_1) | instskip(NEXT) | instid1(SALU_CYCLE_1)
	s_and_b32 s1, exec_lo, s1
	s_or_b32 s27, s1, s27
	s_and_not1_b32 s29, s29, exec_lo
	s_and_b32 s33, s0, exec_lo
	s_mov_b64 s[0:1], s[30:31]
	s_or_b32 s29, s29, s33
	s_and_not1_b32 exec_lo, exec_lo, s27
	s_cbranch_execnz .LBB709_76
; %bb.77:
	s_or_b32 exec_lo, exec_lo, s27
	s_xor_b32 s0, s29, -1
.LBB709_78:
	s_delay_alu instid0(SALU_CYCLE_1)
	s_and_b32 s27, s0, exec_lo
.LBB709_79:
	s_or_b32 exec_lo, exec_lo, s28
	v_add_nc_u32_e32 v16, 1, v1
	s_mov_b32 s28, exec_lo
	s_delay_alu instid0(VALU_DEP_1)
	v_cmpx_gt_u32_e64 s23, v16
	s_cbranch_execz .LBB709_85
; %bb.80:
	v_cmp_ne_u32_e32 vcc_lo, 1, v27
	s_mov_b32 s0, 0
	s_cbranch_vccnz .LBB709_84
; %bb.81:
	v_mul_u64_e32 v[16:17], s[18:19], v[10:11]
	v_mul_u64_e32 v[22:23], s[18:19], v[12:13]
	s_add_nc_u64 s[0:1], s[18:19], -1
	s_mov_b32 s26, 0
                                        ; implicit-def: $sgpr29
	s_delay_alu instid0(VALU_DEP_2) | instskip(NEXT) | instid1(VALU_DEP_2)
	v_lshl_add_u64 v[16:17], v[16:17], 1, s[8:9]
	v_lshl_add_u64 v[22:23], v[22:23], 1, s[8:9]
.LBB709_82:                             ; =>This Inner Loop Header: Depth=1
	global_load_u16 v19, v[16:17], off
	global_load_u16 v24, v[22:23], off
	s_cmp_eq_u64 s[0:1], 0
	s_add_nc_u64 s[30:31], s[0:1], -1
	s_cselect_b32 s1, -1, 0
	s_wait_xcnt 0x1
	v_add_nc_u64_e32 v[16:17], 2, v[16:17]
	s_wait_xcnt 0x0
	v_add_nc_u64_e32 v[22:23], 2, v[22:23]
	s_wait_loadcnt 0x0
	v_cmp_ne_u16_e32 vcc_lo, v19, v24
	v_cmp_eq_u16_e64 s0, v19, v24
	s_or_b32 s1, vcc_lo, s1
	s_delay_alu instid0(SALU_CYCLE_1) | instskip(NEXT) | instid1(SALU_CYCLE_1)
	s_and_b32 s1, exec_lo, s1
	s_or_b32 s26, s1, s26
	s_and_not1_b32 s29, s29, exec_lo
	s_and_b32 s33, s0, exec_lo
	s_mov_b64 s[0:1], s[30:31]
	s_or_b32 s29, s29, s33
	s_and_not1_b32 exec_lo, exec_lo, s26
	s_cbranch_execnz .LBB709_82
; %bb.83:
	s_or_b32 exec_lo, exec_lo, s26
	s_xor_b32 s0, s29, -1
.LBB709_84:
	s_delay_alu instid0(SALU_CYCLE_1)
	s_and_b32 s26, s0, exec_lo
.LBB709_85:
	s_or_b32 exec_lo, exec_lo, s28
	s_wait_loadcnt_dscnt 0x0
	s_barrier_signal -1
	s_barrier_wait -1
	s_and_saveexec_b32 s0, s3
; %bb.86:
	v_add_nc_u32_e32 v16, -8, v28
	ds_load_b64 v[20:21], v16
; %bb.87:
	s_or_b32 exec_lo, exec_lo, s0
	v_cndmask_b32_e64 v16, 0, 1, s7
	v_cndmask_b32_e64 v17, 0, 1, s27
	;; [unrolled: 1-line block ×3, first 2 shown]
	s_mov_b32 s0, 0
	s_mov_b32 s7, exec_lo
	v_lshlrev_b16 v16, 8, v16
	s_delay_alu instid0(VALU_DEP_2) | instskip(NEXT) | instid1(VALU_DEP_2)
	v_lshlrev_b16 v19, 8, v19
	v_or_b32_e32 v16, v17, v16
	s_delay_alu instid0(VALU_DEP_2) | instskip(NEXT) | instid1(VALU_DEP_2)
	v_and_b32_e32 v22, 0xffff, v19
	v_lshlrev_b32_e32 v23, 16, v16
	v_cmpx_gt_u32_e64 s23, v1
	s_cbranch_execz .LBB709_93
; %bb.88:
	v_cmp_ne_u32_e32 vcc_lo, 1, v27
	s_cbranch_vccnz .LBB709_92
; %bb.89:
	s_wait_dscnt 0x0
	v_mul_u64_e32 v[16:17], s[18:19], v[20:21]
	v_mul_u64_e32 v[20:21], s[18:19], v[10:11]
	s_add_nc_u64 s[0:1], s[18:19], -1
	s_mov_b32 s26, 0
                                        ; implicit-def: $sgpr27
	s_delay_alu instid0(VALU_DEP_2) | instskip(NEXT) | instid1(VALU_DEP_2)
	v_lshl_add_u64 v[16:17], v[16:17], 1, s[8:9]
	v_lshl_add_u64 v[20:21], v[20:21], 1, s[8:9]
.LBB709_90:                             ; =>This Inner Loop Header: Depth=1
	global_load_u16 v19, v[16:17], off
	global_load_u16 v24, v[20:21], off
	s_cmp_eq_u64 s[0:1], 0
	s_add_nc_u64 s[28:29], s[0:1], -1
	s_cselect_b32 s1, -1, 0
	s_wait_xcnt 0x1
	v_add_nc_u64_e32 v[16:17], 2, v[16:17]
	s_wait_xcnt 0x0
	v_add_nc_u64_e32 v[20:21], 2, v[20:21]
	s_wait_loadcnt 0x0
	v_cmp_ne_u16_e32 vcc_lo, v19, v24
	v_cmp_eq_u16_e64 s0, v19, v24
	s_or_b32 s1, vcc_lo, s1
	s_delay_alu instid0(SALU_CYCLE_1) | instskip(NEXT) | instid1(SALU_CYCLE_1)
	s_and_b32 s1, exec_lo, s1
	s_or_b32 s26, s1, s26
	s_and_not1_b32 s27, s27, exec_lo
	s_and_b32 s30, s0, exec_lo
	s_mov_b64 s[0:1], s[28:29]
	s_or_b32 s27, s27, s30
	s_and_not1_b32 exec_lo, exec_lo, s26
	s_cbranch_execnz .LBB709_90
; %bb.91:
	s_or_b32 exec_lo, exec_lo, s26
	s_xor_b32 s0, s27, -1
.LBB709_92:
	s_delay_alu instid0(SALU_CYCLE_1)
	s_and_b32 s0, s0, exec_lo
.LBB709_93:
	s_or_b32 exec_lo, exec_lo, s7
	v_cndmask_b32_e64 v17, 0, 1, s6
	v_cndmask_b32_e64 v30, 0, 1, s5
	;; [unrolled: 1-line block ×3, first 2 shown]
	v_or_b32_e32 v22, v22, v23
.LBB709_94:
	s_mov_b32 s6, -1
	s_cbranch_execnz .LBB709_39
.LBB709_95:
	v_cmp_gt_i64_e64 s7, s[18:19], 0
	v_mad_i32_i24 v26, 0xffffffd0, v0, v26
	s_and_b32 vcc_lo, exec_lo, s17
	ds_store_b64 v26, v[14:15]
	s_cbranch_vccz .LBB709_110
; %bb.96:
	s_and_not1_b32 vcc_lo, exec_lo, s7
	s_cbranch_vccnz .LBB709_111
; %bb.97:
	v_mul_u64_e32 v[16:17], s[18:19], v[4:5]
	s_wait_loadcnt_dscnt 0x1
	v_mul_u64_e32 v[20:21], s[18:19], v[14:15]
	s_add_nc_u64 s[4:5], s[18:19], -1
	s_mov_b32 s27, 0
	s_mov_b64 s[0:1], s[4:5]
                                        ; implicit-def: $sgpr26
	s_delay_alu instid0(VALU_DEP_2) | instskip(NEXT) | instid1(VALU_DEP_2)
	v_lshl_add_u64 v[16:17], v[16:17], 1, s[8:9]
	v_lshl_add_u64 v[20:21], v[20:21], 1, s[8:9]
	s_delay_alu instid0(VALU_DEP_2)
	v_mov_b64_e32 v[22:23], v[16:17]
.LBB709_98:                             ; =>This Inner Loop Header: Depth=1
	global_load_u16 v19, v[22:23], off
	global_load_u16 v24, v[20:21], off
	s_cmp_eq_u64 s[0:1], 0
	s_add_nc_u64 s[28:29], s[0:1], -1
	s_cselect_b32 s1, -1, 0
	s_wait_xcnt 0x1
	v_add_nc_u64_e32 v[22:23], 2, v[22:23]
	s_wait_xcnt 0x0
	v_add_nc_u64_e32 v[20:21], 2, v[20:21]
	s_wait_loadcnt 0x0
	v_cmp_ne_u16_e32 vcc_lo, v19, v24
	v_cmp_eq_u16_e64 s0, v19, v24
	s_or_b32 s1, vcc_lo, s1
	s_delay_alu instid0(SALU_CYCLE_1) | instskip(NEXT) | instid1(SALU_CYCLE_1)
	s_and_b32 s1, exec_lo, s1
	s_or_b32 s27, s1, s27
	s_and_not1_b32 s26, s26, exec_lo
	s_and_b32 s30, s0, exec_lo
	s_mov_b64 s[0:1], s[28:29]
	s_or_b32 s26, s26, s30
	s_and_not1_b32 exec_lo, exec_lo, s27
	s_cbranch_execnz .LBB709_98
; %bb.99:
	s_or_b32 exec_lo, exec_lo, s27
	v_mul_u64_e32 v[20:21], s[18:19], v[2:3]
	s_mov_b32 s28, 0
	s_mov_b64 s[0:1], s[4:5]
                                        ; implicit-def: $sgpr27
	s_delay_alu instid0(VALU_DEP_1) | instskip(NEXT) | instid1(VALU_DEP_1)
	v_lshl_add_u64 v[20:21], v[20:21], 1, s[8:9]
	v_mov_b64_e32 v[22:23], v[20:21]
.LBB709_100:                            ; =>This Inner Loop Header: Depth=1
	global_load_u16 v19, v[22:23], off
	global_load_u16 v24, v[16:17], off
	s_cmp_eq_u64 s[0:1], 0
	s_add_nc_u64 s[30:31], s[0:1], -1
	s_cselect_b32 s1, -1, 0
	s_wait_xcnt 0x1
	v_add_nc_u64_e32 v[22:23], 2, v[22:23]
	s_wait_xcnt 0x0
	v_add_nc_u64_e32 v[16:17], 2, v[16:17]
	s_wait_loadcnt 0x0
	v_cmp_ne_u16_e32 vcc_lo, v19, v24
	v_cmp_eq_u16_e64 s0, v19, v24
	s_or_b32 s1, vcc_lo, s1
	s_delay_alu instid0(SALU_CYCLE_1) | instskip(NEXT) | instid1(SALU_CYCLE_1)
	s_and_b32 s1, exec_lo, s1
	s_or_b32 s28, s1, s28
	s_and_not1_b32 s27, s27, exec_lo
	s_and_b32 s29, s0, exec_lo
	s_mov_b64 s[0:1], s[30:31]
	s_or_b32 s27, s27, s29
	s_and_not1_b32 exec_lo, exec_lo, s28
	s_cbranch_execnz .LBB709_100
; %bb.101:
	s_or_b32 exec_lo, exec_lo, s28
	v_mul_u64_e32 v[16:17], s[18:19], v[8:9]
	s_mov_b32 s29, 0
	s_mov_b64 s[0:1], s[4:5]
                                        ; implicit-def: $sgpr28
	s_delay_alu instid0(VALU_DEP_1) | instskip(NEXT) | instid1(VALU_DEP_1)
	v_lshl_add_u64 v[16:17], v[16:17], 1, s[8:9]
	v_mov_b64_e32 v[22:23], v[16:17]
.LBB709_102:                            ; =>This Inner Loop Header: Depth=1
	global_load_u16 v19, v[22:23], off
	global_load_u16 v24, v[20:21], off
	s_cmp_eq_u64 s[0:1], 0
	s_add_nc_u64 s[30:31], s[0:1], -1
	s_cselect_b32 s1, -1, 0
	s_wait_xcnt 0x1
	v_add_nc_u64_e32 v[22:23], 2, v[22:23]
	s_wait_xcnt 0x0
	v_add_nc_u64_e32 v[20:21], 2, v[20:21]
	s_wait_loadcnt 0x0
	v_cmp_ne_u16_e32 vcc_lo, v19, v24
	v_cmp_eq_u16_e64 s0, v19, v24
	s_or_b32 s1, vcc_lo, s1
	s_delay_alu instid0(SALU_CYCLE_1) | instskip(NEXT) | instid1(SALU_CYCLE_1)
	s_and_b32 s1, exec_lo, s1
	s_or_b32 s29, s1, s29
	s_and_not1_b32 s28, s28, exec_lo
	s_and_b32 s33, s0, exec_lo
	s_mov_b64 s[0:1], s[30:31]
	s_or_b32 s28, s28, s33
	s_and_not1_b32 exec_lo, exec_lo, s29
	s_cbranch_execnz .LBB709_102
; %bb.103:
	s_or_b32 exec_lo, exec_lo, s29
	v_mul_u64_e32 v[20:21], s[18:19], v[6:7]
	s_mov_b32 s30, 0
	s_mov_b64 s[0:1], s[4:5]
                                        ; implicit-def: $sgpr29
	s_delay_alu instid0(VALU_DEP_1) | instskip(NEXT) | instid1(VALU_DEP_1)
	v_lshl_add_u64 v[20:21], v[20:21], 1, s[8:9]
	v_mov_b64_e32 v[22:23], v[20:21]
.LBB709_104:                            ; =>This Inner Loop Header: Depth=1
	global_load_u16 v19, v[22:23], off
	global_load_u16 v24, v[16:17], off
	s_cmp_eq_u64 s[0:1], 0
	s_add_nc_u64 s[34:35], s[0:1], -1
	s_cselect_b32 s1, -1, 0
	s_wait_xcnt 0x1
	v_add_nc_u64_e32 v[22:23], 2, v[22:23]
	s_wait_xcnt 0x0
	v_add_nc_u64_e32 v[16:17], 2, v[16:17]
	s_wait_loadcnt 0x0
	v_cmp_ne_u16_e32 vcc_lo, v19, v24
	v_cmp_eq_u16_e64 s0, v19, v24
	s_or_b32 s1, vcc_lo, s1
	s_delay_alu instid0(SALU_CYCLE_1) | instskip(NEXT) | instid1(SALU_CYCLE_1)
	s_and_b32 s1, exec_lo, s1
	s_or_b32 s30, s1, s30
	s_and_not1_b32 s29, s29, exec_lo
	s_and_b32 s31, s0, exec_lo
	s_mov_b64 s[0:1], s[34:35]
	s_or_b32 s29, s29, s31
	s_and_not1_b32 exec_lo, exec_lo, s30
	s_cbranch_execnz .LBB709_104
; %bb.105:
	s_or_b32 exec_lo, exec_lo, s30
	v_mul_u64_e32 v[16:17], s[18:19], v[12:13]
	s_mov_b32 s31, 0
	s_mov_b64 s[0:1], s[4:5]
                                        ; implicit-def: $sgpr30
	s_delay_alu instid0(VALU_DEP_1) | instskip(NEXT) | instid1(VALU_DEP_1)
	v_lshl_add_u64 v[16:17], v[16:17], 1, s[8:9]
	v_mov_b64_e32 v[22:23], v[16:17]
.LBB709_106:                            ; =>This Inner Loop Header: Depth=1
	global_load_u16 v19, v[22:23], off
	global_load_u16 v24, v[20:21], off
	s_cmp_eq_u64 s[0:1], 0
	s_add_nc_u64 s[34:35], s[0:1], -1
	s_cselect_b32 s1, -1, 0
	s_wait_xcnt 0x1
	v_add_nc_u64_e32 v[22:23], 2, v[22:23]
	s_wait_xcnt 0x0
	v_add_nc_u64_e32 v[20:21], 2, v[20:21]
	s_wait_loadcnt 0x0
	v_cmp_ne_u16_e32 vcc_lo, v19, v24
	v_cmp_eq_u16_e64 s0, v19, v24
	s_or_b32 s1, vcc_lo, s1
	s_delay_alu instid0(SALU_CYCLE_1) | instskip(NEXT) | instid1(SALU_CYCLE_1)
	s_and_b32 s1, exec_lo, s1
	s_or_b32 s31, s1, s31
	s_and_not1_b32 s30, s30, exec_lo
	s_and_b32 s33, s0, exec_lo
	s_mov_b64 s[0:1], s[34:35]
	s_or_b32 s30, s30, s33
	s_and_not1_b32 exec_lo, exec_lo, s31
	s_cbranch_execnz .LBB709_106
; %bb.107:
	s_or_b32 exec_lo, exec_lo, s31
	v_mul_u64_e32 v[20:21], s[18:19], v[10:11]
	s_mov_b32 s31, 0
                                        ; implicit-def: $sgpr1
	s_delay_alu instid0(VALU_DEP_1)
	v_lshl_add_u64 v[20:21], v[20:21], 1, s[8:9]
.LBB709_108:                            ; =>This Inner Loop Header: Depth=1
	global_load_u16 v19, v[20:21], off
	global_load_u16 v22, v[16:17], off
	s_cmp_eq_u64 s[4:5], 0
	s_add_nc_u64 s[34:35], s[4:5], -1
	s_cselect_b32 s4, -1, 0
	s_wait_xcnt 0x1
	v_add_nc_u64_e32 v[20:21], 2, v[20:21]
	s_wait_xcnt 0x0
	v_add_nc_u64_e32 v[16:17], 2, v[16:17]
	s_wait_loadcnt 0x0
	v_cmp_ne_u16_e32 vcc_lo, v19, v22
	v_cmp_eq_u16_e64 s0, v19, v22
	s_or_b32 s4, vcc_lo, s4
	s_delay_alu instid0(SALU_CYCLE_1) | instskip(NEXT) | instid1(SALU_CYCLE_1)
	s_and_b32 s4, exec_lo, s4
	s_or_b32 s31, s4, s31
	s_and_not1_b32 s1, s1, exec_lo
	s_and_b32 s0, s0, exec_lo
	s_mov_b64 s[4:5], s[34:35]
	s_or_b32 s1, s1, s0
	s_and_not1_b32 exec_lo, exec_lo, s31
	s_cbranch_execnz .LBB709_108
; %bb.109:
	s_or_b32 exec_lo, exec_lo, s31
	s_xor_b32 s0, s29, -1
	s_delay_alu instid0(SALU_CYCLE_1) | instskip(SKIP_1) | instid1(SALU_CYCLE_1)
	v_cndmask_b32_e64 v16, 0, 1, s0
	s_xor_b32 s0, s30, -1
	v_cndmask_b32_e64 v17, 0, 1, s0
	s_xor_b32 s0, s27, -1
	s_delay_alu instid0(VALU_DEP_2) | instskip(SKIP_2) | instid1(SALU_CYCLE_1)
	v_lshlrev_b16 v16, 8, v16
	v_cndmask_b32_e64 v30, 0, 1, s0
	s_xor_b32 s0, s26, -1
	v_cndmask_b32_e64 v19, 0, 1, s0
	s_delay_alu instid0(VALU_DEP_3) | instskip(SKIP_1) | instid1(VALU_DEP_1)
	v_lshrrev_b32_e32 v16, 8, v16
	s_xor_b32 s0, s28, -1
	v_and_b32_e32 v16, 1, v16
	s_delay_alu instid0(VALU_DEP_1) | instskip(NEXT) | instid1(VALU_DEP_1)
	v_lshlrev_b16 v16, 8, v16
	v_or_b32_e32 v16, v17, v16
	v_cndmask_b32_e64 v17, 0, 1, s0
	s_xor_b32 s0, s1, -1
	s_delay_alu instid0(VALU_DEP_2)
	v_lshlrev_b32_e32 v16, 16, v16
	s_branch .LBB709_112
.LBB709_110:
                                        ; implicit-def: $sgpr0
                                        ; implicit-def: $vgpr19
                                        ; implicit-def: $vgpr30
                                        ; implicit-def: $vgpr17
                                        ; implicit-def: $vgpr22
                                        ; implicit-def: $vgpr32
                                        ; implicit-def: $vgpr31
                                        ; implicit-def: $vgpr20
	s_cbranch_execnz .LBB709_119
	s_branch .LBB709_164
.LBB709_111:
	v_dual_mov_b32 v16, 0 :: v_dual_mov_b32 v19, 0
	v_dual_mov_b32 v30, 0 :: v_dual_mov_b32 v17, 0
	s_mov_b32 s0, 0
.LBB709_112:
	s_wait_loadcnt_dscnt 0x1
	s_delay_alu instid0(VALU_DEP_1)
	v_dual_lshrrev_b32 v31, 16, v16 :: v_dual_lshrrev_b32 v20, 24, v16
	v_cndmask_b32_e64 v32, 0, 1, s0
	v_mov_b32_e32 v16, 1
	s_wait_dscnt 0x0
	s_barrier_signal -1
	s_barrier_wait -1
                                        ; implicit-def: $sgpr0
                                        ; implicit-def: $vgpr22
	s_and_saveexec_b32 s1, s3
	s_delay_alu instid0(SALU_CYCLE_1)
	s_xor_b32 s4, exec_lo, s1
	s_cbranch_execz .LBB709_118
; %bb.113:
	v_lshlrev_b16 v21, 8, v20
	v_lshlrev_b16 v22, 8, v32
	s_and_not1_b32 vcc_lo, exec_lo, s7
	s_mov_b32 s0, 0
	s_delay_alu instid0(VALU_DEP_2) | instskip(NEXT) | instid1(VALU_DEP_1)
	v_bitop3_b16 v21, v31, v21, 0xff bitop3:0xec
	v_dual_lshlrev_b32 v21, 16, v21 :: v_dual_bitop2_b32 v22, 1, v22 bitop3:0x54
	s_delay_alu instid0(VALU_DEP_1) | instskip(NEXT) | instid1(VALU_DEP_1)
	v_and_b32_e32 v22, 0xffff, v22
	v_or_b32_e32 v21, v22, v21
	s_cbranch_vccnz .LBB709_117
; %bb.114:
	v_add_nc_u32_e32 v22, -8, v26
	v_mul_u64_e32 v[24:25], s[18:19], v[10:11]
	s_add_nc_u64 s[0:1], s[18:19], -1
	s_mov_b32 s5, 0
                                        ; implicit-def: $sgpr26
	ds_load_b64 v[22:23], v22
	s_wait_dscnt 0x0
	v_mul_u64_e32 v[22:23], s[18:19], v[22:23]
	v_lshl_add_u64 v[24:25], v[24:25], 1, s[8:9]
	s_delay_alu instid0(VALU_DEP_2)
	v_lshl_add_u64 v[22:23], v[22:23], 1, s[8:9]
.LBB709_115:                            ; =>This Inner Loop Header: Depth=1
	global_load_u16 v27, v[22:23], off
	global_load_u16 v28, v[24:25], off
	s_cmp_eq_u64 s[0:1], 0
	s_add_nc_u64 s[28:29], s[0:1], -1
	s_cselect_b32 s1, -1, 0
	s_wait_xcnt 0x1
	v_add_nc_u64_e32 v[22:23], 2, v[22:23]
	s_wait_xcnt 0x0
	v_add_nc_u64_e32 v[24:25], 2, v[24:25]
	s_wait_loadcnt 0x0
	v_cmp_ne_u16_e32 vcc_lo, v27, v28
	v_cmp_eq_u16_e64 s0, v27, v28
	s_or_b32 s1, vcc_lo, s1
	s_delay_alu instid0(SALU_CYCLE_1) | instskip(NEXT) | instid1(SALU_CYCLE_1)
	s_and_b32 s1, exec_lo, s1
	s_or_b32 s5, s1, s5
	s_and_not1_b32 s26, s26, exec_lo
	s_and_b32 s27, s0, exec_lo
	s_mov_b64 s[0:1], s[28:29]
	s_or_b32 s26, s26, s27
	s_and_not1_b32 exec_lo, exec_lo, s5
	s_cbranch_execnz .LBB709_115
; %bb.116:
	s_or_b32 exec_lo, exec_lo, s5
	s_xor_b32 s0, s26, -1
.LBB709_117:
	s_delay_alu instid0(VALU_DEP_1)
	v_perm_b32 v22, v21, v21, 0x3020104
	s_or_b32 s6, s6, exec_lo
.LBB709_118:
	s_or_b32 exec_lo, exec_lo, s4
	s_branch .LBB709_164
.LBB709_119:
	v_add_nc_u32_e32 v16, 6, v1
	s_mov_b32 s5, 0
	s_mov_b32 s4, 0
	s_mov_b32 s26, exec_lo
	s_wait_xcnt 0x0
	v_cmpx_gt_u32_e64 s23, v16
	s_cbranch_execz .LBB709_125
; %bb.120:
	s_and_not1_b32 vcc_lo, exec_lo, s7
	s_mov_b32 s0, 0
	s_cbranch_vccnz .LBB709_124
; %bb.121:
	v_mul_u64_e32 v[16:17], s[18:19], v[4:5]
	s_wait_loadcnt_dscnt 0x1
	v_mul_u64_e32 v[20:21], s[18:19], v[14:15]
	s_add_nc_u64 s[0:1], s[18:19], -1
                                        ; implicit-def: $sgpr27
	s_delay_alu instid0(VALU_DEP_2) | instskip(NEXT) | instid1(VALU_DEP_2)
	v_lshl_add_u64 v[16:17], v[16:17], 1, s[8:9]
	v_lshl_add_u64 v[20:21], v[20:21], 1, s[8:9]
.LBB709_122:                            ; =>This Inner Loop Header: Depth=1
	global_load_u16 v19, v[16:17], off
	global_load_u16 v22, v[20:21], off
	s_cmp_eq_u64 s[0:1], 0
	s_add_nc_u64 s[28:29], s[0:1], -1
	s_cselect_b32 s1, -1, 0
	s_wait_xcnt 0x1
	v_add_nc_u64_e32 v[16:17], 2, v[16:17]
	s_wait_xcnt 0x0
	v_add_nc_u64_e32 v[20:21], 2, v[20:21]
	s_wait_loadcnt 0x0
	v_cmp_ne_u16_e32 vcc_lo, v19, v22
	v_cmp_eq_u16_e64 s0, v19, v22
	s_or_b32 s1, vcc_lo, s1
	s_delay_alu instid0(SALU_CYCLE_1) | instskip(NEXT) | instid1(SALU_CYCLE_1)
	s_and_b32 s1, exec_lo, s1
	s_or_b32 s4, s1, s4
	s_and_not1_b32 s27, s27, exec_lo
	s_and_b32 s30, s0, exec_lo
	s_mov_b64 s[0:1], s[28:29]
	s_or_b32 s27, s27, s30
	s_and_not1_b32 exec_lo, exec_lo, s4
	s_cbranch_execnz .LBB709_122
; %bb.123:
	s_or_b32 exec_lo, exec_lo, s4
	s_xor_b32 s0, s27, -1
.LBB709_124:
	s_delay_alu instid0(SALU_CYCLE_1)
	s_and_b32 s4, s0, exec_lo
.LBB709_125:
	s_or_b32 exec_lo, exec_lo, s26
	v_add_nc_u32_e32 v16, 5, v1
	s_mov_b32 s26, exec_lo
	s_delay_alu instid0(VALU_DEP_1)
	v_cmpx_gt_u32_e64 s23, v16
	s_cbranch_execz .LBB709_131
; %bb.126:
	s_and_not1_b32 vcc_lo, exec_lo, s7
	s_mov_b32 s0, 0
	s_cbranch_vccnz .LBB709_130
; %bb.127:
	v_mul_u64_e32 v[16:17], s[18:19], v[2:3]
	s_wait_loadcnt_dscnt 0x1
	v_mul_u64_e32 v[20:21], s[18:19], v[4:5]
	s_add_nc_u64 s[0:1], s[18:19], -1
	s_mov_b32 s5, 0
                                        ; implicit-def: $sgpr27
	s_delay_alu instid0(VALU_DEP_2) | instskip(NEXT) | instid1(VALU_DEP_2)
	v_lshl_add_u64 v[16:17], v[16:17], 1, s[8:9]
	v_lshl_add_u64 v[20:21], v[20:21], 1, s[8:9]
.LBB709_128:                            ; =>This Inner Loop Header: Depth=1
	global_load_u16 v19, v[16:17], off
	global_load_u16 v22, v[20:21], off
	s_cmp_eq_u64 s[0:1], 0
	s_add_nc_u64 s[28:29], s[0:1], -1
	s_cselect_b32 s1, -1, 0
	s_wait_xcnt 0x1
	v_add_nc_u64_e32 v[16:17], 2, v[16:17]
	s_wait_xcnt 0x0
	v_add_nc_u64_e32 v[20:21], 2, v[20:21]
	s_wait_loadcnt 0x0
	v_cmp_ne_u16_e32 vcc_lo, v19, v22
	v_cmp_eq_u16_e64 s0, v19, v22
	s_or_b32 s1, vcc_lo, s1
	s_delay_alu instid0(SALU_CYCLE_1) | instskip(NEXT) | instid1(SALU_CYCLE_1)
	s_and_b32 s1, exec_lo, s1
	s_or_b32 s5, s1, s5
	s_and_not1_b32 s27, s27, exec_lo
	s_and_b32 s30, s0, exec_lo
	s_mov_b64 s[0:1], s[28:29]
	s_or_b32 s27, s27, s30
	s_and_not1_b32 exec_lo, exec_lo, s5
	s_cbranch_execnz .LBB709_128
; %bb.129:
	s_or_b32 exec_lo, exec_lo, s5
	s_xor_b32 s0, s27, -1
.LBB709_130:
	s_delay_alu instid0(SALU_CYCLE_1)
	s_and_b32 s5, s0, exec_lo
.LBB709_131:
	s_or_b32 exec_lo, exec_lo, s26
	v_add_nc_u32_e32 v16, 4, v1
	s_mov_b32 s26, 0
	s_mov_b32 s27, 0
	s_mov_b32 s28, exec_lo
	s_delay_alu instid0(VALU_DEP_1)
	v_cmpx_gt_u32_e64 s23, v16
	s_cbranch_execz .LBB709_137
; %bb.132:
	s_and_not1_b32 vcc_lo, exec_lo, s7
	s_mov_b32 s0, 0
	s_cbranch_vccnz .LBB709_136
; %bb.133:
	v_mul_u64_e32 v[16:17], s[18:19], v[8:9]
	s_wait_loadcnt_dscnt 0x1
	v_mul_u64_e32 v[20:21], s[18:19], v[2:3]
	s_add_nc_u64 s[0:1], s[18:19], -1
                                        ; implicit-def: $sgpr29
	s_delay_alu instid0(VALU_DEP_2) | instskip(NEXT) | instid1(VALU_DEP_2)
	v_lshl_add_u64 v[16:17], v[16:17], 1, s[8:9]
	v_lshl_add_u64 v[20:21], v[20:21], 1, s[8:9]
.LBB709_134:                            ; =>This Inner Loop Header: Depth=1
	global_load_u16 v19, v[16:17], off
	global_load_u16 v22, v[20:21], off
	s_cmp_eq_u64 s[0:1], 0
	s_add_nc_u64 s[30:31], s[0:1], -1
	s_cselect_b32 s1, -1, 0
	s_wait_xcnt 0x1
	v_add_nc_u64_e32 v[16:17], 2, v[16:17]
	s_wait_xcnt 0x0
	v_add_nc_u64_e32 v[20:21], 2, v[20:21]
	s_wait_loadcnt 0x0
	v_cmp_ne_u16_e32 vcc_lo, v19, v22
	v_cmp_eq_u16_e64 s0, v19, v22
	s_or_b32 s1, vcc_lo, s1
	s_delay_alu instid0(SALU_CYCLE_1) | instskip(NEXT) | instid1(SALU_CYCLE_1)
	s_and_b32 s1, exec_lo, s1
	s_or_b32 s27, s1, s27
	s_and_not1_b32 s29, s29, exec_lo
	s_and_b32 s33, s0, exec_lo
	s_mov_b64 s[0:1], s[30:31]
	s_or_b32 s29, s29, s33
	s_and_not1_b32 exec_lo, exec_lo, s27
	s_cbranch_execnz .LBB709_134
; %bb.135:
	s_or_b32 exec_lo, exec_lo, s27
	s_xor_b32 s0, s29, -1
.LBB709_136:
	s_delay_alu instid0(SALU_CYCLE_1)
	s_and_b32 s27, s0, exec_lo
.LBB709_137:
	s_or_b32 exec_lo, exec_lo, s28
	v_add_nc_u32_e32 v16, 3, v1
	s_mov_b32 s28, exec_lo
	s_delay_alu instid0(VALU_DEP_1)
	v_cmpx_gt_u32_e64 s23, v16
	s_cbranch_execz .LBB709_143
; %bb.138:
	s_and_not1_b32 vcc_lo, exec_lo, s7
	s_mov_b32 s0, 0
	s_cbranch_vccnz .LBB709_142
; %bb.139:
	v_mul_u64_e32 v[16:17], s[18:19], v[6:7]
	s_wait_loadcnt_dscnt 0x1
	v_mul_u64_e32 v[20:21], s[18:19], v[8:9]
	s_add_nc_u64 s[0:1], s[18:19], -1
	s_mov_b32 s26, 0
                                        ; implicit-def: $sgpr29
	s_delay_alu instid0(VALU_DEP_2) | instskip(NEXT) | instid1(VALU_DEP_2)
	v_lshl_add_u64 v[16:17], v[16:17], 1, s[8:9]
	v_lshl_add_u64 v[20:21], v[20:21], 1, s[8:9]
.LBB709_140:                            ; =>This Inner Loop Header: Depth=1
	global_load_u16 v19, v[16:17], off
	global_load_u16 v22, v[20:21], off
	s_cmp_eq_u64 s[0:1], 0
	s_add_nc_u64 s[30:31], s[0:1], -1
	s_cselect_b32 s1, -1, 0
	s_wait_xcnt 0x1
	v_add_nc_u64_e32 v[16:17], 2, v[16:17]
	s_wait_xcnt 0x0
	v_add_nc_u64_e32 v[20:21], 2, v[20:21]
	s_wait_loadcnt 0x0
	v_cmp_ne_u16_e32 vcc_lo, v19, v22
	v_cmp_eq_u16_e64 s0, v19, v22
	s_or_b32 s1, vcc_lo, s1
	s_delay_alu instid0(SALU_CYCLE_1) | instskip(NEXT) | instid1(SALU_CYCLE_1)
	s_and_b32 s1, exec_lo, s1
	s_or_b32 s26, s1, s26
	s_and_not1_b32 s29, s29, exec_lo
	s_and_b32 s33, s0, exec_lo
	s_mov_b64 s[0:1], s[30:31]
	s_or_b32 s29, s29, s33
	s_and_not1_b32 exec_lo, exec_lo, s26
	s_cbranch_execnz .LBB709_140
; %bb.141:
	s_or_b32 exec_lo, exec_lo, s26
	s_xor_b32 s0, s29, -1
.LBB709_142:
	s_delay_alu instid0(SALU_CYCLE_1)
	s_and_b32 s26, s0, exec_lo
.LBB709_143:
	s_or_b32 exec_lo, exec_lo, s28
	v_add_nc_u32_e32 v16, 2, v1
	s_mov_b32 s28, 0
	s_mov_b32 s29, 0
	s_mov_b32 s30, exec_lo
	s_delay_alu instid0(VALU_DEP_1)
	v_cmpx_gt_u32_e64 s23, v16
	s_cbranch_execz .LBB709_149
; %bb.144:
	s_and_not1_b32 vcc_lo, exec_lo, s7
	s_mov_b32 s0, 0
	s_cbranch_vccnz .LBB709_148
; %bb.145:
	v_mul_u64_e32 v[16:17], s[18:19], v[12:13]
	s_wait_loadcnt_dscnt 0x1
	v_mul_u64_e32 v[20:21], s[18:19], v[6:7]
	s_add_nc_u64 s[0:1], s[18:19], -1
                                        ; implicit-def: $sgpr31
	s_delay_alu instid0(VALU_DEP_2) | instskip(NEXT) | instid1(VALU_DEP_2)
	v_lshl_add_u64 v[16:17], v[16:17], 1, s[8:9]
	v_lshl_add_u64 v[20:21], v[20:21], 1, s[8:9]
.LBB709_146:                            ; =>This Inner Loop Header: Depth=1
	global_load_u16 v19, v[16:17], off
	global_load_u16 v22, v[20:21], off
	s_cmp_eq_u64 s[0:1], 0
	s_add_nc_u64 s[34:35], s[0:1], -1
	s_cselect_b32 s1, -1, 0
	s_wait_xcnt 0x1
	v_add_nc_u64_e32 v[16:17], 2, v[16:17]
	s_wait_xcnt 0x0
	v_add_nc_u64_e32 v[20:21], 2, v[20:21]
	s_wait_loadcnt 0x0
	v_cmp_ne_u16_e32 vcc_lo, v19, v22
	v_cmp_eq_u16_e64 s0, v19, v22
	s_or_b32 s1, vcc_lo, s1
	s_delay_alu instid0(SALU_CYCLE_1) | instskip(NEXT) | instid1(SALU_CYCLE_1)
	s_and_b32 s1, exec_lo, s1
	s_or_b32 s29, s1, s29
	s_and_not1_b32 s31, s31, exec_lo
	s_and_b32 s33, s0, exec_lo
	s_mov_b64 s[0:1], s[34:35]
	s_or_b32 s31, s31, s33
	s_and_not1_b32 exec_lo, exec_lo, s29
	s_cbranch_execnz .LBB709_146
; %bb.147:
	s_or_b32 exec_lo, exec_lo, s29
	s_xor_b32 s0, s31, -1
.LBB709_148:
	s_delay_alu instid0(SALU_CYCLE_1)
	s_and_b32 s29, s0, exec_lo
.LBB709_149:
	s_or_b32 exec_lo, exec_lo, s30
	v_add_nc_u32_e32 v16, 1, v1
	s_mov_b32 s30, exec_lo
	s_delay_alu instid0(VALU_DEP_1)
	v_cmpx_gt_u32_e64 s23, v16
	s_cbranch_execz .LBB709_155
; %bb.150:
	s_and_not1_b32 vcc_lo, exec_lo, s7
	s_mov_b32 s0, 0
	s_cbranch_vccnz .LBB709_154
; %bb.151:
	v_mul_u64_e32 v[16:17], s[18:19], v[10:11]
	s_wait_loadcnt_dscnt 0x1
	v_mul_u64_e32 v[20:21], s[18:19], v[12:13]
	s_add_nc_u64 s[0:1], s[18:19], -1
	s_mov_b32 s28, 0
                                        ; implicit-def: $sgpr31
	s_delay_alu instid0(VALU_DEP_2) | instskip(NEXT) | instid1(VALU_DEP_2)
	v_lshl_add_u64 v[16:17], v[16:17], 1, s[8:9]
	v_lshl_add_u64 v[20:21], v[20:21], 1, s[8:9]
.LBB709_152:                            ; =>This Inner Loop Header: Depth=1
	global_load_u16 v19, v[16:17], off
	global_load_u16 v22, v[20:21], off
	s_cmp_eq_u64 s[0:1], 0
	s_add_nc_u64 s[34:35], s[0:1], -1
	s_cselect_b32 s1, -1, 0
	s_wait_xcnt 0x1
	v_add_nc_u64_e32 v[16:17], 2, v[16:17]
	s_wait_xcnt 0x0
	v_add_nc_u64_e32 v[20:21], 2, v[20:21]
	s_wait_loadcnt 0x0
	v_cmp_ne_u16_e32 vcc_lo, v19, v22
	v_cmp_eq_u16_e64 s0, v19, v22
	s_or_b32 s1, vcc_lo, s1
	s_delay_alu instid0(SALU_CYCLE_1) | instskip(NEXT) | instid1(SALU_CYCLE_1)
	s_and_b32 s1, exec_lo, s1
	s_or_b32 s28, s1, s28
	s_and_not1_b32 s31, s31, exec_lo
	s_and_b32 s33, s0, exec_lo
	s_mov_b64 s[0:1], s[34:35]
	s_or_b32 s31, s31, s33
	s_and_not1_b32 exec_lo, exec_lo, s28
	s_cbranch_execnz .LBB709_152
; %bb.153:
	s_or_b32 exec_lo, exec_lo, s28
	s_xor_b32 s0, s31, -1
.LBB709_154:
	s_delay_alu instid0(SALU_CYCLE_1)
	s_and_b32 s28, s0, exec_lo
.LBB709_155:
	s_or_b32 exec_lo, exec_lo, s30
	v_cndmask_b32_e64 v17, 0, 1, s27
	v_cndmask_b32_e64 v30, 0, 1, s5
	;; [unrolled: 1-line block ×4, first 2 shown]
	s_wait_loadcnt_dscnt 0x1
	v_cndmask_b32_e64 v20, 0, 1, s26
	v_cndmask_b32_e64 v32, 0, 1, s28
	v_mov_b32_e32 v16, 1
	s_wait_dscnt 0x0
	s_barrier_signal -1
	s_barrier_wait -1
                                        ; implicit-def: $sgpr0
                                        ; implicit-def: $vgpr22
	s_and_saveexec_b32 s4, s3
	s_cbranch_execz .LBB709_163
; %bb.156:
	v_lshlrev_b16 v21, 8, v32
	v_lshlrev_b16 v22, 8, v20
	s_mov_b32 s0, 0
	s_mov_b32 s3, exec_lo
	s_delay_alu instid0(VALU_DEP_1) | instskip(NEXT) | instid1(VALU_DEP_1)
	v_or_b32_e32 v22, v31, v22
	v_dual_lshlrev_b32 v22, 16, v22 :: v_dual_bitop2_b32 v21, 1, v21 bitop3:0x54
	s_delay_alu instid0(VALU_DEP_1) | instskip(NEXT) | instid1(VALU_DEP_1)
	v_and_b32_e32 v21, 0xffff, v21
	v_or_b32_e32 v21, v21, v22
	v_cmpx_gt_u32_e64 s23, v1
	s_cbranch_execz .LBB709_162
; %bb.157:
	s_and_not1_b32 vcc_lo, exec_lo, s7
	s_cbranch_vccnz .LBB709_161
; %bb.158:
	v_add_nc_u32_e32 v22, -8, v26
	v_mul_u64_e32 v[24:25], s[18:19], v[10:11]
	s_add_nc_u64 s[0:1], s[18:19], -1
	s_mov_b32 s5, 0
                                        ; implicit-def: $sgpr7
	ds_load_b64 v[22:23], v22
	s_wait_dscnt 0x0
	v_mul_u64_e32 v[22:23], s[18:19], v[22:23]
	v_lshl_add_u64 v[24:25], v[24:25], 1, s[8:9]
	s_delay_alu instid0(VALU_DEP_2)
	v_lshl_add_u64 v[22:23], v[22:23], 1, s[8:9]
.LBB709_159:                            ; =>This Inner Loop Header: Depth=1
	global_load_u16 v26, v[22:23], off
	global_load_u16 v27, v[24:25], off
	s_cmp_eq_u64 s[0:1], 0
	s_add_nc_u64 s[8:9], s[0:1], -1
	s_cselect_b32 s1, -1, 0
	s_wait_xcnt 0x1
	v_add_nc_u64_e32 v[22:23], 2, v[22:23]
	s_wait_xcnt 0x0
	v_add_nc_u64_e32 v[24:25], 2, v[24:25]
	s_wait_loadcnt 0x0
	v_cmp_ne_u16_e32 vcc_lo, v26, v27
	v_cmp_eq_u16_e64 s0, v26, v27
	s_or_b32 s1, vcc_lo, s1
	s_delay_alu instid0(SALU_CYCLE_1) | instskip(NEXT) | instid1(SALU_CYCLE_1)
	s_and_b32 s1, exec_lo, s1
	s_or_b32 s5, s1, s5
	s_and_not1_b32 s7, s7, exec_lo
	s_and_b32 s18, s0, exec_lo
	s_mov_b64 s[0:1], s[8:9]
	s_or_b32 s7, s7, s18
	s_and_not1_b32 exec_lo, exec_lo, s5
	s_cbranch_execnz .LBB709_159
; %bb.160:
	s_or_b32 exec_lo, exec_lo, s5
	s_xor_b32 s0, s7, -1
.LBB709_161:
	s_delay_alu instid0(SALU_CYCLE_1)
	s_and_b32 s0, s0, exec_lo
.LBB709_162:
	s_or_b32 exec_lo, exec_lo, s3
	s_delay_alu instid0(VALU_DEP_2)
	v_perm_b32 v22, v21, v21, 0x3020104
	s_or_b32 s6, s6, exec_lo
.LBB709_163:
	s_or_b32 exec_lo, exec_lo, s4
.LBB709_164:
	s_wait_xcnt 0x0
	s_and_saveexec_b32 s1, s6
	s_cbranch_execz .LBB709_166
; %bb.165:
	s_wait_loadcnt_dscnt 0x0
	v_dual_lshrrev_b32 v20, 24, v22 :: v_dual_lshrrev_b32 v31, 16, v22
	v_lshrrev_b32_e32 v32, 8, v22
	v_cndmask_b32_e64 v16, 0, 1, s0
.LBB709_166:
	s_or_b32 exec_lo, exec_lo, s1
	s_delay_alu instid0(SALU_CYCLE_1)
	s_and_not1_b32 vcc_lo, exec_lo, s24
	s_cbranch_vccnz .LBB709_170
; %bb.167:
	s_delay_alu instid0(VALU_DEP_1)
	v_perm_b32 v16, v16, v32, 0xc0c0004
	s_wait_loadcnt_dscnt 0x0
	v_perm_b32 v20, v31, v20, 0xc0c0004
	v_cmp_gt_u32_e32 vcc_lo, s23, v1
	v_and_b32_e32 v19, 0xff, v19
	v_perm_b32 v17, v17, v30, 0xc0c0004
	v_add_nc_u32_e32 v21, 1, v1
	v_lshl_or_b32 v16, v20, 16, v16
	s_delay_alu instid0(VALU_DEP_4) | instskip(NEXT) | instid1(VALU_DEP_2)
	v_dual_add_nc_u32 v22, 4, v1 :: v_dual_lshlrev_b32 v19, 16, v19
	v_cndmask_b32_e32 v20, 0, v16, vcc_lo
	s_delay_alu instid0(VALU_DEP_4) | instskip(SKIP_1) | instid1(VALU_DEP_3)
	v_cmp_gt_u32_e32 vcc_lo, s23, v21
	v_add_nc_u32_e32 v21, 2, v1
	v_and_b32_e32 v20, 0xff, v20
	s_delay_alu instid0(VALU_DEP_1) | instskip(NEXT) | instid1(VALU_DEP_3)
	v_cndmask_b32_e32 v20, v20, v16, vcc_lo
	v_cmp_gt_u32_e32 vcc_lo, s23, v21
	s_delay_alu instid0(VALU_DEP_2) | instskip(SKIP_2) | instid1(VALU_DEP_3)
	v_and_b32_e32 v20, 0xffff, v20
	v_or_b32_e32 v23, v17, v19
	v_bitop3_b32 v17, v17, 0xffff00, v19 bitop3:0xc8
	v_cndmask_b32_e32 v19, v20, v16, vcc_lo
	v_cmp_gt_u32_e32 vcc_lo, s23, v22
	v_add_nc_u32_e32 v20, 5, v1
	s_delay_alu instid0(VALU_DEP_3) | instskip(SKIP_1) | instid1(VALU_DEP_3)
	v_and_b32_e32 v19, 0xffffff, v19
	v_dual_add_nc_u32 v21, 3, v1 :: v_dual_cndmask_b32 v17, v17, v23, vcc_lo
	v_cmp_gt_u32_e64 s0, s23, v20
	s_delay_alu instid0(VALU_DEP_2) | instskip(NEXT) | instid1(VALU_DEP_3)
	v_cmp_gt_u32_e64 s1, s23, v21
	v_and_b32_e32 v17, 0xffff00ff, v17
	s_or_b32 vcc_lo, s0, vcc_lo
	s_delay_alu instid0(VALU_DEP_1) | instskip(SKIP_1) | instid1(VALU_DEP_1)
	v_dual_cndmask_b32 v19, v19, v16, s1 :: v_dual_cndmask_b32 v17, v17, v23, s0
	s_mov_b32 s0, exec_lo
	v_dual_cndmask_b32 v16, v19, v16 :: v_dual_add_nc_u32 v1, 6, v1
	s_delay_alu instid0(VALU_DEP_2) | instskip(NEXT) | instid1(VALU_DEP_2)
	v_dual_lshrrev_b32 v30, 8, v17 :: v_dual_lshrrev_b32 v19, 16, v17
	v_lshrrev_b32_e32 v32, 8, v16
	v_lshrrev_b64 v[20:21], 24, v[16:17]
	v_lshrrev_b32_e32 v31, 16, v16
	v_cmpx_le_u32_e64 s23, v1
; %bb.168:
	v_mov_b32_e32 v19, 0
; %bb.169:
	s_or_b32 exec_lo, exec_lo, s0
.LBB709_170:
	s_delay_alu instid0(VALU_DEP_1)
	v_and_b32_e32 v1, 0xff, v16
	s_wait_loadcnt_dscnt 0x0
	v_and_b32_e32 v21, 0xff, v32
	v_and_b32_e32 v33, 0xff, v31
	;; [unrolled: 1-line block ×4, first 2 shown]
	v_mbcnt_lo_u32_b32 v37, -1, 0
	v_and_b32_e32 v36, 0xff, v30
	v_add3_u32 v22, v21, v1, v33
	v_and_b32_e32 v23, 0xff, v19
	s_delay_alu instid0(VALU_DEP_4) | instskip(SKIP_1) | instid1(VALU_DEP_3)
	v_dual_lshrrev_b32 v38, 5, v0 :: v_dual_bitop2_b32 v24, 15, v37 bitop3:0x40
	s_and_b32 vcc_lo, exec_lo, s25
	v_add3_u32 v22, v22, v34, v35
	s_mov_b32 s7, -1
	s_delay_alu instid0(VALU_DEP_2) | instskip(SKIP_1) | instid1(VALU_DEP_3)
	v_cmp_eq_u32_e64 s0, 0, v24
	v_cmp_lt_u32_e64 s3, 1, v24
	v_add3_u32 v39, v22, v36, v23
	v_and_b32_e32 v22, 16, v37
	v_or_b32_e32 v23, 31, v0
	v_cmp_lt_u32_e64 s4, 3, v24
	v_cmp_lt_u32_e64 s1, 7, v24
	s_barrier_signal -1
	v_cmp_eq_u32_e64 s6, 0, v22
	v_cmp_eq_u32_e64 s5, v0, v23
	s_barrier_wait -1
                                        ; implicit-def: $vgpr25
                                        ; implicit-def: $vgpr26
                                        ; implicit-def: $vgpr27
                                        ; implicit-def: $vgpr28
                                        ; implicit-def: $vgpr29
                                        ; implicit-def: $vgpr40
                                        ; implicit-def: $vgpr41
                                        ; implicit-def: $vgpr24
                                        ; implicit-def: $vgpr22
	s_cbranch_vccz .LBB709_197
; %bb.171:
	v_mov_b32_dpp v22, v39 row_shr:1 row_mask:0xf bank_mask:0xf
	s_delay_alu instid0(VALU_DEP_1) | instskip(NEXT) | instid1(VALU_DEP_1)
	v_cndmask_b32_e64 v22, v22, 0, s0
	v_add_nc_u32_e32 v22, v22, v39
	s_delay_alu instid0(VALU_DEP_1) | instskip(NEXT) | instid1(VALU_DEP_1)
	v_mov_b32_dpp v23, v22 row_shr:2 row_mask:0xf bank_mask:0xf
	v_cndmask_b32_e64 v23, 0, v23, s3
	s_delay_alu instid0(VALU_DEP_1) | instskip(NEXT) | instid1(VALU_DEP_1)
	v_add_nc_u32_e32 v22, v22, v23
	v_mov_b32_dpp v23, v22 row_shr:4 row_mask:0xf bank_mask:0xf
	s_delay_alu instid0(VALU_DEP_1) | instskip(NEXT) | instid1(VALU_DEP_1)
	v_cndmask_b32_e64 v23, 0, v23, s4
	v_add_nc_u32_e32 v22, v22, v23
	s_delay_alu instid0(VALU_DEP_1) | instskip(NEXT) | instid1(VALU_DEP_1)
	v_mov_b32_dpp v23, v22 row_shr:8 row_mask:0xf bank_mask:0xf
	v_cndmask_b32_e64 v23, 0, v23, s1
	s_delay_alu instid0(VALU_DEP_1) | instskip(SKIP_3) | instid1(VALU_DEP_1)
	v_add_nc_u32_e32 v22, v22, v23
	ds_swizzle_b32 v23, v22 offset:swizzle(BROADCAST,32,15)
	s_wait_dscnt 0x0
	v_cndmask_b32_e64 v23, v23, 0, s6
	v_add_nc_u32_e32 v22, v22, v23
	s_and_saveexec_b32 s7, s5
; %bb.172:
	v_lshlrev_b32_e32 v23, 2, v38
	ds_store_b32 v23, v22
; %bb.173:
	s_or_b32 exec_lo, exec_lo, s7
	s_delay_alu instid0(SALU_CYCLE_1)
	s_mov_b32 s7, exec_lo
	s_wait_dscnt 0x0
	s_barrier_signal -1
	s_barrier_wait -1
	v_cmpx_gt_u32_e32 16, v0
	s_cbranch_execz .LBB709_175
; %bb.174:
	v_lshlrev_b32_e32 v23, 2, v0
	ds_load_b32 v24, v23
	s_wait_dscnt 0x0
	v_mov_b32_dpp v25, v24 row_shr:1 row_mask:0xf bank_mask:0xf
	s_delay_alu instid0(VALU_DEP_1) | instskip(NEXT) | instid1(VALU_DEP_1)
	v_cndmask_b32_e64 v25, v25, 0, s0
	v_add_nc_u32_e32 v24, v25, v24
	s_delay_alu instid0(VALU_DEP_1) | instskip(NEXT) | instid1(VALU_DEP_1)
	v_mov_b32_dpp v25, v24 row_shr:2 row_mask:0xf bank_mask:0xf
	v_cndmask_b32_e64 v25, 0, v25, s3
	s_delay_alu instid0(VALU_DEP_1) | instskip(NEXT) | instid1(VALU_DEP_1)
	v_add_nc_u32_e32 v24, v24, v25
	v_mov_b32_dpp v25, v24 row_shr:4 row_mask:0xf bank_mask:0xf
	s_delay_alu instid0(VALU_DEP_1) | instskip(NEXT) | instid1(VALU_DEP_1)
	v_cndmask_b32_e64 v25, 0, v25, s4
	v_add_nc_u32_e32 v24, v24, v25
	s_delay_alu instid0(VALU_DEP_1) | instskip(NEXT) | instid1(VALU_DEP_1)
	v_mov_b32_dpp v25, v24 row_shr:8 row_mask:0xf bank_mask:0xf
	v_cndmask_b32_e64 v25, 0, v25, s1
	s_delay_alu instid0(VALU_DEP_1)
	v_add_nc_u32_e32 v24, v24, v25
	ds_store_b32 v23, v24
.LBB709_175:
	s_or_b32 exec_lo, exec_lo, s7
	s_delay_alu instid0(SALU_CYCLE_1)
	s_mov_b32 s8, exec_lo
	v_cmp_gt_u32_e32 vcc_lo, 32, v0
	s_wait_dscnt 0x0
	s_barrier_signal -1
	s_barrier_wait -1
                                        ; implicit-def: $vgpr40
	v_cmpx_lt_u32_e32 31, v0
	s_cbranch_execz .LBB709_177
; %bb.176:
	v_lshl_add_u32 v23, v38, 2, -4
	ds_load_b32 v40, v23
	s_wait_dscnt 0x0
	v_add_nc_u32_e32 v22, v40, v22
.LBB709_177:
	s_or_b32 exec_lo, exec_lo, s8
	v_sub_co_u32 v23, s7, v37, 1
	s_delay_alu instid0(VALU_DEP_1) | instskip(NEXT) | instid1(VALU_DEP_1)
	v_cmp_gt_i32_e64 s8, 0, v23
	v_cndmask_b32_e64 v23, v23, v37, s8
	s_delay_alu instid0(VALU_DEP_1)
	v_lshlrev_b32_e32 v23, 2, v23
	ds_bpermute_b32 v41, v23, v22
	s_and_saveexec_b32 s8, vcc_lo
	s_cbranch_execz .LBB709_196
; %bb.178:
	v_mov_b32_e32 v29, 0
	ds_load_b32 v22, v29 offset:60
	s_and_saveexec_b32 s9, s7
	s_cbranch_execz .LBB709_180
; %bb.179:
	s_add_co_i32 s18, s22, 32
	s_delay_alu instid0(SALU_CYCLE_1)
	v_dual_mov_b32 v23, 1 :: v_dual_mov_b32 v24, s18
	s_wait_dscnt 0x0
	global_store_b64 v24, v[22:23], s[10:11] scale_offset scope:SCOPE_DEV
.LBB709_180:
	s_wait_xcnt 0x0
	s_or_b32 exec_lo, exec_lo, s9
	v_xad_u32 v24, v37, -1, s22
	s_mov_b32 s18, 0
	s_mov_b32 s9, exec_lo
	s_delay_alu instid0(VALU_DEP_1) | instskip(SKIP_4) | instid1(VALU_DEP_1)
	v_add_nc_u32_e32 v28, 32, v24
	global_load_b64 v[26:27], v28, s[10:11] scale_offset scope:SCOPE_DEV
	s_wait_loadcnt 0x0
	v_and_b32_e32 v23, 0xff, v27
	s_wait_xcnt 0x0
	v_cmpx_eq_u16_e32 0, v23
	s_cbranch_execz .LBB709_184
; %bb.181:
	v_lshl_add_u64 v[28:29], v[28:29], 3, s[10:11]
.LBB709_182:                            ; =>This Inner Loop Header: Depth=1
	global_load_b64 v[26:27], v[28:29], off scope:SCOPE_DEV
	s_wait_loadcnt 0x0
	v_and_b32_e32 v23, 0xff, v27
	s_delay_alu instid0(VALU_DEP_1)
	v_cmp_ne_u16_e32 vcc_lo, 0, v23
	s_or_b32 s18, vcc_lo, s18
	s_wait_xcnt 0x0
	s_and_not1_b32 exec_lo, exec_lo, s18
	s_cbranch_execnz .LBB709_182
; %bb.183:
	s_or_b32 exec_lo, exec_lo, s18
.LBB709_184:
	s_delay_alu instid0(SALU_CYCLE_1)
	s_or_b32 exec_lo, exec_lo, s9
	v_cmp_ne_u32_e32 vcc_lo, 31, v37
	v_lshlrev_b32_e64 v43, v37, -1
	v_lshl_or_b32 v50, v37, 2, 64
	v_dual_add_nc_u32 v45, 2, v37 :: v_dual_add_nc_u32 v47, 4, v37
	v_add_co_ci_u32_e64 v23, null, 0, v37, vcc_lo
	v_dual_add_nc_u32 v49, 8, v37 :: v_dual_add_nc_u32 v51, 16, v37
	s_delay_alu instid0(VALU_DEP_2)
	v_lshlrev_b32_e32 v42, 2, v23
	v_and_b32_e32 v23, 0xff, v27
	ds_bpermute_b32 v25, v42, v26
	v_cmp_eq_u16_e32 vcc_lo, 2, v23
	v_and_or_b32 v23, vcc_lo, v43, 0x80000000
	v_cmp_gt_u32_e32 vcc_lo, 30, v37
	s_delay_alu instid0(VALU_DEP_2) | instskip(SKIP_1) | instid1(VALU_DEP_2)
	v_ctz_i32_b32_e32 v23, v23
	v_cndmask_b32_e64 v28, 0, 2, vcc_lo
	v_cmp_lt_u32_e32 vcc_lo, v37, v23
	s_delay_alu instid0(VALU_DEP_2) | instskip(SKIP_3) | instid1(VALU_DEP_2)
	v_add_lshl_u32 v44, v28, v37, 2
	s_wait_dscnt 0x0
	v_cndmask_b32_e32 v25, 0, v25, vcc_lo
	v_cmp_gt_u32_e32 vcc_lo, 28, v37
	v_add_nc_u32_e32 v25, v25, v26
	v_cndmask_b32_e64 v28, 0, 4, vcc_lo
	v_cmp_le_u32_e32 vcc_lo, v45, v23
	ds_bpermute_b32 v26, v44, v25
	v_add_lshl_u32 v46, v28, v37, 2
	s_wait_dscnt 0x0
	v_cndmask_b32_e32 v26, 0, v26, vcc_lo
	v_cmp_gt_u32_e32 vcc_lo, 24, v37
	v_cndmask_b32_e64 v28, 0, 8, vcc_lo
	v_cmp_le_u32_e32 vcc_lo, v47, v23
	s_delay_alu instid0(VALU_DEP_4) | instskip(NEXT) | instid1(VALU_DEP_3)
	v_add_nc_u32_e32 v25, v25, v26
	v_add_lshl_u32 v48, v28, v37, 2
	ds_bpermute_b32 v26, v46, v25
	s_wait_dscnt 0x0
	v_cndmask_b32_e32 v26, 0, v26, vcc_lo
	v_cmp_le_u32_e32 vcc_lo, v49, v23
	s_delay_alu instid0(VALU_DEP_2) | instskip(SKIP_4) | instid1(VALU_DEP_2)
	v_add_nc_u32_e32 v25, v25, v26
	ds_bpermute_b32 v26, v48, v25
	s_wait_dscnt 0x0
	v_cndmask_b32_e32 v26, 0, v26, vcc_lo
	v_cmp_le_u32_e32 vcc_lo, v51, v23
	v_add_nc_u32_e32 v25, v25, v26
	ds_bpermute_b32 v26, v50, v25
	s_wait_dscnt 0x0
	v_cndmask_b32_e32 v23, 0, v26, vcc_lo
	s_delay_alu instid0(VALU_DEP_1)
	v_dual_mov_b32 v25, 0 :: v_dual_add_nc_u32 v26, v25, v23
	s_branch .LBB709_187
.LBB709_185:                            ;   in Loop: Header=BB709_187 Depth=1
	s_or_b32 exec_lo, exec_lo, s9
	v_and_b32_e32 v28, 0xff, v27
	ds_bpermute_b32 v29, v42, v26
	v_subrev_nc_u32_e32 v24, 32, v24
	s_mov_b32 s9, 0
	v_cmp_eq_u16_e32 vcc_lo, 2, v28
	v_and_or_b32 v28, vcc_lo, v43, 0x80000000
	s_delay_alu instid0(VALU_DEP_1) | instskip(NEXT) | instid1(VALU_DEP_1)
	v_ctz_i32_b32_e32 v28, v28
	v_cmp_lt_u32_e32 vcc_lo, v37, v28
	s_wait_dscnt 0x0
	v_cndmask_b32_e32 v29, 0, v29, vcc_lo
	v_cmp_le_u32_e32 vcc_lo, v45, v28
	s_delay_alu instid0(VALU_DEP_2) | instskip(SKIP_4) | instid1(VALU_DEP_2)
	v_add_nc_u32_e32 v26, v29, v26
	ds_bpermute_b32 v29, v44, v26
	s_wait_dscnt 0x0
	v_cndmask_b32_e32 v29, 0, v29, vcc_lo
	v_cmp_le_u32_e32 vcc_lo, v47, v28
	v_add_nc_u32_e32 v26, v26, v29
	ds_bpermute_b32 v29, v46, v26
	s_wait_dscnt 0x0
	v_cndmask_b32_e32 v29, 0, v29, vcc_lo
	v_cmp_le_u32_e32 vcc_lo, v49, v28
	s_delay_alu instid0(VALU_DEP_2) | instskip(SKIP_4) | instid1(VALU_DEP_2)
	v_add_nc_u32_e32 v26, v26, v29
	ds_bpermute_b32 v29, v48, v26
	s_wait_dscnt 0x0
	v_cndmask_b32_e32 v29, 0, v29, vcc_lo
	v_cmp_le_u32_e32 vcc_lo, v51, v28
	v_add_nc_u32_e32 v26, v26, v29
	ds_bpermute_b32 v29, v50, v26
	s_wait_dscnt 0x0
	v_cndmask_b32_e32 v28, 0, v29, vcc_lo
	s_delay_alu instid0(VALU_DEP_1)
	v_add3_u32 v26, v28, v23, v26
.LBB709_186:                            ;   in Loop: Header=BB709_187 Depth=1
	s_and_b32 vcc_lo, exec_lo, s9
	s_cbranch_vccnz .LBB709_192
.LBB709_187:                            ; =>This Loop Header: Depth=1
                                        ;     Child Loop BB709_190 Depth 2
	v_and_b32_e32 v23, 0xff, v27
	s_mov_b32 s9, -1
                                        ; implicit-def: $vgpr27
	s_delay_alu instid0(VALU_DEP_1)
	v_cmp_ne_u16_e32 vcc_lo, 2, v23
	v_mov_b32_e32 v23, v26
                                        ; implicit-def: $vgpr26
	s_cmp_lg_u32 vcc_lo, exec_lo
	s_cbranch_scc1 .LBB709_186
; %bb.188:                              ;   in Loop: Header=BB709_187 Depth=1
	global_load_b64 v[26:27], v24, s[10:11] scale_offset scope:SCOPE_DEV
	s_mov_b32 s9, exec_lo
	s_wait_loadcnt 0x0
	v_and_b32_e32 v28, 0xff, v27
	s_wait_xcnt 0x0
	s_delay_alu instid0(VALU_DEP_1)
	v_cmpx_eq_u16_e32 0, v28
	s_cbranch_execz .LBB709_185
; %bb.189:                              ;   in Loop: Header=BB709_187 Depth=1
	v_lshl_add_u64 v[28:29], v[24:25], 3, s[10:11]
	s_mov_b32 s18, 0
.LBB709_190:                            ;   Parent Loop BB709_187 Depth=1
                                        ; =>  This Inner Loop Header: Depth=2
	global_load_b64 v[26:27], v[28:29], off scope:SCOPE_DEV
	s_wait_loadcnt 0x0
	v_and_b32_e32 v52, 0xff, v27
	s_delay_alu instid0(VALU_DEP_1)
	v_cmp_ne_u16_e32 vcc_lo, 0, v52
	s_or_b32 s18, vcc_lo, s18
	s_wait_xcnt 0x0
	s_and_not1_b32 exec_lo, exec_lo, s18
	s_cbranch_execnz .LBB709_190
; %bb.191:                              ;   in Loop: Header=BB709_187 Depth=1
	s_or_b32 exec_lo, exec_lo, s18
	s_branch .LBB709_185
.LBB709_192:
	s_and_saveexec_b32 s9, s7
	s_cbranch_execz .LBB709_194
; %bb.193:
	s_add_co_i32 s18, s22, 32
	v_dual_mov_b32 v25, 2 :: v_dual_add_nc_u32 v24, v23, v22
	v_dual_mov_b32 v26, s18 :: v_dual_mov_b32 v27, 0
	global_store_b64 v26, v[24:25], s[10:11] scale_offset scope:SCOPE_DEV
	ds_store_b64 v27, v[22:23] offset:28672
.LBB709_194:
	s_wait_xcnt 0x0
	s_or_b32 exec_lo, exec_lo, s9
	s_delay_alu instid0(SALU_CYCLE_1)
	s_and_b32 exec_lo, exec_lo, s2
; %bb.195:
	v_mov_b32_e32 v22, 0
	ds_store_b32 v22, v23 offset:60
.LBB709_196:
	s_or_b32 exec_lo, exec_lo, s8
	s_wait_dscnt 0x0
	v_dual_mov_b32 v22, 0 :: v_dual_cndmask_b32 v24, v41, v40, s7
	s_wait_storecnt 0x0
	s_barrier_signal -1
	s_barrier_wait -1
	ds_load_b32 v23, v22 offset:60
	v_cndmask_b32_e64 v24, v24, 0, s2
	s_wait_dscnt 0x0
	s_barrier_signal -1
	s_barrier_wait -1
	s_mov_b32 s7, 0
	v_add_nc_u32_e32 v41, v23, v24
	ds_load_b64 v[22:23], v22 offset:28672
	v_add_nc_u32_e32 v40, v41, v1
	s_delay_alu instid0(VALU_DEP_1) | instskip(NEXT) | instid1(VALU_DEP_1)
	v_add_nc_u32_e32 v29, v40, v21
	v_add_nc_u32_e32 v28, v29, v33
	s_wait_dscnt 0x0
	s_delay_alu instid0(VALU_DEP_1) | instskip(NEXT) | instid1(VALU_DEP_1)
	v_dual_mov_b32 v24, v23 :: v_dual_add_nc_u32 v27, v28, v34
	v_add_nc_u32_e32 v26, v27, v35
	s_delay_alu instid0(VALU_DEP_1)
	v_add_nc_u32_e32 v25, v26, v36
.LBB709_197:
	s_and_b32 vcc_lo, exec_lo, s7
	s_cbranch_vccz .LBB709_207
; %bb.198:
	v_mov_b32_dpp v22, v39 row_shr:1 row_mask:0xf bank_mask:0xf
	s_delay_alu instid0(VALU_DEP_1) | instskip(NEXT) | instid1(VALU_DEP_1)
	v_cndmask_b32_e64 v22, v22, 0, s0
	v_add_nc_u32_e32 v22, v22, v39
	s_delay_alu instid0(VALU_DEP_1) | instskip(NEXT) | instid1(VALU_DEP_1)
	v_mov_b32_dpp v23, v22 row_shr:2 row_mask:0xf bank_mask:0xf
	v_cndmask_b32_e64 v23, 0, v23, s3
	s_delay_alu instid0(VALU_DEP_1) | instskip(NEXT) | instid1(VALU_DEP_1)
	v_add_nc_u32_e32 v22, v22, v23
	v_mov_b32_dpp v23, v22 row_shr:4 row_mask:0xf bank_mask:0xf
	s_delay_alu instid0(VALU_DEP_1) | instskip(NEXT) | instid1(VALU_DEP_1)
	v_cndmask_b32_e64 v23, 0, v23, s4
	v_add_nc_u32_e32 v22, v22, v23
	s_delay_alu instid0(VALU_DEP_1) | instskip(NEXT) | instid1(VALU_DEP_1)
	v_mov_b32_dpp v23, v22 row_shr:8 row_mask:0xf bank_mask:0xf
	v_cndmask_b32_e64 v23, 0, v23, s1
	s_delay_alu instid0(VALU_DEP_1) | instskip(SKIP_3) | instid1(VALU_DEP_1)
	v_add_nc_u32_e32 v22, v22, v23
	ds_swizzle_b32 v23, v22 offset:swizzle(BROADCAST,32,15)
	s_wait_dscnt 0x0
	v_cndmask_b32_e64 v23, v23, 0, s6
	v_add_nc_u32_e32 v22, v22, v23
	s_and_saveexec_b32 s6, s5
; %bb.199:
	v_lshlrev_b32_e32 v23, 2, v38
	ds_store_b32 v23, v22
; %bb.200:
	s_or_b32 exec_lo, exec_lo, s6
	s_delay_alu instid0(SALU_CYCLE_1)
	s_mov_b32 s5, exec_lo
	s_wait_dscnt 0x0
	s_barrier_signal -1
	s_barrier_wait -1
	v_cmpx_gt_u32_e32 16, v0
	s_cbranch_execz .LBB709_202
; %bb.201:
	v_lshlrev_b32_e32 v23, 2, v0
	ds_load_b32 v24, v23
	s_wait_dscnt 0x0
	v_mov_b32_dpp v25, v24 row_shr:1 row_mask:0xf bank_mask:0xf
	s_delay_alu instid0(VALU_DEP_1) | instskip(NEXT) | instid1(VALU_DEP_1)
	v_cndmask_b32_e64 v25, v25, 0, s0
	v_add_nc_u32_e32 v24, v25, v24
	s_delay_alu instid0(VALU_DEP_1) | instskip(NEXT) | instid1(VALU_DEP_1)
	v_mov_b32_dpp v25, v24 row_shr:2 row_mask:0xf bank_mask:0xf
	v_cndmask_b32_e64 v25, 0, v25, s3
	s_delay_alu instid0(VALU_DEP_1) | instskip(NEXT) | instid1(VALU_DEP_1)
	v_add_nc_u32_e32 v24, v24, v25
	v_mov_b32_dpp v25, v24 row_shr:4 row_mask:0xf bank_mask:0xf
	s_delay_alu instid0(VALU_DEP_1) | instskip(NEXT) | instid1(VALU_DEP_1)
	v_cndmask_b32_e64 v25, 0, v25, s4
	v_add_nc_u32_e32 v24, v24, v25
	s_delay_alu instid0(VALU_DEP_1) | instskip(NEXT) | instid1(VALU_DEP_1)
	v_mov_b32_dpp v25, v24 row_shr:8 row_mask:0xf bank_mask:0xf
	v_cndmask_b32_e64 v25, 0, v25, s1
	s_delay_alu instid0(VALU_DEP_1)
	v_add_nc_u32_e32 v24, v24, v25
	ds_store_b32 v23, v24
.LBB709_202:
	s_or_b32 exec_lo, exec_lo, s5
	v_dual_mov_b32 v23, 0 :: v_dual_mov_b32 v24, 0
	s_mov_b32 s0, exec_lo
	s_wait_dscnt 0x0
	s_barrier_signal -1
	s_barrier_wait -1
	v_cmpx_lt_u32_e32 31, v0
; %bb.203:
	v_lshl_add_u32 v24, v38, 2, -4
	ds_load_b32 v24, v24
; %bb.204:
	s_or_b32 exec_lo, exec_lo, s0
	v_sub_co_u32 v25, vcc_lo, v37, 1
	s_wait_dscnt 0x0
	v_add_nc_u32_e32 v22, v24, v22
	s_delay_alu instid0(VALU_DEP_2) | instskip(NEXT) | instid1(VALU_DEP_1)
	v_cmp_gt_i32_e64 s0, 0, v25
	v_cndmask_b32_e64 v25, v25, v37, s0
	s_delay_alu instid0(VALU_DEP_1)
	v_lshlrev_b32_e32 v25, 2, v25
	ds_bpermute_b32 v25, v25, v22
	ds_load_b32 v22, v23 offset:60
	s_and_saveexec_b32 s0, s2
	s_cbranch_execz .LBB709_206
; %bb.205:
	v_dual_mov_b32 v26, 0 :: v_dual_mov_b32 v23, 2
	s_wait_dscnt 0x0
	global_store_b64 v26, v[22:23], s[10:11] offset:256 scope:SCOPE_DEV
.LBB709_206:
	s_wait_xcnt 0x0
	s_or_b32 exec_lo, exec_lo, s0
	s_wait_dscnt 0x1
	v_cndmask_b32_e32 v23, v25, v24, vcc_lo
	s_wait_storecnt_dscnt 0x0
	s_barrier_signal -1
	s_barrier_wait -1
	s_delay_alu instid0(VALU_DEP_1) | instskip(NEXT) | instid1(VALU_DEP_1)
	v_cndmask_b32_e64 v41, v23, 0, s2
	v_dual_mov_b32 v24, 0 :: v_dual_add_nc_u32 v40, v41, v1
	s_delay_alu instid0(VALU_DEP_1) | instskip(NEXT) | instid1(VALU_DEP_1)
	v_add_nc_u32_e32 v29, v40, v21
	v_add_nc_u32_e32 v28, v29, v33
	s_delay_alu instid0(VALU_DEP_1) | instskip(NEXT) | instid1(VALU_DEP_1)
	v_add_nc_u32_e32 v27, v28, v34
	v_add_nc_u32_e32 v26, v27, v35
	s_delay_alu instid0(VALU_DEP_1)
	v_add_nc_u32_e32 v25, v26, v36
.LBB709_207:
	v_and_b32_e32 v1, 1, v16
	v_cmp_gt_u32_e32 vcc_lo, 0x201, v22
	s_mov_b32 s1, -1
	s_delay_alu instid0(VALU_DEP_2)
	v_cmp_eq_u32_e64 s0, 1, v1
	s_cbranch_vccnz .LBB709_211
; %bb.208:
	s_and_b32 vcc_lo, exec_lo, s1
	s_cbranch_vccnz .LBB709_226
.LBB709_209:
	s_and_b32 s0, s2, s16
	s_delay_alu instid0(SALU_CYCLE_1)
	s_and_saveexec_b32 s1, s0
	s_cbranch_execnz .LBB709_243
.LBB709_210:
	s_endpgm
.LBB709_211:
	v_add_nc_u32_e32 v16, v24, v22
	s_delay_alu instid0(VALU_DEP_1) | instskip(SKIP_1) | instid1(SALU_CYCLE_1)
	v_cmp_lt_u32_e32 vcc_lo, v41, v16
	s_or_b32 s1, s17, vcc_lo
	s_and_b32 s1, s1, s0
	s_delay_alu instid0(SALU_CYCLE_1)
	s_and_saveexec_b32 s0, s1
	s_cbranch_execz .LBB709_213
; %bb.212:
	s_lshl_b64 s[4:5], s[14:15], 3
	s_delay_alu instid0(SALU_CYCLE_1)
	s_add_nc_u64 s[4:5], s[20:21], s[4:5]
	global_store_b64 v41, v[10:11], s[4:5] scale_offset
.LBB709_213:
	s_wait_xcnt 0x0
	s_or_b32 exec_lo, exec_lo, s0
	v_and_b32_e32 v21, 1, v32
	v_cmp_lt_u32_e32 vcc_lo, v40, v16
	s_delay_alu instid0(VALU_DEP_2) | instskip(SKIP_1) | instid1(SALU_CYCLE_1)
	v_cmp_eq_u32_e64 s0, 1, v21
	s_or_b32 s1, s17, vcc_lo
	s_and_b32 s1, s1, s0
	s_delay_alu instid0(SALU_CYCLE_1)
	s_and_saveexec_b32 s0, s1
	s_cbranch_execz .LBB709_215
; %bb.214:
	s_lshl_b64 s[4:5], s[14:15], 3
	s_delay_alu instid0(SALU_CYCLE_1)
	s_add_nc_u64 s[4:5], s[20:21], s[4:5]
	global_store_b64 v40, v[12:13], s[4:5] scale_offset
.LBB709_215:
	s_wait_xcnt 0x0
	s_or_b32 exec_lo, exec_lo, s0
	v_and_b32_e32 v21, 1, v31
	v_cmp_lt_u32_e32 vcc_lo, v29, v16
	s_delay_alu instid0(VALU_DEP_2) | instskip(SKIP_1) | instid1(SALU_CYCLE_1)
	v_cmp_eq_u32_e64 s0, 1, v21
	;; [unrolled: 17-line block ×6, first 2 shown]
	s_or_b32 s1, s17, vcc_lo
	s_and_b32 s1, s1, s0
	s_delay_alu instid0(SALU_CYCLE_1)
	s_and_saveexec_b32 s0, s1
	s_cbranch_execz .LBB709_225
; %bb.224:
	s_lshl_b64 s[4:5], s[14:15], 3
	s_delay_alu instid0(SALU_CYCLE_1)
	s_add_nc_u64 s[4:5], s[20:21], s[4:5]
	global_store_b64 v25, v[14:15], s[4:5] scale_offset
.LBB709_225:
	s_wait_xcnt 0x0
	s_or_b32 exec_lo, exec_lo, s0
	s_branch .LBB709_209
.LBB709_226:
	s_mov_b32 s0, exec_lo
	v_cmpx_eq_u32_e32 1, v1
; %bb.227:
	v_sub_nc_u32_e32 v1, v41, v24
	s_delay_alu instid0(VALU_DEP_1)
	v_lshlrev_b32_e32 v1, 3, v1
	ds_store_b64 v1, v[10:11]
; %bb.228:
	s_or_b32 exec_lo, exec_lo, s0
	v_and_b32_e32 v1, 1, v32
	s_mov_b32 s0, exec_lo
	s_delay_alu instid0(VALU_DEP_1)
	v_cmpx_eq_u32_e32 1, v1
; %bb.229:
	v_sub_nc_u32_e32 v1, v40, v24
	s_delay_alu instid0(VALU_DEP_1)
	v_lshlrev_b32_e32 v1, 3, v1
	ds_store_b64 v1, v[12:13]
; %bb.230:
	s_or_b32 exec_lo, exec_lo, s0
	v_and_b32_e32 v1, 1, v31
	s_mov_b32 s0, exec_lo
	s_delay_alu instid0(VALU_DEP_1)
	;; [unrolled: 11-line block ×6, first 2 shown]
	v_cmpx_eq_u32_e32 1, v1
; %bb.239:
	v_sub_nc_u32_e32 v1, v25, v24
	s_delay_alu instid0(VALU_DEP_1)
	v_lshlrev_b32_e32 v1, 3, v1
	ds_store_b64 v1, v[14:15]
; %bb.240:
	s_or_b32 exec_lo, exec_lo, s0
	v_mov_b32_e32 v25, 0
	s_lshl_b64 s[0:1], s[14:15], 3
	s_wait_storecnt_dscnt 0x0
	s_barrier_signal -1
	s_barrier_wait -1
	v_lshlrev_b64_e32 v[2:3], 3, v[24:25]
	v_mov_b32_e32 v19, v25
	s_delay_alu instid0(VALU_DEP_2) | instskip(SKIP_1) | instid1(VALU_DEP_1)
	v_add_nc_u64_e32 v[2:3], s[0:1], v[2:3]
	s_mov_b32 s0, 0
	v_add_nc_u64_e32 v[2:3], s[20:21], v[2:3]
	s_delay_alu instid0(VALU_DEP_1)
	v_add_nc_u64_e32 v[2:3], v[2:3], v[18:19]
.LBB709_241:                            ; =>This Inner Loop Header: Depth=1
	ds_load_b64 v[4:5], v18
	v_add_nc_u32_e32 v0, 0x200, v0
	v_add_nc_u32_e32 v18, 0x1000, v18
	s_delay_alu instid0(VALU_DEP_2)
	v_cmp_ge_u32_e32 vcc_lo, v0, v22
	s_or_b32 s0, vcc_lo, s0
	s_wait_dscnt 0x0
	global_store_b64 v[2:3], v[4:5], off
	s_wait_xcnt 0x0
	v_add_nc_u64_e32 v[2:3], 0x1000, v[2:3]
	s_and_not1_b32 exec_lo, exec_lo, s0
	s_cbranch_execnz .LBB709_241
; %bb.242:
	s_or_b32 exec_lo, exec_lo, s0
	s_and_b32 s0, s2, s16
	s_delay_alu instid0(SALU_CYCLE_1)
	s_and_saveexec_b32 s1, s0
	s_cbranch_execz .LBB709_210
.LBB709_243:
	v_mov_b32_e32 v23, 0
	s_delay_alu instid0(VALU_DEP_1) | instskip(SKIP_1) | instid1(VALU_DEP_1)
	v_add_nc_u64_e32 v[0:1], s[14:15], v[22:23]
	v_mov_b32_e32 v25, v23
	v_add_nc_u64_e32 v[0:1], v[0:1], v[24:25]
	global_store_b64 v23, v[0:1], s[12:13]
	s_endpgm
	.section	.rodata,"a",@progbits
	.p2align	6, 0x0
	.amdhsa_kernel _ZN7rocprim17ROCPRIM_400000_NS6detail17trampoline_kernelINS0_14default_configENS1_25partition_config_selectorILNS1_17partition_subalgoE8ElNS0_10empty_typeEbEEZZNS1_14partition_implILS5_8ELb0ES3_jPlPS6_PKS6_NS0_5tupleIJS9_S6_EEENSD_IJSA_SA_EEENS0_18inequality_wrapperIZN2at6native12_GLOBAL__N_124unique_dim_cuda_templateIsEESt5tupleIJNSH_6TensorESM_SM_EERKSM_lbbbEUlllE0_EEPmJS6_EEE10hipError_tPvRmT3_T4_T5_T6_T7_T9_mT8_P12ihipStream_tbDpT10_ENKUlT_T0_E_clISt17integral_constantIbLb0EES1B_IbLb1EEEEDaS17_S18_EUlS17_E_NS1_11comp_targetILNS1_3genE0ELNS1_11target_archE4294967295ELNS1_3gpuE0ELNS1_3repE0EEENS1_30default_config_static_selectorELNS0_4arch9wavefront6targetE0EEEvT1_
		.amdhsa_group_segment_fixed_size 28680
		.amdhsa_private_segment_fixed_size 0
		.amdhsa_kernarg_size 136
		.amdhsa_user_sgpr_count 2
		.amdhsa_user_sgpr_dispatch_ptr 0
		.amdhsa_user_sgpr_queue_ptr 0
		.amdhsa_user_sgpr_kernarg_segment_ptr 1
		.amdhsa_user_sgpr_dispatch_id 0
		.amdhsa_user_sgpr_kernarg_preload_length 0
		.amdhsa_user_sgpr_kernarg_preload_offset 0
		.amdhsa_user_sgpr_private_segment_size 0
		.amdhsa_wavefront_size32 1
		.amdhsa_uses_dynamic_stack 0
		.amdhsa_enable_private_segment 0
		.amdhsa_system_sgpr_workgroup_id_x 1
		.amdhsa_system_sgpr_workgroup_id_y 0
		.amdhsa_system_sgpr_workgroup_id_z 0
		.amdhsa_system_sgpr_workgroup_info 0
		.amdhsa_system_vgpr_workitem_id 0
		.amdhsa_next_free_vgpr 53
		.amdhsa_next_free_sgpr 36
		.amdhsa_named_barrier_count 0
		.amdhsa_reserve_vcc 1
		.amdhsa_float_round_mode_32 0
		.amdhsa_float_round_mode_16_64 0
		.amdhsa_float_denorm_mode_32 3
		.amdhsa_float_denorm_mode_16_64 3
		.amdhsa_fp16_overflow 0
		.amdhsa_memory_ordered 1
		.amdhsa_forward_progress 1
		.amdhsa_inst_pref_size 83
		.amdhsa_round_robin_scheduling 0
		.amdhsa_exception_fp_ieee_invalid_op 0
		.amdhsa_exception_fp_denorm_src 0
		.amdhsa_exception_fp_ieee_div_zero 0
		.amdhsa_exception_fp_ieee_overflow 0
		.amdhsa_exception_fp_ieee_underflow 0
		.amdhsa_exception_fp_ieee_inexact 0
		.amdhsa_exception_int_div_zero 0
	.end_amdhsa_kernel
	.section	.text._ZN7rocprim17ROCPRIM_400000_NS6detail17trampoline_kernelINS0_14default_configENS1_25partition_config_selectorILNS1_17partition_subalgoE8ElNS0_10empty_typeEbEEZZNS1_14partition_implILS5_8ELb0ES3_jPlPS6_PKS6_NS0_5tupleIJS9_S6_EEENSD_IJSA_SA_EEENS0_18inequality_wrapperIZN2at6native12_GLOBAL__N_124unique_dim_cuda_templateIsEESt5tupleIJNSH_6TensorESM_SM_EERKSM_lbbbEUlllE0_EEPmJS6_EEE10hipError_tPvRmT3_T4_T5_T6_T7_T9_mT8_P12ihipStream_tbDpT10_ENKUlT_T0_E_clISt17integral_constantIbLb0EES1B_IbLb1EEEEDaS17_S18_EUlS17_E_NS1_11comp_targetILNS1_3genE0ELNS1_11target_archE4294967295ELNS1_3gpuE0ELNS1_3repE0EEENS1_30default_config_static_selectorELNS0_4arch9wavefront6targetE0EEEvT1_,"axG",@progbits,_ZN7rocprim17ROCPRIM_400000_NS6detail17trampoline_kernelINS0_14default_configENS1_25partition_config_selectorILNS1_17partition_subalgoE8ElNS0_10empty_typeEbEEZZNS1_14partition_implILS5_8ELb0ES3_jPlPS6_PKS6_NS0_5tupleIJS9_S6_EEENSD_IJSA_SA_EEENS0_18inequality_wrapperIZN2at6native12_GLOBAL__N_124unique_dim_cuda_templateIsEESt5tupleIJNSH_6TensorESM_SM_EERKSM_lbbbEUlllE0_EEPmJS6_EEE10hipError_tPvRmT3_T4_T5_T6_T7_T9_mT8_P12ihipStream_tbDpT10_ENKUlT_T0_E_clISt17integral_constantIbLb0EES1B_IbLb1EEEEDaS17_S18_EUlS17_E_NS1_11comp_targetILNS1_3genE0ELNS1_11target_archE4294967295ELNS1_3gpuE0ELNS1_3repE0EEENS1_30default_config_static_selectorELNS0_4arch9wavefront6targetE0EEEvT1_,comdat
.Lfunc_end709:
	.size	_ZN7rocprim17ROCPRIM_400000_NS6detail17trampoline_kernelINS0_14default_configENS1_25partition_config_selectorILNS1_17partition_subalgoE8ElNS0_10empty_typeEbEEZZNS1_14partition_implILS5_8ELb0ES3_jPlPS6_PKS6_NS0_5tupleIJS9_S6_EEENSD_IJSA_SA_EEENS0_18inequality_wrapperIZN2at6native12_GLOBAL__N_124unique_dim_cuda_templateIsEESt5tupleIJNSH_6TensorESM_SM_EERKSM_lbbbEUlllE0_EEPmJS6_EEE10hipError_tPvRmT3_T4_T5_T6_T7_T9_mT8_P12ihipStream_tbDpT10_ENKUlT_T0_E_clISt17integral_constantIbLb0EES1B_IbLb1EEEEDaS17_S18_EUlS17_E_NS1_11comp_targetILNS1_3genE0ELNS1_11target_archE4294967295ELNS1_3gpuE0ELNS1_3repE0EEENS1_30default_config_static_selectorELNS0_4arch9wavefront6targetE0EEEvT1_, .Lfunc_end709-_ZN7rocprim17ROCPRIM_400000_NS6detail17trampoline_kernelINS0_14default_configENS1_25partition_config_selectorILNS1_17partition_subalgoE8ElNS0_10empty_typeEbEEZZNS1_14partition_implILS5_8ELb0ES3_jPlPS6_PKS6_NS0_5tupleIJS9_S6_EEENSD_IJSA_SA_EEENS0_18inequality_wrapperIZN2at6native12_GLOBAL__N_124unique_dim_cuda_templateIsEESt5tupleIJNSH_6TensorESM_SM_EERKSM_lbbbEUlllE0_EEPmJS6_EEE10hipError_tPvRmT3_T4_T5_T6_T7_T9_mT8_P12ihipStream_tbDpT10_ENKUlT_T0_E_clISt17integral_constantIbLb0EES1B_IbLb1EEEEDaS17_S18_EUlS17_E_NS1_11comp_targetILNS1_3genE0ELNS1_11target_archE4294967295ELNS1_3gpuE0ELNS1_3repE0EEENS1_30default_config_static_selectorELNS0_4arch9wavefront6targetE0EEEvT1_
                                        ; -- End function
	.set _ZN7rocprim17ROCPRIM_400000_NS6detail17trampoline_kernelINS0_14default_configENS1_25partition_config_selectorILNS1_17partition_subalgoE8ElNS0_10empty_typeEbEEZZNS1_14partition_implILS5_8ELb0ES3_jPlPS6_PKS6_NS0_5tupleIJS9_S6_EEENSD_IJSA_SA_EEENS0_18inequality_wrapperIZN2at6native12_GLOBAL__N_124unique_dim_cuda_templateIsEESt5tupleIJNSH_6TensorESM_SM_EERKSM_lbbbEUlllE0_EEPmJS6_EEE10hipError_tPvRmT3_T4_T5_T6_T7_T9_mT8_P12ihipStream_tbDpT10_ENKUlT_T0_E_clISt17integral_constantIbLb0EES1B_IbLb1EEEEDaS17_S18_EUlS17_E_NS1_11comp_targetILNS1_3genE0ELNS1_11target_archE4294967295ELNS1_3gpuE0ELNS1_3repE0EEENS1_30default_config_static_selectorELNS0_4arch9wavefront6targetE0EEEvT1_.num_vgpr, 53
	.set _ZN7rocprim17ROCPRIM_400000_NS6detail17trampoline_kernelINS0_14default_configENS1_25partition_config_selectorILNS1_17partition_subalgoE8ElNS0_10empty_typeEbEEZZNS1_14partition_implILS5_8ELb0ES3_jPlPS6_PKS6_NS0_5tupleIJS9_S6_EEENSD_IJSA_SA_EEENS0_18inequality_wrapperIZN2at6native12_GLOBAL__N_124unique_dim_cuda_templateIsEESt5tupleIJNSH_6TensorESM_SM_EERKSM_lbbbEUlllE0_EEPmJS6_EEE10hipError_tPvRmT3_T4_T5_T6_T7_T9_mT8_P12ihipStream_tbDpT10_ENKUlT_T0_E_clISt17integral_constantIbLb0EES1B_IbLb1EEEEDaS17_S18_EUlS17_E_NS1_11comp_targetILNS1_3genE0ELNS1_11target_archE4294967295ELNS1_3gpuE0ELNS1_3repE0EEENS1_30default_config_static_selectorELNS0_4arch9wavefront6targetE0EEEvT1_.num_agpr, 0
	.set _ZN7rocprim17ROCPRIM_400000_NS6detail17trampoline_kernelINS0_14default_configENS1_25partition_config_selectorILNS1_17partition_subalgoE8ElNS0_10empty_typeEbEEZZNS1_14partition_implILS5_8ELb0ES3_jPlPS6_PKS6_NS0_5tupleIJS9_S6_EEENSD_IJSA_SA_EEENS0_18inequality_wrapperIZN2at6native12_GLOBAL__N_124unique_dim_cuda_templateIsEESt5tupleIJNSH_6TensorESM_SM_EERKSM_lbbbEUlllE0_EEPmJS6_EEE10hipError_tPvRmT3_T4_T5_T6_T7_T9_mT8_P12ihipStream_tbDpT10_ENKUlT_T0_E_clISt17integral_constantIbLb0EES1B_IbLb1EEEEDaS17_S18_EUlS17_E_NS1_11comp_targetILNS1_3genE0ELNS1_11target_archE4294967295ELNS1_3gpuE0ELNS1_3repE0EEENS1_30default_config_static_selectorELNS0_4arch9wavefront6targetE0EEEvT1_.numbered_sgpr, 36
	.set _ZN7rocprim17ROCPRIM_400000_NS6detail17trampoline_kernelINS0_14default_configENS1_25partition_config_selectorILNS1_17partition_subalgoE8ElNS0_10empty_typeEbEEZZNS1_14partition_implILS5_8ELb0ES3_jPlPS6_PKS6_NS0_5tupleIJS9_S6_EEENSD_IJSA_SA_EEENS0_18inequality_wrapperIZN2at6native12_GLOBAL__N_124unique_dim_cuda_templateIsEESt5tupleIJNSH_6TensorESM_SM_EERKSM_lbbbEUlllE0_EEPmJS6_EEE10hipError_tPvRmT3_T4_T5_T6_T7_T9_mT8_P12ihipStream_tbDpT10_ENKUlT_T0_E_clISt17integral_constantIbLb0EES1B_IbLb1EEEEDaS17_S18_EUlS17_E_NS1_11comp_targetILNS1_3genE0ELNS1_11target_archE4294967295ELNS1_3gpuE0ELNS1_3repE0EEENS1_30default_config_static_selectorELNS0_4arch9wavefront6targetE0EEEvT1_.num_named_barrier, 0
	.set _ZN7rocprim17ROCPRIM_400000_NS6detail17trampoline_kernelINS0_14default_configENS1_25partition_config_selectorILNS1_17partition_subalgoE8ElNS0_10empty_typeEbEEZZNS1_14partition_implILS5_8ELb0ES3_jPlPS6_PKS6_NS0_5tupleIJS9_S6_EEENSD_IJSA_SA_EEENS0_18inequality_wrapperIZN2at6native12_GLOBAL__N_124unique_dim_cuda_templateIsEESt5tupleIJNSH_6TensorESM_SM_EERKSM_lbbbEUlllE0_EEPmJS6_EEE10hipError_tPvRmT3_T4_T5_T6_T7_T9_mT8_P12ihipStream_tbDpT10_ENKUlT_T0_E_clISt17integral_constantIbLb0EES1B_IbLb1EEEEDaS17_S18_EUlS17_E_NS1_11comp_targetILNS1_3genE0ELNS1_11target_archE4294967295ELNS1_3gpuE0ELNS1_3repE0EEENS1_30default_config_static_selectorELNS0_4arch9wavefront6targetE0EEEvT1_.private_seg_size, 0
	.set _ZN7rocprim17ROCPRIM_400000_NS6detail17trampoline_kernelINS0_14default_configENS1_25partition_config_selectorILNS1_17partition_subalgoE8ElNS0_10empty_typeEbEEZZNS1_14partition_implILS5_8ELb0ES3_jPlPS6_PKS6_NS0_5tupleIJS9_S6_EEENSD_IJSA_SA_EEENS0_18inequality_wrapperIZN2at6native12_GLOBAL__N_124unique_dim_cuda_templateIsEESt5tupleIJNSH_6TensorESM_SM_EERKSM_lbbbEUlllE0_EEPmJS6_EEE10hipError_tPvRmT3_T4_T5_T6_T7_T9_mT8_P12ihipStream_tbDpT10_ENKUlT_T0_E_clISt17integral_constantIbLb0EES1B_IbLb1EEEEDaS17_S18_EUlS17_E_NS1_11comp_targetILNS1_3genE0ELNS1_11target_archE4294967295ELNS1_3gpuE0ELNS1_3repE0EEENS1_30default_config_static_selectorELNS0_4arch9wavefront6targetE0EEEvT1_.uses_vcc, 1
	.set _ZN7rocprim17ROCPRIM_400000_NS6detail17trampoline_kernelINS0_14default_configENS1_25partition_config_selectorILNS1_17partition_subalgoE8ElNS0_10empty_typeEbEEZZNS1_14partition_implILS5_8ELb0ES3_jPlPS6_PKS6_NS0_5tupleIJS9_S6_EEENSD_IJSA_SA_EEENS0_18inequality_wrapperIZN2at6native12_GLOBAL__N_124unique_dim_cuda_templateIsEESt5tupleIJNSH_6TensorESM_SM_EERKSM_lbbbEUlllE0_EEPmJS6_EEE10hipError_tPvRmT3_T4_T5_T6_T7_T9_mT8_P12ihipStream_tbDpT10_ENKUlT_T0_E_clISt17integral_constantIbLb0EES1B_IbLb1EEEEDaS17_S18_EUlS17_E_NS1_11comp_targetILNS1_3genE0ELNS1_11target_archE4294967295ELNS1_3gpuE0ELNS1_3repE0EEENS1_30default_config_static_selectorELNS0_4arch9wavefront6targetE0EEEvT1_.uses_flat_scratch, 0
	.set _ZN7rocprim17ROCPRIM_400000_NS6detail17trampoline_kernelINS0_14default_configENS1_25partition_config_selectorILNS1_17partition_subalgoE8ElNS0_10empty_typeEbEEZZNS1_14partition_implILS5_8ELb0ES3_jPlPS6_PKS6_NS0_5tupleIJS9_S6_EEENSD_IJSA_SA_EEENS0_18inequality_wrapperIZN2at6native12_GLOBAL__N_124unique_dim_cuda_templateIsEESt5tupleIJNSH_6TensorESM_SM_EERKSM_lbbbEUlllE0_EEPmJS6_EEE10hipError_tPvRmT3_T4_T5_T6_T7_T9_mT8_P12ihipStream_tbDpT10_ENKUlT_T0_E_clISt17integral_constantIbLb0EES1B_IbLb1EEEEDaS17_S18_EUlS17_E_NS1_11comp_targetILNS1_3genE0ELNS1_11target_archE4294967295ELNS1_3gpuE0ELNS1_3repE0EEENS1_30default_config_static_selectorELNS0_4arch9wavefront6targetE0EEEvT1_.has_dyn_sized_stack, 0
	.set _ZN7rocprim17ROCPRIM_400000_NS6detail17trampoline_kernelINS0_14default_configENS1_25partition_config_selectorILNS1_17partition_subalgoE8ElNS0_10empty_typeEbEEZZNS1_14partition_implILS5_8ELb0ES3_jPlPS6_PKS6_NS0_5tupleIJS9_S6_EEENSD_IJSA_SA_EEENS0_18inequality_wrapperIZN2at6native12_GLOBAL__N_124unique_dim_cuda_templateIsEESt5tupleIJNSH_6TensorESM_SM_EERKSM_lbbbEUlllE0_EEPmJS6_EEE10hipError_tPvRmT3_T4_T5_T6_T7_T9_mT8_P12ihipStream_tbDpT10_ENKUlT_T0_E_clISt17integral_constantIbLb0EES1B_IbLb1EEEEDaS17_S18_EUlS17_E_NS1_11comp_targetILNS1_3genE0ELNS1_11target_archE4294967295ELNS1_3gpuE0ELNS1_3repE0EEENS1_30default_config_static_selectorELNS0_4arch9wavefront6targetE0EEEvT1_.has_recursion, 0
	.set _ZN7rocprim17ROCPRIM_400000_NS6detail17trampoline_kernelINS0_14default_configENS1_25partition_config_selectorILNS1_17partition_subalgoE8ElNS0_10empty_typeEbEEZZNS1_14partition_implILS5_8ELb0ES3_jPlPS6_PKS6_NS0_5tupleIJS9_S6_EEENSD_IJSA_SA_EEENS0_18inequality_wrapperIZN2at6native12_GLOBAL__N_124unique_dim_cuda_templateIsEESt5tupleIJNSH_6TensorESM_SM_EERKSM_lbbbEUlllE0_EEPmJS6_EEE10hipError_tPvRmT3_T4_T5_T6_T7_T9_mT8_P12ihipStream_tbDpT10_ENKUlT_T0_E_clISt17integral_constantIbLb0EES1B_IbLb1EEEEDaS17_S18_EUlS17_E_NS1_11comp_targetILNS1_3genE0ELNS1_11target_archE4294967295ELNS1_3gpuE0ELNS1_3repE0EEENS1_30default_config_static_selectorELNS0_4arch9wavefront6targetE0EEEvT1_.has_indirect_call, 0
	.section	.AMDGPU.csdata,"",@progbits
; Kernel info:
; codeLenInByte = 10604
; TotalNumSgprs: 38
; NumVgprs: 53
; ScratchSize: 0
; MemoryBound: 0
; FloatMode: 240
; IeeeMode: 1
; LDSByteSize: 28680 bytes/workgroup (compile time only)
; SGPRBlocks: 0
; VGPRBlocks: 3
; NumSGPRsForWavesPerEU: 38
; NumVGPRsForWavesPerEU: 53
; NamedBarCnt: 0
; Occupancy: 16
; WaveLimiterHint : 1
; COMPUTE_PGM_RSRC2:SCRATCH_EN: 0
; COMPUTE_PGM_RSRC2:USER_SGPR: 2
; COMPUTE_PGM_RSRC2:TRAP_HANDLER: 0
; COMPUTE_PGM_RSRC2:TGID_X_EN: 1
; COMPUTE_PGM_RSRC2:TGID_Y_EN: 0
; COMPUTE_PGM_RSRC2:TGID_Z_EN: 0
; COMPUTE_PGM_RSRC2:TIDIG_COMP_CNT: 0
	.section	.text._ZN7rocprim17ROCPRIM_400000_NS6detail17trampoline_kernelINS0_14default_configENS1_25partition_config_selectorILNS1_17partition_subalgoE8ElNS0_10empty_typeEbEEZZNS1_14partition_implILS5_8ELb0ES3_jPlPS6_PKS6_NS0_5tupleIJS9_S6_EEENSD_IJSA_SA_EEENS0_18inequality_wrapperIZN2at6native12_GLOBAL__N_124unique_dim_cuda_templateIsEESt5tupleIJNSH_6TensorESM_SM_EERKSM_lbbbEUlllE0_EEPmJS6_EEE10hipError_tPvRmT3_T4_T5_T6_T7_T9_mT8_P12ihipStream_tbDpT10_ENKUlT_T0_E_clISt17integral_constantIbLb0EES1B_IbLb1EEEEDaS17_S18_EUlS17_E_NS1_11comp_targetILNS1_3genE5ELNS1_11target_archE942ELNS1_3gpuE9ELNS1_3repE0EEENS1_30default_config_static_selectorELNS0_4arch9wavefront6targetE0EEEvT1_,"axG",@progbits,_ZN7rocprim17ROCPRIM_400000_NS6detail17trampoline_kernelINS0_14default_configENS1_25partition_config_selectorILNS1_17partition_subalgoE8ElNS0_10empty_typeEbEEZZNS1_14partition_implILS5_8ELb0ES3_jPlPS6_PKS6_NS0_5tupleIJS9_S6_EEENSD_IJSA_SA_EEENS0_18inequality_wrapperIZN2at6native12_GLOBAL__N_124unique_dim_cuda_templateIsEESt5tupleIJNSH_6TensorESM_SM_EERKSM_lbbbEUlllE0_EEPmJS6_EEE10hipError_tPvRmT3_T4_T5_T6_T7_T9_mT8_P12ihipStream_tbDpT10_ENKUlT_T0_E_clISt17integral_constantIbLb0EES1B_IbLb1EEEEDaS17_S18_EUlS17_E_NS1_11comp_targetILNS1_3genE5ELNS1_11target_archE942ELNS1_3gpuE9ELNS1_3repE0EEENS1_30default_config_static_selectorELNS0_4arch9wavefront6targetE0EEEvT1_,comdat
	.globl	_ZN7rocprim17ROCPRIM_400000_NS6detail17trampoline_kernelINS0_14default_configENS1_25partition_config_selectorILNS1_17partition_subalgoE8ElNS0_10empty_typeEbEEZZNS1_14partition_implILS5_8ELb0ES3_jPlPS6_PKS6_NS0_5tupleIJS9_S6_EEENSD_IJSA_SA_EEENS0_18inequality_wrapperIZN2at6native12_GLOBAL__N_124unique_dim_cuda_templateIsEESt5tupleIJNSH_6TensorESM_SM_EERKSM_lbbbEUlllE0_EEPmJS6_EEE10hipError_tPvRmT3_T4_T5_T6_T7_T9_mT8_P12ihipStream_tbDpT10_ENKUlT_T0_E_clISt17integral_constantIbLb0EES1B_IbLb1EEEEDaS17_S18_EUlS17_E_NS1_11comp_targetILNS1_3genE5ELNS1_11target_archE942ELNS1_3gpuE9ELNS1_3repE0EEENS1_30default_config_static_selectorELNS0_4arch9wavefront6targetE0EEEvT1_ ; -- Begin function _ZN7rocprim17ROCPRIM_400000_NS6detail17trampoline_kernelINS0_14default_configENS1_25partition_config_selectorILNS1_17partition_subalgoE8ElNS0_10empty_typeEbEEZZNS1_14partition_implILS5_8ELb0ES3_jPlPS6_PKS6_NS0_5tupleIJS9_S6_EEENSD_IJSA_SA_EEENS0_18inequality_wrapperIZN2at6native12_GLOBAL__N_124unique_dim_cuda_templateIsEESt5tupleIJNSH_6TensorESM_SM_EERKSM_lbbbEUlllE0_EEPmJS6_EEE10hipError_tPvRmT3_T4_T5_T6_T7_T9_mT8_P12ihipStream_tbDpT10_ENKUlT_T0_E_clISt17integral_constantIbLb0EES1B_IbLb1EEEEDaS17_S18_EUlS17_E_NS1_11comp_targetILNS1_3genE5ELNS1_11target_archE942ELNS1_3gpuE9ELNS1_3repE0EEENS1_30default_config_static_selectorELNS0_4arch9wavefront6targetE0EEEvT1_
	.p2align	8
	.type	_ZN7rocprim17ROCPRIM_400000_NS6detail17trampoline_kernelINS0_14default_configENS1_25partition_config_selectorILNS1_17partition_subalgoE8ElNS0_10empty_typeEbEEZZNS1_14partition_implILS5_8ELb0ES3_jPlPS6_PKS6_NS0_5tupleIJS9_S6_EEENSD_IJSA_SA_EEENS0_18inequality_wrapperIZN2at6native12_GLOBAL__N_124unique_dim_cuda_templateIsEESt5tupleIJNSH_6TensorESM_SM_EERKSM_lbbbEUlllE0_EEPmJS6_EEE10hipError_tPvRmT3_T4_T5_T6_T7_T9_mT8_P12ihipStream_tbDpT10_ENKUlT_T0_E_clISt17integral_constantIbLb0EES1B_IbLb1EEEEDaS17_S18_EUlS17_E_NS1_11comp_targetILNS1_3genE5ELNS1_11target_archE942ELNS1_3gpuE9ELNS1_3repE0EEENS1_30default_config_static_selectorELNS0_4arch9wavefront6targetE0EEEvT1_,@function
_ZN7rocprim17ROCPRIM_400000_NS6detail17trampoline_kernelINS0_14default_configENS1_25partition_config_selectorILNS1_17partition_subalgoE8ElNS0_10empty_typeEbEEZZNS1_14partition_implILS5_8ELb0ES3_jPlPS6_PKS6_NS0_5tupleIJS9_S6_EEENSD_IJSA_SA_EEENS0_18inequality_wrapperIZN2at6native12_GLOBAL__N_124unique_dim_cuda_templateIsEESt5tupleIJNSH_6TensorESM_SM_EERKSM_lbbbEUlllE0_EEPmJS6_EEE10hipError_tPvRmT3_T4_T5_T6_T7_T9_mT8_P12ihipStream_tbDpT10_ENKUlT_T0_E_clISt17integral_constantIbLb0EES1B_IbLb1EEEEDaS17_S18_EUlS17_E_NS1_11comp_targetILNS1_3genE5ELNS1_11target_archE942ELNS1_3gpuE9ELNS1_3repE0EEENS1_30default_config_static_selectorELNS0_4arch9wavefront6targetE0EEEvT1_: ; @_ZN7rocprim17ROCPRIM_400000_NS6detail17trampoline_kernelINS0_14default_configENS1_25partition_config_selectorILNS1_17partition_subalgoE8ElNS0_10empty_typeEbEEZZNS1_14partition_implILS5_8ELb0ES3_jPlPS6_PKS6_NS0_5tupleIJS9_S6_EEENSD_IJSA_SA_EEENS0_18inequality_wrapperIZN2at6native12_GLOBAL__N_124unique_dim_cuda_templateIsEESt5tupleIJNSH_6TensorESM_SM_EERKSM_lbbbEUlllE0_EEPmJS6_EEE10hipError_tPvRmT3_T4_T5_T6_T7_T9_mT8_P12ihipStream_tbDpT10_ENKUlT_T0_E_clISt17integral_constantIbLb0EES1B_IbLb1EEEEDaS17_S18_EUlS17_E_NS1_11comp_targetILNS1_3genE5ELNS1_11target_archE942ELNS1_3gpuE9ELNS1_3repE0EEENS1_30default_config_static_selectorELNS0_4arch9wavefront6targetE0EEEvT1_
; %bb.0:
	.section	.rodata,"a",@progbits
	.p2align	6, 0x0
	.amdhsa_kernel _ZN7rocprim17ROCPRIM_400000_NS6detail17trampoline_kernelINS0_14default_configENS1_25partition_config_selectorILNS1_17partition_subalgoE8ElNS0_10empty_typeEbEEZZNS1_14partition_implILS5_8ELb0ES3_jPlPS6_PKS6_NS0_5tupleIJS9_S6_EEENSD_IJSA_SA_EEENS0_18inequality_wrapperIZN2at6native12_GLOBAL__N_124unique_dim_cuda_templateIsEESt5tupleIJNSH_6TensorESM_SM_EERKSM_lbbbEUlllE0_EEPmJS6_EEE10hipError_tPvRmT3_T4_T5_T6_T7_T9_mT8_P12ihipStream_tbDpT10_ENKUlT_T0_E_clISt17integral_constantIbLb0EES1B_IbLb1EEEEDaS17_S18_EUlS17_E_NS1_11comp_targetILNS1_3genE5ELNS1_11target_archE942ELNS1_3gpuE9ELNS1_3repE0EEENS1_30default_config_static_selectorELNS0_4arch9wavefront6targetE0EEEvT1_
		.amdhsa_group_segment_fixed_size 0
		.amdhsa_private_segment_fixed_size 0
		.amdhsa_kernarg_size 136
		.amdhsa_user_sgpr_count 2
		.amdhsa_user_sgpr_dispatch_ptr 0
		.amdhsa_user_sgpr_queue_ptr 0
		.amdhsa_user_sgpr_kernarg_segment_ptr 1
		.amdhsa_user_sgpr_dispatch_id 0
		.amdhsa_user_sgpr_kernarg_preload_length 0
		.amdhsa_user_sgpr_kernarg_preload_offset 0
		.amdhsa_user_sgpr_private_segment_size 0
		.amdhsa_wavefront_size32 1
		.amdhsa_uses_dynamic_stack 0
		.amdhsa_enable_private_segment 0
		.amdhsa_system_sgpr_workgroup_id_x 1
		.amdhsa_system_sgpr_workgroup_id_y 0
		.amdhsa_system_sgpr_workgroup_id_z 0
		.amdhsa_system_sgpr_workgroup_info 0
		.amdhsa_system_vgpr_workitem_id 0
		.amdhsa_next_free_vgpr 1
		.amdhsa_next_free_sgpr 1
		.amdhsa_named_barrier_count 0
		.amdhsa_reserve_vcc 0
		.amdhsa_float_round_mode_32 0
		.amdhsa_float_round_mode_16_64 0
		.amdhsa_float_denorm_mode_32 3
		.amdhsa_float_denorm_mode_16_64 3
		.amdhsa_fp16_overflow 0
		.amdhsa_memory_ordered 1
		.amdhsa_forward_progress 1
		.amdhsa_inst_pref_size 0
		.amdhsa_round_robin_scheduling 0
		.amdhsa_exception_fp_ieee_invalid_op 0
		.amdhsa_exception_fp_denorm_src 0
		.amdhsa_exception_fp_ieee_div_zero 0
		.amdhsa_exception_fp_ieee_overflow 0
		.amdhsa_exception_fp_ieee_underflow 0
		.amdhsa_exception_fp_ieee_inexact 0
		.amdhsa_exception_int_div_zero 0
	.end_amdhsa_kernel
	.section	.text._ZN7rocprim17ROCPRIM_400000_NS6detail17trampoline_kernelINS0_14default_configENS1_25partition_config_selectorILNS1_17partition_subalgoE8ElNS0_10empty_typeEbEEZZNS1_14partition_implILS5_8ELb0ES3_jPlPS6_PKS6_NS0_5tupleIJS9_S6_EEENSD_IJSA_SA_EEENS0_18inequality_wrapperIZN2at6native12_GLOBAL__N_124unique_dim_cuda_templateIsEESt5tupleIJNSH_6TensorESM_SM_EERKSM_lbbbEUlllE0_EEPmJS6_EEE10hipError_tPvRmT3_T4_T5_T6_T7_T9_mT8_P12ihipStream_tbDpT10_ENKUlT_T0_E_clISt17integral_constantIbLb0EES1B_IbLb1EEEEDaS17_S18_EUlS17_E_NS1_11comp_targetILNS1_3genE5ELNS1_11target_archE942ELNS1_3gpuE9ELNS1_3repE0EEENS1_30default_config_static_selectorELNS0_4arch9wavefront6targetE0EEEvT1_,"axG",@progbits,_ZN7rocprim17ROCPRIM_400000_NS6detail17trampoline_kernelINS0_14default_configENS1_25partition_config_selectorILNS1_17partition_subalgoE8ElNS0_10empty_typeEbEEZZNS1_14partition_implILS5_8ELb0ES3_jPlPS6_PKS6_NS0_5tupleIJS9_S6_EEENSD_IJSA_SA_EEENS0_18inequality_wrapperIZN2at6native12_GLOBAL__N_124unique_dim_cuda_templateIsEESt5tupleIJNSH_6TensorESM_SM_EERKSM_lbbbEUlllE0_EEPmJS6_EEE10hipError_tPvRmT3_T4_T5_T6_T7_T9_mT8_P12ihipStream_tbDpT10_ENKUlT_T0_E_clISt17integral_constantIbLb0EES1B_IbLb1EEEEDaS17_S18_EUlS17_E_NS1_11comp_targetILNS1_3genE5ELNS1_11target_archE942ELNS1_3gpuE9ELNS1_3repE0EEENS1_30default_config_static_selectorELNS0_4arch9wavefront6targetE0EEEvT1_,comdat
.Lfunc_end710:
	.size	_ZN7rocprim17ROCPRIM_400000_NS6detail17trampoline_kernelINS0_14default_configENS1_25partition_config_selectorILNS1_17partition_subalgoE8ElNS0_10empty_typeEbEEZZNS1_14partition_implILS5_8ELb0ES3_jPlPS6_PKS6_NS0_5tupleIJS9_S6_EEENSD_IJSA_SA_EEENS0_18inequality_wrapperIZN2at6native12_GLOBAL__N_124unique_dim_cuda_templateIsEESt5tupleIJNSH_6TensorESM_SM_EERKSM_lbbbEUlllE0_EEPmJS6_EEE10hipError_tPvRmT3_T4_T5_T6_T7_T9_mT8_P12ihipStream_tbDpT10_ENKUlT_T0_E_clISt17integral_constantIbLb0EES1B_IbLb1EEEEDaS17_S18_EUlS17_E_NS1_11comp_targetILNS1_3genE5ELNS1_11target_archE942ELNS1_3gpuE9ELNS1_3repE0EEENS1_30default_config_static_selectorELNS0_4arch9wavefront6targetE0EEEvT1_, .Lfunc_end710-_ZN7rocprim17ROCPRIM_400000_NS6detail17trampoline_kernelINS0_14default_configENS1_25partition_config_selectorILNS1_17partition_subalgoE8ElNS0_10empty_typeEbEEZZNS1_14partition_implILS5_8ELb0ES3_jPlPS6_PKS6_NS0_5tupleIJS9_S6_EEENSD_IJSA_SA_EEENS0_18inequality_wrapperIZN2at6native12_GLOBAL__N_124unique_dim_cuda_templateIsEESt5tupleIJNSH_6TensorESM_SM_EERKSM_lbbbEUlllE0_EEPmJS6_EEE10hipError_tPvRmT3_T4_T5_T6_T7_T9_mT8_P12ihipStream_tbDpT10_ENKUlT_T0_E_clISt17integral_constantIbLb0EES1B_IbLb1EEEEDaS17_S18_EUlS17_E_NS1_11comp_targetILNS1_3genE5ELNS1_11target_archE942ELNS1_3gpuE9ELNS1_3repE0EEENS1_30default_config_static_selectorELNS0_4arch9wavefront6targetE0EEEvT1_
                                        ; -- End function
	.set _ZN7rocprim17ROCPRIM_400000_NS6detail17trampoline_kernelINS0_14default_configENS1_25partition_config_selectorILNS1_17partition_subalgoE8ElNS0_10empty_typeEbEEZZNS1_14partition_implILS5_8ELb0ES3_jPlPS6_PKS6_NS0_5tupleIJS9_S6_EEENSD_IJSA_SA_EEENS0_18inequality_wrapperIZN2at6native12_GLOBAL__N_124unique_dim_cuda_templateIsEESt5tupleIJNSH_6TensorESM_SM_EERKSM_lbbbEUlllE0_EEPmJS6_EEE10hipError_tPvRmT3_T4_T5_T6_T7_T9_mT8_P12ihipStream_tbDpT10_ENKUlT_T0_E_clISt17integral_constantIbLb0EES1B_IbLb1EEEEDaS17_S18_EUlS17_E_NS1_11comp_targetILNS1_3genE5ELNS1_11target_archE942ELNS1_3gpuE9ELNS1_3repE0EEENS1_30default_config_static_selectorELNS0_4arch9wavefront6targetE0EEEvT1_.num_vgpr, 0
	.set _ZN7rocprim17ROCPRIM_400000_NS6detail17trampoline_kernelINS0_14default_configENS1_25partition_config_selectorILNS1_17partition_subalgoE8ElNS0_10empty_typeEbEEZZNS1_14partition_implILS5_8ELb0ES3_jPlPS6_PKS6_NS0_5tupleIJS9_S6_EEENSD_IJSA_SA_EEENS0_18inequality_wrapperIZN2at6native12_GLOBAL__N_124unique_dim_cuda_templateIsEESt5tupleIJNSH_6TensorESM_SM_EERKSM_lbbbEUlllE0_EEPmJS6_EEE10hipError_tPvRmT3_T4_T5_T6_T7_T9_mT8_P12ihipStream_tbDpT10_ENKUlT_T0_E_clISt17integral_constantIbLb0EES1B_IbLb1EEEEDaS17_S18_EUlS17_E_NS1_11comp_targetILNS1_3genE5ELNS1_11target_archE942ELNS1_3gpuE9ELNS1_3repE0EEENS1_30default_config_static_selectorELNS0_4arch9wavefront6targetE0EEEvT1_.num_agpr, 0
	.set _ZN7rocprim17ROCPRIM_400000_NS6detail17trampoline_kernelINS0_14default_configENS1_25partition_config_selectorILNS1_17partition_subalgoE8ElNS0_10empty_typeEbEEZZNS1_14partition_implILS5_8ELb0ES3_jPlPS6_PKS6_NS0_5tupleIJS9_S6_EEENSD_IJSA_SA_EEENS0_18inequality_wrapperIZN2at6native12_GLOBAL__N_124unique_dim_cuda_templateIsEESt5tupleIJNSH_6TensorESM_SM_EERKSM_lbbbEUlllE0_EEPmJS6_EEE10hipError_tPvRmT3_T4_T5_T6_T7_T9_mT8_P12ihipStream_tbDpT10_ENKUlT_T0_E_clISt17integral_constantIbLb0EES1B_IbLb1EEEEDaS17_S18_EUlS17_E_NS1_11comp_targetILNS1_3genE5ELNS1_11target_archE942ELNS1_3gpuE9ELNS1_3repE0EEENS1_30default_config_static_selectorELNS0_4arch9wavefront6targetE0EEEvT1_.numbered_sgpr, 0
	.set _ZN7rocprim17ROCPRIM_400000_NS6detail17trampoline_kernelINS0_14default_configENS1_25partition_config_selectorILNS1_17partition_subalgoE8ElNS0_10empty_typeEbEEZZNS1_14partition_implILS5_8ELb0ES3_jPlPS6_PKS6_NS0_5tupleIJS9_S6_EEENSD_IJSA_SA_EEENS0_18inequality_wrapperIZN2at6native12_GLOBAL__N_124unique_dim_cuda_templateIsEESt5tupleIJNSH_6TensorESM_SM_EERKSM_lbbbEUlllE0_EEPmJS6_EEE10hipError_tPvRmT3_T4_T5_T6_T7_T9_mT8_P12ihipStream_tbDpT10_ENKUlT_T0_E_clISt17integral_constantIbLb0EES1B_IbLb1EEEEDaS17_S18_EUlS17_E_NS1_11comp_targetILNS1_3genE5ELNS1_11target_archE942ELNS1_3gpuE9ELNS1_3repE0EEENS1_30default_config_static_selectorELNS0_4arch9wavefront6targetE0EEEvT1_.num_named_barrier, 0
	.set _ZN7rocprim17ROCPRIM_400000_NS6detail17trampoline_kernelINS0_14default_configENS1_25partition_config_selectorILNS1_17partition_subalgoE8ElNS0_10empty_typeEbEEZZNS1_14partition_implILS5_8ELb0ES3_jPlPS6_PKS6_NS0_5tupleIJS9_S6_EEENSD_IJSA_SA_EEENS0_18inequality_wrapperIZN2at6native12_GLOBAL__N_124unique_dim_cuda_templateIsEESt5tupleIJNSH_6TensorESM_SM_EERKSM_lbbbEUlllE0_EEPmJS6_EEE10hipError_tPvRmT3_T4_T5_T6_T7_T9_mT8_P12ihipStream_tbDpT10_ENKUlT_T0_E_clISt17integral_constantIbLb0EES1B_IbLb1EEEEDaS17_S18_EUlS17_E_NS1_11comp_targetILNS1_3genE5ELNS1_11target_archE942ELNS1_3gpuE9ELNS1_3repE0EEENS1_30default_config_static_selectorELNS0_4arch9wavefront6targetE0EEEvT1_.private_seg_size, 0
	.set _ZN7rocprim17ROCPRIM_400000_NS6detail17trampoline_kernelINS0_14default_configENS1_25partition_config_selectorILNS1_17partition_subalgoE8ElNS0_10empty_typeEbEEZZNS1_14partition_implILS5_8ELb0ES3_jPlPS6_PKS6_NS0_5tupleIJS9_S6_EEENSD_IJSA_SA_EEENS0_18inequality_wrapperIZN2at6native12_GLOBAL__N_124unique_dim_cuda_templateIsEESt5tupleIJNSH_6TensorESM_SM_EERKSM_lbbbEUlllE0_EEPmJS6_EEE10hipError_tPvRmT3_T4_T5_T6_T7_T9_mT8_P12ihipStream_tbDpT10_ENKUlT_T0_E_clISt17integral_constantIbLb0EES1B_IbLb1EEEEDaS17_S18_EUlS17_E_NS1_11comp_targetILNS1_3genE5ELNS1_11target_archE942ELNS1_3gpuE9ELNS1_3repE0EEENS1_30default_config_static_selectorELNS0_4arch9wavefront6targetE0EEEvT1_.uses_vcc, 0
	.set _ZN7rocprim17ROCPRIM_400000_NS6detail17trampoline_kernelINS0_14default_configENS1_25partition_config_selectorILNS1_17partition_subalgoE8ElNS0_10empty_typeEbEEZZNS1_14partition_implILS5_8ELb0ES3_jPlPS6_PKS6_NS0_5tupleIJS9_S6_EEENSD_IJSA_SA_EEENS0_18inequality_wrapperIZN2at6native12_GLOBAL__N_124unique_dim_cuda_templateIsEESt5tupleIJNSH_6TensorESM_SM_EERKSM_lbbbEUlllE0_EEPmJS6_EEE10hipError_tPvRmT3_T4_T5_T6_T7_T9_mT8_P12ihipStream_tbDpT10_ENKUlT_T0_E_clISt17integral_constantIbLb0EES1B_IbLb1EEEEDaS17_S18_EUlS17_E_NS1_11comp_targetILNS1_3genE5ELNS1_11target_archE942ELNS1_3gpuE9ELNS1_3repE0EEENS1_30default_config_static_selectorELNS0_4arch9wavefront6targetE0EEEvT1_.uses_flat_scratch, 0
	.set _ZN7rocprim17ROCPRIM_400000_NS6detail17trampoline_kernelINS0_14default_configENS1_25partition_config_selectorILNS1_17partition_subalgoE8ElNS0_10empty_typeEbEEZZNS1_14partition_implILS5_8ELb0ES3_jPlPS6_PKS6_NS0_5tupleIJS9_S6_EEENSD_IJSA_SA_EEENS0_18inequality_wrapperIZN2at6native12_GLOBAL__N_124unique_dim_cuda_templateIsEESt5tupleIJNSH_6TensorESM_SM_EERKSM_lbbbEUlllE0_EEPmJS6_EEE10hipError_tPvRmT3_T4_T5_T6_T7_T9_mT8_P12ihipStream_tbDpT10_ENKUlT_T0_E_clISt17integral_constantIbLb0EES1B_IbLb1EEEEDaS17_S18_EUlS17_E_NS1_11comp_targetILNS1_3genE5ELNS1_11target_archE942ELNS1_3gpuE9ELNS1_3repE0EEENS1_30default_config_static_selectorELNS0_4arch9wavefront6targetE0EEEvT1_.has_dyn_sized_stack, 0
	.set _ZN7rocprim17ROCPRIM_400000_NS6detail17trampoline_kernelINS0_14default_configENS1_25partition_config_selectorILNS1_17partition_subalgoE8ElNS0_10empty_typeEbEEZZNS1_14partition_implILS5_8ELb0ES3_jPlPS6_PKS6_NS0_5tupleIJS9_S6_EEENSD_IJSA_SA_EEENS0_18inequality_wrapperIZN2at6native12_GLOBAL__N_124unique_dim_cuda_templateIsEESt5tupleIJNSH_6TensorESM_SM_EERKSM_lbbbEUlllE0_EEPmJS6_EEE10hipError_tPvRmT3_T4_T5_T6_T7_T9_mT8_P12ihipStream_tbDpT10_ENKUlT_T0_E_clISt17integral_constantIbLb0EES1B_IbLb1EEEEDaS17_S18_EUlS17_E_NS1_11comp_targetILNS1_3genE5ELNS1_11target_archE942ELNS1_3gpuE9ELNS1_3repE0EEENS1_30default_config_static_selectorELNS0_4arch9wavefront6targetE0EEEvT1_.has_recursion, 0
	.set _ZN7rocprim17ROCPRIM_400000_NS6detail17trampoline_kernelINS0_14default_configENS1_25partition_config_selectorILNS1_17partition_subalgoE8ElNS0_10empty_typeEbEEZZNS1_14partition_implILS5_8ELb0ES3_jPlPS6_PKS6_NS0_5tupleIJS9_S6_EEENSD_IJSA_SA_EEENS0_18inequality_wrapperIZN2at6native12_GLOBAL__N_124unique_dim_cuda_templateIsEESt5tupleIJNSH_6TensorESM_SM_EERKSM_lbbbEUlllE0_EEPmJS6_EEE10hipError_tPvRmT3_T4_T5_T6_T7_T9_mT8_P12ihipStream_tbDpT10_ENKUlT_T0_E_clISt17integral_constantIbLb0EES1B_IbLb1EEEEDaS17_S18_EUlS17_E_NS1_11comp_targetILNS1_3genE5ELNS1_11target_archE942ELNS1_3gpuE9ELNS1_3repE0EEENS1_30default_config_static_selectorELNS0_4arch9wavefront6targetE0EEEvT1_.has_indirect_call, 0
	.section	.AMDGPU.csdata,"",@progbits
; Kernel info:
; codeLenInByte = 0
; TotalNumSgprs: 0
; NumVgprs: 0
; ScratchSize: 0
; MemoryBound: 0
; FloatMode: 240
; IeeeMode: 1
; LDSByteSize: 0 bytes/workgroup (compile time only)
; SGPRBlocks: 0
; VGPRBlocks: 0
; NumSGPRsForWavesPerEU: 1
; NumVGPRsForWavesPerEU: 1
; NamedBarCnt: 0
; Occupancy: 16
; WaveLimiterHint : 0
; COMPUTE_PGM_RSRC2:SCRATCH_EN: 0
; COMPUTE_PGM_RSRC2:USER_SGPR: 2
; COMPUTE_PGM_RSRC2:TRAP_HANDLER: 0
; COMPUTE_PGM_RSRC2:TGID_X_EN: 1
; COMPUTE_PGM_RSRC2:TGID_Y_EN: 0
; COMPUTE_PGM_RSRC2:TGID_Z_EN: 0
; COMPUTE_PGM_RSRC2:TIDIG_COMP_CNT: 0
	.section	.text._ZN7rocprim17ROCPRIM_400000_NS6detail17trampoline_kernelINS0_14default_configENS1_25partition_config_selectorILNS1_17partition_subalgoE8ElNS0_10empty_typeEbEEZZNS1_14partition_implILS5_8ELb0ES3_jPlPS6_PKS6_NS0_5tupleIJS9_S6_EEENSD_IJSA_SA_EEENS0_18inequality_wrapperIZN2at6native12_GLOBAL__N_124unique_dim_cuda_templateIsEESt5tupleIJNSH_6TensorESM_SM_EERKSM_lbbbEUlllE0_EEPmJS6_EEE10hipError_tPvRmT3_T4_T5_T6_T7_T9_mT8_P12ihipStream_tbDpT10_ENKUlT_T0_E_clISt17integral_constantIbLb0EES1B_IbLb1EEEEDaS17_S18_EUlS17_E_NS1_11comp_targetILNS1_3genE4ELNS1_11target_archE910ELNS1_3gpuE8ELNS1_3repE0EEENS1_30default_config_static_selectorELNS0_4arch9wavefront6targetE0EEEvT1_,"axG",@progbits,_ZN7rocprim17ROCPRIM_400000_NS6detail17trampoline_kernelINS0_14default_configENS1_25partition_config_selectorILNS1_17partition_subalgoE8ElNS0_10empty_typeEbEEZZNS1_14partition_implILS5_8ELb0ES3_jPlPS6_PKS6_NS0_5tupleIJS9_S6_EEENSD_IJSA_SA_EEENS0_18inequality_wrapperIZN2at6native12_GLOBAL__N_124unique_dim_cuda_templateIsEESt5tupleIJNSH_6TensorESM_SM_EERKSM_lbbbEUlllE0_EEPmJS6_EEE10hipError_tPvRmT3_T4_T5_T6_T7_T9_mT8_P12ihipStream_tbDpT10_ENKUlT_T0_E_clISt17integral_constantIbLb0EES1B_IbLb1EEEEDaS17_S18_EUlS17_E_NS1_11comp_targetILNS1_3genE4ELNS1_11target_archE910ELNS1_3gpuE8ELNS1_3repE0EEENS1_30default_config_static_selectorELNS0_4arch9wavefront6targetE0EEEvT1_,comdat
	.globl	_ZN7rocprim17ROCPRIM_400000_NS6detail17trampoline_kernelINS0_14default_configENS1_25partition_config_selectorILNS1_17partition_subalgoE8ElNS0_10empty_typeEbEEZZNS1_14partition_implILS5_8ELb0ES3_jPlPS6_PKS6_NS0_5tupleIJS9_S6_EEENSD_IJSA_SA_EEENS0_18inequality_wrapperIZN2at6native12_GLOBAL__N_124unique_dim_cuda_templateIsEESt5tupleIJNSH_6TensorESM_SM_EERKSM_lbbbEUlllE0_EEPmJS6_EEE10hipError_tPvRmT3_T4_T5_T6_T7_T9_mT8_P12ihipStream_tbDpT10_ENKUlT_T0_E_clISt17integral_constantIbLb0EES1B_IbLb1EEEEDaS17_S18_EUlS17_E_NS1_11comp_targetILNS1_3genE4ELNS1_11target_archE910ELNS1_3gpuE8ELNS1_3repE0EEENS1_30default_config_static_selectorELNS0_4arch9wavefront6targetE0EEEvT1_ ; -- Begin function _ZN7rocprim17ROCPRIM_400000_NS6detail17trampoline_kernelINS0_14default_configENS1_25partition_config_selectorILNS1_17partition_subalgoE8ElNS0_10empty_typeEbEEZZNS1_14partition_implILS5_8ELb0ES3_jPlPS6_PKS6_NS0_5tupleIJS9_S6_EEENSD_IJSA_SA_EEENS0_18inequality_wrapperIZN2at6native12_GLOBAL__N_124unique_dim_cuda_templateIsEESt5tupleIJNSH_6TensorESM_SM_EERKSM_lbbbEUlllE0_EEPmJS6_EEE10hipError_tPvRmT3_T4_T5_T6_T7_T9_mT8_P12ihipStream_tbDpT10_ENKUlT_T0_E_clISt17integral_constantIbLb0EES1B_IbLb1EEEEDaS17_S18_EUlS17_E_NS1_11comp_targetILNS1_3genE4ELNS1_11target_archE910ELNS1_3gpuE8ELNS1_3repE0EEENS1_30default_config_static_selectorELNS0_4arch9wavefront6targetE0EEEvT1_
	.p2align	8
	.type	_ZN7rocprim17ROCPRIM_400000_NS6detail17trampoline_kernelINS0_14default_configENS1_25partition_config_selectorILNS1_17partition_subalgoE8ElNS0_10empty_typeEbEEZZNS1_14partition_implILS5_8ELb0ES3_jPlPS6_PKS6_NS0_5tupleIJS9_S6_EEENSD_IJSA_SA_EEENS0_18inequality_wrapperIZN2at6native12_GLOBAL__N_124unique_dim_cuda_templateIsEESt5tupleIJNSH_6TensorESM_SM_EERKSM_lbbbEUlllE0_EEPmJS6_EEE10hipError_tPvRmT3_T4_T5_T6_T7_T9_mT8_P12ihipStream_tbDpT10_ENKUlT_T0_E_clISt17integral_constantIbLb0EES1B_IbLb1EEEEDaS17_S18_EUlS17_E_NS1_11comp_targetILNS1_3genE4ELNS1_11target_archE910ELNS1_3gpuE8ELNS1_3repE0EEENS1_30default_config_static_selectorELNS0_4arch9wavefront6targetE0EEEvT1_,@function
_ZN7rocprim17ROCPRIM_400000_NS6detail17trampoline_kernelINS0_14default_configENS1_25partition_config_selectorILNS1_17partition_subalgoE8ElNS0_10empty_typeEbEEZZNS1_14partition_implILS5_8ELb0ES3_jPlPS6_PKS6_NS0_5tupleIJS9_S6_EEENSD_IJSA_SA_EEENS0_18inequality_wrapperIZN2at6native12_GLOBAL__N_124unique_dim_cuda_templateIsEESt5tupleIJNSH_6TensorESM_SM_EERKSM_lbbbEUlllE0_EEPmJS6_EEE10hipError_tPvRmT3_T4_T5_T6_T7_T9_mT8_P12ihipStream_tbDpT10_ENKUlT_T0_E_clISt17integral_constantIbLb0EES1B_IbLb1EEEEDaS17_S18_EUlS17_E_NS1_11comp_targetILNS1_3genE4ELNS1_11target_archE910ELNS1_3gpuE8ELNS1_3repE0EEENS1_30default_config_static_selectorELNS0_4arch9wavefront6targetE0EEEvT1_: ; @_ZN7rocprim17ROCPRIM_400000_NS6detail17trampoline_kernelINS0_14default_configENS1_25partition_config_selectorILNS1_17partition_subalgoE8ElNS0_10empty_typeEbEEZZNS1_14partition_implILS5_8ELb0ES3_jPlPS6_PKS6_NS0_5tupleIJS9_S6_EEENSD_IJSA_SA_EEENS0_18inequality_wrapperIZN2at6native12_GLOBAL__N_124unique_dim_cuda_templateIsEESt5tupleIJNSH_6TensorESM_SM_EERKSM_lbbbEUlllE0_EEPmJS6_EEE10hipError_tPvRmT3_T4_T5_T6_T7_T9_mT8_P12ihipStream_tbDpT10_ENKUlT_T0_E_clISt17integral_constantIbLb0EES1B_IbLb1EEEEDaS17_S18_EUlS17_E_NS1_11comp_targetILNS1_3genE4ELNS1_11target_archE910ELNS1_3gpuE8ELNS1_3repE0EEENS1_30default_config_static_selectorELNS0_4arch9wavefront6targetE0EEEvT1_
; %bb.0:
	.section	.rodata,"a",@progbits
	.p2align	6, 0x0
	.amdhsa_kernel _ZN7rocprim17ROCPRIM_400000_NS6detail17trampoline_kernelINS0_14default_configENS1_25partition_config_selectorILNS1_17partition_subalgoE8ElNS0_10empty_typeEbEEZZNS1_14partition_implILS5_8ELb0ES3_jPlPS6_PKS6_NS0_5tupleIJS9_S6_EEENSD_IJSA_SA_EEENS0_18inequality_wrapperIZN2at6native12_GLOBAL__N_124unique_dim_cuda_templateIsEESt5tupleIJNSH_6TensorESM_SM_EERKSM_lbbbEUlllE0_EEPmJS6_EEE10hipError_tPvRmT3_T4_T5_T6_T7_T9_mT8_P12ihipStream_tbDpT10_ENKUlT_T0_E_clISt17integral_constantIbLb0EES1B_IbLb1EEEEDaS17_S18_EUlS17_E_NS1_11comp_targetILNS1_3genE4ELNS1_11target_archE910ELNS1_3gpuE8ELNS1_3repE0EEENS1_30default_config_static_selectorELNS0_4arch9wavefront6targetE0EEEvT1_
		.amdhsa_group_segment_fixed_size 0
		.amdhsa_private_segment_fixed_size 0
		.amdhsa_kernarg_size 136
		.amdhsa_user_sgpr_count 2
		.amdhsa_user_sgpr_dispatch_ptr 0
		.amdhsa_user_sgpr_queue_ptr 0
		.amdhsa_user_sgpr_kernarg_segment_ptr 1
		.amdhsa_user_sgpr_dispatch_id 0
		.amdhsa_user_sgpr_kernarg_preload_length 0
		.amdhsa_user_sgpr_kernarg_preload_offset 0
		.amdhsa_user_sgpr_private_segment_size 0
		.amdhsa_wavefront_size32 1
		.amdhsa_uses_dynamic_stack 0
		.amdhsa_enable_private_segment 0
		.amdhsa_system_sgpr_workgroup_id_x 1
		.amdhsa_system_sgpr_workgroup_id_y 0
		.amdhsa_system_sgpr_workgroup_id_z 0
		.amdhsa_system_sgpr_workgroup_info 0
		.amdhsa_system_vgpr_workitem_id 0
		.amdhsa_next_free_vgpr 1
		.amdhsa_next_free_sgpr 1
		.amdhsa_named_barrier_count 0
		.amdhsa_reserve_vcc 0
		.amdhsa_float_round_mode_32 0
		.amdhsa_float_round_mode_16_64 0
		.amdhsa_float_denorm_mode_32 3
		.amdhsa_float_denorm_mode_16_64 3
		.amdhsa_fp16_overflow 0
		.amdhsa_memory_ordered 1
		.amdhsa_forward_progress 1
		.amdhsa_inst_pref_size 0
		.amdhsa_round_robin_scheduling 0
		.amdhsa_exception_fp_ieee_invalid_op 0
		.amdhsa_exception_fp_denorm_src 0
		.amdhsa_exception_fp_ieee_div_zero 0
		.amdhsa_exception_fp_ieee_overflow 0
		.amdhsa_exception_fp_ieee_underflow 0
		.amdhsa_exception_fp_ieee_inexact 0
		.amdhsa_exception_int_div_zero 0
	.end_amdhsa_kernel
	.section	.text._ZN7rocprim17ROCPRIM_400000_NS6detail17trampoline_kernelINS0_14default_configENS1_25partition_config_selectorILNS1_17partition_subalgoE8ElNS0_10empty_typeEbEEZZNS1_14partition_implILS5_8ELb0ES3_jPlPS6_PKS6_NS0_5tupleIJS9_S6_EEENSD_IJSA_SA_EEENS0_18inequality_wrapperIZN2at6native12_GLOBAL__N_124unique_dim_cuda_templateIsEESt5tupleIJNSH_6TensorESM_SM_EERKSM_lbbbEUlllE0_EEPmJS6_EEE10hipError_tPvRmT3_T4_T5_T6_T7_T9_mT8_P12ihipStream_tbDpT10_ENKUlT_T0_E_clISt17integral_constantIbLb0EES1B_IbLb1EEEEDaS17_S18_EUlS17_E_NS1_11comp_targetILNS1_3genE4ELNS1_11target_archE910ELNS1_3gpuE8ELNS1_3repE0EEENS1_30default_config_static_selectorELNS0_4arch9wavefront6targetE0EEEvT1_,"axG",@progbits,_ZN7rocprim17ROCPRIM_400000_NS6detail17trampoline_kernelINS0_14default_configENS1_25partition_config_selectorILNS1_17partition_subalgoE8ElNS0_10empty_typeEbEEZZNS1_14partition_implILS5_8ELb0ES3_jPlPS6_PKS6_NS0_5tupleIJS9_S6_EEENSD_IJSA_SA_EEENS0_18inequality_wrapperIZN2at6native12_GLOBAL__N_124unique_dim_cuda_templateIsEESt5tupleIJNSH_6TensorESM_SM_EERKSM_lbbbEUlllE0_EEPmJS6_EEE10hipError_tPvRmT3_T4_T5_T6_T7_T9_mT8_P12ihipStream_tbDpT10_ENKUlT_T0_E_clISt17integral_constantIbLb0EES1B_IbLb1EEEEDaS17_S18_EUlS17_E_NS1_11comp_targetILNS1_3genE4ELNS1_11target_archE910ELNS1_3gpuE8ELNS1_3repE0EEENS1_30default_config_static_selectorELNS0_4arch9wavefront6targetE0EEEvT1_,comdat
.Lfunc_end711:
	.size	_ZN7rocprim17ROCPRIM_400000_NS6detail17trampoline_kernelINS0_14default_configENS1_25partition_config_selectorILNS1_17partition_subalgoE8ElNS0_10empty_typeEbEEZZNS1_14partition_implILS5_8ELb0ES3_jPlPS6_PKS6_NS0_5tupleIJS9_S6_EEENSD_IJSA_SA_EEENS0_18inequality_wrapperIZN2at6native12_GLOBAL__N_124unique_dim_cuda_templateIsEESt5tupleIJNSH_6TensorESM_SM_EERKSM_lbbbEUlllE0_EEPmJS6_EEE10hipError_tPvRmT3_T4_T5_T6_T7_T9_mT8_P12ihipStream_tbDpT10_ENKUlT_T0_E_clISt17integral_constantIbLb0EES1B_IbLb1EEEEDaS17_S18_EUlS17_E_NS1_11comp_targetILNS1_3genE4ELNS1_11target_archE910ELNS1_3gpuE8ELNS1_3repE0EEENS1_30default_config_static_selectorELNS0_4arch9wavefront6targetE0EEEvT1_, .Lfunc_end711-_ZN7rocprim17ROCPRIM_400000_NS6detail17trampoline_kernelINS0_14default_configENS1_25partition_config_selectorILNS1_17partition_subalgoE8ElNS0_10empty_typeEbEEZZNS1_14partition_implILS5_8ELb0ES3_jPlPS6_PKS6_NS0_5tupleIJS9_S6_EEENSD_IJSA_SA_EEENS0_18inequality_wrapperIZN2at6native12_GLOBAL__N_124unique_dim_cuda_templateIsEESt5tupleIJNSH_6TensorESM_SM_EERKSM_lbbbEUlllE0_EEPmJS6_EEE10hipError_tPvRmT3_T4_T5_T6_T7_T9_mT8_P12ihipStream_tbDpT10_ENKUlT_T0_E_clISt17integral_constantIbLb0EES1B_IbLb1EEEEDaS17_S18_EUlS17_E_NS1_11comp_targetILNS1_3genE4ELNS1_11target_archE910ELNS1_3gpuE8ELNS1_3repE0EEENS1_30default_config_static_selectorELNS0_4arch9wavefront6targetE0EEEvT1_
                                        ; -- End function
	.set _ZN7rocprim17ROCPRIM_400000_NS6detail17trampoline_kernelINS0_14default_configENS1_25partition_config_selectorILNS1_17partition_subalgoE8ElNS0_10empty_typeEbEEZZNS1_14partition_implILS5_8ELb0ES3_jPlPS6_PKS6_NS0_5tupleIJS9_S6_EEENSD_IJSA_SA_EEENS0_18inequality_wrapperIZN2at6native12_GLOBAL__N_124unique_dim_cuda_templateIsEESt5tupleIJNSH_6TensorESM_SM_EERKSM_lbbbEUlllE0_EEPmJS6_EEE10hipError_tPvRmT3_T4_T5_T6_T7_T9_mT8_P12ihipStream_tbDpT10_ENKUlT_T0_E_clISt17integral_constantIbLb0EES1B_IbLb1EEEEDaS17_S18_EUlS17_E_NS1_11comp_targetILNS1_3genE4ELNS1_11target_archE910ELNS1_3gpuE8ELNS1_3repE0EEENS1_30default_config_static_selectorELNS0_4arch9wavefront6targetE0EEEvT1_.num_vgpr, 0
	.set _ZN7rocprim17ROCPRIM_400000_NS6detail17trampoline_kernelINS0_14default_configENS1_25partition_config_selectorILNS1_17partition_subalgoE8ElNS0_10empty_typeEbEEZZNS1_14partition_implILS5_8ELb0ES3_jPlPS6_PKS6_NS0_5tupleIJS9_S6_EEENSD_IJSA_SA_EEENS0_18inequality_wrapperIZN2at6native12_GLOBAL__N_124unique_dim_cuda_templateIsEESt5tupleIJNSH_6TensorESM_SM_EERKSM_lbbbEUlllE0_EEPmJS6_EEE10hipError_tPvRmT3_T4_T5_T6_T7_T9_mT8_P12ihipStream_tbDpT10_ENKUlT_T0_E_clISt17integral_constantIbLb0EES1B_IbLb1EEEEDaS17_S18_EUlS17_E_NS1_11comp_targetILNS1_3genE4ELNS1_11target_archE910ELNS1_3gpuE8ELNS1_3repE0EEENS1_30default_config_static_selectorELNS0_4arch9wavefront6targetE0EEEvT1_.num_agpr, 0
	.set _ZN7rocprim17ROCPRIM_400000_NS6detail17trampoline_kernelINS0_14default_configENS1_25partition_config_selectorILNS1_17partition_subalgoE8ElNS0_10empty_typeEbEEZZNS1_14partition_implILS5_8ELb0ES3_jPlPS6_PKS6_NS0_5tupleIJS9_S6_EEENSD_IJSA_SA_EEENS0_18inequality_wrapperIZN2at6native12_GLOBAL__N_124unique_dim_cuda_templateIsEESt5tupleIJNSH_6TensorESM_SM_EERKSM_lbbbEUlllE0_EEPmJS6_EEE10hipError_tPvRmT3_T4_T5_T6_T7_T9_mT8_P12ihipStream_tbDpT10_ENKUlT_T0_E_clISt17integral_constantIbLb0EES1B_IbLb1EEEEDaS17_S18_EUlS17_E_NS1_11comp_targetILNS1_3genE4ELNS1_11target_archE910ELNS1_3gpuE8ELNS1_3repE0EEENS1_30default_config_static_selectorELNS0_4arch9wavefront6targetE0EEEvT1_.numbered_sgpr, 0
	.set _ZN7rocprim17ROCPRIM_400000_NS6detail17trampoline_kernelINS0_14default_configENS1_25partition_config_selectorILNS1_17partition_subalgoE8ElNS0_10empty_typeEbEEZZNS1_14partition_implILS5_8ELb0ES3_jPlPS6_PKS6_NS0_5tupleIJS9_S6_EEENSD_IJSA_SA_EEENS0_18inequality_wrapperIZN2at6native12_GLOBAL__N_124unique_dim_cuda_templateIsEESt5tupleIJNSH_6TensorESM_SM_EERKSM_lbbbEUlllE0_EEPmJS6_EEE10hipError_tPvRmT3_T4_T5_T6_T7_T9_mT8_P12ihipStream_tbDpT10_ENKUlT_T0_E_clISt17integral_constantIbLb0EES1B_IbLb1EEEEDaS17_S18_EUlS17_E_NS1_11comp_targetILNS1_3genE4ELNS1_11target_archE910ELNS1_3gpuE8ELNS1_3repE0EEENS1_30default_config_static_selectorELNS0_4arch9wavefront6targetE0EEEvT1_.num_named_barrier, 0
	.set _ZN7rocprim17ROCPRIM_400000_NS6detail17trampoline_kernelINS0_14default_configENS1_25partition_config_selectorILNS1_17partition_subalgoE8ElNS0_10empty_typeEbEEZZNS1_14partition_implILS5_8ELb0ES3_jPlPS6_PKS6_NS0_5tupleIJS9_S6_EEENSD_IJSA_SA_EEENS0_18inequality_wrapperIZN2at6native12_GLOBAL__N_124unique_dim_cuda_templateIsEESt5tupleIJNSH_6TensorESM_SM_EERKSM_lbbbEUlllE0_EEPmJS6_EEE10hipError_tPvRmT3_T4_T5_T6_T7_T9_mT8_P12ihipStream_tbDpT10_ENKUlT_T0_E_clISt17integral_constantIbLb0EES1B_IbLb1EEEEDaS17_S18_EUlS17_E_NS1_11comp_targetILNS1_3genE4ELNS1_11target_archE910ELNS1_3gpuE8ELNS1_3repE0EEENS1_30default_config_static_selectorELNS0_4arch9wavefront6targetE0EEEvT1_.private_seg_size, 0
	.set _ZN7rocprim17ROCPRIM_400000_NS6detail17trampoline_kernelINS0_14default_configENS1_25partition_config_selectorILNS1_17partition_subalgoE8ElNS0_10empty_typeEbEEZZNS1_14partition_implILS5_8ELb0ES3_jPlPS6_PKS6_NS0_5tupleIJS9_S6_EEENSD_IJSA_SA_EEENS0_18inequality_wrapperIZN2at6native12_GLOBAL__N_124unique_dim_cuda_templateIsEESt5tupleIJNSH_6TensorESM_SM_EERKSM_lbbbEUlllE0_EEPmJS6_EEE10hipError_tPvRmT3_T4_T5_T6_T7_T9_mT8_P12ihipStream_tbDpT10_ENKUlT_T0_E_clISt17integral_constantIbLb0EES1B_IbLb1EEEEDaS17_S18_EUlS17_E_NS1_11comp_targetILNS1_3genE4ELNS1_11target_archE910ELNS1_3gpuE8ELNS1_3repE0EEENS1_30default_config_static_selectorELNS0_4arch9wavefront6targetE0EEEvT1_.uses_vcc, 0
	.set _ZN7rocprim17ROCPRIM_400000_NS6detail17trampoline_kernelINS0_14default_configENS1_25partition_config_selectorILNS1_17partition_subalgoE8ElNS0_10empty_typeEbEEZZNS1_14partition_implILS5_8ELb0ES3_jPlPS6_PKS6_NS0_5tupleIJS9_S6_EEENSD_IJSA_SA_EEENS0_18inequality_wrapperIZN2at6native12_GLOBAL__N_124unique_dim_cuda_templateIsEESt5tupleIJNSH_6TensorESM_SM_EERKSM_lbbbEUlllE0_EEPmJS6_EEE10hipError_tPvRmT3_T4_T5_T6_T7_T9_mT8_P12ihipStream_tbDpT10_ENKUlT_T0_E_clISt17integral_constantIbLb0EES1B_IbLb1EEEEDaS17_S18_EUlS17_E_NS1_11comp_targetILNS1_3genE4ELNS1_11target_archE910ELNS1_3gpuE8ELNS1_3repE0EEENS1_30default_config_static_selectorELNS0_4arch9wavefront6targetE0EEEvT1_.uses_flat_scratch, 0
	.set _ZN7rocprim17ROCPRIM_400000_NS6detail17trampoline_kernelINS0_14default_configENS1_25partition_config_selectorILNS1_17partition_subalgoE8ElNS0_10empty_typeEbEEZZNS1_14partition_implILS5_8ELb0ES3_jPlPS6_PKS6_NS0_5tupleIJS9_S6_EEENSD_IJSA_SA_EEENS0_18inequality_wrapperIZN2at6native12_GLOBAL__N_124unique_dim_cuda_templateIsEESt5tupleIJNSH_6TensorESM_SM_EERKSM_lbbbEUlllE0_EEPmJS6_EEE10hipError_tPvRmT3_T4_T5_T6_T7_T9_mT8_P12ihipStream_tbDpT10_ENKUlT_T0_E_clISt17integral_constantIbLb0EES1B_IbLb1EEEEDaS17_S18_EUlS17_E_NS1_11comp_targetILNS1_3genE4ELNS1_11target_archE910ELNS1_3gpuE8ELNS1_3repE0EEENS1_30default_config_static_selectorELNS0_4arch9wavefront6targetE0EEEvT1_.has_dyn_sized_stack, 0
	.set _ZN7rocprim17ROCPRIM_400000_NS6detail17trampoline_kernelINS0_14default_configENS1_25partition_config_selectorILNS1_17partition_subalgoE8ElNS0_10empty_typeEbEEZZNS1_14partition_implILS5_8ELb0ES3_jPlPS6_PKS6_NS0_5tupleIJS9_S6_EEENSD_IJSA_SA_EEENS0_18inequality_wrapperIZN2at6native12_GLOBAL__N_124unique_dim_cuda_templateIsEESt5tupleIJNSH_6TensorESM_SM_EERKSM_lbbbEUlllE0_EEPmJS6_EEE10hipError_tPvRmT3_T4_T5_T6_T7_T9_mT8_P12ihipStream_tbDpT10_ENKUlT_T0_E_clISt17integral_constantIbLb0EES1B_IbLb1EEEEDaS17_S18_EUlS17_E_NS1_11comp_targetILNS1_3genE4ELNS1_11target_archE910ELNS1_3gpuE8ELNS1_3repE0EEENS1_30default_config_static_selectorELNS0_4arch9wavefront6targetE0EEEvT1_.has_recursion, 0
	.set _ZN7rocprim17ROCPRIM_400000_NS6detail17trampoline_kernelINS0_14default_configENS1_25partition_config_selectorILNS1_17partition_subalgoE8ElNS0_10empty_typeEbEEZZNS1_14partition_implILS5_8ELb0ES3_jPlPS6_PKS6_NS0_5tupleIJS9_S6_EEENSD_IJSA_SA_EEENS0_18inequality_wrapperIZN2at6native12_GLOBAL__N_124unique_dim_cuda_templateIsEESt5tupleIJNSH_6TensorESM_SM_EERKSM_lbbbEUlllE0_EEPmJS6_EEE10hipError_tPvRmT3_T4_T5_T6_T7_T9_mT8_P12ihipStream_tbDpT10_ENKUlT_T0_E_clISt17integral_constantIbLb0EES1B_IbLb1EEEEDaS17_S18_EUlS17_E_NS1_11comp_targetILNS1_3genE4ELNS1_11target_archE910ELNS1_3gpuE8ELNS1_3repE0EEENS1_30default_config_static_selectorELNS0_4arch9wavefront6targetE0EEEvT1_.has_indirect_call, 0
	.section	.AMDGPU.csdata,"",@progbits
; Kernel info:
; codeLenInByte = 0
; TotalNumSgprs: 0
; NumVgprs: 0
; ScratchSize: 0
; MemoryBound: 0
; FloatMode: 240
; IeeeMode: 1
; LDSByteSize: 0 bytes/workgroup (compile time only)
; SGPRBlocks: 0
; VGPRBlocks: 0
; NumSGPRsForWavesPerEU: 1
; NumVGPRsForWavesPerEU: 1
; NamedBarCnt: 0
; Occupancy: 16
; WaveLimiterHint : 0
; COMPUTE_PGM_RSRC2:SCRATCH_EN: 0
; COMPUTE_PGM_RSRC2:USER_SGPR: 2
; COMPUTE_PGM_RSRC2:TRAP_HANDLER: 0
; COMPUTE_PGM_RSRC2:TGID_X_EN: 1
; COMPUTE_PGM_RSRC2:TGID_Y_EN: 0
; COMPUTE_PGM_RSRC2:TGID_Z_EN: 0
; COMPUTE_PGM_RSRC2:TIDIG_COMP_CNT: 0
	.section	.text._ZN7rocprim17ROCPRIM_400000_NS6detail17trampoline_kernelINS0_14default_configENS1_25partition_config_selectorILNS1_17partition_subalgoE8ElNS0_10empty_typeEbEEZZNS1_14partition_implILS5_8ELb0ES3_jPlPS6_PKS6_NS0_5tupleIJS9_S6_EEENSD_IJSA_SA_EEENS0_18inequality_wrapperIZN2at6native12_GLOBAL__N_124unique_dim_cuda_templateIsEESt5tupleIJNSH_6TensorESM_SM_EERKSM_lbbbEUlllE0_EEPmJS6_EEE10hipError_tPvRmT3_T4_T5_T6_T7_T9_mT8_P12ihipStream_tbDpT10_ENKUlT_T0_E_clISt17integral_constantIbLb0EES1B_IbLb1EEEEDaS17_S18_EUlS17_E_NS1_11comp_targetILNS1_3genE3ELNS1_11target_archE908ELNS1_3gpuE7ELNS1_3repE0EEENS1_30default_config_static_selectorELNS0_4arch9wavefront6targetE0EEEvT1_,"axG",@progbits,_ZN7rocprim17ROCPRIM_400000_NS6detail17trampoline_kernelINS0_14default_configENS1_25partition_config_selectorILNS1_17partition_subalgoE8ElNS0_10empty_typeEbEEZZNS1_14partition_implILS5_8ELb0ES3_jPlPS6_PKS6_NS0_5tupleIJS9_S6_EEENSD_IJSA_SA_EEENS0_18inequality_wrapperIZN2at6native12_GLOBAL__N_124unique_dim_cuda_templateIsEESt5tupleIJNSH_6TensorESM_SM_EERKSM_lbbbEUlllE0_EEPmJS6_EEE10hipError_tPvRmT3_T4_T5_T6_T7_T9_mT8_P12ihipStream_tbDpT10_ENKUlT_T0_E_clISt17integral_constantIbLb0EES1B_IbLb1EEEEDaS17_S18_EUlS17_E_NS1_11comp_targetILNS1_3genE3ELNS1_11target_archE908ELNS1_3gpuE7ELNS1_3repE0EEENS1_30default_config_static_selectorELNS0_4arch9wavefront6targetE0EEEvT1_,comdat
	.globl	_ZN7rocprim17ROCPRIM_400000_NS6detail17trampoline_kernelINS0_14default_configENS1_25partition_config_selectorILNS1_17partition_subalgoE8ElNS0_10empty_typeEbEEZZNS1_14partition_implILS5_8ELb0ES3_jPlPS6_PKS6_NS0_5tupleIJS9_S6_EEENSD_IJSA_SA_EEENS0_18inequality_wrapperIZN2at6native12_GLOBAL__N_124unique_dim_cuda_templateIsEESt5tupleIJNSH_6TensorESM_SM_EERKSM_lbbbEUlllE0_EEPmJS6_EEE10hipError_tPvRmT3_T4_T5_T6_T7_T9_mT8_P12ihipStream_tbDpT10_ENKUlT_T0_E_clISt17integral_constantIbLb0EES1B_IbLb1EEEEDaS17_S18_EUlS17_E_NS1_11comp_targetILNS1_3genE3ELNS1_11target_archE908ELNS1_3gpuE7ELNS1_3repE0EEENS1_30default_config_static_selectorELNS0_4arch9wavefront6targetE0EEEvT1_ ; -- Begin function _ZN7rocprim17ROCPRIM_400000_NS6detail17trampoline_kernelINS0_14default_configENS1_25partition_config_selectorILNS1_17partition_subalgoE8ElNS0_10empty_typeEbEEZZNS1_14partition_implILS5_8ELb0ES3_jPlPS6_PKS6_NS0_5tupleIJS9_S6_EEENSD_IJSA_SA_EEENS0_18inequality_wrapperIZN2at6native12_GLOBAL__N_124unique_dim_cuda_templateIsEESt5tupleIJNSH_6TensorESM_SM_EERKSM_lbbbEUlllE0_EEPmJS6_EEE10hipError_tPvRmT3_T4_T5_T6_T7_T9_mT8_P12ihipStream_tbDpT10_ENKUlT_T0_E_clISt17integral_constantIbLb0EES1B_IbLb1EEEEDaS17_S18_EUlS17_E_NS1_11comp_targetILNS1_3genE3ELNS1_11target_archE908ELNS1_3gpuE7ELNS1_3repE0EEENS1_30default_config_static_selectorELNS0_4arch9wavefront6targetE0EEEvT1_
	.p2align	8
	.type	_ZN7rocprim17ROCPRIM_400000_NS6detail17trampoline_kernelINS0_14default_configENS1_25partition_config_selectorILNS1_17partition_subalgoE8ElNS0_10empty_typeEbEEZZNS1_14partition_implILS5_8ELb0ES3_jPlPS6_PKS6_NS0_5tupleIJS9_S6_EEENSD_IJSA_SA_EEENS0_18inequality_wrapperIZN2at6native12_GLOBAL__N_124unique_dim_cuda_templateIsEESt5tupleIJNSH_6TensorESM_SM_EERKSM_lbbbEUlllE0_EEPmJS6_EEE10hipError_tPvRmT3_T4_T5_T6_T7_T9_mT8_P12ihipStream_tbDpT10_ENKUlT_T0_E_clISt17integral_constantIbLb0EES1B_IbLb1EEEEDaS17_S18_EUlS17_E_NS1_11comp_targetILNS1_3genE3ELNS1_11target_archE908ELNS1_3gpuE7ELNS1_3repE0EEENS1_30default_config_static_selectorELNS0_4arch9wavefront6targetE0EEEvT1_,@function
_ZN7rocprim17ROCPRIM_400000_NS6detail17trampoline_kernelINS0_14default_configENS1_25partition_config_selectorILNS1_17partition_subalgoE8ElNS0_10empty_typeEbEEZZNS1_14partition_implILS5_8ELb0ES3_jPlPS6_PKS6_NS0_5tupleIJS9_S6_EEENSD_IJSA_SA_EEENS0_18inequality_wrapperIZN2at6native12_GLOBAL__N_124unique_dim_cuda_templateIsEESt5tupleIJNSH_6TensorESM_SM_EERKSM_lbbbEUlllE0_EEPmJS6_EEE10hipError_tPvRmT3_T4_T5_T6_T7_T9_mT8_P12ihipStream_tbDpT10_ENKUlT_T0_E_clISt17integral_constantIbLb0EES1B_IbLb1EEEEDaS17_S18_EUlS17_E_NS1_11comp_targetILNS1_3genE3ELNS1_11target_archE908ELNS1_3gpuE7ELNS1_3repE0EEENS1_30default_config_static_selectorELNS0_4arch9wavefront6targetE0EEEvT1_: ; @_ZN7rocprim17ROCPRIM_400000_NS6detail17trampoline_kernelINS0_14default_configENS1_25partition_config_selectorILNS1_17partition_subalgoE8ElNS0_10empty_typeEbEEZZNS1_14partition_implILS5_8ELb0ES3_jPlPS6_PKS6_NS0_5tupleIJS9_S6_EEENSD_IJSA_SA_EEENS0_18inequality_wrapperIZN2at6native12_GLOBAL__N_124unique_dim_cuda_templateIsEESt5tupleIJNSH_6TensorESM_SM_EERKSM_lbbbEUlllE0_EEPmJS6_EEE10hipError_tPvRmT3_T4_T5_T6_T7_T9_mT8_P12ihipStream_tbDpT10_ENKUlT_T0_E_clISt17integral_constantIbLb0EES1B_IbLb1EEEEDaS17_S18_EUlS17_E_NS1_11comp_targetILNS1_3genE3ELNS1_11target_archE908ELNS1_3gpuE7ELNS1_3repE0EEENS1_30default_config_static_selectorELNS0_4arch9wavefront6targetE0EEEvT1_
; %bb.0:
	.section	.rodata,"a",@progbits
	.p2align	6, 0x0
	.amdhsa_kernel _ZN7rocprim17ROCPRIM_400000_NS6detail17trampoline_kernelINS0_14default_configENS1_25partition_config_selectorILNS1_17partition_subalgoE8ElNS0_10empty_typeEbEEZZNS1_14partition_implILS5_8ELb0ES3_jPlPS6_PKS6_NS0_5tupleIJS9_S6_EEENSD_IJSA_SA_EEENS0_18inequality_wrapperIZN2at6native12_GLOBAL__N_124unique_dim_cuda_templateIsEESt5tupleIJNSH_6TensorESM_SM_EERKSM_lbbbEUlllE0_EEPmJS6_EEE10hipError_tPvRmT3_T4_T5_T6_T7_T9_mT8_P12ihipStream_tbDpT10_ENKUlT_T0_E_clISt17integral_constantIbLb0EES1B_IbLb1EEEEDaS17_S18_EUlS17_E_NS1_11comp_targetILNS1_3genE3ELNS1_11target_archE908ELNS1_3gpuE7ELNS1_3repE0EEENS1_30default_config_static_selectorELNS0_4arch9wavefront6targetE0EEEvT1_
		.amdhsa_group_segment_fixed_size 0
		.amdhsa_private_segment_fixed_size 0
		.amdhsa_kernarg_size 136
		.amdhsa_user_sgpr_count 2
		.amdhsa_user_sgpr_dispatch_ptr 0
		.amdhsa_user_sgpr_queue_ptr 0
		.amdhsa_user_sgpr_kernarg_segment_ptr 1
		.amdhsa_user_sgpr_dispatch_id 0
		.amdhsa_user_sgpr_kernarg_preload_length 0
		.amdhsa_user_sgpr_kernarg_preload_offset 0
		.amdhsa_user_sgpr_private_segment_size 0
		.amdhsa_wavefront_size32 1
		.amdhsa_uses_dynamic_stack 0
		.amdhsa_enable_private_segment 0
		.amdhsa_system_sgpr_workgroup_id_x 1
		.amdhsa_system_sgpr_workgroup_id_y 0
		.amdhsa_system_sgpr_workgroup_id_z 0
		.amdhsa_system_sgpr_workgroup_info 0
		.amdhsa_system_vgpr_workitem_id 0
		.amdhsa_next_free_vgpr 1
		.amdhsa_next_free_sgpr 1
		.amdhsa_named_barrier_count 0
		.amdhsa_reserve_vcc 0
		.amdhsa_float_round_mode_32 0
		.amdhsa_float_round_mode_16_64 0
		.amdhsa_float_denorm_mode_32 3
		.amdhsa_float_denorm_mode_16_64 3
		.amdhsa_fp16_overflow 0
		.amdhsa_memory_ordered 1
		.amdhsa_forward_progress 1
		.amdhsa_inst_pref_size 0
		.amdhsa_round_robin_scheduling 0
		.amdhsa_exception_fp_ieee_invalid_op 0
		.amdhsa_exception_fp_denorm_src 0
		.amdhsa_exception_fp_ieee_div_zero 0
		.amdhsa_exception_fp_ieee_overflow 0
		.amdhsa_exception_fp_ieee_underflow 0
		.amdhsa_exception_fp_ieee_inexact 0
		.amdhsa_exception_int_div_zero 0
	.end_amdhsa_kernel
	.section	.text._ZN7rocprim17ROCPRIM_400000_NS6detail17trampoline_kernelINS0_14default_configENS1_25partition_config_selectorILNS1_17partition_subalgoE8ElNS0_10empty_typeEbEEZZNS1_14partition_implILS5_8ELb0ES3_jPlPS6_PKS6_NS0_5tupleIJS9_S6_EEENSD_IJSA_SA_EEENS0_18inequality_wrapperIZN2at6native12_GLOBAL__N_124unique_dim_cuda_templateIsEESt5tupleIJNSH_6TensorESM_SM_EERKSM_lbbbEUlllE0_EEPmJS6_EEE10hipError_tPvRmT3_T4_T5_T6_T7_T9_mT8_P12ihipStream_tbDpT10_ENKUlT_T0_E_clISt17integral_constantIbLb0EES1B_IbLb1EEEEDaS17_S18_EUlS17_E_NS1_11comp_targetILNS1_3genE3ELNS1_11target_archE908ELNS1_3gpuE7ELNS1_3repE0EEENS1_30default_config_static_selectorELNS0_4arch9wavefront6targetE0EEEvT1_,"axG",@progbits,_ZN7rocprim17ROCPRIM_400000_NS6detail17trampoline_kernelINS0_14default_configENS1_25partition_config_selectorILNS1_17partition_subalgoE8ElNS0_10empty_typeEbEEZZNS1_14partition_implILS5_8ELb0ES3_jPlPS6_PKS6_NS0_5tupleIJS9_S6_EEENSD_IJSA_SA_EEENS0_18inequality_wrapperIZN2at6native12_GLOBAL__N_124unique_dim_cuda_templateIsEESt5tupleIJNSH_6TensorESM_SM_EERKSM_lbbbEUlllE0_EEPmJS6_EEE10hipError_tPvRmT3_T4_T5_T6_T7_T9_mT8_P12ihipStream_tbDpT10_ENKUlT_T0_E_clISt17integral_constantIbLb0EES1B_IbLb1EEEEDaS17_S18_EUlS17_E_NS1_11comp_targetILNS1_3genE3ELNS1_11target_archE908ELNS1_3gpuE7ELNS1_3repE0EEENS1_30default_config_static_selectorELNS0_4arch9wavefront6targetE0EEEvT1_,comdat
.Lfunc_end712:
	.size	_ZN7rocprim17ROCPRIM_400000_NS6detail17trampoline_kernelINS0_14default_configENS1_25partition_config_selectorILNS1_17partition_subalgoE8ElNS0_10empty_typeEbEEZZNS1_14partition_implILS5_8ELb0ES3_jPlPS6_PKS6_NS0_5tupleIJS9_S6_EEENSD_IJSA_SA_EEENS0_18inequality_wrapperIZN2at6native12_GLOBAL__N_124unique_dim_cuda_templateIsEESt5tupleIJNSH_6TensorESM_SM_EERKSM_lbbbEUlllE0_EEPmJS6_EEE10hipError_tPvRmT3_T4_T5_T6_T7_T9_mT8_P12ihipStream_tbDpT10_ENKUlT_T0_E_clISt17integral_constantIbLb0EES1B_IbLb1EEEEDaS17_S18_EUlS17_E_NS1_11comp_targetILNS1_3genE3ELNS1_11target_archE908ELNS1_3gpuE7ELNS1_3repE0EEENS1_30default_config_static_selectorELNS0_4arch9wavefront6targetE0EEEvT1_, .Lfunc_end712-_ZN7rocprim17ROCPRIM_400000_NS6detail17trampoline_kernelINS0_14default_configENS1_25partition_config_selectorILNS1_17partition_subalgoE8ElNS0_10empty_typeEbEEZZNS1_14partition_implILS5_8ELb0ES3_jPlPS6_PKS6_NS0_5tupleIJS9_S6_EEENSD_IJSA_SA_EEENS0_18inequality_wrapperIZN2at6native12_GLOBAL__N_124unique_dim_cuda_templateIsEESt5tupleIJNSH_6TensorESM_SM_EERKSM_lbbbEUlllE0_EEPmJS6_EEE10hipError_tPvRmT3_T4_T5_T6_T7_T9_mT8_P12ihipStream_tbDpT10_ENKUlT_T0_E_clISt17integral_constantIbLb0EES1B_IbLb1EEEEDaS17_S18_EUlS17_E_NS1_11comp_targetILNS1_3genE3ELNS1_11target_archE908ELNS1_3gpuE7ELNS1_3repE0EEENS1_30default_config_static_selectorELNS0_4arch9wavefront6targetE0EEEvT1_
                                        ; -- End function
	.set _ZN7rocprim17ROCPRIM_400000_NS6detail17trampoline_kernelINS0_14default_configENS1_25partition_config_selectorILNS1_17partition_subalgoE8ElNS0_10empty_typeEbEEZZNS1_14partition_implILS5_8ELb0ES3_jPlPS6_PKS6_NS0_5tupleIJS9_S6_EEENSD_IJSA_SA_EEENS0_18inequality_wrapperIZN2at6native12_GLOBAL__N_124unique_dim_cuda_templateIsEESt5tupleIJNSH_6TensorESM_SM_EERKSM_lbbbEUlllE0_EEPmJS6_EEE10hipError_tPvRmT3_T4_T5_T6_T7_T9_mT8_P12ihipStream_tbDpT10_ENKUlT_T0_E_clISt17integral_constantIbLb0EES1B_IbLb1EEEEDaS17_S18_EUlS17_E_NS1_11comp_targetILNS1_3genE3ELNS1_11target_archE908ELNS1_3gpuE7ELNS1_3repE0EEENS1_30default_config_static_selectorELNS0_4arch9wavefront6targetE0EEEvT1_.num_vgpr, 0
	.set _ZN7rocprim17ROCPRIM_400000_NS6detail17trampoline_kernelINS0_14default_configENS1_25partition_config_selectorILNS1_17partition_subalgoE8ElNS0_10empty_typeEbEEZZNS1_14partition_implILS5_8ELb0ES3_jPlPS6_PKS6_NS0_5tupleIJS9_S6_EEENSD_IJSA_SA_EEENS0_18inequality_wrapperIZN2at6native12_GLOBAL__N_124unique_dim_cuda_templateIsEESt5tupleIJNSH_6TensorESM_SM_EERKSM_lbbbEUlllE0_EEPmJS6_EEE10hipError_tPvRmT3_T4_T5_T6_T7_T9_mT8_P12ihipStream_tbDpT10_ENKUlT_T0_E_clISt17integral_constantIbLb0EES1B_IbLb1EEEEDaS17_S18_EUlS17_E_NS1_11comp_targetILNS1_3genE3ELNS1_11target_archE908ELNS1_3gpuE7ELNS1_3repE0EEENS1_30default_config_static_selectorELNS0_4arch9wavefront6targetE0EEEvT1_.num_agpr, 0
	.set _ZN7rocprim17ROCPRIM_400000_NS6detail17trampoline_kernelINS0_14default_configENS1_25partition_config_selectorILNS1_17partition_subalgoE8ElNS0_10empty_typeEbEEZZNS1_14partition_implILS5_8ELb0ES3_jPlPS6_PKS6_NS0_5tupleIJS9_S6_EEENSD_IJSA_SA_EEENS0_18inequality_wrapperIZN2at6native12_GLOBAL__N_124unique_dim_cuda_templateIsEESt5tupleIJNSH_6TensorESM_SM_EERKSM_lbbbEUlllE0_EEPmJS6_EEE10hipError_tPvRmT3_T4_T5_T6_T7_T9_mT8_P12ihipStream_tbDpT10_ENKUlT_T0_E_clISt17integral_constantIbLb0EES1B_IbLb1EEEEDaS17_S18_EUlS17_E_NS1_11comp_targetILNS1_3genE3ELNS1_11target_archE908ELNS1_3gpuE7ELNS1_3repE0EEENS1_30default_config_static_selectorELNS0_4arch9wavefront6targetE0EEEvT1_.numbered_sgpr, 0
	.set _ZN7rocprim17ROCPRIM_400000_NS6detail17trampoline_kernelINS0_14default_configENS1_25partition_config_selectorILNS1_17partition_subalgoE8ElNS0_10empty_typeEbEEZZNS1_14partition_implILS5_8ELb0ES3_jPlPS6_PKS6_NS0_5tupleIJS9_S6_EEENSD_IJSA_SA_EEENS0_18inequality_wrapperIZN2at6native12_GLOBAL__N_124unique_dim_cuda_templateIsEESt5tupleIJNSH_6TensorESM_SM_EERKSM_lbbbEUlllE0_EEPmJS6_EEE10hipError_tPvRmT3_T4_T5_T6_T7_T9_mT8_P12ihipStream_tbDpT10_ENKUlT_T0_E_clISt17integral_constantIbLb0EES1B_IbLb1EEEEDaS17_S18_EUlS17_E_NS1_11comp_targetILNS1_3genE3ELNS1_11target_archE908ELNS1_3gpuE7ELNS1_3repE0EEENS1_30default_config_static_selectorELNS0_4arch9wavefront6targetE0EEEvT1_.num_named_barrier, 0
	.set _ZN7rocprim17ROCPRIM_400000_NS6detail17trampoline_kernelINS0_14default_configENS1_25partition_config_selectorILNS1_17partition_subalgoE8ElNS0_10empty_typeEbEEZZNS1_14partition_implILS5_8ELb0ES3_jPlPS6_PKS6_NS0_5tupleIJS9_S6_EEENSD_IJSA_SA_EEENS0_18inequality_wrapperIZN2at6native12_GLOBAL__N_124unique_dim_cuda_templateIsEESt5tupleIJNSH_6TensorESM_SM_EERKSM_lbbbEUlllE0_EEPmJS6_EEE10hipError_tPvRmT3_T4_T5_T6_T7_T9_mT8_P12ihipStream_tbDpT10_ENKUlT_T0_E_clISt17integral_constantIbLb0EES1B_IbLb1EEEEDaS17_S18_EUlS17_E_NS1_11comp_targetILNS1_3genE3ELNS1_11target_archE908ELNS1_3gpuE7ELNS1_3repE0EEENS1_30default_config_static_selectorELNS0_4arch9wavefront6targetE0EEEvT1_.private_seg_size, 0
	.set _ZN7rocprim17ROCPRIM_400000_NS6detail17trampoline_kernelINS0_14default_configENS1_25partition_config_selectorILNS1_17partition_subalgoE8ElNS0_10empty_typeEbEEZZNS1_14partition_implILS5_8ELb0ES3_jPlPS6_PKS6_NS0_5tupleIJS9_S6_EEENSD_IJSA_SA_EEENS0_18inequality_wrapperIZN2at6native12_GLOBAL__N_124unique_dim_cuda_templateIsEESt5tupleIJNSH_6TensorESM_SM_EERKSM_lbbbEUlllE0_EEPmJS6_EEE10hipError_tPvRmT3_T4_T5_T6_T7_T9_mT8_P12ihipStream_tbDpT10_ENKUlT_T0_E_clISt17integral_constantIbLb0EES1B_IbLb1EEEEDaS17_S18_EUlS17_E_NS1_11comp_targetILNS1_3genE3ELNS1_11target_archE908ELNS1_3gpuE7ELNS1_3repE0EEENS1_30default_config_static_selectorELNS0_4arch9wavefront6targetE0EEEvT1_.uses_vcc, 0
	.set _ZN7rocprim17ROCPRIM_400000_NS6detail17trampoline_kernelINS0_14default_configENS1_25partition_config_selectorILNS1_17partition_subalgoE8ElNS0_10empty_typeEbEEZZNS1_14partition_implILS5_8ELb0ES3_jPlPS6_PKS6_NS0_5tupleIJS9_S6_EEENSD_IJSA_SA_EEENS0_18inequality_wrapperIZN2at6native12_GLOBAL__N_124unique_dim_cuda_templateIsEESt5tupleIJNSH_6TensorESM_SM_EERKSM_lbbbEUlllE0_EEPmJS6_EEE10hipError_tPvRmT3_T4_T5_T6_T7_T9_mT8_P12ihipStream_tbDpT10_ENKUlT_T0_E_clISt17integral_constantIbLb0EES1B_IbLb1EEEEDaS17_S18_EUlS17_E_NS1_11comp_targetILNS1_3genE3ELNS1_11target_archE908ELNS1_3gpuE7ELNS1_3repE0EEENS1_30default_config_static_selectorELNS0_4arch9wavefront6targetE0EEEvT1_.uses_flat_scratch, 0
	.set _ZN7rocprim17ROCPRIM_400000_NS6detail17trampoline_kernelINS0_14default_configENS1_25partition_config_selectorILNS1_17partition_subalgoE8ElNS0_10empty_typeEbEEZZNS1_14partition_implILS5_8ELb0ES3_jPlPS6_PKS6_NS0_5tupleIJS9_S6_EEENSD_IJSA_SA_EEENS0_18inequality_wrapperIZN2at6native12_GLOBAL__N_124unique_dim_cuda_templateIsEESt5tupleIJNSH_6TensorESM_SM_EERKSM_lbbbEUlllE0_EEPmJS6_EEE10hipError_tPvRmT3_T4_T5_T6_T7_T9_mT8_P12ihipStream_tbDpT10_ENKUlT_T0_E_clISt17integral_constantIbLb0EES1B_IbLb1EEEEDaS17_S18_EUlS17_E_NS1_11comp_targetILNS1_3genE3ELNS1_11target_archE908ELNS1_3gpuE7ELNS1_3repE0EEENS1_30default_config_static_selectorELNS0_4arch9wavefront6targetE0EEEvT1_.has_dyn_sized_stack, 0
	.set _ZN7rocprim17ROCPRIM_400000_NS6detail17trampoline_kernelINS0_14default_configENS1_25partition_config_selectorILNS1_17partition_subalgoE8ElNS0_10empty_typeEbEEZZNS1_14partition_implILS5_8ELb0ES3_jPlPS6_PKS6_NS0_5tupleIJS9_S6_EEENSD_IJSA_SA_EEENS0_18inequality_wrapperIZN2at6native12_GLOBAL__N_124unique_dim_cuda_templateIsEESt5tupleIJNSH_6TensorESM_SM_EERKSM_lbbbEUlllE0_EEPmJS6_EEE10hipError_tPvRmT3_T4_T5_T6_T7_T9_mT8_P12ihipStream_tbDpT10_ENKUlT_T0_E_clISt17integral_constantIbLb0EES1B_IbLb1EEEEDaS17_S18_EUlS17_E_NS1_11comp_targetILNS1_3genE3ELNS1_11target_archE908ELNS1_3gpuE7ELNS1_3repE0EEENS1_30default_config_static_selectorELNS0_4arch9wavefront6targetE0EEEvT1_.has_recursion, 0
	.set _ZN7rocprim17ROCPRIM_400000_NS6detail17trampoline_kernelINS0_14default_configENS1_25partition_config_selectorILNS1_17partition_subalgoE8ElNS0_10empty_typeEbEEZZNS1_14partition_implILS5_8ELb0ES3_jPlPS6_PKS6_NS0_5tupleIJS9_S6_EEENSD_IJSA_SA_EEENS0_18inequality_wrapperIZN2at6native12_GLOBAL__N_124unique_dim_cuda_templateIsEESt5tupleIJNSH_6TensorESM_SM_EERKSM_lbbbEUlllE0_EEPmJS6_EEE10hipError_tPvRmT3_T4_T5_T6_T7_T9_mT8_P12ihipStream_tbDpT10_ENKUlT_T0_E_clISt17integral_constantIbLb0EES1B_IbLb1EEEEDaS17_S18_EUlS17_E_NS1_11comp_targetILNS1_3genE3ELNS1_11target_archE908ELNS1_3gpuE7ELNS1_3repE0EEENS1_30default_config_static_selectorELNS0_4arch9wavefront6targetE0EEEvT1_.has_indirect_call, 0
	.section	.AMDGPU.csdata,"",@progbits
; Kernel info:
; codeLenInByte = 0
; TotalNumSgprs: 0
; NumVgprs: 0
; ScratchSize: 0
; MemoryBound: 0
; FloatMode: 240
; IeeeMode: 1
; LDSByteSize: 0 bytes/workgroup (compile time only)
; SGPRBlocks: 0
; VGPRBlocks: 0
; NumSGPRsForWavesPerEU: 1
; NumVGPRsForWavesPerEU: 1
; NamedBarCnt: 0
; Occupancy: 16
; WaveLimiterHint : 0
; COMPUTE_PGM_RSRC2:SCRATCH_EN: 0
; COMPUTE_PGM_RSRC2:USER_SGPR: 2
; COMPUTE_PGM_RSRC2:TRAP_HANDLER: 0
; COMPUTE_PGM_RSRC2:TGID_X_EN: 1
; COMPUTE_PGM_RSRC2:TGID_Y_EN: 0
; COMPUTE_PGM_RSRC2:TGID_Z_EN: 0
; COMPUTE_PGM_RSRC2:TIDIG_COMP_CNT: 0
	.section	.text._ZN7rocprim17ROCPRIM_400000_NS6detail17trampoline_kernelINS0_14default_configENS1_25partition_config_selectorILNS1_17partition_subalgoE8ElNS0_10empty_typeEbEEZZNS1_14partition_implILS5_8ELb0ES3_jPlPS6_PKS6_NS0_5tupleIJS9_S6_EEENSD_IJSA_SA_EEENS0_18inequality_wrapperIZN2at6native12_GLOBAL__N_124unique_dim_cuda_templateIsEESt5tupleIJNSH_6TensorESM_SM_EERKSM_lbbbEUlllE0_EEPmJS6_EEE10hipError_tPvRmT3_T4_T5_T6_T7_T9_mT8_P12ihipStream_tbDpT10_ENKUlT_T0_E_clISt17integral_constantIbLb0EES1B_IbLb1EEEEDaS17_S18_EUlS17_E_NS1_11comp_targetILNS1_3genE2ELNS1_11target_archE906ELNS1_3gpuE6ELNS1_3repE0EEENS1_30default_config_static_selectorELNS0_4arch9wavefront6targetE0EEEvT1_,"axG",@progbits,_ZN7rocprim17ROCPRIM_400000_NS6detail17trampoline_kernelINS0_14default_configENS1_25partition_config_selectorILNS1_17partition_subalgoE8ElNS0_10empty_typeEbEEZZNS1_14partition_implILS5_8ELb0ES3_jPlPS6_PKS6_NS0_5tupleIJS9_S6_EEENSD_IJSA_SA_EEENS0_18inequality_wrapperIZN2at6native12_GLOBAL__N_124unique_dim_cuda_templateIsEESt5tupleIJNSH_6TensorESM_SM_EERKSM_lbbbEUlllE0_EEPmJS6_EEE10hipError_tPvRmT3_T4_T5_T6_T7_T9_mT8_P12ihipStream_tbDpT10_ENKUlT_T0_E_clISt17integral_constantIbLb0EES1B_IbLb1EEEEDaS17_S18_EUlS17_E_NS1_11comp_targetILNS1_3genE2ELNS1_11target_archE906ELNS1_3gpuE6ELNS1_3repE0EEENS1_30default_config_static_selectorELNS0_4arch9wavefront6targetE0EEEvT1_,comdat
	.globl	_ZN7rocprim17ROCPRIM_400000_NS6detail17trampoline_kernelINS0_14default_configENS1_25partition_config_selectorILNS1_17partition_subalgoE8ElNS0_10empty_typeEbEEZZNS1_14partition_implILS5_8ELb0ES3_jPlPS6_PKS6_NS0_5tupleIJS9_S6_EEENSD_IJSA_SA_EEENS0_18inequality_wrapperIZN2at6native12_GLOBAL__N_124unique_dim_cuda_templateIsEESt5tupleIJNSH_6TensorESM_SM_EERKSM_lbbbEUlllE0_EEPmJS6_EEE10hipError_tPvRmT3_T4_T5_T6_T7_T9_mT8_P12ihipStream_tbDpT10_ENKUlT_T0_E_clISt17integral_constantIbLb0EES1B_IbLb1EEEEDaS17_S18_EUlS17_E_NS1_11comp_targetILNS1_3genE2ELNS1_11target_archE906ELNS1_3gpuE6ELNS1_3repE0EEENS1_30default_config_static_selectorELNS0_4arch9wavefront6targetE0EEEvT1_ ; -- Begin function _ZN7rocprim17ROCPRIM_400000_NS6detail17trampoline_kernelINS0_14default_configENS1_25partition_config_selectorILNS1_17partition_subalgoE8ElNS0_10empty_typeEbEEZZNS1_14partition_implILS5_8ELb0ES3_jPlPS6_PKS6_NS0_5tupleIJS9_S6_EEENSD_IJSA_SA_EEENS0_18inequality_wrapperIZN2at6native12_GLOBAL__N_124unique_dim_cuda_templateIsEESt5tupleIJNSH_6TensorESM_SM_EERKSM_lbbbEUlllE0_EEPmJS6_EEE10hipError_tPvRmT3_T4_T5_T6_T7_T9_mT8_P12ihipStream_tbDpT10_ENKUlT_T0_E_clISt17integral_constantIbLb0EES1B_IbLb1EEEEDaS17_S18_EUlS17_E_NS1_11comp_targetILNS1_3genE2ELNS1_11target_archE906ELNS1_3gpuE6ELNS1_3repE0EEENS1_30default_config_static_selectorELNS0_4arch9wavefront6targetE0EEEvT1_
	.p2align	8
	.type	_ZN7rocprim17ROCPRIM_400000_NS6detail17trampoline_kernelINS0_14default_configENS1_25partition_config_selectorILNS1_17partition_subalgoE8ElNS0_10empty_typeEbEEZZNS1_14partition_implILS5_8ELb0ES3_jPlPS6_PKS6_NS0_5tupleIJS9_S6_EEENSD_IJSA_SA_EEENS0_18inequality_wrapperIZN2at6native12_GLOBAL__N_124unique_dim_cuda_templateIsEESt5tupleIJNSH_6TensorESM_SM_EERKSM_lbbbEUlllE0_EEPmJS6_EEE10hipError_tPvRmT3_T4_T5_T6_T7_T9_mT8_P12ihipStream_tbDpT10_ENKUlT_T0_E_clISt17integral_constantIbLb0EES1B_IbLb1EEEEDaS17_S18_EUlS17_E_NS1_11comp_targetILNS1_3genE2ELNS1_11target_archE906ELNS1_3gpuE6ELNS1_3repE0EEENS1_30default_config_static_selectorELNS0_4arch9wavefront6targetE0EEEvT1_,@function
_ZN7rocprim17ROCPRIM_400000_NS6detail17trampoline_kernelINS0_14default_configENS1_25partition_config_selectorILNS1_17partition_subalgoE8ElNS0_10empty_typeEbEEZZNS1_14partition_implILS5_8ELb0ES3_jPlPS6_PKS6_NS0_5tupleIJS9_S6_EEENSD_IJSA_SA_EEENS0_18inequality_wrapperIZN2at6native12_GLOBAL__N_124unique_dim_cuda_templateIsEESt5tupleIJNSH_6TensorESM_SM_EERKSM_lbbbEUlllE0_EEPmJS6_EEE10hipError_tPvRmT3_T4_T5_T6_T7_T9_mT8_P12ihipStream_tbDpT10_ENKUlT_T0_E_clISt17integral_constantIbLb0EES1B_IbLb1EEEEDaS17_S18_EUlS17_E_NS1_11comp_targetILNS1_3genE2ELNS1_11target_archE906ELNS1_3gpuE6ELNS1_3repE0EEENS1_30default_config_static_selectorELNS0_4arch9wavefront6targetE0EEEvT1_: ; @_ZN7rocprim17ROCPRIM_400000_NS6detail17trampoline_kernelINS0_14default_configENS1_25partition_config_selectorILNS1_17partition_subalgoE8ElNS0_10empty_typeEbEEZZNS1_14partition_implILS5_8ELb0ES3_jPlPS6_PKS6_NS0_5tupleIJS9_S6_EEENSD_IJSA_SA_EEENS0_18inequality_wrapperIZN2at6native12_GLOBAL__N_124unique_dim_cuda_templateIsEESt5tupleIJNSH_6TensorESM_SM_EERKSM_lbbbEUlllE0_EEPmJS6_EEE10hipError_tPvRmT3_T4_T5_T6_T7_T9_mT8_P12ihipStream_tbDpT10_ENKUlT_T0_E_clISt17integral_constantIbLb0EES1B_IbLb1EEEEDaS17_S18_EUlS17_E_NS1_11comp_targetILNS1_3genE2ELNS1_11target_archE906ELNS1_3gpuE6ELNS1_3repE0EEENS1_30default_config_static_selectorELNS0_4arch9wavefront6targetE0EEEvT1_
; %bb.0:
	.section	.rodata,"a",@progbits
	.p2align	6, 0x0
	.amdhsa_kernel _ZN7rocprim17ROCPRIM_400000_NS6detail17trampoline_kernelINS0_14default_configENS1_25partition_config_selectorILNS1_17partition_subalgoE8ElNS0_10empty_typeEbEEZZNS1_14partition_implILS5_8ELb0ES3_jPlPS6_PKS6_NS0_5tupleIJS9_S6_EEENSD_IJSA_SA_EEENS0_18inequality_wrapperIZN2at6native12_GLOBAL__N_124unique_dim_cuda_templateIsEESt5tupleIJNSH_6TensorESM_SM_EERKSM_lbbbEUlllE0_EEPmJS6_EEE10hipError_tPvRmT3_T4_T5_T6_T7_T9_mT8_P12ihipStream_tbDpT10_ENKUlT_T0_E_clISt17integral_constantIbLb0EES1B_IbLb1EEEEDaS17_S18_EUlS17_E_NS1_11comp_targetILNS1_3genE2ELNS1_11target_archE906ELNS1_3gpuE6ELNS1_3repE0EEENS1_30default_config_static_selectorELNS0_4arch9wavefront6targetE0EEEvT1_
		.amdhsa_group_segment_fixed_size 0
		.amdhsa_private_segment_fixed_size 0
		.amdhsa_kernarg_size 136
		.amdhsa_user_sgpr_count 2
		.amdhsa_user_sgpr_dispatch_ptr 0
		.amdhsa_user_sgpr_queue_ptr 0
		.amdhsa_user_sgpr_kernarg_segment_ptr 1
		.amdhsa_user_sgpr_dispatch_id 0
		.amdhsa_user_sgpr_kernarg_preload_length 0
		.amdhsa_user_sgpr_kernarg_preload_offset 0
		.amdhsa_user_sgpr_private_segment_size 0
		.amdhsa_wavefront_size32 1
		.amdhsa_uses_dynamic_stack 0
		.amdhsa_enable_private_segment 0
		.amdhsa_system_sgpr_workgroup_id_x 1
		.amdhsa_system_sgpr_workgroup_id_y 0
		.amdhsa_system_sgpr_workgroup_id_z 0
		.amdhsa_system_sgpr_workgroup_info 0
		.amdhsa_system_vgpr_workitem_id 0
		.amdhsa_next_free_vgpr 1
		.amdhsa_next_free_sgpr 1
		.amdhsa_named_barrier_count 0
		.amdhsa_reserve_vcc 0
		.amdhsa_float_round_mode_32 0
		.amdhsa_float_round_mode_16_64 0
		.amdhsa_float_denorm_mode_32 3
		.amdhsa_float_denorm_mode_16_64 3
		.amdhsa_fp16_overflow 0
		.amdhsa_memory_ordered 1
		.amdhsa_forward_progress 1
		.amdhsa_inst_pref_size 0
		.amdhsa_round_robin_scheduling 0
		.amdhsa_exception_fp_ieee_invalid_op 0
		.amdhsa_exception_fp_denorm_src 0
		.amdhsa_exception_fp_ieee_div_zero 0
		.amdhsa_exception_fp_ieee_overflow 0
		.amdhsa_exception_fp_ieee_underflow 0
		.amdhsa_exception_fp_ieee_inexact 0
		.amdhsa_exception_int_div_zero 0
	.end_amdhsa_kernel
	.section	.text._ZN7rocprim17ROCPRIM_400000_NS6detail17trampoline_kernelINS0_14default_configENS1_25partition_config_selectorILNS1_17partition_subalgoE8ElNS0_10empty_typeEbEEZZNS1_14partition_implILS5_8ELb0ES3_jPlPS6_PKS6_NS0_5tupleIJS9_S6_EEENSD_IJSA_SA_EEENS0_18inequality_wrapperIZN2at6native12_GLOBAL__N_124unique_dim_cuda_templateIsEESt5tupleIJNSH_6TensorESM_SM_EERKSM_lbbbEUlllE0_EEPmJS6_EEE10hipError_tPvRmT3_T4_T5_T6_T7_T9_mT8_P12ihipStream_tbDpT10_ENKUlT_T0_E_clISt17integral_constantIbLb0EES1B_IbLb1EEEEDaS17_S18_EUlS17_E_NS1_11comp_targetILNS1_3genE2ELNS1_11target_archE906ELNS1_3gpuE6ELNS1_3repE0EEENS1_30default_config_static_selectorELNS0_4arch9wavefront6targetE0EEEvT1_,"axG",@progbits,_ZN7rocprim17ROCPRIM_400000_NS6detail17trampoline_kernelINS0_14default_configENS1_25partition_config_selectorILNS1_17partition_subalgoE8ElNS0_10empty_typeEbEEZZNS1_14partition_implILS5_8ELb0ES3_jPlPS6_PKS6_NS0_5tupleIJS9_S6_EEENSD_IJSA_SA_EEENS0_18inequality_wrapperIZN2at6native12_GLOBAL__N_124unique_dim_cuda_templateIsEESt5tupleIJNSH_6TensorESM_SM_EERKSM_lbbbEUlllE0_EEPmJS6_EEE10hipError_tPvRmT3_T4_T5_T6_T7_T9_mT8_P12ihipStream_tbDpT10_ENKUlT_T0_E_clISt17integral_constantIbLb0EES1B_IbLb1EEEEDaS17_S18_EUlS17_E_NS1_11comp_targetILNS1_3genE2ELNS1_11target_archE906ELNS1_3gpuE6ELNS1_3repE0EEENS1_30default_config_static_selectorELNS0_4arch9wavefront6targetE0EEEvT1_,comdat
.Lfunc_end713:
	.size	_ZN7rocprim17ROCPRIM_400000_NS6detail17trampoline_kernelINS0_14default_configENS1_25partition_config_selectorILNS1_17partition_subalgoE8ElNS0_10empty_typeEbEEZZNS1_14partition_implILS5_8ELb0ES3_jPlPS6_PKS6_NS0_5tupleIJS9_S6_EEENSD_IJSA_SA_EEENS0_18inequality_wrapperIZN2at6native12_GLOBAL__N_124unique_dim_cuda_templateIsEESt5tupleIJNSH_6TensorESM_SM_EERKSM_lbbbEUlllE0_EEPmJS6_EEE10hipError_tPvRmT3_T4_T5_T6_T7_T9_mT8_P12ihipStream_tbDpT10_ENKUlT_T0_E_clISt17integral_constantIbLb0EES1B_IbLb1EEEEDaS17_S18_EUlS17_E_NS1_11comp_targetILNS1_3genE2ELNS1_11target_archE906ELNS1_3gpuE6ELNS1_3repE0EEENS1_30default_config_static_selectorELNS0_4arch9wavefront6targetE0EEEvT1_, .Lfunc_end713-_ZN7rocprim17ROCPRIM_400000_NS6detail17trampoline_kernelINS0_14default_configENS1_25partition_config_selectorILNS1_17partition_subalgoE8ElNS0_10empty_typeEbEEZZNS1_14partition_implILS5_8ELb0ES3_jPlPS6_PKS6_NS0_5tupleIJS9_S6_EEENSD_IJSA_SA_EEENS0_18inequality_wrapperIZN2at6native12_GLOBAL__N_124unique_dim_cuda_templateIsEESt5tupleIJNSH_6TensorESM_SM_EERKSM_lbbbEUlllE0_EEPmJS6_EEE10hipError_tPvRmT3_T4_T5_T6_T7_T9_mT8_P12ihipStream_tbDpT10_ENKUlT_T0_E_clISt17integral_constantIbLb0EES1B_IbLb1EEEEDaS17_S18_EUlS17_E_NS1_11comp_targetILNS1_3genE2ELNS1_11target_archE906ELNS1_3gpuE6ELNS1_3repE0EEENS1_30default_config_static_selectorELNS0_4arch9wavefront6targetE0EEEvT1_
                                        ; -- End function
	.set _ZN7rocprim17ROCPRIM_400000_NS6detail17trampoline_kernelINS0_14default_configENS1_25partition_config_selectorILNS1_17partition_subalgoE8ElNS0_10empty_typeEbEEZZNS1_14partition_implILS5_8ELb0ES3_jPlPS6_PKS6_NS0_5tupleIJS9_S6_EEENSD_IJSA_SA_EEENS0_18inequality_wrapperIZN2at6native12_GLOBAL__N_124unique_dim_cuda_templateIsEESt5tupleIJNSH_6TensorESM_SM_EERKSM_lbbbEUlllE0_EEPmJS6_EEE10hipError_tPvRmT3_T4_T5_T6_T7_T9_mT8_P12ihipStream_tbDpT10_ENKUlT_T0_E_clISt17integral_constantIbLb0EES1B_IbLb1EEEEDaS17_S18_EUlS17_E_NS1_11comp_targetILNS1_3genE2ELNS1_11target_archE906ELNS1_3gpuE6ELNS1_3repE0EEENS1_30default_config_static_selectorELNS0_4arch9wavefront6targetE0EEEvT1_.num_vgpr, 0
	.set _ZN7rocprim17ROCPRIM_400000_NS6detail17trampoline_kernelINS0_14default_configENS1_25partition_config_selectorILNS1_17partition_subalgoE8ElNS0_10empty_typeEbEEZZNS1_14partition_implILS5_8ELb0ES3_jPlPS6_PKS6_NS0_5tupleIJS9_S6_EEENSD_IJSA_SA_EEENS0_18inequality_wrapperIZN2at6native12_GLOBAL__N_124unique_dim_cuda_templateIsEESt5tupleIJNSH_6TensorESM_SM_EERKSM_lbbbEUlllE0_EEPmJS6_EEE10hipError_tPvRmT3_T4_T5_T6_T7_T9_mT8_P12ihipStream_tbDpT10_ENKUlT_T0_E_clISt17integral_constantIbLb0EES1B_IbLb1EEEEDaS17_S18_EUlS17_E_NS1_11comp_targetILNS1_3genE2ELNS1_11target_archE906ELNS1_3gpuE6ELNS1_3repE0EEENS1_30default_config_static_selectorELNS0_4arch9wavefront6targetE0EEEvT1_.num_agpr, 0
	.set _ZN7rocprim17ROCPRIM_400000_NS6detail17trampoline_kernelINS0_14default_configENS1_25partition_config_selectorILNS1_17partition_subalgoE8ElNS0_10empty_typeEbEEZZNS1_14partition_implILS5_8ELb0ES3_jPlPS6_PKS6_NS0_5tupleIJS9_S6_EEENSD_IJSA_SA_EEENS0_18inequality_wrapperIZN2at6native12_GLOBAL__N_124unique_dim_cuda_templateIsEESt5tupleIJNSH_6TensorESM_SM_EERKSM_lbbbEUlllE0_EEPmJS6_EEE10hipError_tPvRmT3_T4_T5_T6_T7_T9_mT8_P12ihipStream_tbDpT10_ENKUlT_T0_E_clISt17integral_constantIbLb0EES1B_IbLb1EEEEDaS17_S18_EUlS17_E_NS1_11comp_targetILNS1_3genE2ELNS1_11target_archE906ELNS1_3gpuE6ELNS1_3repE0EEENS1_30default_config_static_selectorELNS0_4arch9wavefront6targetE0EEEvT1_.numbered_sgpr, 0
	.set _ZN7rocprim17ROCPRIM_400000_NS6detail17trampoline_kernelINS0_14default_configENS1_25partition_config_selectorILNS1_17partition_subalgoE8ElNS0_10empty_typeEbEEZZNS1_14partition_implILS5_8ELb0ES3_jPlPS6_PKS6_NS0_5tupleIJS9_S6_EEENSD_IJSA_SA_EEENS0_18inequality_wrapperIZN2at6native12_GLOBAL__N_124unique_dim_cuda_templateIsEESt5tupleIJNSH_6TensorESM_SM_EERKSM_lbbbEUlllE0_EEPmJS6_EEE10hipError_tPvRmT3_T4_T5_T6_T7_T9_mT8_P12ihipStream_tbDpT10_ENKUlT_T0_E_clISt17integral_constantIbLb0EES1B_IbLb1EEEEDaS17_S18_EUlS17_E_NS1_11comp_targetILNS1_3genE2ELNS1_11target_archE906ELNS1_3gpuE6ELNS1_3repE0EEENS1_30default_config_static_selectorELNS0_4arch9wavefront6targetE0EEEvT1_.num_named_barrier, 0
	.set _ZN7rocprim17ROCPRIM_400000_NS6detail17trampoline_kernelINS0_14default_configENS1_25partition_config_selectorILNS1_17partition_subalgoE8ElNS0_10empty_typeEbEEZZNS1_14partition_implILS5_8ELb0ES3_jPlPS6_PKS6_NS0_5tupleIJS9_S6_EEENSD_IJSA_SA_EEENS0_18inequality_wrapperIZN2at6native12_GLOBAL__N_124unique_dim_cuda_templateIsEESt5tupleIJNSH_6TensorESM_SM_EERKSM_lbbbEUlllE0_EEPmJS6_EEE10hipError_tPvRmT3_T4_T5_T6_T7_T9_mT8_P12ihipStream_tbDpT10_ENKUlT_T0_E_clISt17integral_constantIbLb0EES1B_IbLb1EEEEDaS17_S18_EUlS17_E_NS1_11comp_targetILNS1_3genE2ELNS1_11target_archE906ELNS1_3gpuE6ELNS1_3repE0EEENS1_30default_config_static_selectorELNS0_4arch9wavefront6targetE0EEEvT1_.private_seg_size, 0
	.set _ZN7rocprim17ROCPRIM_400000_NS6detail17trampoline_kernelINS0_14default_configENS1_25partition_config_selectorILNS1_17partition_subalgoE8ElNS0_10empty_typeEbEEZZNS1_14partition_implILS5_8ELb0ES3_jPlPS6_PKS6_NS0_5tupleIJS9_S6_EEENSD_IJSA_SA_EEENS0_18inequality_wrapperIZN2at6native12_GLOBAL__N_124unique_dim_cuda_templateIsEESt5tupleIJNSH_6TensorESM_SM_EERKSM_lbbbEUlllE0_EEPmJS6_EEE10hipError_tPvRmT3_T4_T5_T6_T7_T9_mT8_P12ihipStream_tbDpT10_ENKUlT_T0_E_clISt17integral_constantIbLb0EES1B_IbLb1EEEEDaS17_S18_EUlS17_E_NS1_11comp_targetILNS1_3genE2ELNS1_11target_archE906ELNS1_3gpuE6ELNS1_3repE0EEENS1_30default_config_static_selectorELNS0_4arch9wavefront6targetE0EEEvT1_.uses_vcc, 0
	.set _ZN7rocprim17ROCPRIM_400000_NS6detail17trampoline_kernelINS0_14default_configENS1_25partition_config_selectorILNS1_17partition_subalgoE8ElNS0_10empty_typeEbEEZZNS1_14partition_implILS5_8ELb0ES3_jPlPS6_PKS6_NS0_5tupleIJS9_S6_EEENSD_IJSA_SA_EEENS0_18inequality_wrapperIZN2at6native12_GLOBAL__N_124unique_dim_cuda_templateIsEESt5tupleIJNSH_6TensorESM_SM_EERKSM_lbbbEUlllE0_EEPmJS6_EEE10hipError_tPvRmT3_T4_T5_T6_T7_T9_mT8_P12ihipStream_tbDpT10_ENKUlT_T0_E_clISt17integral_constantIbLb0EES1B_IbLb1EEEEDaS17_S18_EUlS17_E_NS1_11comp_targetILNS1_3genE2ELNS1_11target_archE906ELNS1_3gpuE6ELNS1_3repE0EEENS1_30default_config_static_selectorELNS0_4arch9wavefront6targetE0EEEvT1_.uses_flat_scratch, 0
	.set _ZN7rocprim17ROCPRIM_400000_NS6detail17trampoline_kernelINS0_14default_configENS1_25partition_config_selectorILNS1_17partition_subalgoE8ElNS0_10empty_typeEbEEZZNS1_14partition_implILS5_8ELb0ES3_jPlPS6_PKS6_NS0_5tupleIJS9_S6_EEENSD_IJSA_SA_EEENS0_18inequality_wrapperIZN2at6native12_GLOBAL__N_124unique_dim_cuda_templateIsEESt5tupleIJNSH_6TensorESM_SM_EERKSM_lbbbEUlllE0_EEPmJS6_EEE10hipError_tPvRmT3_T4_T5_T6_T7_T9_mT8_P12ihipStream_tbDpT10_ENKUlT_T0_E_clISt17integral_constantIbLb0EES1B_IbLb1EEEEDaS17_S18_EUlS17_E_NS1_11comp_targetILNS1_3genE2ELNS1_11target_archE906ELNS1_3gpuE6ELNS1_3repE0EEENS1_30default_config_static_selectorELNS0_4arch9wavefront6targetE0EEEvT1_.has_dyn_sized_stack, 0
	.set _ZN7rocprim17ROCPRIM_400000_NS6detail17trampoline_kernelINS0_14default_configENS1_25partition_config_selectorILNS1_17partition_subalgoE8ElNS0_10empty_typeEbEEZZNS1_14partition_implILS5_8ELb0ES3_jPlPS6_PKS6_NS0_5tupleIJS9_S6_EEENSD_IJSA_SA_EEENS0_18inequality_wrapperIZN2at6native12_GLOBAL__N_124unique_dim_cuda_templateIsEESt5tupleIJNSH_6TensorESM_SM_EERKSM_lbbbEUlllE0_EEPmJS6_EEE10hipError_tPvRmT3_T4_T5_T6_T7_T9_mT8_P12ihipStream_tbDpT10_ENKUlT_T0_E_clISt17integral_constantIbLb0EES1B_IbLb1EEEEDaS17_S18_EUlS17_E_NS1_11comp_targetILNS1_3genE2ELNS1_11target_archE906ELNS1_3gpuE6ELNS1_3repE0EEENS1_30default_config_static_selectorELNS0_4arch9wavefront6targetE0EEEvT1_.has_recursion, 0
	.set _ZN7rocprim17ROCPRIM_400000_NS6detail17trampoline_kernelINS0_14default_configENS1_25partition_config_selectorILNS1_17partition_subalgoE8ElNS0_10empty_typeEbEEZZNS1_14partition_implILS5_8ELb0ES3_jPlPS6_PKS6_NS0_5tupleIJS9_S6_EEENSD_IJSA_SA_EEENS0_18inequality_wrapperIZN2at6native12_GLOBAL__N_124unique_dim_cuda_templateIsEESt5tupleIJNSH_6TensorESM_SM_EERKSM_lbbbEUlllE0_EEPmJS6_EEE10hipError_tPvRmT3_T4_T5_T6_T7_T9_mT8_P12ihipStream_tbDpT10_ENKUlT_T0_E_clISt17integral_constantIbLb0EES1B_IbLb1EEEEDaS17_S18_EUlS17_E_NS1_11comp_targetILNS1_3genE2ELNS1_11target_archE906ELNS1_3gpuE6ELNS1_3repE0EEENS1_30default_config_static_selectorELNS0_4arch9wavefront6targetE0EEEvT1_.has_indirect_call, 0
	.section	.AMDGPU.csdata,"",@progbits
; Kernel info:
; codeLenInByte = 0
; TotalNumSgprs: 0
; NumVgprs: 0
; ScratchSize: 0
; MemoryBound: 0
; FloatMode: 240
; IeeeMode: 1
; LDSByteSize: 0 bytes/workgroup (compile time only)
; SGPRBlocks: 0
; VGPRBlocks: 0
; NumSGPRsForWavesPerEU: 1
; NumVGPRsForWavesPerEU: 1
; NamedBarCnt: 0
; Occupancy: 16
; WaveLimiterHint : 0
; COMPUTE_PGM_RSRC2:SCRATCH_EN: 0
; COMPUTE_PGM_RSRC2:USER_SGPR: 2
; COMPUTE_PGM_RSRC2:TRAP_HANDLER: 0
; COMPUTE_PGM_RSRC2:TGID_X_EN: 1
; COMPUTE_PGM_RSRC2:TGID_Y_EN: 0
; COMPUTE_PGM_RSRC2:TGID_Z_EN: 0
; COMPUTE_PGM_RSRC2:TIDIG_COMP_CNT: 0
	.section	.text._ZN7rocprim17ROCPRIM_400000_NS6detail17trampoline_kernelINS0_14default_configENS1_25partition_config_selectorILNS1_17partition_subalgoE8ElNS0_10empty_typeEbEEZZNS1_14partition_implILS5_8ELb0ES3_jPlPS6_PKS6_NS0_5tupleIJS9_S6_EEENSD_IJSA_SA_EEENS0_18inequality_wrapperIZN2at6native12_GLOBAL__N_124unique_dim_cuda_templateIsEESt5tupleIJNSH_6TensorESM_SM_EERKSM_lbbbEUlllE0_EEPmJS6_EEE10hipError_tPvRmT3_T4_T5_T6_T7_T9_mT8_P12ihipStream_tbDpT10_ENKUlT_T0_E_clISt17integral_constantIbLb0EES1B_IbLb1EEEEDaS17_S18_EUlS17_E_NS1_11comp_targetILNS1_3genE10ELNS1_11target_archE1200ELNS1_3gpuE4ELNS1_3repE0EEENS1_30default_config_static_selectorELNS0_4arch9wavefront6targetE0EEEvT1_,"axG",@progbits,_ZN7rocprim17ROCPRIM_400000_NS6detail17trampoline_kernelINS0_14default_configENS1_25partition_config_selectorILNS1_17partition_subalgoE8ElNS0_10empty_typeEbEEZZNS1_14partition_implILS5_8ELb0ES3_jPlPS6_PKS6_NS0_5tupleIJS9_S6_EEENSD_IJSA_SA_EEENS0_18inequality_wrapperIZN2at6native12_GLOBAL__N_124unique_dim_cuda_templateIsEESt5tupleIJNSH_6TensorESM_SM_EERKSM_lbbbEUlllE0_EEPmJS6_EEE10hipError_tPvRmT3_T4_T5_T6_T7_T9_mT8_P12ihipStream_tbDpT10_ENKUlT_T0_E_clISt17integral_constantIbLb0EES1B_IbLb1EEEEDaS17_S18_EUlS17_E_NS1_11comp_targetILNS1_3genE10ELNS1_11target_archE1200ELNS1_3gpuE4ELNS1_3repE0EEENS1_30default_config_static_selectorELNS0_4arch9wavefront6targetE0EEEvT1_,comdat
	.globl	_ZN7rocprim17ROCPRIM_400000_NS6detail17trampoline_kernelINS0_14default_configENS1_25partition_config_selectorILNS1_17partition_subalgoE8ElNS0_10empty_typeEbEEZZNS1_14partition_implILS5_8ELb0ES3_jPlPS6_PKS6_NS0_5tupleIJS9_S6_EEENSD_IJSA_SA_EEENS0_18inequality_wrapperIZN2at6native12_GLOBAL__N_124unique_dim_cuda_templateIsEESt5tupleIJNSH_6TensorESM_SM_EERKSM_lbbbEUlllE0_EEPmJS6_EEE10hipError_tPvRmT3_T4_T5_T6_T7_T9_mT8_P12ihipStream_tbDpT10_ENKUlT_T0_E_clISt17integral_constantIbLb0EES1B_IbLb1EEEEDaS17_S18_EUlS17_E_NS1_11comp_targetILNS1_3genE10ELNS1_11target_archE1200ELNS1_3gpuE4ELNS1_3repE0EEENS1_30default_config_static_selectorELNS0_4arch9wavefront6targetE0EEEvT1_ ; -- Begin function _ZN7rocprim17ROCPRIM_400000_NS6detail17trampoline_kernelINS0_14default_configENS1_25partition_config_selectorILNS1_17partition_subalgoE8ElNS0_10empty_typeEbEEZZNS1_14partition_implILS5_8ELb0ES3_jPlPS6_PKS6_NS0_5tupleIJS9_S6_EEENSD_IJSA_SA_EEENS0_18inequality_wrapperIZN2at6native12_GLOBAL__N_124unique_dim_cuda_templateIsEESt5tupleIJNSH_6TensorESM_SM_EERKSM_lbbbEUlllE0_EEPmJS6_EEE10hipError_tPvRmT3_T4_T5_T6_T7_T9_mT8_P12ihipStream_tbDpT10_ENKUlT_T0_E_clISt17integral_constantIbLb0EES1B_IbLb1EEEEDaS17_S18_EUlS17_E_NS1_11comp_targetILNS1_3genE10ELNS1_11target_archE1200ELNS1_3gpuE4ELNS1_3repE0EEENS1_30default_config_static_selectorELNS0_4arch9wavefront6targetE0EEEvT1_
	.p2align	8
	.type	_ZN7rocprim17ROCPRIM_400000_NS6detail17trampoline_kernelINS0_14default_configENS1_25partition_config_selectorILNS1_17partition_subalgoE8ElNS0_10empty_typeEbEEZZNS1_14partition_implILS5_8ELb0ES3_jPlPS6_PKS6_NS0_5tupleIJS9_S6_EEENSD_IJSA_SA_EEENS0_18inequality_wrapperIZN2at6native12_GLOBAL__N_124unique_dim_cuda_templateIsEESt5tupleIJNSH_6TensorESM_SM_EERKSM_lbbbEUlllE0_EEPmJS6_EEE10hipError_tPvRmT3_T4_T5_T6_T7_T9_mT8_P12ihipStream_tbDpT10_ENKUlT_T0_E_clISt17integral_constantIbLb0EES1B_IbLb1EEEEDaS17_S18_EUlS17_E_NS1_11comp_targetILNS1_3genE10ELNS1_11target_archE1200ELNS1_3gpuE4ELNS1_3repE0EEENS1_30default_config_static_selectorELNS0_4arch9wavefront6targetE0EEEvT1_,@function
_ZN7rocprim17ROCPRIM_400000_NS6detail17trampoline_kernelINS0_14default_configENS1_25partition_config_selectorILNS1_17partition_subalgoE8ElNS0_10empty_typeEbEEZZNS1_14partition_implILS5_8ELb0ES3_jPlPS6_PKS6_NS0_5tupleIJS9_S6_EEENSD_IJSA_SA_EEENS0_18inequality_wrapperIZN2at6native12_GLOBAL__N_124unique_dim_cuda_templateIsEESt5tupleIJNSH_6TensorESM_SM_EERKSM_lbbbEUlllE0_EEPmJS6_EEE10hipError_tPvRmT3_T4_T5_T6_T7_T9_mT8_P12ihipStream_tbDpT10_ENKUlT_T0_E_clISt17integral_constantIbLb0EES1B_IbLb1EEEEDaS17_S18_EUlS17_E_NS1_11comp_targetILNS1_3genE10ELNS1_11target_archE1200ELNS1_3gpuE4ELNS1_3repE0EEENS1_30default_config_static_selectorELNS0_4arch9wavefront6targetE0EEEvT1_: ; @_ZN7rocprim17ROCPRIM_400000_NS6detail17trampoline_kernelINS0_14default_configENS1_25partition_config_selectorILNS1_17partition_subalgoE8ElNS0_10empty_typeEbEEZZNS1_14partition_implILS5_8ELb0ES3_jPlPS6_PKS6_NS0_5tupleIJS9_S6_EEENSD_IJSA_SA_EEENS0_18inequality_wrapperIZN2at6native12_GLOBAL__N_124unique_dim_cuda_templateIsEESt5tupleIJNSH_6TensorESM_SM_EERKSM_lbbbEUlllE0_EEPmJS6_EEE10hipError_tPvRmT3_T4_T5_T6_T7_T9_mT8_P12ihipStream_tbDpT10_ENKUlT_T0_E_clISt17integral_constantIbLb0EES1B_IbLb1EEEEDaS17_S18_EUlS17_E_NS1_11comp_targetILNS1_3genE10ELNS1_11target_archE1200ELNS1_3gpuE4ELNS1_3repE0EEENS1_30default_config_static_selectorELNS0_4arch9wavefront6targetE0EEEvT1_
; %bb.0:
	.section	.rodata,"a",@progbits
	.p2align	6, 0x0
	.amdhsa_kernel _ZN7rocprim17ROCPRIM_400000_NS6detail17trampoline_kernelINS0_14default_configENS1_25partition_config_selectorILNS1_17partition_subalgoE8ElNS0_10empty_typeEbEEZZNS1_14partition_implILS5_8ELb0ES3_jPlPS6_PKS6_NS0_5tupleIJS9_S6_EEENSD_IJSA_SA_EEENS0_18inequality_wrapperIZN2at6native12_GLOBAL__N_124unique_dim_cuda_templateIsEESt5tupleIJNSH_6TensorESM_SM_EERKSM_lbbbEUlllE0_EEPmJS6_EEE10hipError_tPvRmT3_T4_T5_T6_T7_T9_mT8_P12ihipStream_tbDpT10_ENKUlT_T0_E_clISt17integral_constantIbLb0EES1B_IbLb1EEEEDaS17_S18_EUlS17_E_NS1_11comp_targetILNS1_3genE10ELNS1_11target_archE1200ELNS1_3gpuE4ELNS1_3repE0EEENS1_30default_config_static_selectorELNS0_4arch9wavefront6targetE0EEEvT1_
		.amdhsa_group_segment_fixed_size 0
		.amdhsa_private_segment_fixed_size 0
		.amdhsa_kernarg_size 136
		.amdhsa_user_sgpr_count 2
		.amdhsa_user_sgpr_dispatch_ptr 0
		.amdhsa_user_sgpr_queue_ptr 0
		.amdhsa_user_sgpr_kernarg_segment_ptr 1
		.amdhsa_user_sgpr_dispatch_id 0
		.amdhsa_user_sgpr_kernarg_preload_length 0
		.amdhsa_user_sgpr_kernarg_preload_offset 0
		.amdhsa_user_sgpr_private_segment_size 0
		.amdhsa_wavefront_size32 1
		.amdhsa_uses_dynamic_stack 0
		.amdhsa_enable_private_segment 0
		.amdhsa_system_sgpr_workgroup_id_x 1
		.amdhsa_system_sgpr_workgroup_id_y 0
		.amdhsa_system_sgpr_workgroup_id_z 0
		.amdhsa_system_sgpr_workgroup_info 0
		.amdhsa_system_vgpr_workitem_id 0
		.amdhsa_next_free_vgpr 1
		.amdhsa_next_free_sgpr 1
		.amdhsa_named_barrier_count 0
		.amdhsa_reserve_vcc 0
		.amdhsa_float_round_mode_32 0
		.amdhsa_float_round_mode_16_64 0
		.amdhsa_float_denorm_mode_32 3
		.amdhsa_float_denorm_mode_16_64 3
		.amdhsa_fp16_overflow 0
		.amdhsa_memory_ordered 1
		.amdhsa_forward_progress 1
		.amdhsa_inst_pref_size 0
		.amdhsa_round_robin_scheduling 0
		.amdhsa_exception_fp_ieee_invalid_op 0
		.amdhsa_exception_fp_denorm_src 0
		.amdhsa_exception_fp_ieee_div_zero 0
		.amdhsa_exception_fp_ieee_overflow 0
		.amdhsa_exception_fp_ieee_underflow 0
		.amdhsa_exception_fp_ieee_inexact 0
		.amdhsa_exception_int_div_zero 0
	.end_amdhsa_kernel
	.section	.text._ZN7rocprim17ROCPRIM_400000_NS6detail17trampoline_kernelINS0_14default_configENS1_25partition_config_selectorILNS1_17partition_subalgoE8ElNS0_10empty_typeEbEEZZNS1_14partition_implILS5_8ELb0ES3_jPlPS6_PKS6_NS0_5tupleIJS9_S6_EEENSD_IJSA_SA_EEENS0_18inequality_wrapperIZN2at6native12_GLOBAL__N_124unique_dim_cuda_templateIsEESt5tupleIJNSH_6TensorESM_SM_EERKSM_lbbbEUlllE0_EEPmJS6_EEE10hipError_tPvRmT3_T4_T5_T6_T7_T9_mT8_P12ihipStream_tbDpT10_ENKUlT_T0_E_clISt17integral_constantIbLb0EES1B_IbLb1EEEEDaS17_S18_EUlS17_E_NS1_11comp_targetILNS1_3genE10ELNS1_11target_archE1200ELNS1_3gpuE4ELNS1_3repE0EEENS1_30default_config_static_selectorELNS0_4arch9wavefront6targetE0EEEvT1_,"axG",@progbits,_ZN7rocprim17ROCPRIM_400000_NS6detail17trampoline_kernelINS0_14default_configENS1_25partition_config_selectorILNS1_17partition_subalgoE8ElNS0_10empty_typeEbEEZZNS1_14partition_implILS5_8ELb0ES3_jPlPS6_PKS6_NS0_5tupleIJS9_S6_EEENSD_IJSA_SA_EEENS0_18inequality_wrapperIZN2at6native12_GLOBAL__N_124unique_dim_cuda_templateIsEESt5tupleIJNSH_6TensorESM_SM_EERKSM_lbbbEUlllE0_EEPmJS6_EEE10hipError_tPvRmT3_T4_T5_T6_T7_T9_mT8_P12ihipStream_tbDpT10_ENKUlT_T0_E_clISt17integral_constantIbLb0EES1B_IbLb1EEEEDaS17_S18_EUlS17_E_NS1_11comp_targetILNS1_3genE10ELNS1_11target_archE1200ELNS1_3gpuE4ELNS1_3repE0EEENS1_30default_config_static_selectorELNS0_4arch9wavefront6targetE0EEEvT1_,comdat
.Lfunc_end714:
	.size	_ZN7rocprim17ROCPRIM_400000_NS6detail17trampoline_kernelINS0_14default_configENS1_25partition_config_selectorILNS1_17partition_subalgoE8ElNS0_10empty_typeEbEEZZNS1_14partition_implILS5_8ELb0ES3_jPlPS6_PKS6_NS0_5tupleIJS9_S6_EEENSD_IJSA_SA_EEENS0_18inequality_wrapperIZN2at6native12_GLOBAL__N_124unique_dim_cuda_templateIsEESt5tupleIJNSH_6TensorESM_SM_EERKSM_lbbbEUlllE0_EEPmJS6_EEE10hipError_tPvRmT3_T4_T5_T6_T7_T9_mT8_P12ihipStream_tbDpT10_ENKUlT_T0_E_clISt17integral_constantIbLb0EES1B_IbLb1EEEEDaS17_S18_EUlS17_E_NS1_11comp_targetILNS1_3genE10ELNS1_11target_archE1200ELNS1_3gpuE4ELNS1_3repE0EEENS1_30default_config_static_selectorELNS0_4arch9wavefront6targetE0EEEvT1_, .Lfunc_end714-_ZN7rocprim17ROCPRIM_400000_NS6detail17trampoline_kernelINS0_14default_configENS1_25partition_config_selectorILNS1_17partition_subalgoE8ElNS0_10empty_typeEbEEZZNS1_14partition_implILS5_8ELb0ES3_jPlPS6_PKS6_NS0_5tupleIJS9_S6_EEENSD_IJSA_SA_EEENS0_18inequality_wrapperIZN2at6native12_GLOBAL__N_124unique_dim_cuda_templateIsEESt5tupleIJNSH_6TensorESM_SM_EERKSM_lbbbEUlllE0_EEPmJS6_EEE10hipError_tPvRmT3_T4_T5_T6_T7_T9_mT8_P12ihipStream_tbDpT10_ENKUlT_T0_E_clISt17integral_constantIbLb0EES1B_IbLb1EEEEDaS17_S18_EUlS17_E_NS1_11comp_targetILNS1_3genE10ELNS1_11target_archE1200ELNS1_3gpuE4ELNS1_3repE0EEENS1_30default_config_static_selectorELNS0_4arch9wavefront6targetE0EEEvT1_
                                        ; -- End function
	.set _ZN7rocprim17ROCPRIM_400000_NS6detail17trampoline_kernelINS0_14default_configENS1_25partition_config_selectorILNS1_17partition_subalgoE8ElNS0_10empty_typeEbEEZZNS1_14partition_implILS5_8ELb0ES3_jPlPS6_PKS6_NS0_5tupleIJS9_S6_EEENSD_IJSA_SA_EEENS0_18inequality_wrapperIZN2at6native12_GLOBAL__N_124unique_dim_cuda_templateIsEESt5tupleIJNSH_6TensorESM_SM_EERKSM_lbbbEUlllE0_EEPmJS6_EEE10hipError_tPvRmT3_T4_T5_T6_T7_T9_mT8_P12ihipStream_tbDpT10_ENKUlT_T0_E_clISt17integral_constantIbLb0EES1B_IbLb1EEEEDaS17_S18_EUlS17_E_NS1_11comp_targetILNS1_3genE10ELNS1_11target_archE1200ELNS1_3gpuE4ELNS1_3repE0EEENS1_30default_config_static_selectorELNS0_4arch9wavefront6targetE0EEEvT1_.num_vgpr, 0
	.set _ZN7rocprim17ROCPRIM_400000_NS6detail17trampoline_kernelINS0_14default_configENS1_25partition_config_selectorILNS1_17partition_subalgoE8ElNS0_10empty_typeEbEEZZNS1_14partition_implILS5_8ELb0ES3_jPlPS6_PKS6_NS0_5tupleIJS9_S6_EEENSD_IJSA_SA_EEENS0_18inequality_wrapperIZN2at6native12_GLOBAL__N_124unique_dim_cuda_templateIsEESt5tupleIJNSH_6TensorESM_SM_EERKSM_lbbbEUlllE0_EEPmJS6_EEE10hipError_tPvRmT3_T4_T5_T6_T7_T9_mT8_P12ihipStream_tbDpT10_ENKUlT_T0_E_clISt17integral_constantIbLb0EES1B_IbLb1EEEEDaS17_S18_EUlS17_E_NS1_11comp_targetILNS1_3genE10ELNS1_11target_archE1200ELNS1_3gpuE4ELNS1_3repE0EEENS1_30default_config_static_selectorELNS0_4arch9wavefront6targetE0EEEvT1_.num_agpr, 0
	.set _ZN7rocprim17ROCPRIM_400000_NS6detail17trampoline_kernelINS0_14default_configENS1_25partition_config_selectorILNS1_17partition_subalgoE8ElNS0_10empty_typeEbEEZZNS1_14partition_implILS5_8ELb0ES3_jPlPS6_PKS6_NS0_5tupleIJS9_S6_EEENSD_IJSA_SA_EEENS0_18inequality_wrapperIZN2at6native12_GLOBAL__N_124unique_dim_cuda_templateIsEESt5tupleIJNSH_6TensorESM_SM_EERKSM_lbbbEUlllE0_EEPmJS6_EEE10hipError_tPvRmT3_T4_T5_T6_T7_T9_mT8_P12ihipStream_tbDpT10_ENKUlT_T0_E_clISt17integral_constantIbLb0EES1B_IbLb1EEEEDaS17_S18_EUlS17_E_NS1_11comp_targetILNS1_3genE10ELNS1_11target_archE1200ELNS1_3gpuE4ELNS1_3repE0EEENS1_30default_config_static_selectorELNS0_4arch9wavefront6targetE0EEEvT1_.numbered_sgpr, 0
	.set _ZN7rocprim17ROCPRIM_400000_NS6detail17trampoline_kernelINS0_14default_configENS1_25partition_config_selectorILNS1_17partition_subalgoE8ElNS0_10empty_typeEbEEZZNS1_14partition_implILS5_8ELb0ES3_jPlPS6_PKS6_NS0_5tupleIJS9_S6_EEENSD_IJSA_SA_EEENS0_18inequality_wrapperIZN2at6native12_GLOBAL__N_124unique_dim_cuda_templateIsEESt5tupleIJNSH_6TensorESM_SM_EERKSM_lbbbEUlllE0_EEPmJS6_EEE10hipError_tPvRmT3_T4_T5_T6_T7_T9_mT8_P12ihipStream_tbDpT10_ENKUlT_T0_E_clISt17integral_constantIbLb0EES1B_IbLb1EEEEDaS17_S18_EUlS17_E_NS1_11comp_targetILNS1_3genE10ELNS1_11target_archE1200ELNS1_3gpuE4ELNS1_3repE0EEENS1_30default_config_static_selectorELNS0_4arch9wavefront6targetE0EEEvT1_.num_named_barrier, 0
	.set _ZN7rocprim17ROCPRIM_400000_NS6detail17trampoline_kernelINS0_14default_configENS1_25partition_config_selectorILNS1_17partition_subalgoE8ElNS0_10empty_typeEbEEZZNS1_14partition_implILS5_8ELb0ES3_jPlPS6_PKS6_NS0_5tupleIJS9_S6_EEENSD_IJSA_SA_EEENS0_18inequality_wrapperIZN2at6native12_GLOBAL__N_124unique_dim_cuda_templateIsEESt5tupleIJNSH_6TensorESM_SM_EERKSM_lbbbEUlllE0_EEPmJS6_EEE10hipError_tPvRmT3_T4_T5_T6_T7_T9_mT8_P12ihipStream_tbDpT10_ENKUlT_T0_E_clISt17integral_constantIbLb0EES1B_IbLb1EEEEDaS17_S18_EUlS17_E_NS1_11comp_targetILNS1_3genE10ELNS1_11target_archE1200ELNS1_3gpuE4ELNS1_3repE0EEENS1_30default_config_static_selectorELNS0_4arch9wavefront6targetE0EEEvT1_.private_seg_size, 0
	.set _ZN7rocprim17ROCPRIM_400000_NS6detail17trampoline_kernelINS0_14default_configENS1_25partition_config_selectorILNS1_17partition_subalgoE8ElNS0_10empty_typeEbEEZZNS1_14partition_implILS5_8ELb0ES3_jPlPS6_PKS6_NS0_5tupleIJS9_S6_EEENSD_IJSA_SA_EEENS0_18inequality_wrapperIZN2at6native12_GLOBAL__N_124unique_dim_cuda_templateIsEESt5tupleIJNSH_6TensorESM_SM_EERKSM_lbbbEUlllE0_EEPmJS6_EEE10hipError_tPvRmT3_T4_T5_T6_T7_T9_mT8_P12ihipStream_tbDpT10_ENKUlT_T0_E_clISt17integral_constantIbLb0EES1B_IbLb1EEEEDaS17_S18_EUlS17_E_NS1_11comp_targetILNS1_3genE10ELNS1_11target_archE1200ELNS1_3gpuE4ELNS1_3repE0EEENS1_30default_config_static_selectorELNS0_4arch9wavefront6targetE0EEEvT1_.uses_vcc, 0
	.set _ZN7rocprim17ROCPRIM_400000_NS6detail17trampoline_kernelINS0_14default_configENS1_25partition_config_selectorILNS1_17partition_subalgoE8ElNS0_10empty_typeEbEEZZNS1_14partition_implILS5_8ELb0ES3_jPlPS6_PKS6_NS0_5tupleIJS9_S6_EEENSD_IJSA_SA_EEENS0_18inequality_wrapperIZN2at6native12_GLOBAL__N_124unique_dim_cuda_templateIsEESt5tupleIJNSH_6TensorESM_SM_EERKSM_lbbbEUlllE0_EEPmJS6_EEE10hipError_tPvRmT3_T4_T5_T6_T7_T9_mT8_P12ihipStream_tbDpT10_ENKUlT_T0_E_clISt17integral_constantIbLb0EES1B_IbLb1EEEEDaS17_S18_EUlS17_E_NS1_11comp_targetILNS1_3genE10ELNS1_11target_archE1200ELNS1_3gpuE4ELNS1_3repE0EEENS1_30default_config_static_selectorELNS0_4arch9wavefront6targetE0EEEvT1_.uses_flat_scratch, 0
	.set _ZN7rocprim17ROCPRIM_400000_NS6detail17trampoline_kernelINS0_14default_configENS1_25partition_config_selectorILNS1_17partition_subalgoE8ElNS0_10empty_typeEbEEZZNS1_14partition_implILS5_8ELb0ES3_jPlPS6_PKS6_NS0_5tupleIJS9_S6_EEENSD_IJSA_SA_EEENS0_18inequality_wrapperIZN2at6native12_GLOBAL__N_124unique_dim_cuda_templateIsEESt5tupleIJNSH_6TensorESM_SM_EERKSM_lbbbEUlllE0_EEPmJS6_EEE10hipError_tPvRmT3_T4_T5_T6_T7_T9_mT8_P12ihipStream_tbDpT10_ENKUlT_T0_E_clISt17integral_constantIbLb0EES1B_IbLb1EEEEDaS17_S18_EUlS17_E_NS1_11comp_targetILNS1_3genE10ELNS1_11target_archE1200ELNS1_3gpuE4ELNS1_3repE0EEENS1_30default_config_static_selectorELNS0_4arch9wavefront6targetE0EEEvT1_.has_dyn_sized_stack, 0
	.set _ZN7rocprim17ROCPRIM_400000_NS6detail17trampoline_kernelINS0_14default_configENS1_25partition_config_selectorILNS1_17partition_subalgoE8ElNS0_10empty_typeEbEEZZNS1_14partition_implILS5_8ELb0ES3_jPlPS6_PKS6_NS0_5tupleIJS9_S6_EEENSD_IJSA_SA_EEENS0_18inequality_wrapperIZN2at6native12_GLOBAL__N_124unique_dim_cuda_templateIsEESt5tupleIJNSH_6TensorESM_SM_EERKSM_lbbbEUlllE0_EEPmJS6_EEE10hipError_tPvRmT3_T4_T5_T6_T7_T9_mT8_P12ihipStream_tbDpT10_ENKUlT_T0_E_clISt17integral_constantIbLb0EES1B_IbLb1EEEEDaS17_S18_EUlS17_E_NS1_11comp_targetILNS1_3genE10ELNS1_11target_archE1200ELNS1_3gpuE4ELNS1_3repE0EEENS1_30default_config_static_selectorELNS0_4arch9wavefront6targetE0EEEvT1_.has_recursion, 0
	.set _ZN7rocprim17ROCPRIM_400000_NS6detail17trampoline_kernelINS0_14default_configENS1_25partition_config_selectorILNS1_17partition_subalgoE8ElNS0_10empty_typeEbEEZZNS1_14partition_implILS5_8ELb0ES3_jPlPS6_PKS6_NS0_5tupleIJS9_S6_EEENSD_IJSA_SA_EEENS0_18inequality_wrapperIZN2at6native12_GLOBAL__N_124unique_dim_cuda_templateIsEESt5tupleIJNSH_6TensorESM_SM_EERKSM_lbbbEUlllE0_EEPmJS6_EEE10hipError_tPvRmT3_T4_T5_T6_T7_T9_mT8_P12ihipStream_tbDpT10_ENKUlT_T0_E_clISt17integral_constantIbLb0EES1B_IbLb1EEEEDaS17_S18_EUlS17_E_NS1_11comp_targetILNS1_3genE10ELNS1_11target_archE1200ELNS1_3gpuE4ELNS1_3repE0EEENS1_30default_config_static_selectorELNS0_4arch9wavefront6targetE0EEEvT1_.has_indirect_call, 0
	.section	.AMDGPU.csdata,"",@progbits
; Kernel info:
; codeLenInByte = 0
; TotalNumSgprs: 0
; NumVgprs: 0
; ScratchSize: 0
; MemoryBound: 0
; FloatMode: 240
; IeeeMode: 1
; LDSByteSize: 0 bytes/workgroup (compile time only)
; SGPRBlocks: 0
; VGPRBlocks: 0
; NumSGPRsForWavesPerEU: 1
; NumVGPRsForWavesPerEU: 1
; NamedBarCnt: 0
; Occupancy: 16
; WaveLimiterHint : 0
; COMPUTE_PGM_RSRC2:SCRATCH_EN: 0
; COMPUTE_PGM_RSRC2:USER_SGPR: 2
; COMPUTE_PGM_RSRC2:TRAP_HANDLER: 0
; COMPUTE_PGM_RSRC2:TGID_X_EN: 1
; COMPUTE_PGM_RSRC2:TGID_Y_EN: 0
; COMPUTE_PGM_RSRC2:TGID_Z_EN: 0
; COMPUTE_PGM_RSRC2:TIDIG_COMP_CNT: 0
	.section	.text._ZN7rocprim17ROCPRIM_400000_NS6detail17trampoline_kernelINS0_14default_configENS1_25partition_config_selectorILNS1_17partition_subalgoE8ElNS0_10empty_typeEbEEZZNS1_14partition_implILS5_8ELb0ES3_jPlPS6_PKS6_NS0_5tupleIJS9_S6_EEENSD_IJSA_SA_EEENS0_18inequality_wrapperIZN2at6native12_GLOBAL__N_124unique_dim_cuda_templateIsEESt5tupleIJNSH_6TensorESM_SM_EERKSM_lbbbEUlllE0_EEPmJS6_EEE10hipError_tPvRmT3_T4_T5_T6_T7_T9_mT8_P12ihipStream_tbDpT10_ENKUlT_T0_E_clISt17integral_constantIbLb0EES1B_IbLb1EEEEDaS17_S18_EUlS17_E_NS1_11comp_targetILNS1_3genE9ELNS1_11target_archE1100ELNS1_3gpuE3ELNS1_3repE0EEENS1_30default_config_static_selectorELNS0_4arch9wavefront6targetE0EEEvT1_,"axG",@progbits,_ZN7rocprim17ROCPRIM_400000_NS6detail17trampoline_kernelINS0_14default_configENS1_25partition_config_selectorILNS1_17partition_subalgoE8ElNS0_10empty_typeEbEEZZNS1_14partition_implILS5_8ELb0ES3_jPlPS6_PKS6_NS0_5tupleIJS9_S6_EEENSD_IJSA_SA_EEENS0_18inequality_wrapperIZN2at6native12_GLOBAL__N_124unique_dim_cuda_templateIsEESt5tupleIJNSH_6TensorESM_SM_EERKSM_lbbbEUlllE0_EEPmJS6_EEE10hipError_tPvRmT3_T4_T5_T6_T7_T9_mT8_P12ihipStream_tbDpT10_ENKUlT_T0_E_clISt17integral_constantIbLb0EES1B_IbLb1EEEEDaS17_S18_EUlS17_E_NS1_11comp_targetILNS1_3genE9ELNS1_11target_archE1100ELNS1_3gpuE3ELNS1_3repE0EEENS1_30default_config_static_selectorELNS0_4arch9wavefront6targetE0EEEvT1_,comdat
	.globl	_ZN7rocprim17ROCPRIM_400000_NS6detail17trampoline_kernelINS0_14default_configENS1_25partition_config_selectorILNS1_17partition_subalgoE8ElNS0_10empty_typeEbEEZZNS1_14partition_implILS5_8ELb0ES3_jPlPS6_PKS6_NS0_5tupleIJS9_S6_EEENSD_IJSA_SA_EEENS0_18inequality_wrapperIZN2at6native12_GLOBAL__N_124unique_dim_cuda_templateIsEESt5tupleIJNSH_6TensorESM_SM_EERKSM_lbbbEUlllE0_EEPmJS6_EEE10hipError_tPvRmT3_T4_T5_T6_T7_T9_mT8_P12ihipStream_tbDpT10_ENKUlT_T0_E_clISt17integral_constantIbLb0EES1B_IbLb1EEEEDaS17_S18_EUlS17_E_NS1_11comp_targetILNS1_3genE9ELNS1_11target_archE1100ELNS1_3gpuE3ELNS1_3repE0EEENS1_30default_config_static_selectorELNS0_4arch9wavefront6targetE0EEEvT1_ ; -- Begin function _ZN7rocprim17ROCPRIM_400000_NS6detail17trampoline_kernelINS0_14default_configENS1_25partition_config_selectorILNS1_17partition_subalgoE8ElNS0_10empty_typeEbEEZZNS1_14partition_implILS5_8ELb0ES3_jPlPS6_PKS6_NS0_5tupleIJS9_S6_EEENSD_IJSA_SA_EEENS0_18inequality_wrapperIZN2at6native12_GLOBAL__N_124unique_dim_cuda_templateIsEESt5tupleIJNSH_6TensorESM_SM_EERKSM_lbbbEUlllE0_EEPmJS6_EEE10hipError_tPvRmT3_T4_T5_T6_T7_T9_mT8_P12ihipStream_tbDpT10_ENKUlT_T0_E_clISt17integral_constantIbLb0EES1B_IbLb1EEEEDaS17_S18_EUlS17_E_NS1_11comp_targetILNS1_3genE9ELNS1_11target_archE1100ELNS1_3gpuE3ELNS1_3repE0EEENS1_30default_config_static_selectorELNS0_4arch9wavefront6targetE0EEEvT1_
	.p2align	8
	.type	_ZN7rocprim17ROCPRIM_400000_NS6detail17trampoline_kernelINS0_14default_configENS1_25partition_config_selectorILNS1_17partition_subalgoE8ElNS0_10empty_typeEbEEZZNS1_14partition_implILS5_8ELb0ES3_jPlPS6_PKS6_NS0_5tupleIJS9_S6_EEENSD_IJSA_SA_EEENS0_18inequality_wrapperIZN2at6native12_GLOBAL__N_124unique_dim_cuda_templateIsEESt5tupleIJNSH_6TensorESM_SM_EERKSM_lbbbEUlllE0_EEPmJS6_EEE10hipError_tPvRmT3_T4_T5_T6_T7_T9_mT8_P12ihipStream_tbDpT10_ENKUlT_T0_E_clISt17integral_constantIbLb0EES1B_IbLb1EEEEDaS17_S18_EUlS17_E_NS1_11comp_targetILNS1_3genE9ELNS1_11target_archE1100ELNS1_3gpuE3ELNS1_3repE0EEENS1_30default_config_static_selectorELNS0_4arch9wavefront6targetE0EEEvT1_,@function
_ZN7rocprim17ROCPRIM_400000_NS6detail17trampoline_kernelINS0_14default_configENS1_25partition_config_selectorILNS1_17partition_subalgoE8ElNS0_10empty_typeEbEEZZNS1_14partition_implILS5_8ELb0ES3_jPlPS6_PKS6_NS0_5tupleIJS9_S6_EEENSD_IJSA_SA_EEENS0_18inequality_wrapperIZN2at6native12_GLOBAL__N_124unique_dim_cuda_templateIsEESt5tupleIJNSH_6TensorESM_SM_EERKSM_lbbbEUlllE0_EEPmJS6_EEE10hipError_tPvRmT3_T4_T5_T6_T7_T9_mT8_P12ihipStream_tbDpT10_ENKUlT_T0_E_clISt17integral_constantIbLb0EES1B_IbLb1EEEEDaS17_S18_EUlS17_E_NS1_11comp_targetILNS1_3genE9ELNS1_11target_archE1100ELNS1_3gpuE3ELNS1_3repE0EEENS1_30default_config_static_selectorELNS0_4arch9wavefront6targetE0EEEvT1_: ; @_ZN7rocprim17ROCPRIM_400000_NS6detail17trampoline_kernelINS0_14default_configENS1_25partition_config_selectorILNS1_17partition_subalgoE8ElNS0_10empty_typeEbEEZZNS1_14partition_implILS5_8ELb0ES3_jPlPS6_PKS6_NS0_5tupleIJS9_S6_EEENSD_IJSA_SA_EEENS0_18inequality_wrapperIZN2at6native12_GLOBAL__N_124unique_dim_cuda_templateIsEESt5tupleIJNSH_6TensorESM_SM_EERKSM_lbbbEUlllE0_EEPmJS6_EEE10hipError_tPvRmT3_T4_T5_T6_T7_T9_mT8_P12ihipStream_tbDpT10_ENKUlT_T0_E_clISt17integral_constantIbLb0EES1B_IbLb1EEEEDaS17_S18_EUlS17_E_NS1_11comp_targetILNS1_3genE9ELNS1_11target_archE1100ELNS1_3gpuE3ELNS1_3repE0EEENS1_30default_config_static_selectorELNS0_4arch9wavefront6targetE0EEEvT1_
; %bb.0:
	.section	.rodata,"a",@progbits
	.p2align	6, 0x0
	.amdhsa_kernel _ZN7rocprim17ROCPRIM_400000_NS6detail17trampoline_kernelINS0_14default_configENS1_25partition_config_selectorILNS1_17partition_subalgoE8ElNS0_10empty_typeEbEEZZNS1_14partition_implILS5_8ELb0ES3_jPlPS6_PKS6_NS0_5tupleIJS9_S6_EEENSD_IJSA_SA_EEENS0_18inequality_wrapperIZN2at6native12_GLOBAL__N_124unique_dim_cuda_templateIsEESt5tupleIJNSH_6TensorESM_SM_EERKSM_lbbbEUlllE0_EEPmJS6_EEE10hipError_tPvRmT3_T4_T5_T6_T7_T9_mT8_P12ihipStream_tbDpT10_ENKUlT_T0_E_clISt17integral_constantIbLb0EES1B_IbLb1EEEEDaS17_S18_EUlS17_E_NS1_11comp_targetILNS1_3genE9ELNS1_11target_archE1100ELNS1_3gpuE3ELNS1_3repE0EEENS1_30default_config_static_selectorELNS0_4arch9wavefront6targetE0EEEvT1_
		.amdhsa_group_segment_fixed_size 0
		.amdhsa_private_segment_fixed_size 0
		.amdhsa_kernarg_size 136
		.amdhsa_user_sgpr_count 2
		.amdhsa_user_sgpr_dispatch_ptr 0
		.amdhsa_user_sgpr_queue_ptr 0
		.amdhsa_user_sgpr_kernarg_segment_ptr 1
		.amdhsa_user_sgpr_dispatch_id 0
		.amdhsa_user_sgpr_kernarg_preload_length 0
		.amdhsa_user_sgpr_kernarg_preload_offset 0
		.amdhsa_user_sgpr_private_segment_size 0
		.amdhsa_wavefront_size32 1
		.amdhsa_uses_dynamic_stack 0
		.amdhsa_enable_private_segment 0
		.amdhsa_system_sgpr_workgroup_id_x 1
		.amdhsa_system_sgpr_workgroup_id_y 0
		.amdhsa_system_sgpr_workgroup_id_z 0
		.amdhsa_system_sgpr_workgroup_info 0
		.amdhsa_system_vgpr_workitem_id 0
		.amdhsa_next_free_vgpr 1
		.amdhsa_next_free_sgpr 1
		.amdhsa_named_barrier_count 0
		.amdhsa_reserve_vcc 0
		.amdhsa_float_round_mode_32 0
		.amdhsa_float_round_mode_16_64 0
		.amdhsa_float_denorm_mode_32 3
		.amdhsa_float_denorm_mode_16_64 3
		.amdhsa_fp16_overflow 0
		.amdhsa_memory_ordered 1
		.amdhsa_forward_progress 1
		.amdhsa_inst_pref_size 0
		.amdhsa_round_robin_scheduling 0
		.amdhsa_exception_fp_ieee_invalid_op 0
		.amdhsa_exception_fp_denorm_src 0
		.amdhsa_exception_fp_ieee_div_zero 0
		.amdhsa_exception_fp_ieee_overflow 0
		.amdhsa_exception_fp_ieee_underflow 0
		.amdhsa_exception_fp_ieee_inexact 0
		.amdhsa_exception_int_div_zero 0
	.end_amdhsa_kernel
	.section	.text._ZN7rocprim17ROCPRIM_400000_NS6detail17trampoline_kernelINS0_14default_configENS1_25partition_config_selectorILNS1_17partition_subalgoE8ElNS0_10empty_typeEbEEZZNS1_14partition_implILS5_8ELb0ES3_jPlPS6_PKS6_NS0_5tupleIJS9_S6_EEENSD_IJSA_SA_EEENS0_18inequality_wrapperIZN2at6native12_GLOBAL__N_124unique_dim_cuda_templateIsEESt5tupleIJNSH_6TensorESM_SM_EERKSM_lbbbEUlllE0_EEPmJS6_EEE10hipError_tPvRmT3_T4_T5_T6_T7_T9_mT8_P12ihipStream_tbDpT10_ENKUlT_T0_E_clISt17integral_constantIbLb0EES1B_IbLb1EEEEDaS17_S18_EUlS17_E_NS1_11comp_targetILNS1_3genE9ELNS1_11target_archE1100ELNS1_3gpuE3ELNS1_3repE0EEENS1_30default_config_static_selectorELNS0_4arch9wavefront6targetE0EEEvT1_,"axG",@progbits,_ZN7rocprim17ROCPRIM_400000_NS6detail17trampoline_kernelINS0_14default_configENS1_25partition_config_selectorILNS1_17partition_subalgoE8ElNS0_10empty_typeEbEEZZNS1_14partition_implILS5_8ELb0ES3_jPlPS6_PKS6_NS0_5tupleIJS9_S6_EEENSD_IJSA_SA_EEENS0_18inequality_wrapperIZN2at6native12_GLOBAL__N_124unique_dim_cuda_templateIsEESt5tupleIJNSH_6TensorESM_SM_EERKSM_lbbbEUlllE0_EEPmJS6_EEE10hipError_tPvRmT3_T4_T5_T6_T7_T9_mT8_P12ihipStream_tbDpT10_ENKUlT_T0_E_clISt17integral_constantIbLb0EES1B_IbLb1EEEEDaS17_S18_EUlS17_E_NS1_11comp_targetILNS1_3genE9ELNS1_11target_archE1100ELNS1_3gpuE3ELNS1_3repE0EEENS1_30default_config_static_selectorELNS0_4arch9wavefront6targetE0EEEvT1_,comdat
.Lfunc_end715:
	.size	_ZN7rocprim17ROCPRIM_400000_NS6detail17trampoline_kernelINS0_14default_configENS1_25partition_config_selectorILNS1_17partition_subalgoE8ElNS0_10empty_typeEbEEZZNS1_14partition_implILS5_8ELb0ES3_jPlPS6_PKS6_NS0_5tupleIJS9_S6_EEENSD_IJSA_SA_EEENS0_18inequality_wrapperIZN2at6native12_GLOBAL__N_124unique_dim_cuda_templateIsEESt5tupleIJNSH_6TensorESM_SM_EERKSM_lbbbEUlllE0_EEPmJS6_EEE10hipError_tPvRmT3_T4_T5_T6_T7_T9_mT8_P12ihipStream_tbDpT10_ENKUlT_T0_E_clISt17integral_constantIbLb0EES1B_IbLb1EEEEDaS17_S18_EUlS17_E_NS1_11comp_targetILNS1_3genE9ELNS1_11target_archE1100ELNS1_3gpuE3ELNS1_3repE0EEENS1_30default_config_static_selectorELNS0_4arch9wavefront6targetE0EEEvT1_, .Lfunc_end715-_ZN7rocprim17ROCPRIM_400000_NS6detail17trampoline_kernelINS0_14default_configENS1_25partition_config_selectorILNS1_17partition_subalgoE8ElNS0_10empty_typeEbEEZZNS1_14partition_implILS5_8ELb0ES3_jPlPS6_PKS6_NS0_5tupleIJS9_S6_EEENSD_IJSA_SA_EEENS0_18inequality_wrapperIZN2at6native12_GLOBAL__N_124unique_dim_cuda_templateIsEESt5tupleIJNSH_6TensorESM_SM_EERKSM_lbbbEUlllE0_EEPmJS6_EEE10hipError_tPvRmT3_T4_T5_T6_T7_T9_mT8_P12ihipStream_tbDpT10_ENKUlT_T0_E_clISt17integral_constantIbLb0EES1B_IbLb1EEEEDaS17_S18_EUlS17_E_NS1_11comp_targetILNS1_3genE9ELNS1_11target_archE1100ELNS1_3gpuE3ELNS1_3repE0EEENS1_30default_config_static_selectorELNS0_4arch9wavefront6targetE0EEEvT1_
                                        ; -- End function
	.set _ZN7rocprim17ROCPRIM_400000_NS6detail17trampoline_kernelINS0_14default_configENS1_25partition_config_selectorILNS1_17partition_subalgoE8ElNS0_10empty_typeEbEEZZNS1_14partition_implILS5_8ELb0ES3_jPlPS6_PKS6_NS0_5tupleIJS9_S6_EEENSD_IJSA_SA_EEENS0_18inequality_wrapperIZN2at6native12_GLOBAL__N_124unique_dim_cuda_templateIsEESt5tupleIJNSH_6TensorESM_SM_EERKSM_lbbbEUlllE0_EEPmJS6_EEE10hipError_tPvRmT3_T4_T5_T6_T7_T9_mT8_P12ihipStream_tbDpT10_ENKUlT_T0_E_clISt17integral_constantIbLb0EES1B_IbLb1EEEEDaS17_S18_EUlS17_E_NS1_11comp_targetILNS1_3genE9ELNS1_11target_archE1100ELNS1_3gpuE3ELNS1_3repE0EEENS1_30default_config_static_selectorELNS0_4arch9wavefront6targetE0EEEvT1_.num_vgpr, 0
	.set _ZN7rocprim17ROCPRIM_400000_NS6detail17trampoline_kernelINS0_14default_configENS1_25partition_config_selectorILNS1_17partition_subalgoE8ElNS0_10empty_typeEbEEZZNS1_14partition_implILS5_8ELb0ES3_jPlPS6_PKS6_NS0_5tupleIJS9_S6_EEENSD_IJSA_SA_EEENS0_18inequality_wrapperIZN2at6native12_GLOBAL__N_124unique_dim_cuda_templateIsEESt5tupleIJNSH_6TensorESM_SM_EERKSM_lbbbEUlllE0_EEPmJS6_EEE10hipError_tPvRmT3_T4_T5_T6_T7_T9_mT8_P12ihipStream_tbDpT10_ENKUlT_T0_E_clISt17integral_constantIbLb0EES1B_IbLb1EEEEDaS17_S18_EUlS17_E_NS1_11comp_targetILNS1_3genE9ELNS1_11target_archE1100ELNS1_3gpuE3ELNS1_3repE0EEENS1_30default_config_static_selectorELNS0_4arch9wavefront6targetE0EEEvT1_.num_agpr, 0
	.set _ZN7rocprim17ROCPRIM_400000_NS6detail17trampoline_kernelINS0_14default_configENS1_25partition_config_selectorILNS1_17partition_subalgoE8ElNS0_10empty_typeEbEEZZNS1_14partition_implILS5_8ELb0ES3_jPlPS6_PKS6_NS0_5tupleIJS9_S6_EEENSD_IJSA_SA_EEENS0_18inequality_wrapperIZN2at6native12_GLOBAL__N_124unique_dim_cuda_templateIsEESt5tupleIJNSH_6TensorESM_SM_EERKSM_lbbbEUlllE0_EEPmJS6_EEE10hipError_tPvRmT3_T4_T5_T6_T7_T9_mT8_P12ihipStream_tbDpT10_ENKUlT_T0_E_clISt17integral_constantIbLb0EES1B_IbLb1EEEEDaS17_S18_EUlS17_E_NS1_11comp_targetILNS1_3genE9ELNS1_11target_archE1100ELNS1_3gpuE3ELNS1_3repE0EEENS1_30default_config_static_selectorELNS0_4arch9wavefront6targetE0EEEvT1_.numbered_sgpr, 0
	.set _ZN7rocprim17ROCPRIM_400000_NS6detail17trampoline_kernelINS0_14default_configENS1_25partition_config_selectorILNS1_17partition_subalgoE8ElNS0_10empty_typeEbEEZZNS1_14partition_implILS5_8ELb0ES3_jPlPS6_PKS6_NS0_5tupleIJS9_S6_EEENSD_IJSA_SA_EEENS0_18inequality_wrapperIZN2at6native12_GLOBAL__N_124unique_dim_cuda_templateIsEESt5tupleIJNSH_6TensorESM_SM_EERKSM_lbbbEUlllE0_EEPmJS6_EEE10hipError_tPvRmT3_T4_T5_T6_T7_T9_mT8_P12ihipStream_tbDpT10_ENKUlT_T0_E_clISt17integral_constantIbLb0EES1B_IbLb1EEEEDaS17_S18_EUlS17_E_NS1_11comp_targetILNS1_3genE9ELNS1_11target_archE1100ELNS1_3gpuE3ELNS1_3repE0EEENS1_30default_config_static_selectorELNS0_4arch9wavefront6targetE0EEEvT1_.num_named_barrier, 0
	.set _ZN7rocprim17ROCPRIM_400000_NS6detail17trampoline_kernelINS0_14default_configENS1_25partition_config_selectorILNS1_17partition_subalgoE8ElNS0_10empty_typeEbEEZZNS1_14partition_implILS5_8ELb0ES3_jPlPS6_PKS6_NS0_5tupleIJS9_S6_EEENSD_IJSA_SA_EEENS0_18inequality_wrapperIZN2at6native12_GLOBAL__N_124unique_dim_cuda_templateIsEESt5tupleIJNSH_6TensorESM_SM_EERKSM_lbbbEUlllE0_EEPmJS6_EEE10hipError_tPvRmT3_T4_T5_T6_T7_T9_mT8_P12ihipStream_tbDpT10_ENKUlT_T0_E_clISt17integral_constantIbLb0EES1B_IbLb1EEEEDaS17_S18_EUlS17_E_NS1_11comp_targetILNS1_3genE9ELNS1_11target_archE1100ELNS1_3gpuE3ELNS1_3repE0EEENS1_30default_config_static_selectorELNS0_4arch9wavefront6targetE0EEEvT1_.private_seg_size, 0
	.set _ZN7rocprim17ROCPRIM_400000_NS6detail17trampoline_kernelINS0_14default_configENS1_25partition_config_selectorILNS1_17partition_subalgoE8ElNS0_10empty_typeEbEEZZNS1_14partition_implILS5_8ELb0ES3_jPlPS6_PKS6_NS0_5tupleIJS9_S6_EEENSD_IJSA_SA_EEENS0_18inequality_wrapperIZN2at6native12_GLOBAL__N_124unique_dim_cuda_templateIsEESt5tupleIJNSH_6TensorESM_SM_EERKSM_lbbbEUlllE0_EEPmJS6_EEE10hipError_tPvRmT3_T4_T5_T6_T7_T9_mT8_P12ihipStream_tbDpT10_ENKUlT_T0_E_clISt17integral_constantIbLb0EES1B_IbLb1EEEEDaS17_S18_EUlS17_E_NS1_11comp_targetILNS1_3genE9ELNS1_11target_archE1100ELNS1_3gpuE3ELNS1_3repE0EEENS1_30default_config_static_selectorELNS0_4arch9wavefront6targetE0EEEvT1_.uses_vcc, 0
	.set _ZN7rocprim17ROCPRIM_400000_NS6detail17trampoline_kernelINS0_14default_configENS1_25partition_config_selectorILNS1_17partition_subalgoE8ElNS0_10empty_typeEbEEZZNS1_14partition_implILS5_8ELb0ES3_jPlPS6_PKS6_NS0_5tupleIJS9_S6_EEENSD_IJSA_SA_EEENS0_18inequality_wrapperIZN2at6native12_GLOBAL__N_124unique_dim_cuda_templateIsEESt5tupleIJNSH_6TensorESM_SM_EERKSM_lbbbEUlllE0_EEPmJS6_EEE10hipError_tPvRmT3_T4_T5_T6_T7_T9_mT8_P12ihipStream_tbDpT10_ENKUlT_T0_E_clISt17integral_constantIbLb0EES1B_IbLb1EEEEDaS17_S18_EUlS17_E_NS1_11comp_targetILNS1_3genE9ELNS1_11target_archE1100ELNS1_3gpuE3ELNS1_3repE0EEENS1_30default_config_static_selectorELNS0_4arch9wavefront6targetE0EEEvT1_.uses_flat_scratch, 0
	.set _ZN7rocprim17ROCPRIM_400000_NS6detail17trampoline_kernelINS0_14default_configENS1_25partition_config_selectorILNS1_17partition_subalgoE8ElNS0_10empty_typeEbEEZZNS1_14partition_implILS5_8ELb0ES3_jPlPS6_PKS6_NS0_5tupleIJS9_S6_EEENSD_IJSA_SA_EEENS0_18inequality_wrapperIZN2at6native12_GLOBAL__N_124unique_dim_cuda_templateIsEESt5tupleIJNSH_6TensorESM_SM_EERKSM_lbbbEUlllE0_EEPmJS6_EEE10hipError_tPvRmT3_T4_T5_T6_T7_T9_mT8_P12ihipStream_tbDpT10_ENKUlT_T0_E_clISt17integral_constantIbLb0EES1B_IbLb1EEEEDaS17_S18_EUlS17_E_NS1_11comp_targetILNS1_3genE9ELNS1_11target_archE1100ELNS1_3gpuE3ELNS1_3repE0EEENS1_30default_config_static_selectorELNS0_4arch9wavefront6targetE0EEEvT1_.has_dyn_sized_stack, 0
	.set _ZN7rocprim17ROCPRIM_400000_NS6detail17trampoline_kernelINS0_14default_configENS1_25partition_config_selectorILNS1_17partition_subalgoE8ElNS0_10empty_typeEbEEZZNS1_14partition_implILS5_8ELb0ES3_jPlPS6_PKS6_NS0_5tupleIJS9_S6_EEENSD_IJSA_SA_EEENS0_18inequality_wrapperIZN2at6native12_GLOBAL__N_124unique_dim_cuda_templateIsEESt5tupleIJNSH_6TensorESM_SM_EERKSM_lbbbEUlllE0_EEPmJS6_EEE10hipError_tPvRmT3_T4_T5_T6_T7_T9_mT8_P12ihipStream_tbDpT10_ENKUlT_T0_E_clISt17integral_constantIbLb0EES1B_IbLb1EEEEDaS17_S18_EUlS17_E_NS1_11comp_targetILNS1_3genE9ELNS1_11target_archE1100ELNS1_3gpuE3ELNS1_3repE0EEENS1_30default_config_static_selectorELNS0_4arch9wavefront6targetE0EEEvT1_.has_recursion, 0
	.set _ZN7rocprim17ROCPRIM_400000_NS6detail17trampoline_kernelINS0_14default_configENS1_25partition_config_selectorILNS1_17partition_subalgoE8ElNS0_10empty_typeEbEEZZNS1_14partition_implILS5_8ELb0ES3_jPlPS6_PKS6_NS0_5tupleIJS9_S6_EEENSD_IJSA_SA_EEENS0_18inequality_wrapperIZN2at6native12_GLOBAL__N_124unique_dim_cuda_templateIsEESt5tupleIJNSH_6TensorESM_SM_EERKSM_lbbbEUlllE0_EEPmJS6_EEE10hipError_tPvRmT3_T4_T5_T6_T7_T9_mT8_P12ihipStream_tbDpT10_ENKUlT_T0_E_clISt17integral_constantIbLb0EES1B_IbLb1EEEEDaS17_S18_EUlS17_E_NS1_11comp_targetILNS1_3genE9ELNS1_11target_archE1100ELNS1_3gpuE3ELNS1_3repE0EEENS1_30default_config_static_selectorELNS0_4arch9wavefront6targetE0EEEvT1_.has_indirect_call, 0
	.section	.AMDGPU.csdata,"",@progbits
; Kernel info:
; codeLenInByte = 0
; TotalNumSgprs: 0
; NumVgprs: 0
; ScratchSize: 0
; MemoryBound: 0
; FloatMode: 240
; IeeeMode: 1
; LDSByteSize: 0 bytes/workgroup (compile time only)
; SGPRBlocks: 0
; VGPRBlocks: 0
; NumSGPRsForWavesPerEU: 1
; NumVGPRsForWavesPerEU: 1
; NamedBarCnt: 0
; Occupancy: 16
; WaveLimiterHint : 0
; COMPUTE_PGM_RSRC2:SCRATCH_EN: 0
; COMPUTE_PGM_RSRC2:USER_SGPR: 2
; COMPUTE_PGM_RSRC2:TRAP_HANDLER: 0
; COMPUTE_PGM_RSRC2:TGID_X_EN: 1
; COMPUTE_PGM_RSRC2:TGID_Y_EN: 0
; COMPUTE_PGM_RSRC2:TGID_Z_EN: 0
; COMPUTE_PGM_RSRC2:TIDIG_COMP_CNT: 0
	.section	.text._ZN7rocprim17ROCPRIM_400000_NS6detail17trampoline_kernelINS0_14default_configENS1_25partition_config_selectorILNS1_17partition_subalgoE8ElNS0_10empty_typeEbEEZZNS1_14partition_implILS5_8ELb0ES3_jPlPS6_PKS6_NS0_5tupleIJS9_S6_EEENSD_IJSA_SA_EEENS0_18inequality_wrapperIZN2at6native12_GLOBAL__N_124unique_dim_cuda_templateIsEESt5tupleIJNSH_6TensorESM_SM_EERKSM_lbbbEUlllE0_EEPmJS6_EEE10hipError_tPvRmT3_T4_T5_T6_T7_T9_mT8_P12ihipStream_tbDpT10_ENKUlT_T0_E_clISt17integral_constantIbLb0EES1B_IbLb1EEEEDaS17_S18_EUlS17_E_NS1_11comp_targetILNS1_3genE8ELNS1_11target_archE1030ELNS1_3gpuE2ELNS1_3repE0EEENS1_30default_config_static_selectorELNS0_4arch9wavefront6targetE0EEEvT1_,"axG",@progbits,_ZN7rocprim17ROCPRIM_400000_NS6detail17trampoline_kernelINS0_14default_configENS1_25partition_config_selectorILNS1_17partition_subalgoE8ElNS0_10empty_typeEbEEZZNS1_14partition_implILS5_8ELb0ES3_jPlPS6_PKS6_NS0_5tupleIJS9_S6_EEENSD_IJSA_SA_EEENS0_18inequality_wrapperIZN2at6native12_GLOBAL__N_124unique_dim_cuda_templateIsEESt5tupleIJNSH_6TensorESM_SM_EERKSM_lbbbEUlllE0_EEPmJS6_EEE10hipError_tPvRmT3_T4_T5_T6_T7_T9_mT8_P12ihipStream_tbDpT10_ENKUlT_T0_E_clISt17integral_constantIbLb0EES1B_IbLb1EEEEDaS17_S18_EUlS17_E_NS1_11comp_targetILNS1_3genE8ELNS1_11target_archE1030ELNS1_3gpuE2ELNS1_3repE0EEENS1_30default_config_static_selectorELNS0_4arch9wavefront6targetE0EEEvT1_,comdat
	.globl	_ZN7rocprim17ROCPRIM_400000_NS6detail17trampoline_kernelINS0_14default_configENS1_25partition_config_selectorILNS1_17partition_subalgoE8ElNS0_10empty_typeEbEEZZNS1_14partition_implILS5_8ELb0ES3_jPlPS6_PKS6_NS0_5tupleIJS9_S6_EEENSD_IJSA_SA_EEENS0_18inequality_wrapperIZN2at6native12_GLOBAL__N_124unique_dim_cuda_templateIsEESt5tupleIJNSH_6TensorESM_SM_EERKSM_lbbbEUlllE0_EEPmJS6_EEE10hipError_tPvRmT3_T4_T5_T6_T7_T9_mT8_P12ihipStream_tbDpT10_ENKUlT_T0_E_clISt17integral_constantIbLb0EES1B_IbLb1EEEEDaS17_S18_EUlS17_E_NS1_11comp_targetILNS1_3genE8ELNS1_11target_archE1030ELNS1_3gpuE2ELNS1_3repE0EEENS1_30default_config_static_selectorELNS0_4arch9wavefront6targetE0EEEvT1_ ; -- Begin function _ZN7rocprim17ROCPRIM_400000_NS6detail17trampoline_kernelINS0_14default_configENS1_25partition_config_selectorILNS1_17partition_subalgoE8ElNS0_10empty_typeEbEEZZNS1_14partition_implILS5_8ELb0ES3_jPlPS6_PKS6_NS0_5tupleIJS9_S6_EEENSD_IJSA_SA_EEENS0_18inequality_wrapperIZN2at6native12_GLOBAL__N_124unique_dim_cuda_templateIsEESt5tupleIJNSH_6TensorESM_SM_EERKSM_lbbbEUlllE0_EEPmJS6_EEE10hipError_tPvRmT3_T4_T5_T6_T7_T9_mT8_P12ihipStream_tbDpT10_ENKUlT_T0_E_clISt17integral_constantIbLb0EES1B_IbLb1EEEEDaS17_S18_EUlS17_E_NS1_11comp_targetILNS1_3genE8ELNS1_11target_archE1030ELNS1_3gpuE2ELNS1_3repE0EEENS1_30default_config_static_selectorELNS0_4arch9wavefront6targetE0EEEvT1_
	.p2align	8
	.type	_ZN7rocprim17ROCPRIM_400000_NS6detail17trampoline_kernelINS0_14default_configENS1_25partition_config_selectorILNS1_17partition_subalgoE8ElNS0_10empty_typeEbEEZZNS1_14partition_implILS5_8ELb0ES3_jPlPS6_PKS6_NS0_5tupleIJS9_S6_EEENSD_IJSA_SA_EEENS0_18inequality_wrapperIZN2at6native12_GLOBAL__N_124unique_dim_cuda_templateIsEESt5tupleIJNSH_6TensorESM_SM_EERKSM_lbbbEUlllE0_EEPmJS6_EEE10hipError_tPvRmT3_T4_T5_T6_T7_T9_mT8_P12ihipStream_tbDpT10_ENKUlT_T0_E_clISt17integral_constantIbLb0EES1B_IbLb1EEEEDaS17_S18_EUlS17_E_NS1_11comp_targetILNS1_3genE8ELNS1_11target_archE1030ELNS1_3gpuE2ELNS1_3repE0EEENS1_30default_config_static_selectorELNS0_4arch9wavefront6targetE0EEEvT1_,@function
_ZN7rocprim17ROCPRIM_400000_NS6detail17trampoline_kernelINS0_14default_configENS1_25partition_config_selectorILNS1_17partition_subalgoE8ElNS0_10empty_typeEbEEZZNS1_14partition_implILS5_8ELb0ES3_jPlPS6_PKS6_NS0_5tupleIJS9_S6_EEENSD_IJSA_SA_EEENS0_18inequality_wrapperIZN2at6native12_GLOBAL__N_124unique_dim_cuda_templateIsEESt5tupleIJNSH_6TensorESM_SM_EERKSM_lbbbEUlllE0_EEPmJS6_EEE10hipError_tPvRmT3_T4_T5_T6_T7_T9_mT8_P12ihipStream_tbDpT10_ENKUlT_T0_E_clISt17integral_constantIbLb0EES1B_IbLb1EEEEDaS17_S18_EUlS17_E_NS1_11comp_targetILNS1_3genE8ELNS1_11target_archE1030ELNS1_3gpuE2ELNS1_3repE0EEENS1_30default_config_static_selectorELNS0_4arch9wavefront6targetE0EEEvT1_: ; @_ZN7rocprim17ROCPRIM_400000_NS6detail17trampoline_kernelINS0_14default_configENS1_25partition_config_selectorILNS1_17partition_subalgoE8ElNS0_10empty_typeEbEEZZNS1_14partition_implILS5_8ELb0ES3_jPlPS6_PKS6_NS0_5tupleIJS9_S6_EEENSD_IJSA_SA_EEENS0_18inequality_wrapperIZN2at6native12_GLOBAL__N_124unique_dim_cuda_templateIsEESt5tupleIJNSH_6TensorESM_SM_EERKSM_lbbbEUlllE0_EEPmJS6_EEE10hipError_tPvRmT3_T4_T5_T6_T7_T9_mT8_P12ihipStream_tbDpT10_ENKUlT_T0_E_clISt17integral_constantIbLb0EES1B_IbLb1EEEEDaS17_S18_EUlS17_E_NS1_11comp_targetILNS1_3genE8ELNS1_11target_archE1030ELNS1_3gpuE2ELNS1_3repE0EEENS1_30default_config_static_selectorELNS0_4arch9wavefront6targetE0EEEvT1_
; %bb.0:
	.section	.rodata,"a",@progbits
	.p2align	6, 0x0
	.amdhsa_kernel _ZN7rocprim17ROCPRIM_400000_NS6detail17trampoline_kernelINS0_14default_configENS1_25partition_config_selectorILNS1_17partition_subalgoE8ElNS0_10empty_typeEbEEZZNS1_14partition_implILS5_8ELb0ES3_jPlPS6_PKS6_NS0_5tupleIJS9_S6_EEENSD_IJSA_SA_EEENS0_18inequality_wrapperIZN2at6native12_GLOBAL__N_124unique_dim_cuda_templateIsEESt5tupleIJNSH_6TensorESM_SM_EERKSM_lbbbEUlllE0_EEPmJS6_EEE10hipError_tPvRmT3_T4_T5_T6_T7_T9_mT8_P12ihipStream_tbDpT10_ENKUlT_T0_E_clISt17integral_constantIbLb0EES1B_IbLb1EEEEDaS17_S18_EUlS17_E_NS1_11comp_targetILNS1_3genE8ELNS1_11target_archE1030ELNS1_3gpuE2ELNS1_3repE0EEENS1_30default_config_static_selectorELNS0_4arch9wavefront6targetE0EEEvT1_
		.amdhsa_group_segment_fixed_size 0
		.amdhsa_private_segment_fixed_size 0
		.amdhsa_kernarg_size 136
		.amdhsa_user_sgpr_count 2
		.amdhsa_user_sgpr_dispatch_ptr 0
		.amdhsa_user_sgpr_queue_ptr 0
		.amdhsa_user_sgpr_kernarg_segment_ptr 1
		.amdhsa_user_sgpr_dispatch_id 0
		.amdhsa_user_sgpr_kernarg_preload_length 0
		.amdhsa_user_sgpr_kernarg_preload_offset 0
		.amdhsa_user_sgpr_private_segment_size 0
		.amdhsa_wavefront_size32 1
		.amdhsa_uses_dynamic_stack 0
		.amdhsa_enable_private_segment 0
		.amdhsa_system_sgpr_workgroup_id_x 1
		.amdhsa_system_sgpr_workgroup_id_y 0
		.amdhsa_system_sgpr_workgroup_id_z 0
		.amdhsa_system_sgpr_workgroup_info 0
		.amdhsa_system_vgpr_workitem_id 0
		.amdhsa_next_free_vgpr 1
		.amdhsa_next_free_sgpr 1
		.amdhsa_named_barrier_count 0
		.amdhsa_reserve_vcc 0
		.amdhsa_float_round_mode_32 0
		.amdhsa_float_round_mode_16_64 0
		.amdhsa_float_denorm_mode_32 3
		.amdhsa_float_denorm_mode_16_64 3
		.amdhsa_fp16_overflow 0
		.amdhsa_memory_ordered 1
		.amdhsa_forward_progress 1
		.amdhsa_inst_pref_size 0
		.amdhsa_round_robin_scheduling 0
		.amdhsa_exception_fp_ieee_invalid_op 0
		.amdhsa_exception_fp_denorm_src 0
		.amdhsa_exception_fp_ieee_div_zero 0
		.amdhsa_exception_fp_ieee_overflow 0
		.amdhsa_exception_fp_ieee_underflow 0
		.amdhsa_exception_fp_ieee_inexact 0
		.amdhsa_exception_int_div_zero 0
	.end_amdhsa_kernel
	.section	.text._ZN7rocprim17ROCPRIM_400000_NS6detail17trampoline_kernelINS0_14default_configENS1_25partition_config_selectorILNS1_17partition_subalgoE8ElNS0_10empty_typeEbEEZZNS1_14partition_implILS5_8ELb0ES3_jPlPS6_PKS6_NS0_5tupleIJS9_S6_EEENSD_IJSA_SA_EEENS0_18inequality_wrapperIZN2at6native12_GLOBAL__N_124unique_dim_cuda_templateIsEESt5tupleIJNSH_6TensorESM_SM_EERKSM_lbbbEUlllE0_EEPmJS6_EEE10hipError_tPvRmT3_T4_T5_T6_T7_T9_mT8_P12ihipStream_tbDpT10_ENKUlT_T0_E_clISt17integral_constantIbLb0EES1B_IbLb1EEEEDaS17_S18_EUlS17_E_NS1_11comp_targetILNS1_3genE8ELNS1_11target_archE1030ELNS1_3gpuE2ELNS1_3repE0EEENS1_30default_config_static_selectorELNS0_4arch9wavefront6targetE0EEEvT1_,"axG",@progbits,_ZN7rocprim17ROCPRIM_400000_NS6detail17trampoline_kernelINS0_14default_configENS1_25partition_config_selectorILNS1_17partition_subalgoE8ElNS0_10empty_typeEbEEZZNS1_14partition_implILS5_8ELb0ES3_jPlPS6_PKS6_NS0_5tupleIJS9_S6_EEENSD_IJSA_SA_EEENS0_18inequality_wrapperIZN2at6native12_GLOBAL__N_124unique_dim_cuda_templateIsEESt5tupleIJNSH_6TensorESM_SM_EERKSM_lbbbEUlllE0_EEPmJS6_EEE10hipError_tPvRmT3_T4_T5_T6_T7_T9_mT8_P12ihipStream_tbDpT10_ENKUlT_T0_E_clISt17integral_constantIbLb0EES1B_IbLb1EEEEDaS17_S18_EUlS17_E_NS1_11comp_targetILNS1_3genE8ELNS1_11target_archE1030ELNS1_3gpuE2ELNS1_3repE0EEENS1_30default_config_static_selectorELNS0_4arch9wavefront6targetE0EEEvT1_,comdat
.Lfunc_end716:
	.size	_ZN7rocprim17ROCPRIM_400000_NS6detail17trampoline_kernelINS0_14default_configENS1_25partition_config_selectorILNS1_17partition_subalgoE8ElNS0_10empty_typeEbEEZZNS1_14partition_implILS5_8ELb0ES3_jPlPS6_PKS6_NS0_5tupleIJS9_S6_EEENSD_IJSA_SA_EEENS0_18inequality_wrapperIZN2at6native12_GLOBAL__N_124unique_dim_cuda_templateIsEESt5tupleIJNSH_6TensorESM_SM_EERKSM_lbbbEUlllE0_EEPmJS6_EEE10hipError_tPvRmT3_T4_T5_T6_T7_T9_mT8_P12ihipStream_tbDpT10_ENKUlT_T0_E_clISt17integral_constantIbLb0EES1B_IbLb1EEEEDaS17_S18_EUlS17_E_NS1_11comp_targetILNS1_3genE8ELNS1_11target_archE1030ELNS1_3gpuE2ELNS1_3repE0EEENS1_30default_config_static_selectorELNS0_4arch9wavefront6targetE0EEEvT1_, .Lfunc_end716-_ZN7rocprim17ROCPRIM_400000_NS6detail17trampoline_kernelINS0_14default_configENS1_25partition_config_selectorILNS1_17partition_subalgoE8ElNS0_10empty_typeEbEEZZNS1_14partition_implILS5_8ELb0ES3_jPlPS6_PKS6_NS0_5tupleIJS9_S6_EEENSD_IJSA_SA_EEENS0_18inequality_wrapperIZN2at6native12_GLOBAL__N_124unique_dim_cuda_templateIsEESt5tupleIJNSH_6TensorESM_SM_EERKSM_lbbbEUlllE0_EEPmJS6_EEE10hipError_tPvRmT3_T4_T5_T6_T7_T9_mT8_P12ihipStream_tbDpT10_ENKUlT_T0_E_clISt17integral_constantIbLb0EES1B_IbLb1EEEEDaS17_S18_EUlS17_E_NS1_11comp_targetILNS1_3genE8ELNS1_11target_archE1030ELNS1_3gpuE2ELNS1_3repE0EEENS1_30default_config_static_selectorELNS0_4arch9wavefront6targetE0EEEvT1_
                                        ; -- End function
	.set _ZN7rocprim17ROCPRIM_400000_NS6detail17trampoline_kernelINS0_14default_configENS1_25partition_config_selectorILNS1_17partition_subalgoE8ElNS0_10empty_typeEbEEZZNS1_14partition_implILS5_8ELb0ES3_jPlPS6_PKS6_NS0_5tupleIJS9_S6_EEENSD_IJSA_SA_EEENS0_18inequality_wrapperIZN2at6native12_GLOBAL__N_124unique_dim_cuda_templateIsEESt5tupleIJNSH_6TensorESM_SM_EERKSM_lbbbEUlllE0_EEPmJS6_EEE10hipError_tPvRmT3_T4_T5_T6_T7_T9_mT8_P12ihipStream_tbDpT10_ENKUlT_T0_E_clISt17integral_constantIbLb0EES1B_IbLb1EEEEDaS17_S18_EUlS17_E_NS1_11comp_targetILNS1_3genE8ELNS1_11target_archE1030ELNS1_3gpuE2ELNS1_3repE0EEENS1_30default_config_static_selectorELNS0_4arch9wavefront6targetE0EEEvT1_.num_vgpr, 0
	.set _ZN7rocprim17ROCPRIM_400000_NS6detail17trampoline_kernelINS0_14default_configENS1_25partition_config_selectorILNS1_17partition_subalgoE8ElNS0_10empty_typeEbEEZZNS1_14partition_implILS5_8ELb0ES3_jPlPS6_PKS6_NS0_5tupleIJS9_S6_EEENSD_IJSA_SA_EEENS0_18inequality_wrapperIZN2at6native12_GLOBAL__N_124unique_dim_cuda_templateIsEESt5tupleIJNSH_6TensorESM_SM_EERKSM_lbbbEUlllE0_EEPmJS6_EEE10hipError_tPvRmT3_T4_T5_T6_T7_T9_mT8_P12ihipStream_tbDpT10_ENKUlT_T0_E_clISt17integral_constantIbLb0EES1B_IbLb1EEEEDaS17_S18_EUlS17_E_NS1_11comp_targetILNS1_3genE8ELNS1_11target_archE1030ELNS1_3gpuE2ELNS1_3repE0EEENS1_30default_config_static_selectorELNS0_4arch9wavefront6targetE0EEEvT1_.num_agpr, 0
	.set _ZN7rocprim17ROCPRIM_400000_NS6detail17trampoline_kernelINS0_14default_configENS1_25partition_config_selectorILNS1_17partition_subalgoE8ElNS0_10empty_typeEbEEZZNS1_14partition_implILS5_8ELb0ES3_jPlPS6_PKS6_NS0_5tupleIJS9_S6_EEENSD_IJSA_SA_EEENS0_18inequality_wrapperIZN2at6native12_GLOBAL__N_124unique_dim_cuda_templateIsEESt5tupleIJNSH_6TensorESM_SM_EERKSM_lbbbEUlllE0_EEPmJS6_EEE10hipError_tPvRmT3_T4_T5_T6_T7_T9_mT8_P12ihipStream_tbDpT10_ENKUlT_T0_E_clISt17integral_constantIbLb0EES1B_IbLb1EEEEDaS17_S18_EUlS17_E_NS1_11comp_targetILNS1_3genE8ELNS1_11target_archE1030ELNS1_3gpuE2ELNS1_3repE0EEENS1_30default_config_static_selectorELNS0_4arch9wavefront6targetE0EEEvT1_.numbered_sgpr, 0
	.set _ZN7rocprim17ROCPRIM_400000_NS6detail17trampoline_kernelINS0_14default_configENS1_25partition_config_selectorILNS1_17partition_subalgoE8ElNS0_10empty_typeEbEEZZNS1_14partition_implILS5_8ELb0ES3_jPlPS6_PKS6_NS0_5tupleIJS9_S6_EEENSD_IJSA_SA_EEENS0_18inequality_wrapperIZN2at6native12_GLOBAL__N_124unique_dim_cuda_templateIsEESt5tupleIJNSH_6TensorESM_SM_EERKSM_lbbbEUlllE0_EEPmJS6_EEE10hipError_tPvRmT3_T4_T5_T6_T7_T9_mT8_P12ihipStream_tbDpT10_ENKUlT_T0_E_clISt17integral_constantIbLb0EES1B_IbLb1EEEEDaS17_S18_EUlS17_E_NS1_11comp_targetILNS1_3genE8ELNS1_11target_archE1030ELNS1_3gpuE2ELNS1_3repE0EEENS1_30default_config_static_selectorELNS0_4arch9wavefront6targetE0EEEvT1_.num_named_barrier, 0
	.set _ZN7rocprim17ROCPRIM_400000_NS6detail17trampoline_kernelINS0_14default_configENS1_25partition_config_selectorILNS1_17partition_subalgoE8ElNS0_10empty_typeEbEEZZNS1_14partition_implILS5_8ELb0ES3_jPlPS6_PKS6_NS0_5tupleIJS9_S6_EEENSD_IJSA_SA_EEENS0_18inequality_wrapperIZN2at6native12_GLOBAL__N_124unique_dim_cuda_templateIsEESt5tupleIJNSH_6TensorESM_SM_EERKSM_lbbbEUlllE0_EEPmJS6_EEE10hipError_tPvRmT3_T4_T5_T6_T7_T9_mT8_P12ihipStream_tbDpT10_ENKUlT_T0_E_clISt17integral_constantIbLb0EES1B_IbLb1EEEEDaS17_S18_EUlS17_E_NS1_11comp_targetILNS1_3genE8ELNS1_11target_archE1030ELNS1_3gpuE2ELNS1_3repE0EEENS1_30default_config_static_selectorELNS0_4arch9wavefront6targetE0EEEvT1_.private_seg_size, 0
	.set _ZN7rocprim17ROCPRIM_400000_NS6detail17trampoline_kernelINS0_14default_configENS1_25partition_config_selectorILNS1_17partition_subalgoE8ElNS0_10empty_typeEbEEZZNS1_14partition_implILS5_8ELb0ES3_jPlPS6_PKS6_NS0_5tupleIJS9_S6_EEENSD_IJSA_SA_EEENS0_18inequality_wrapperIZN2at6native12_GLOBAL__N_124unique_dim_cuda_templateIsEESt5tupleIJNSH_6TensorESM_SM_EERKSM_lbbbEUlllE0_EEPmJS6_EEE10hipError_tPvRmT3_T4_T5_T6_T7_T9_mT8_P12ihipStream_tbDpT10_ENKUlT_T0_E_clISt17integral_constantIbLb0EES1B_IbLb1EEEEDaS17_S18_EUlS17_E_NS1_11comp_targetILNS1_3genE8ELNS1_11target_archE1030ELNS1_3gpuE2ELNS1_3repE0EEENS1_30default_config_static_selectorELNS0_4arch9wavefront6targetE0EEEvT1_.uses_vcc, 0
	.set _ZN7rocprim17ROCPRIM_400000_NS6detail17trampoline_kernelINS0_14default_configENS1_25partition_config_selectorILNS1_17partition_subalgoE8ElNS0_10empty_typeEbEEZZNS1_14partition_implILS5_8ELb0ES3_jPlPS6_PKS6_NS0_5tupleIJS9_S6_EEENSD_IJSA_SA_EEENS0_18inequality_wrapperIZN2at6native12_GLOBAL__N_124unique_dim_cuda_templateIsEESt5tupleIJNSH_6TensorESM_SM_EERKSM_lbbbEUlllE0_EEPmJS6_EEE10hipError_tPvRmT3_T4_T5_T6_T7_T9_mT8_P12ihipStream_tbDpT10_ENKUlT_T0_E_clISt17integral_constantIbLb0EES1B_IbLb1EEEEDaS17_S18_EUlS17_E_NS1_11comp_targetILNS1_3genE8ELNS1_11target_archE1030ELNS1_3gpuE2ELNS1_3repE0EEENS1_30default_config_static_selectorELNS0_4arch9wavefront6targetE0EEEvT1_.uses_flat_scratch, 0
	.set _ZN7rocprim17ROCPRIM_400000_NS6detail17trampoline_kernelINS0_14default_configENS1_25partition_config_selectorILNS1_17partition_subalgoE8ElNS0_10empty_typeEbEEZZNS1_14partition_implILS5_8ELb0ES3_jPlPS6_PKS6_NS0_5tupleIJS9_S6_EEENSD_IJSA_SA_EEENS0_18inequality_wrapperIZN2at6native12_GLOBAL__N_124unique_dim_cuda_templateIsEESt5tupleIJNSH_6TensorESM_SM_EERKSM_lbbbEUlllE0_EEPmJS6_EEE10hipError_tPvRmT3_T4_T5_T6_T7_T9_mT8_P12ihipStream_tbDpT10_ENKUlT_T0_E_clISt17integral_constantIbLb0EES1B_IbLb1EEEEDaS17_S18_EUlS17_E_NS1_11comp_targetILNS1_3genE8ELNS1_11target_archE1030ELNS1_3gpuE2ELNS1_3repE0EEENS1_30default_config_static_selectorELNS0_4arch9wavefront6targetE0EEEvT1_.has_dyn_sized_stack, 0
	.set _ZN7rocprim17ROCPRIM_400000_NS6detail17trampoline_kernelINS0_14default_configENS1_25partition_config_selectorILNS1_17partition_subalgoE8ElNS0_10empty_typeEbEEZZNS1_14partition_implILS5_8ELb0ES3_jPlPS6_PKS6_NS0_5tupleIJS9_S6_EEENSD_IJSA_SA_EEENS0_18inequality_wrapperIZN2at6native12_GLOBAL__N_124unique_dim_cuda_templateIsEESt5tupleIJNSH_6TensorESM_SM_EERKSM_lbbbEUlllE0_EEPmJS6_EEE10hipError_tPvRmT3_T4_T5_T6_T7_T9_mT8_P12ihipStream_tbDpT10_ENKUlT_T0_E_clISt17integral_constantIbLb0EES1B_IbLb1EEEEDaS17_S18_EUlS17_E_NS1_11comp_targetILNS1_3genE8ELNS1_11target_archE1030ELNS1_3gpuE2ELNS1_3repE0EEENS1_30default_config_static_selectorELNS0_4arch9wavefront6targetE0EEEvT1_.has_recursion, 0
	.set _ZN7rocprim17ROCPRIM_400000_NS6detail17trampoline_kernelINS0_14default_configENS1_25partition_config_selectorILNS1_17partition_subalgoE8ElNS0_10empty_typeEbEEZZNS1_14partition_implILS5_8ELb0ES3_jPlPS6_PKS6_NS0_5tupleIJS9_S6_EEENSD_IJSA_SA_EEENS0_18inequality_wrapperIZN2at6native12_GLOBAL__N_124unique_dim_cuda_templateIsEESt5tupleIJNSH_6TensorESM_SM_EERKSM_lbbbEUlllE0_EEPmJS6_EEE10hipError_tPvRmT3_T4_T5_T6_T7_T9_mT8_P12ihipStream_tbDpT10_ENKUlT_T0_E_clISt17integral_constantIbLb0EES1B_IbLb1EEEEDaS17_S18_EUlS17_E_NS1_11comp_targetILNS1_3genE8ELNS1_11target_archE1030ELNS1_3gpuE2ELNS1_3repE0EEENS1_30default_config_static_selectorELNS0_4arch9wavefront6targetE0EEEvT1_.has_indirect_call, 0
	.section	.AMDGPU.csdata,"",@progbits
; Kernel info:
; codeLenInByte = 0
; TotalNumSgprs: 0
; NumVgprs: 0
; ScratchSize: 0
; MemoryBound: 0
; FloatMode: 240
; IeeeMode: 1
; LDSByteSize: 0 bytes/workgroup (compile time only)
; SGPRBlocks: 0
; VGPRBlocks: 0
; NumSGPRsForWavesPerEU: 1
; NumVGPRsForWavesPerEU: 1
; NamedBarCnt: 0
; Occupancy: 16
; WaveLimiterHint : 0
; COMPUTE_PGM_RSRC2:SCRATCH_EN: 0
; COMPUTE_PGM_RSRC2:USER_SGPR: 2
; COMPUTE_PGM_RSRC2:TRAP_HANDLER: 0
; COMPUTE_PGM_RSRC2:TGID_X_EN: 1
; COMPUTE_PGM_RSRC2:TGID_Y_EN: 0
; COMPUTE_PGM_RSRC2:TGID_Z_EN: 0
; COMPUTE_PGM_RSRC2:TIDIG_COMP_CNT: 0
	.section	.text._ZN7rocprim17ROCPRIM_400000_NS6detail17trampoline_kernelINS0_14default_configENS1_25partition_config_selectorILNS1_17partition_subalgoE9EllbEEZZNS1_14partition_implILS5_9ELb0ES3_jPlS8_PNS0_10empty_typeENS0_5tupleIJS8_S9_EEENSB_IJS8_SA_EEENS0_18inequality_wrapperIZN2at6native12_GLOBAL__N_124unique_dim_cuda_templateIsEESt5tupleIJNSF_6TensorESK_SK_EERKSK_lbbbEUlllE0_EEPmJS9_EEE10hipError_tPvRmT3_T4_T5_T6_T7_T9_mT8_P12ihipStream_tbDpT10_ENKUlT_T0_E_clISt17integral_constantIbLb0EES1A_EEDaS15_S16_EUlS15_E_NS1_11comp_targetILNS1_3genE0ELNS1_11target_archE4294967295ELNS1_3gpuE0ELNS1_3repE0EEENS1_30default_config_static_selectorELNS0_4arch9wavefront6targetE0EEEvT1_,"axG",@progbits,_ZN7rocprim17ROCPRIM_400000_NS6detail17trampoline_kernelINS0_14default_configENS1_25partition_config_selectorILNS1_17partition_subalgoE9EllbEEZZNS1_14partition_implILS5_9ELb0ES3_jPlS8_PNS0_10empty_typeENS0_5tupleIJS8_S9_EEENSB_IJS8_SA_EEENS0_18inequality_wrapperIZN2at6native12_GLOBAL__N_124unique_dim_cuda_templateIsEESt5tupleIJNSF_6TensorESK_SK_EERKSK_lbbbEUlllE0_EEPmJS9_EEE10hipError_tPvRmT3_T4_T5_T6_T7_T9_mT8_P12ihipStream_tbDpT10_ENKUlT_T0_E_clISt17integral_constantIbLb0EES1A_EEDaS15_S16_EUlS15_E_NS1_11comp_targetILNS1_3genE0ELNS1_11target_archE4294967295ELNS1_3gpuE0ELNS1_3repE0EEENS1_30default_config_static_selectorELNS0_4arch9wavefront6targetE0EEEvT1_,comdat
	.globl	_ZN7rocprim17ROCPRIM_400000_NS6detail17trampoline_kernelINS0_14default_configENS1_25partition_config_selectorILNS1_17partition_subalgoE9EllbEEZZNS1_14partition_implILS5_9ELb0ES3_jPlS8_PNS0_10empty_typeENS0_5tupleIJS8_S9_EEENSB_IJS8_SA_EEENS0_18inequality_wrapperIZN2at6native12_GLOBAL__N_124unique_dim_cuda_templateIsEESt5tupleIJNSF_6TensorESK_SK_EERKSK_lbbbEUlllE0_EEPmJS9_EEE10hipError_tPvRmT3_T4_T5_T6_T7_T9_mT8_P12ihipStream_tbDpT10_ENKUlT_T0_E_clISt17integral_constantIbLb0EES1A_EEDaS15_S16_EUlS15_E_NS1_11comp_targetILNS1_3genE0ELNS1_11target_archE4294967295ELNS1_3gpuE0ELNS1_3repE0EEENS1_30default_config_static_selectorELNS0_4arch9wavefront6targetE0EEEvT1_ ; -- Begin function _ZN7rocprim17ROCPRIM_400000_NS6detail17trampoline_kernelINS0_14default_configENS1_25partition_config_selectorILNS1_17partition_subalgoE9EllbEEZZNS1_14partition_implILS5_9ELb0ES3_jPlS8_PNS0_10empty_typeENS0_5tupleIJS8_S9_EEENSB_IJS8_SA_EEENS0_18inequality_wrapperIZN2at6native12_GLOBAL__N_124unique_dim_cuda_templateIsEESt5tupleIJNSF_6TensorESK_SK_EERKSK_lbbbEUlllE0_EEPmJS9_EEE10hipError_tPvRmT3_T4_T5_T6_T7_T9_mT8_P12ihipStream_tbDpT10_ENKUlT_T0_E_clISt17integral_constantIbLb0EES1A_EEDaS15_S16_EUlS15_E_NS1_11comp_targetILNS1_3genE0ELNS1_11target_archE4294967295ELNS1_3gpuE0ELNS1_3repE0EEENS1_30default_config_static_selectorELNS0_4arch9wavefront6targetE0EEEvT1_
	.p2align	8
	.type	_ZN7rocprim17ROCPRIM_400000_NS6detail17trampoline_kernelINS0_14default_configENS1_25partition_config_selectorILNS1_17partition_subalgoE9EllbEEZZNS1_14partition_implILS5_9ELb0ES3_jPlS8_PNS0_10empty_typeENS0_5tupleIJS8_S9_EEENSB_IJS8_SA_EEENS0_18inequality_wrapperIZN2at6native12_GLOBAL__N_124unique_dim_cuda_templateIsEESt5tupleIJNSF_6TensorESK_SK_EERKSK_lbbbEUlllE0_EEPmJS9_EEE10hipError_tPvRmT3_T4_T5_T6_T7_T9_mT8_P12ihipStream_tbDpT10_ENKUlT_T0_E_clISt17integral_constantIbLb0EES1A_EEDaS15_S16_EUlS15_E_NS1_11comp_targetILNS1_3genE0ELNS1_11target_archE4294967295ELNS1_3gpuE0ELNS1_3repE0EEENS1_30default_config_static_selectorELNS0_4arch9wavefront6targetE0EEEvT1_,@function
_ZN7rocprim17ROCPRIM_400000_NS6detail17trampoline_kernelINS0_14default_configENS1_25partition_config_selectorILNS1_17partition_subalgoE9EllbEEZZNS1_14partition_implILS5_9ELb0ES3_jPlS8_PNS0_10empty_typeENS0_5tupleIJS8_S9_EEENSB_IJS8_SA_EEENS0_18inequality_wrapperIZN2at6native12_GLOBAL__N_124unique_dim_cuda_templateIsEESt5tupleIJNSF_6TensorESK_SK_EERKSK_lbbbEUlllE0_EEPmJS9_EEE10hipError_tPvRmT3_T4_T5_T6_T7_T9_mT8_P12ihipStream_tbDpT10_ENKUlT_T0_E_clISt17integral_constantIbLb0EES1A_EEDaS15_S16_EUlS15_E_NS1_11comp_targetILNS1_3genE0ELNS1_11target_archE4294967295ELNS1_3gpuE0ELNS1_3repE0EEENS1_30default_config_static_selectorELNS0_4arch9wavefront6targetE0EEEvT1_: ; @_ZN7rocprim17ROCPRIM_400000_NS6detail17trampoline_kernelINS0_14default_configENS1_25partition_config_selectorILNS1_17partition_subalgoE9EllbEEZZNS1_14partition_implILS5_9ELb0ES3_jPlS8_PNS0_10empty_typeENS0_5tupleIJS8_S9_EEENSB_IJS8_SA_EEENS0_18inequality_wrapperIZN2at6native12_GLOBAL__N_124unique_dim_cuda_templateIsEESt5tupleIJNSF_6TensorESK_SK_EERKSK_lbbbEUlllE0_EEPmJS9_EEE10hipError_tPvRmT3_T4_T5_T6_T7_T9_mT8_P12ihipStream_tbDpT10_ENKUlT_T0_E_clISt17integral_constantIbLb0EES1A_EEDaS15_S16_EUlS15_E_NS1_11comp_targetILNS1_3genE0ELNS1_11target_archE4294967295ELNS1_3gpuE0ELNS1_3repE0EEENS1_30default_config_static_selectorELNS0_4arch9wavefront6targetE0EEEvT1_
; %bb.0:
	s_clause 0x2
	s_load_b128 s[4:7], s[0:1], 0x8
	s_load_b256 s[12:19], s[0:1], 0x40
	s_load_b32 s2, s[0:1], 0x70
	s_bfe_u32 s10, ttmp6, 0x4000c
	s_and_b32 s8, ttmp6, 15
	s_add_co_i32 s10, s10, 1
	s_load_b64 s[20:21], s[0:1], 0x18
	s_mul_i32 s10, ttmp9, s10
	s_getreg_b32 s24, hwreg(HW_REG_IB_STS2, 6, 4)
	s_add_co_i32 s10, s8, s10
	s_mov_b32 s9, 0
	v_dual_mov_b32 v1, v0 :: v_dual_lshlrev_b32 v34, 3, v0
	s_mov_b32 s11, s9
	s_mov_b32 s3, -1
	s_wait_kmcnt 0x0
	s_lshl_b64 s[22:23], s[6:7], 3
	s_load_b64 s[14:15], s[14:15], 0x0
	s_mul_i32 s8, s2, 0x280
	s_cmp_eq_u32 s24, 0
	s_add_nc_u64 s[24:25], s[6:7], s[8:9]
	s_cselect_b32 s26, ttmp9, s10
	s_add_co_i32 s8, s8, s6
	v_cmp_le_u64_e64 s9, s[16:17], s[24:25]
	s_sub_co_i32 s27, s16, s8
	s_add_co_i32 s2, s2, -1
	s_addk_co_i32 s27, 0x280
	s_cmp_eq_u32 s26, s2
	s_mul_i32 s10, s26, 0x280
	s_cselect_b32 s24, -1, 0
	s_add_nc_u64 s[4:5], s[4:5], s[22:23]
	s_and_b32 s28, s24, s9
	s_lshl_b64 s[16:17], s[10:11], 3
	s_xor_b32 s25, s28, -1
	s_add_nc_u64 s[4:5], s[4:5], s[16:17]
	s_and_b32 vcc_lo, exec_lo, s25
	s_cbranch_vccz .LBB717_2
; %bb.1:
	s_clause 0x4
	global_load_b64 v[2:3], v0, s[4:5] scale_offset
	global_load_b64 v[4:5], v0, s[4:5] offset:1024 scale_offset
	global_load_b64 v[6:7], v0, s[4:5] offset:2048 scale_offset
	;; [unrolled: 1-line block ×4, first 2 shown]
	v_lshlrev_b32_e32 v12, 3, v0
	s_mov_b32 s3, 0
	s_wait_loadcnt 0x3
	ds_store_2addr_stride64_b64 v12, v[2:3], v[4:5] offset1:2
	s_wait_loadcnt 0x1
	ds_store_2addr_stride64_b64 v12, v[6:7], v[8:9] offset0:4 offset1:6
	s_wait_loadcnt 0x0
	ds_store_b64 v12, v[10:11] offset:4096
	s_wait_dscnt 0x0
	s_barrier_signal -1
	s_barrier_wait -1
.LBB717_2:
	s_load_b128 s[8:11], s[0:1], 0x60
	v_cmp_gt_u32_e64 s2, s27, v0
	s_and_not1_b32 vcc_lo, exec_lo, s3
	s_cbranch_vccnz .LBB717_14
; %bb.3:
	v_mov_b32_e32 v2, 0
	s_delay_alu instid0(VALU_DEP_1)
	v_dual_mov_b32 v3, v2 :: v_dual_mov_b32 v4, v2
	v_dual_mov_b32 v5, v2 :: v_dual_mov_b32 v6, v2
	;; [unrolled: 1-line block ×4, first 2 shown]
	v_mov_b32_e32 v11, v2
	s_and_saveexec_b32 s3, s2
	s_cbranch_execz .LBB717_5
; %bb.4:
	global_load_b64 v[4:5], v0, s[4:5] scale_offset
	v_dual_mov_b32 v6, v2 :: v_dual_mov_b32 v7, v2
	v_dual_mov_b32 v8, v2 :: v_dual_mov_b32 v9, v2
	;; [unrolled: 1-line block ×4, first 2 shown]
	s_wait_loadcnt 0x0
	v_mov_b64_e32 v[2:3], v[4:5]
	v_mov_b64_e32 v[4:5], v[6:7]
	;; [unrolled: 1-line block ×8, first 2 shown]
.LBB717_5:
	s_or_b32 exec_lo, exec_lo, s3
	v_or_b32_e32 v12, 0x80, v0
	s_mov_b32 s2, exec_lo
	s_delay_alu instid0(VALU_DEP_1)
	v_cmpx_gt_u32_e64 s27, v12
	s_cbranch_execz .LBB717_7
; %bb.6:
	global_load_b64 v[4:5], v0, s[4:5] offset:1024 scale_offset
.LBB717_7:
	s_wait_xcnt 0x0
	s_or_b32 exec_lo, exec_lo, s2
	v_or_b32_e32 v12, 0x100, v0
	s_mov_b32 s2, exec_lo
	s_delay_alu instid0(VALU_DEP_1)
	v_cmpx_gt_u32_e64 s27, v12
	s_cbranch_execz .LBB717_9
; %bb.8:
	global_load_b64 v[6:7], v0, s[4:5] offset:2048 scale_offset
.LBB717_9:
	s_wait_xcnt 0x0
	;; [unrolled: 10-line block ×4, first 2 shown]
	s_or_b32 exec_lo, exec_lo, s2
	v_lshlrev_b32_e32 v12, 3, v0
	s_wait_loadcnt 0x0
	ds_store_2addr_stride64_b64 v12, v[2:3], v[4:5] offset1:2
	ds_store_2addr_stride64_b64 v12, v[6:7], v[8:9] offset0:4 offset1:6
	ds_store_b64 v12, v[10:11] offset:4096
	s_wait_dscnt 0x0
	s_barrier_signal -1
	s_barrier_wait -1
.LBB717_14:
	v_mul_u32_u24_e32 v30, 5, v0
	s_add_nc_u64 s[2:3], s[20:21], s[22:23]
	s_and_b32 vcc_lo, exec_lo, s25
	s_add_nc_u64 s[2:3], s[2:3], s[16:17]
	s_delay_alu instid0(VALU_DEP_1)
	v_lshlrev_b32_e32 v28, 3, v30
	s_mov_b32 s16, -1
	ds_load_2addr_b64 v[14:17], v28 offset1:1
	ds_load_2addr_b64 v[10:13], v28 offset0:2 offset1:3
	ds_load_b64 v[20:21], v28 offset:32
	s_wait_dscnt 0x0
	s_barrier_signal -1
	s_barrier_wait -1
	s_cbranch_vccz .LBB717_16
; %bb.15:
	s_clause 0x4
	global_load_b64 v[2:3], v0, s[2:3] scale_offset
	global_load_b64 v[4:5], v0, s[2:3] offset:1024 scale_offset
	global_load_b64 v[6:7], v0, s[2:3] offset:2048 scale_offset
	;; [unrolled: 1-line block ×4, first 2 shown]
	v_lshlrev_b32_e32 v22, 3, v0
	s_mov_b32 s16, 0
	s_wait_loadcnt 0x3
	ds_store_2addr_stride64_b64 v22, v[2:3], v[4:5] offset1:2
	s_wait_loadcnt 0x1
	ds_store_2addr_stride64_b64 v22, v[6:7], v[8:9] offset0:4 offset1:6
	s_wait_loadcnt 0x0
	ds_store_b64 v22, v[18:19] offset:4096
	s_wait_dscnt 0x0
	s_barrier_signal -1
	s_barrier_wait -1
.LBB717_16:
	s_and_not1_b32 vcc_lo, exec_lo, s16
	s_cbranch_vccnz .LBB717_28
; %bb.17:
	s_mov_b32 s16, exec_lo
                                        ; implicit-def: $vgpr2_vgpr3
	v_cmpx_gt_u32_e64 s27, v0
	s_cbranch_execz .LBB717_19
; %bb.18:
	global_load_b64 v[2:3], v0, s[2:3] scale_offset
.LBB717_19:
	s_wait_xcnt 0x0
	s_or_b32 exec_lo, exec_lo, s16
	v_or_b32_e32 v4, 0x80, v0
	s_delay_alu instid0(VALU_DEP_1)
	v_cmp_gt_u32_e32 vcc_lo, s27, v4
                                        ; implicit-def: $vgpr4_vgpr5
	s_and_saveexec_b32 s16, vcc_lo
	s_cbranch_execz .LBB717_21
; %bb.20:
	global_load_b64 v[4:5], v0, s[2:3] offset:1024 scale_offset
.LBB717_21:
	s_wait_xcnt 0x0
	s_or_b32 exec_lo, exec_lo, s16
	v_or_b32_e32 v6, 0x100, v0
	s_delay_alu instid0(VALU_DEP_1)
	v_cmp_gt_u32_e32 vcc_lo, s27, v6
                                        ; implicit-def: $vgpr6_vgpr7
	s_and_saveexec_b32 s16, vcc_lo
	s_cbranch_execz .LBB717_23
; %bb.22:
	global_load_b64 v[6:7], v0, s[2:3] offset:2048 scale_offset
.LBB717_23:
	s_wait_xcnt 0x0
	s_or_b32 exec_lo, exec_lo, s16
	v_or_b32_e32 v8, 0x180, v0
	s_delay_alu instid0(VALU_DEP_1)
	v_cmp_gt_u32_e32 vcc_lo, s27, v8
                                        ; implicit-def: $vgpr8_vgpr9
	s_and_saveexec_b32 s16, vcc_lo
	s_cbranch_execz .LBB717_25
; %bb.24:
	global_load_b64 v[8:9], v0, s[2:3] offset:3072 scale_offset
.LBB717_25:
	s_wait_xcnt 0x0
	s_or_b32 exec_lo, exec_lo, s16
	v_or_b32_e32 v18, 0x200, v0
	s_delay_alu instid0(VALU_DEP_1)
	v_cmp_gt_u32_e32 vcc_lo, s27, v18
                                        ; implicit-def: $vgpr18_vgpr19
	s_and_saveexec_b32 s16, vcc_lo
	s_cbranch_execz .LBB717_27
; %bb.26:
	global_load_b64 v[18:19], v0, s[2:3] offset:4096 scale_offset
.LBB717_27:
	s_wait_xcnt 0x0
	s_or_b32 exec_lo, exec_lo, s16
	v_lshlrev_b32_e32 v22, 5, v0
	s_delay_alu instid0(VALU_DEP_1)
	v_sub_nc_u32_e32 v22, v28, v22
	s_wait_loadcnt 0x0
	ds_store_2addr_stride64_b64 v22, v[2:3], v[4:5] offset1:2
	ds_store_2addr_stride64_b64 v22, v[6:7], v[8:9] offset0:4 offset1:6
	ds_store_b64 v22, v[18:19] offset:4096
	s_wait_dscnt 0x0
	s_barrier_signal -1
	s_barrier_wait -1
.LBB717_28:
	ds_load_b64 v[18:19], v28 offset:32
	ds_load_2addr_b64 v[2:5], v28 offset0:2 offset1:3
	ds_load_2addr_b64 v[6:9], v28 offset1:1
	s_cmp_lg_u32 s26, 0
	v_cmp_gt_i64_e64 s17, s[18:19], 0
	s_cselect_b32 s16, -1, 0
	s_cmp_lg_u64 s[6:7], 0
	s_mov_b32 s6, 0
	s_cselect_b32 s2, -1, 0
	s_wait_dscnt 0x0
	s_or_b32 s2, s16, s2
	s_barrier_signal -1
	s_and_b32 vcc_lo, exec_lo, s2
	s_barrier_wait -1
	s_cbranch_vccz .LBB717_40
; %bb.29:
	s_add_nc_u64 s[2:3], s[4:5], -8
	v_cndmask_b32_e64 v29, 0, 1, s17
	s_load_b64 s[4:5], s[2:3], 0x0
	v_lshlrev_b32_e32 v31, 3, v0
	s_and_b32 vcc_lo, exec_lo, s25
	s_wait_xcnt 0x0
	v_cmp_ne_u32_e64 s2, 1, v29
	ds_store_b64 v31, v[20:21]
	s_cbranch_vccz .LBB717_42
; %bb.30:
	s_and_b32 vcc_lo, exec_lo, s2
	s_cbranch_vccnz .LBB717_43
; %bb.31:
	v_mul_u64_e32 v[22:23], s[18:19], v[12:13]
	v_mul_u64_e32 v[24:25], s[18:19], v[20:21]
	s_add_nc_u64 s[6:7], s[18:19], -1
	s_mov_b32 s21, 0
	s_mov_b64 s[2:3], s[6:7]
                                        ; implicit-def: $sgpr20
	s_wait_kmcnt 0x0
	s_delay_alu instid0(VALU_DEP_2) | instskip(NEXT) | instid1(VALU_DEP_2)
	v_lshl_add_u64 v[22:23], v[22:23], 1, s[8:9]
	v_lshl_add_u64 v[24:25], v[24:25], 1, s[8:9]
	s_delay_alu instid0(VALU_DEP_2)
	v_mov_b64_e32 v[26:27], v[22:23]
.LBB717_32:                             ; =>This Inner Loop Header: Depth=1
	global_load_u16 v32, v[26:27], off
	global_load_u16 v33, v[24:25], off
	s_cmp_eq_u64 s[2:3], 0
	s_add_nc_u64 s[22:23], s[2:3], -1
	s_cselect_b32 s3, -1, 0
	s_wait_xcnt 0x1
	v_add_nc_u64_e32 v[26:27], 2, v[26:27]
	s_wait_xcnt 0x0
	v_add_nc_u64_e32 v[24:25], 2, v[24:25]
	s_wait_loadcnt 0x0
	v_cmp_ne_u16_e32 vcc_lo, v32, v33
	v_cmp_eq_u16_e64 s2, v32, v33
	s_or_b32 s3, vcc_lo, s3
	s_delay_alu instid0(SALU_CYCLE_1) | instskip(NEXT) | instid1(SALU_CYCLE_1)
	s_and_b32 s3, exec_lo, s3
	s_or_b32 s21, s3, s21
	s_and_not1_b32 s20, s20, exec_lo
	s_and_b32 s29, s2, exec_lo
	s_mov_b64 s[2:3], s[22:23]
	s_or_b32 s20, s20, s29
	s_and_not1_b32 exec_lo, exec_lo, s21
	s_cbranch_execnz .LBB717_32
; %bb.33:
	s_or_b32 exec_lo, exec_lo, s21
	v_mul_u64_e32 v[24:25], s[18:19], v[10:11]
	s_mov_b32 s22, 0
	s_mov_b64 s[2:3], s[6:7]
                                        ; implicit-def: $sgpr21
	s_delay_alu instid0(VALU_DEP_1) | instskip(NEXT) | instid1(VALU_DEP_1)
	v_lshl_add_u64 v[24:25], v[24:25], 1, s[8:9]
	v_mov_b64_e32 v[26:27], v[24:25]
.LBB717_34:                             ; =>This Inner Loop Header: Depth=1
	global_load_u16 v32, v[26:27], off
	global_load_u16 v33, v[22:23], off
	s_cmp_eq_u64 s[2:3], 0
	s_add_nc_u64 s[30:31], s[2:3], -1
	s_cselect_b32 s3, -1, 0
	s_wait_xcnt 0x1
	v_add_nc_u64_e32 v[26:27], 2, v[26:27]
	s_wait_xcnt 0x0
	v_add_nc_u64_e32 v[22:23], 2, v[22:23]
	s_wait_loadcnt 0x0
	v_cmp_ne_u16_e32 vcc_lo, v32, v33
	v_cmp_eq_u16_e64 s2, v32, v33
	s_or_b32 s3, vcc_lo, s3
	s_delay_alu instid0(SALU_CYCLE_1) | instskip(NEXT) | instid1(SALU_CYCLE_1)
	s_and_b32 s3, exec_lo, s3
	s_or_b32 s22, s3, s22
	s_and_not1_b32 s21, s21, exec_lo
	s_and_b32 s23, s2, exec_lo
	s_mov_b64 s[2:3], s[30:31]
	s_or_b32 s21, s21, s23
	s_and_not1_b32 exec_lo, exec_lo, s22
	s_cbranch_execnz .LBB717_34
; %bb.35:
	s_or_b32 exec_lo, exec_lo, s22
	v_mul_u64_e32 v[22:23], s[18:19], v[16:17]
	s_mov_b32 s23, 0
	s_mov_b64 s[2:3], s[6:7]
                                        ; implicit-def: $sgpr22
	s_delay_alu instid0(VALU_DEP_1) | instskip(NEXT) | instid1(VALU_DEP_1)
	v_lshl_add_u64 v[22:23], v[22:23], 1, s[8:9]
	v_mov_b64_e32 v[26:27], v[22:23]
.LBB717_36:                             ; =>This Inner Loop Header: Depth=1
	global_load_u16 v32, v[26:27], off
	global_load_u16 v33, v[24:25], off
	s_cmp_eq_u64 s[2:3], 0
	s_add_nc_u64 s[30:31], s[2:3], -1
	s_cselect_b32 s3, -1, 0
	s_wait_xcnt 0x1
	v_add_nc_u64_e32 v[26:27], 2, v[26:27]
	s_wait_xcnt 0x0
	v_add_nc_u64_e32 v[24:25], 2, v[24:25]
	s_wait_loadcnt 0x0
	v_cmp_ne_u16_e32 vcc_lo, v32, v33
	v_cmp_eq_u16_e64 s2, v32, v33
	s_or_b32 s3, vcc_lo, s3
	s_delay_alu instid0(SALU_CYCLE_1) | instskip(NEXT) | instid1(SALU_CYCLE_1)
	s_and_b32 s3, exec_lo, s3
	s_or_b32 s23, s3, s23
	s_and_not1_b32 s22, s22, exec_lo
	s_and_b32 s29, s2, exec_lo
	s_mov_b64 s[2:3], s[30:31]
	s_or_b32 s22, s22, s29
	s_and_not1_b32 exec_lo, exec_lo, s23
	s_cbranch_execnz .LBB717_36
; %bb.37:
	s_or_b32 exec_lo, exec_lo, s23
	v_mul_u64_e32 v[24:25], s[18:19], v[14:15]
	s_mov_b32 s23, 0
                                        ; implicit-def: $sgpr3
	s_delay_alu instid0(VALU_DEP_1)
	v_lshl_add_u64 v[24:25], v[24:25], 1, s[8:9]
.LBB717_38:                             ; =>This Inner Loop Header: Depth=1
	global_load_u16 v26, v[24:25], off
	global_load_u16 v27, v[22:23], off
	s_cmp_eq_u64 s[6:7], 0
	s_add_nc_u64 s[30:31], s[6:7], -1
	s_cselect_b32 s6, -1, 0
	s_wait_xcnt 0x1
	v_add_nc_u64_e32 v[24:25], 2, v[24:25]
	s_wait_xcnt 0x0
	v_add_nc_u64_e32 v[22:23], 2, v[22:23]
	s_wait_loadcnt 0x0
	v_cmp_ne_u16_e32 vcc_lo, v26, v27
	v_cmp_eq_u16_e64 s2, v26, v27
	s_or_b32 s6, vcc_lo, s6
	s_delay_alu instid0(SALU_CYCLE_1) | instskip(NEXT) | instid1(SALU_CYCLE_1)
	s_and_b32 s6, exec_lo, s6
	s_or_b32 s23, s6, s23
	s_and_not1_b32 s3, s3, exec_lo
	s_and_b32 s2, s2, exec_lo
	s_mov_b64 s[6:7], s[30:31]
	s_or_b32 s3, s3, s2
	s_and_not1_b32 exec_lo, exec_lo, s23
	s_cbranch_execnz .LBB717_38
; %bb.39:
	s_or_b32 exec_lo, exec_lo, s23
	s_xor_b32 s2, s21, -1
	s_xor_b32 s3, s3, -1
	v_cndmask_b32_e64 v22, 0, 1, s2
	s_xor_b32 s2, s22, -1
	s_delay_alu instid0(SALU_CYCLE_1) | instskip(SKIP_1) | instid1(VALU_DEP_2)
	v_cndmask_b32_e64 v23, 0, 1, s2
	s_xor_b32 s2, s20, -1
	v_lshlrev_b16 v22, 8, v22
	v_cndmask_b32_e64 v35, 0, 1, s2
	s_delay_alu instid0(VALU_DEP_2) | instskip(NEXT) | instid1(VALU_DEP_1)
	v_lshrrev_b32_e32 v22, 8, v22
	v_lshlrev_b16 v22, 8, v22
	s_delay_alu instid0(VALU_DEP_1) | instskip(NEXT) | instid1(VALU_DEP_1)
	v_or_b32_e32 v22, v23, v22
	v_lshlrev_b32_e32 v24, 16, v22
	s_branch .LBB717_44
.LBB717_40:
                                        ; implicit-def: $sgpr2
                                        ; implicit-def: $vgpr35
                                        ; implicit-def: $vgpr25
	s_branch .LBB717_85
.LBB717_41:
                                        ; implicit-def: $vgpr24
                                        ; implicit-def: $vgpr23
                                        ; implicit-def: $vgpr36
                                        ; implicit-def: $vgpr22
	s_branch .LBB717_138
.LBB717_42:
                                        ; implicit-def: $sgpr2
                                        ; implicit-def: $vgpr35
                                        ; implicit-def: $vgpr25
	s_cbranch_execnz .LBB717_51
	s_branch .LBB717_84
.LBB717_43:
	v_dual_mov_b32 v24, 0 :: v_dual_mov_b32 v35, 0
	s_mov_b32 s3, 0
.LBB717_44:
	s_wait_kmcnt 0x0
	v_mov_b64_e32 v[22:23], s[4:5]
	s_mov_b32 s2, 0
	s_mov_b32 s6, exec_lo
	s_wait_dscnt 0x0
	s_barrier_signal -1
	s_barrier_wait -1
	v_cmpx_ne_u32_e32 0, v0
; %bb.45:
	v_add_nc_u32_e32 v22, -8, v31
	ds_load_b64 v[22:23], v22
; %bb.46:
	s_or_b32 exec_lo, exec_lo, s6
	v_cndmask_b32_e64 v25, 0, 1, s3
	v_lshrrev_b32_e32 v26, 16, v24
	s_and_not1_b32 vcc_lo, exec_lo, s17
	s_delay_alu instid0(VALU_DEP_2) | instskip(NEXT) | instid1(VALU_DEP_2)
	v_lshlrev_b16 v25, 8, v25
	v_perm_b32 v26, v26, v24, 0xc0c0304
	s_delay_alu instid0(VALU_DEP_2) | instskip(NEXT) | instid1(VALU_DEP_1)
	v_bitop3_b16 v25, v24, v25, 0xff bitop3:0xec
	v_and_b32_e32 v27, 0xffff, v25
	s_cbranch_vccnz .LBB717_50
; %bb.47:
	s_wait_dscnt 0x0
	v_mul_u64_e32 v[22:23], s[18:19], v[22:23]
	v_mul_u64_e32 v[24:25], s[18:19], v[14:15]
	s_add_nc_u64 s[2:3], s[18:19], -1
	s_mov_b32 s6, 0
                                        ; implicit-def: $sgpr7
	s_delay_alu instid0(VALU_DEP_2) | instskip(NEXT) | instid1(VALU_DEP_2)
	v_lshl_add_u64 v[22:23], v[22:23], 1, s[8:9]
	v_lshl_add_u64 v[24:25], v[24:25], 1, s[8:9]
.LBB717_48:                             ; =>This Inner Loop Header: Depth=1
	global_load_u16 v32, v[22:23], off
	global_load_u16 v33, v[24:25], off
	s_cmp_eq_u64 s[2:3], 0
	s_add_nc_u64 s[20:21], s[2:3], -1
	s_cselect_b32 s3, -1, 0
	s_wait_xcnt 0x1
	v_add_nc_u64_e32 v[22:23], 2, v[22:23]
	s_wait_xcnt 0x0
	v_add_nc_u64_e32 v[24:25], 2, v[24:25]
	s_wait_loadcnt 0x0
	v_cmp_ne_u16_e32 vcc_lo, v32, v33
	v_cmp_eq_u16_e64 s2, v32, v33
	s_or_b32 s3, vcc_lo, s3
	s_delay_alu instid0(SALU_CYCLE_1) | instskip(NEXT) | instid1(SALU_CYCLE_1)
	s_and_b32 s3, exec_lo, s3
	s_or_b32 s6, s3, s6
	s_and_not1_b32 s7, s7, exec_lo
	s_and_b32 s22, s2, exec_lo
	s_mov_b64 s[2:3], s[20:21]
	s_or_b32 s7, s7, s22
	s_and_not1_b32 exec_lo, exec_lo, s6
	s_cbranch_execnz .LBB717_48
; %bb.49:
	s_or_b32 exec_lo, exec_lo, s6
	s_xor_b32 s2, s7, -1
.LBB717_50:
	s_delay_alu instid0(VALU_DEP_1)
	v_lshl_or_b32 v25, v26, 16, v27
	s_branch .LBB717_84
.LBB717_51:
	s_wait_dscnt 0x0
	v_add_nc_u32_e32 v22, 4, v30
	s_mov_b32 s7, 0
	s_mov_b32 s6, 0
	s_mov_b32 s20, exec_lo
	s_delay_alu instid0(VALU_DEP_1)
	v_cmpx_gt_u32_e64 s27, v22
	s_cbranch_execz .LBB717_57
; %bb.52:
	s_and_not1_b32 vcc_lo, exec_lo, s17
	s_mov_b32 s2, 0
	s_cbranch_vccnz .LBB717_56
; %bb.53:
	v_mul_u64_e32 v[22:23], s[18:19], v[12:13]
	v_mul_u64_e32 v[24:25], s[18:19], v[20:21]
	s_add_nc_u64 s[2:3], s[18:19], -1
                                        ; implicit-def: $sgpr17
	s_wait_kmcnt 0x0
	s_delay_alu instid0(VALU_DEP_2) | instskip(NEXT) | instid1(VALU_DEP_2)
	v_lshl_add_u64 v[22:23], v[22:23], 1, s[8:9]
	v_lshl_add_u64 v[24:25], v[24:25], 1, s[8:9]
.LBB717_54:                             ; =>This Inner Loop Header: Depth=1
	global_load_u16 v26, v[22:23], off
	global_load_u16 v27, v[24:25], off
	s_cmp_eq_u64 s[2:3], 0
	s_add_nc_u64 s[22:23], s[2:3], -1
	s_cselect_b32 s3, -1, 0
	s_wait_xcnt 0x1
	v_add_nc_u64_e32 v[22:23], 2, v[22:23]
	s_wait_xcnt 0x0
	v_add_nc_u64_e32 v[24:25], 2, v[24:25]
	s_wait_loadcnt 0x0
	v_cmp_ne_u16_e32 vcc_lo, v26, v27
	v_cmp_eq_u16_e64 s2, v26, v27
	s_or_b32 s3, vcc_lo, s3
	s_delay_alu instid0(SALU_CYCLE_1) | instskip(NEXT) | instid1(SALU_CYCLE_1)
	s_and_b32 s3, exec_lo, s3
	s_or_b32 s6, s3, s6
	s_and_not1_b32 s17, s17, exec_lo
	s_and_b32 s21, s2, exec_lo
	s_mov_b64 s[2:3], s[22:23]
	s_or_b32 s17, s17, s21
	s_and_not1_b32 exec_lo, exec_lo, s6
	s_cbranch_execnz .LBB717_54
; %bb.55:
	s_or_b32 exec_lo, exec_lo, s6
	s_xor_b32 s2, s17, -1
.LBB717_56:
	s_delay_alu instid0(SALU_CYCLE_1)
	s_and_b32 s6, s2, exec_lo
.LBB717_57:
	s_or_b32 exec_lo, exec_lo, s20
	v_add_nc_u32_e32 v22, 3, v30
	s_mov_b32 s17, exec_lo
	s_delay_alu instid0(VALU_DEP_1)
	v_cmpx_gt_u32_e64 s27, v22
	s_cbranch_execz .LBB717_63
; %bb.58:
	v_cmp_ne_u32_e32 vcc_lo, 1, v29
	s_mov_b32 s2, 0
	s_cbranch_vccnz .LBB717_62
; %bb.59:
	v_mul_u64_e32 v[22:23], s[18:19], v[10:11]
	v_mul_u64_e32 v[24:25], s[18:19], v[12:13]
	s_add_nc_u64 s[2:3], s[18:19], -1
	s_mov_b32 s7, 0
                                        ; implicit-def: $sgpr20
	s_wait_kmcnt 0x0
	s_delay_alu instid0(VALU_DEP_2) | instskip(NEXT) | instid1(VALU_DEP_2)
	v_lshl_add_u64 v[22:23], v[22:23], 1, s[8:9]
	v_lshl_add_u64 v[24:25], v[24:25], 1, s[8:9]
.LBB717_60:                             ; =>This Inner Loop Header: Depth=1
	global_load_u16 v26, v[22:23], off
	global_load_u16 v27, v[24:25], off
	s_cmp_eq_u64 s[2:3], 0
	s_add_nc_u64 s[22:23], s[2:3], -1
	s_cselect_b32 s3, -1, 0
	s_wait_xcnt 0x1
	v_add_nc_u64_e32 v[22:23], 2, v[22:23]
	s_wait_xcnt 0x0
	v_add_nc_u64_e32 v[24:25], 2, v[24:25]
	s_wait_loadcnt 0x0
	v_cmp_ne_u16_e32 vcc_lo, v26, v27
	v_cmp_eq_u16_e64 s2, v26, v27
	s_or_b32 s3, vcc_lo, s3
	s_delay_alu instid0(SALU_CYCLE_1) | instskip(NEXT) | instid1(SALU_CYCLE_1)
	s_and_b32 s3, exec_lo, s3
	s_or_b32 s7, s3, s7
	s_and_not1_b32 s20, s20, exec_lo
	s_and_b32 s21, s2, exec_lo
	s_mov_b64 s[2:3], s[22:23]
	s_or_b32 s20, s20, s21
	s_and_not1_b32 exec_lo, exec_lo, s7
	s_cbranch_execnz .LBB717_60
; %bb.61:
	s_or_b32 exec_lo, exec_lo, s7
	s_xor_b32 s2, s20, -1
.LBB717_62:
	s_delay_alu instid0(SALU_CYCLE_1)
	s_and_b32 s7, s2, exec_lo
.LBB717_63:
	s_or_b32 exec_lo, exec_lo, s17
	v_add_nc_u32_e32 v22, 2, v30
	s_mov_b32 s17, 0
	s_mov_b32 s20, 0
	s_mov_b32 s21, exec_lo
	s_delay_alu instid0(VALU_DEP_1)
	v_cmpx_gt_u32_e64 s27, v22
	s_cbranch_execz .LBB717_69
; %bb.64:
	v_cmp_ne_u32_e32 vcc_lo, 1, v29
	s_mov_b32 s2, 0
	s_cbranch_vccnz .LBB717_68
; %bb.65:
	v_mul_u64_e32 v[22:23], s[18:19], v[16:17]
	v_mul_u64_e32 v[24:25], s[18:19], v[10:11]
	s_add_nc_u64 s[2:3], s[18:19], -1
                                        ; implicit-def: $sgpr22
	s_wait_kmcnt 0x0
	s_delay_alu instid0(VALU_DEP_2) | instskip(NEXT) | instid1(VALU_DEP_2)
	v_lshl_add_u64 v[22:23], v[22:23], 1, s[8:9]
	v_lshl_add_u64 v[24:25], v[24:25], 1, s[8:9]
.LBB717_66:                             ; =>This Inner Loop Header: Depth=1
	global_load_u16 v26, v[22:23], off
	global_load_u16 v27, v[24:25], off
	s_cmp_eq_u64 s[2:3], 0
	s_add_nc_u64 s[30:31], s[2:3], -1
	s_cselect_b32 s3, -1, 0
	s_wait_xcnt 0x1
	v_add_nc_u64_e32 v[22:23], 2, v[22:23]
	s_wait_xcnt 0x0
	v_add_nc_u64_e32 v[24:25], 2, v[24:25]
	s_wait_loadcnt 0x0
	v_cmp_ne_u16_e32 vcc_lo, v26, v27
	v_cmp_eq_u16_e64 s2, v26, v27
	s_or_b32 s3, vcc_lo, s3
	s_delay_alu instid0(SALU_CYCLE_1) | instskip(NEXT) | instid1(SALU_CYCLE_1)
	s_and_b32 s3, exec_lo, s3
	s_or_b32 s20, s3, s20
	s_and_not1_b32 s22, s22, exec_lo
	s_and_b32 s23, s2, exec_lo
	s_mov_b64 s[2:3], s[30:31]
	s_or_b32 s22, s22, s23
	s_and_not1_b32 exec_lo, exec_lo, s20
	s_cbranch_execnz .LBB717_66
; %bb.67:
	s_or_b32 exec_lo, exec_lo, s20
	s_xor_b32 s2, s22, -1
.LBB717_68:
	s_delay_alu instid0(SALU_CYCLE_1)
	s_and_b32 s20, s2, exec_lo
.LBB717_69:
	s_or_b32 exec_lo, exec_lo, s21
	v_add_nc_u32_e32 v22, 1, v30
	s_mov_b32 s21, exec_lo
	s_delay_alu instid0(VALU_DEP_1)
	v_cmpx_gt_u32_e64 s27, v22
	s_cbranch_execz .LBB717_75
; %bb.70:
	v_cmp_ne_u32_e32 vcc_lo, 1, v29
	s_mov_b32 s2, 0
	s_cbranch_vccnz .LBB717_74
; %bb.71:
	v_mul_u64_e32 v[22:23], s[18:19], v[14:15]
	v_mul_u64_e32 v[24:25], s[18:19], v[16:17]
	s_add_nc_u64 s[2:3], s[18:19], -1
	s_mov_b32 s17, 0
                                        ; implicit-def: $sgpr22
	s_wait_kmcnt 0x0
	s_delay_alu instid0(VALU_DEP_2) | instskip(NEXT) | instid1(VALU_DEP_2)
	v_lshl_add_u64 v[22:23], v[22:23], 1, s[8:9]
	v_lshl_add_u64 v[24:25], v[24:25], 1, s[8:9]
.LBB717_72:                             ; =>This Inner Loop Header: Depth=1
	global_load_u16 v26, v[22:23], off
	global_load_u16 v27, v[24:25], off
	s_cmp_eq_u64 s[2:3], 0
	s_add_nc_u64 s[30:31], s[2:3], -1
	s_cselect_b32 s3, -1, 0
	s_wait_xcnt 0x1
	v_add_nc_u64_e32 v[22:23], 2, v[22:23]
	s_wait_xcnt 0x0
	v_add_nc_u64_e32 v[24:25], 2, v[24:25]
	s_wait_loadcnt 0x0
	v_cmp_ne_u16_e32 vcc_lo, v26, v27
	v_cmp_eq_u16_e64 s2, v26, v27
	s_or_b32 s3, vcc_lo, s3
	s_delay_alu instid0(SALU_CYCLE_1) | instskip(NEXT) | instid1(SALU_CYCLE_1)
	s_and_b32 s3, exec_lo, s3
	s_or_b32 s17, s3, s17
	s_and_not1_b32 s22, s22, exec_lo
	s_and_b32 s23, s2, exec_lo
	s_mov_b64 s[2:3], s[30:31]
	s_or_b32 s22, s22, s23
	s_and_not1_b32 exec_lo, exec_lo, s17
	s_cbranch_execnz .LBB717_72
; %bb.73:
	s_or_b32 exec_lo, exec_lo, s17
	s_xor_b32 s2, s22, -1
.LBB717_74:
	s_delay_alu instid0(SALU_CYCLE_1)
	s_and_b32 s17, s2, exec_lo
.LBB717_75:
	s_or_b32 exec_lo, exec_lo, s21
	s_wait_kmcnt 0x0
	v_mov_b64_e32 v[22:23], s[4:5]
	s_mov_b32 s2, 0
	s_mov_b32 s3, exec_lo
	s_barrier_signal -1
	s_barrier_wait -1
	v_cmpx_ne_u32_e32 0, v0
; %bb.76:
	v_add_nc_u32_e32 v22, -8, v31
	ds_load_b64 v[22:23], v22
; %bb.77:
	s_or_b32 exec_lo, exec_lo, s3
	v_cndmask_b32_e64 v24, 0, 1, s7
	v_cndmask_b32_e64 v25, 0, 1, s20
	;; [unrolled: 1-line block ×3, first 2 shown]
	s_mov_b32 s4, exec_lo
	s_delay_alu instid0(VALU_DEP_3) | instskip(NEXT) | instid1(VALU_DEP_2)
	v_lshlrev_b16 v24, 8, v24
	v_lshlrev_b16 v26, 8, v26
	s_delay_alu instid0(VALU_DEP_2) | instskip(NEXT) | instid1(VALU_DEP_2)
	v_or_b32_e32 v24, v25, v24
	v_and_b32_e32 v26, 0xffff, v26
	s_delay_alu instid0(VALU_DEP_2)
	v_lshlrev_b32_e32 v27, 16, v24
	v_cmpx_gt_u32_e64 s27, v30
	s_cbranch_execz .LBB717_83
; %bb.78:
	v_cmp_ne_u32_e32 vcc_lo, 1, v29
	s_cbranch_vccnz .LBB717_82
; %bb.79:
	s_wait_dscnt 0x0
	v_mul_u64_e32 v[22:23], s[18:19], v[22:23]
	v_mul_u64_e32 v[24:25], s[18:19], v[14:15]
	s_add_nc_u64 s[2:3], s[18:19], -1
	s_mov_b32 s5, 0
                                        ; implicit-def: $sgpr7
	s_delay_alu instid0(VALU_DEP_2) | instskip(NEXT) | instid1(VALU_DEP_2)
	v_lshl_add_u64 v[22:23], v[22:23], 1, s[8:9]
	v_lshl_add_u64 v[24:25], v[24:25], 1, s[8:9]
.LBB717_80:                             ; =>This Inner Loop Header: Depth=1
	global_load_u16 v29, v[22:23], off
	global_load_u16 v31, v[24:25], off
	s_cmp_eq_u64 s[2:3], 0
	s_add_nc_u64 s[20:21], s[2:3], -1
	s_cselect_b32 s3, -1, 0
	s_wait_xcnt 0x1
	v_add_nc_u64_e32 v[22:23], 2, v[22:23]
	s_wait_xcnt 0x0
	v_add_nc_u64_e32 v[24:25], 2, v[24:25]
	s_wait_loadcnt 0x0
	v_cmp_ne_u16_e32 vcc_lo, v29, v31
	v_cmp_eq_u16_e64 s2, v29, v31
	s_or_b32 s3, vcc_lo, s3
	s_delay_alu instid0(SALU_CYCLE_1) | instskip(NEXT) | instid1(SALU_CYCLE_1)
	s_and_b32 s3, exec_lo, s3
	s_or_b32 s5, s3, s5
	s_and_not1_b32 s7, s7, exec_lo
	s_and_b32 s17, s2, exec_lo
	s_mov_b64 s[2:3], s[20:21]
	s_or_b32 s7, s7, s17
	s_and_not1_b32 exec_lo, exec_lo, s5
	s_cbranch_execnz .LBB717_80
; %bb.81:
	s_or_b32 exec_lo, exec_lo, s5
	s_xor_b32 s2, s7, -1
.LBB717_82:
	s_delay_alu instid0(SALU_CYCLE_1)
	s_and_b32 s2, s2, exec_lo
.LBB717_83:
	s_or_b32 exec_lo, exec_lo, s4
	v_cndmask_b32_e64 v35, 0, 1, s6
	v_or_b32_e32 v25, v26, v27
.LBB717_84:
	s_mov_b32 s6, -1
	s_cbranch_execnz .LBB717_41
.LBB717_85:
	s_wait_dscnt 0x0
	v_lshlrev_b32_e32 v22, 5, v0
	v_cmp_gt_i64_e64 s7, s[18:19], 0
	s_and_b32 vcc_lo, exec_lo, s25
	v_sub_nc_u32_e32 v31, v28, v22
	ds_store_b64 v31, v[20:21]
	s_cbranch_vccz .LBB717_96
; %bb.86:
	s_and_not1_b32 vcc_lo, exec_lo, s7
	s_cbranch_vccnz .LBB717_97
; %bb.87:
	v_mul_u64_e32 v[22:23], s[18:19], v[12:13]
	v_mul_u64_e32 v[24:25], s[18:19], v[20:21]
	s_wait_kmcnt 0x0
	s_add_nc_u64 s[4:5], s[18:19], -1
	s_mov_b32 s20, 0
	s_mov_b64 s[2:3], s[4:5]
                                        ; implicit-def: $sgpr17
	s_delay_alu instid0(VALU_DEP_2) | instskip(NEXT) | instid1(VALU_DEP_2)
	v_lshl_add_u64 v[22:23], v[22:23], 1, s[8:9]
	v_lshl_add_u64 v[24:25], v[24:25], 1, s[8:9]
	s_delay_alu instid0(VALU_DEP_2)
	v_mov_b64_e32 v[26:27], v[22:23]
.LBB717_88:                             ; =>This Inner Loop Header: Depth=1
	global_load_u16 v28, v[26:27], off
	global_load_u16 v29, v[24:25], off
	s_cmp_eq_u64 s[2:3], 0
	s_add_nc_u64 s[22:23], s[2:3], -1
	s_cselect_b32 s3, -1, 0
	s_wait_xcnt 0x1
	v_add_nc_u64_e32 v[26:27], 2, v[26:27]
	s_wait_xcnt 0x0
	v_add_nc_u64_e32 v[24:25], 2, v[24:25]
	s_wait_loadcnt 0x0
	v_cmp_ne_u16_e32 vcc_lo, v28, v29
	v_cmp_eq_u16_e64 s2, v28, v29
	s_or_b32 s3, vcc_lo, s3
	s_delay_alu instid0(SALU_CYCLE_1) | instskip(NEXT) | instid1(SALU_CYCLE_1)
	s_and_b32 s3, exec_lo, s3
	s_or_b32 s20, s3, s20
	s_and_not1_b32 s17, s17, exec_lo
	s_and_b32 s21, s2, exec_lo
	s_mov_b64 s[2:3], s[22:23]
	s_or_b32 s17, s17, s21
	s_and_not1_b32 exec_lo, exec_lo, s20
	s_cbranch_execnz .LBB717_88
; %bb.89:
	s_or_b32 exec_lo, exec_lo, s20
	v_mul_u64_e32 v[24:25], s[18:19], v[10:11]
	s_mov_b32 s21, 0
	s_mov_b64 s[2:3], s[4:5]
                                        ; implicit-def: $sgpr20
	s_delay_alu instid0(VALU_DEP_1) | instskip(NEXT) | instid1(VALU_DEP_1)
	v_lshl_add_u64 v[24:25], v[24:25], 1, s[8:9]
	v_mov_b64_e32 v[26:27], v[24:25]
.LBB717_90:                             ; =>This Inner Loop Header: Depth=1
	global_load_u16 v28, v[26:27], off
	global_load_u16 v29, v[22:23], off
	s_cmp_eq_u64 s[2:3], 0
	s_add_nc_u64 s[22:23], s[2:3], -1
	s_cselect_b32 s3, -1, 0
	s_wait_xcnt 0x1
	v_add_nc_u64_e32 v[26:27], 2, v[26:27]
	s_wait_xcnt 0x0
	v_add_nc_u64_e32 v[22:23], 2, v[22:23]
	s_wait_loadcnt 0x0
	v_cmp_ne_u16_e32 vcc_lo, v28, v29
	v_cmp_eq_u16_e64 s2, v28, v29
	s_or_b32 s3, vcc_lo, s3
	s_delay_alu instid0(SALU_CYCLE_1) | instskip(NEXT) | instid1(SALU_CYCLE_1)
	s_and_b32 s3, exec_lo, s3
	s_or_b32 s21, s3, s21
	s_and_not1_b32 s20, s20, exec_lo
	s_and_b32 s29, s2, exec_lo
	s_mov_b64 s[2:3], s[22:23]
	s_or_b32 s20, s20, s29
	s_and_not1_b32 exec_lo, exec_lo, s21
	s_cbranch_execnz .LBB717_90
; %bb.91:
	s_or_b32 exec_lo, exec_lo, s21
	v_mul_u64_e32 v[22:23], s[18:19], v[16:17]
	s_mov_b32 s22, 0
	s_mov_b64 s[2:3], s[4:5]
                                        ; implicit-def: $sgpr21
	s_delay_alu instid0(VALU_DEP_1) | instskip(NEXT) | instid1(VALU_DEP_1)
	v_lshl_add_u64 v[22:23], v[22:23], 1, s[8:9]
	v_mov_b64_e32 v[26:27], v[22:23]
.LBB717_92:                             ; =>This Inner Loop Header: Depth=1
	global_load_u16 v28, v[26:27], off
	global_load_u16 v29, v[24:25], off
	s_cmp_eq_u64 s[2:3], 0
	s_add_nc_u64 s[30:31], s[2:3], -1
	s_cselect_b32 s3, -1, 0
	s_wait_xcnt 0x1
	v_add_nc_u64_e32 v[26:27], 2, v[26:27]
	s_wait_xcnt 0x0
	v_add_nc_u64_e32 v[24:25], 2, v[24:25]
	s_wait_loadcnt 0x0
	v_cmp_ne_u16_e32 vcc_lo, v28, v29
	v_cmp_eq_u16_e64 s2, v28, v29
	s_or_b32 s3, vcc_lo, s3
	s_delay_alu instid0(SALU_CYCLE_1) | instskip(NEXT) | instid1(SALU_CYCLE_1)
	s_and_b32 s3, exec_lo, s3
	s_or_b32 s22, s3, s22
	s_and_not1_b32 s21, s21, exec_lo
	s_and_b32 s23, s2, exec_lo
	s_mov_b64 s[2:3], s[30:31]
	s_or_b32 s21, s21, s23
	s_and_not1_b32 exec_lo, exec_lo, s22
	s_cbranch_execnz .LBB717_92
; %bb.93:
	s_or_b32 exec_lo, exec_lo, s22
	v_mul_u64_e32 v[24:25], s[18:19], v[14:15]
	s_mov_b32 s22, 0
                                        ; implicit-def: $sgpr3
	s_delay_alu instid0(VALU_DEP_1)
	v_lshl_add_u64 v[24:25], v[24:25], 1, s[8:9]
.LBB717_94:                             ; =>This Inner Loop Header: Depth=1
	global_load_u16 v26, v[24:25], off
	global_load_u16 v27, v[22:23], off
	s_cmp_eq_u64 s[4:5], 0
	s_add_nc_u64 s[30:31], s[4:5], -1
	s_cselect_b32 s4, -1, 0
	s_wait_xcnt 0x1
	v_add_nc_u64_e32 v[24:25], 2, v[24:25]
	s_wait_xcnt 0x0
	v_add_nc_u64_e32 v[22:23], 2, v[22:23]
	s_wait_loadcnt 0x0
	v_cmp_ne_u16_e32 vcc_lo, v26, v27
	v_cmp_eq_u16_e64 s2, v26, v27
	s_or_b32 s4, vcc_lo, s4
	s_delay_alu instid0(SALU_CYCLE_1) | instskip(NEXT) | instid1(SALU_CYCLE_1)
	s_and_b32 s4, exec_lo, s4
	s_or_b32 s22, s4, s22
	s_and_not1_b32 s3, s3, exec_lo
	s_and_b32 s2, s2, exec_lo
	s_mov_b64 s[4:5], s[30:31]
	s_or_b32 s3, s3, s2
	s_and_not1_b32 exec_lo, exec_lo, s22
	s_cbranch_execnz .LBB717_94
; %bb.95:
	s_or_b32 exec_lo, exec_lo, s22
	s_xor_b32 s2, s20, -1
	s_delay_alu instid0(SALU_CYCLE_1) | instskip(SKIP_1) | instid1(SALU_CYCLE_1)
	v_cndmask_b32_e64 v22, 0, 1, s2
	s_xor_b32 s2, s21, -1
	v_cndmask_b32_e64 v23, 0, 1, s2
	s_xor_b32 s2, s17, -1
	s_delay_alu instid0(VALU_DEP_2) | instskip(SKIP_2) | instid1(VALU_DEP_2)
	v_lshlrev_b16 v22, 8, v22
	v_cndmask_b32_e64 v35, 0, 1, s2
	s_xor_b32 s2, s3, -1
	v_lshrrev_b32_e32 v22, 8, v22
	s_delay_alu instid0(VALU_DEP_1) | instskip(NEXT) | instid1(VALU_DEP_1)
	v_lshlrev_b16 v22, 8, v22
	v_or_b32_e32 v22, v23, v22
	s_delay_alu instid0(VALU_DEP_1)
	v_lshlrev_b32_e32 v22, 16, v22
	s_branch .LBB717_98
.LBB717_96:
	s_wait_kmcnt 0x0
                                        ; implicit-def: $sgpr2
                                        ; implicit-def: $vgpr35
                                        ; implicit-def: $vgpr25
                                        ; implicit-def: $vgpr24
                                        ; implicit-def: $vgpr23
                                        ; implicit-def: $vgpr36
                                        ; implicit-def: $vgpr22
	s_cbranch_execnz .LBB717_105
	s_branch .LBB717_138
.LBB717_97:
	v_dual_mov_b32 v22, 0 :: v_dual_mov_b32 v35, 0
	s_mov_b32 s2, 0
.LBB717_98:
	s_delay_alu instid0(VALU_DEP_1)
	v_dual_lshrrev_b32 v36, 16, v22 :: v_dual_lshrrev_b32 v22, 24, v22
	v_cndmask_b32_e64 v23, 0, 1, s2
	v_mov_b32_e32 v24, 1
	s_wait_kmcnt 0x0
	s_mov_b32 s4, 0
	s_wait_dscnt 0x0
	s_barrier_signal -1
	s_barrier_wait -1
                                        ; implicit-def: $sgpr2
                                        ; implicit-def: $vgpr25
	s_mov_b32 s3, exec_lo
	v_cmpx_ne_u32_e32 0, v0
	s_xor_b32 s5, exec_lo, s3
	s_cbranch_execz .LBB717_104
; %bb.99:
	v_lshlrev_b16 v25, 8, v22
	v_lshlrev_b16 v26, 8, v23
	s_and_not1_b32 vcc_lo, exec_lo, s7
	s_mov_b32 s2, 0
	s_delay_alu instid0(VALU_DEP_2) | instskip(NEXT) | instid1(VALU_DEP_1)
	v_bitop3_b16 v25, v36, v25, 0xff bitop3:0xec
	v_dual_lshlrev_b32 v25, 16, v25 :: v_dual_bitop2_b32 v26, 1, v26 bitop3:0x54
	s_delay_alu instid0(VALU_DEP_1) | instskip(NEXT) | instid1(VALU_DEP_1)
	v_and_b32_e32 v26, 0xffff, v26
	v_or_b32_e32 v25, v26, v25
	s_cbranch_vccnz .LBB717_103
; %bb.100:
	v_add_nc_u32_e32 v26, -8, v31
	v_mul_u64_e32 v[28:29], s[18:19], v[14:15]
	s_add_nc_u64 s[2:3], s[18:19], -1
	s_mov_b32 s17, 0
                                        ; implicit-def: $sgpr20
	ds_load_b64 v[26:27], v26
	s_wait_dscnt 0x0
	v_mul_u64_e32 v[26:27], s[18:19], v[26:27]
	v_lshl_add_u64 v[28:29], v[28:29], 1, s[8:9]
	s_delay_alu instid0(VALU_DEP_2)
	v_lshl_add_u64 v[26:27], v[26:27], 1, s[8:9]
.LBB717_101:                            ; =>This Inner Loop Header: Depth=1
	global_load_u16 v32, v[26:27], off
	global_load_u16 v33, v[28:29], off
	s_cmp_eq_u64 s[2:3], 0
	s_add_nc_u64 s[22:23], s[2:3], -1
	s_cselect_b32 s3, -1, 0
	s_wait_xcnt 0x1
	v_add_nc_u64_e32 v[26:27], 2, v[26:27]
	s_wait_xcnt 0x0
	v_add_nc_u64_e32 v[28:29], 2, v[28:29]
	s_wait_loadcnt 0x0
	v_cmp_ne_u16_e32 vcc_lo, v32, v33
	v_cmp_eq_u16_e64 s2, v32, v33
	s_or_b32 s3, vcc_lo, s3
	s_delay_alu instid0(SALU_CYCLE_1) | instskip(NEXT) | instid1(SALU_CYCLE_1)
	s_and_b32 s3, exec_lo, s3
	s_or_b32 s17, s3, s17
	s_and_not1_b32 s20, s20, exec_lo
	s_and_b32 s21, s2, exec_lo
	s_mov_b64 s[2:3], s[22:23]
	s_or_b32 s20, s20, s21
	s_and_not1_b32 exec_lo, exec_lo, s17
	s_cbranch_execnz .LBB717_101
; %bb.102:
	s_or_b32 exec_lo, exec_lo, s17
	s_xor_b32 s2, s20, -1
.LBB717_103:
	s_delay_alu instid0(VALU_DEP_1)
	v_perm_b32 v25, v25, v25, 0x3020104
	s_or_b32 s6, s6, exec_lo
.LBB717_104:
	s_or_b32 exec_lo, exec_lo, s5
	s_delay_alu instid0(SALU_CYCLE_1)
	s_and_b32 vcc_lo, exec_lo, s4
	s_cbranch_vccz .LBB717_138
.LBB717_105:
	v_add_nc_u32_e32 v22, 4, v30
	s_mov_b32 s4, 0
	s_mov_b32 s5, 0
	s_mov_b32 s17, exec_lo
	s_delay_alu instid0(VALU_DEP_1)
	v_cmpx_gt_u32_e64 s27, v22
	s_cbranch_execz .LBB717_111
; %bb.106:
	s_and_not1_b32 vcc_lo, exec_lo, s7
	s_mov_b32 s2, 0
	s_cbranch_vccnz .LBB717_110
; %bb.107:
	v_mul_u64_e32 v[22:23], s[18:19], v[12:13]
	v_mul_u64_e32 v[24:25], s[18:19], v[20:21]
	s_add_nc_u64 s[2:3], s[18:19], -1
                                        ; implicit-def: $sgpr20
	s_delay_alu instid0(VALU_DEP_2) | instskip(NEXT) | instid1(VALU_DEP_2)
	v_lshl_add_u64 v[22:23], v[22:23], 1, s[8:9]
	v_lshl_add_u64 v[24:25], v[24:25], 1, s[8:9]
.LBB717_108:                            ; =>This Inner Loop Header: Depth=1
	global_load_u16 v26, v[22:23], off
	global_load_u16 v27, v[24:25], off
	s_cmp_eq_u64 s[2:3], 0
	s_add_nc_u64 s[22:23], s[2:3], -1
	s_cselect_b32 s3, -1, 0
	s_wait_xcnt 0x1
	v_add_nc_u64_e32 v[22:23], 2, v[22:23]
	s_wait_xcnt 0x0
	v_add_nc_u64_e32 v[24:25], 2, v[24:25]
	s_wait_loadcnt 0x0
	v_cmp_ne_u16_e32 vcc_lo, v26, v27
	v_cmp_eq_u16_e64 s2, v26, v27
	s_or_b32 s3, vcc_lo, s3
	s_delay_alu instid0(SALU_CYCLE_1) | instskip(NEXT) | instid1(SALU_CYCLE_1)
	s_and_b32 s3, exec_lo, s3
	s_or_b32 s5, s3, s5
	s_and_not1_b32 s20, s20, exec_lo
	s_and_b32 s21, s2, exec_lo
	s_mov_b64 s[2:3], s[22:23]
	s_or_b32 s20, s20, s21
	s_and_not1_b32 exec_lo, exec_lo, s5
	s_cbranch_execnz .LBB717_108
; %bb.109:
	s_or_b32 exec_lo, exec_lo, s5
	s_xor_b32 s2, s20, -1
.LBB717_110:
	s_delay_alu instid0(SALU_CYCLE_1)
	s_and_b32 s5, s2, exec_lo
.LBB717_111:
	s_or_b32 exec_lo, exec_lo, s17
	v_add_nc_u32_e32 v22, 3, v30
	s_mov_b32 s17, exec_lo
	s_delay_alu instid0(VALU_DEP_1)
	v_cmpx_gt_u32_e64 s27, v22
	s_cbranch_execz .LBB717_117
; %bb.112:
	s_and_not1_b32 vcc_lo, exec_lo, s7
	s_mov_b32 s2, 0
	s_cbranch_vccnz .LBB717_116
; %bb.113:
	v_mul_u64_e32 v[22:23], s[18:19], v[10:11]
	v_mul_u64_e32 v[24:25], s[18:19], v[12:13]
	s_add_nc_u64 s[2:3], s[18:19], -1
	s_mov_b32 s4, 0
                                        ; implicit-def: $sgpr20
	s_delay_alu instid0(VALU_DEP_2) | instskip(NEXT) | instid1(VALU_DEP_2)
	v_lshl_add_u64 v[22:23], v[22:23], 1, s[8:9]
	v_lshl_add_u64 v[24:25], v[24:25], 1, s[8:9]
.LBB717_114:                            ; =>This Inner Loop Header: Depth=1
	global_load_u16 v26, v[22:23], off
	global_load_u16 v27, v[24:25], off
	s_cmp_eq_u64 s[2:3], 0
	s_add_nc_u64 s[22:23], s[2:3], -1
	s_cselect_b32 s3, -1, 0
	s_wait_xcnt 0x1
	v_add_nc_u64_e32 v[22:23], 2, v[22:23]
	s_wait_xcnt 0x0
	v_add_nc_u64_e32 v[24:25], 2, v[24:25]
	s_wait_loadcnt 0x0
	v_cmp_ne_u16_e32 vcc_lo, v26, v27
	v_cmp_eq_u16_e64 s2, v26, v27
	s_or_b32 s3, vcc_lo, s3
	s_delay_alu instid0(SALU_CYCLE_1) | instskip(NEXT) | instid1(SALU_CYCLE_1)
	s_and_b32 s3, exec_lo, s3
	s_or_b32 s4, s3, s4
	s_and_not1_b32 s20, s20, exec_lo
	s_and_b32 s21, s2, exec_lo
	s_mov_b64 s[2:3], s[22:23]
	s_or_b32 s20, s20, s21
	s_and_not1_b32 exec_lo, exec_lo, s4
	s_cbranch_execnz .LBB717_114
; %bb.115:
	s_or_b32 exec_lo, exec_lo, s4
	s_xor_b32 s2, s20, -1
.LBB717_116:
	s_delay_alu instid0(SALU_CYCLE_1)
	s_and_b32 s4, s2, exec_lo
.LBB717_117:
	s_or_b32 exec_lo, exec_lo, s17
	v_add_nc_u32_e32 v22, 2, v30
	s_mov_b32 s17, 0
	s_mov_b32 s20, 0
	s_mov_b32 s21, exec_lo
	s_delay_alu instid0(VALU_DEP_1)
	v_cmpx_gt_u32_e64 s27, v22
	s_cbranch_execz .LBB717_123
; %bb.118:
	s_and_not1_b32 vcc_lo, exec_lo, s7
	s_mov_b32 s2, 0
	s_cbranch_vccnz .LBB717_122
; %bb.119:
	v_mul_u64_e32 v[22:23], s[18:19], v[16:17]
	v_mul_u64_e32 v[24:25], s[18:19], v[10:11]
	s_add_nc_u64 s[2:3], s[18:19], -1
                                        ; implicit-def: $sgpr22
	s_delay_alu instid0(VALU_DEP_2) | instskip(NEXT) | instid1(VALU_DEP_2)
	v_lshl_add_u64 v[22:23], v[22:23], 1, s[8:9]
	v_lshl_add_u64 v[24:25], v[24:25], 1, s[8:9]
.LBB717_120:                            ; =>This Inner Loop Header: Depth=1
	global_load_u16 v26, v[22:23], off
	global_load_u16 v27, v[24:25], off
	s_cmp_eq_u64 s[2:3], 0
	s_add_nc_u64 s[30:31], s[2:3], -1
	s_cselect_b32 s3, -1, 0
	s_wait_xcnt 0x1
	v_add_nc_u64_e32 v[22:23], 2, v[22:23]
	s_wait_xcnt 0x0
	v_add_nc_u64_e32 v[24:25], 2, v[24:25]
	s_wait_loadcnt 0x0
	v_cmp_ne_u16_e32 vcc_lo, v26, v27
	v_cmp_eq_u16_e64 s2, v26, v27
	s_or_b32 s3, vcc_lo, s3
	s_delay_alu instid0(SALU_CYCLE_1) | instskip(NEXT) | instid1(SALU_CYCLE_1)
	s_and_b32 s3, exec_lo, s3
	s_or_b32 s20, s3, s20
	s_and_not1_b32 s22, s22, exec_lo
	s_and_b32 s23, s2, exec_lo
	s_mov_b64 s[2:3], s[30:31]
	s_or_b32 s22, s22, s23
	s_and_not1_b32 exec_lo, exec_lo, s20
	s_cbranch_execnz .LBB717_120
; %bb.121:
	s_or_b32 exec_lo, exec_lo, s20
	s_xor_b32 s2, s22, -1
.LBB717_122:
	s_delay_alu instid0(SALU_CYCLE_1)
	s_and_b32 s20, s2, exec_lo
.LBB717_123:
	s_or_b32 exec_lo, exec_lo, s21
	v_add_nc_u32_e32 v22, 1, v30
	s_mov_b32 s21, exec_lo
	s_delay_alu instid0(VALU_DEP_1)
	v_cmpx_gt_u32_e64 s27, v22
	s_cbranch_execz .LBB717_129
; %bb.124:
	s_and_not1_b32 vcc_lo, exec_lo, s7
	s_mov_b32 s2, 0
	s_cbranch_vccnz .LBB717_128
; %bb.125:
	v_mul_u64_e32 v[22:23], s[18:19], v[14:15]
	v_mul_u64_e32 v[24:25], s[18:19], v[16:17]
	s_add_nc_u64 s[2:3], s[18:19], -1
	s_mov_b32 s17, 0
                                        ; implicit-def: $sgpr22
	s_delay_alu instid0(VALU_DEP_2) | instskip(NEXT) | instid1(VALU_DEP_2)
	v_lshl_add_u64 v[22:23], v[22:23], 1, s[8:9]
	v_lshl_add_u64 v[24:25], v[24:25], 1, s[8:9]
.LBB717_126:                            ; =>This Inner Loop Header: Depth=1
	global_load_u16 v26, v[22:23], off
	global_load_u16 v27, v[24:25], off
	s_cmp_eq_u64 s[2:3], 0
	s_add_nc_u64 s[30:31], s[2:3], -1
	s_cselect_b32 s3, -1, 0
	s_wait_xcnt 0x1
	v_add_nc_u64_e32 v[22:23], 2, v[22:23]
	s_wait_xcnt 0x0
	v_add_nc_u64_e32 v[24:25], 2, v[24:25]
	s_wait_loadcnt 0x0
	v_cmp_ne_u16_e32 vcc_lo, v26, v27
	v_cmp_eq_u16_e64 s2, v26, v27
	s_or_b32 s3, vcc_lo, s3
	s_delay_alu instid0(SALU_CYCLE_1) | instskip(NEXT) | instid1(SALU_CYCLE_1)
	s_and_b32 s3, exec_lo, s3
	s_or_b32 s17, s3, s17
	s_and_not1_b32 s22, s22, exec_lo
	s_and_b32 s23, s2, exec_lo
	s_mov_b64 s[2:3], s[30:31]
	s_or_b32 s22, s22, s23
	s_and_not1_b32 exec_lo, exec_lo, s17
	s_cbranch_execnz .LBB717_126
; %bb.127:
	s_or_b32 exec_lo, exec_lo, s17
	s_xor_b32 s2, s22, -1
.LBB717_128:
	s_delay_alu instid0(SALU_CYCLE_1)
	s_and_b32 s17, s2, exec_lo
.LBB717_129:
	s_or_b32 exec_lo, exec_lo, s21
	v_cndmask_b32_e64 v35, 0, 1, s5
	v_cndmask_b32_e64 v36, 0, 1, s20
	;; [unrolled: 1-line block ×4, first 2 shown]
	v_mov_b32_e32 v24, 1
	s_mov_b32 s2, 0
	s_mov_b32 s4, exec_lo
	s_wait_dscnt 0x0
	s_barrier_signal -1
	s_barrier_wait -1
                                        ; implicit-def: $vgpr25
	v_cmpx_ne_u32_e32 0, v0
	s_cbranch_execz .LBB717_137
; %bb.130:
	v_lshlrev_b16 v25, 8, v23
	v_lshlrev_b16 v26, 8, v22
	s_mov_b32 s5, exec_lo
	s_delay_alu instid0(VALU_DEP_1) | instskip(NEXT) | instid1(VALU_DEP_1)
	v_or_b32_e32 v26, v36, v26
	v_dual_lshlrev_b32 v26, 16, v26 :: v_dual_bitop2_b32 v25, 1, v25 bitop3:0x54
	s_delay_alu instid0(VALU_DEP_1) | instskip(NEXT) | instid1(VALU_DEP_1)
	v_and_b32_e32 v25, 0xffff, v25
	v_or_b32_e32 v25, v25, v26
	v_cmpx_gt_u32_e64 s27, v30
	s_cbranch_execz .LBB717_136
; %bb.131:
	s_and_not1_b32 vcc_lo, exec_lo, s7
	s_cbranch_vccnz .LBB717_135
; %bb.132:
	v_add_nc_u32_e32 v26, -8, v31
	v_mul_u64_e32 v[28:29], s[18:19], v[14:15]
	s_add_nc_u64 s[2:3], s[18:19], -1
	s_mov_b32 s7, 0
	ds_load_b64 v[26:27], v26
	s_wait_dscnt 0x0
	v_mul_u64_e32 v[26:27], s[18:19], v[26:27]
	v_lshl_add_u64 v[28:29], v[28:29], 1, s[8:9]
	s_delay_alu instid0(VALU_DEP_2)
	v_lshl_add_u64 v[26:27], v[26:27], 1, s[8:9]
                                        ; implicit-def: $sgpr8
.LBB717_133:                            ; =>This Inner Loop Header: Depth=1
	global_load_u16 v31, v[26:27], off
	global_load_u16 v32, v[28:29], off
	s_cmp_eq_u64 s[2:3], 0
	s_add_nc_u64 s[18:19], s[2:3], -1
	s_cselect_b32 s3, -1, 0
	s_wait_xcnt 0x1
	v_add_nc_u64_e32 v[26:27], 2, v[26:27]
	s_wait_xcnt 0x0
	v_add_nc_u64_e32 v[28:29], 2, v[28:29]
	s_wait_loadcnt 0x0
	v_cmp_ne_u16_e32 vcc_lo, v31, v32
	v_cmp_eq_u16_e64 s2, v31, v32
	s_or_b32 s3, vcc_lo, s3
	s_delay_alu instid0(SALU_CYCLE_1) | instskip(NEXT) | instid1(SALU_CYCLE_1)
	s_and_b32 s3, exec_lo, s3
	s_or_b32 s7, s3, s7
	s_and_not1_b32 s8, s8, exec_lo
	s_and_b32 s9, s2, exec_lo
	s_mov_b64 s[2:3], s[18:19]
	s_or_b32 s8, s8, s9
	s_and_not1_b32 exec_lo, exec_lo, s7
	s_cbranch_execnz .LBB717_133
; %bb.134:
	s_or_b32 exec_lo, exec_lo, s7
	s_xor_b32 s2, s8, -1
.LBB717_135:
	s_delay_alu instid0(SALU_CYCLE_1)
	s_and_b32 s2, s2, exec_lo
.LBB717_136:
	s_or_b32 exec_lo, exec_lo, s5
	s_delay_alu instid0(VALU_DEP_2)
	v_perm_b32 v25, v25, v25, 0x3020104
	s_or_b32 s6, s6, exec_lo
.LBB717_137:
	s_or_b32 exec_lo, exec_lo, s4
.LBB717_138:
	s_and_saveexec_b32 s3, s6
	s_cbranch_execz .LBB717_140
; %bb.139:
	s_wait_dscnt 0x0
	v_dual_lshrrev_b32 v22, 24, v25 :: v_dual_lshrrev_b32 v36, 16, v25
	v_lshrrev_b32_e32 v23, 8, v25
	v_cndmask_b32_e64 v24, 0, 1, s2
.LBB717_140:
	s_or_b32 exec_lo, exec_lo, s3
	s_delay_alu instid0(SALU_CYCLE_1)
	s_and_not1_b32 vcc_lo, exec_lo, s28
	s_cbranch_vccnz .LBB717_144
; %bb.141:
	s_wait_dscnt 0x0
	v_perm_b32 v23, v24, v23, 0xc0c0004
	v_perm_b32 v22, v36, v22, 0xc0c0004
	v_cmp_gt_u32_e32 vcc_lo, s27, v30
	v_dual_add_nc_u32 v24, 1, v30 :: v_dual_add_nc_u32 v26, 4, v30
	v_and_b32_e32 v35, 0xff, v35
	s_delay_alu instid0(VALU_DEP_4) | instskip(SKIP_1) | instid1(VALU_DEP_2)
	v_lshl_or_b32 v22, v22, 16, v23
	s_mov_b32 s2, exec_lo
	v_and_b32_e32 v25, 0xffff, v35
	s_delay_alu instid0(VALU_DEP_2) | instskip(SKIP_2) | instid1(VALU_DEP_3)
	v_cndmask_b32_e32 v23, 0, v22, vcc_lo
	v_cmp_gt_u32_e32 vcc_lo, s27, v24
	v_add_nc_u32_e32 v24, 2, v30
	v_and_b32_e32 v23, 0xff, v23
	s_delay_alu instid0(VALU_DEP_1) | instskip(NEXT) | instid1(VALU_DEP_3)
	v_cndmask_b32_e32 v23, v23, v22, vcc_lo
	v_cmp_gt_u32_e32 vcc_lo, s27, v24
	v_add_nc_u32_e32 v24, 3, v30
	s_delay_alu instid0(VALU_DEP_3) | instskip(NEXT) | instid1(VALU_DEP_1)
	v_and_b32_e32 v23, 0xffff, v23
	v_cndmask_b32_e32 v23, v23, v22, vcc_lo
	s_delay_alu instid0(VALU_DEP_3) | instskip(NEXT) | instid1(VALU_DEP_2)
	v_cmp_gt_u32_e32 vcc_lo, s27, v24
	v_and_b32_e32 v23, 0xffffff, v23
	s_delay_alu instid0(VALU_DEP_1) | instskip(NEXT) | instid1(VALU_DEP_1)
	v_cndmask_b32_e32 v24, v23, v22, vcc_lo
	v_lshrrev_b64 v[22:23], 24, v[24:25]
	v_dual_lshrrev_b32 v36, 16, v24 :: v_dual_lshrrev_b32 v23, 8, v24
	v_cmpx_le_u32_e64 s27, v26
; %bb.142:
	v_mov_b32_e32 v35, 0
; %bb.143:
	s_or_b32 exec_lo, exec_lo, s2
.LBB717_144:
	s_delay_alu instid0(VALU_DEP_1)
	v_and_b32_e32 v25, 0xff, v24
	s_wait_dscnt 0x0
	v_and_b32_e32 v37, 0xff, v23
	v_and_b32_e32 v38, 0xff, v36
	v_mbcnt_lo_u32_b32 v40, -1, 0
	v_and_b32_e32 v39, 0xff, v22
	v_and_b32_e32 v26, 0xff, v35
	s_wait_kmcnt 0x0
	v_readfirstlane_b32 s8, v0
	v_add3_u32 v27, v37, v25, v38
	v_and_b32_e32 v28, 15, v40
	s_and_b32 vcc_lo, exec_lo, s16
	v_lshrrev_b32_e32 v41, 5, v0
	s_mov_b32 s9, -1
	v_add3_u32 v42, v27, v39, v26
	v_and_b32_e32 v26, 16, v40
	v_or_b32_e32 v27, 31, v0
	v_cmp_eq_u32_e64 s4, 0, v28
	v_cmp_lt_u32_e64 s6, 1, v28
	v_cmp_lt_u32_e64 s7, 3, v28
	;; [unrolled: 1-line block ×3, first 2 shown]
	v_cmp_eq_u32_e64 s3, 0, v26
	v_cmp_eq_u32_e64 s2, v0, v27
	s_barrier_signal -1
	s_barrier_wait -1
                                        ; implicit-def: $vgpr28
                                        ; implicit-def: $vgpr29
                                        ; implicit-def: $vgpr30
                                        ; implicit-def: $vgpr31
                                        ; implicit-def: $vgpr32
                                        ; implicit-def: $vgpr26
	s_cbranch_vccz .LBB717_171
; %bb.145:
	v_mov_b32_dpp v26, v42 row_shr:1 row_mask:0xf bank_mask:0xf
	s_delay_alu instid0(VALU_DEP_1) | instskip(NEXT) | instid1(VALU_DEP_1)
	v_cndmask_b32_e64 v26, v26, 0, s4
	v_add_nc_u32_e32 v26, v26, v42
	s_delay_alu instid0(VALU_DEP_1) | instskip(NEXT) | instid1(VALU_DEP_1)
	v_mov_b32_dpp v27, v26 row_shr:2 row_mask:0xf bank_mask:0xf
	v_cndmask_b32_e64 v27, 0, v27, s6
	s_delay_alu instid0(VALU_DEP_1) | instskip(NEXT) | instid1(VALU_DEP_1)
	v_add_nc_u32_e32 v26, v26, v27
	v_mov_b32_dpp v27, v26 row_shr:4 row_mask:0xf bank_mask:0xf
	s_delay_alu instid0(VALU_DEP_1) | instskip(NEXT) | instid1(VALU_DEP_1)
	v_cndmask_b32_e64 v27, 0, v27, s7
	v_add_nc_u32_e32 v26, v26, v27
	s_delay_alu instid0(VALU_DEP_1) | instskip(NEXT) | instid1(VALU_DEP_1)
	v_mov_b32_dpp v27, v26 row_shr:8 row_mask:0xf bank_mask:0xf
	v_cndmask_b32_e64 v27, 0, v27, s5
	s_delay_alu instid0(VALU_DEP_1) | instskip(SKIP_3) | instid1(VALU_DEP_1)
	v_add_nc_u32_e32 v26, v26, v27
	ds_swizzle_b32 v27, v26 offset:swizzle(BROADCAST,32,15)
	s_wait_dscnt 0x0
	v_cndmask_b32_e64 v27, v27, 0, s3
	v_add_nc_u32_e32 v26, v26, v27
	s_and_saveexec_b32 s8, s2
; %bb.146:
	v_lshlrev_b32_e32 v27, 2, v41
	ds_store_b32 v27, v26
; %bb.147:
	s_or_b32 exec_lo, exec_lo, s8
	s_delay_alu instid0(SALU_CYCLE_1)
	s_mov_b32 s8, exec_lo
	s_wait_dscnt 0x0
	s_barrier_signal -1
	s_barrier_wait -1
	v_cmpx_gt_u32_e32 4, v0
	s_cbranch_execz .LBB717_149
; %bb.148:
	v_and_b32_e32 v29, 3, v40
	s_delay_alu instid0(VALU_DEP_1) | instskip(SKIP_4) | instid1(VALU_DEP_1)
	v_cmp_ne_u32_e32 vcc_lo, 0, v29
	v_lshlrev_b32_e32 v27, 2, v0
	ds_load_b32 v28, v27
	s_wait_dscnt 0x0
	v_mov_b32_dpp v30, v28 row_shr:1 row_mask:0xf bank_mask:0xf
	v_cndmask_b32_e32 v30, 0, v30, vcc_lo
	v_cmp_lt_u32_e32 vcc_lo, 1, v29
	s_delay_alu instid0(VALU_DEP_2) | instskip(NEXT) | instid1(VALU_DEP_1)
	v_add_nc_u32_e32 v28, v30, v28
	v_mov_b32_dpp v30, v28 row_shr:2 row_mask:0xf bank_mask:0xf
	s_delay_alu instid0(VALU_DEP_1) | instskip(NEXT) | instid1(VALU_DEP_1)
	v_cndmask_b32_e32 v29, 0, v30, vcc_lo
	v_add_nc_u32_e32 v28, v28, v29
	ds_store_b32 v27, v28
.LBB717_149:
	s_or_b32 exec_lo, exec_lo, s8
	s_delay_alu instid0(SALU_CYCLE_1)
	s_mov_b32 s9, exec_lo
	v_cmp_gt_u32_e32 vcc_lo, 32, v0
	s_wait_dscnt 0x0
	s_barrier_signal -1
	s_barrier_wait -1
                                        ; implicit-def: $vgpr43
	v_cmpx_lt_u32_e32 31, v0
	s_cbranch_execz .LBB717_151
; %bb.150:
	v_lshl_add_u32 v27, v41, 2, -4
	ds_load_b32 v43, v27
	s_wait_dscnt 0x0
	v_add_nc_u32_e32 v26, v43, v26
.LBB717_151:
	s_or_b32 exec_lo, exec_lo, s9
	v_sub_co_u32 v27, s8, v40, 1
	s_delay_alu instid0(VALU_DEP_1) | instskip(NEXT) | instid1(VALU_DEP_1)
	v_cmp_gt_i32_e64 s9, 0, v27
	v_cndmask_b32_e64 v27, v27, v40, s9
	s_delay_alu instid0(VALU_DEP_1)
	v_lshlrev_b32_e32 v27, 2, v27
	ds_bpermute_b32 v44, v27, v26
	s_and_saveexec_b32 s9, vcc_lo
	s_cbranch_execz .LBB717_170
; %bb.152:
	v_mov_b32_e32 v33, 0
	ds_load_b32 v26, v33 offset:12
	s_and_saveexec_b32 s16, s8
	s_cbranch_execz .LBB717_154
; %bb.153:
	s_add_co_i32 s17, s26, 32
	s_delay_alu instid0(SALU_CYCLE_1)
	v_dual_mov_b32 v27, 1 :: v_dual_mov_b32 v28, s17
	s_wait_dscnt 0x0
	global_store_b64 v28, v[26:27], s[10:11] scale_offset scope:SCOPE_DEV
.LBB717_154:
	s_wait_xcnt 0x0
	s_or_b32 exec_lo, exec_lo, s16
	v_xad_u32 v28, v40, -1, s26
	s_mov_b32 s17, 0
	s_mov_b32 s16, exec_lo
	s_delay_alu instid0(VALU_DEP_1) | instskip(SKIP_4) | instid1(VALU_DEP_1)
	v_add_nc_u32_e32 v32, 32, v28
	global_load_b64 v[30:31], v32, s[10:11] scale_offset scope:SCOPE_DEV
	s_wait_loadcnt 0x0
	v_and_b32_e32 v27, 0xff, v31
	s_wait_xcnt 0x0
	v_cmpx_eq_u16_e32 0, v27
	s_cbranch_execz .LBB717_158
; %bb.155:
	v_lshl_add_u64 v[32:33], v[32:33], 3, s[10:11]
.LBB717_156:                            ; =>This Inner Loop Header: Depth=1
	global_load_b64 v[30:31], v[32:33], off scope:SCOPE_DEV
	s_wait_loadcnt 0x0
	v_and_b32_e32 v27, 0xff, v31
	s_delay_alu instid0(VALU_DEP_1)
	v_cmp_ne_u16_e32 vcc_lo, 0, v27
	s_or_b32 s17, vcc_lo, s17
	s_wait_xcnt 0x0
	s_and_not1_b32 exec_lo, exec_lo, s17
	s_cbranch_execnz .LBB717_156
; %bb.157:
	s_or_b32 exec_lo, exec_lo, s17
.LBB717_158:
	s_delay_alu instid0(SALU_CYCLE_1)
	s_or_b32 exec_lo, exec_lo, s16
	v_cmp_ne_u32_e32 vcc_lo, 31, v40
	v_lshlrev_b32_e64 v46, v40, -1
	v_lshl_or_b32 v53, v40, 2, 64
	v_dual_add_nc_u32 v48, 2, v40 :: v_dual_add_nc_u32 v50, 4, v40
	v_add_co_ci_u32_e64 v27, null, 0, v40, vcc_lo
	v_dual_add_nc_u32 v52, 8, v40 :: v_dual_add_nc_u32 v54, 16, v40
	s_delay_alu instid0(VALU_DEP_2)
	v_lshlrev_b32_e32 v45, 2, v27
	v_and_b32_e32 v27, 0xff, v31
	ds_bpermute_b32 v29, v45, v30
	v_cmp_eq_u16_e32 vcc_lo, 2, v27
	v_and_or_b32 v27, vcc_lo, v46, 0x80000000
	v_cmp_gt_u32_e32 vcc_lo, 30, v40
	s_delay_alu instid0(VALU_DEP_2) | instskip(SKIP_1) | instid1(VALU_DEP_2)
	v_ctz_i32_b32_e32 v27, v27
	v_cndmask_b32_e64 v32, 0, 2, vcc_lo
	v_cmp_lt_u32_e32 vcc_lo, v40, v27
	s_delay_alu instid0(VALU_DEP_2) | instskip(SKIP_3) | instid1(VALU_DEP_2)
	v_add_lshl_u32 v47, v32, v40, 2
	s_wait_dscnt 0x0
	v_cndmask_b32_e32 v29, 0, v29, vcc_lo
	v_cmp_gt_u32_e32 vcc_lo, 28, v40
	v_add_nc_u32_e32 v29, v29, v30
	v_cndmask_b32_e64 v32, 0, 4, vcc_lo
	v_cmp_le_u32_e32 vcc_lo, v48, v27
	ds_bpermute_b32 v30, v47, v29
	v_add_lshl_u32 v49, v32, v40, 2
	s_wait_dscnt 0x0
	v_cndmask_b32_e32 v30, 0, v30, vcc_lo
	v_cmp_gt_u32_e32 vcc_lo, 24, v40
	v_cndmask_b32_e64 v32, 0, 8, vcc_lo
	v_cmp_le_u32_e32 vcc_lo, v50, v27
	s_delay_alu instid0(VALU_DEP_4) | instskip(NEXT) | instid1(VALU_DEP_3)
	v_add_nc_u32_e32 v29, v29, v30
	v_add_lshl_u32 v51, v32, v40, 2
	ds_bpermute_b32 v30, v49, v29
	s_wait_dscnt 0x0
	v_cndmask_b32_e32 v30, 0, v30, vcc_lo
	v_cmp_le_u32_e32 vcc_lo, v52, v27
	s_delay_alu instid0(VALU_DEP_2) | instskip(SKIP_4) | instid1(VALU_DEP_2)
	v_add_nc_u32_e32 v29, v29, v30
	ds_bpermute_b32 v30, v51, v29
	s_wait_dscnt 0x0
	v_cndmask_b32_e32 v30, 0, v30, vcc_lo
	v_cmp_le_u32_e32 vcc_lo, v54, v27
	v_add_nc_u32_e32 v29, v29, v30
	ds_bpermute_b32 v30, v53, v29
	s_wait_dscnt 0x0
	v_cndmask_b32_e32 v27, 0, v30, vcc_lo
	s_delay_alu instid0(VALU_DEP_1)
	v_dual_mov_b32 v29, 0 :: v_dual_add_nc_u32 v30, v29, v27
	s_branch .LBB717_161
.LBB717_159:                            ;   in Loop: Header=BB717_161 Depth=1
	s_or_b32 exec_lo, exec_lo, s16
	v_and_b32_e32 v32, 0xff, v31
	ds_bpermute_b32 v33, v45, v30
	v_subrev_nc_u32_e32 v28, 32, v28
	s_mov_b32 s16, 0
	v_cmp_eq_u16_e32 vcc_lo, 2, v32
	v_and_or_b32 v32, vcc_lo, v46, 0x80000000
	s_delay_alu instid0(VALU_DEP_1) | instskip(NEXT) | instid1(VALU_DEP_1)
	v_ctz_i32_b32_e32 v32, v32
	v_cmp_lt_u32_e32 vcc_lo, v40, v32
	s_wait_dscnt 0x0
	v_cndmask_b32_e32 v33, 0, v33, vcc_lo
	v_cmp_le_u32_e32 vcc_lo, v48, v32
	s_delay_alu instid0(VALU_DEP_2) | instskip(SKIP_4) | instid1(VALU_DEP_2)
	v_add_nc_u32_e32 v30, v33, v30
	ds_bpermute_b32 v33, v47, v30
	s_wait_dscnt 0x0
	v_cndmask_b32_e32 v33, 0, v33, vcc_lo
	v_cmp_le_u32_e32 vcc_lo, v50, v32
	v_add_nc_u32_e32 v30, v30, v33
	ds_bpermute_b32 v33, v49, v30
	s_wait_dscnt 0x0
	v_cndmask_b32_e32 v33, 0, v33, vcc_lo
	v_cmp_le_u32_e32 vcc_lo, v52, v32
	s_delay_alu instid0(VALU_DEP_2) | instskip(SKIP_4) | instid1(VALU_DEP_2)
	v_add_nc_u32_e32 v30, v30, v33
	ds_bpermute_b32 v33, v51, v30
	s_wait_dscnt 0x0
	v_cndmask_b32_e32 v33, 0, v33, vcc_lo
	v_cmp_le_u32_e32 vcc_lo, v54, v32
	v_add_nc_u32_e32 v30, v30, v33
	ds_bpermute_b32 v33, v53, v30
	s_wait_dscnt 0x0
	v_cndmask_b32_e32 v32, 0, v33, vcc_lo
	s_delay_alu instid0(VALU_DEP_1)
	v_add3_u32 v30, v32, v27, v30
.LBB717_160:                            ;   in Loop: Header=BB717_161 Depth=1
	s_and_b32 vcc_lo, exec_lo, s16
	s_cbranch_vccnz .LBB717_166
.LBB717_161:                            ; =>This Loop Header: Depth=1
                                        ;     Child Loop BB717_164 Depth 2
	v_and_b32_e32 v27, 0xff, v31
	s_mov_b32 s16, -1
                                        ; implicit-def: $vgpr31
	s_delay_alu instid0(VALU_DEP_1)
	v_cmp_ne_u16_e32 vcc_lo, 2, v27
	v_mov_b32_e32 v27, v30
                                        ; implicit-def: $vgpr30
	s_cmp_lg_u32 vcc_lo, exec_lo
	s_cbranch_scc1 .LBB717_160
; %bb.162:                              ;   in Loop: Header=BB717_161 Depth=1
	global_load_b64 v[30:31], v28, s[10:11] scale_offset scope:SCOPE_DEV
	s_mov_b32 s16, exec_lo
	s_wait_loadcnt 0x0
	v_and_b32_e32 v32, 0xff, v31
	s_wait_xcnt 0x0
	s_delay_alu instid0(VALU_DEP_1)
	v_cmpx_eq_u16_e32 0, v32
	s_cbranch_execz .LBB717_159
; %bb.163:                              ;   in Loop: Header=BB717_161 Depth=1
	v_lshl_add_u64 v[32:33], v[28:29], 3, s[10:11]
	s_mov_b32 s17, 0
.LBB717_164:                            ;   Parent Loop BB717_161 Depth=1
                                        ; =>  This Inner Loop Header: Depth=2
	global_load_b64 v[30:31], v[32:33], off scope:SCOPE_DEV
	s_wait_loadcnt 0x0
	v_and_b32_e32 v55, 0xff, v31
	s_delay_alu instid0(VALU_DEP_1)
	v_cmp_ne_u16_e32 vcc_lo, 0, v55
	s_or_b32 s17, vcc_lo, s17
	s_wait_xcnt 0x0
	s_and_not1_b32 exec_lo, exec_lo, s17
	s_cbranch_execnz .LBB717_164
; %bb.165:                              ;   in Loop: Header=BB717_161 Depth=1
	s_or_b32 exec_lo, exec_lo, s17
	s_branch .LBB717_159
.LBB717_166:
	s_and_saveexec_b32 s16, s8
	s_cbranch_execz .LBB717_168
; %bb.167:
	s_add_co_i32 s17, s26, 32
	v_dual_mov_b32 v29, 2 :: v_dual_add_nc_u32 v28, v27, v26
	v_dual_mov_b32 v30, s17 :: v_dual_mov_b32 v31, 0
	global_store_b64 v30, v[28:29], s[10:11] scale_offset scope:SCOPE_DEV
	ds_store_b64 v31, v[26:27] offset:5120
.LBB717_168:
	s_wait_xcnt 0x0
	s_or_b32 exec_lo, exec_lo, s16
	v_cmp_eq_u32_e32 vcc_lo, 0, v0
	s_and_b32 exec_lo, exec_lo, vcc_lo
; %bb.169:
	v_mov_b32_e32 v26, 0
	ds_store_b32 v26, v27 offset:12
.LBB717_170:
	s_or_b32 exec_lo, exec_lo, s9
	s_wait_dscnt 0x0
	v_dual_mov_b32 v26, 0 :: v_dual_cndmask_b32 v28, v44, v43, s8
	s_wait_storecnt 0x0
	s_barrier_signal -1
	s_barrier_wait -1
	ds_load_b32 v27, v26 offset:12
	v_cmp_ne_u32_e32 vcc_lo, 0, v0
	s_wait_dscnt 0x0
	s_barrier_signal -1
	s_barrier_wait -1
	v_cndmask_b32_e32 v28, 0, v28, vcc_lo
	s_mov_b32 s9, 0
	s_delay_alu instid0(VALU_DEP_1) | instskip(SKIP_2) | instid1(VALU_DEP_1)
	v_add_nc_u32_e32 v32, v27, v28
	ds_load_b64 v[26:27], v26 offset:5120
	v_add_nc_u32_e32 v31, v32, v25
	v_add_nc_u32_e32 v30, v31, v37
	s_delay_alu instid0(VALU_DEP_1) | instskip(NEXT) | instid1(VALU_DEP_1)
	v_add_nc_u32_e32 v29, v30, v38
	v_add_nc_u32_e32 v28, v29, v39
	s_wait_dscnt 0x0
	v_readfirstlane_b32 s8, v27
.LBB717_171:
	s_and_b32 vcc_lo, exec_lo, s9
	s_cbranch_vccz .LBB717_181
; %bb.172:
	v_mov_b32_dpp v26, v42 row_shr:1 row_mask:0xf bank_mask:0xf
	s_delay_alu instid0(VALU_DEP_1) | instskip(NEXT) | instid1(VALU_DEP_1)
	v_cndmask_b32_e64 v26, v26, 0, s4
	v_add_nc_u32_e32 v26, v26, v42
	s_delay_alu instid0(VALU_DEP_1) | instskip(NEXT) | instid1(VALU_DEP_1)
	v_mov_b32_dpp v27, v26 row_shr:2 row_mask:0xf bank_mask:0xf
	v_cndmask_b32_e64 v27, 0, v27, s6
	s_delay_alu instid0(VALU_DEP_1) | instskip(NEXT) | instid1(VALU_DEP_1)
	v_add_nc_u32_e32 v26, v26, v27
	v_mov_b32_dpp v27, v26 row_shr:4 row_mask:0xf bank_mask:0xf
	s_delay_alu instid0(VALU_DEP_1) | instskip(NEXT) | instid1(VALU_DEP_1)
	v_cndmask_b32_e64 v27, 0, v27, s7
	v_add_nc_u32_e32 v26, v26, v27
	s_delay_alu instid0(VALU_DEP_1) | instskip(NEXT) | instid1(VALU_DEP_1)
	v_mov_b32_dpp v27, v26 row_shr:8 row_mask:0xf bank_mask:0xf
	v_cndmask_b32_e64 v27, 0, v27, s5
	s_delay_alu instid0(VALU_DEP_1) | instskip(SKIP_3) | instid1(VALU_DEP_1)
	v_add_nc_u32_e32 v26, v26, v27
	ds_swizzle_b32 v27, v26 offset:swizzle(BROADCAST,32,15)
	s_wait_dscnt 0x0
	v_cndmask_b32_e64 v27, v27, 0, s3
	v_add_nc_u32_e32 v26, v26, v27
	s_and_saveexec_b32 s3, s2
; %bb.173:
	v_lshlrev_b32_e32 v27, 2, v41
	ds_store_b32 v27, v26
; %bb.174:
	s_or_b32 exec_lo, exec_lo, s3
	s_delay_alu instid0(SALU_CYCLE_1)
	s_mov_b32 s2, exec_lo
	s_wait_dscnt 0x0
	s_barrier_signal -1
	s_barrier_wait -1
	v_cmpx_gt_u32_e32 4, v0
	s_cbranch_execz .LBB717_176
; %bb.175:
	v_and_b32_e32 v29, 3, v40
	s_delay_alu instid0(VALU_DEP_1) | instskip(SKIP_4) | instid1(VALU_DEP_1)
	v_cmp_ne_u32_e32 vcc_lo, 0, v29
	v_lshlrev_b32_e32 v27, 2, v0
	ds_load_b32 v28, v27
	s_wait_dscnt 0x0
	v_mov_b32_dpp v30, v28 row_shr:1 row_mask:0xf bank_mask:0xf
	v_cndmask_b32_e32 v30, 0, v30, vcc_lo
	v_cmp_lt_u32_e32 vcc_lo, 1, v29
	s_delay_alu instid0(VALU_DEP_2) | instskip(NEXT) | instid1(VALU_DEP_1)
	v_add_nc_u32_e32 v28, v30, v28
	v_mov_b32_dpp v30, v28 row_shr:2 row_mask:0xf bank_mask:0xf
	s_delay_alu instid0(VALU_DEP_1) | instskip(NEXT) | instid1(VALU_DEP_1)
	v_cndmask_b32_e32 v29, 0, v30, vcc_lo
	v_add_nc_u32_e32 v28, v28, v29
	ds_store_b32 v27, v28
.LBB717_176:
	s_or_b32 exec_lo, exec_lo, s2
	v_dual_mov_b32 v27, 0 :: v_dual_mov_b32 v28, 0
	s_mov_b32 s2, exec_lo
	s_wait_dscnt 0x0
	s_barrier_signal -1
	s_barrier_wait -1
	v_cmpx_lt_u32_e32 31, v0
; %bb.177:
	v_lshl_add_u32 v28, v41, 2, -4
	ds_load_b32 v28, v28
; %bb.178:
	s_or_b32 exec_lo, exec_lo, s2
	v_sub_co_u32 v29, vcc_lo, v40, 1
	s_mov_b32 s8, 0
	s_wait_dscnt 0x0
	v_add_nc_u32_e32 v26, v28, v26
	v_cmp_gt_i32_e64 s2, 0, v29
	s_delay_alu instid0(VALU_DEP_1) | instskip(SKIP_1) | instid1(VALU_DEP_2)
	v_cndmask_b32_e64 v29, v29, v40, s2
	v_cmp_eq_u32_e64 s2, 0, v0
	v_lshlrev_b32_e32 v29, 2, v29
	ds_bpermute_b32 v29, v29, v26
	ds_load_b32 v26, v27 offset:12
	s_and_saveexec_b32 s3, s2
	s_cbranch_execz .LBB717_180
; %bb.179:
	v_dual_mov_b32 v30, 0 :: v_dual_mov_b32 v27, 2
	s_wait_dscnt 0x0
	global_store_b64 v30, v[26:27], s[10:11] offset:256 scope:SCOPE_DEV
.LBB717_180:
	s_wait_xcnt 0x0
	s_or_b32 exec_lo, exec_lo, s3
	s_wait_dscnt 0x1
	v_cndmask_b32_e32 v27, v29, v28, vcc_lo
	s_wait_storecnt_dscnt 0x0
	s_barrier_signal -1
	s_barrier_wait -1
	s_delay_alu instid0(VALU_DEP_1) | instskip(NEXT) | instid1(VALU_DEP_1)
	v_cndmask_b32_e64 v32, v27, 0, s2
	v_add_nc_u32_e32 v31, v32, v25
	s_delay_alu instid0(VALU_DEP_1) | instskip(NEXT) | instid1(VALU_DEP_1)
	v_add_nc_u32_e32 v30, v31, v37
	v_add_nc_u32_e32 v29, v30, v38
	s_delay_alu instid0(VALU_DEP_1)
	v_add_nc_u32_e32 v28, v29, v39
.LBB717_181:
	s_load_b128 s[4:7], s[0:1], 0x28
	s_delay_alu instid0(VALU_DEP_1)
	v_dual_add_nc_u32 v25, s8, v26 :: v_dual_bitop2_b32 v24, 1, v24 bitop3:0x40
	s_wait_xcnt 0x0
	v_cmp_gt_u32_e64 s0, 0x81, v26
	s_mov_b32 s3, -1
	v_cmp_lt_u32_e64 s1, v32, v25
	v_cmp_eq_u32_e64 s2, 1, v24
	s_and_b32 vcc_lo, exec_lo, s0
	s_cbranch_vccz .LBB717_193
; %bb.182:
	s_or_b32 s1, s25, s1
	s_delay_alu instid0(SALU_CYCLE_1) | instskip(NEXT) | instid1(SALU_CYCLE_1)
	s_and_b32 s2, s1, s2
	s_and_saveexec_b32 s1, s2
	s_cbranch_execz .LBB717_184
; %bb.183:
	s_lshl_b64 s[2:3], s[14:15], 3
	s_wait_kmcnt 0x0
	s_add_nc_u64 s[2:3], s[4:5], s[2:3]
	global_store_b64 v32, v[14:15], s[2:3] scale_offset
.LBB717_184:
	s_wait_xcnt 0x0
	s_or_b32 exec_lo, exec_lo, s1
	v_and_b32_e32 v27, 1, v23
	v_cmp_lt_u32_e32 vcc_lo, v31, v25
	s_delay_alu instid0(VALU_DEP_2) | instskip(SKIP_1) | instid1(SALU_CYCLE_1)
	v_cmp_eq_u32_e64 s1, 1, v27
	s_or_b32 s2, s25, vcc_lo
	s_and_b32 s2, s2, s1
	s_delay_alu instid0(SALU_CYCLE_1)
	s_and_saveexec_b32 s1, s2
	s_cbranch_execz .LBB717_186
; %bb.185:
	s_lshl_b64 s[2:3], s[14:15], 3
	s_wait_kmcnt 0x0
	s_add_nc_u64 s[2:3], s[4:5], s[2:3]
	global_store_b64 v31, v[16:17], s[2:3] scale_offset
.LBB717_186:
	s_wait_xcnt 0x0
	s_or_b32 exec_lo, exec_lo, s1
	v_and_b32_e32 v27, 1, v36
	v_cmp_lt_u32_e32 vcc_lo, v30, v25
	s_delay_alu instid0(VALU_DEP_2) | instskip(SKIP_1) | instid1(SALU_CYCLE_1)
	v_cmp_eq_u32_e64 s1, 1, v27
	s_or_b32 s2, s25, vcc_lo
	s_and_b32 s2, s2, s1
	s_delay_alu instid0(SALU_CYCLE_1)
	;; [unrolled: 17-line block ×4, first 2 shown]
	s_and_saveexec_b32 s1, s2
	s_cbranch_execz .LBB717_192
; %bb.191:
	s_lshl_b64 s[2:3], s[14:15], 3
	s_wait_kmcnt 0x0
	s_add_nc_u64 s[2:3], s[4:5], s[2:3]
	global_store_b64 v28, v[20:21], s[2:3] scale_offset
.LBB717_192:
	s_wait_xcnt 0x0
	s_or_b32 exec_lo, exec_lo, s1
	s_mov_b32 s3, 0
.LBB717_193:
	s_delay_alu instid0(SALU_CYCLE_1)
	s_and_b32 vcc_lo, exec_lo, s3
	s_cbranch_vccz .LBB717_207
; %bb.194:
	s_mov_b32 s1, exec_lo
	v_cmpx_eq_u32_e32 1, v24
; %bb.195:
	v_subrev_nc_u32_e32 v27, s8, v32
	s_delay_alu instid0(VALU_DEP_1)
	v_lshlrev_b32_e32 v27, 3, v27
	ds_store_b64 v27, v[14:15]
; %bb.196:
	s_or_b32 exec_lo, exec_lo, s1
	v_and_b32_e32 v14, 1, v23
	s_mov_b32 s1, exec_lo
	s_delay_alu instid0(VALU_DEP_1)
	v_cmpx_eq_u32_e32 1, v14
; %bb.197:
	v_subrev_nc_u32_e32 v14, s8, v31
	s_delay_alu instid0(VALU_DEP_1)
	v_lshlrev_b32_e32 v14, 3, v14
	ds_store_b64 v14, v[16:17]
; %bb.198:
	s_or_b32 exec_lo, exec_lo, s1
	v_and_b32_e32 v14, 1, v36
	s_mov_b32 s1, exec_lo
	s_delay_alu instid0(VALU_DEP_1)
	;; [unrolled: 11-line block ×4, first 2 shown]
	v_cmpx_eq_u32_e32 1, v10
; %bb.203:
	v_subrev_nc_u32_e32 v10, s8, v28
	s_delay_alu instid0(VALU_DEP_1)
	v_lshlrev_b32_e32 v10, 3, v10
	ds_store_b64 v10, v[20:21]
; %bb.204:
	s_or_b32 exec_lo, exec_lo, s1
	s_mov_b32 s9, 0
	v_dual_mov_b32 v11, v1 :: v_dual_lshlrev_b32 v10, 3, v0
	s_lshl_b64 s[2:3], s[8:9], 3
	s_wait_storecnt_dscnt 0x0
	s_wait_kmcnt 0x0
	s_add_nc_u64 s[2:3], s[4:5], s[2:3]
	s_lshl_b64 s[4:5], s[14:15], 3
	s_barrier_signal -1
	s_add_nc_u64 s[2:3], s[2:3], s[4:5]
	s_barrier_wait -1
.LBB717_205:                            ; =>This Inner Loop Header: Depth=1
	ds_load_b64 v[12:13], v10
	v_add_nc_u32_e32 v10, 0x400, v10
	s_wait_dscnt 0x0
	global_store_b64 v11, v[12:13], s[2:3] scale_offset
	s_wait_xcnt 0x0
	v_add_nc_u32_e32 v11, 0x80, v11
	s_delay_alu instid0(VALU_DEP_1) | instskip(SKIP_1) | instid1(SALU_CYCLE_1)
	v_cmp_ge_u32_e32 vcc_lo, v11, v26
	s_or_b32 s9, vcc_lo, s9
	s_and_not1_b32 exec_lo, exec_lo, s9
	s_cbranch_execnz .LBB717_205
; %bb.206:
	s_or_b32 exec_lo, exec_lo, s9
.LBB717_207:
	s_delay_alu instid0(SALU_CYCLE_1)
	s_and_b32 vcc_lo, exec_lo, s0
	s_mov_b32 s0, -1
	s_wait_storecnt 0x0
	s_barrier_signal -1
	s_barrier_wait -1
	s_cbranch_vccz .LBB717_219
; %bb.208:
	v_cmp_lt_u32_e32 vcc_lo, v32, v25
	v_cmp_eq_u32_e64 s0, 1, v24
	s_or_b32 s1, s25, vcc_lo
	s_delay_alu instid0(SALU_CYCLE_1) | instskip(NEXT) | instid1(SALU_CYCLE_1)
	s_and_b32 s1, s1, s0
	s_and_saveexec_b32 s0, s1
	s_cbranch_execz .LBB717_210
; %bb.209:
	s_lshl_b64 s[2:3], s[14:15], 3
	s_wait_kmcnt 0x0
	s_add_nc_u64 s[2:3], s[6:7], s[2:3]
	global_store_b64 v32, v[6:7], s[2:3] scale_offset
.LBB717_210:
	s_wait_xcnt 0x0
	s_or_b32 exec_lo, exec_lo, s0
	v_and_b32_e32 v10, 1, v23
	v_cmp_lt_u32_e32 vcc_lo, v31, v25
	s_delay_alu instid0(VALU_DEP_2) | instskip(SKIP_1) | instid1(SALU_CYCLE_1)
	v_cmp_eq_u32_e64 s0, 1, v10
	s_or_b32 s1, s25, vcc_lo
	s_and_b32 s1, s1, s0
	s_delay_alu instid0(SALU_CYCLE_1)
	s_and_saveexec_b32 s0, s1
	s_cbranch_execz .LBB717_212
; %bb.211:
	s_lshl_b64 s[2:3], s[14:15], 3
	s_wait_kmcnt 0x0
	s_add_nc_u64 s[2:3], s[6:7], s[2:3]
	global_store_b64 v31, v[8:9], s[2:3] scale_offset
.LBB717_212:
	s_wait_xcnt 0x0
	s_or_b32 exec_lo, exec_lo, s0
	v_and_b32_e32 v10, 1, v36
	v_cmp_lt_u32_e32 vcc_lo, v30, v25
	s_delay_alu instid0(VALU_DEP_2) | instskip(SKIP_1) | instid1(SALU_CYCLE_1)
	v_cmp_eq_u32_e64 s0, 1, v10
	s_or_b32 s1, s25, vcc_lo
	s_and_b32 s1, s1, s0
	s_delay_alu instid0(SALU_CYCLE_1)
	;; [unrolled: 17-line block ×4, first 2 shown]
	s_and_saveexec_b32 s0, s1
	s_cbranch_execz .LBB717_218
; %bb.217:
	s_lshl_b64 s[2:3], s[14:15], 3
	s_wait_kmcnt 0x0
	s_add_nc_u64 s[2:3], s[6:7], s[2:3]
	global_store_b64 v28, v[18:19], s[2:3] scale_offset
.LBB717_218:
	s_wait_xcnt 0x0
	s_or_b32 exec_lo, exec_lo, s0
	s_mov_b32 s0, 0
.LBB717_219:
	s_delay_alu instid0(SALU_CYCLE_1)
	s_and_b32 vcc_lo, exec_lo, s0
	s_cbranch_vccz .LBB717_233
; %bb.220:
	s_mov_b32 s0, exec_lo
	v_cmpx_eq_u32_e32 1, v24
; %bb.221:
	v_subrev_nc_u32_e32 v10, s8, v32
	s_delay_alu instid0(VALU_DEP_1)
	v_lshlrev_b32_e32 v10, 3, v10
	ds_store_b64 v10, v[6:7]
; %bb.222:
	s_or_b32 exec_lo, exec_lo, s0
	v_and_b32_e32 v6, 1, v23
	s_mov_b32 s0, exec_lo
	s_delay_alu instid0(VALU_DEP_1)
	v_cmpx_eq_u32_e32 1, v6
; %bb.223:
	v_subrev_nc_u32_e32 v6, s8, v31
	s_delay_alu instid0(VALU_DEP_1)
	v_lshlrev_b32_e32 v6, 3, v6
	ds_store_b64 v6, v[8:9]
; %bb.224:
	s_or_b32 exec_lo, exec_lo, s0
	v_and_b32_e32 v6, 1, v36
	s_mov_b32 s0, exec_lo
	s_delay_alu instid0(VALU_DEP_1)
	;; [unrolled: 11-line block ×4, first 2 shown]
	v_cmpx_eq_u32_e32 1, v2
; %bb.229:
	v_subrev_nc_u32_e32 v2, s8, v28
	s_delay_alu instid0(VALU_DEP_1)
	v_lshlrev_b32_e32 v2, 3, v2
	ds_store_b64 v2, v[18:19]
; %bb.230:
	s_or_b32 exec_lo, exec_lo, s0
	s_mov_b32 s9, 0
	s_lshl_b64 s[2:3], s[14:15], 3
	s_lshl_b64 s[0:1], s[8:9], 3
	s_wait_storecnt_dscnt 0x0
	s_wait_kmcnt 0x0
	s_add_nc_u64 s[0:1], s[6:7], s[0:1]
	s_barrier_signal -1
	s_add_nc_u64 s[0:1], s[0:1], s[2:3]
	s_barrier_wait -1
.LBB717_231:                            ; =>This Inner Loop Header: Depth=1
	ds_load_b64 v[2:3], v34
	v_add_nc_u32_e32 v34, 0x400, v34
	s_wait_dscnt 0x0
	global_store_b64 v1, v[2:3], s[0:1] scale_offset
	s_wait_xcnt 0x0
	v_add_nc_u32_e32 v1, 0x80, v1
	s_delay_alu instid0(VALU_DEP_1) | instskip(SKIP_1) | instid1(SALU_CYCLE_1)
	v_cmp_ge_u32_e32 vcc_lo, v1, v26
	s_or_b32 s9, vcc_lo, s9
	s_and_not1_b32 exec_lo, exec_lo, s9
	s_cbranch_execnz .LBB717_231
; %bb.232:
	s_or_b32 exec_lo, exec_lo, s9
.LBB717_233:
	v_cmp_eq_u32_e32 vcc_lo, 0, v0
	s_mov_b32 s9, 0
	s_and_b32 s0, vcc_lo, s24
	s_delay_alu instid0(SALU_CYCLE_1)
	s_and_saveexec_b32 s1, s0
	s_cbranch_execz .LBB717_235
; %bb.234:
	v_mov_b32_e32 v27, 0
	s_delay_alu instid0(VALU_DEP_1) | instskip(NEXT) | instid1(VALU_DEP_1)
	v_add_nc_u64_e32 v[0:1], s[14:15], v[26:27]
	v_add_nc_u64_e32 v[0:1], s[8:9], v[0:1]
	global_store_b64 v27, v[0:1], s[12:13]
.LBB717_235:
	s_endpgm
	.section	.rodata,"a",@progbits
	.p2align	6, 0x0
	.amdhsa_kernel _ZN7rocprim17ROCPRIM_400000_NS6detail17trampoline_kernelINS0_14default_configENS1_25partition_config_selectorILNS1_17partition_subalgoE9EllbEEZZNS1_14partition_implILS5_9ELb0ES3_jPlS8_PNS0_10empty_typeENS0_5tupleIJS8_S9_EEENSB_IJS8_SA_EEENS0_18inequality_wrapperIZN2at6native12_GLOBAL__N_124unique_dim_cuda_templateIsEESt5tupleIJNSF_6TensorESK_SK_EERKSK_lbbbEUlllE0_EEPmJS9_EEE10hipError_tPvRmT3_T4_T5_T6_T7_T9_mT8_P12ihipStream_tbDpT10_ENKUlT_T0_E_clISt17integral_constantIbLb0EES1A_EEDaS15_S16_EUlS15_E_NS1_11comp_targetILNS1_3genE0ELNS1_11target_archE4294967295ELNS1_3gpuE0ELNS1_3repE0EEENS1_30default_config_static_selectorELNS0_4arch9wavefront6targetE0EEEvT1_
		.amdhsa_group_segment_fixed_size 5128
		.amdhsa_private_segment_fixed_size 0
		.amdhsa_kernarg_size 120
		.amdhsa_user_sgpr_count 2
		.amdhsa_user_sgpr_dispatch_ptr 0
		.amdhsa_user_sgpr_queue_ptr 0
		.amdhsa_user_sgpr_kernarg_segment_ptr 1
		.amdhsa_user_sgpr_dispatch_id 0
		.amdhsa_user_sgpr_kernarg_preload_length 0
		.amdhsa_user_sgpr_kernarg_preload_offset 0
		.amdhsa_user_sgpr_private_segment_size 0
		.amdhsa_wavefront_size32 1
		.amdhsa_uses_dynamic_stack 0
		.amdhsa_enable_private_segment 0
		.amdhsa_system_sgpr_workgroup_id_x 1
		.amdhsa_system_sgpr_workgroup_id_y 0
		.amdhsa_system_sgpr_workgroup_id_z 0
		.amdhsa_system_sgpr_workgroup_info 0
		.amdhsa_system_vgpr_workitem_id 0
		.amdhsa_next_free_vgpr 56
		.amdhsa_next_free_sgpr 32
		.amdhsa_named_barrier_count 0
		.amdhsa_reserve_vcc 1
		.amdhsa_float_round_mode_32 0
		.amdhsa_float_round_mode_16_64 0
		.amdhsa_float_denorm_mode_32 3
		.amdhsa_float_denorm_mode_16_64 3
		.amdhsa_fp16_overflow 0
		.amdhsa_memory_ordered 1
		.amdhsa_forward_progress 1
		.amdhsa_inst_pref_size 74
		.amdhsa_round_robin_scheduling 0
		.amdhsa_exception_fp_ieee_invalid_op 0
		.amdhsa_exception_fp_denorm_src 0
		.amdhsa_exception_fp_ieee_div_zero 0
		.amdhsa_exception_fp_ieee_overflow 0
		.amdhsa_exception_fp_ieee_underflow 0
		.amdhsa_exception_fp_ieee_inexact 0
		.amdhsa_exception_int_div_zero 0
	.end_amdhsa_kernel
	.section	.text._ZN7rocprim17ROCPRIM_400000_NS6detail17trampoline_kernelINS0_14default_configENS1_25partition_config_selectorILNS1_17partition_subalgoE9EllbEEZZNS1_14partition_implILS5_9ELb0ES3_jPlS8_PNS0_10empty_typeENS0_5tupleIJS8_S9_EEENSB_IJS8_SA_EEENS0_18inequality_wrapperIZN2at6native12_GLOBAL__N_124unique_dim_cuda_templateIsEESt5tupleIJNSF_6TensorESK_SK_EERKSK_lbbbEUlllE0_EEPmJS9_EEE10hipError_tPvRmT3_T4_T5_T6_T7_T9_mT8_P12ihipStream_tbDpT10_ENKUlT_T0_E_clISt17integral_constantIbLb0EES1A_EEDaS15_S16_EUlS15_E_NS1_11comp_targetILNS1_3genE0ELNS1_11target_archE4294967295ELNS1_3gpuE0ELNS1_3repE0EEENS1_30default_config_static_selectorELNS0_4arch9wavefront6targetE0EEEvT1_,"axG",@progbits,_ZN7rocprim17ROCPRIM_400000_NS6detail17trampoline_kernelINS0_14default_configENS1_25partition_config_selectorILNS1_17partition_subalgoE9EllbEEZZNS1_14partition_implILS5_9ELb0ES3_jPlS8_PNS0_10empty_typeENS0_5tupleIJS8_S9_EEENSB_IJS8_SA_EEENS0_18inequality_wrapperIZN2at6native12_GLOBAL__N_124unique_dim_cuda_templateIsEESt5tupleIJNSF_6TensorESK_SK_EERKSK_lbbbEUlllE0_EEPmJS9_EEE10hipError_tPvRmT3_T4_T5_T6_T7_T9_mT8_P12ihipStream_tbDpT10_ENKUlT_T0_E_clISt17integral_constantIbLb0EES1A_EEDaS15_S16_EUlS15_E_NS1_11comp_targetILNS1_3genE0ELNS1_11target_archE4294967295ELNS1_3gpuE0ELNS1_3repE0EEENS1_30default_config_static_selectorELNS0_4arch9wavefront6targetE0EEEvT1_,comdat
.Lfunc_end717:
	.size	_ZN7rocprim17ROCPRIM_400000_NS6detail17trampoline_kernelINS0_14default_configENS1_25partition_config_selectorILNS1_17partition_subalgoE9EllbEEZZNS1_14partition_implILS5_9ELb0ES3_jPlS8_PNS0_10empty_typeENS0_5tupleIJS8_S9_EEENSB_IJS8_SA_EEENS0_18inequality_wrapperIZN2at6native12_GLOBAL__N_124unique_dim_cuda_templateIsEESt5tupleIJNSF_6TensorESK_SK_EERKSK_lbbbEUlllE0_EEPmJS9_EEE10hipError_tPvRmT3_T4_T5_T6_T7_T9_mT8_P12ihipStream_tbDpT10_ENKUlT_T0_E_clISt17integral_constantIbLb0EES1A_EEDaS15_S16_EUlS15_E_NS1_11comp_targetILNS1_3genE0ELNS1_11target_archE4294967295ELNS1_3gpuE0ELNS1_3repE0EEENS1_30default_config_static_selectorELNS0_4arch9wavefront6targetE0EEEvT1_, .Lfunc_end717-_ZN7rocprim17ROCPRIM_400000_NS6detail17trampoline_kernelINS0_14default_configENS1_25partition_config_selectorILNS1_17partition_subalgoE9EllbEEZZNS1_14partition_implILS5_9ELb0ES3_jPlS8_PNS0_10empty_typeENS0_5tupleIJS8_S9_EEENSB_IJS8_SA_EEENS0_18inequality_wrapperIZN2at6native12_GLOBAL__N_124unique_dim_cuda_templateIsEESt5tupleIJNSF_6TensorESK_SK_EERKSK_lbbbEUlllE0_EEPmJS9_EEE10hipError_tPvRmT3_T4_T5_T6_T7_T9_mT8_P12ihipStream_tbDpT10_ENKUlT_T0_E_clISt17integral_constantIbLb0EES1A_EEDaS15_S16_EUlS15_E_NS1_11comp_targetILNS1_3genE0ELNS1_11target_archE4294967295ELNS1_3gpuE0ELNS1_3repE0EEENS1_30default_config_static_selectorELNS0_4arch9wavefront6targetE0EEEvT1_
                                        ; -- End function
	.set _ZN7rocprim17ROCPRIM_400000_NS6detail17trampoline_kernelINS0_14default_configENS1_25partition_config_selectorILNS1_17partition_subalgoE9EllbEEZZNS1_14partition_implILS5_9ELb0ES3_jPlS8_PNS0_10empty_typeENS0_5tupleIJS8_S9_EEENSB_IJS8_SA_EEENS0_18inequality_wrapperIZN2at6native12_GLOBAL__N_124unique_dim_cuda_templateIsEESt5tupleIJNSF_6TensorESK_SK_EERKSK_lbbbEUlllE0_EEPmJS9_EEE10hipError_tPvRmT3_T4_T5_T6_T7_T9_mT8_P12ihipStream_tbDpT10_ENKUlT_T0_E_clISt17integral_constantIbLb0EES1A_EEDaS15_S16_EUlS15_E_NS1_11comp_targetILNS1_3genE0ELNS1_11target_archE4294967295ELNS1_3gpuE0ELNS1_3repE0EEENS1_30default_config_static_selectorELNS0_4arch9wavefront6targetE0EEEvT1_.num_vgpr, 56
	.set _ZN7rocprim17ROCPRIM_400000_NS6detail17trampoline_kernelINS0_14default_configENS1_25partition_config_selectorILNS1_17partition_subalgoE9EllbEEZZNS1_14partition_implILS5_9ELb0ES3_jPlS8_PNS0_10empty_typeENS0_5tupleIJS8_S9_EEENSB_IJS8_SA_EEENS0_18inequality_wrapperIZN2at6native12_GLOBAL__N_124unique_dim_cuda_templateIsEESt5tupleIJNSF_6TensorESK_SK_EERKSK_lbbbEUlllE0_EEPmJS9_EEE10hipError_tPvRmT3_T4_T5_T6_T7_T9_mT8_P12ihipStream_tbDpT10_ENKUlT_T0_E_clISt17integral_constantIbLb0EES1A_EEDaS15_S16_EUlS15_E_NS1_11comp_targetILNS1_3genE0ELNS1_11target_archE4294967295ELNS1_3gpuE0ELNS1_3repE0EEENS1_30default_config_static_selectorELNS0_4arch9wavefront6targetE0EEEvT1_.num_agpr, 0
	.set _ZN7rocprim17ROCPRIM_400000_NS6detail17trampoline_kernelINS0_14default_configENS1_25partition_config_selectorILNS1_17partition_subalgoE9EllbEEZZNS1_14partition_implILS5_9ELb0ES3_jPlS8_PNS0_10empty_typeENS0_5tupleIJS8_S9_EEENSB_IJS8_SA_EEENS0_18inequality_wrapperIZN2at6native12_GLOBAL__N_124unique_dim_cuda_templateIsEESt5tupleIJNSF_6TensorESK_SK_EERKSK_lbbbEUlllE0_EEPmJS9_EEE10hipError_tPvRmT3_T4_T5_T6_T7_T9_mT8_P12ihipStream_tbDpT10_ENKUlT_T0_E_clISt17integral_constantIbLb0EES1A_EEDaS15_S16_EUlS15_E_NS1_11comp_targetILNS1_3genE0ELNS1_11target_archE4294967295ELNS1_3gpuE0ELNS1_3repE0EEENS1_30default_config_static_selectorELNS0_4arch9wavefront6targetE0EEEvT1_.numbered_sgpr, 32
	.set _ZN7rocprim17ROCPRIM_400000_NS6detail17trampoline_kernelINS0_14default_configENS1_25partition_config_selectorILNS1_17partition_subalgoE9EllbEEZZNS1_14partition_implILS5_9ELb0ES3_jPlS8_PNS0_10empty_typeENS0_5tupleIJS8_S9_EEENSB_IJS8_SA_EEENS0_18inequality_wrapperIZN2at6native12_GLOBAL__N_124unique_dim_cuda_templateIsEESt5tupleIJNSF_6TensorESK_SK_EERKSK_lbbbEUlllE0_EEPmJS9_EEE10hipError_tPvRmT3_T4_T5_T6_T7_T9_mT8_P12ihipStream_tbDpT10_ENKUlT_T0_E_clISt17integral_constantIbLb0EES1A_EEDaS15_S16_EUlS15_E_NS1_11comp_targetILNS1_3genE0ELNS1_11target_archE4294967295ELNS1_3gpuE0ELNS1_3repE0EEENS1_30default_config_static_selectorELNS0_4arch9wavefront6targetE0EEEvT1_.num_named_barrier, 0
	.set _ZN7rocprim17ROCPRIM_400000_NS6detail17trampoline_kernelINS0_14default_configENS1_25partition_config_selectorILNS1_17partition_subalgoE9EllbEEZZNS1_14partition_implILS5_9ELb0ES3_jPlS8_PNS0_10empty_typeENS0_5tupleIJS8_S9_EEENSB_IJS8_SA_EEENS0_18inequality_wrapperIZN2at6native12_GLOBAL__N_124unique_dim_cuda_templateIsEESt5tupleIJNSF_6TensorESK_SK_EERKSK_lbbbEUlllE0_EEPmJS9_EEE10hipError_tPvRmT3_T4_T5_T6_T7_T9_mT8_P12ihipStream_tbDpT10_ENKUlT_T0_E_clISt17integral_constantIbLb0EES1A_EEDaS15_S16_EUlS15_E_NS1_11comp_targetILNS1_3genE0ELNS1_11target_archE4294967295ELNS1_3gpuE0ELNS1_3repE0EEENS1_30default_config_static_selectorELNS0_4arch9wavefront6targetE0EEEvT1_.private_seg_size, 0
	.set _ZN7rocprim17ROCPRIM_400000_NS6detail17trampoline_kernelINS0_14default_configENS1_25partition_config_selectorILNS1_17partition_subalgoE9EllbEEZZNS1_14partition_implILS5_9ELb0ES3_jPlS8_PNS0_10empty_typeENS0_5tupleIJS8_S9_EEENSB_IJS8_SA_EEENS0_18inequality_wrapperIZN2at6native12_GLOBAL__N_124unique_dim_cuda_templateIsEESt5tupleIJNSF_6TensorESK_SK_EERKSK_lbbbEUlllE0_EEPmJS9_EEE10hipError_tPvRmT3_T4_T5_T6_T7_T9_mT8_P12ihipStream_tbDpT10_ENKUlT_T0_E_clISt17integral_constantIbLb0EES1A_EEDaS15_S16_EUlS15_E_NS1_11comp_targetILNS1_3genE0ELNS1_11target_archE4294967295ELNS1_3gpuE0ELNS1_3repE0EEENS1_30default_config_static_selectorELNS0_4arch9wavefront6targetE0EEEvT1_.uses_vcc, 1
	.set _ZN7rocprim17ROCPRIM_400000_NS6detail17trampoline_kernelINS0_14default_configENS1_25partition_config_selectorILNS1_17partition_subalgoE9EllbEEZZNS1_14partition_implILS5_9ELb0ES3_jPlS8_PNS0_10empty_typeENS0_5tupleIJS8_S9_EEENSB_IJS8_SA_EEENS0_18inequality_wrapperIZN2at6native12_GLOBAL__N_124unique_dim_cuda_templateIsEESt5tupleIJNSF_6TensorESK_SK_EERKSK_lbbbEUlllE0_EEPmJS9_EEE10hipError_tPvRmT3_T4_T5_T6_T7_T9_mT8_P12ihipStream_tbDpT10_ENKUlT_T0_E_clISt17integral_constantIbLb0EES1A_EEDaS15_S16_EUlS15_E_NS1_11comp_targetILNS1_3genE0ELNS1_11target_archE4294967295ELNS1_3gpuE0ELNS1_3repE0EEENS1_30default_config_static_selectorELNS0_4arch9wavefront6targetE0EEEvT1_.uses_flat_scratch, 0
	.set _ZN7rocprim17ROCPRIM_400000_NS6detail17trampoline_kernelINS0_14default_configENS1_25partition_config_selectorILNS1_17partition_subalgoE9EllbEEZZNS1_14partition_implILS5_9ELb0ES3_jPlS8_PNS0_10empty_typeENS0_5tupleIJS8_S9_EEENSB_IJS8_SA_EEENS0_18inequality_wrapperIZN2at6native12_GLOBAL__N_124unique_dim_cuda_templateIsEESt5tupleIJNSF_6TensorESK_SK_EERKSK_lbbbEUlllE0_EEPmJS9_EEE10hipError_tPvRmT3_T4_T5_T6_T7_T9_mT8_P12ihipStream_tbDpT10_ENKUlT_T0_E_clISt17integral_constantIbLb0EES1A_EEDaS15_S16_EUlS15_E_NS1_11comp_targetILNS1_3genE0ELNS1_11target_archE4294967295ELNS1_3gpuE0ELNS1_3repE0EEENS1_30default_config_static_selectorELNS0_4arch9wavefront6targetE0EEEvT1_.has_dyn_sized_stack, 0
	.set _ZN7rocprim17ROCPRIM_400000_NS6detail17trampoline_kernelINS0_14default_configENS1_25partition_config_selectorILNS1_17partition_subalgoE9EllbEEZZNS1_14partition_implILS5_9ELb0ES3_jPlS8_PNS0_10empty_typeENS0_5tupleIJS8_S9_EEENSB_IJS8_SA_EEENS0_18inequality_wrapperIZN2at6native12_GLOBAL__N_124unique_dim_cuda_templateIsEESt5tupleIJNSF_6TensorESK_SK_EERKSK_lbbbEUlllE0_EEPmJS9_EEE10hipError_tPvRmT3_T4_T5_T6_T7_T9_mT8_P12ihipStream_tbDpT10_ENKUlT_T0_E_clISt17integral_constantIbLb0EES1A_EEDaS15_S16_EUlS15_E_NS1_11comp_targetILNS1_3genE0ELNS1_11target_archE4294967295ELNS1_3gpuE0ELNS1_3repE0EEENS1_30default_config_static_selectorELNS0_4arch9wavefront6targetE0EEEvT1_.has_recursion, 0
	.set _ZN7rocprim17ROCPRIM_400000_NS6detail17trampoline_kernelINS0_14default_configENS1_25partition_config_selectorILNS1_17partition_subalgoE9EllbEEZZNS1_14partition_implILS5_9ELb0ES3_jPlS8_PNS0_10empty_typeENS0_5tupleIJS8_S9_EEENSB_IJS8_SA_EEENS0_18inequality_wrapperIZN2at6native12_GLOBAL__N_124unique_dim_cuda_templateIsEESt5tupleIJNSF_6TensorESK_SK_EERKSK_lbbbEUlllE0_EEPmJS9_EEE10hipError_tPvRmT3_T4_T5_T6_T7_T9_mT8_P12ihipStream_tbDpT10_ENKUlT_T0_E_clISt17integral_constantIbLb0EES1A_EEDaS15_S16_EUlS15_E_NS1_11comp_targetILNS1_3genE0ELNS1_11target_archE4294967295ELNS1_3gpuE0ELNS1_3repE0EEENS1_30default_config_static_selectorELNS0_4arch9wavefront6targetE0EEEvT1_.has_indirect_call, 0
	.section	.AMDGPU.csdata,"",@progbits
; Kernel info:
; codeLenInByte = 9388
; TotalNumSgprs: 34
; NumVgprs: 56
; ScratchSize: 0
; MemoryBound: 0
; FloatMode: 240
; IeeeMode: 1
; LDSByteSize: 5128 bytes/workgroup (compile time only)
; SGPRBlocks: 0
; VGPRBlocks: 3
; NumSGPRsForWavesPerEU: 34
; NumVGPRsForWavesPerEU: 56
; NamedBarCnt: 0
; Occupancy: 16
; WaveLimiterHint : 1
; COMPUTE_PGM_RSRC2:SCRATCH_EN: 0
; COMPUTE_PGM_RSRC2:USER_SGPR: 2
; COMPUTE_PGM_RSRC2:TRAP_HANDLER: 0
; COMPUTE_PGM_RSRC2:TGID_X_EN: 1
; COMPUTE_PGM_RSRC2:TGID_Y_EN: 0
; COMPUTE_PGM_RSRC2:TGID_Z_EN: 0
; COMPUTE_PGM_RSRC2:TIDIG_COMP_CNT: 0
	.section	.text._ZN7rocprim17ROCPRIM_400000_NS6detail17trampoline_kernelINS0_14default_configENS1_25partition_config_selectorILNS1_17partition_subalgoE9EllbEEZZNS1_14partition_implILS5_9ELb0ES3_jPlS8_PNS0_10empty_typeENS0_5tupleIJS8_S9_EEENSB_IJS8_SA_EEENS0_18inequality_wrapperIZN2at6native12_GLOBAL__N_124unique_dim_cuda_templateIsEESt5tupleIJNSF_6TensorESK_SK_EERKSK_lbbbEUlllE0_EEPmJS9_EEE10hipError_tPvRmT3_T4_T5_T6_T7_T9_mT8_P12ihipStream_tbDpT10_ENKUlT_T0_E_clISt17integral_constantIbLb0EES1A_EEDaS15_S16_EUlS15_E_NS1_11comp_targetILNS1_3genE5ELNS1_11target_archE942ELNS1_3gpuE9ELNS1_3repE0EEENS1_30default_config_static_selectorELNS0_4arch9wavefront6targetE0EEEvT1_,"axG",@progbits,_ZN7rocprim17ROCPRIM_400000_NS6detail17trampoline_kernelINS0_14default_configENS1_25partition_config_selectorILNS1_17partition_subalgoE9EllbEEZZNS1_14partition_implILS5_9ELb0ES3_jPlS8_PNS0_10empty_typeENS0_5tupleIJS8_S9_EEENSB_IJS8_SA_EEENS0_18inequality_wrapperIZN2at6native12_GLOBAL__N_124unique_dim_cuda_templateIsEESt5tupleIJNSF_6TensorESK_SK_EERKSK_lbbbEUlllE0_EEPmJS9_EEE10hipError_tPvRmT3_T4_T5_T6_T7_T9_mT8_P12ihipStream_tbDpT10_ENKUlT_T0_E_clISt17integral_constantIbLb0EES1A_EEDaS15_S16_EUlS15_E_NS1_11comp_targetILNS1_3genE5ELNS1_11target_archE942ELNS1_3gpuE9ELNS1_3repE0EEENS1_30default_config_static_selectorELNS0_4arch9wavefront6targetE0EEEvT1_,comdat
	.globl	_ZN7rocprim17ROCPRIM_400000_NS6detail17trampoline_kernelINS0_14default_configENS1_25partition_config_selectorILNS1_17partition_subalgoE9EllbEEZZNS1_14partition_implILS5_9ELb0ES3_jPlS8_PNS0_10empty_typeENS0_5tupleIJS8_S9_EEENSB_IJS8_SA_EEENS0_18inequality_wrapperIZN2at6native12_GLOBAL__N_124unique_dim_cuda_templateIsEESt5tupleIJNSF_6TensorESK_SK_EERKSK_lbbbEUlllE0_EEPmJS9_EEE10hipError_tPvRmT3_T4_T5_T6_T7_T9_mT8_P12ihipStream_tbDpT10_ENKUlT_T0_E_clISt17integral_constantIbLb0EES1A_EEDaS15_S16_EUlS15_E_NS1_11comp_targetILNS1_3genE5ELNS1_11target_archE942ELNS1_3gpuE9ELNS1_3repE0EEENS1_30default_config_static_selectorELNS0_4arch9wavefront6targetE0EEEvT1_ ; -- Begin function _ZN7rocprim17ROCPRIM_400000_NS6detail17trampoline_kernelINS0_14default_configENS1_25partition_config_selectorILNS1_17partition_subalgoE9EllbEEZZNS1_14partition_implILS5_9ELb0ES3_jPlS8_PNS0_10empty_typeENS0_5tupleIJS8_S9_EEENSB_IJS8_SA_EEENS0_18inequality_wrapperIZN2at6native12_GLOBAL__N_124unique_dim_cuda_templateIsEESt5tupleIJNSF_6TensorESK_SK_EERKSK_lbbbEUlllE0_EEPmJS9_EEE10hipError_tPvRmT3_T4_T5_T6_T7_T9_mT8_P12ihipStream_tbDpT10_ENKUlT_T0_E_clISt17integral_constantIbLb0EES1A_EEDaS15_S16_EUlS15_E_NS1_11comp_targetILNS1_3genE5ELNS1_11target_archE942ELNS1_3gpuE9ELNS1_3repE0EEENS1_30default_config_static_selectorELNS0_4arch9wavefront6targetE0EEEvT1_
	.p2align	8
	.type	_ZN7rocprim17ROCPRIM_400000_NS6detail17trampoline_kernelINS0_14default_configENS1_25partition_config_selectorILNS1_17partition_subalgoE9EllbEEZZNS1_14partition_implILS5_9ELb0ES3_jPlS8_PNS0_10empty_typeENS0_5tupleIJS8_S9_EEENSB_IJS8_SA_EEENS0_18inequality_wrapperIZN2at6native12_GLOBAL__N_124unique_dim_cuda_templateIsEESt5tupleIJNSF_6TensorESK_SK_EERKSK_lbbbEUlllE0_EEPmJS9_EEE10hipError_tPvRmT3_T4_T5_T6_T7_T9_mT8_P12ihipStream_tbDpT10_ENKUlT_T0_E_clISt17integral_constantIbLb0EES1A_EEDaS15_S16_EUlS15_E_NS1_11comp_targetILNS1_3genE5ELNS1_11target_archE942ELNS1_3gpuE9ELNS1_3repE0EEENS1_30default_config_static_selectorELNS0_4arch9wavefront6targetE0EEEvT1_,@function
_ZN7rocprim17ROCPRIM_400000_NS6detail17trampoline_kernelINS0_14default_configENS1_25partition_config_selectorILNS1_17partition_subalgoE9EllbEEZZNS1_14partition_implILS5_9ELb0ES3_jPlS8_PNS0_10empty_typeENS0_5tupleIJS8_S9_EEENSB_IJS8_SA_EEENS0_18inequality_wrapperIZN2at6native12_GLOBAL__N_124unique_dim_cuda_templateIsEESt5tupleIJNSF_6TensorESK_SK_EERKSK_lbbbEUlllE0_EEPmJS9_EEE10hipError_tPvRmT3_T4_T5_T6_T7_T9_mT8_P12ihipStream_tbDpT10_ENKUlT_T0_E_clISt17integral_constantIbLb0EES1A_EEDaS15_S16_EUlS15_E_NS1_11comp_targetILNS1_3genE5ELNS1_11target_archE942ELNS1_3gpuE9ELNS1_3repE0EEENS1_30default_config_static_selectorELNS0_4arch9wavefront6targetE0EEEvT1_: ; @_ZN7rocprim17ROCPRIM_400000_NS6detail17trampoline_kernelINS0_14default_configENS1_25partition_config_selectorILNS1_17partition_subalgoE9EllbEEZZNS1_14partition_implILS5_9ELb0ES3_jPlS8_PNS0_10empty_typeENS0_5tupleIJS8_S9_EEENSB_IJS8_SA_EEENS0_18inequality_wrapperIZN2at6native12_GLOBAL__N_124unique_dim_cuda_templateIsEESt5tupleIJNSF_6TensorESK_SK_EERKSK_lbbbEUlllE0_EEPmJS9_EEE10hipError_tPvRmT3_T4_T5_T6_T7_T9_mT8_P12ihipStream_tbDpT10_ENKUlT_T0_E_clISt17integral_constantIbLb0EES1A_EEDaS15_S16_EUlS15_E_NS1_11comp_targetILNS1_3genE5ELNS1_11target_archE942ELNS1_3gpuE9ELNS1_3repE0EEENS1_30default_config_static_selectorELNS0_4arch9wavefront6targetE0EEEvT1_
; %bb.0:
	.section	.rodata,"a",@progbits
	.p2align	6, 0x0
	.amdhsa_kernel _ZN7rocprim17ROCPRIM_400000_NS6detail17trampoline_kernelINS0_14default_configENS1_25partition_config_selectorILNS1_17partition_subalgoE9EllbEEZZNS1_14partition_implILS5_9ELb0ES3_jPlS8_PNS0_10empty_typeENS0_5tupleIJS8_S9_EEENSB_IJS8_SA_EEENS0_18inequality_wrapperIZN2at6native12_GLOBAL__N_124unique_dim_cuda_templateIsEESt5tupleIJNSF_6TensorESK_SK_EERKSK_lbbbEUlllE0_EEPmJS9_EEE10hipError_tPvRmT3_T4_T5_T6_T7_T9_mT8_P12ihipStream_tbDpT10_ENKUlT_T0_E_clISt17integral_constantIbLb0EES1A_EEDaS15_S16_EUlS15_E_NS1_11comp_targetILNS1_3genE5ELNS1_11target_archE942ELNS1_3gpuE9ELNS1_3repE0EEENS1_30default_config_static_selectorELNS0_4arch9wavefront6targetE0EEEvT1_
		.amdhsa_group_segment_fixed_size 0
		.amdhsa_private_segment_fixed_size 0
		.amdhsa_kernarg_size 120
		.amdhsa_user_sgpr_count 2
		.amdhsa_user_sgpr_dispatch_ptr 0
		.amdhsa_user_sgpr_queue_ptr 0
		.amdhsa_user_sgpr_kernarg_segment_ptr 1
		.amdhsa_user_sgpr_dispatch_id 0
		.amdhsa_user_sgpr_kernarg_preload_length 0
		.amdhsa_user_sgpr_kernarg_preload_offset 0
		.amdhsa_user_sgpr_private_segment_size 0
		.amdhsa_wavefront_size32 1
		.amdhsa_uses_dynamic_stack 0
		.amdhsa_enable_private_segment 0
		.amdhsa_system_sgpr_workgroup_id_x 1
		.amdhsa_system_sgpr_workgroup_id_y 0
		.amdhsa_system_sgpr_workgroup_id_z 0
		.amdhsa_system_sgpr_workgroup_info 0
		.amdhsa_system_vgpr_workitem_id 0
		.amdhsa_next_free_vgpr 1
		.amdhsa_next_free_sgpr 1
		.amdhsa_named_barrier_count 0
		.amdhsa_reserve_vcc 0
		.amdhsa_float_round_mode_32 0
		.amdhsa_float_round_mode_16_64 0
		.amdhsa_float_denorm_mode_32 3
		.amdhsa_float_denorm_mode_16_64 3
		.amdhsa_fp16_overflow 0
		.amdhsa_memory_ordered 1
		.amdhsa_forward_progress 1
		.amdhsa_inst_pref_size 0
		.amdhsa_round_robin_scheduling 0
		.amdhsa_exception_fp_ieee_invalid_op 0
		.amdhsa_exception_fp_denorm_src 0
		.amdhsa_exception_fp_ieee_div_zero 0
		.amdhsa_exception_fp_ieee_overflow 0
		.amdhsa_exception_fp_ieee_underflow 0
		.amdhsa_exception_fp_ieee_inexact 0
		.amdhsa_exception_int_div_zero 0
	.end_amdhsa_kernel
	.section	.text._ZN7rocprim17ROCPRIM_400000_NS6detail17trampoline_kernelINS0_14default_configENS1_25partition_config_selectorILNS1_17partition_subalgoE9EllbEEZZNS1_14partition_implILS5_9ELb0ES3_jPlS8_PNS0_10empty_typeENS0_5tupleIJS8_S9_EEENSB_IJS8_SA_EEENS0_18inequality_wrapperIZN2at6native12_GLOBAL__N_124unique_dim_cuda_templateIsEESt5tupleIJNSF_6TensorESK_SK_EERKSK_lbbbEUlllE0_EEPmJS9_EEE10hipError_tPvRmT3_T4_T5_T6_T7_T9_mT8_P12ihipStream_tbDpT10_ENKUlT_T0_E_clISt17integral_constantIbLb0EES1A_EEDaS15_S16_EUlS15_E_NS1_11comp_targetILNS1_3genE5ELNS1_11target_archE942ELNS1_3gpuE9ELNS1_3repE0EEENS1_30default_config_static_selectorELNS0_4arch9wavefront6targetE0EEEvT1_,"axG",@progbits,_ZN7rocprim17ROCPRIM_400000_NS6detail17trampoline_kernelINS0_14default_configENS1_25partition_config_selectorILNS1_17partition_subalgoE9EllbEEZZNS1_14partition_implILS5_9ELb0ES3_jPlS8_PNS0_10empty_typeENS0_5tupleIJS8_S9_EEENSB_IJS8_SA_EEENS0_18inequality_wrapperIZN2at6native12_GLOBAL__N_124unique_dim_cuda_templateIsEESt5tupleIJNSF_6TensorESK_SK_EERKSK_lbbbEUlllE0_EEPmJS9_EEE10hipError_tPvRmT3_T4_T5_T6_T7_T9_mT8_P12ihipStream_tbDpT10_ENKUlT_T0_E_clISt17integral_constantIbLb0EES1A_EEDaS15_S16_EUlS15_E_NS1_11comp_targetILNS1_3genE5ELNS1_11target_archE942ELNS1_3gpuE9ELNS1_3repE0EEENS1_30default_config_static_selectorELNS0_4arch9wavefront6targetE0EEEvT1_,comdat
.Lfunc_end718:
	.size	_ZN7rocprim17ROCPRIM_400000_NS6detail17trampoline_kernelINS0_14default_configENS1_25partition_config_selectorILNS1_17partition_subalgoE9EllbEEZZNS1_14partition_implILS5_9ELb0ES3_jPlS8_PNS0_10empty_typeENS0_5tupleIJS8_S9_EEENSB_IJS8_SA_EEENS0_18inequality_wrapperIZN2at6native12_GLOBAL__N_124unique_dim_cuda_templateIsEESt5tupleIJNSF_6TensorESK_SK_EERKSK_lbbbEUlllE0_EEPmJS9_EEE10hipError_tPvRmT3_T4_T5_T6_T7_T9_mT8_P12ihipStream_tbDpT10_ENKUlT_T0_E_clISt17integral_constantIbLb0EES1A_EEDaS15_S16_EUlS15_E_NS1_11comp_targetILNS1_3genE5ELNS1_11target_archE942ELNS1_3gpuE9ELNS1_3repE0EEENS1_30default_config_static_selectorELNS0_4arch9wavefront6targetE0EEEvT1_, .Lfunc_end718-_ZN7rocprim17ROCPRIM_400000_NS6detail17trampoline_kernelINS0_14default_configENS1_25partition_config_selectorILNS1_17partition_subalgoE9EllbEEZZNS1_14partition_implILS5_9ELb0ES3_jPlS8_PNS0_10empty_typeENS0_5tupleIJS8_S9_EEENSB_IJS8_SA_EEENS0_18inequality_wrapperIZN2at6native12_GLOBAL__N_124unique_dim_cuda_templateIsEESt5tupleIJNSF_6TensorESK_SK_EERKSK_lbbbEUlllE0_EEPmJS9_EEE10hipError_tPvRmT3_T4_T5_T6_T7_T9_mT8_P12ihipStream_tbDpT10_ENKUlT_T0_E_clISt17integral_constantIbLb0EES1A_EEDaS15_S16_EUlS15_E_NS1_11comp_targetILNS1_3genE5ELNS1_11target_archE942ELNS1_3gpuE9ELNS1_3repE0EEENS1_30default_config_static_selectorELNS0_4arch9wavefront6targetE0EEEvT1_
                                        ; -- End function
	.set _ZN7rocprim17ROCPRIM_400000_NS6detail17trampoline_kernelINS0_14default_configENS1_25partition_config_selectorILNS1_17partition_subalgoE9EllbEEZZNS1_14partition_implILS5_9ELb0ES3_jPlS8_PNS0_10empty_typeENS0_5tupleIJS8_S9_EEENSB_IJS8_SA_EEENS0_18inequality_wrapperIZN2at6native12_GLOBAL__N_124unique_dim_cuda_templateIsEESt5tupleIJNSF_6TensorESK_SK_EERKSK_lbbbEUlllE0_EEPmJS9_EEE10hipError_tPvRmT3_T4_T5_T6_T7_T9_mT8_P12ihipStream_tbDpT10_ENKUlT_T0_E_clISt17integral_constantIbLb0EES1A_EEDaS15_S16_EUlS15_E_NS1_11comp_targetILNS1_3genE5ELNS1_11target_archE942ELNS1_3gpuE9ELNS1_3repE0EEENS1_30default_config_static_selectorELNS0_4arch9wavefront6targetE0EEEvT1_.num_vgpr, 0
	.set _ZN7rocprim17ROCPRIM_400000_NS6detail17trampoline_kernelINS0_14default_configENS1_25partition_config_selectorILNS1_17partition_subalgoE9EllbEEZZNS1_14partition_implILS5_9ELb0ES3_jPlS8_PNS0_10empty_typeENS0_5tupleIJS8_S9_EEENSB_IJS8_SA_EEENS0_18inequality_wrapperIZN2at6native12_GLOBAL__N_124unique_dim_cuda_templateIsEESt5tupleIJNSF_6TensorESK_SK_EERKSK_lbbbEUlllE0_EEPmJS9_EEE10hipError_tPvRmT3_T4_T5_T6_T7_T9_mT8_P12ihipStream_tbDpT10_ENKUlT_T0_E_clISt17integral_constantIbLb0EES1A_EEDaS15_S16_EUlS15_E_NS1_11comp_targetILNS1_3genE5ELNS1_11target_archE942ELNS1_3gpuE9ELNS1_3repE0EEENS1_30default_config_static_selectorELNS0_4arch9wavefront6targetE0EEEvT1_.num_agpr, 0
	.set _ZN7rocprim17ROCPRIM_400000_NS6detail17trampoline_kernelINS0_14default_configENS1_25partition_config_selectorILNS1_17partition_subalgoE9EllbEEZZNS1_14partition_implILS5_9ELb0ES3_jPlS8_PNS0_10empty_typeENS0_5tupleIJS8_S9_EEENSB_IJS8_SA_EEENS0_18inequality_wrapperIZN2at6native12_GLOBAL__N_124unique_dim_cuda_templateIsEESt5tupleIJNSF_6TensorESK_SK_EERKSK_lbbbEUlllE0_EEPmJS9_EEE10hipError_tPvRmT3_T4_T5_T6_T7_T9_mT8_P12ihipStream_tbDpT10_ENKUlT_T0_E_clISt17integral_constantIbLb0EES1A_EEDaS15_S16_EUlS15_E_NS1_11comp_targetILNS1_3genE5ELNS1_11target_archE942ELNS1_3gpuE9ELNS1_3repE0EEENS1_30default_config_static_selectorELNS0_4arch9wavefront6targetE0EEEvT1_.numbered_sgpr, 0
	.set _ZN7rocprim17ROCPRIM_400000_NS6detail17trampoline_kernelINS0_14default_configENS1_25partition_config_selectorILNS1_17partition_subalgoE9EllbEEZZNS1_14partition_implILS5_9ELb0ES3_jPlS8_PNS0_10empty_typeENS0_5tupleIJS8_S9_EEENSB_IJS8_SA_EEENS0_18inequality_wrapperIZN2at6native12_GLOBAL__N_124unique_dim_cuda_templateIsEESt5tupleIJNSF_6TensorESK_SK_EERKSK_lbbbEUlllE0_EEPmJS9_EEE10hipError_tPvRmT3_T4_T5_T6_T7_T9_mT8_P12ihipStream_tbDpT10_ENKUlT_T0_E_clISt17integral_constantIbLb0EES1A_EEDaS15_S16_EUlS15_E_NS1_11comp_targetILNS1_3genE5ELNS1_11target_archE942ELNS1_3gpuE9ELNS1_3repE0EEENS1_30default_config_static_selectorELNS0_4arch9wavefront6targetE0EEEvT1_.num_named_barrier, 0
	.set _ZN7rocprim17ROCPRIM_400000_NS6detail17trampoline_kernelINS0_14default_configENS1_25partition_config_selectorILNS1_17partition_subalgoE9EllbEEZZNS1_14partition_implILS5_9ELb0ES3_jPlS8_PNS0_10empty_typeENS0_5tupleIJS8_S9_EEENSB_IJS8_SA_EEENS0_18inequality_wrapperIZN2at6native12_GLOBAL__N_124unique_dim_cuda_templateIsEESt5tupleIJNSF_6TensorESK_SK_EERKSK_lbbbEUlllE0_EEPmJS9_EEE10hipError_tPvRmT3_T4_T5_T6_T7_T9_mT8_P12ihipStream_tbDpT10_ENKUlT_T0_E_clISt17integral_constantIbLb0EES1A_EEDaS15_S16_EUlS15_E_NS1_11comp_targetILNS1_3genE5ELNS1_11target_archE942ELNS1_3gpuE9ELNS1_3repE0EEENS1_30default_config_static_selectorELNS0_4arch9wavefront6targetE0EEEvT1_.private_seg_size, 0
	.set _ZN7rocprim17ROCPRIM_400000_NS6detail17trampoline_kernelINS0_14default_configENS1_25partition_config_selectorILNS1_17partition_subalgoE9EllbEEZZNS1_14partition_implILS5_9ELb0ES3_jPlS8_PNS0_10empty_typeENS0_5tupleIJS8_S9_EEENSB_IJS8_SA_EEENS0_18inequality_wrapperIZN2at6native12_GLOBAL__N_124unique_dim_cuda_templateIsEESt5tupleIJNSF_6TensorESK_SK_EERKSK_lbbbEUlllE0_EEPmJS9_EEE10hipError_tPvRmT3_T4_T5_T6_T7_T9_mT8_P12ihipStream_tbDpT10_ENKUlT_T0_E_clISt17integral_constantIbLb0EES1A_EEDaS15_S16_EUlS15_E_NS1_11comp_targetILNS1_3genE5ELNS1_11target_archE942ELNS1_3gpuE9ELNS1_3repE0EEENS1_30default_config_static_selectorELNS0_4arch9wavefront6targetE0EEEvT1_.uses_vcc, 0
	.set _ZN7rocprim17ROCPRIM_400000_NS6detail17trampoline_kernelINS0_14default_configENS1_25partition_config_selectorILNS1_17partition_subalgoE9EllbEEZZNS1_14partition_implILS5_9ELb0ES3_jPlS8_PNS0_10empty_typeENS0_5tupleIJS8_S9_EEENSB_IJS8_SA_EEENS0_18inequality_wrapperIZN2at6native12_GLOBAL__N_124unique_dim_cuda_templateIsEESt5tupleIJNSF_6TensorESK_SK_EERKSK_lbbbEUlllE0_EEPmJS9_EEE10hipError_tPvRmT3_T4_T5_T6_T7_T9_mT8_P12ihipStream_tbDpT10_ENKUlT_T0_E_clISt17integral_constantIbLb0EES1A_EEDaS15_S16_EUlS15_E_NS1_11comp_targetILNS1_3genE5ELNS1_11target_archE942ELNS1_3gpuE9ELNS1_3repE0EEENS1_30default_config_static_selectorELNS0_4arch9wavefront6targetE0EEEvT1_.uses_flat_scratch, 0
	.set _ZN7rocprim17ROCPRIM_400000_NS6detail17trampoline_kernelINS0_14default_configENS1_25partition_config_selectorILNS1_17partition_subalgoE9EllbEEZZNS1_14partition_implILS5_9ELb0ES3_jPlS8_PNS0_10empty_typeENS0_5tupleIJS8_S9_EEENSB_IJS8_SA_EEENS0_18inequality_wrapperIZN2at6native12_GLOBAL__N_124unique_dim_cuda_templateIsEESt5tupleIJNSF_6TensorESK_SK_EERKSK_lbbbEUlllE0_EEPmJS9_EEE10hipError_tPvRmT3_T4_T5_T6_T7_T9_mT8_P12ihipStream_tbDpT10_ENKUlT_T0_E_clISt17integral_constantIbLb0EES1A_EEDaS15_S16_EUlS15_E_NS1_11comp_targetILNS1_3genE5ELNS1_11target_archE942ELNS1_3gpuE9ELNS1_3repE0EEENS1_30default_config_static_selectorELNS0_4arch9wavefront6targetE0EEEvT1_.has_dyn_sized_stack, 0
	.set _ZN7rocprim17ROCPRIM_400000_NS6detail17trampoline_kernelINS0_14default_configENS1_25partition_config_selectorILNS1_17partition_subalgoE9EllbEEZZNS1_14partition_implILS5_9ELb0ES3_jPlS8_PNS0_10empty_typeENS0_5tupleIJS8_S9_EEENSB_IJS8_SA_EEENS0_18inequality_wrapperIZN2at6native12_GLOBAL__N_124unique_dim_cuda_templateIsEESt5tupleIJNSF_6TensorESK_SK_EERKSK_lbbbEUlllE0_EEPmJS9_EEE10hipError_tPvRmT3_T4_T5_T6_T7_T9_mT8_P12ihipStream_tbDpT10_ENKUlT_T0_E_clISt17integral_constantIbLb0EES1A_EEDaS15_S16_EUlS15_E_NS1_11comp_targetILNS1_3genE5ELNS1_11target_archE942ELNS1_3gpuE9ELNS1_3repE0EEENS1_30default_config_static_selectorELNS0_4arch9wavefront6targetE0EEEvT1_.has_recursion, 0
	.set _ZN7rocprim17ROCPRIM_400000_NS6detail17trampoline_kernelINS0_14default_configENS1_25partition_config_selectorILNS1_17partition_subalgoE9EllbEEZZNS1_14partition_implILS5_9ELb0ES3_jPlS8_PNS0_10empty_typeENS0_5tupleIJS8_S9_EEENSB_IJS8_SA_EEENS0_18inequality_wrapperIZN2at6native12_GLOBAL__N_124unique_dim_cuda_templateIsEESt5tupleIJNSF_6TensorESK_SK_EERKSK_lbbbEUlllE0_EEPmJS9_EEE10hipError_tPvRmT3_T4_T5_T6_T7_T9_mT8_P12ihipStream_tbDpT10_ENKUlT_T0_E_clISt17integral_constantIbLb0EES1A_EEDaS15_S16_EUlS15_E_NS1_11comp_targetILNS1_3genE5ELNS1_11target_archE942ELNS1_3gpuE9ELNS1_3repE0EEENS1_30default_config_static_selectorELNS0_4arch9wavefront6targetE0EEEvT1_.has_indirect_call, 0
	.section	.AMDGPU.csdata,"",@progbits
; Kernel info:
; codeLenInByte = 0
; TotalNumSgprs: 0
; NumVgprs: 0
; ScratchSize: 0
; MemoryBound: 0
; FloatMode: 240
; IeeeMode: 1
; LDSByteSize: 0 bytes/workgroup (compile time only)
; SGPRBlocks: 0
; VGPRBlocks: 0
; NumSGPRsForWavesPerEU: 1
; NumVGPRsForWavesPerEU: 1
; NamedBarCnt: 0
; Occupancy: 16
; WaveLimiterHint : 0
; COMPUTE_PGM_RSRC2:SCRATCH_EN: 0
; COMPUTE_PGM_RSRC2:USER_SGPR: 2
; COMPUTE_PGM_RSRC2:TRAP_HANDLER: 0
; COMPUTE_PGM_RSRC2:TGID_X_EN: 1
; COMPUTE_PGM_RSRC2:TGID_Y_EN: 0
; COMPUTE_PGM_RSRC2:TGID_Z_EN: 0
; COMPUTE_PGM_RSRC2:TIDIG_COMP_CNT: 0
	.section	.text._ZN7rocprim17ROCPRIM_400000_NS6detail17trampoline_kernelINS0_14default_configENS1_25partition_config_selectorILNS1_17partition_subalgoE9EllbEEZZNS1_14partition_implILS5_9ELb0ES3_jPlS8_PNS0_10empty_typeENS0_5tupleIJS8_S9_EEENSB_IJS8_SA_EEENS0_18inequality_wrapperIZN2at6native12_GLOBAL__N_124unique_dim_cuda_templateIsEESt5tupleIJNSF_6TensorESK_SK_EERKSK_lbbbEUlllE0_EEPmJS9_EEE10hipError_tPvRmT3_T4_T5_T6_T7_T9_mT8_P12ihipStream_tbDpT10_ENKUlT_T0_E_clISt17integral_constantIbLb0EES1A_EEDaS15_S16_EUlS15_E_NS1_11comp_targetILNS1_3genE4ELNS1_11target_archE910ELNS1_3gpuE8ELNS1_3repE0EEENS1_30default_config_static_selectorELNS0_4arch9wavefront6targetE0EEEvT1_,"axG",@progbits,_ZN7rocprim17ROCPRIM_400000_NS6detail17trampoline_kernelINS0_14default_configENS1_25partition_config_selectorILNS1_17partition_subalgoE9EllbEEZZNS1_14partition_implILS5_9ELb0ES3_jPlS8_PNS0_10empty_typeENS0_5tupleIJS8_S9_EEENSB_IJS8_SA_EEENS0_18inequality_wrapperIZN2at6native12_GLOBAL__N_124unique_dim_cuda_templateIsEESt5tupleIJNSF_6TensorESK_SK_EERKSK_lbbbEUlllE0_EEPmJS9_EEE10hipError_tPvRmT3_T4_T5_T6_T7_T9_mT8_P12ihipStream_tbDpT10_ENKUlT_T0_E_clISt17integral_constantIbLb0EES1A_EEDaS15_S16_EUlS15_E_NS1_11comp_targetILNS1_3genE4ELNS1_11target_archE910ELNS1_3gpuE8ELNS1_3repE0EEENS1_30default_config_static_selectorELNS0_4arch9wavefront6targetE0EEEvT1_,comdat
	.globl	_ZN7rocprim17ROCPRIM_400000_NS6detail17trampoline_kernelINS0_14default_configENS1_25partition_config_selectorILNS1_17partition_subalgoE9EllbEEZZNS1_14partition_implILS5_9ELb0ES3_jPlS8_PNS0_10empty_typeENS0_5tupleIJS8_S9_EEENSB_IJS8_SA_EEENS0_18inequality_wrapperIZN2at6native12_GLOBAL__N_124unique_dim_cuda_templateIsEESt5tupleIJNSF_6TensorESK_SK_EERKSK_lbbbEUlllE0_EEPmJS9_EEE10hipError_tPvRmT3_T4_T5_T6_T7_T9_mT8_P12ihipStream_tbDpT10_ENKUlT_T0_E_clISt17integral_constantIbLb0EES1A_EEDaS15_S16_EUlS15_E_NS1_11comp_targetILNS1_3genE4ELNS1_11target_archE910ELNS1_3gpuE8ELNS1_3repE0EEENS1_30default_config_static_selectorELNS0_4arch9wavefront6targetE0EEEvT1_ ; -- Begin function _ZN7rocprim17ROCPRIM_400000_NS6detail17trampoline_kernelINS0_14default_configENS1_25partition_config_selectorILNS1_17partition_subalgoE9EllbEEZZNS1_14partition_implILS5_9ELb0ES3_jPlS8_PNS0_10empty_typeENS0_5tupleIJS8_S9_EEENSB_IJS8_SA_EEENS0_18inequality_wrapperIZN2at6native12_GLOBAL__N_124unique_dim_cuda_templateIsEESt5tupleIJNSF_6TensorESK_SK_EERKSK_lbbbEUlllE0_EEPmJS9_EEE10hipError_tPvRmT3_T4_T5_T6_T7_T9_mT8_P12ihipStream_tbDpT10_ENKUlT_T0_E_clISt17integral_constantIbLb0EES1A_EEDaS15_S16_EUlS15_E_NS1_11comp_targetILNS1_3genE4ELNS1_11target_archE910ELNS1_3gpuE8ELNS1_3repE0EEENS1_30default_config_static_selectorELNS0_4arch9wavefront6targetE0EEEvT1_
	.p2align	8
	.type	_ZN7rocprim17ROCPRIM_400000_NS6detail17trampoline_kernelINS0_14default_configENS1_25partition_config_selectorILNS1_17partition_subalgoE9EllbEEZZNS1_14partition_implILS5_9ELb0ES3_jPlS8_PNS0_10empty_typeENS0_5tupleIJS8_S9_EEENSB_IJS8_SA_EEENS0_18inequality_wrapperIZN2at6native12_GLOBAL__N_124unique_dim_cuda_templateIsEESt5tupleIJNSF_6TensorESK_SK_EERKSK_lbbbEUlllE0_EEPmJS9_EEE10hipError_tPvRmT3_T4_T5_T6_T7_T9_mT8_P12ihipStream_tbDpT10_ENKUlT_T0_E_clISt17integral_constantIbLb0EES1A_EEDaS15_S16_EUlS15_E_NS1_11comp_targetILNS1_3genE4ELNS1_11target_archE910ELNS1_3gpuE8ELNS1_3repE0EEENS1_30default_config_static_selectorELNS0_4arch9wavefront6targetE0EEEvT1_,@function
_ZN7rocprim17ROCPRIM_400000_NS6detail17trampoline_kernelINS0_14default_configENS1_25partition_config_selectorILNS1_17partition_subalgoE9EllbEEZZNS1_14partition_implILS5_9ELb0ES3_jPlS8_PNS0_10empty_typeENS0_5tupleIJS8_S9_EEENSB_IJS8_SA_EEENS0_18inequality_wrapperIZN2at6native12_GLOBAL__N_124unique_dim_cuda_templateIsEESt5tupleIJNSF_6TensorESK_SK_EERKSK_lbbbEUlllE0_EEPmJS9_EEE10hipError_tPvRmT3_T4_T5_T6_T7_T9_mT8_P12ihipStream_tbDpT10_ENKUlT_T0_E_clISt17integral_constantIbLb0EES1A_EEDaS15_S16_EUlS15_E_NS1_11comp_targetILNS1_3genE4ELNS1_11target_archE910ELNS1_3gpuE8ELNS1_3repE0EEENS1_30default_config_static_selectorELNS0_4arch9wavefront6targetE0EEEvT1_: ; @_ZN7rocprim17ROCPRIM_400000_NS6detail17trampoline_kernelINS0_14default_configENS1_25partition_config_selectorILNS1_17partition_subalgoE9EllbEEZZNS1_14partition_implILS5_9ELb0ES3_jPlS8_PNS0_10empty_typeENS0_5tupleIJS8_S9_EEENSB_IJS8_SA_EEENS0_18inequality_wrapperIZN2at6native12_GLOBAL__N_124unique_dim_cuda_templateIsEESt5tupleIJNSF_6TensorESK_SK_EERKSK_lbbbEUlllE0_EEPmJS9_EEE10hipError_tPvRmT3_T4_T5_T6_T7_T9_mT8_P12ihipStream_tbDpT10_ENKUlT_T0_E_clISt17integral_constantIbLb0EES1A_EEDaS15_S16_EUlS15_E_NS1_11comp_targetILNS1_3genE4ELNS1_11target_archE910ELNS1_3gpuE8ELNS1_3repE0EEENS1_30default_config_static_selectorELNS0_4arch9wavefront6targetE0EEEvT1_
; %bb.0:
	.section	.rodata,"a",@progbits
	.p2align	6, 0x0
	.amdhsa_kernel _ZN7rocprim17ROCPRIM_400000_NS6detail17trampoline_kernelINS0_14default_configENS1_25partition_config_selectorILNS1_17partition_subalgoE9EllbEEZZNS1_14partition_implILS5_9ELb0ES3_jPlS8_PNS0_10empty_typeENS0_5tupleIJS8_S9_EEENSB_IJS8_SA_EEENS0_18inequality_wrapperIZN2at6native12_GLOBAL__N_124unique_dim_cuda_templateIsEESt5tupleIJNSF_6TensorESK_SK_EERKSK_lbbbEUlllE0_EEPmJS9_EEE10hipError_tPvRmT3_T4_T5_T6_T7_T9_mT8_P12ihipStream_tbDpT10_ENKUlT_T0_E_clISt17integral_constantIbLb0EES1A_EEDaS15_S16_EUlS15_E_NS1_11comp_targetILNS1_3genE4ELNS1_11target_archE910ELNS1_3gpuE8ELNS1_3repE0EEENS1_30default_config_static_selectorELNS0_4arch9wavefront6targetE0EEEvT1_
		.amdhsa_group_segment_fixed_size 0
		.amdhsa_private_segment_fixed_size 0
		.amdhsa_kernarg_size 120
		.amdhsa_user_sgpr_count 2
		.amdhsa_user_sgpr_dispatch_ptr 0
		.amdhsa_user_sgpr_queue_ptr 0
		.amdhsa_user_sgpr_kernarg_segment_ptr 1
		.amdhsa_user_sgpr_dispatch_id 0
		.amdhsa_user_sgpr_kernarg_preload_length 0
		.amdhsa_user_sgpr_kernarg_preload_offset 0
		.amdhsa_user_sgpr_private_segment_size 0
		.amdhsa_wavefront_size32 1
		.amdhsa_uses_dynamic_stack 0
		.amdhsa_enable_private_segment 0
		.amdhsa_system_sgpr_workgroup_id_x 1
		.amdhsa_system_sgpr_workgroup_id_y 0
		.amdhsa_system_sgpr_workgroup_id_z 0
		.amdhsa_system_sgpr_workgroup_info 0
		.amdhsa_system_vgpr_workitem_id 0
		.amdhsa_next_free_vgpr 1
		.amdhsa_next_free_sgpr 1
		.amdhsa_named_barrier_count 0
		.amdhsa_reserve_vcc 0
		.amdhsa_float_round_mode_32 0
		.amdhsa_float_round_mode_16_64 0
		.amdhsa_float_denorm_mode_32 3
		.amdhsa_float_denorm_mode_16_64 3
		.amdhsa_fp16_overflow 0
		.amdhsa_memory_ordered 1
		.amdhsa_forward_progress 1
		.amdhsa_inst_pref_size 0
		.amdhsa_round_robin_scheduling 0
		.amdhsa_exception_fp_ieee_invalid_op 0
		.amdhsa_exception_fp_denorm_src 0
		.amdhsa_exception_fp_ieee_div_zero 0
		.amdhsa_exception_fp_ieee_overflow 0
		.amdhsa_exception_fp_ieee_underflow 0
		.amdhsa_exception_fp_ieee_inexact 0
		.amdhsa_exception_int_div_zero 0
	.end_amdhsa_kernel
	.section	.text._ZN7rocprim17ROCPRIM_400000_NS6detail17trampoline_kernelINS0_14default_configENS1_25partition_config_selectorILNS1_17partition_subalgoE9EllbEEZZNS1_14partition_implILS5_9ELb0ES3_jPlS8_PNS0_10empty_typeENS0_5tupleIJS8_S9_EEENSB_IJS8_SA_EEENS0_18inequality_wrapperIZN2at6native12_GLOBAL__N_124unique_dim_cuda_templateIsEESt5tupleIJNSF_6TensorESK_SK_EERKSK_lbbbEUlllE0_EEPmJS9_EEE10hipError_tPvRmT3_T4_T5_T6_T7_T9_mT8_P12ihipStream_tbDpT10_ENKUlT_T0_E_clISt17integral_constantIbLb0EES1A_EEDaS15_S16_EUlS15_E_NS1_11comp_targetILNS1_3genE4ELNS1_11target_archE910ELNS1_3gpuE8ELNS1_3repE0EEENS1_30default_config_static_selectorELNS0_4arch9wavefront6targetE0EEEvT1_,"axG",@progbits,_ZN7rocprim17ROCPRIM_400000_NS6detail17trampoline_kernelINS0_14default_configENS1_25partition_config_selectorILNS1_17partition_subalgoE9EllbEEZZNS1_14partition_implILS5_9ELb0ES3_jPlS8_PNS0_10empty_typeENS0_5tupleIJS8_S9_EEENSB_IJS8_SA_EEENS0_18inequality_wrapperIZN2at6native12_GLOBAL__N_124unique_dim_cuda_templateIsEESt5tupleIJNSF_6TensorESK_SK_EERKSK_lbbbEUlllE0_EEPmJS9_EEE10hipError_tPvRmT3_T4_T5_T6_T7_T9_mT8_P12ihipStream_tbDpT10_ENKUlT_T0_E_clISt17integral_constantIbLb0EES1A_EEDaS15_S16_EUlS15_E_NS1_11comp_targetILNS1_3genE4ELNS1_11target_archE910ELNS1_3gpuE8ELNS1_3repE0EEENS1_30default_config_static_selectorELNS0_4arch9wavefront6targetE0EEEvT1_,comdat
.Lfunc_end719:
	.size	_ZN7rocprim17ROCPRIM_400000_NS6detail17trampoline_kernelINS0_14default_configENS1_25partition_config_selectorILNS1_17partition_subalgoE9EllbEEZZNS1_14partition_implILS5_9ELb0ES3_jPlS8_PNS0_10empty_typeENS0_5tupleIJS8_S9_EEENSB_IJS8_SA_EEENS0_18inequality_wrapperIZN2at6native12_GLOBAL__N_124unique_dim_cuda_templateIsEESt5tupleIJNSF_6TensorESK_SK_EERKSK_lbbbEUlllE0_EEPmJS9_EEE10hipError_tPvRmT3_T4_T5_T6_T7_T9_mT8_P12ihipStream_tbDpT10_ENKUlT_T0_E_clISt17integral_constantIbLb0EES1A_EEDaS15_S16_EUlS15_E_NS1_11comp_targetILNS1_3genE4ELNS1_11target_archE910ELNS1_3gpuE8ELNS1_3repE0EEENS1_30default_config_static_selectorELNS0_4arch9wavefront6targetE0EEEvT1_, .Lfunc_end719-_ZN7rocprim17ROCPRIM_400000_NS6detail17trampoline_kernelINS0_14default_configENS1_25partition_config_selectorILNS1_17partition_subalgoE9EllbEEZZNS1_14partition_implILS5_9ELb0ES3_jPlS8_PNS0_10empty_typeENS0_5tupleIJS8_S9_EEENSB_IJS8_SA_EEENS0_18inequality_wrapperIZN2at6native12_GLOBAL__N_124unique_dim_cuda_templateIsEESt5tupleIJNSF_6TensorESK_SK_EERKSK_lbbbEUlllE0_EEPmJS9_EEE10hipError_tPvRmT3_T4_T5_T6_T7_T9_mT8_P12ihipStream_tbDpT10_ENKUlT_T0_E_clISt17integral_constantIbLb0EES1A_EEDaS15_S16_EUlS15_E_NS1_11comp_targetILNS1_3genE4ELNS1_11target_archE910ELNS1_3gpuE8ELNS1_3repE0EEENS1_30default_config_static_selectorELNS0_4arch9wavefront6targetE0EEEvT1_
                                        ; -- End function
	.set _ZN7rocprim17ROCPRIM_400000_NS6detail17trampoline_kernelINS0_14default_configENS1_25partition_config_selectorILNS1_17partition_subalgoE9EllbEEZZNS1_14partition_implILS5_9ELb0ES3_jPlS8_PNS0_10empty_typeENS0_5tupleIJS8_S9_EEENSB_IJS8_SA_EEENS0_18inequality_wrapperIZN2at6native12_GLOBAL__N_124unique_dim_cuda_templateIsEESt5tupleIJNSF_6TensorESK_SK_EERKSK_lbbbEUlllE0_EEPmJS9_EEE10hipError_tPvRmT3_T4_T5_T6_T7_T9_mT8_P12ihipStream_tbDpT10_ENKUlT_T0_E_clISt17integral_constantIbLb0EES1A_EEDaS15_S16_EUlS15_E_NS1_11comp_targetILNS1_3genE4ELNS1_11target_archE910ELNS1_3gpuE8ELNS1_3repE0EEENS1_30default_config_static_selectorELNS0_4arch9wavefront6targetE0EEEvT1_.num_vgpr, 0
	.set _ZN7rocprim17ROCPRIM_400000_NS6detail17trampoline_kernelINS0_14default_configENS1_25partition_config_selectorILNS1_17partition_subalgoE9EllbEEZZNS1_14partition_implILS5_9ELb0ES3_jPlS8_PNS0_10empty_typeENS0_5tupleIJS8_S9_EEENSB_IJS8_SA_EEENS0_18inequality_wrapperIZN2at6native12_GLOBAL__N_124unique_dim_cuda_templateIsEESt5tupleIJNSF_6TensorESK_SK_EERKSK_lbbbEUlllE0_EEPmJS9_EEE10hipError_tPvRmT3_T4_T5_T6_T7_T9_mT8_P12ihipStream_tbDpT10_ENKUlT_T0_E_clISt17integral_constantIbLb0EES1A_EEDaS15_S16_EUlS15_E_NS1_11comp_targetILNS1_3genE4ELNS1_11target_archE910ELNS1_3gpuE8ELNS1_3repE0EEENS1_30default_config_static_selectorELNS0_4arch9wavefront6targetE0EEEvT1_.num_agpr, 0
	.set _ZN7rocprim17ROCPRIM_400000_NS6detail17trampoline_kernelINS0_14default_configENS1_25partition_config_selectorILNS1_17partition_subalgoE9EllbEEZZNS1_14partition_implILS5_9ELb0ES3_jPlS8_PNS0_10empty_typeENS0_5tupleIJS8_S9_EEENSB_IJS8_SA_EEENS0_18inequality_wrapperIZN2at6native12_GLOBAL__N_124unique_dim_cuda_templateIsEESt5tupleIJNSF_6TensorESK_SK_EERKSK_lbbbEUlllE0_EEPmJS9_EEE10hipError_tPvRmT3_T4_T5_T6_T7_T9_mT8_P12ihipStream_tbDpT10_ENKUlT_T0_E_clISt17integral_constantIbLb0EES1A_EEDaS15_S16_EUlS15_E_NS1_11comp_targetILNS1_3genE4ELNS1_11target_archE910ELNS1_3gpuE8ELNS1_3repE0EEENS1_30default_config_static_selectorELNS0_4arch9wavefront6targetE0EEEvT1_.numbered_sgpr, 0
	.set _ZN7rocprim17ROCPRIM_400000_NS6detail17trampoline_kernelINS0_14default_configENS1_25partition_config_selectorILNS1_17partition_subalgoE9EllbEEZZNS1_14partition_implILS5_9ELb0ES3_jPlS8_PNS0_10empty_typeENS0_5tupleIJS8_S9_EEENSB_IJS8_SA_EEENS0_18inequality_wrapperIZN2at6native12_GLOBAL__N_124unique_dim_cuda_templateIsEESt5tupleIJNSF_6TensorESK_SK_EERKSK_lbbbEUlllE0_EEPmJS9_EEE10hipError_tPvRmT3_T4_T5_T6_T7_T9_mT8_P12ihipStream_tbDpT10_ENKUlT_T0_E_clISt17integral_constantIbLb0EES1A_EEDaS15_S16_EUlS15_E_NS1_11comp_targetILNS1_3genE4ELNS1_11target_archE910ELNS1_3gpuE8ELNS1_3repE0EEENS1_30default_config_static_selectorELNS0_4arch9wavefront6targetE0EEEvT1_.num_named_barrier, 0
	.set _ZN7rocprim17ROCPRIM_400000_NS6detail17trampoline_kernelINS0_14default_configENS1_25partition_config_selectorILNS1_17partition_subalgoE9EllbEEZZNS1_14partition_implILS5_9ELb0ES3_jPlS8_PNS0_10empty_typeENS0_5tupleIJS8_S9_EEENSB_IJS8_SA_EEENS0_18inequality_wrapperIZN2at6native12_GLOBAL__N_124unique_dim_cuda_templateIsEESt5tupleIJNSF_6TensorESK_SK_EERKSK_lbbbEUlllE0_EEPmJS9_EEE10hipError_tPvRmT3_T4_T5_T6_T7_T9_mT8_P12ihipStream_tbDpT10_ENKUlT_T0_E_clISt17integral_constantIbLb0EES1A_EEDaS15_S16_EUlS15_E_NS1_11comp_targetILNS1_3genE4ELNS1_11target_archE910ELNS1_3gpuE8ELNS1_3repE0EEENS1_30default_config_static_selectorELNS0_4arch9wavefront6targetE0EEEvT1_.private_seg_size, 0
	.set _ZN7rocprim17ROCPRIM_400000_NS6detail17trampoline_kernelINS0_14default_configENS1_25partition_config_selectorILNS1_17partition_subalgoE9EllbEEZZNS1_14partition_implILS5_9ELb0ES3_jPlS8_PNS0_10empty_typeENS0_5tupleIJS8_S9_EEENSB_IJS8_SA_EEENS0_18inequality_wrapperIZN2at6native12_GLOBAL__N_124unique_dim_cuda_templateIsEESt5tupleIJNSF_6TensorESK_SK_EERKSK_lbbbEUlllE0_EEPmJS9_EEE10hipError_tPvRmT3_T4_T5_T6_T7_T9_mT8_P12ihipStream_tbDpT10_ENKUlT_T0_E_clISt17integral_constantIbLb0EES1A_EEDaS15_S16_EUlS15_E_NS1_11comp_targetILNS1_3genE4ELNS1_11target_archE910ELNS1_3gpuE8ELNS1_3repE0EEENS1_30default_config_static_selectorELNS0_4arch9wavefront6targetE0EEEvT1_.uses_vcc, 0
	.set _ZN7rocprim17ROCPRIM_400000_NS6detail17trampoline_kernelINS0_14default_configENS1_25partition_config_selectorILNS1_17partition_subalgoE9EllbEEZZNS1_14partition_implILS5_9ELb0ES3_jPlS8_PNS0_10empty_typeENS0_5tupleIJS8_S9_EEENSB_IJS8_SA_EEENS0_18inequality_wrapperIZN2at6native12_GLOBAL__N_124unique_dim_cuda_templateIsEESt5tupleIJNSF_6TensorESK_SK_EERKSK_lbbbEUlllE0_EEPmJS9_EEE10hipError_tPvRmT3_T4_T5_T6_T7_T9_mT8_P12ihipStream_tbDpT10_ENKUlT_T0_E_clISt17integral_constantIbLb0EES1A_EEDaS15_S16_EUlS15_E_NS1_11comp_targetILNS1_3genE4ELNS1_11target_archE910ELNS1_3gpuE8ELNS1_3repE0EEENS1_30default_config_static_selectorELNS0_4arch9wavefront6targetE0EEEvT1_.uses_flat_scratch, 0
	.set _ZN7rocprim17ROCPRIM_400000_NS6detail17trampoline_kernelINS0_14default_configENS1_25partition_config_selectorILNS1_17partition_subalgoE9EllbEEZZNS1_14partition_implILS5_9ELb0ES3_jPlS8_PNS0_10empty_typeENS0_5tupleIJS8_S9_EEENSB_IJS8_SA_EEENS0_18inequality_wrapperIZN2at6native12_GLOBAL__N_124unique_dim_cuda_templateIsEESt5tupleIJNSF_6TensorESK_SK_EERKSK_lbbbEUlllE0_EEPmJS9_EEE10hipError_tPvRmT3_T4_T5_T6_T7_T9_mT8_P12ihipStream_tbDpT10_ENKUlT_T0_E_clISt17integral_constantIbLb0EES1A_EEDaS15_S16_EUlS15_E_NS1_11comp_targetILNS1_3genE4ELNS1_11target_archE910ELNS1_3gpuE8ELNS1_3repE0EEENS1_30default_config_static_selectorELNS0_4arch9wavefront6targetE0EEEvT1_.has_dyn_sized_stack, 0
	.set _ZN7rocprim17ROCPRIM_400000_NS6detail17trampoline_kernelINS0_14default_configENS1_25partition_config_selectorILNS1_17partition_subalgoE9EllbEEZZNS1_14partition_implILS5_9ELb0ES3_jPlS8_PNS0_10empty_typeENS0_5tupleIJS8_S9_EEENSB_IJS8_SA_EEENS0_18inequality_wrapperIZN2at6native12_GLOBAL__N_124unique_dim_cuda_templateIsEESt5tupleIJNSF_6TensorESK_SK_EERKSK_lbbbEUlllE0_EEPmJS9_EEE10hipError_tPvRmT3_T4_T5_T6_T7_T9_mT8_P12ihipStream_tbDpT10_ENKUlT_T0_E_clISt17integral_constantIbLb0EES1A_EEDaS15_S16_EUlS15_E_NS1_11comp_targetILNS1_3genE4ELNS1_11target_archE910ELNS1_3gpuE8ELNS1_3repE0EEENS1_30default_config_static_selectorELNS0_4arch9wavefront6targetE0EEEvT1_.has_recursion, 0
	.set _ZN7rocprim17ROCPRIM_400000_NS6detail17trampoline_kernelINS0_14default_configENS1_25partition_config_selectorILNS1_17partition_subalgoE9EllbEEZZNS1_14partition_implILS5_9ELb0ES3_jPlS8_PNS0_10empty_typeENS0_5tupleIJS8_S9_EEENSB_IJS8_SA_EEENS0_18inequality_wrapperIZN2at6native12_GLOBAL__N_124unique_dim_cuda_templateIsEESt5tupleIJNSF_6TensorESK_SK_EERKSK_lbbbEUlllE0_EEPmJS9_EEE10hipError_tPvRmT3_T4_T5_T6_T7_T9_mT8_P12ihipStream_tbDpT10_ENKUlT_T0_E_clISt17integral_constantIbLb0EES1A_EEDaS15_S16_EUlS15_E_NS1_11comp_targetILNS1_3genE4ELNS1_11target_archE910ELNS1_3gpuE8ELNS1_3repE0EEENS1_30default_config_static_selectorELNS0_4arch9wavefront6targetE0EEEvT1_.has_indirect_call, 0
	.section	.AMDGPU.csdata,"",@progbits
; Kernel info:
; codeLenInByte = 0
; TotalNumSgprs: 0
; NumVgprs: 0
; ScratchSize: 0
; MemoryBound: 0
; FloatMode: 240
; IeeeMode: 1
; LDSByteSize: 0 bytes/workgroup (compile time only)
; SGPRBlocks: 0
; VGPRBlocks: 0
; NumSGPRsForWavesPerEU: 1
; NumVGPRsForWavesPerEU: 1
; NamedBarCnt: 0
; Occupancy: 16
; WaveLimiterHint : 0
; COMPUTE_PGM_RSRC2:SCRATCH_EN: 0
; COMPUTE_PGM_RSRC2:USER_SGPR: 2
; COMPUTE_PGM_RSRC2:TRAP_HANDLER: 0
; COMPUTE_PGM_RSRC2:TGID_X_EN: 1
; COMPUTE_PGM_RSRC2:TGID_Y_EN: 0
; COMPUTE_PGM_RSRC2:TGID_Z_EN: 0
; COMPUTE_PGM_RSRC2:TIDIG_COMP_CNT: 0
	.section	.text._ZN7rocprim17ROCPRIM_400000_NS6detail17trampoline_kernelINS0_14default_configENS1_25partition_config_selectorILNS1_17partition_subalgoE9EllbEEZZNS1_14partition_implILS5_9ELb0ES3_jPlS8_PNS0_10empty_typeENS0_5tupleIJS8_S9_EEENSB_IJS8_SA_EEENS0_18inequality_wrapperIZN2at6native12_GLOBAL__N_124unique_dim_cuda_templateIsEESt5tupleIJNSF_6TensorESK_SK_EERKSK_lbbbEUlllE0_EEPmJS9_EEE10hipError_tPvRmT3_T4_T5_T6_T7_T9_mT8_P12ihipStream_tbDpT10_ENKUlT_T0_E_clISt17integral_constantIbLb0EES1A_EEDaS15_S16_EUlS15_E_NS1_11comp_targetILNS1_3genE3ELNS1_11target_archE908ELNS1_3gpuE7ELNS1_3repE0EEENS1_30default_config_static_selectorELNS0_4arch9wavefront6targetE0EEEvT1_,"axG",@progbits,_ZN7rocprim17ROCPRIM_400000_NS6detail17trampoline_kernelINS0_14default_configENS1_25partition_config_selectorILNS1_17partition_subalgoE9EllbEEZZNS1_14partition_implILS5_9ELb0ES3_jPlS8_PNS0_10empty_typeENS0_5tupleIJS8_S9_EEENSB_IJS8_SA_EEENS0_18inequality_wrapperIZN2at6native12_GLOBAL__N_124unique_dim_cuda_templateIsEESt5tupleIJNSF_6TensorESK_SK_EERKSK_lbbbEUlllE0_EEPmJS9_EEE10hipError_tPvRmT3_T4_T5_T6_T7_T9_mT8_P12ihipStream_tbDpT10_ENKUlT_T0_E_clISt17integral_constantIbLb0EES1A_EEDaS15_S16_EUlS15_E_NS1_11comp_targetILNS1_3genE3ELNS1_11target_archE908ELNS1_3gpuE7ELNS1_3repE0EEENS1_30default_config_static_selectorELNS0_4arch9wavefront6targetE0EEEvT1_,comdat
	.globl	_ZN7rocprim17ROCPRIM_400000_NS6detail17trampoline_kernelINS0_14default_configENS1_25partition_config_selectorILNS1_17partition_subalgoE9EllbEEZZNS1_14partition_implILS5_9ELb0ES3_jPlS8_PNS0_10empty_typeENS0_5tupleIJS8_S9_EEENSB_IJS8_SA_EEENS0_18inequality_wrapperIZN2at6native12_GLOBAL__N_124unique_dim_cuda_templateIsEESt5tupleIJNSF_6TensorESK_SK_EERKSK_lbbbEUlllE0_EEPmJS9_EEE10hipError_tPvRmT3_T4_T5_T6_T7_T9_mT8_P12ihipStream_tbDpT10_ENKUlT_T0_E_clISt17integral_constantIbLb0EES1A_EEDaS15_S16_EUlS15_E_NS1_11comp_targetILNS1_3genE3ELNS1_11target_archE908ELNS1_3gpuE7ELNS1_3repE0EEENS1_30default_config_static_selectorELNS0_4arch9wavefront6targetE0EEEvT1_ ; -- Begin function _ZN7rocprim17ROCPRIM_400000_NS6detail17trampoline_kernelINS0_14default_configENS1_25partition_config_selectorILNS1_17partition_subalgoE9EllbEEZZNS1_14partition_implILS5_9ELb0ES3_jPlS8_PNS0_10empty_typeENS0_5tupleIJS8_S9_EEENSB_IJS8_SA_EEENS0_18inequality_wrapperIZN2at6native12_GLOBAL__N_124unique_dim_cuda_templateIsEESt5tupleIJNSF_6TensorESK_SK_EERKSK_lbbbEUlllE0_EEPmJS9_EEE10hipError_tPvRmT3_T4_T5_T6_T7_T9_mT8_P12ihipStream_tbDpT10_ENKUlT_T0_E_clISt17integral_constantIbLb0EES1A_EEDaS15_S16_EUlS15_E_NS1_11comp_targetILNS1_3genE3ELNS1_11target_archE908ELNS1_3gpuE7ELNS1_3repE0EEENS1_30default_config_static_selectorELNS0_4arch9wavefront6targetE0EEEvT1_
	.p2align	8
	.type	_ZN7rocprim17ROCPRIM_400000_NS6detail17trampoline_kernelINS0_14default_configENS1_25partition_config_selectorILNS1_17partition_subalgoE9EllbEEZZNS1_14partition_implILS5_9ELb0ES3_jPlS8_PNS0_10empty_typeENS0_5tupleIJS8_S9_EEENSB_IJS8_SA_EEENS0_18inequality_wrapperIZN2at6native12_GLOBAL__N_124unique_dim_cuda_templateIsEESt5tupleIJNSF_6TensorESK_SK_EERKSK_lbbbEUlllE0_EEPmJS9_EEE10hipError_tPvRmT3_T4_T5_T6_T7_T9_mT8_P12ihipStream_tbDpT10_ENKUlT_T0_E_clISt17integral_constantIbLb0EES1A_EEDaS15_S16_EUlS15_E_NS1_11comp_targetILNS1_3genE3ELNS1_11target_archE908ELNS1_3gpuE7ELNS1_3repE0EEENS1_30default_config_static_selectorELNS0_4arch9wavefront6targetE0EEEvT1_,@function
_ZN7rocprim17ROCPRIM_400000_NS6detail17trampoline_kernelINS0_14default_configENS1_25partition_config_selectorILNS1_17partition_subalgoE9EllbEEZZNS1_14partition_implILS5_9ELb0ES3_jPlS8_PNS0_10empty_typeENS0_5tupleIJS8_S9_EEENSB_IJS8_SA_EEENS0_18inequality_wrapperIZN2at6native12_GLOBAL__N_124unique_dim_cuda_templateIsEESt5tupleIJNSF_6TensorESK_SK_EERKSK_lbbbEUlllE0_EEPmJS9_EEE10hipError_tPvRmT3_T4_T5_T6_T7_T9_mT8_P12ihipStream_tbDpT10_ENKUlT_T0_E_clISt17integral_constantIbLb0EES1A_EEDaS15_S16_EUlS15_E_NS1_11comp_targetILNS1_3genE3ELNS1_11target_archE908ELNS1_3gpuE7ELNS1_3repE0EEENS1_30default_config_static_selectorELNS0_4arch9wavefront6targetE0EEEvT1_: ; @_ZN7rocprim17ROCPRIM_400000_NS6detail17trampoline_kernelINS0_14default_configENS1_25partition_config_selectorILNS1_17partition_subalgoE9EllbEEZZNS1_14partition_implILS5_9ELb0ES3_jPlS8_PNS0_10empty_typeENS0_5tupleIJS8_S9_EEENSB_IJS8_SA_EEENS0_18inequality_wrapperIZN2at6native12_GLOBAL__N_124unique_dim_cuda_templateIsEESt5tupleIJNSF_6TensorESK_SK_EERKSK_lbbbEUlllE0_EEPmJS9_EEE10hipError_tPvRmT3_T4_T5_T6_T7_T9_mT8_P12ihipStream_tbDpT10_ENKUlT_T0_E_clISt17integral_constantIbLb0EES1A_EEDaS15_S16_EUlS15_E_NS1_11comp_targetILNS1_3genE3ELNS1_11target_archE908ELNS1_3gpuE7ELNS1_3repE0EEENS1_30default_config_static_selectorELNS0_4arch9wavefront6targetE0EEEvT1_
; %bb.0:
	.section	.rodata,"a",@progbits
	.p2align	6, 0x0
	.amdhsa_kernel _ZN7rocprim17ROCPRIM_400000_NS6detail17trampoline_kernelINS0_14default_configENS1_25partition_config_selectorILNS1_17partition_subalgoE9EllbEEZZNS1_14partition_implILS5_9ELb0ES3_jPlS8_PNS0_10empty_typeENS0_5tupleIJS8_S9_EEENSB_IJS8_SA_EEENS0_18inequality_wrapperIZN2at6native12_GLOBAL__N_124unique_dim_cuda_templateIsEESt5tupleIJNSF_6TensorESK_SK_EERKSK_lbbbEUlllE0_EEPmJS9_EEE10hipError_tPvRmT3_T4_T5_T6_T7_T9_mT8_P12ihipStream_tbDpT10_ENKUlT_T0_E_clISt17integral_constantIbLb0EES1A_EEDaS15_S16_EUlS15_E_NS1_11comp_targetILNS1_3genE3ELNS1_11target_archE908ELNS1_3gpuE7ELNS1_3repE0EEENS1_30default_config_static_selectorELNS0_4arch9wavefront6targetE0EEEvT1_
		.amdhsa_group_segment_fixed_size 0
		.amdhsa_private_segment_fixed_size 0
		.amdhsa_kernarg_size 120
		.amdhsa_user_sgpr_count 2
		.amdhsa_user_sgpr_dispatch_ptr 0
		.amdhsa_user_sgpr_queue_ptr 0
		.amdhsa_user_sgpr_kernarg_segment_ptr 1
		.amdhsa_user_sgpr_dispatch_id 0
		.amdhsa_user_sgpr_kernarg_preload_length 0
		.amdhsa_user_sgpr_kernarg_preload_offset 0
		.amdhsa_user_sgpr_private_segment_size 0
		.amdhsa_wavefront_size32 1
		.amdhsa_uses_dynamic_stack 0
		.amdhsa_enable_private_segment 0
		.amdhsa_system_sgpr_workgroup_id_x 1
		.amdhsa_system_sgpr_workgroup_id_y 0
		.amdhsa_system_sgpr_workgroup_id_z 0
		.amdhsa_system_sgpr_workgroup_info 0
		.amdhsa_system_vgpr_workitem_id 0
		.amdhsa_next_free_vgpr 1
		.amdhsa_next_free_sgpr 1
		.amdhsa_named_barrier_count 0
		.amdhsa_reserve_vcc 0
		.amdhsa_float_round_mode_32 0
		.amdhsa_float_round_mode_16_64 0
		.amdhsa_float_denorm_mode_32 3
		.amdhsa_float_denorm_mode_16_64 3
		.amdhsa_fp16_overflow 0
		.amdhsa_memory_ordered 1
		.amdhsa_forward_progress 1
		.amdhsa_inst_pref_size 0
		.amdhsa_round_robin_scheduling 0
		.amdhsa_exception_fp_ieee_invalid_op 0
		.amdhsa_exception_fp_denorm_src 0
		.amdhsa_exception_fp_ieee_div_zero 0
		.amdhsa_exception_fp_ieee_overflow 0
		.amdhsa_exception_fp_ieee_underflow 0
		.amdhsa_exception_fp_ieee_inexact 0
		.amdhsa_exception_int_div_zero 0
	.end_amdhsa_kernel
	.section	.text._ZN7rocprim17ROCPRIM_400000_NS6detail17trampoline_kernelINS0_14default_configENS1_25partition_config_selectorILNS1_17partition_subalgoE9EllbEEZZNS1_14partition_implILS5_9ELb0ES3_jPlS8_PNS0_10empty_typeENS0_5tupleIJS8_S9_EEENSB_IJS8_SA_EEENS0_18inequality_wrapperIZN2at6native12_GLOBAL__N_124unique_dim_cuda_templateIsEESt5tupleIJNSF_6TensorESK_SK_EERKSK_lbbbEUlllE0_EEPmJS9_EEE10hipError_tPvRmT3_T4_T5_T6_T7_T9_mT8_P12ihipStream_tbDpT10_ENKUlT_T0_E_clISt17integral_constantIbLb0EES1A_EEDaS15_S16_EUlS15_E_NS1_11comp_targetILNS1_3genE3ELNS1_11target_archE908ELNS1_3gpuE7ELNS1_3repE0EEENS1_30default_config_static_selectorELNS0_4arch9wavefront6targetE0EEEvT1_,"axG",@progbits,_ZN7rocprim17ROCPRIM_400000_NS6detail17trampoline_kernelINS0_14default_configENS1_25partition_config_selectorILNS1_17partition_subalgoE9EllbEEZZNS1_14partition_implILS5_9ELb0ES3_jPlS8_PNS0_10empty_typeENS0_5tupleIJS8_S9_EEENSB_IJS8_SA_EEENS0_18inequality_wrapperIZN2at6native12_GLOBAL__N_124unique_dim_cuda_templateIsEESt5tupleIJNSF_6TensorESK_SK_EERKSK_lbbbEUlllE0_EEPmJS9_EEE10hipError_tPvRmT3_T4_T5_T6_T7_T9_mT8_P12ihipStream_tbDpT10_ENKUlT_T0_E_clISt17integral_constantIbLb0EES1A_EEDaS15_S16_EUlS15_E_NS1_11comp_targetILNS1_3genE3ELNS1_11target_archE908ELNS1_3gpuE7ELNS1_3repE0EEENS1_30default_config_static_selectorELNS0_4arch9wavefront6targetE0EEEvT1_,comdat
.Lfunc_end720:
	.size	_ZN7rocprim17ROCPRIM_400000_NS6detail17trampoline_kernelINS0_14default_configENS1_25partition_config_selectorILNS1_17partition_subalgoE9EllbEEZZNS1_14partition_implILS5_9ELb0ES3_jPlS8_PNS0_10empty_typeENS0_5tupleIJS8_S9_EEENSB_IJS8_SA_EEENS0_18inequality_wrapperIZN2at6native12_GLOBAL__N_124unique_dim_cuda_templateIsEESt5tupleIJNSF_6TensorESK_SK_EERKSK_lbbbEUlllE0_EEPmJS9_EEE10hipError_tPvRmT3_T4_T5_T6_T7_T9_mT8_P12ihipStream_tbDpT10_ENKUlT_T0_E_clISt17integral_constantIbLb0EES1A_EEDaS15_S16_EUlS15_E_NS1_11comp_targetILNS1_3genE3ELNS1_11target_archE908ELNS1_3gpuE7ELNS1_3repE0EEENS1_30default_config_static_selectorELNS0_4arch9wavefront6targetE0EEEvT1_, .Lfunc_end720-_ZN7rocprim17ROCPRIM_400000_NS6detail17trampoline_kernelINS0_14default_configENS1_25partition_config_selectorILNS1_17partition_subalgoE9EllbEEZZNS1_14partition_implILS5_9ELb0ES3_jPlS8_PNS0_10empty_typeENS0_5tupleIJS8_S9_EEENSB_IJS8_SA_EEENS0_18inequality_wrapperIZN2at6native12_GLOBAL__N_124unique_dim_cuda_templateIsEESt5tupleIJNSF_6TensorESK_SK_EERKSK_lbbbEUlllE0_EEPmJS9_EEE10hipError_tPvRmT3_T4_T5_T6_T7_T9_mT8_P12ihipStream_tbDpT10_ENKUlT_T0_E_clISt17integral_constantIbLb0EES1A_EEDaS15_S16_EUlS15_E_NS1_11comp_targetILNS1_3genE3ELNS1_11target_archE908ELNS1_3gpuE7ELNS1_3repE0EEENS1_30default_config_static_selectorELNS0_4arch9wavefront6targetE0EEEvT1_
                                        ; -- End function
	.set _ZN7rocprim17ROCPRIM_400000_NS6detail17trampoline_kernelINS0_14default_configENS1_25partition_config_selectorILNS1_17partition_subalgoE9EllbEEZZNS1_14partition_implILS5_9ELb0ES3_jPlS8_PNS0_10empty_typeENS0_5tupleIJS8_S9_EEENSB_IJS8_SA_EEENS0_18inequality_wrapperIZN2at6native12_GLOBAL__N_124unique_dim_cuda_templateIsEESt5tupleIJNSF_6TensorESK_SK_EERKSK_lbbbEUlllE0_EEPmJS9_EEE10hipError_tPvRmT3_T4_T5_T6_T7_T9_mT8_P12ihipStream_tbDpT10_ENKUlT_T0_E_clISt17integral_constantIbLb0EES1A_EEDaS15_S16_EUlS15_E_NS1_11comp_targetILNS1_3genE3ELNS1_11target_archE908ELNS1_3gpuE7ELNS1_3repE0EEENS1_30default_config_static_selectorELNS0_4arch9wavefront6targetE0EEEvT1_.num_vgpr, 0
	.set _ZN7rocprim17ROCPRIM_400000_NS6detail17trampoline_kernelINS0_14default_configENS1_25partition_config_selectorILNS1_17partition_subalgoE9EllbEEZZNS1_14partition_implILS5_9ELb0ES3_jPlS8_PNS0_10empty_typeENS0_5tupleIJS8_S9_EEENSB_IJS8_SA_EEENS0_18inequality_wrapperIZN2at6native12_GLOBAL__N_124unique_dim_cuda_templateIsEESt5tupleIJNSF_6TensorESK_SK_EERKSK_lbbbEUlllE0_EEPmJS9_EEE10hipError_tPvRmT3_T4_T5_T6_T7_T9_mT8_P12ihipStream_tbDpT10_ENKUlT_T0_E_clISt17integral_constantIbLb0EES1A_EEDaS15_S16_EUlS15_E_NS1_11comp_targetILNS1_3genE3ELNS1_11target_archE908ELNS1_3gpuE7ELNS1_3repE0EEENS1_30default_config_static_selectorELNS0_4arch9wavefront6targetE0EEEvT1_.num_agpr, 0
	.set _ZN7rocprim17ROCPRIM_400000_NS6detail17trampoline_kernelINS0_14default_configENS1_25partition_config_selectorILNS1_17partition_subalgoE9EllbEEZZNS1_14partition_implILS5_9ELb0ES3_jPlS8_PNS0_10empty_typeENS0_5tupleIJS8_S9_EEENSB_IJS8_SA_EEENS0_18inequality_wrapperIZN2at6native12_GLOBAL__N_124unique_dim_cuda_templateIsEESt5tupleIJNSF_6TensorESK_SK_EERKSK_lbbbEUlllE0_EEPmJS9_EEE10hipError_tPvRmT3_T4_T5_T6_T7_T9_mT8_P12ihipStream_tbDpT10_ENKUlT_T0_E_clISt17integral_constantIbLb0EES1A_EEDaS15_S16_EUlS15_E_NS1_11comp_targetILNS1_3genE3ELNS1_11target_archE908ELNS1_3gpuE7ELNS1_3repE0EEENS1_30default_config_static_selectorELNS0_4arch9wavefront6targetE0EEEvT1_.numbered_sgpr, 0
	.set _ZN7rocprim17ROCPRIM_400000_NS6detail17trampoline_kernelINS0_14default_configENS1_25partition_config_selectorILNS1_17partition_subalgoE9EllbEEZZNS1_14partition_implILS5_9ELb0ES3_jPlS8_PNS0_10empty_typeENS0_5tupleIJS8_S9_EEENSB_IJS8_SA_EEENS0_18inequality_wrapperIZN2at6native12_GLOBAL__N_124unique_dim_cuda_templateIsEESt5tupleIJNSF_6TensorESK_SK_EERKSK_lbbbEUlllE0_EEPmJS9_EEE10hipError_tPvRmT3_T4_T5_T6_T7_T9_mT8_P12ihipStream_tbDpT10_ENKUlT_T0_E_clISt17integral_constantIbLb0EES1A_EEDaS15_S16_EUlS15_E_NS1_11comp_targetILNS1_3genE3ELNS1_11target_archE908ELNS1_3gpuE7ELNS1_3repE0EEENS1_30default_config_static_selectorELNS0_4arch9wavefront6targetE0EEEvT1_.num_named_barrier, 0
	.set _ZN7rocprim17ROCPRIM_400000_NS6detail17trampoline_kernelINS0_14default_configENS1_25partition_config_selectorILNS1_17partition_subalgoE9EllbEEZZNS1_14partition_implILS5_9ELb0ES3_jPlS8_PNS0_10empty_typeENS0_5tupleIJS8_S9_EEENSB_IJS8_SA_EEENS0_18inequality_wrapperIZN2at6native12_GLOBAL__N_124unique_dim_cuda_templateIsEESt5tupleIJNSF_6TensorESK_SK_EERKSK_lbbbEUlllE0_EEPmJS9_EEE10hipError_tPvRmT3_T4_T5_T6_T7_T9_mT8_P12ihipStream_tbDpT10_ENKUlT_T0_E_clISt17integral_constantIbLb0EES1A_EEDaS15_S16_EUlS15_E_NS1_11comp_targetILNS1_3genE3ELNS1_11target_archE908ELNS1_3gpuE7ELNS1_3repE0EEENS1_30default_config_static_selectorELNS0_4arch9wavefront6targetE0EEEvT1_.private_seg_size, 0
	.set _ZN7rocprim17ROCPRIM_400000_NS6detail17trampoline_kernelINS0_14default_configENS1_25partition_config_selectorILNS1_17partition_subalgoE9EllbEEZZNS1_14partition_implILS5_9ELb0ES3_jPlS8_PNS0_10empty_typeENS0_5tupleIJS8_S9_EEENSB_IJS8_SA_EEENS0_18inequality_wrapperIZN2at6native12_GLOBAL__N_124unique_dim_cuda_templateIsEESt5tupleIJNSF_6TensorESK_SK_EERKSK_lbbbEUlllE0_EEPmJS9_EEE10hipError_tPvRmT3_T4_T5_T6_T7_T9_mT8_P12ihipStream_tbDpT10_ENKUlT_T0_E_clISt17integral_constantIbLb0EES1A_EEDaS15_S16_EUlS15_E_NS1_11comp_targetILNS1_3genE3ELNS1_11target_archE908ELNS1_3gpuE7ELNS1_3repE0EEENS1_30default_config_static_selectorELNS0_4arch9wavefront6targetE0EEEvT1_.uses_vcc, 0
	.set _ZN7rocprim17ROCPRIM_400000_NS6detail17trampoline_kernelINS0_14default_configENS1_25partition_config_selectorILNS1_17partition_subalgoE9EllbEEZZNS1_14partition_implILS5_9ELb0ES3_jPlS8_PNS0_10empty_typeENS0_5tupleIJS8_S9_EEENSB_IJS8_SA_EEENS0_18inequality_wrapperIZN2at6native12_GLOBAL__N_124unique_dim_cuda_templateIsEESt5tupleIJNSF_6TensorESK_SK_EERKSK_lbbbEUlllE0_EEPmJS9_EEE10hipError_tPvRmT3_T4_T5_T6_T7_T9_mT8_P12ihipStream_tbDpT10_ENKUlT_T0_E_clISt17integral_constantIbLb0EES1A_EEDaS15_S16_EUlS15_E_NS1_11comp_targetILNS1_3genE3ELNS1_11target_archE908ELNS1_3gpuE7ELNS1_3repE0EEENS1_30default_config_static_selectorELNS0_4arch9wavefront6targetE0EEEvT1_.uses_flat_scratch, 0
	.set _ZN7rocprim17ROCPRIM_400000_NS6detail17trampoline_kernelINS0_14default_configENS1_25partition_config_selectorILNS1_17partition_subalgoE9EllbEEZZNS1_14partition_implILS5_9ELb0ES3_jPlS8_PNS0_10empty_typeENS0_5tupleIJS8_S9_EEENSB_IJS8_SA_EEENS0_18inequality_wrapperIZN2at6native12_GLOBAL__N_124unique_dim_cuda_templateIsEESt5tupleIJNSF_6TensorESK_SK_EERKSK_lbbbEUlllE0_EEPmJS9_EEE10hipError_tPvRmT3_T4_T5_T6_T7_T9_mT8_P12ihipStream_tbDpT10_ENKUlT_T0_E_clISt17integral_constantIbLb0EES1A_EEDaS15_S16_EUlS15_E_NS1_11comp_targetILNS1_3genE3ELNS1_11target_archE908ELNS1_3gpuE7ELNS1_3repE0EEENS1_30default_config_static_selectorELNS0_4arch9wavefront6targetE0EEEvT1_.has_dyn_sized_stack, 0
	.set _ZN7rocprim17ROCPRIM_400000_NS6detail17trampoline_kernelINS0_14default_configENS1_25partition_config_selectorILNS1_17partition_subalgoE9EllbEEZZNS1_14partition_implILS5_9ELb0ES3_jPlS8_PNS0_10empty_typeENS0_5tupleIJS8_S9_EEENSB_IJS8_SA_EEENS0_18inequality_wrapperIZN2at6native12_GLOBAL__N_124unique_dim_cuda_templateIsEESt5tupleIJNSF_6TensorESK_SK_EERKSK_lbbbEUlllE0_EEPmJS9_EEE10hipError_tPvRmT3_T4_T5_T6_T7_T9_mT8_P12ihipStream_tbDpT10_ENKUlT_T0_E_clISt17integral_constantIbLb0EES1A_EEDaS15_S16_EUlS15_E_NS1_11comp_targetILNS1_3genE3ELNS1_11target_archE908ELNS1_3gpuE7ELNS1_3repE0EEENS1_30default_config_static_selectorELNS0_4arch9wavefront6targetE0EEEvT1_.has_recursion, 0
	.set _ZN7rocprim17ROCPRIM_400000_NS6detail17trampoline_kernelINS0_14default_configENS1_25partition_config_selectorILNS1_17partition_subalgoE9EllbEEZZNS1_14partition_implILS5_9ELb0ES3_jPlS8_PNS0_10empty_typeENS0_5tupleIJS8_S9_EEENSB_IJS8_SA_EEENS0_18inequality_wrapperIZN2at6native12_GLOBAL__N_124unique_dim_cuda_templateIsEESt5tupleIJNSF_6TensorESK_SK_EERKSK_lbbbEUlllE0_EEPmJS9_EEE10hipError_tPvRmT3_T4_T5_T6_T7_T9_mT8_P12ihipStream_tbDpT10_ENKUlT_T0_E_clISt17integral_constantIbLb0EES1A_EEDaS15_S16_EUlS15_E_NS1_11comp_targetILNS1_3genE3ELNS1_11target_archE908ELNS1_3gpuE7ELNS1_3repE0EEENS1_30default_config_static_selectorELNS0_4arch9wavefront6targetE0EEEvT1_.has_indirect_call, 0
	.section	.AMDGPU.csdata,"",@progbits
; Kernel info:
; codeLenInByte = 0
; TotalNumSgprs: 0
; NumVgprs: 0
; ScratchSize: 0
; MemoryBound: 0
; FloatMode: 240
; IeeeMode: 1
; LDSByteSize: 0 bytes/workgroup (compile time only)
; SGPRBlocks: 0
; VGPRBlocks: 0
; NumSGPRsForWavesPerEU: 1
; NumVGPRsForWavesPerEU: 1
; NamedBarCnt: 0
; Occupancy: 16
; WaveLimiterHint : 0
; COMPUTE_PGM_RSRC2:SCRATCH_EN: 0
; COMPUTE_PGM_RSRC2:USER_SGPR: 2
; COMPUTE_PGM_RSRC2:TRAP_HANDLER: 0
; COMPUTE_PGM_RSRC2:TGID_X_EN: 1
; COMPUTE_PGM_RSRC2:TGID_Y_EN: 0
; COMPUTE_PGM_RSRC2:TGID_Z_EN: 0
; COMPUTE_PGM_RSRC2:TIDIG_COMP_CNT: 0
	.section	.text._ZN7rocprim17ROCPRIM_400000_NS6detail17trampoline_kernelINS0_14default_configENS1_25partition_config_selectorILNS1_17partition_subalgoE9EllbEEZZNS1_14partition_implILS5_9ELb0ES3_jPlS8_PNS0_10empty_typeENS0_5tupleIJS8_S9_EEENSB_IJS8_SA_EEENS0_18inequality_wrapperIZN2at6native12_GLOBAL__N_124unique_dim_cuda_templateIsEESt5tupleIJNSF_6TensorESK_SK_EERKSK_lbbbEUlllE0_EEPmJS9_EEE10hipError_tPvRmT3_T4_T5_T6_T7_T9_mT8_P12ihipStream_tbDpT10_ENKUlT_T0_E_clISt17integral_constantIbLb0EES1A_EEDaS15_S16_EUlS15_E_NS1_11comp_targetILNS1_3genE2ELNS1_11target_archE906ELNS1_3gpuE6ELNS1_3repE0EEENS1_30default_config_static_selectorELNS0_4arch9wavefront6targetE0EEEvT1_,"axG",@progbits,_ZN7rocprim17ROCPRIM_400000_NS6detail17trampoline_kernelINS0_14default_configENS1_25partition_config_selectorILNS1_17partition_subalgoE9EllbEEZZNS1_14partition_implILS5_9ELb0ES3_jPlS8_PNS0_10empty_typeENS0_5tupleIJS8_S9_EEENSB_IJS8_SA_EEENS0_18inequality_wrapperIZN2at6native12_GLOBAL__N_124unique_dim_cuda_templateIsEESt5tupleIJNSF_6TensorESK_SK_EERKSK_lbbbEUlllE0_EEPmJS9_EEE10hipError_tPvRmT3_T4_T5_T6_T7_T9_mT8_P12ihipStream_tbDpT10_ENKUlT_T0_E_clISt17integral_constantIbLb0EES1A_EEDaS15_S16_EUlS15_E_NS1_11comp_targetILNS1_3genE2ELNS1_11target_archE906ELNS1_3gpuE6ELNS1_3repE0EEENS1_30default_config_static_selectorELNS0_4arch9wavefront6targetE0EEEvT1_,comdat
	.globl	_ZN7rocprim17ROCPRIM_400000_NS6detail17trampoline_kernelINS0_14default_configENS1_25partition_config_selectorILNS1_17partition_subalgoE9EllbEEZZNS1_14partition_implILS5_9ELb0ES3_jPlS8_PNS0_10empty_typeENS0_5tupleIJS8_S9_EEENSB_IJS8_SA_EEENS0_18inequality_wrapperIZN2at6native12_GLOBAL__N_124unique_dim_cuda_templateIsEESt5tupleIJNSF_6TensorESK_SK_EERKSK_lbbbEUlllE0_EEPmJS9_EEE10hipError_tPvRmT3_T4_T5_T6_T7_T9_mT8_P12ihipStream_tbDpT10_ENKUlT_T0_E_clISt17integral_constantIbLb0EES1A_EEDaS15_S16_EUlS15_E_NS1_11comp_targetILNS1_3genE2ELNS1_11target_archE906ELNS1_3gpuE6ELNS1_3repE0EEENS1_30default_config_static_selectorELNS0_4arch9wavefront6targetE0EEEvT1_ ; -- Begin function _ZN7rocprim17ROCPRIM_400000_NS6detail17trampoline_kernelINS0_14default_configENS1_25partition_config_selectorILNS1_17partition_subalgoE9EllbEEZZNS1_14partition_implILS5_9ELb0ES3_jPlS8_PNS0_10empty_typeENS0_5tupleIJS8_S9_EEENSB_IJS8_SA_EEENS0_18inequality_wrapperIZN2at6native12_GLOBAL__N_124unique_dim_cuda_templateIsEESt5tupleIJNSF_6TensorESK_SK_EERKSK_lbbbEUlllE0_EEPmJS9_EEE10hipError_tPvRmT3_T4_T5_T6_T7_T9_mT8_P12ihipStream_tbDpT10_ENKUlT_T0_E_clISt17integral_constantIbLb0EES1A_EEDaS15_S16_EUlS15_E_NS1_11comp_targetILNS1_3genE2ELNS1_11target_archE906ELNS1_3gpuE6ELNS1_3repE0EEENS1_30default_config_static_selectorELNS0_4arch9wavefront6targetE0EEEvT1_
	.p2align	8
	.type	_ZN7rocprim17ROCPRIM_400000_NS6detail17trampoline_kernelINS0_14default_configENS1_25partition_config_selectorILNS1_17partition_subalgoE9EllbEEZZNS1_14partition_implILS5_9ELb0ES3_jPlS8_PNS0_10empty_typeENS0_5tupleIJS8_S9_EEENSB_IJS8_SA_EEENS0_18inequality_wrapperIZN2at6native12_GLOBAL__N_124unique_dim_cuda_templateIsEESt5tupleIJNSF_6TensorESK_SK_EERKSK_lbbbEUlllE0_EEPmJS9_EEE10hipError_tPvRmT3_T4_T5_T6_T7_T9_mT8_P12ihipStream_tbDpT10_ENKUlT_T0_E_clISt17integral_constantIbLb0EES1A_EEDaS15_S16_EUlS15_E_NS1_11comp_targetILNS1_3genE2ELNS1_11target_archE906ELNS1_3gpuE6ELNS1_3repE0EEENS1_30default_config_static_selectorELNS0_4arch9wavefront6targetE0EEEvT1_,@function
_ZN7rocprim17ROCPRIM_400000_NS6detail17trampoline_kernelINS0_14default_configENS1_25partition_config_selectorILNS1_17partition_subalgoE9EllbEEZZNS1_14partition_implILS5_9ELb0ES3_jPlS8_PNS0_10empty_typeENS0_5tupleIJS8_S9_EEENSB_IJS8_SA_EEENS0_18inequality_wrapperIZN2at6native12_GLOBAL__N_124unique_dim_cuda_templateIsEESt5tupleIJNSF_6TensorESK_SK_EERKSK_lbbbEUlllE0_EEPmJS9_EEE10hipError_tPvRmT3_T4_T5_T6_T7_T9_mT8_P12ihipStream_tbDpT10_ENKUlT_T0_E_clISt17integral_constantIbLb0EES1A_EEDaS15_S16_EUlS15_E_NS1_11comp_targetILNS1_3genE2ELNS1_11target_archE906ELNS1_3gpuE6ELNS1_3repE0EEENS1_30default_config_static_selectorELNS0_4arch9wavefront6targetE0EEEvT1_: ; @_ZN7rocprim17ROCPRIM_400000_NS6detail17trampoline_kernelINS0_14default_configENS1_25partition_config_selectorILNS1_17partition_subalgoE9EllbEEZZNS1_14partition_implILS5_9ELb0ES3_jPlS8_PNS0_10empty_typeENS0_5tupleIJS8_S9_EEENSB_IJS8_SA_EEENS0_18inequality_wrapperIZN2at6native12_GLOBAL__N_124unique_dim_cuda_templateIsEESt5tupleIJNSF_6TensorESK_SK_EERKSK_lbbbEUlllE0_EEPmJS9_EEE10hipError_tPvRmT3_T4_T5_T6_T7_T9_mT8_P12ihipStream_tbDpT10_ENKUlT_T0_E_clISt17integral_constantIbLb0EES1A_EEDaS15_S16_EUlS15_E_NS1_11comp_targetILNS1_3genE2ELNS1_11target_archE906ELNS1_3gpuE6ELNS1_3repE0EEENS1_30default_config_static_selectorELNS0_4arch9wavefront6targetE0EEEvT1_
; %bb.0:
	.section	.rodata,"a",@progbits
	.p2align	6, 0x0
	.amdhsa_kernel _ZN7rocprim17ROCPRIM_400000_NS6detail17trampoline_kernelINS0_14default_configENS1_25partition_config_selectorILNS1_17partition_subalgoE9EllbEEZZNS1_14partition_implILS5_9ELb0ES3_jPlS8_PNS0_10empty_typeENS0_5tupleIJS8_S9_EEENSB_IJS8_SA_EEENS0_18inequality_wrapperIZN2at6native12_GLOBAL__N_124unique_dim_cuda_templateIsEESt5tupleIJNSF_6TensorESK_SK_EERKSK_lbbbEUlllE0_EEPmJS9_EEE10hipError_tPvRmT3_T4_T5_T6_T7_T9_mT8_P12ihipStream_tbDpT10_ENKUlT_T0_E_clISt17integral_constantIbLb0EES1A_EEDaS15_S16_EUlS15_E_NS1_11comp_targetILNS1_3genE2ELNS1_11target_archE906ELNS1_3gpuE6ELNS1_3repE0EEENS1_30default_config_static_selectorELNS0_4arch9wavefront6targetE0EEEvT1_
		.amdhsa_group_segment_fixed_size 0
		.amdhsa_private_segment_fixed_size 0
		.amdhsa_kernarg_size 120
		.amdhsa_user_sgpr_count 2
		.amdhsa_user_sgpr_dispatch_ptr 0
		.amdhsa_user_sgpr_queue_ptr 0
		.amdhsa_user_sgpr_kernarg_segment_ptr 1
		.amdhsa_user_sgpr_dispatch_id 0
		.amdhsa_user_sgpr_kernarg_preload_length 0
		.amdhsa_user_sgpr_kernarg_preload_offset 0
		.amdhsa_user_sgpr_private_segment_size 0
		.amdhsa_wavefront_size32 1
		.amdhsa_uses_dynamic_stack 0
		.amdhsa_enable_private_segment 0
		.amdhsa_system_sgpr_workgroup_id_x 1
		.amdhsa_system_sgpr_workgroup_id_y 0
		.amdhsa_system_sgpr_workgroup_id_z 0
		.amdhsa_system_sgpr_workgroup_info 0
		.amdhsa_system_vgpr_workitem_id 0
		.amdhsa_next_free_vgpr 1
		.amdhsa_next_free_sgpr 1
		.amdhsa_named_barrier_count 0
		.amdhsa_reserve_vcc 0
		.amdhsa_float_round_mode_32 0
		.amdhsa_float_round_mode_16_64 0
		.amdhsa_float_denorm_mode_32 3
		.amdhsa_float_denorm_mode_16_64 3
		.amdhsa_fp16_overflow 0
		.amdhsa_memory_ordered 1
		.amdhsa_forward_progress 1
		.amdhsa_inst_pref_size 0
		.amdhsa_round_robin_scheduling 0
		.amdhsa_exception_fp_ieee_invalid_op 0
		.amdhsa_exception_fp_denorm_src 0
		.amdhsa_exception_fp_ieee_div_zero 0
		.amdhsa_exception_fp_ieee_overflow 0
		.amdhsa_exception_fp_ieee_underflow 0
		.amdhsa_exception_fp_ieee_inexact 0
		.amdhsa_exception_int_div_zero 0
	.end_amdhsa_kernel
	.section	.text._ZN7rocprim17ROCPRIM_400000_NS6detail17trampoline_kernelINS0_14default_configENS1_25partition_config_selectorILNS1_17partition_subalgoE9EllbEEZZNS1_14partition_implILS5_9ELb0ES3_jPlS8_PNS0_10empty_typeENS0_5tupleIJS8_S9_EEENSB_IJS8_SA_EEENS0_18inequality_wrapperIZN2at6native12_GLOBAL__N_124unique_dim_cuda_templateIsEESt5tupleIJNSF_6TensorESK_SK_EERKSK_lbbbEUlllE0_EEPmJS9_EEE10hipError_tPvRmT3_T4_T5_T6_T7_T9_mT8_P12ihipStream_tbDpT10_ENKUlT_T0_E_clISt17integral_constantIbLb0EES1A_EEDaS15_S16_EUlS15_E_NS1_11comp_targetILNS1_3genE2ELNS1_11target_archE906ELNS1_3gpuE6ELNS1_3repE0EEENS1_30default_config_static_selectorELNS0_4arch9wavefront6targetE0EEEvT1_,"axG",@progbits,_ZN7rocprim17ROCPRIM_400000_NS6detail17trampoline_kernelINS0_14default_configENS1_25partition_config_selectorILNS1_17partition_subalgoE9EllbEEZZNS1_14partition_implILS5_9ELb0ES3_jPlS8_PNS0_10empty_typeENS0_5tupleIJS8_S9_EEENSB_IJS8_SA_EEENS0_18inequality_wrapperIZN2at6native12_GLOBAL__N_124unique_dim_cuda_templateIsEESt5tupleIJNSF_6TensorESK_SK_EERKSK_lbbbEUlllE0_EEPmJS9_EEE10hipError_tPvRmT3_T4_T5_T6_T7_T9_mT8_P12ihipStream_tbDpT10_ENKUlT_T0_E_clISt17integral_constantIbLb0EES1A_EEDaS15_S16_EUlS15_E_NS1_11comp_targetILNS1_3genE2ELNS1_11target_archE906ELNS1_3gpuE6ELNS1_3repE0EEENS1_30default_config_static_selectorELNS0_4arch9wavefront6targetE0EEEvT1_,comdat
.Lfunc_end721:
	.size	_ZN7rocprim17ROCPRIM_400000_NS6detail17trampoline_kernelINS0_14default_configENS1_25partition_config_selectorILNS1_17partition_subalgoE9EllbEEZZNS1_14partition_implILS5_9ELb0ES3_jPlS8_PNS0_10empty_typeENS0_5tupleIJS8_S9_EEENSB_IJS8_SA_EEENS0_18inequality_wrapperIZN2at6native12_GLOBAL__N_124unique_dim_cuda_templateIsEESt5tupleIJNSF_6TensorESK_SK_EERKSK_lbbbEUlllE0_EEPmJS9_EEE10hipError_tPvRmT3_T4_T5_T6_T7_T9_mT8_P12ihipStream_tbDpT10_ENKUlT_T0_E_clISt17integral_constantIbLb0EES1A_EEDaS15_S16_EUlS15_E_NS1_11comp_targetILNS1_3genE2ELNS1_11target_archE906ELNS1_3gpuE6ELNS1_3repE0EEENS1_30default_config_static_selectorELNS0_4arch9wavefront6targetE0EEEvT1_, .Lfunc_end721-_ZN7rocprim17ROCPRIM_400000_NS6detail17trampoline_kernelINS0_14default_configENS1_25partition_config_selectorILNS1_17partition_subalgoE9EllbEEZZNS1_14partition_implILS5_9ELb0ES3_jPlS8_PNS0_10empty_typeENS0_5tupleIJS8_S9_EEENSB_IJS8_SA_EEENS0_18inequality_wrapperIZN2at6native12_GLOBAL__N_124unique_dim_cuda_templateIsEESt5tupleIJNSF_6TensorESK_SK_EERKSK_lbbbEUlllE0_EEPmJS9_EEE10hipError_tPvRmT3_T4_T5_T6_T7_T9_mT8_P12ihipStream_tbDpT10_ENKUlT_T0_E_clISt17integral_constantIbLb0EES1A_EEDaS15_S16_EUlS15_E_NS1_11comp_targetILNS1_3genE2ELNS1_11target_archE906ELNS1_3gpuE6ELNS1_3repE0EEENS1_30default_config_static_selectorELNS0_4arch9wavefront6targetE0EEEvT1_
                                        ; -- End function
	.set _ZN7rocprim17ROCPRIM_400000_NS6detail17trampoline_kernelINS0_14default_configENS1_25partition_config_selectorILNS1_17partition_subalgoE9EllbEEZZNS1_14partition_implILS5_9ELb0ES3_jPlS8_PNS0_10empty_typeENS0_5tupleIJS8_S9_EEENSB_IJS8_SA_EEENS0_18inequality_wrapperIZN2at6native12_GLOBAL__N_124unique_dim_cuda_templateIsEESt5tupleIJNSF_6TensorESK_SK_EERKSK_lbbbEUlllE0_EEPmJS9_EEE10hipError_tPvRmT3_T4_T5_T6_T7_T9_mT8_P12ihipStream_tbDpT10_ENKUlT_T0_E_clISt17integral_constantIbLb0EES1A_EEDaS15_S16_EUlS15_E_NS1_11comp_targetILNS1_3genE2ELNS1_11target_archE906ELNS1_3gpuE6ELNS1_3repE0EEENS1_30default_config_static_selectorELNS0_4arch9wavefront6targetE0EEEvT1_.num_vgpr, 0
	.set _ZN7rocprim17ROCPRIM_400000_NS6detail17trampoline_kernelINS0_14default_configENS1_25partition_config_selectorILNS1_17partition_subalgoE9EllbEEZZNS1_14partition_implILS5_9ELb0ES3_jPlS8_PNS0_10empty_typeENS0_5tupleIJS8_S9_EEENSB_IJS8_SA_EEENS0_18inequality_wrapperIZN2at6native12_GLOBAL__N_124unique_dim_cuda_templateIsEESt5tupleIJNSF_6TensorESK_SK_EERKSK_lbbbEUlllE0_EEPmJS9_EEE10hipError_tPvRmT3_T4_T5_T6_T7_T9_mT8_P12ihipStream_tbDpT10_ENKUlT_T0_E_clISt17integral_constantIbLb0EES1A_EEDaS15_S16_EUlS15_E_NS1_11comp_targetILNS1_3genE2ELNS1_11target_archE906ELNS1_3gpuE6ELNS1_3repE0EEENS1_30default_config_static_selectorELNS0_4arch9wavefront6targetE0EEEvT1_.num_agpr, 0
	.set _ZN7rocprim17ROCPRIM_400000_NS6detail17trampoline_kernelINS0_14default_configENS1_25partition_config_selectorILNS1_17partition_subalgoE9EllbEEZZNS1_14partition_implILS5_9ELb0ES3_jPlS8_PNS0_10empty_typeENS0_5tupleIJS8_S9_EEENSB_IJS8_SA_EEENS0_18inequality_wrapperIZN2at6native12_GLOBAL__N_124unique_dim_cuda_templateIsEESt5tupleIJNSF_6TensorESK_SK_EERKSK_lbbbEUlllE0_EEPmJS9_EEE10hipError_tPvRmT3_T4_T5_T6_T7_T9_mT8_P12ihipStream_tbDpT10_ENKUlT_T0_E_clISt17integral_constantIbLb0EES1A_EEDaS15_S16_EUlS15_E_NS1_11comp_targetILNS1_3genE2ELNS1_11target_archE906ELNS1_3gpuE6ELNS1_3repE0EEENS1_30default_config_static_selectorELNS0_4arch9wavefront6targetE0EEEvT1_.numbered_sgpr, 0
	.set _ZN7rocprim17ROCPRIM_400000_NS6detail17trampoline_kernelINS0_14default_configENS1_25partition_config_selectorILNS1_17partition_subalgoE9EllbEEZZNS1_14partition_implILS5_9ELb0ES3_jPlS8_PNS0_10empty_typeENS0_5tupleIJS8_S9_EEENSB_IJS8_SA_EEENS0_18inequality_wrapperIZN2at6native12_GLOBAL__N_124unique_dim_cuda_templateIsEESt5tupleIJNSF_6TensorESK_SK_EERKSK_lbbbEUlllE0_EEPmJS9_EEE10hipError_tPvRmT3_T4_T5_T6_T7_T9_mT8_P12ihipStream_tbDpT10_ENKUlT_T0_E_clISt17integral_constantIbLb0EES1A_EEDaS15_S16_EUlS15_E_NS1_11comp_targetILNS1_3genE2ELNS1_11target_archE906ELNS1_3gpuE6ELNS1_3repE0EEENS1_30default_config_static_selectorELNS0_4arch9wavefront6targetE0EEEvT1_.num_named_barrier, 0
	.set _ZN7rocprim17ROCPRIM_400000_NS6detail17trampoline_kernelINS0_14default_configENS1_25partition_config_selectorILNS1_17partition_subalgoE9EllbEEZZNS1_14partition_implILS5_9ELb0ES3_jPlS8_PNS0_10empty_typeENS0_5tupleIJS8_S9_EEENSB_IJS8_SA_EEENS0_18inequality_wrapperIZN2at6native12_GLOBAL__N_124unique_dim_cuda_templateIsEESt5tupleIJNSF_6TensorESK_SK_EERKSK_lbbbEUlllE0_EEPmJS9_EEE10hipError_tPvRmT3_T4_T5_T6_T7_T9_mT8_P12ihipStream_tbDpT10_ENKUlT_T0_E_clISt17integral_constantIbLb0EES1A_EEDaS15_S16_EUlS15_E_NS1_11comp_targetILNS1_3genE2ELNS1_11target_archE906ELNS1_3gpuE6ELNS1_3repE0EEENS1_30default_config_static_selectorELNS0_4arch9wavefront6targetE0EEEvT1_.private_seg_size, 0
	.set _ZN7rocprim17ROCPRIM_400000_NS6detail17trampoline_kernelINS0_14default_configENS1_25partition_config_selectorILNS1_17partition_subalgoE9EllbEEZZNS1_14partition_implILS5_9ELb0ES3_jPlS8_PNS0_10empty_typeENS0_5tupleIJS8_S9_EEENSB_IJS8_SA_EEENS0_18inequality_wrapperIZN2at6native12_GLOBAL__N_124unique_dim_cuda_templateIsEESt5tupleIJNSF_6TensorESK_SK_EERKSK_lbbbEUlllE0_EEPmJS9_EEE10hipError_tPvRmT3_T4_T5_T6_T7_T9_mT8_P12ihipStream_tbDpT10_ENKUlT_T0_E_clISt17integral_constantIbLb0EES1A_EEDaS15_S16_EUlS15_E_NS1_11comp_targetILNS1_3genE2ELNS1_11target_archE906ELNS1_3gpuE6ELNS1_3repE0EEENS1_30default_config_static_selectorELNS0_4arch9wavefront6targetE0EEEvT1_.uses_vcc, 0
	.set _ZN7rocprim17ROCPRIM_400000_NS6detail17trampoline_kernelINS0_14default_configENS1_25partition_config_selectorILNS1_17partition_subalgoE9EllbEEZZNS1_14partition_implILS5_9ELb0ES3_jPlS8_PNS0_10empty_typeENS0_5tupleIJS8_S9_EEENSB_IJS8_SA_EEENS0_18inequality_wrapperIZN2at6native12_GLOBAL__N_124unique_dim_cuda_templateIsEESt5tupleIJNSF_6TensorESK_SK_EERKSK_lbbbEUlllE0_EEPmJS9_EEE10hipError_tPvRmT3_T4_T5_T6_T7_T9_mT8_P12ihipStream_tbDpT10_ENKUlT_T0_E_clISt17integral_constantIbLb0EES1A_EEDaS15_S16_EUlS15_E_NS1_11comp_targetILNS1_3genE2ELNS1_11target_archE906ELNS1_3gpuE6ELNS1_3repE0EEENS1_30default_config_static_selectorELNS0_4arch9wavefront6targetE0EEEvT1_.uses_flat_scratch, 0
	.set _ZN7rocprim17ROCPRIM_400000_NS6detail17trampoline_kernelINS0_14default_configENS1_25partition_config_selectorILNS1_17partition_subalgoE9EllbEEZZNS1_14partition_implILS5_9ELb0ES3_jPlS8_PNS0_10empty_typeENS0_5tupleIJS8_S9_EEENSB_IJS8_SA_EEENS0_18inequality_wrapperIZN2at6native12_GLOBAL__N_124unique_dim_cuda_templateIsEESt5tupleIJNSF_6TensorESK_SK_EERKSK_lbbbEUlllE0_EEPmJS9_EEE10hipError_tPvRmT3_T4_T5_T6_T7_T9_mT8_P12ihipStream_tbDpT10_ENKUlT_T0_E_clISt17integral_constantIbLb0EES1A_EEDaS15_S16_EUlS15_E_NS1_11comp_targetILNS1_3genE2ELNS1_11target_archE906ELNS1_3gpuE6ELNS1_3repE0EEENS1_30default_config_static_selectorELNS0_4arch9wavefront6targetE0EEEvT1_.has_dyn_sized_stack, 0
	.set _ZN7rocprim17ROCPRIM_400000_NS6detail17trampoline_kernelINS0_14default_configENS1_25partition_config_selectorILNS1_17partition_subalgoE9EllbEEZZNS1_14partition_implILS5_9ELb0ES3_jPlS8_PNS0_10empty_typeENS0_5tupleIJS8_S9_EEENSB_IJS8_SA_EEENS0_18inequality_wrapperIZN2at6native12_GLOBAL__N_124unique_dim_cuda_templateIsEESt5tupleIJNSF_6TensorESK_SK_EERKSK_lbbbEUlllE0_EEPmJS9_EEE10hipError_tPvRmT3_T4_T5_T6_T7_T9_mT8_P12ihipStream_tbDpT10_ENKUlT_T0_E_clISt17integral_constantIbLb0EES1A_EEDaS15_S16_EUlS15_E_NS1_11comp_targetILNS1_3genE2ELNS1_11target_archE906ELNS1_3gpuE6ELNS1_3repE0EEENS1_30default_config_static_selectorELNS0_4arch9wavefront6targetE0EEEvT1_.has_recursion, 0
	.set _ZN7rocprim17ROCPRIM_400000_NS6detail17trampoline_kernelINS0_14default_configENS1_25partition_config_selectorILNS1_17partition_subalgoE9EllbEEZZNS1_14partition_implILS5_9ELb0ES3_jPlS8_PNS0_10empty_typeENS0_5tupleIJS8_S9_EEENSB_IJS8_SA_EEENS0_18inequality_wrapperIZN2at6native12_GLOBAL__N_124unique_dim_cuda_templateIsEESt5tupleIJNSF_6TensorESK_SK_EERKSK_lbbbEUlllE0_EEPmJS9_EEE10hipError_tPvRmT3_T4_T5_T6_T7_T9_mT8_P12ihipStream_tbDpT10_ENKUlT_T0_E_clISt17integral_constantIbLb0EES1A_EEDaS15_S16_EUlS15_E_NS1_11comp_targetILNS1_3genE2ELNS1_11target_archE906ELNS1_3gpuE6ELNS1_3repE0EEENS1_30default_config_static_selectorELNS0_4arch9wavefront6targetE0EEEvT1_.has_indirect_call, 0
	.section	.AMDGPU.csdata,"",@progbits
; Kernel info:
; codeLenInByte = 0
; TotalNumSgprs: 0
; NumVgprs: 0
; ScratchSize: 0
; MemoryBound: 0
; FloatMode: 240
; IeeeMode: 1
; LDSByteSize: 0 bytes/workgroup (compile time only)
; SGPRBlocks: 0
; VGPRBlocks: 0
; NumSGPRsForWavesPerEU: 1
; NumVGPRsForWavesPerEU: 1
; NamedBarCnt: 0
; Occupancy: 16
; WaveLimiterHint : 0
; COMPUTE_PGM_RSRC2:SCRATCH_EN: 0
; COMPUTE_PGM_RSRC2:USER_SGPR: 2
; COMPUTE_PGM_RSRC2:TRAP_HANDLER: 0
; COMPUTE_PGM_RSRC2:TGID_X_EN: 1
; COMPUTE_PGM_RSRC2:TGID_Y_EN: 0
; COMPUTE_PGM_RSRC2:TGID_Z_EN: 0
; COMPUTE_PGM_RSRC2:TIDIG_COMP_CNT: 0
	.section	.text._ZN7rocprim17ROCPRIM_400000_NS6detail17trampoline_kernelINS0_14default_configENS1_25partition_config_selectorILNS1_17partition_subalgoE9EllbEEZZNS1_14partition_implILS5_9ELb0ES3_jPlS8_PNS0_10empty_typeENS0_5tupleIJS8_S9_EEENSB_IJS8_SA_EEENS0_18inequality_wrapperIZN2at6native12_GLOBAL__N_124unique_dim_cuda_templateIsEESt5tupleIJNSF_6TensorESK_SK_EERKSK_lbbbEUlllE0_EEPmJS9_EEE10hipError_tPvRmT3_T4_T5_T6_T7_T9_mT8_P12ihipStream_tbDpT10_ENKUlT_T0_E_clISt17integral_constantIbLb0EES1A_EEDaS15_S16_EUlS15_E_NS1_11comp_targetILNS1_3genE10ELNS1_11target_archE1200ELNS1_3gpuE4ELNS1_3repE0EEENS1_30default_config_static_selectorELNS0_4arch9wavefront6targetE0EEEvT1_,"axG",@progbits,_ZN7rocprim17ROCPRIM_400000_NS6detail17trampoline_kernelINS0_14default_configENS1_25partition_config_selectorILNS1_17partition_subalgoE9EllbEEZZNS1_14partition_implILS5_9ELb0ES3_jPlS8_PNS0_10empty_typeENS0_5tupleIJS8_S9_EEENSB_IJS8_SA_EEENS0_18inequality_wrapperIZN2at6native12_GLOBAL__N_124unique_dim_cuda_templateIsEESt5tupleIJNSF_6TensorESK_SK_EERKSK_lbbbEUlllE0_EEPmJS9_EEE10hipError_tPvRmT3_T4_T5_T6_T7_T9_mT8_P12ihipStream_tbDpT10_ENKUlT_T0_E_clISt17integral_constantIbLb0EES1A_EEDaS15_S16_EUlS15_E_NS1_11comp_targetILNS1_3genE10ELNS1_11target_archE1200ELNS1_3gpuE4ELNS1_3repE0EEENS1_30default_config_static_selectorELNS0_4arch9wavefront6targetE0EEEvT1_,comdat
	.globl	_ZN7rocprim17ROCPRIM_400000_NS6detail17trampoline_kernelINS0_14default_configENS1_25partition_config_selectorILNS1_17partition_subalgoE9EllbEEZZNS1_14partition_implILS5_9ELb0ES3_jPlS8_PNS0_10empty_typeENS0_5tupleIJS8_S9_EEENSB_IJS8_SA_EEENS0_18inequality_wrapperIZN2at6native12_GLOBAL__N_124unique_dim_cuda_templateIsEESt5tupleIJNSF_6TensorESK_SK_EERKSK_lbbbEUlllE0_EEPmJS9_EEE10hipError_tPvRmT3_T4_T5_T6_T7_T9_mT8_P12ihipStream_tbDpT10_ENKUlT_T0_E_clISt17integral_constantIbLb0EES1A_EEDaS15_S16_EUlS15_E_NS1_11comp_targetILNS1_3genE10ELNS1_11target_archE1200ELNS1_3gpuE4ELNS1_3repE0EEENS1_30default_config_static_selectorELNS0_4arch9wavefront6targetE0EEEvT1_ ; -- Begin function _ZN7rocprim17ROCPRIM_400000_NS6detail17trampoline_kernelINS0_14default_configENS1_25partition_config_selectorILNS1_17partition_subalgoE9EllbEEZZNS1_14partition_implILS5_9ELb0ES3_jPlS8_PNS0_10empty_typeENS0_5tupleIJS8_S9_EEENSB_IJS8_SA_EEENS0_18inequality_wrapperIZN2at6native12_GLOBAL__N_124unique_dim_cuda_templateIsEESt5tupleIJNSF_6TensorESK_SK_EERKSK_lbbbEUlllE0_EEPmJS9_EEE10hipError_tPvRmT3_T4_T5_T6_T7_T9_mT8_P12ihipStream_tbDpT10_ENKUlT_T0_E_clISt17integral_constantIbLb0EES1A_EEDaS15_S16_EUlS15_E_NS1_11comp_targetILNS1_3genE10ELNS1_11target_archE1200ELNS1_3gpuE4ELNS1_3repE0EEENS1_30default_config_static_selectorELNS0_4arch9wavefront6targetE0EEEvT1_
	.p2align	8
	.type	_ZN7rocprim17ROCPRIM_400000_NS6detail17trampoline_kernelINS0_14default_configENS1_25partition_config_selectorILNS1_17partition_subalgoE9EllbEEZZNS1_14partition_implILS5_9ELb0ES3_jPlS8_PNS0_10empty_typeENS0_5tupleIJS8_S9_EEENSB_IJS8_SA_EEENS0_18inequality_wrapperIZN2at6native12_GLOBAL__N_124unique_dim_cuda_templateIsEESt5tupleIJNSF_6TensorESK_SK_EERKSK_lbbbEUlllE0_EEPmJS9_EEE10hipError_tPvRmT3_T4_T5_T6_T7_T9_mT8_P12ihipStream_tbDpT10_ENKUlT_T0_E_clISt17integral_constantIbLb0EES1A_EEDaS15_S16_EUlS15_E_NS1_11comp_targetILNS1_3genE10ELNS1_11target_archE1200ELNS1_3gpuE4ELNS1_3repE0EEENS1_30default_config_static_selectorELNS0_4arch9wavefront6targetE0EEEvT1_,@function
_ZN7rocprim17ROCPRIM_400000_NS6detail17trampoline_kernelINS0_14default_configENS1_25partition_config_selectorILNS1_17partition_subalgoE9EllbEEZZNS1_14partition_implILS5_9ELb0ES3_jPlS8_PNS0_10empty_typeENS0_5tupleIJS8_S9_EEENSB_IJS8_SA_EEENS0_18inequality_wrapperIZN2at6native12_GLOBAL__N_124unique_dim_cuda_templateIsEESt5tupleIJNSF_6TensorESK_SK_EERKSK_lbbbEUlllE0_EEPmJS9_EEE10hipError_tPvRmT3_T4_T5_T6_T7_T9_mT8_P12ihipStream_tbDpT10_ENKUlT_T0_E_clISt17integral_constantIbLb0EES1A_EEDaS15_S16_EUlS15_E_NS1_11comp_targetILNS1_3genE10ELNS1_11target_archE1200ELNS1_3gpuE4ELNS1_3repE0EEENS1_30default_config_static_selectorELNS0_4arch9wavefront6targetE0EEEvT1_: ; @_ZN7rocprim17ROCPRIM_400000_NS6detail17trampoline_kernelINS0_14default_configENS1_25partition_config_selectorILNS1_17partition_subalgoE9EllbEEZZNS1_14partition_implILS5_9ELb0ES3_jPlS8_PNS0_10empty_typeENS0_5tupleIJS8_S9_EEENSB_IJS8_SA_EEENS0_18inequality_wrapperIZN2at6native12_GLOBAL__N_124unique_dim_cuda_templateIsEESt5tupleIJNSF_6TensorESK_SK_EERKSK_lbbbEUlllE0_EEPmJS9_EEE10hipError_tPvRmT3_T4_T5_T6_T7_T9_mT8_P12ihipStream_tbDpT10_ENKUlT_T0_E_clISt17integral_constantIbLb0EES1A_EEDaS15_S16_EUlS15_E_NS1_11comp_targetILNS1_3genE10ELNS1_11target_archE1200ELNS1_3gpuE4ELNS1_3repE0EEENS1_30default_config_static_selectorELNS0_4arch9wavefront6targetE0EEEvT1_
; %bb.0:
	.section	.rodata,"a",@progbits
	.p2align	6, 0x0
	.amdhsa_kernel _ZN7rocprim17ROCPRIM_400000_NS6detail17trampoline_kernelINS0_14default_configENS1_25partition_config_selectorILNS1_17partition_subalgoE9EllbEEZZNS1_14partition_implILS5_9ELb0ES3_jPlS8_PNS0_10empty_typeENS0_5tupleIJS8_S9_EEENSB_IJS8_SA_EEENS0_18inequality_wrapperIZN2at6native12_GLOBAL__N_124unique_dim_cuda_templateIsEESt5tupleIJNSF_6TensorESK_SK_EERKSK_lbbbEUlllE0_EEPmJS9_EEE10hipError_tPvRmT3_T4_T5_T6_T7_T9_mT8_P12ihipStream_tbDpT10_ENKUlT_T0_E_clISt17integral_constantIbLb0EES1A_EEDaS15_S16_EUlS15_E_NS1_11comp_targetILNS1_3genE10ELNS1_11target_archE1200ELNS1_3gpuE4ELNS1_3repE0EEENS1_30default_config_static_selectorELNS0_4arch9wavefront6targetE0EEEvT1_
		.amdhsa_group_segment_fixed_size 0
		.amdhsa_private_segment_fixed_size 0
		.amdhsa_kernarg_size 120
		.amdhsa_user_sgpr_count 2
		.amdhsa_user_sgpr_dispatch_ptr 0
		.amdhsa_user_sgpr_queue_ptr 0
		.amdhsa_user_sgpr_kernarg_segment_ptr 1
		.amdhsa_user_sgpr_dispatch_id 0
		.amdhsa_user_sgpr_kernarg_preload_length 0
		.amdhsa_user_sgpr_kernarg_preload_offset 0
		.amdhsa_user_sgpr_private_segment_size 0
		.amdhsa_wavefront_size32 1
		.amdhsa_uses_dynamic_stack 0
		.amdhsa_enable_private_segment 0
		.amdhsa_system_sgpr_workgroup_id_x 1
		.amdhsa_system_sgpr_workgroup_id_y 0
		.amdhsa_system_sgpr_workgroup_id_z 0
		.amdhsa_system_sgpr_workgroup_info 0
		.amdhsa_system_vgpr_workitem_id 0
		.amdhsa_next_free_vgpr 1
		.amdhsa_next_free_sgpr 1
		.amdhsa_named_barrier_count 0
		.amdhsa_reserve_vcc 0
		.amdhsa_float_round_mode_32 0
		.amdhsa_float_round_mode_16_64 0
		.amdhsa_float_denorm_mode_32 3
		.amdhsa_float_denorm_mode_16_64 3
		.amdhsa_fp16_overflow 0
		.amdhsa_memory_ordered 1
		.amdhsa_forward_progress 1
		.amdhsa_inst_pref_size 0
		.amdhsa_round_robin_scheduling 0
		.amdhsa_exception_fp_ieee_invalid_op 0
		.amdhsa_exception_fp_denorm_src 0
		.amdhsa_exception_fp_ieee_div_zero 0
		.amdhsa_exception_fp_ieee_overflow 0
		.amdhsa_exception_fp_ieee_underflow 0
		.amdhsa_exception_fp_ieee_inexact 0
		.amdhsa_exception_int_div_zero 0
	.end_amdhsa_kernel
	.section	.text._ZN7rocprim17ROCPRIM_400000_NS6detail17trampoline_kernelINS0_14default_configENS1_25partition_config_selectorILNS1_17partition_subalgoE9EllbEEZZNS1_14partition_implILS5_9ELb0ES3_jPlS8_PNS0_10empty_typeENS0_5tupleIJS8_S9_EEENSB_IJS8_SA_EEENS0_18inequality_wrapperIZN2at6native12_GLOBAL__N_124unique_dim_cuda_templateIsEESt5tupleIJNSF_6TensorESK_SK_EERKSK_lbbbEUlllE0_EEPmJS9_EEE10hipError_tPvRmT3_T4_T5_T6_T7_T9_mT8_P12ihipStream_tbDpT10_ENKUlT_T0_E_clISt17integral_constantIbLb0EES1A_EEDaS15_S16_EUlS15_E_NS1_11comp_targetILNS1_3genE10ELNS1_11target_archE1200ELNS1_3gpuE4ELNS1_3repE0EEENS1_30default_config_static_selectorELNS0_4arch9wavefront6targetE0EEEvT1_,"axG",@progbits,_ZN7rocprim17ROCPRIM_400000_NS6detail17trampoline_kernelINS0_14default_configENS1_25partition_config_selectorILNS1_17partition_subalgoE9EllbEEZZNS1_14partition_implILS5_9ELb0ES3_jPlS8_PNS0_10empty_typeENS0_5tupleIJS8_S9_EEENSB_IJS8_SA_EEENS0_18inequality_wrapperIZN2at6native12_GLOBAL__N_124unique_dim_cuda_templateIsEESt5tupleIJNSF_6TensorESK_SK_EERKSK_lbbbEUlllE0_EEPmJS9_EEE10hipError_tPvRmT3_T4_T5_T6_T7_T9_mT8_P12ihipStream_tbDpT10_ENKUlT_T0_E_clISt17integral_constantIbLb0EES1A_EEDaS15_S16_EUlS15_E_NS1_11comp_targetILNS1_3genE10ELNS1_11target_archE1200ELNS1_3gpuE4ELNS1_3repE0EEENS1_30default_config_static_selectorELNS0_4arch9wavefront6targetE0EEEvT1_,comdat
.Lfunc_end722:
	.size	_ZN7rocprim17ROCPRIM_400000_NS6detail17trampoline_kernelINS0_14default_configENS1_25partition_config_selectorILNS1_17partition_subalgoE9EllbEEZZNS1_14partition_implILS5_9ELb0ES3_jPlS8_PNS0_10empty_typeENS0_5tupleIJS8_S9_EEENSB_IJS8_SA_EEENS0_18inequality_wrapperIZN2at6native12_GLOBAL__N_124unique_dim_cuda_templateIsEESt5tupleIJNSF_6TensorESK_SK_EERKSK_lbbbEUlllE0_EEPmJS9_EEE10hipError_tPvRmT3_T4_T5_T6_T7_T9_mT8_P12ihipStream_tbDpT10_ENKUlT_T0_E_clISt17integral_constantIbLb0EES1A_EEDaS15_S16_EUlS15_E_NS1_11comp_targetILNS1_3genE10ELNS1_11target_archE1200ELNS1_3gpuE4ELNS1_3repE0EEENS1_30default_config_static_selectorELNS0_4arch9wavefront6targetE0EEEvT1_, .Lfunc_end722-_ZN7rocprim17ROCPRIM_400000_NS6detail17trampoline_kernelINS0_14default_configENS1_25partition_config_selectorILNS1_17partition_subalgoE9EllbEEZZNS1_14partition_implILS5_9ELb0ES3_jPlS8_PNS0_10empty_typeENS0_5tupleIJS8_S9_EEENSB_IJS8_SA_EEENS0_18inequality_wrapperIZN2at6native12_GLOBAL__N_124unique_dim_cuda_templateIsEESt5tupleIJNSF_6TensorESK_SK_EERKSK_lbbbEUlllE0_EEPmJS9_EEE10hipError_tPvRmT3_T4_T5_T6_T7_T9_mT8_P12ihipStream_tbDpT10_ENKUlT_T0_E_clISt17integral_constantIbLb0EES1A_EEDaS15_S16_EUlS15_E_NS1_11comp_targetILNS1_3genE10ELNS1_11target_archE1200ELNS1_3gpuE4ELNS1_3repE0EEENS1_30default_config_static_selectorELNS0_4arch9wavefront6targetE0EEEvT1_
                                        ; -- End function
	.set _ZN7rocprim17ROCPRIM_400000_NS6detail17trampoline_kernelINS0_14default_configENS1_25partition_config_selectorILNS1_17partition_subalgoE9EllbEEZZNS1_14partition_implILS5_9ELb0ES3_jPlS8_PNS0_10empty_typeENS0_5tupleIJS8_S9_EEENSB_IJS8_SA_EEENS0_18inequality_wrapperIZN2at6native12_GLOBAL__N_124unique_dim_cuda_templateIsEESt5tupleIJNSF_6TensorESK_SK_EERKSK_lbbbEUlllE0_EEPmJS9_EEE10hipError_tPvRmT3_T4_T5_T6_T7_T9_mT8_P12ihipStream_tbDpT10_ENKUlT_T0_E_clISt17integral_constantIbLb0EES1A_EEDaS15_S16_EUlS15_E_NS1_11comp_targetILNS1_3genE10ELNS1_11target_archE1200ELNS1_3gpuE4ELNS1_3repE0EEENS1_30default_config_static_selectorELNS0_4arch9wavefront6targetE0EEEvT1_.num_vgpr, 0
	.set _ZN7rocprim17ROCPRIM_400000_NS6detail17trampoline_kernelINS0_14default_configENS1_25partition_config_selectorILNS1_17partition_subalgoE9EllbEEZZNS1_14partition_implILS5_9ELb0ES3_jPlS8_PNS0_10empty_typeENS0_5tupleIJS8_S9_EEENSB_IJS8_SA_EEENS0_18inequality_wrapperIZN2at6native12_GLOBAL__N_124unique_dim_cuda_templateIsEESt5tupleIJNSF_6TensorESK_SK_EERKSK_lbbbEUlllE0_EEPmJS9_EEE10hipError_tPvRmT3_T4_T5_T6_T7_T9_mT8_P12ihipStream_tbDpT10_ENKUlT_T0_E_clISt17integral_constantIbLb0EES1A_EEDaS15_S16_EUlS15_E_NS1_11comp_targetILNS1_3genE10ELNS1_11target_archE1200ELNS1_3gpuE4ELNS1_3repE0EEENS1_30default_config_static_selectorELNS0_4arch9wavefront6targetE0EEEvT1_.num_agpr, 0
	.set _ZN7rocprim17ROCPRIM_400000_NS6detail17trampoline_kernelINS0_14default_configENS1_25partition_config_selectorILNS1_17partition_subalgoE9EllbEEZZNS1_14partition_implILS5_9ELb0ES3_jPlS8_PNS0_10empty_typeENS0_5tupleIJS8_S9_EEENSB_IJS8_SA_EEENS0_18inequality_wrapperIZN2at6native12_GLOBAL__N_124unique_dim_cuda_templateIsEESt5tupleIJNSF_6TensorESK_SK_EERKSK_lbbbEUlllE0_EEPmJS9_EEE10hipError_tPvRmT3_T4_T5_T6_T7_T9_mT8_P12ihipStream_tbDpT10_ENKUlT_T0_E_clISt17integral_constantIbLb0EES1A_EEDaS15_S16_EUlS15_E_NS1_11comp_targetILNS1_3genE10ELNS1_11target_archE1200ELNS1_3gpuE4ELNS1_3repE0EEENS1_30default_config_static_selectorELNS0_4arch9wavefront6targetE0EEEvT1_.numbered_sgpr, 0
	.set _ZN7rocprim17ROCPRIM_400000_NS6detail17trampoline_kernelINS0_14default_configENS1_25partition_config_selectorILNS1_17partition_subalgoE9EllbEEZZNS1_14partition_implILS5_9ELb0ES3_jPlS8_PNS0_10empty_typeENS0_5tupleIJS8_S9_EEENSB_IJS8_SA_EEENS0_18inequality_wrapperIZN2at6native12_GLOBAL__N_124unique_dim_cuda_templateIsEESt5tupleIJNSF_6TensorESK_SK_EERKSK_lbbbEUlllE0_EEPmJS9_EEE10hipError_tPvRmT3_T4_T5_T6_T7_T9_mT8_P12ihipStream_tbDpT10_ENKUlT_T0_E_clISt17integral_constantIbLb0EES1A_EEDaS15_S16_EUlS15_E_NS1_11comp_targetILNS1_3genE10ELNS1_11target_archE1200ELNS1_3gpuE4ELNS1_3repE0EEENS1_30default_config_static_selectorELNS0_4arch9wavefront6targetE0EEEvT1_.num_named_barrier, 0
	.set _ZN7rocprim17ROCPRIM_400000_NS6detail17trampoline_kernelINS0_14default_configENS1_25partition_config_selectorILNS1_17partition_subalgoE9EllbEEZZNS1_14partition_implILS5_9ELb0ES3_jPlS8_PNS0_10empty_typeENS0_5tupleIJS8_S9_EEENSB_IJS8_SA_EEENS0_18inequality_wrapperIZN2at6native12_GLOBAL__N_124unique_dim_cuda_templateIsEESt5tupleIJNSF_6TensorESK_SK_EERKSK_lbbbEUlllE0_EEPmJS9_EEE10hipError_tPvRmT3_T4_T5_T6_T7_T9_mT8_P12ihipStream_tbDpT10_ENKUlT_T0_E_clISt17integral_constantIbLb0EES1A_EEDaS15_S16_EUlS15_E_NS1_11comp_targetILNS1_3genE10ELNS1_11target_archE1200ELNS1_3gpuE4ELNS1_3repE0EEENS1_30default_config_static_selectorELNS0_4arch9wavefront6targetE0EEEvT1_.private_seg_size, 0
	.set _ZN7rocprim17ROCPRIM_400000_NS6detail17trampoline_kernelINS0_14default_configENS1_25partition_config_selectorILNS1_17partition_subalgoE9EllbEEZZNS1_14partition_implILS5_9ELb0ES3_jPlS8_PNS0_10empty_typeENS0_5tupleIJS8_S9_EEENSB_IJS8_SA_EEENS0_18inequality_wrapperIZN2at6native12_GLOBAL__N_124unique_dim_cuda_templateIsEESt5tupleIJNSF_6TensorESK_SK_EERKSK_lbbbEUlllE0_EEPmJS9_EEE10hipError_tPvRmT3_T4_T5_T6_T7_T9_mT8_P12ihipStream_tbDpT10_ENKUlT_T0_E_clISt17integral_constantIbLb0EES1A_EEDaS15_S16_EUlS15_E_NS1_11comp_targetILNS1_3genE10ELNS1_11target_archE1200ELNS1_3gpuE4ELNS1_3repE0EEENS1_30default_config_static_selectorELNS0_4arch9wavefront6targetE0EEEvT1_.uses_vcc, 0
	.set _ZN7rocprim17ROCPRIM_400000_NS6detail17trampoline_kernelINS0_14default_configENS1_25partition_config_selectorILNS1_17partition_subalgoE9EllbEEZZNS1_14partition_implILS5_9ELb0ES3_jPlS8_PNS0_10empty_typeENS0_5tupleIJS8_S9_EEENSB_IJS8_SA_EEENS0_18inequality_wrapperIZN2at6native12_GLOBAL__N_124unique_dim_cuda_templateIsEESt5tupleIJNSF_6TensorESK_SK_EERKSK_lbbbEUlllE0_EEPmJS9_EEE10hipError_tPvRmT3_T4_T5_T6_T7_T9_mT8_P12ihipStream_tbDpT10_ENKUlT_T0_E_clISt17integral_constantIbLb0EES1A_EEDaS15_S16_EUlS15_E_NS1_11comp_targetILNS1_3genE10ELNS1_11target_archE1200ELNS1_3gpuE4ELNS1_3repE0EEENS1_30default_config_static_selectorELNS0_4arch9wavefront6targetE0EEEvT1_.uses_flat_scratch, 0
	.set _ZN7rocprim17ROCPRIM_400000_NS6detail17trampoline_kernelINS0_14default_configENS1_25partition_config_selectorILNS1_17partition_subalgoE9EllbEEZZNS1_14partition_implILS5_9ELb0ES3_jPlS8_PNS0_10empty_typeENS0_5tupleIJS8_S9_EEENSB_IJS8_SA_EEENS0_18inequality_wrapperIZN2at6native12_GLOBAL__N_124unique_dim_cuda_templateIsEESt5tupleIJNSF_6TensorESK_SK_EERKSK_lbbbEUlllE0_EEPmJS9_EEE10hipError_tPvRmT3_T4_T5_T6_T7_T9_mT8_P12ihipStream_tbDpT10_ENKUlT_T0_E_clISt17integral_constantIbLb0EES1A_EEDaS15_S16_EUlS15_E_NS1_11comp_targetILNS1_3genE10ELNS1_11target_archE1200ELNS1_3gpuE4ELNS1_3repE0EEENS1_30default_config_static_selectorELNS0_4arch9wavefront6targetE0EEEvT1_.has_dyn_sized_stack, 0
	.set _ZN7rocprim17ROCPRIM_400000_NS6detail17trampoline_kernelINS0_14default_configENS1_25partition_config_selectorILNS1_17partition_subalgoE9EllbEEZZNS1_14partition_implILS5_9ELb0ES3_jPlS8_PNS0_10empty_typeENS0_5tupleIJS8_S9_EEENSB_IJS8_SA_EEENS0_18inequality_wrapperIZN2at6native12_GLOBAL__N_124unique_dim_cuda_templateIsEESt5tupleIJNSF_6TensorESK_SK_EERKSK_lbbbEUlllE0_EEPmJS9_EEE10hipError_tPvRmT3_T4_T5_T6_T7_T9_mT8_P12ihipStream_tbDpT10_ENKUlT_T0_E_clISt17integral_constantIbLb0EES1A_EEDaS15_S16_EUlS15_E_NS1_11comp_targetILNS1_3genE10ELNS1_11target_archE1200ELNS1_3gpuE4ELNS1_3repE0EEENS1_30default_config_static_selectorELNS0_4arch9wavefront6targetE0EEEvT1_.has_recursion, 0
	.set _ZN7rocprim17ROCPRIM_400000_NS6detail17trampoline_kernelINS0_14default_configENS1_25partition_config_selectorILNS1_17partition_subalgoE9EllbEEZZNS1_14partition_implILS5_9ELb0ES3_jPlS8_PNS0_10empty_typeENS0_5tupleIJS8_S9_EEENSB_IJS8_SA_EEENS0_18inequality_wrapperIZN2at6native12_GLOBAL__N_124unique_dim_cuda_templateIsEESt5tupleIJNSF_6TensorESK_SK_EERKSK_lbbbEUlllE0_EEPmJS9_EEE10hipError_tPvRmT3_T4_T5_T6_T7_T9_mT8_P12ihipStream_tbDpT10_ENKUlT_T0_E_clISt17integral_constantIbLb0EES1A_EEDaS15_S16_EUlS15_E_NS1_11comp_targetILNS1_3genE10ELNS1_11target_archE1200ELNS1_3gpuE4ELNS1_3repE0EEENS1_30default_config_static_selectorELNS0_4arch9wavefront6targetE0EEEvT1_.has_indirect_call, 0
	.section	.AMDGPU.csdata,"",@progbits
; Kernel info:
; codeLenInByte = 0
; TotalNumSgprs: 0
; NumVgprs: 0
; ScratchSize: 0
; MemoryBound: 0
; FloatMode: 240
; IeeeMode: 1
; LDSByteSize: 0 bytes/workgroup (compile time only)
; SGPRBlocks: 0
; VGPRBlocks: 0
; NumSGPRsForWavesPerEU: 1
; NumVGPRsForWavesPerEU: 1
; NamedBarCnt: 0
; Occupancy: 16
; WaveLimiterHint : 0
; COMPUTE_PGM_RSRC2:SCRATCH_EN: 0
; COMPUTE_PGM_RSRC2:USER_SGPR: 2
; COMPUTE_PGM_RSRC2:TRAP_HANDLER: 0
; COMPUTE_PGM_RSRC2:TGID_X_EN: 1
; COMPUTE_PGM_RSRC2:TGID_Y_EN: 0
; COMPUTE_PGM_RSRC2:TGID_Z_EN: 0
; COMPUTE_PGM_RSRC2:TIDIG_COMP_CNT: 0
	.section	.text._ZN7rocprim17ROCPRIM_400000_NS6detail17trampoline_kernelINS0_14default_configENS1_25partition_config_selectorILNS1_17partition_subalgoE9EllbEEZZNS1_14partition_implILS5_9ELb0ES3_jPlS8_PNS0_10empty_typeENS0_5tupleIJS8_S9_EEENSB_IJS8_SA_EEENS0_18inequality_wrapperIZN2at6native12_GLOBAL__N_124unique_dim_cuda_templateIsEESt5tupleIJNSF_6TensorESK_SK_EERKSK_lbbbEUlllE0_EEPmJS9_EEE10hipError_tPvRmT3_T4_T5_T6_T7_T9_mT8_P12ihipStream_tbDpT10_ENKUlT_T0_E_clISt17integral_constantIbLb0EES1A_EEDaS15_S16_EUlS15_E_NS1_11comp_targetILNS1_3genE9ELNS1_11target_archE1100ELNS1_3gpuE3ELNS1_3repE0EEENS1_30default_config_static_selectorELNS0_4arch9wavefront6targetE0EEEvT1_,"axG",@progbits,_ZN7rocprim17ROCPRIM_400000_NS6detail17trampoline_kernelINS0_14default_configENS1_25partition_config_selectorILNS1_17partition_subalgoE9EllbEEZZNS1_14partition_implILS5_9ELb0ES3_jPlS8_PNS0_10empty_typeENS0_5tupleIJS8_S9_EEENSB_IJS8_SA_EEENS0_18inequality_wrapperIZN2at6native12_GLOBAL__N_124unique_dim_cuda_templateIsEESt5tupleIJNSF_6TensorESK_SK_EERKSK_lbbbEUlllE0_EEPmJS9_EEE10hipError_tPvRmT3_T4_T5_T6_T7_T9_mT8_P12ihipStream_tbDpT10_ENKUlT_T0_E_clISt17integral_constantIbLb0EES1A_EEDaS15_S16_EUlS15_E_NS1_11comp_targetILNS1_3genE9ELNS1_11target_archE1100ELNS1_3gpuE3ELNS1_3repE0EEENS1_30default_config_static_selectorELNS0_4arch9wavefront6targetE0EEEvT1_,comdat
	.globl	_ZN7rocprim17ROCPRIM_400000_NS6detail17trampoline_kernelINS0_14default_configENS1_25partition_config_selectorILNS1_17partition_subalgoE9EllbEEZZNS1_14partition_implILS5_9ELb0ES3_jPlS8_PNS0_10empty_typeENS0_5tupleIJS8_S9_EEENSB_IJS8_SA_EEENS0_18inequality_wrapperIZN2at6native12_GLOBAL__N_124unique_dim_cuda_templateIsEESt5tupleIJNSF_6TensorESK_SK_EERKSK_lbbbEUlllE0_EEPmJS9_EEE10hipError_tPvRmT3_T4_T5_T6_T7_T9_mT8_P12ihipStream_tbDpT10_ENKUlT_T0_E_clISt17integral_constantIbLb0EES1A_EEDaS15_S16_EUlS15_E_NS1_11comp_targetILNS1_3genE9ELNS1_11target_archE1100ELNS1_3gpuE3ELNS1_3repE0EEENS1_30default_config_static_selectorELNS0_4arch9wavefront6targetE0EEEvT1_ ; -- Begin function _ZN7rocprim17ROCPRIM_400000_NS6detail17trampoline_kernelINS0_14default_configENS1_25partition_config_selectorILNS1_17partition_subalgoE9EllbEEZZNS1_14partition_implILS5_9ELb0ES3_jPlS8_PNS0_10empty_typeENS0_5tupleIJS8_S9_EEENSB_IJS8_SA_EEENS0_18inequality_wrapperIZN2at6native12_GLOBAL__N_124unique_dim_cuda_templateIsEESt5tupleIJNSF_6TensorESK_SK_EERKSK_lbbbEUlllE0_EEPmJS9_EEE10hipError_tPvRmT3_T4_T5_T6_T7_T9_mT8_P12ihipStream_tbDpT10_ENKUlT_T0_E_clISt17integral_constantIbLb0EES1A_EEDaS15_S16_EUlS15_E_NS1_11comp_targetILNS1_3genE9ELNS1_11target_archE1100ELNS1_3gpuE3ELNS1_3repE0EEENS1_30default_config_static_selectorELNS0_4arch9wavefront6targetE0EEEvT1_
	.p2align	8
	.type	_ZN7rocprim17ROCPRIM_400000_NS6detail17trampoline_kernelINS0_14default_configENS1_25partition_config_selectorILNS1_17partition_subalgoE9EllbEEZZNS1_14partition_implILS5_9ELb0ES3_jPlS8_PNS0_10empty_typeENS0_5tupleIJS8_S9_EEENSB_IJS8_SA_EEENS0_18inequality_wrapperIZN2at6native12_GLOBAL__N_124unique_dim_cuda_templateIsEESt5tupleIJNSF_6TensorESK_SK_EERKSK_lbbbEUlllE0_EEPmJS9_EEE10hipError_tPvRmT3_T4_T5_T6_T7_T9_mT8_P12ihipStream_tbDpT10_ENKUlT_T0_E_clISt17integral_constantIbLb0EES1A_EEDaS15_S16_EUlS15_E_NS1_11comp_targetILNS1_3genE9ELNS1_11target_archE1100ELNS1_3gpuE3ELNS1_3repE0EEENS1_30default_config_static_selectorELNS0_4arch9wavefront6targetE0EEEvT1_,@function
_ZN7rocprim17ROCPRIM_400000_NS6detail17trampoline_kernelINS0_14default_configENS1_25partition_config_selectorILNS1_17partition_subalgoE9EllbEEZZNS1_14partition_implILS5_9ELb0ES3_jPlS8_PNS0_10empty_typeENS0_5tupleIJS8_S9_EEENSB_IJS8_SA_EEENS0_18inequality_wrapperIZN2at6native12_GLOBAL__N_124unique_dim_cuda_templateIsEESt5tupleIJNSF_6TensorESK_SK_EERKSK_lbbbEUlllE0_EEPmJS9_EEE10hipError_tPvRmT3_T4_T5_T6_T7_T9_mT8_P12ihipStream_tbDpT10_ENKUlT_T0_E_clISt17integral_constantIbLb0EES1A_EEDaS15_S16_EUlS15_E_NS1_11comp_targetILNS1_3genE9ELNS1_11target_archE1100ELNS1_3gpuE3ELNS1_3repE0EEENS1_30default_config_static_selectorELNS0_4arch9wavefront6targetE0EEEvT1_: ; @_ZN7rocprim17ROCPRIM_400000_NS6detail17trampoline_kernelINS0_14default_configENS1_25partition_config_selectorILNS1_17partition_subalgoE9EllbEEZZNS1_14partition_implILS5_9ELb0ES3_jPlS8_PNS0_10empty_typeENS0_5tupleIJS8_S9_EEENSB_IJS8_SA_EEENS0_18inequality_wrapperIZN2at6native12_GLOBAL__N_124unique_dim_cuda_templateIsEESt5tupleIJNSF_6TensorESK_SK_EERKSK_lbbbEUlllE0_EEPmJS9_EEE10hipError_tPvRmT3_T4_T5_T6_T7_T9_mT8_P12ihipStream_tbDpT10_ENKUlT_T0_E_clISt17integral_constantIbLb0EES1A_EEDaS15_S16_EUlS15_E_NS1_11comp_targetILNS1_3genE9ELNS1_11target_archE1100ELNS1_3gpuE3ELNS1_3repE0EEENS1_30default_config_static_selectorELNS0_4arch9wavefront6targetE0EEEvT1_
; %bb.0:
	.section	.rodata,"a",@progbits
	.p2align	6, 0x0
	.amdhsa_kernel _ZN7rocprim17ROCPRIM_400000_NS6detail17trampoline_kernelINS0_14default_configENS1_25partition_config_selectorILNS1_17partition_subalgoE9EllbEEZZNS1_14partition_implILS5_9ELb0ES3_jPlS8_PNS0_10empty_typeENS0_5tupleIJS8_S9_EEENSB_IJS8_SA_EEENS0_18inequality_wrapperIZN2at6native12_GLOBAL__N_124unique_dim_cuda_templateIsEESt5tupleIJNSF_6TensorESK_SK_EERKSK_lbbbEUlllE0_EEPmJS9_EEE10hipError_tPvRmT3_T4_T5_T6_T7_T9_mT8_P12ihipStream_tbDpT10_ENKUlT_T0_E_clISt17integral_constantIbLb0EES1A_EEDaS15_S16_EUlS15_E_NS1_11comp_targetILNS1_3genE9ELNS1_11target_archE1100ELNS1_3gpuE3ELNS1_3repE0EEENS1_30default_config_static_selectorELNS0_4arch9wavefront6targetE0EEEvT1_
		.amdhsa_group_segment_fixed_size 0
		.amdhsa_private_segment_fixed_size 0
		.amdhsa_kernarg_size 120
		.amdhsa_user_sgpr_count 2
		.amdhsa_user_sgpr_dispatch_ptr 0
		.amdhsa_user_sgpr_queue_ptr 0
		.amdhsa_user_sgpr_kernarg_segment_ptr 1
		.amdhsa_user_sgpr_dispatch_id 0
		.amdhsa_user_sgpr_kernarg_preload_length 0
		.amdhsa_user_sgpr_kernarg_preload_offset 0
		.amdhsa_user_sgpr_private_segment_size 0
		.amdhsa_wavefront_size32 1
		.amdhsa_uses_dynamic_stack 0
		.amdhsa_enable_private_segment 0
		.amdhsa_system_sgpr_workgroup_id_x 1
		.amdhsa_system_sgpr_workgroup_id_y 0
		.amdhsa_system_sgpr_workgroup_id_z 0
		.amdhsa_system_sgpr_workgroup_info 0
		.amdhsa_system_vgpr_workitem_id 0
		.amdhsa_next_free_vgpr 1
		.amdhsa_next_free_sgpr 1
		.amdhsa_named_barrier_count 0
		.amdhsa_reserve_vcc 0
		.amdhsa_float_round_mode_32 0
		.amdhsa_float_round_mode_16_64 0
		.amdhsa_float_denorm_mode_32 3
		.amdhsa_float_denorm_mode_16_64 3
		.amdhsa_fp16_overflow 0
		.amdhsa_memory_ordered 1
		.amdhsa_forward_progress 1
		.amdhsa_inst_pref_size 0
		.amdhsa_round_robin_scheduling 0
		.amdhsa_exception_fp_ieee_invalid_op 0
		.amdhsa_exception_fp_denorm_src 0
		.amdhsa_exception_fp_ieee_div_zero 0
		.amdhsa_exception_fp_ieee_overflow 0
		.amdhsa_exception_fp_ieee_underflow 0
		.amdhsa_exception_fp_ieee_inexact 0
		.amdhsa_exception_int_div_zero 0
	.end_amdhsa_kernel
	.section	.text._ZN7rocprim17ROCPRIM_400000_NS6detail17trampoline_kernelINS0_14default_configENS1_25partition_config_selectorILNS1_17partition_subalgoE9EllbEEZZNS1_14partition_implILS5_9ELb0ES3_jPlS8_PNS0_10empty_typeENS0_5tupleIJS8_S9_EEENSB_IJS8_SA_EEENS0_18inequality_wrapperIZN2at6native12_GLOBAL__N_124unique_dim_cuda_templateIsEESt5tupleIJNSF_6TensorESK_SK_EERKSK_lbbbEUlllE0_EEPmJS9_EEE10hipError_tPvRmT3_T4_T5_T6_T7_T9_mT8_P12ihipStream_tbDpT10_ENKUlT_T0_E_clISt17integral_constantIbLb0EES1A_EEDaS15_S16_EUlS15_E_NS1_11comp_targetILNS1_3genE9ELNS1_11target_archE1100ELNS1_3gpuE3ELNS1_3repE0EEENS1_30default_config_static_selectorELNS0_4arch9wavefront6targetE0EEEvT1_,"axG",@progbits,_ZN7rocprim17ROCPRIM_400000_NS6detail17trampoline_kernelINS0_14default_configENS1_25partition_config_selectorILNS1_17partition_subalgoE9EllbEEZZNS1_14partition_implILS5_9ELb0ES3_jPlS8_PNS0_10empty_typeENS0_5tupleIJS8_S9_EEENSB_IJS8_SA_EEENS0_18inequality_wrapperIZN2at6native12_GLOBAL__N_124unique_dim_cuda_templateIsEESt5tupleIJNSF_6TensorESK_SK_EERKSK_lbbbEUlllE0_EEPmJS9_EEE10hipError_tPvRmT3_T4_T5_T6_T7_T9_mT8_P12ihipStream_tbDpT10_ENKUlT_T0_E_clISt17integral_constantIbLb0EES1A_EEDaS15_S16_EUlS15_E_NS1_11comp_targetILNS1_3genE9ELNS1_11target_archE1100ELNS1_3gpuE3ELNS1_3repE0EEENS1_30default_config_static_selectorELNS0_4arch9wavefront6targetE0EEEvT1_,comdat
.Lfunc_end723:
	.size	_ZN7rocprim17ROCPRIM_400000_NS6detail17trampoline_kernelINS0_14default_configENS1_25partition_config_selectorILNS1_17partition_subalgoE9EllbEEZZNS1_14partition_implILS5_9ELb0ES3_jPlS8_PNS0_10empty_typeENS0_5tupleIJS8_S9_EEENSB_IJS8_SA_EEENS0_18inequality_wrapperIZN2at6native12_GLOBAL__N_124unique_dim_cuda_templateIsEESt5tupleIJNSF_6TensorESK_SK_EERKSK_lbbbEUlllE0_EEPmJS9_EEE10hipError_tPvRmT3_T4_T5_T6_T7_T9_mT8_P12ihipStream_tbDpT10_ENKUlT_T0_E_clISt17integral_constantIbLb0EES1A_EEDaS15_S16_EUlS15_E_NS1_11comp_targetILNS1_3genE9ELNS1_11target_archE1100ELNS1_3gpuE3ELNS1_3repE0EEENS1_30default_config_static_selectorELNS0_4arch9wavefront6targetE0EEEvT1_, .Lfunc_end723-_ZN7rocprim17ROCPRIM_400000_NS6detail17trampoline_kernelINS0_14default_configENS1_25partition_config_selectorILNS1_17partition_subalgoE9EllbEEZZNS1_14partition_implILS5_9ELb0ES3_jPlS8_PNS0_10empty_typeENS0_5tupleIJS8_S9_EEENSB_IJS8_SA_EEENS0_18inequality_wrapperIZN2at6native12_GLOBAL__N_124unique_dim_cuda_templateIsEESt5tupleIJNSF_6TensorESK_SK_EERKSK_lbbbEUlllE0_EEPmJS9_EEE10hipError_tPvRmT3_T4_T5_T6_T7_T9_mT8_P12ihipStream_tbDpT10_ENKUlT_T0_E_clISt17integral_constantIbLb0EES1A_EEDaS15_S16_EUlS15_E_NS1_11comp_targetILNS1_3genE9ELNS1_11target_archE1100ELNS1_3gpuE3ELNS1_3repE0EEENS1_30default_config_static_selectorELNS0_4arch9wavefront6targetE0EEEvT1_
                                        ; -- End function
	.set _ZN7rocprim17ROCPRIM_400000_NS6detail17trampoline_kernelINS0_14default_configENS1_25partition_config_selectorILNS1_17partition_subalgoE9EllbEEZZNS1_14partition_implILS5_9ELb0ES3_jPlS8_PNS0_10empty_typeENS0_5tupleIJS8_S9_EEENSB_IJS8_SA_EEENS0_18inequality_wrapperIZN2at6native12_GLOBAL__N_124unique_dim_cuda_templateIsEESt5tupleIJNSF_6TensorESK_SK_EERKSK_lbbbEUlllE0_EEPmJS9_EEE10hipError_tPvRmT3_T4_T5_T6_T7_T9_mT8_P12ihipStream_tbDpT10_ENKUlT_T0_E_clISt17integral_constantIbLb0EES1A_EEDaS15_S16_EUlS15_E_NS1_11comp_targetILNS1_3genE9ELNS1_11target_archE1100ELNS1_3gpuE3ELNS1_3repE0EEENS1_30default_config_static_selectorELNS0_4arch9wavefront6targetE0EEEvT1_.num_vgpr, 0
	.set _ZN7rocprim17ROCPRIM_400000_NS6detail17trampoline_kernelINS0_14default_configENS1_25partition_config_selectorILNS1_17partition_subalgoE9EllbEEZZNS1_14partition_implILS5_9ELb0ES3_jPlS8_PNS0_10empty_typeENS0_5tupleIJS8_S9_EEENSB_IJS8_SA_EEENS0_18inequality_wrapperIZN2at6native12_GLOBAL__N_124unique_dim_cuda_templateIsEESt5tupleIJNSF_6TensorESK_SK_EERKSK_lbbbEUlllE0_EEPmJS9_EEE10hipError_tPvRmT3_T4_T5_T6_T7_T9_mT8_P12ihipStream_tbDpT10_ENKUlT_T0_E_clISt17integral_constantIbLb0EES1A_EEDaS15_S16_EUlS15_E_NS1_11comp_targetILNS1_3genE9ELNS1_11target_archE1100ELNS1_3gpuE3ELNS1_3repE0EEENS1_30default_config_static_selectorELNS0_4arch9wavefront6targetE0EEEvT1_.num_agpr, 0
	.set _ZN7rocprim17ROCPRIM_400000_NS6detail17trampoline_kernelINS0_14default_configENS1_25partition_config_selectorILNS1_17partition_subalgoE9EllbEEZZNS1_14partition_implILS5_9ELb0ES3_jPlS8_PNS0_10empty_typeENS0_5tupleIJS8_S9_EEENSB_IJS8_SA_EEENS0_18inequality_wrapperIZN2at6native12_GLOBAL__N_124unique_dim_cuda_templateIsEESt5tupleIJNSF_6TensorESK_SK_EERKSK_lbbbEUlllE0_EEPmJS9_EEE10hipError_tPvRmT3_T4_T5_T6_T7_T9_mT8_P12ihipStream_tbDpT10_ENKUlT_T0_E_clISt17integral_constantIbLb0EES1A_EEDaS15_S16_EUlS15_E_NS1_11comp_targetILNS1_3genE9ELNS1_11target_archE1100ELNS1_3gpuE3ELNS1_3repE0EEENS1_30default_config_static_selectorELNS0_4arch9wavefront6targetE0EEEvT1_.numbered_sgpr, 0
	.set _ZN7rocprim17ROCPRIM_400000_NS6detail17trampoline_kernelINS0_14default_configENS1_25partition_config_selectorILNS1_17partition_subalgoE9EllbEEZZNS1_14partition_implILS5_9ELb0ES3_jPlS8_PNS0_10empty_typeENS0_5tupleIJS8_S9_EEENSB_IJS8_SA_EEENS0_18inequality_wrapperIZN2at6native12_GLOBAL__N_124unique_dim_cuda_templateIsEESt5tupleIJNSF_6TensorESK_SK_EERKSK_lbbbEUlllE0_EEPmJS9_EEE10hipError_tPvRmT3_T4_T5_T6_T7_T9_mT8_P12ihipStream_tbDpT10_ENKUlT_T0_E_clISt17integral_constantIbLb0EES1A_EEDaS15_S16_EUlS15_E_NS1_11comp_targetILNS1_3genE9ELNS1_11target_archE1100ELNS1_3gpuE3ELNS1_3repE0EEENS1_30default_config_static_selectorELNS0_4arch9wavefront6targetE0EEEvT1_.num_named_barrier, 0
	.set _ZN7rocprim17ROCPRIM_400000_NS6detail17trampoline_kernelINS0_14default_configENS1_25partition_config_selectorILNS1_17partition_subalgoE9EllbEEZZNS1_14partition_implILS5_9ELb0ES3_jPlS8_PNS0_10empty_typeENS0_5tupleIJS8_S9_EEENSB_IJS8_SA_EEENS0_18inequality_wrapperIZN2at6native12_GLOBAL__N_124unique_dim_cuda_templateIsEESt5tupleIJNSF_6TensorESK_SK_EERKSK_lbbbEUlllE0_EEPmJS9_EEE10hipError_tPvRmT3_T4_T5_T6_T7_T9_mT8_P12ihipStream_tbDpT10_ENKUlT_T0_E_clISt17integral_constantIbLb0EES1A_EEDaS15_S16_EUlS15_E_NS1_11comp_targetILNS1_3genE9ELNS1_11target_archE1100ELNS1_3gpuE3ELNS1_3repE0EEENS1_30default_config_static_selectorELNS0_4arch9wavefront6targetE0EEEvT1_.private_seg_size, 0
	.set _ZN7rocprim17ROCPRIM_400000_NS6detail17trampoline_kernelINS0_14default_configENS1_25partition_config_selectorILNS1_17partition_subalgoE9EllbEEZZNS1_14partition_implILS5_9ELb0ES3_jPlS8_PNS0_10empty_typeENS0_5tupleIJS8_S9_EEENSB_IJS8_SA_EEENS0_18inequality_wrapperIZN2at6native12_GLOBAL__N_124unique_dim_cuda_templateIsEESt5tupleIJNSF_6TensorESK_SK_EERKSK_lbbbEUlllE0_EEPmJS9_EEE10hipError_tPvRmT3_T4_T5_T6_T7_T9_mT8_P12ihipStream_tbDpT10_ENKUlT_T0_E_clISt17integral_constantIbLb0EES1A_EEDaS15_S16_EUlS15_E_NS1_11comp_targetILNS1_3genE9ELNS1_11target_archE1100ELNS1_3gpuE3ELNS1_3repE0EEENS1_30default_config_static_selectorELNS0_4arch9wavefront6targetE0EEEvT1_.uses_vcc, 0
	.set _ZN7rocprim17ROCPRIM_400000_NS6detail17trampoline_kernelINS0_14default_configENS1_25partition_config_selectorILNS1_17partition_subalgoE9EllbEEZZNS1_14partition_implILS5_9ELb0ES3_jPlS8_PNS0_10empty_typeENS0_5tupleIJS8_S9_EEENSB_IJS8_SA_EEENS0_18inequality_wrapperIZN2at6native12_GLOBAL__N_124unique_dim_cuda_templateIsEESt5tupleIJNSF_6TensorESK_SK_EERKSK_lbbbEUlllE0_EEPmJS9_EEE10hipError_tPvRmT3_T4_T5_T6_T7_T9_mT8_P12ihipStream_tbDpT10_ENKUlT_T0_E_clISt17integral_constantIbLb0EES1A_EEDaS15_S16_EUlS15_E_NS1_11comp_targetILNS1_3genE9ELNS1_11target_archE1100ELNS1_3gpuE3ELNS1_3repE0EEENS1_30default_config_static_selectorELNS0_4arch9wavefront6targetE0EEEvT1_.uses_flat_scratch, 0
	.set _ZN7rocprim17ROCPRIM_400000_NS6detail17trampoline_kernelINS0_14default_configENS1_25partition_config_selectorILNS1_17partition_subalgoE9EllbEEZZNS1_14partition_implILS5_9ELb0ES3_jPlS8_PNS0_10empty_typeENS0_5tupleIJS8_S9_EEENSB_IJS8_SA_EEENS0_18inequality_wrapperIZN2at6native12_GLOBAL__N_124unique_dim_cuda_templateIsEESt5tupleIJNSF_6TensorESK_SK_EERKSK_lbbbEUlllE0_EEPmJS9_EEE10hipError_tPvRmT3_T4_T5_T6_T7_T9_mT8_P12ihipStream_tbDpT10_ENKUlT_T0_E_clISt17integral_constantIbLb0EES1A_EEDaS15_S16_EUlS15_E_NS1_11comp_targetILNS1_3genE9ELNS1_11target_archE1100ELNS1_3gpuE3ELNS1_3repE0EEENS1_30default_config_static_selectorELNS0_4arch9wavefront6targetE0EEEvT1_.has_dyn_sized_stack, 0
	.set _ZN7rocprim17ROCPRIM_400000_NS6detail17trampoline_kernelINS0_14default_configENS1_25partition_config_selectorILNS1_17partition_subalgoE9EllbEEZZNS1_14partition_implILS5_9ELb0ES3_jPlS8_PNS0_10empty_typeENS0_5tupleIJS8_S9_EEENSB_IJS8_SA_EEENS0_18inequality_wrapperIZN2at6native12_GLOBAL__N_124unique_dim_cuda_templateIsEESt5tupleIJNSF_6TensorESK_SK_EERKSK_lbbbEUlllE0_EEPmJS9_EEE10hipError_tPvRmT3_T4_T5_T6_T7_T9_mT8_P12ihipStream_tbDpT10_ENKUlT_T0_E_clISt17integral_constantIbLb0EES1A_EEDaS15_S16_EUlS15_E_NS1_11comp_targetILNS1_3genE9ELNS1_11target_archE1100ELNS1_3gpuE3ELNS1_3repE0EEENS1_30default_config_static_selectorELNS0_4arch9wavefront6targetE0EEEvT1_.has_recursion, 0
	.set _ZN7rocprim17ROCPRIM_400000_NS6detail17trampoline_kernelINS0_14default_configENS1_25partition_config_selectorILNS1_17partition_subalgoE9EllbEEZZNS1_14partition_implILS5_9ELb0ES3_jPlS8_PNS0_10empty_typeENS0_5tupleIJS8_S9_EEENSB_IJS8_SA_EEENS0_18inequality_wrapperIZN2at6native12_GLOBAL__N_124unique_dim_cuda_templateIsEESt5tupleIJNSF_6TensorESK_SK_EERKSK_lbbbEUlllE0_EEPmJS9_EEE10hipError_tPvRmT3_T4_T5_T6_T7_T9_mT8_P12ihipStream_tbDpT10_ENKUlT_T0_E_clISt17integral_constantIbLb0EES1A_EEDaS15_S16_EUlS15_E_NS1_11comp_targetILNS1_3genE9ELNS1_11target_archE1100ELNS1_3gpuE3ELNS1_3repE0EEENS1_30default_config_static_selectorELNS0_4arch9wavefront6targetE0EEEvT1_.has_indirect_call, 0
	.section	.AMDGPU.csdata,"",@progbits
; Kernel info:
; codeLenInByte = 0
; TotalNumSgprs: 0
; NumVgprs: 0
; ScratchSize: 0
; MemoryBound: 0
; FloatMode: 240
; IeeeMode: 1
; LDSByteSize: 0 bytes/workgroup (compile time only)
; SGPRBlocks: 0
; VGPRBlocks: 0
; NumSGPRsForWavesPerEU: 1
; NumVGPRsForWavesPerEU: 1
; NamedBarCnt: 0
; Occupancy: 16
; WaveLimiterHint : 0
; COMPUTE_PGM_RSRC2:SCRATCH_EN: 0
; COMPUTE_PGM_RSRC2:USER_SGPR: 2
; COMPUTE_PGM_RSRC2:TRAP_HANDLER: 0
; COMPUTE_PGM_RSRC2:TGID_X_EN: 1
; COMPUTE_PGM_RSRC2:TGID_Y_EN: 0
; COMPUTE_PGM_RSRC2:TGID_Z_EN: 0
; COMPUTE_PGM_RSRC2:TIDIG_COMP_CNT: 0
	.section	.text._ZN7rocprim17ROCPRIM_400000_NS6detail17trampoline_kernelINS0_14default_configENS1_25partition_config_selectorILNS1_17partition_subalgoE9EllbEEZZNS1_14partition_implILS5_9ELb0ES3_jPlS8_PNS0_10empty_typeENS0_5tupleIJS8_S9_EEENSB_IJS8_SA_EEENS0_18inequality_wrapperIZN2at6native12_GLOBAL__N_124unique_dim_cuda_templateIsEESt5tupleIJNSF_6TensorESK_SK_EERKSK_lbbbEUlllE0_EEPmJS9_EEE10hipError_tPvRmT3_T4_T5_T6_T7_T9_mT8_P12ihipStream_tbDpT10_ENKUlT_T0_E_clISt17integral_constantIbLb0EES1A_EEDaS15_S16_EUlS15_E_NS1_11comp_targetILNS1_3genE8ELNS1_11target_archE1030ELNS1_3gpuE2ELNS1_3repE0EEENS1_30default_config_static_selectorELNS0_4arch9wavefront6targetE0EEEvT1_,"axG",@progbits,_ZN7rocprim17ROCPRIM_400000_NS6detail17trampoline_kernelINS0_14default_configENS1_25partition_config_selectorILNS1_17partition_subalgoE9EllbEEZZNS1_14partition_implILS5_9ELb0ES3_jPlS8_PNS0_10empty_typeENS0_5tupleIJS8_S9_EEENSB_IJS8_SA_EEENS0_18inequality_wrapperIZN2at6native12_GLOBAL__N_124unique_dim_cuda_templateIsEESt5tupleIJNSF_6TensorESK_SK_EERKSK_lbbbEUlllE0_EEPmJS9_EEE10hipError_tPvRmT3_T4_T5_T6_T7_T9_mT8_P12ihipStream_tbDpT10_ENKUlT_T0_E_clISt17integral_constantIbLb0EES1A_EEDaS15_S16_EUlS15_E_NS1_11comp_targetILNS1_3genE8ELNS1_11target_archE1030ELNS1_3gpuE2ELNS1_3repE0EEENS1_30default_config_static_selectorELNS0_4arch9wavefront6targetE0EEEvT1_,comdat
	.globl	_ZN7rocprim17ROCPRIM_400000_NS6detail17trampoline_kernelINS0_14default_configENS1_25partition_config_selectorILNS1_17partition_subalgoE9EllbEEZZNS1_14partition_implILS5_9ELb0ES3_jPlS8_PNS0_10empty_typeENS0_5tupleIJS8_S9_EEENSB_IJS8_SA_EEENS0_18inequality_wrapperIZN2at6native12_GLOBAL__N_124unique_dim_cuda_templateIsEESt5tupleIJNSF_6TensorESK_SK_EERKSK_lbbbEUlllE0_EEPmJS9_EEE10hipError_tPvRmT3_T4_T5_T6_T7_T9_mT8_P12ihipStream_tbDpT10_ENKUlT_T0_E_clISt17integral_constantIbLb0EES1A_EEDaS15_S16_EUlS15_E_NS1_11comp_targetILNS1_3genE8ELNS1_11target_archE1030ELNS1_3gpuE2ELNS1_3repE0EEENS1_30default_config_static_selectorELNS0_4arch9wavefront6targetE0EEEvT1_ ; -- Begin function _ZN7rocprim17ROCPRIM_400000_NS6detail17trampoline_kernelINS0_14default_configENS1_25partition_config_selectorILNS1_17partition_subalgoE9EllbEEZZNS1_14partition_implILS5_9ELb0ES3_jPlS8_PNS0_10empty_typeENS0_5tupleIJS8_S9_EEENSB_IJS8_SA_EEENS0_18inequality_wrapperIZN2at6native12_GLOBAL__N_124unique_dim_cuda_templateIsEESt5tupleIJNSF_6TensorESK_SK_EERKSK_lbbbEUlllE0_EEPmJS9_EEE10hipError_tPvRmT3_T4_T5_T6_T7_T9_mT8_P12ihipStream_tbDpT10_ENKUlT_T0_E_clISt17integral_constantIbLb0EES1A_EEDaS15_S16_EUlS15_E_NS1_11comp_targetILNS1_3genE8ELNS1_11target_archE1030ELNS1_3gpuE2ELNS1_3repE0EEENS1_30default_config_static_selectorELNS0_4arch9wavefront6targetE0EEEvT1_
	.p2align	8
	.type	_ZN7rocprim17ROCPRIM_400000_NS6detail17trampoline_kernelINS0_14default_configENS1_25partition_config_selectorILNS1_17partition_subalgoE9EllbEEZZNS1_14partition_implILS5_9ELb0ES3_jPlS8_PNS0_10empty_typeENS0_5tupleIJS8_S9_EEENSB_IJS8_SA_EEENS0_18inequality_wrapperIZN2at6native12_GLOBAL__N_124unique_dim_cuda_templateIsEESt5tupleIJNSF_6TensorESK_SK_EERKSK_lbbbEUlllE0_EEPmJS9_EEE10hipError_tPvRmT3_T4_T5_T6_T7_T9_mT8_P12ihipStream_tbDpT10_ENKUlT_T0_E_clISt17integral_constantIbLb0EES1A_EEDaS15_S16_EUlS15_E_NS1_11comp_targetILNS1_3genE8ELNS1_11target_archE1030ELNS1_3gpuE2ELNS1_3repE0EEENS1_30default_config_static_selectorELNS0_4arch9wavefront6targetE0EEEvT1_,@function
_ZN7rocprim17ROCPRIM_400000_NS6detail17trampoline_kernelINS0_14default_configENS1_25partition_config_selectorILNS1_17partition_subalgoE9EllbEEZZNS1_14partition_implILS5_9ELb0ES3_jPlS8_PNS0_10empty_typeENS0_5tupleIJS8_S9_EEENSB_IJS8_SA_EEENS0_18inequality_wrapperIZN2at6native12_GLOBAL__N_124unique_dim_cuda_templateIsEESt5tupleIJNSF_6TensorESK_SK_EERKSK_lbbbEUlllE0_EEPmJS9_EEE10hipError_tPvRmT3_T4_T5_T6_T7_T9_mT8_P12ihipStream_tbDpT10_ENKUlT_T0_E_clISt17integral_constantIbLb0EES1A_EEDaS15_S16_EUlS15_E_NS1_11comp_targetILNS1_3genE8ELNS1_11target_archE1030ELNS1_3gpuE2ELNS1_3repE0EEENS1_30default_config_static_selectorELNS0_4arch9wavefront6targetE0EEEvT1_: ; @_ZN7rocprim17ROCPRIM_400000_NS6detail17trampoline_kernelINS0_14default_configENS1_25partition_config_selectorILNS1_17partition_subalgoE9EllbEEZZNS1_14partition_implILS5_9ELb0ES3_jPlS8_PNS0_10empty_typeENS0_5tupleIJS8_S9_EEENSB_IJS8_SA_EEENS0_18inequality_wrapperIZN2at6native12_GLOBAL__N_124unique_dim_cuda_templateIsEESt5tupleIJNSF_6TensorESK_SK_EERKSK_lbbbEUlllE0_EEPmJS9_EEE10hipError_tPvRmT3_T4_T5_T6_T7_T9_mT8_P12ihipStream_tbDpT10_ENKUlT_T0_E_clISt17integral_constantIbLb0EES1A_EEDaS15_S16_EUlS15_E_NS1_11comp_targetILNS1_3genE8ELNS1_11target_archE1030ELNS1_3gpuE2ELNS1_3repE0EEENS1_30default_config_static_selectorELNS0_4arch9wavefront6targetE0EEEvT1_
; %bb.0:
	.section	.rodata,"a",@progbits
	.p2align	6, 0x0
	.amdhsa_kernel _ZN7rocprim17ROCPRIM_400000_NS6detail17trampoline_kernelINS0_14default_configENS1_25partition_config_selectorILNS1_17partition_subalgoE9EllbEEZZNS1_14partition_implILS5_9ELb0ES3_jPlS8_PNS0_10empty_typeENS0_5tupleIJS8_S9_EEENSB_IJS8_SA_EEENS0_18inequality_wrapperIZN2at6native12_GLOBAL__N_124unique_dim_cuda_templateIsEESt5tupleIJNSF_6TensorESK_SK_EERKSK_lbbbEUlllE0_EEPmJS9_EEE10hipError_tPvRmT3_T4_T5_T6_T7_T9_mT8_P12ihipStream_tbDpT10_ENKUlT_T0_E_clISt17integral_constantIbLb0EES1A_EEDaS15_S16_EUlS15_E_NS1_11comp_targetILNS1_3genE8ELNS1_11target_archE1030ELNS1_3gpuE2ELNS1_3repE0EEENS1_30default_config_static_selectorELNS0_4arch9wavefront6targetE0EEEvT1_
		.amdhsa_group_segment_fixed_size 0
		.amdhsa_private_segment_fixed_size 0
		.amdhsa_kernarg_size 120
		.amdhsa_user_sgpr_count 2
		.amdhsa_user_sgpr_dispatch_ptr 0
		.amdhsa_user_sgpr_queue_ptr 0
		.amdhsa_user_sgpr_kernarg_segment_ptr 1
		.amdhsa_user_sgpr_dispatch_id 0
		.amdhsa_user_sgpr_kernarg_preload_length 0
		.amdhsa_user_sgpr_kernarg_preload_offset 0
		.amdhsa_user_sgpr_private_segment_size 0
		.amdhsa_wavefront_size32 1
		.amdhsa_uses_dynamic_stack 0
		.amdhsa_enable_private_segment 0
		.amdhsa_system_sgpr_workgroup_id_x 1
		.amdhsa_system_sgpr_workgroup_id_y 0
		.amdhsa_system_sgpr_workgroup_id_z 0
		.amdhsa_system_sgpr_workgroup_info 0
		.amdhsa_system_vgpr_workitem_id 0
		.amdhsa_next_free_vgpr 1
		.amdhsa_next_free_sgpr 1
		.amdhsa_named_barrier_count 0
		.amdhsa_reserve_vcc 0
		.amdhsa_float_round_mode_32 0
		.amdhsa_float_round_mode_16_64 0
		.amdhsa_float_denorm_mode_32 3
		.amdhsa_float_denorm_mode_16_64 3
		.amdhsa_fp16_overflow 0
		.amdhsa_memory_ordered 1
		.amdhsa_forward_progress 1
		.amdhsa_inst_pref_size 0
		.amdhsa_round_robin_scheduling 0
		.amdhsa_exception_fp_ieee_invalid_op 0
		.amdhsa_exception_fp_denorm_src 0
		.amdhsa_exception_fp_ieee_div_zero 0
		.amdhsa_exception_fp_ieee_overflow 0
		.amdhsa_exception_fp_ieee_underflow 0
		.amdhsa_exception_fp_ieee_inexact 0
		.amdhsa_exception_int_div_zero 0
	.end_amdhsa_kernel
	.section	.text._ZN7rocprim17ROCPRIM_400000_NS6detail17trampoline_kernelINS0_14default_configENS1_25partition_config_selectorILNS1_17partition_subalgoE9EllbEEZZNS1_14partition_implILS5_9ELb0ES3_jPlS8_PNS0_10empty_typeENS0_5tupleIJS8_S9_EEENSB_IJS8_SA_EEENS0_18inequality_wrapperIZN2at6native12_GLOBAL__N_124unique_dim_cuda_templateIsEESt5tupleIJNSF_6TensorESK_SK_EERKSK_lbbbEUlllE0_EEPmJS9_EEE10hipError_tPvRmT3_T4_T5_T6_T7_T9_mT8_P12ihipStream_tbDpT10_ENKUlT_T0_E_clISt17integral_constantIbLb0EES1A_EEDaS15_S16_EUlS15_E_NS1_11comp_targetILNS1_3genE8ELNS1_11target_archE1030ELNS1_3gpuE2ELNS1_3repE0EEENS1_30default_config_static_selectorELNS0_4arch9wavefront6targetE0EEEvT1_,"axG",@progbits,_ZN7rocprim17ROCPRIM_400000_NS6detail17trampoline_kernelINS0_14default_configENS1_25partition_config_selectorILNS1_17partition_subalgoE9EllbEEZZNS1_14partition_implILS5_9ELb0ES3_jPlS8_PNS0_10empty_typeENS0_5tupleIJS8_S9_EEENSB_IJS8_SA_EEENS0_18inequality_wrapperIZN2at6native12_GLOBAL__N_124unique_dim_cuda_templateIsEESt5tupleIJNSF_6TensorESK_SK_EERKSK_lbbbEUlllE0_EEPmJS9_EEE10hipError_tPvRmT3_T4_T5_T6_T7_T9_mT8_P12ihipStream_tbDpT10_ENKUlT_T0_E_clISt17integral_constantIbLb0EES1A_EEDaS15_S16_EUlS15_E_NS1_11comp_targetILNS1_3genE8ELNS1_11target_archE1030ELNS1_3gpuE2ELNS1_3repE0EEENS1_30default_config_static_selectorELNS0_4arch9wavefront6targetE0EEEvT1_,comdat
.Lfunc_end724:
	.size	_ZN7rocprim17ROCPRIM_400000_NS6detail17trampoline_kernelINS0_14default_configENS1_25partition_config_selectorILNS1_17partition_subalgoE9EllbEEZZNS1_14partition_implILS5_9ELb0ES3_jPlS8_PNS0_10empty_typeENS0_5tupleIJS8_S9_EEENSB_IJS8_SA_EEENS0_18inequality_wrapperIZN2at6native12_GLOBAL__N_124unique_dim_cuda_templateIsEESt5tupleIJNSF_6TensorESK_SK_EERKSK_lbbbEUlllE0_EEPmJS9_EEE10hipError_tPvRmT3_T4_T5_T6_T7_T9_mT8_P12ihipStream_tbDpT10_ENKUlT_T0_E_clISt17integral_constantIbLb0EES1A_EEDaS15_S16_EUlS15_E_NS1_11comp_targetILNS1_3genE8ELNS1_11target_archE1030ELNS1_3gpuE2ELNS1_3repE0EEENS1_30default_config_static_selectorELNS0_4arch9wavefront6targetE0EEEvT1_, .Lfunc_end724-_ZN7rocprim17ROCPRIM_400000_NS6detail17trampoline_kernelINS0_14default_configENS1_25partition_config_selectorILNS1_17partition_subalgoE9EllbEEZZNS1_14partition_implILS5_9ELb0ES3_jPlS8_PNS0_10empty_typeENS0_5tupleIJS8_S9_EEENSB_IJS8_SA_EEENS0_18inequality_wrapperIZN2at6native12_GLOBAL__N_124unique_dim_cuda_templateIsEESt5tupleIJNSF_6TensorESK_SK_EERKSK_lbbbEUlllE0_EEPmJS9_EEE10hipError_tPvRmT3_T4_T5_T6_T7_T9_mT8_P12ihipStream_tbDpT10_ENKUlT_T0_E_clISt17integral_constantIbLb0EES1A_EEDaS15_S16_EUlS15_E_NS1_11comp_targetILNS1_3genE8ELNS1_11target_archE1030ELNS1_3gpuE2ELNS1_3repE0EEENS1_30default_config_static_selectorELNS0_4arch9wavefront6targetE0EEEvT1_
                                        ; -- End function
	.set _ZN7rocprim17ROCPRIM_400000_NS6detail17trampoline_kernelINS0_14default_configENS1_25partition_config_selectorILNS1_17partition_subalgoE9EllbEEZZNS1_14partition_implILS5_9ELb0ES3_jPlS8_PNS0_10empty_typeENS0_5tupleIJS8_S9_EEENSB_IJS8_SA_EEENS0_18inequality_wrapperIZN2at6native12_GLOBAL__N_124unique_dim_cuda_templateIsEESt5tupleIJNSF_6TensorESK_SK_EERKSK_lbbbEUlllE0_EEPmJS9_EEE10hipError_tPvRmT3_T4_T5_T6_T7_T9_mT8_P12ihipStream_tbDpT10_ENKUlT_T0_E_clISt17integral_constantIbLb0EES1A_EEDaS15_S16_EUlS15_E_NS1_11comp_targetILNS1_3genE8ELNS1_11target_archE1030ELNS1_3gpuE2ELNS1_3repE0EEENS1_30default_config_static_selectorELNS0_4arch9wavefront6targetE0EEEvT1_.num_vgpr, 0
	.set _ZN7rocprim17ROCPRIM_400000_NS6detail17trampoline_kernelINS0_14default_configENS1_25partition_config_selectorILNS1_17partition_subalgoE9EllbEEZZNS1_14partition_implILS5_9ELb0ES3_jPlS8_PNS0_10empty_typeENS0_5tupleIJS8_S9_EEENSB_IJS8_SA_EEENS0_18inequality_wrapperIZN2at6native12_GLOBAL__N_124unique_dim_cuda_templateIsEESt5tupleIJNSF_6TensorESK_SK_EERKSK_lbbbEUlllE0_EEPmJS9_EEE10hipError_tPvRmT3_T4_T5_T6_T7_T9_mT8_P12ihipStream_tbDpT10_ENKUlT_T0_E_clISt17integral_constantIbLb0EES1A_EEDaS15_S16_EUlS15_E_NS1_11comp_targetILNS1_3genE8ELNS1_11target_archE1030ELNS1_3gpuE2ELNS1_3repE0EEENS1_30default_config_static_selectorELNS0_4arch9wavefront6targetE0EEEvT1_.num_agpr, 0
	.set _ZN7rocprim17ROCPRIM_400000_NS6detail17trampoline_kernelINS0_14default_configENS1_25partition_config_selectorILNS1_17partition_subalgoE9EllbEEZZNS1_14partition_implILS5_9ELb0ES3_jPlS8_PNS0_10empty_typeENS0_5tupleIJS8_S9_EEENSB_IJS8_SA_EEENS0_18inequality_wrapperIZN2at6native12_GLOBAL__N_124unique_dim_cuda_templateIsEESt5tupleIJNSF_6TensorESK_SK_EERKSK_lbbbEUlllE0_EEPmJS9_EEE10hipError_tPvRmT3_T4_T5_T6_T7_T9_mT8_P12ihipStream_tbDpT10_ENKUlT_T0_E_clISt17integral_constantIbLb0EES1A_EEDaS15_S16_EUlS15_E_NS1_11comp_targetILNS1_3genE8ELNS1_11target_archE1030ELNS1_3gpuE2ELNS1_3repE0EEENS1_30default_config_static_selectorELNS0_4arch9wavefront6targetE0EEEvT1_.numbered_sgpr, 0
	.set _ZN7rocprim17ROCPRIM_400000_NS6detail17trampoline_kernelINS0_14default_configENS1_25partition_config_selectorILNS1_17partition_subalgoE9EllbEEZZNS1_14partition_implILS5_9ELb0ES3_jPlS8_PNS0_10empty_typeENS0_5tupleIJS8_S9_EEENSB_IJS8_SA_EEENS0_18inequality_wrapperIZN2at6native12_GLOBAL__N_124unique_dim_cuda_templateIsEESt5tupleIJNSF_6TensorESK_SK_EERKSK_lbbbEUlllE0_EEPmJS9_EEE10hipError_tPvRmT3_T4_T5_T6_T7_T9_mT8_P12ihipStream_tbDpT10_ENKUlT_T0_E_clISt17integral_constantIbLb0EES1A_EEDaS15_S16_EUlS15_E_NS1_11comp_targetILNS1_3genE8ELNS1_11target_archE1030ELNS1_3gpuE2ELNS1_3repE0EEENS1_30default_config_static_selectorELNS0_4arch9wavefront6targetE0EEEvT1_.num_named_barrier, 0
	.set _ZN7rocprim17ROCPRIM_400000_NS6detail17trampoline_kernelINS0_14default_configENS1_25partition_config_selectorILNS1_17partition_subalgoE9EllbEEZZNS1_14partition_implILS5_9ELb0ES3_jPlS8_PNS0_10empty_typeENS0_5tupleIJS8_S9_EEENSB_IJS8_SA_EEENS0_18inequality_wrapperIZN2at6native12_GLOBAL__N_124unique_dim_cuda_templateIsEESt5tupleIJNSF_6TensorESK_SK_EERKSK_lbbbEUlllE0_EEPmJS9_EEE10hipError_tPvRmT3_T4_T5_T6_T7_T9_mT8_P12ihipStream_tbDpT10_ENKUlT_T0_E_clISt17integral_constantIbLb0EES1A_EEDaS15_S16_EUlS15_E_NS1_11comp_targetILNS1_3genE8ELNS1_11target_archE1030ELNS1_3gpuE2ELNS1_3repE0EEENS1_30default_config_static_selectorELNS0_4arch9wavefront6targetE0EEEvT1_.private_seg_size, 0
	.set _ZN7rocprim17ROCPRIM_400000_NS6detail17trampoline_kernelINS0_14default_configENS1_25partition_config_selectorILNS1_17partition_subalgoE9EllbEEZZNS1_14partition_implILS5_9ELb0ES3_jPlS8_PNS0_10empty_typeENS0_5tupleIJS8_S9_EEENSB_IJS8_SA_EEENS0_18inequality_wrapperIZN2at6native12_GLOBAL__N_124unique_dim_cuda_templateIsEESt5tupleIJNSF_6TensorESK_SK_EERKSK_lbbbEUlllE0_EEPmJS9_EEE10hipError_tPvRmT3_T4_T5_T6_T7_T9_mT8_P12ihipStream_tbDpT10_ENKUlT_T0_E_clISt17integral_constantIbLb0EES1A_EEDaS15_S16_EUlS15_E_NS1_11comp_targetILNS1_3genE8ELNS1_11target_archE1030ELNS1_3gpuE2ELNS1_3repE0EEENS1_30default_config_static_selectorELNS0_4arch9wavefront6targetE0EEEvT1_.uses_vcc, 0
	.set _ZN7rocprim17ROCPRIM_400000_NS6detail17trampoline_kernelINS0_14default_configENS1_25partition_config_selectorILNS1_17partition_subalgoE9EllbEEZZNS1_14partition_implILS5_9ELb0ES3_jPlS8_PNS0_10empty_typeENS0_5tupleIJS8_S9_EEENSB_IJS8_SA_EEENS0_18inequality_wrapperIZN2at6native12_GLOBAL__N_124unique_dim_cuda_templateIsEESt5tupleIJNSF_6TensorESK_SK_EERKSK_lbbbEUlllE0_EEPmJS9_EEE10hipError_tPvRmT3_T4_T5_T6_T7_T9_mT8_P12ihipStream_tbDpT10_ENKUlT_T0_E_clISt17integral_constantIbLb0EES1A_EEDaS15_S16_EUlS15_E_NS1_11comp_targetILNS1_3genE8ELNS1_11target_archE1030ELNS1_3gpuE2ELNS1_3repE0EEENS1_30default_config_static_selectorELNS0_4arch9wavefront6targetE0EEEvT1_.uses_flat_scratch, 0
	.set _ZN7rocprim17ROCPRIM_400000_NS6detail17trampoline_kernelINS0_14default_configENS1_25partition_config_selectorILNS1_17partition_subalgoE9EllbEEZZNS1_14partition_implILS5_9ELb0ES3_jPlS8_PNS0_10empty_typeENS0_5tupleIJS8_S9_EEENSB_IJS8_SA_EEENS0_18inequality_wrapperIZN2at6native12_GLOBAL__N_124unique_dim_cuda_templateIsEESt5tupleIJNSF_6TensorESK_SK_EERKSK_lbbbEUlllE0_EEPmJS9_EEE10hipError_tPvRmT3_T4_T5_T6_T7_T9_mT8_P12ihipStream_tbDpT10_ENKUlT_T0_E_clISt17integral_constantIbLb0EES1A_EEDaS15_S16_EUlS15_E_NS1_11comp_targetILNS1_3genE8ELNS1_11target_archE1030ELNS1_3gpuE2ELNS1_3repE0EEENS1_30default_config_static_selectorELNS0_4arch9wavefront6targetE0EEEvT1_.has_dyn_sized_stack, 0
	.set _ZN7rocprim17ROCPRIM_400000_NS6detail17trampoline_kernelINS0_14default_configENS1_25partition_config_selectorILNS1_17partition_subalgoE9EllbEEZZNS1_14partition_implILS5_9ELb0ES3_jPlS8_PNS0_10empty_typeENS0_5tupleIJS8_S9_EEENSB_IJS8_SA_EEENS0_18inequality_wrapperIZN2at6native12_GLOBAL__N_124unique_dim_cuda_templateIsEESt5tupleIJNSF_6TensorESK_SK_EERKSK_lbbbEUlllE0_EEPmJS9_EEE10hipError_tPvRmT3_T4_T5_T6_T7_T9_mT8_P12ihipStream_tbDpT10_ENKUlT_T0_E_clISt17integral_constantIbLb0EES1A_EEDaS15_S16_EUlS15_E_NS1_11comp_targetILNS1_3genE8ELNS1_11target_archE1030ELNS1_3gpuE2ELNS1_3repE0EEENS1_30default_config_static_selectorELNS0_4arch9wavefront6targetE0EEEvT1_.has_recursion, 0
	.set _ZN7rocprim17ROCPRIM_400000_NS6detail17trampoline_kernelINS0_14default_configENS1_25partition_config_selectorILNS1_17partition_subalgoE9EllbEEZZNS1_14partition_implILS5_9ELb0ES3_jPlS8_PNS0_10empty_typeENS0_5tupleIJS8_S9_EEENSB_IJS8_SA_EEENS0_18inequality_wrapperIZN2at6native12_GLOBAL__N_124unique_dim_cuda_templateIsEESt5tupleIJNSF_6TensorESK_SK_EERKSK_lbbbEUlllE0_EEPmJS9_EEE10hipError_tPvRmT3_T4_T5_T6_T7_T9_mT8_P12ihipStream_tbDpT10_ENKUlT_T0_E_clISt17integral_constantIbLb0EES1A_EEDaS15_S16_EUlS15_E_NS1_11comp_targetILNS1_3genE8ELNS1_11target_archE1030ELNS1_3gpuE2ELNS1_3repE0EEENS1_30default_config_static_selectorELNS0_4arch9wavefront6targetE0EEEvT1_.has_indirect_call, 0
	.section	.AMDGPU.csdata,"",@progbits
; Kernel info:
; codeLenInByte = 0
; TotalNumSgprs: 0
; NumVgprs: 0
; ScratchSize: 0
; MemoryBound: 0
; FloatMode: 240
; IeeeMode: 1
; LDSByteSize: 0 bytes/workgroup (compile time only)
; SGPRBlocks: 0
; VGPRBlocks: 0
; NumSGPRsForWavesPerEU: 1
; NumVGPRsForWavesPerEU: 1
; NamedBarCnt: 0
; Occupancy: 16
; WaveLimiterHint : 0
; COMPUTE_PGM_RSRC2:SCRATCH_EN: 0
; COMPUTE_PGM_RSRC2:USER_SGPR: 2
; COMPUTE_PGM_RSRC2:TRAP_HANDLER: 0
; COMPUTE_PGM_RSRC2:TGID_X_EN: 1
; COMPUTE_PGM_RSRC2:TGID_Y_EN: 0
; COMPUTE_PGM_RSRC2:TGID_Z_EN: 0
; COMPUTE_PGM_RSRC2:TIDIG_COMP_CNT: 0
	.section	.text._ZN7rocprim17ROCPRIM_400000_NS6detail17trampoline_kernelINS0_14default_configENS1_25partition_config_selectorILNS1_17partition_subalgoE9EllbEEZZNS1_14partition_implILS5_9ELb0ES3_jPlS8_PNS0_10empty_typeENS0_5tupleIJS8_S9_EEENSB_IJS8_SA_EEENS0_18inequality_wrapperIZN2at6native12_GLOBAL__N_124unique_dim_cuda_templateIsEESt5tupleIJNSF_6TensorESK_SK_EERKSK_lbbbEUlllE0_EEPmJS9_EEE10hipError_tPvRmT3_T4_T5_T6_T7_T9_mT8_P12ihipStream_tbDpT10_ENKUlT_T0_E_clISt17integral_constantIbLb1EES1A_EEDaS15_S16_EUlS15_E_NS1_11comp_targetILNS1_3genE0ELNS1_11target_archE4294967295ELNS1_3gpuE0ELNS1_3repE0EEENS1_30default_config_static_selectorELNS0_4arch9wavefront6targetE0EEEvT1_,"axG",@progbits,_ZN7rocprim17ROCPRIM_400000_NS6detail17trampoline_kernelINS0_14default_configENS1_25partition_config_selectorILNS1_17partition_subalgoE9EllbEEZZNS1_14partition_implILS5_9ELb0ES3_jPlS8_PNS0_10empty_typeENS0_5tupleIJS8_S9_EEENSB_IJS8_SA_EEENS0_18inequality_wrapperIZN2at6native12_GLOBAL__N_124unique_dim_cuda_templateIsEESt5tupleIJNSF_6TensorESK_SK_EERKSK_lbbbEUlllE0_EEPmJS9_EEE10hipError_tPvRmT3_T4_T5_T6_T7_T9_mT8_P12ihipStream_tbDpT10_ENKUlT_T0_E_clISt17integral_constantIbLb1EES1A_EEDaS15_S16_EUlS15_E_NS1_11comp_targetILNS1_3genE0ELNS1_11target_archE4294967295ELNS1_3gpuE0ELNS1_3repE0EEENS1_30default_config_static_selectorELNS0_4arch9wavefront6targetE0EEEvT1_,comdat
	.globl	_ZN7rocprim17ROCPRIM_400000_NS6detail17trampoline_kernelINS0_14default_configENS1_25partition_config_selectorILNS1_17partition_subalgoE9EllbEEZZNS1_14partition_implILS5_9ELb0ES3_jPlS8_PNS0_10empty_typeENS0_5tupleIJS8_S9_EEENSB_IJS8_SA_EEENS0_18inequality_wrapperIZN2at6native12_GLOBAL__N_124unique_dim_cuda_templateIsEESt5tupleIJNSF_6TensorESK_SK_EERKSK_lbbbEUlllE0_EEPmJS9_EEE10hipError_tPvRmT3_T4_T5_T6_T7_T9_mT8_P12ihipStream_tbDpT10_ENKUlT_T0_E_clISt17integral_constantIbLb1EES1A_EEDaS15_S16_EUlS15_E_NS1_11comp_targetILNS1_3genE0ELNS1_11target_archE4294967295ELNS1_3gpuE0ELNS1_3repE0EEENS1_30default_config_static_selectorELNS0_4arch9wavefront6targetE0EEEvT1_ ; -- Begin function _ZN7rocprim17ROCPRIM_400000_NS6detail17trampoline_kernelINS0_14default_configENS1_25partition_config_selectorILNS1_17partition_subalgoE9EllbEEZZNS1_14partition_implILS5_9ELb0ES3_jPlS8_PNS0_10empty_typeENS0_5tupleIJS8_S9_EEENSB_IJS8_SA_EEENS0_18inequality_wrapperIZN2at6native12_GLOBAL__N_124unique_dim_cuda_templateIsEESt5tupleIJNSF_6TensorESK_SK_EERKSK_lbbbEUlllE0_EEPmJS9_EEE10hipError_tPvRmT3_T4_T5_T6_T7_T9_mT8_P12ihipStream_tbDpT10_ENKUlT_T0_E_clISt17integral_constantIbLb1EES1A_EEDaS15_S16_EUlS15_E_NS1_11comp_targetILNS1_3genE0ELNS1_11target_archE4294967295ELNS1_3gpuE0ELNS1_3repE0EEENS1_30default_config_static_selectorELNS0_4arch9wavefront6targetE0EEEvT1_
	.p2align	8
	.type	_ZN7rocprim17ROCPRIM_400000_NS6detail17trampoline_kernelINS0_14default_configENS1_25partition_config_selectorILNS1_17partition_subalgoE9EllbEEZZNS1_14partition_implILS5_9ELb0ES3_jPlS8_PNS0_10empty_typeENS0_5tupleIJS8_S9_EEENSB_IJS8_SA_EEENS0_18inequality_wrapperIZN2at6native12_GLOBAL__N_124unique_dim_cuda_templateIsEESt5tupleIJNSF_6TensorESK_SK_EERKSK_lbbbEUlllE0_EEPmJS9_EEE10hipError_tPvRmT3_T4_T5_T6_T7_T9_mT8_P12ihipStream_tbDpT10_ENKUlT_T0_E_clISt17integral_constantIbLb1EES1A_EEDaS15_S16_EUlS15_E_NS1_11comp_targetILNS1_3genE0ELNS1_11target_archE4294967295ELNS1_3gpuE0ELNS1_3repE0EEENS1_30default_config_static_selectorELNS0_4arch9wavefront6targetE0EEEvT1_,@function
_ZN7rocprim17ROCPRIM_400000_NS6detail17trampoline_kernelINS0_14default_configENS1_25partition_config_selectorILNS1_17partition_subalgoE9EllbEEZZNS1_14partition_implILS5_9ELb0ES3_jPlS8_PNS0_10empty_typeENS0_5tupleIJS8_S9_EEENSB_IJS8_SA_EEENS0_18inequality_wrapperIZN2at6native12_GLOBAL__N_124unique_dim_cuda_templateIsEESt5tupleIJNSF_6TensorESK_SK_EERKSK_lbbbEUlllE0_EEPmJS9_EEE10hipError_tPvRmT3_T4_T5_T6_T7_T9_mT8_P12ihipStream_tbDpT10_ENKUlT_T0_E_clISt17integral_constantIbLb1EES1A_EEDaS15_S16_EUlS15_E_NS1_11comp_targetILNS1_3genE0ELNS1_11target_archE4294967295ELNS1_3gpuE0ELNS1_3repE0EEENS1_30default_config_static_selectorELNS0_4arch9wavefront6targetE0EEEvT1_: ; @_ZN7rocprim17ROCPRIM_400000_NS6detail17trampoline_kernelINS0_14default_configENS1_25partition_config_selectorILNS1_17partition_subalgoE9EllbEEZZNS1_14partition_implILS5_9ELb0ES3_jPlS8_PNS0_10empty_typeENS0_5tupleIJS8_S9_EEENSB_IJS8_SA_EEENS0_18inequality_wrapperIZN2at6native12_GLOBAL__N_124unique_dim_cuda_templateIsEESt5tupleIJNSF_6TensorESK_SK_EERKSK_lbbbEUlllE0_EEPmJS9_EEE10hipError_tPvRmT3_T4_T5_T6_T7_T9_mT8_P12ihipStream_tbDpT10_ENKUlT_T0_E_clISt17integral_constantIbLb1EES1A_EEDaS15_S16_EUlS15_E_NS1_11comp_targetILNS1_3genE0ELNS1_11target_archE4294967295ELNS1_3gpuE0ELNS1_3repE0EEENS1_30default_config_static_selectorELNS0_4arch9wavefront6targetE0EEEvT1_
; %bb.0:
	s_endpgm
	.section	.rodata,"a",@progbits
	.p2align	6, 0x0
	.amdhsa_kernel _ZN7rocprim17ROCPRIM_400000_NS6detail17trampoline_kernelINS0_14default_configENS1_25partition_config_selectorILNS1_17partition_subalgoE9EllbEEZZNS1_14partition_implILS5_9ELb0ES3_jPlS8_PNS0_10empty_typeENS0_5tupleIJS8_S9_EEENSB_IJS8_SA_EEENS0_18inequality_wrapperIZN2at6native12_GLOBAL__N_124unique_dim_cuda_templateIsEESt5tupleIJNSF_6TensorESK_SK_EERKSK_lbbbEUlllE0_EEPmJS9_EEE10hipError_tPvRmT3_T4_T5_T6_T7_T9_mT8_P12ihipStream_tbDpT10_ENKUlT_T0_E_clISt17integral_constantIbLb1EES1A_EEDaS15_S16_EUlS15_E_NS1_11comp_targetILNS1_3genE0ELNS1_11target_archE4294967295ELNS1_3gpuE0ELNS1_3repE0EEENS1_30default_config_static_selectorELNS0_4arch9wavefront6targetE0EEEvT1_
		.amdhsa_group_segment_fixed_size 0
		.amdhsa_private_segment_fixed_size 0
		.amdhsa_kernarg_size 136
		.amdhsa_user_sgpr_count 2
		.amdhsa_user_sgpr_dispatch_ptr 0
		.amdhsa_user_sgpr_queue_ptr 0
		.amdhsa_user_sgpr_kernarg_segment_ptr 1
		.amdhsa_user_sgpr_dispatch_id 0
		.amdhsa_user_sgpr_kernarg_preload_length 0
		.amdhsa_user_sgpr_kernarg_preload_offset 0
		.amdhsa_user_sgpr_private_segment_size 0
		.amdhsa_wavefront_size32 1
		.amdhsa_uses_dynamic_stack 0
		.amdhsa_enable_private_segment 0
		.amdhsa_system_sgpr_workgroup_id_x 1
		.amdhsa_system_sgpr_workgroup_id_y 0
		.amdhsa_system_sgpr_workgroup_id_z 0
		.amdhsa_system_sgpr_workgroup_info 0
		.amdhsa_system_vgpr_workitem_id 0
		.amdhsa_next_free_vgpr 1
		.amdhsa_next_free_sgpr 1
		.amdhsa_named_barrier_count 0
		.amdhsa_reserve_vcc 0
		.amdhsa_float_round_mode_32 0
		.amdhsa_float_round_mode_16_64 0
		.amdhsa_float_denorm_mode_32 3
		.amdhsa_float_denorm_mode_16_64 3
		.amdhsa_fp16_overflow 0
		.amdhsa_memory_ordered 1
		.amdhsa_forward_progress 1
		.amdhsa_inst_pref_size 1
		.amdhsa_round_robin_scheduling 0
		.amdhsa_exception_fp_ieee_invalid_op 0
		.amdhsa_exception_fp_denorm_src 0
		.amdhsa_exception_fp_ieee_div_zero 0
		.amdhsa_exception_fp_ieee_overflow 0
		.amdhsa_exception_fp_ieee_underflow 0
		.amdhsa_exception_fp_ieee_inexact 0
		.amdhsa_exception_int_div_zero 0
	.end_amdhsa_kernel
	.section	.text._ZN7rocprim17ROCPRIM_400000_NS6detail17trampoline_kernelINS0_14default_configENS1_25partition_config_selectorILNS1_17partition_subalgoE9EllbEEZZNS1_14partition_implILS5_9ELb0ES3_jPlS8_PNS0_10empty_typeENS0_5tupleIJS8_S9_EEENSB_IJS8_SA_EEENS0_18inequality_wrapperIZN2at6native12_GLOBAL__N_124unique_dim_cuda_templateIsEESt5tupleIJNSF_6TensorESK_SK_EERKSK_lbbbEUlllE0_EEPmJS9_EEE10hipError_tPvRmT3_T4_T5_T6_T7_T9_mT8_P12ihipStream_tbDpT10_ENKUlT_T0_E_clISt17integral_constantIbLb1EES1A_EEDaS15_S16_EUlS15_E_NS1_11comp_targetILNS1_3genE0ELNS1_11target_archE4294967295ELNS1_3gpuE0ELNS1_3repE0EEENS1_30default_config_static_selectorELNS0_4arch9wavefront6targetE0EEEvT1_,"axG",@progbits,_ZN7rocprim17ROCPRIM_400000_NS6detail17trampoline_kernelINS0_14default_configENS1_25partition_config_selectorILNS1_17partition_subalgoE9EllbEEZZNS1_14partition_implILS5_9ELb0ES3_jPlS8_PNS0_10empty_typeENS0_5tupleIJS8_S9_EEENSB_IJS8_SA_EEENS0_18inequality_wrapperIZN2at6native12_GLOBAL__N_124unique_dim_cuda_templateIsEESt5tupleIJNSF_6TensorESK_SK_EERKSK_lbbbEUlllE0_EEPmJS9_EEE10hipError_tPvRmT3_T4_T5_T6_T7_T9_mT8_P12ihipStream_tbDpT10_ENKUlT_T0_E_clISt17integral_constantIbLb1EES1A_EEDaS15_S16_EUlS15_E_NS1_11comp_targetILNS1_3genE0ELNS1_11target_archE4294967295ELNS1_3gpuE0ELNS1_3repE0EEENS1_30default_config_static_selectorELNS0_4arch9wavefront6targetE0EEEvT1_,comdat
.Lfunc_end725:
	.size	_ZN7rocprim17ROCPRIM_400000_NS6detail17trampoline_kernelINS0_14default_configENS1_25partition_config_selectorILNS1_17partition_subalgoE9EllbEEZZNS1_14partition_implILS5_9ELb0ES3_jPlS8_PNS0_10empty_typeENS0_5tupleIJS8_S9_EEENSB_IJS8_SA_EEENS0_18inequality_wrapperIZN2at6native12_GLOBAL__N_124unique_dim_cuda_templateIsEESt5tupleIJNSF_6TensorESK_SK_EERKSK_lbbbEUlllE0_EEPmJS9_EEE10hipError_tPvRmT3_T4_T5_T6_T7_T9_mT8_P12ihipStream_tbDpT10_ENKUlT_T0_E_clISt17integral_constantIbLb1EES1A_EEDaS15_S16_EUlS15_E_NS1_11comp_targetILNS1_3genE0ELNS1_11target_archE4294967295ELNS1_3gpuE0ELNS1_3repE0EEENS1_30default_config_static_selectorELNS0_4arch9wavefront6targetE0EEEvT1_, .Lfunc_end725-_ZN7rocprim17ROCPRIM_400000_NS6detail17trampoline_kernelINS0_14default_configENS1_25partition_config_selectorILNS1_17partition_subalgoE9EllbEEZZNS1_14partition_implILS5_9ELb0ES3_jPlS8_PNS0_10empty_typeENS0_5tupleIJS8_S9_EEENSB_IJS8_SA_EEENS0_18inequality_wrapperIZN2at6native12_GLOBAL__N_124unique_dim_cuda_templateIsEESt5tupleIJNSF_6TensorESK_SK_EERKSK_lbbbEUlllE0_EEPmJS9_EEE10hipError_tPvRmT3_T4_T5_T6_T7_T9_mT8_P12ihipStream_tbDpT10_ENKUlT_T0_E_clISt17integral_constantIbLb1EES1A_EEDaS15_S16_EUlS15_E_NS1_11comp_targetILNS1_3genE0ELNS1_11target_archE4294967295ELNS1_3gpuE0ELNS1_3repE0EEENS1_30default_config_static_selectorELNS0_4arch9wavefront6targetE0EEEvT1_
                                        ; -- End function
	.set _ZN7rocprim17ROCPRIM_400000_NS6detail17trampoline_kernelINS0_14default_configENS1_25partition_config_selectorILNS1_17partition_subalgoE9EllbEEZZNS1_14partition_implILS5_9ELb0ES3_jPlS8_PNS0_10empty_typeENS0_5tupleIJS8_S9_EEENSB_IJS8_SA_EEENS0_18inequality_wrapperIZN2at6native12_GLOBAL__N_124unique_dim_cuda_templateIsEESt5tupleIJNSF_6TensorESK_SK_EERKSK_lbbbEUlllE0_EEPmJS9_EEE10hipError_tPvRmT3_T4_T5_T6_T7_T9_mT8_P12ihipStream_tbDpT10_ENKUlT_T0_E_clISt17integral_constantIbLb1EES1A_EEDaS15_S16_EUlS15_E_NS1_11comp_targetILNS1_3genE0ELNS1_11target_archE4294967295ELNS1_3gpuE0ELNS1_3repE0EEENS1_30default_config_static_selectorELNS0_4arch9wavefront6targetE0EEEvT1_.num_vgpr, 0
	.set _ZN7rocprim17ROCPRIM_400000_NS6detail17trampoline_kernelINS0_14default_configENS1_25partition_config_selectorILNS1_17partition_subalgoE9EllbEEZZNS1_14partition_implILS5_9ELb0ES3_jPlS8_PNS0_10empty_typeENS0_5tupleIJS8_S9_EEENSB_IJS8_SA_EEENS0_18inequality_wrapperIZN2at6native12_GLOBAL__N_124unique_dim_cuda_templateIsEESt5tupleIJNSF_6TensorESK_SK_EERKSK_lbbbEUlllE0_EEPmJS9_EEE10hipError_tPvRmT3_T4_T5_T6_T7_T9_mT8_P12ihipStream_tbDpT10_ENKUlT_T0_E_clISt17integral_constantIbLb1EES1A_EEDaS15_S16_EUlS15_E_NS1_11comp_targetILNS1_3genE0ELNS1_11target_archE4294967295ELNS1_3gpuE0ELNS1_3repE0EEENS1_30default_config_static_selectorELNS0_4arch9wavefront6targetE0EEEvT1_.num_agpr, 0
	.set _ZN7rocprim17ROCPRIM_400000_NS6detail17trampoline_kernelINS0_14default_configENS1_25partition_config_selectorILNS1_17partition_subalgoE9EllbEEZZNS1_14partition_implILS5_9ELb0ES3_jPlS8_PNS0_10empty_typeENS0_5tupleIJS8_S9_EEENSB_IJS8_SA_EEENS0_18inequality_wrapperIZN2at6native12_GLOBAL__N_124unique_dim_cuda_templateIsEESt5tupleIJNSF_6TensorESK_SK_EERKSK_lbbbEUlllE0_EEPmJS9_EEE10hipError_tPvRmT3_T4_T5_T6_T7_T9_mT8_P12ihipStream_tbDpT10_ENKUlT_T0_E_clISt17integral_constantIbLb1EES1A_EEDaS15_S16_EUlS15_E_NS1_11comp_targetILNS1_3genE0ELNS1_11target_archE4294967295ELNS1_3gpuE0ELNS1_3repE0EEENS1_30default_config_static_selectorELNS0_4arch9wavefront6targetE0EEEvT1_.numbered_sgpr, 0
	.set _ZN7rocprim17ROCPRIM_400000_NS6detail17trampoline_kernelINS0_14default_configENS1_25partition_config_selectorILNS1_17partition_subalgoE9EllbEEZZNS1_14partition_implILS5_9ELb0ES3_jPlS8_PNS0_10empty_typeENS0_5tupleIJS8_S9_EEENSB_IJS8_SA_EEENS0_18inequality_wrapperIZN2at6native12_GLOBAL__N_124unique_dim_cuda_templateIsEESt5tupleIJNSF_6TensorESK_SK_EERKSK_lbbbEUlllE0_EEPmJS9_EEE10hipError_tPvRmT3_T4_T5_T6_T7_T9_mT8_P12ihipStream_tbDpT10_ENKUlT_T0_E_clISt17integral_constantIbLb1EES1A_EEDaS15_S16_EUlS15_E_NS1_11comp_targetILNS1_3genE0ELNS1_11target_archE4294967295ELNS1_3gpuE0ELNS1_3repE0EEENS1_30default_config_static_selectorELNS0_4arch9wavefront6targetE0EEEvT1_.num_named_barrier, 0
	.set _ZN7rocprim17ROCPRIM_400000_NS6detail17trampoline_kernelINS0_14default_configENS1_25partition_config_selectorILNS1_17partition_subalgoE9EllbEEZZNS1_14partition_implILS5_9ELb0ES3_jPlS8_PNS0_10empty_typeENS0_5tupleIJS8_S9_EEENSB_IJS8_SA_EEENS0_18inequality_wrapperIZN2at6native12_GLOBAL__N_124unique_dim_cuda_templateIsEESt5tupleIJNSF_6TensorESK_SK_EERKSK_lbbbEUlllE0_EEPmJS9_EEE10hipError_tPvRmT3_T4_T5_T6_T7_T9_mT8_P12ihipStream_tbDpT10_ENKUlT_T0_E_clISt17integral_constantIbLb1EES1A_EEDaS15_S16_EUlS15_E_NS1_11comp_targetILNS1_3genE0ELNS1_11target_archE4294967295ELNS1_3gpuE0ELNS1_3repE0EEENS1_30default_config_static_selectorELNS0_4arch9wavefront6targetE0EEEvT1_.private_seg_size, 0
	.set _ZN7rocprim17ROCPRIM_400000_NS6detail17trampoline_kernelINS0_14default_configENS1_25partition_config_selectorILNS1_17partition_subalgoE9EllbEEZZNS1_14partition_implILS5_9ELb0ES3_jPlS8_PNS0_10empty_typeENS0_5tupleIJS8_S9_EEENSB_IJS8_SA_EEENS0_18inequality_wrapperIZN2at6native12_GLOBAL__N_124unique_dim_cuda_templateIsEESt5tupleIJNSF_6TensorESK_SK_EERKSK_lbbbEUlllE0_EEPmJS9_EEE10hipError_tPvRmT3_T4_T5_T6_T7_T9_mT8_P12ihipStream_tbDpT10_ENKUlT_T0_E_clISt17integral_constantIbLb1EES1A_EEDaS15_S16_EUlS15_E_NS1_11comp_targetILNS1_3genE0ELNS1_11target_archE4294967295ELNS1_3gpuE0ELNS1_3repE0EEENS1_30default_config_static_selectorELNS0_4arch9wavefront6targetE0EEEvT1_.uses_vcc, 0
	.set _ZN7rocprim17ROCPRIM_400000_NS6detail17trampoline_kernelINS0_14default_configENS1_25partition_config_selectorILNS1_17partition_subalgoE9EllbEEZZNS1_14partition_implILS5_9ELb0ES3_jPlS8_PNS0_10empty_typeENS0_5tupleIJS8_S9_EEENSB_IJS8_SA_EEENS0_18inequality_wrapperIZN2at6native12_GLOBAL__N_124unique_dim_cuda_templateIsEESt5tupleIJNSF_6TensorESK_SK_EERKSK_lbbbEUlllE0_EEPmJS9_EEE10hipError_tPvRmT3_T4_T5_T6_T7_T9_mT8_P12ihipStream_tbDpT10_ENKUlT_T0_E_clISt17integral_constantIbLb1EES1A_EEDaS15_S16_EUlS15_E_NS1_11comp_targetILNS1_3genE0ELNS1_11target_archE4294967295ELNS1_3gpuE0ELNS1_3repE0EEENS1_30default_config_static_selectorELNS0_4arch9wavefront6targetE0EEEvT1_.uses_flat_scratch, 0
	.set _ZN7rocprim17ROCPRIM_400000_NS6detail17trampoline_kernelINS0_14default_configENS1_25partition_config_selectorILNS1_17partition_subalgoE9EllbEEZZNS1_14partition_implILS5_9ELb0ES3_jPlS8_PNS0_10empty_typeENS0_5tupleIJS8_S9_EEENSB_IJS8_SA_EEENS0_18inequality_wrapperIZN2at6native12_GLOBAL__N_124unique_dim_cuda_templateIsEESt5tupleIJNSF_6TensorESK_SK_EERKSK_lbbbEUlllE0_EEPmJS9_EEE10hipError_tPvRmT3_T4_T5_T6_T7_T9_mT8_P12ihipStream_tbDpT10_ENKUlT_T0_E_clISt17integral_constantIbLb1EES1A_EEDaS15_S16_EUlS15_E_NS1_11comp_targetILNS1_3genE0ELNS1_11target_archE4294967295ELNS1_3gpuE0ELNS1_3repE0EEENS1_30default_config_static_selectorELNS0_4arch9wavefront6targetE0EEEvT1_.has_dyn_sized_stack, 0
	.set _ZN7rocprim17ROCPRIM_400000_NS6detail17trampoline_kernelINS0_14default_configENS1_25partition_config_selectorILNS1_17partition_subalgoE9EllbEEZZNS1_14partition_implILS5_9ELb0ES3_jPlS8_PNS0_10empty_typeENS0_5tupleIJS8_S9_EEENSB_IJS8_SA_EEENS0_18inequality_wrapperIZN2at6native12_GLOBAL__N_124unique_dim_cuda_templateIsEESt5tupleIJNSF_6TensorESK_SK_EERKSK_lbbbEUlllE0_EEPmJS9_EEE10hipError_tPvRmT3_T4_T5_T6_T7_T9_mT8_P12ihipStream_tbDpT10_ENKUlT_T0_E_clISt17integral_constantIbLb1EES1A_EEDaS15_S16_EUlS15_E_NS1_11comp_targetILNS1_3genE0ELNS1_11target_archE4294967295ELNS1_3gpuE0ELNS1_3repE0EEENS1_30default_config_static_selectorELNS0_4arch9wavefront6targetE0EEEvT1_.has_recursion, 0
	.set _ZN7rocprim17ROCPRIM_400000_NS6detail17trampoline_kernelINS0_14default_configENS1_25partition_config_selectorILNS1_17partition_subalgoE9EllbEEZZNS1_14partition_implILS5_9ELb0ES3_jPlS8_PNS0_10empty_typeENS0_5tupleIJS8_S9_EEENSB_IJS8_SA_EEENS0_18inequality_wrapperIZN2at6native12_GLOBAL__N_124unique_dim_cuda_templateIsEESt5tupleIJNSF_6TensorESK_SK_EERKSK_lbbbEUlllE0_EEPmJS9_EEE10hipError_tPvRmT3_T4_T5_T6_T7_T9_mT8_P12ihipStream_tbDpT10_ENKUlT_T0_E_clISt17integral_constantIbLb1EES1A_EEDaS15_S16_EUlS15_E_NS1_11comp_targetILNS1_3genE0ELNS1_11target_archE4294967295ELNS1_3gpuE0ELNS1_3repE0EEENS1_30default_config_static_selectorELNS0_4arch9wavefront6targetE0EEEvT1_.has_indirect_call, 0
	.section	.AMDGPU.csdata,"",@progbits
; Kernel info:
; codeLenInByte = 4
; TotalNumSgprs: 0
; NumVgprs: 0
; ScratchSize: 0
; MemoryBound: 0
; FloatMode: 240
; IeeeMode: 1
; LDSByteSize: 0 bytes/workgroup (compile time only)
; SGPRBlocks: 0
; VGPRBlocks: 0
; NumSGPRsForWavesPerEU: 1
; NumVGPRsForWavesPerEU: 1
; NamedBarCnt: 0
; Occupancy: 16
; WaveLimiterHint : 0
; COMPUTE_PGM_RSRC2:SCRATCH_EN: 0
; COMPUTE_PGM_RSRC2:USER_SGPR: 2
; COMPUTE_PGM_RSRC2:TRAP_HANDLER: 0
; COMPUTE_PGM_RSRC2:TGID_X_EN: 1
; COMPUTE_PGM_RSRC2:TGID_Y_EN: 0
; COMPUTE_PGM_RSRC2:TGID_Z_EN: 0
; COMPUTE_PGM_RSRC2:TIDIG_COMP_CNT: 0
	.section	.text._ZN7rocprim17ROCPRIM_400000_NS6detail17trampoline_kernelINS0_14default_configENS1_25partition_config_selectorILNS1_17partition_subalgoE9EllbEEZZNS1_14partition_implILS5_9ELb0ES3_jPlS8_PNS0_10empty_typeENS0_5tupleIJS8_S9_EEENSB_IJS8_SA_EEENS0_18inequality_wrapperIZN2at6native12_GLOBAL__N_124unique_dim_cuda_templateIsEESt5tupleIJNSF_6TensorESK_SK_EERKSK_lbbbEUlllE0_EEPmJS9_EEE10hipError_tPvRmT3_T4_T5_T6_T7_T9_mT8_P12ihipStream_tbDpT10_ENKUlT_T0_E_clISt17integral_constantIbLb1EES1A_EEDaS15_S16_EUlS15_E_NS1_11comp_targetILNS1_3genE5ELNS1_11target_archE942ELNS1_3gpuE9ELNS1_3repE0EEENS1_30default_config_static_selectorELNS0_4arch9wavefront6targetE0EEEvT1_,"axG",@progbits,_ZN7rocprim17ROCPRIM_400000_NS6detail17trampoline_kernelINS0_14default_configENS1_25partition_config_selectorILNS1_17partition_subalgoE9EllbEEZZNS1_14partition_implILS5_9ELb0ES3_jPlS8_PNS0_10empty_typeENS0_5tupleIJS8_S9_EEENSB_IJS8_SA_EEENS0_18inequality_wrapperIZN2at6native12_GLOBAL__N_124unique_dim_cuda_templateIsEESt5tupleIJNSF_6TensorESK_SK_EERKSK_lbbbEUlllE0_EEPmJS9_EEE10hipError_tPvRmT3_T4_T5_T6_T7_T9_mT8_P12ihipStream_tbDpT10_ENKUlT_T0_E_clISt17integral_constantIbLb1EES1A_EEDaS15_S16_EUlS15_E_NS1_11comp_targetILNS1_3genE5ELNS1_11target_archE942ELNS1_3gpuE9ELNS1_3repE0EEENS1_30default_config_static_selectorELNS0_4arch9wavefront6targetE0EEEvT1_,comdat
	.globl	_ZN7rocprim17ROCPRIM_400000_NS6detail17trampoline_kernelINS0_14default_configENS1_25partition_config_selectorILNS1_17partition_subalgoE9EllbEEZZNS1_14partition_implILS5_9ELb0ES3_jPlS8_PNS0_10empty_typeENS0_5tupleIJS8_S9_EEENSB_IJS8_SA_EEENS0_18inequality_wrapperIZN2at6native12_GLOBAL__N_124unique_dim_cuda_templateIsEESt5tupleIJNSF_6TensorESK_SK_EERKSK_lbbbEUlllE0_EEPmJS9_EEE10hipError_tPvRmT3_T4_T5_T6_T7_T9_mT8_P12ihipStream_tbDpT10_ENKUlT_T0_E_clISt17integral_constantIbLb1EES1A_EEDaS15_S16_EUlS15_E_NS1_11comp_targetILNS1_3genE5ELNS1_11target_archE942ELNS1_3gpuE9ELNS1_3repE0EEENS1_30default_config_static_selectorELNS0_4arch9wavefront6targetE0EEEvT1_ ; -- Begin function _ZN7rocprim17ROCPRIM_400000_NS6detail17trampoline_kernelINS0_14default_configENS1_25partition_config_selectorILNS1_17partition_subalgoE9EllbEEZZNS1_14partition_implILS5_9ELb0ES3_jPlS8_PNS0_10empty_typeENS0_5tupleIJS8_S9_EEENSB_IJS8_SA_EEENS0_18inequality_wrapperIZN2at6native12_GLOBAL__N_124unique_dim_cuda_templateIsEESt5tupleIJNSF_6TensorESK_SK_EERKSK_lbbbEUlllE0_EEPmJS9_EEE10hipError_tPvRmT3_T4_T5_T6_T7_T9_mT8_P12ihipStream_tbDpT10_ENKUlT_T0_E_clISt17integral_constantIbLb1EES1A_EEDaS15_S16_EUlS15_E_NS1_11comp_targetILNS1_3genE5ELNS1_11target_archE942ELNS1_3gpuE9ELNS1_3repE0EEENS1_30default_config_static_selectorELNS0_4arch9wavefront6targetE0EEEvT1_
	.p2align	8
	.type	_ZN7rocprim17ROCPRIM_400000_NS6detail17trampoline_kernelINS0_14default_configENS1_25partition_config_selectorILNS1_17partition_subalgoE9EllbEEZZNS1_14partition_implILS5_9ELb0ES3_jPlS8_PNS0_10empty_typeENS0_5tupleIJS8_S9_EEENSB_IJS8_SA_EEENS0_18inequality_wrapperIZN2at6native12_GLOBAL__N_124unique_dim_cuda_templateIsEESt5tupleIJNSF_6TensorESK_SK_EERKSK_lbbbEUlllE0_EEPmJS9_EEE10hipError_tPvRmT3_T4_T5_T6_T7_T9_mT8_P12ihipStream_tbDpT10_ENKUlT_T0_E_clISt17integral_constantIbLb1EES1A_EEDaS15_S16_EUlS15_E_NS1_11comp_targetILNS1_3genE5ELNS1_11target_archE942ELNS1_3gpuE9ELNS1_3repE0EEENS1_30default_config_static_selectorELNS0_4arch9wavefront6targetE0EEEvT1_,@function
_ZN7rocprim17ROCPRIM_400000_NS6detail17trampoline_kernelINS0_14default_configENS1_25partition_config_selectorILNS1_17partition_subalgoE9EllbEEZZNS1_14partition_implILS5_9ELb0ES3_jPlS8_PNS0_10empty_typeENS0_5tupleIJS8_S9_EEENSB_IJS8_SA_EEENS0_18inequality_wrapperIZN2at6native12_GLOBAL__N_124unique_dim_cuda_templateIsEESt5tupleIJNSF_6TensorESK_SK_EERKSK_lbbbEUlllE0_EEPmJS9_EEE10hipError_tPvRmT3_T4_T5_T6_T7_T9_mT8_P12ihipStream_tbDpT10_ENKUlT_T0_E_clISt17integral_constantIbLb1EES1A_EEDaS15_S16_EUlS15_E_NS1_11comp_targetILNS1_3genE5ELNS1_11target_archE942ELNS1_3gpuE9ELNS1_3repE0EEENS1_30default_config_static_selectorELNS0_4arch9wavefront6targetE0EEEvT1_: ; @_ZN7rocprim17ROCPRIM_400000_NS6detail17trampoline_kernelINS0_14default_configENS1_25partition_config_selectorILNS1_17partition_subalgoE9EllbEEZZNS1_14partition_implILS5_9ELb0ES3_jPlS8_PNS0_10empty_typeENS0_5tupleIJS8_S9_EEENSB_IJS8_SA_EEENS0_18inequality_wrapperIZN2at6native12_GLOBAL__N_124unique_dim_cuda_templateIsEESt5tupleIJNSF_6TensorESK_SK_EERKSK_lbbbEUlllE0_EEPmJS9_EEE10hipError_tPvRmT3_T4_T5_T6_T7_T9_mT8_P12ihipStream_tbDpT10_ENKUlT_T0_E_clISt17integral_constantIbLb1EES1A_EEDaS15_S16_EUlS15_E_NS1_11comp_targetILNS1_3genE5ELNS1_11target_archE942ELNS1_3gpuE9ELNS1_3repE0EEENS1_30default_config_static_selectorELNS0_4arch9wavefront6targetE0EEEvT1_
; %bb.0:
	.section	.rodata,"a",@progbits
	.p2align	6, 0x0
	.amdhsa_kernel _ZN7rocprim17ROCPRIM_400000_NS6detail17trampoline_kernelINS0_14default_configENS1_25partition_config_selectorILNS1_17partition_subalgoE9EllbEEZZNS1_14partition_implILS5_9ELb0ES3_jPlS8_PNS0_10empty_typeENS0_5tupleIJS8_S9_EEENSB_IJS8_SA_EEENS0_18inequality_wrapperIZN2at6native12_GLOBAL__N_124unique_dim_cuda_templateIsEESt5tupleIJNSF_6TensorESK_SK_EERKSK_lbbbEUlllE0_EEPmJS9_EEE10hipError_tPvRmT3_T4_T5_T6_T7_T9_mT8_P12ihipStream_tbDpT10_ENKUlT_T0_E_clISt17integral_constantIbLb1EES1A_EEDaS15_S16_EUlS15_E_NS1_11comp_targetILNS1_3genE5ELNS1_11target_archE942ELNS1_3gpuE9ELNS1_3repE0EEENS1_30default_config_static_selectorELNS0_4arch9wavefront6targetE0EEEvT1_
		.amdhsa_group_segment_fixed_size 0
		.amdhsa_private_segment_fixed_size 0
		.amdhsa_kernarg_size 136
		.amdhsa_user_sgpr_count 2
		.amdhsa_user_sgpr_dispatch_ptr 0
		.amdhsa_user_sgpr_queue_ptr 0
		.amdhsa_user_sgpr_kernarg_segment_ptr 1
		.amdhsa_user_sgpr_dispatch_id 0
		.amdhsa_user_sgpr_kernarg_preload_length 0
		.amdhsa_user_sgpr_kernarg_preload_offset 0
		.amdhsa_user_sgpr_private_segment_size 0
		.amdhsa_wavefront_size32 1
		.amdhsa_uses_dynamic_stack 0
		.amdhsa_enable_private_segment 0
		.amdhsa_system_sgpr_workgroup_id_x 1
		.amdhsa_system_sgpr_workgroup_id_y 0
		.amdhsa_system_sgpr_workgroup_id_z 0
		.amdhsa_system_sgpr_workgroup_info 0
		.amdhsa_system_vgpr_workitem_id 0
		.amdhsa_next_free_vgpr 1
		.amdhsa_next_free_sgpr 1
		.amdhsa_named_barrier_count 0
		.amdhsa_reserve_vcc 0
		.amdhsa_float_round_mode_32 0
		.amdhsa_float_round_mode_16_64 0
		.amdhsa_float_denorm_mode_32 3
		.amdhsa_float_denorm_mode_16_64 3
		.amdhsa_fp16_overflow 0
		.amdhsa_memory_ordered 1
		.amdhsa_forward_progress 1
		.amdhsa_inst_pref_size 0
		.amdhsa_round_robin_scheduling 0
		.amdhsa_exception_fp_ieee_invalid_op 0
		.amdhsa_exception_fp_denorm_src 0
		.amdhsa_exception_fp_ieee_div_zero 0
		.amdhsa_exception_fp_ieee_overflow 0
		.amdhsa_exception_fp_ieee_underflow 0
		.amdhsa_exception_fp_ieee_inexact 0
		.amdhsa_exception_int_div_zero 0
	.end_amdhsa_kernel
	.section	.text._ZN7rocprim17ROCPRIM_400000_NS6detail17trampoline_kernelINS0_14default_configENS1_25partition_config_selectorILNS1_17partition_subalgoE9EllbEEZZNS1_14partition_implILS5_9ELb0ES3_jPlS8_PNS0_10empty_typeENS0_5tupleIJS8_S9_EEENSB_IJS8_SA_EEENS0_18inequality_wrapperIZN2at6native12_GLOBAL__N_124unique_dim_cuda_templateIsEESt5tupleIJNSF_6TensorESK_SK_EERKSK_lbbbEUlllE0_EEPmJS9_EEE10hipError_tPvRmT3_T4_T5_T6_T7_T9_mT8_P12ihipStream_tbDpT10_ENKUlT_T0_E_clISt17integral_constantIbLb1EES1A_EEDaS15_S16_EUlS15_E_NS1_11comp_targetILNS1_3genE5ELNS1_11target_archE942ELNS1_3gpuE9ELNS1_3repE0EEENS1_30default_config_static_selectorELNS0_4arch9wavefront6targetE0EEEvT1_,"axG",@progbits,_ZN7rocprim17ROCPRIM_400000_NS6detail17trampoline_kernelINS0_14default_configENS1_25partition_config_selectorILNS1_17partition_subalgoE9EllbEEZZNS1_14partition_implILS5_9ELb0ES3_jPlS8_PNS0_10empty_typeENS0_5tupleIJS8_S9_EEENSB_IJS8_SA_EEENS0_18inequality_wrapperIZN2at6native12_GLOBAL__N_124unique_dim_cuda_templateIsEESt5tupleIJNSF_6TensorESK_SK_EERKSK_lbbbEUlllE0_EEPmJS9_EEE10hipError_tPvRmT3_T4_T5_T6_T7_T9_mT8_P12ihipStream_tbDpT10_ENKUlT_T0_E_clISt17integral_constantIbLb1EES1A_EEDaS15_S16_EUlS15_E_NS1_11comp_targetILNS1_3genE5ELNS1_11target_archE942ELNS1_3gpuE9ELNS1_3repE0EEENS1_30default_config_static_selectorELNS0_4arch9wavefront6targetE0EEEvT1_,comdat
.Lfunc_end726:
	.size	_ZN7rocprim17ROCPRIM_400000_NS6detail17trampoline_kernelINS0_14default_configENS1_25partition_config_selectorILNS1_17partition_subalgoE9EllbEEZZNS1_14partition_implILS5_9ELb0ES3_jPlS8_PNS0_10empty_typeENS0_5tupleIJS8_S9_EEENSB_IJS8_SA_EEENS0_18inequality_wrapperIZN2at6native12_GLOBAL__N_124unique_dim_cuda_templateIsEESt5tupleIJNSF_6TensorESK_SK_EERKSK_lbbbEUlllE0_EEPmJS9_EEE10hipError_tPvRmT3_T4_T5_T6_T7_T9_mT8_P12ihipStream_tbDpT10_ENKUlT_T0_E_clISt17integral_constantIbLb1EES1A_EEDaS15_S16_EUlS15_E_NS1_11comp_targetILNS1_3genE5ELNS1_11target_archE942ELNS1_3gpuE9ELNS1_3repE0EEENS1_30default_config_static_selectorELNS0_4arch9wavefront6targetE0EEEvT1_, .Lfunc_end726-_ZN7rocprim17ROCPRIM_400000_NS6detail17trampoline_kernelINS0_14default_configENS1_25partition_config_selectorILNS1_17partition_subalgoE9EllbEEZZNS1_14partition_implILS5_9ELb0ES3_jPlS8_PNS0_10empty_typeENS0_5tupleIJS8_S9_EEENSB_IJS8_SA_EEENS0_18inequality_wrapperIZN2at6native12_GLOBAL__N_124unique_dim_cuda_templateIsEESt5tupleIJNSF_6TensorESK_SK_EERKSK_lbbbEUlllE0_EEPmJS9_EEE10hipError_tPvRmT3_T4_T5_T6_T7_T9_mT8_P12ihipStream_tbDpT10_ENKUlT_T0_E_clISt17integral_constantIbLb1EES1A_EEDaS15_S16_EUlS15_E_NS1_11comp_targetILNS1_3genE5ELNS1_11target_archE942ELNS1_3gpuE9ELNS1_3repE0EEENS1_30default_config_static_selectorELNS0_4arch9wavefront6targetE0EEEvT1_
                                        ; -- End function
	.set _ZN7rocprim17ROCPRIM_400000_NS6detail17trampoline_kernelINS0_14default_configENS1_25partition_config_selectorILNS1_17partition_subalgoE9EllbEEZZNS1_14partition_implILS5_9ELb0ES3_jPlS8_PNS0_10empty_typeENS0_5tupleIJS8_S9_EEENSB_IJS8_SA_EEENS0_18inequality_wrapperIZN2at6native12_GLOBAL__N_124unique_dim_cuda_templateIsEESt5tupleIJNSF_6TensorESK_SK_EERKSK_lbbbEUlllE0_EEPmJS9_EEE10hipError_tPvRmT3_T4_T5_T6_T7_T9_mT8_P12ihipStream_tbDpT10_ENKUlT_T0_E_clISt17integral_constantIbLb1EES1A_EEDaS15_S16_EUlS15_E_NS1_11comp_targetILNS1_3genE5ELNS1_11target_archE942ELNS1_3gpuE9ELNS1_3repE0EEENS1_30default_config_static_selectorELNS0_4arch9wavefront6targetE0EEEvT1_.num_vgpr, 0
	.set _ZN7rocprim17ROCPRIM_400000_NS6detail17trampoline_kernelINS0_14default_configENS1_25partition_config_selectorILNS1_17partition_subalgoE9EllbEEZZNS1_14partition_implILS5_9ELb0ES3_jPlS8_PNS0_10empty_typeENS0_5tupleIJS8_S9_EEENSB_IJS8_SA_EEENS0_18inequality_wrapperIZN2at6native12_GLOBAL__N_124unique_dim_cuda_templateIsEESt5tupleIJNSF_6TensorESK_SK_EERKSK_lbbbEUlllE0_EEPmJS9_EEE10hipError_tPvRmT3_T4_T5_T6_T7_T9_mT8_P12ihipStream_tbDpT10_ENKUlT_T0_E_clISt17integral_constantIbLb1EES1A_EEDaS15_S16_EUlS15_E_NS1_11comp_targetILNS1_3genE5ELNS1_11target_archE942ELNS1_3gpuE9ELNS1_3repE0EEENS1_30default_config_static_selectorELNS0_4arch9wavefront6targetE0EEEvT1_.num_agpr, 0
	.set _ZN7rocprim17ROCPRIM_400000_NS6detail17trampoline_kernelINS0_14default_configENS1_25partition_config_selectorILNS1_17partition_subalgoE9EllbEEZZNS1_14partition_implILS5_9ELb0ES3_jPlS8_PNS0_10empty_typeENS0_5tupleIJS8_S9_EEENSB_IJS8_SA_EEENS0_18inequality_wrapperIZN2at6native12_GLOBAL__N_124unique_dim_cuda_templateIsEESt5tupleIJNSF_6TensorESK_SK_EERKSK_lbbbEUlllE0_EEPmJS9_EEE10hipError_tPvRmT3_T4_T5_T6_T7_T9_mT8_P12ihipStream_tbDpT10_ENKUlT_T0_E_clISt17integral_constantIbLb1EES1A_EEDaS15_S16_EUlS15_E_NS1_11comp_targetILNS1_3genE5ELNS1_11target_archE942ELNS1_3gpuE9ELNS1_3repE0EEENS1_30default_config_static_selectorELNS0_4arch9wavefront6targetE0EEEvT1_.numbered_sgpr, 0
	.set _ZN7rocprim17ROCPRIM_400000_NS6detail17trampoline_kernelINS0_14default_configENS1_25partition_config_selectorILNS1_17partition_subalgoE9EllbEEZZNS1_14partition_implILS5_9ELb0ES3_jPlS8_PNS0_10empty_typeENS0_5tupleIJS8_S9_EEENSB_IJS8_SA_EEENS0_18inequality_wrapperIZN2at6native12_GLOBAL__N_124unique_dim_cuda_templateIsEESt5tupleIJNSF_6TensorESK_SK_EERKSK_lbbbEUlllE0_EEPmJS9_EEE10hipError_tPvRmT3_T4_T5_T6_T7_T9_mT8_P12ihipStream_tbDpT10_ENKUlT_T0_E_clISt17integral_constantIbLb1EES1A_EEDaS15_S16_EUlS15_E_NS1_11comp_targetILNS1_3genE5ELNS1_11target_archE942ELNS1_3gpuE9ELNS1_3repE0EEENS1_30default_config_static_selectorELNS0_4arch9wavefront6targetE0EEEvT1_.num_named_barrier, 0
	.set _ZN7rocprim17ROCPRIM_400000_NS6detail17trampoline_kernelINS0_14default_configENS1_25partition_config_selectorILNS1_17partition_subalgoE9EllbEEZZNS1_14partition_implILS5_9ELb0ES3_jPlS8_PNS0_10empty_typeENS0_5tupleIJS8_S9_EEENSB_IJS8_SA_EEENS0_18inequality_wrapperIZN2at6native12_GLOBAL__N_124unique_dim_cuda_templateIsEESt5tupleIJNSF_6TensorESK_SK_EERKSK_lbbbEUlllE0_EEPmJS9_EEE10hipError_tPvRmT3_T4_T5_T6_T7_T9_mT8_P12ihipStream_tbDpT10_ENKUlT_T0_E_clISt17integral_constantIbLb1EES1A_EEDaS15_S16_EUlS15_E_NS1_11comp_targetILNS1_3genE5ELNS1_11target_archE942ELNS1_3gpuE9ELNS1_3repE0EEENS1_30default_config_static_selectorELNS0_4arch9wavefront6targetE0EEEvT1_.private_seg_size, 0
	.set _ZN7rocprim17ROCPRIM_400000_NS6detail17trampoline_kernelINS0_14default_configENS1_25partition_config_selectorILNS1_17partition_subalgoE9EllbEEZZNS1_14partition_implILS5_9ELb0ES3_jPlS8_PNS0_10empty_typeENS0_5tupleIJS8_S9_EEENSB_IJS8_SA_EEENS0_18inequality_wrapperIZN2at6native12_GLOBAL__N_124unique_dim_cuda_templateIsEESt5tupleIJNSF_6TensorESK_SK_EERKSK_lbbbEUlllE0_EEPmJS9_EEE10hipError_tPvRmT3_T4_T5_T6_T7_T9_mT8_P12ihipStream_tbDpT10_ENKUlT_T0_E_clISt17integral_constantIbLb1EES1A_EEDaS15_S16_EUlS15_E_NS1_11comp_targetILNS1_3genE5ELNS1_11target_archE942ELNS1_3gpuE9ELNS1_3repE0EEENS1_30default_config_static_selectorELNS0_4arch9wavefront6targetE0EEEvT1_.uses_vcc, 0
	.set _ZN7rocprim17ROCPRIM_400000_NS6detail17trampoline_kernelINS0_14default_configENS1_25partition_config_selectorILNS1_17partition_subalgoE9EllbEEZZNS1_14partition_implILS5_9ELb0ES3_jPlS8_PNS0_10empty_typeENS0_5tupleIJS8_S9_EEENSB_IJS8_SA_EEENS0_18inequality_wrapperIZN2at6native12_GLOBAL__N_124unique_dim_cuda_templateIsEESt5tupleIJNSF_6TensorESK_SK_EERKSK_lbbbEUlllE0_EEPmJS9_EEE10hipError_tPvRmT3_T4_T5_T6_T7_T9_mT8_P12ihipStream_tbDpT10_ENKUlT_T0_E_clISt17integral_constantIbLb1EES1A_EEDaS15_S16_EUlS15_E_NS1_11comp_targetILNS1_3genE5ELNS1_11target_archE942ELNS1_3gpuE9ELNS1_3repE0EEENS1_30default_config_static_selectorELNS0_4arch9wavefront6targetE0EEEvT1_.uses_flat_scratch, 0
	.set _ZN7rocprim17ROCPRIM_400000_NS6detail17trampoline_kernelINS0_14default_configENS1_25partition_config_selectorILNS1_17partition_subalgoE9EllbEEZZNS1_14partition_implILS5_9ELb0ES3_jPlS8_PNS0_10empty_typeENS0_5tupleIJS8_S9_EEENSB_IJS8_SA_EEENS0_18inequality_wrapperIZN2at6native12_GLOBAL__N_124unique_dim_cuda_templateIsEESt5tupleIJNSF_6TensorESK_SK_EERKSK_lbbbEUlllE0_EEPmJS9_EEE10hipError_tPvRmT3_T4_T5_T6_T7_T9_mT8_P12ihipStream_tbDpT10_ENKUlT_T0_E_clISt17integral_constantIbLb1EES1A_EEDaS15_S16_EUlS15_E_NS1_11comp_targetILNS1_3genE5ELNS1_11target_archE942ELNS1_3gpuE9ELNS1_3repE0EEENS1_30default_config_static_selectorELNS0_4arch9wavefront6targetE0EEEvT1_.has_dyn_sized_stack, 0
	.set _ZN7rocprim17ROCPRIM_400000_NS6detail17trampoline_kernelINS0_14default_configENS1_25partition_config_selectorILNS1_17partition_subalgoE9EllbEEZZNS1_14partition_implILS5_9ELb0ES3_jPlS8_PNS0_10empty_typeENS0_5tupleIJS8_S9_EEENSB_IJS8_SA_EEENS0_18inequality_wrapperIZN2at6native12_GLOBAL__N_124unique_dim_cuda_templateIsEESt5tupleIJNSF_6TensorESK_SK_EERKSK_lbbbEUlllE0_EEPmJS9_EEE10hipError_tPvRmT3_T4_T5_T6_T7_T9_mT8_P12ihipStream_tbDpT10_ENKUlT_T0_E_clISt17integral_constantIbLb1EES1A_EEDaS15_S16_EUlS15_E_NS1_11comp_targetILNS1_3genE5ELNS1_11target_archE942ELNS1_3gpuE9ELNS1_3repE0EEENS1_30default_config_static_selectorELNS0_4arch9wavefront6targetE0EEEvT1_.has_recursion, 0
	.set _ZN7rocprim17ROCPRIM_400000_NS6detail17trampoline_kernelINS0_14default_configENS1_25partition_config_selectorILNS1_17partition_subalgoE9EllbEEZZNS1_14partition_implILS5_9ELb0ES3_jPlS8_PNS0_10empty_typeENS0_5tupleIJS8_S9_EEENSB_IJS8_SA_EEENS0_18inequality_wrapperIZN2at6native12_GLOBAL__N_124unique_dim_cuda_templateIsEESt5tupleIJNSF_6TensorESK_SK_EERKSK_lbbbEUlllE0_EEPmJS9_EEE10hipError_tPvRmT3_T4_T5_T6_T7_T9_mT8_P12ihipStream_tbDpT10_ENKUlT_T0_E_clISt17integral_constantIbLb1EES1A_EEDaS15_S16_EUlS15_E_NS1_11comp_targetILNS1_3genE5ELNS1_11target_archE942ELNS1_3gpuE9ELNS1_3repE0EEENS1_30default_config_static_selectorELNS0_4arch9wavefront6targetE0EEEvT1_.has_indirect_call, 0
	.section	.AMDGPU.csdata,"",@progbits
; Kernel info:
; codeLenInByte = 0
; TotalNumSgprs: 0
; NumVgprs: 0
; ScratchSize: 0
; MemoryBound: 0
; FloatMode: 240
; IeeeMode: 1
; LDSByteSize: 0 bytes/workgroup (compile time only)
; SGPRBlocks: 0
; VGPRBlocks: 0
; NumSGPRsForWavesPerEU: 1
; NumVGPRsForWavesPerEU: 1
; NamedBarCnt: 0
; Occupancy: 16
; WaveLimiterHint : 0
; COMPUTE_PGM_RSRC2:SCRATCH_EN: 0
; COMPUTE_PGM_RSRC2:USER_SGPR: 2
; COMPUTE_PGM_RSRC2:TRAP_HANDLER: 0
; COMPUTE_PGM_RSRC2:TGID_X_EN: 1
; COMPUTE_PGM_RSRC2:TGID_Y_EN: 0
; COMPUTE_PGM_RSRC2:TGID_Z_EN: 0
; COMPUTE_PGM_RSRC2:TIDIG_COMP_CNT: 0
	.section	.text._ZN7rocprim17ROCPRIM_400000_NS6detail17trampoline_kernelINS0_14default_configENS1_25partition_config_selectorILNS1_17partition_subalgoE9EllbEEZZNS1_14partition_implILS5_9ELb0ES3_jPlS8_PNS0_10empty_typeENS0_5tupleIJS8_S9_EEENSB_IJS8_SA_EEENS0_18inequality_wrapperIZN2at6native12_GLOBAL__N_124unique_dim_cuda_templateIsEESt5tupleIJNSF_6TensorESK_SK_EERKSK_lbbbEUlllE0_EEPmJS9_EEE10hipError_tPvRmT3_T4_T5_T6_T7_T9_mT8_P12ihipStream_tbDpT10_ENKUlT_T0_E_clISt17integral_constantIbLb1EES1A_EEDaS15_S16_EUlS15_E_NS1_11comp_targetILNS1_3genE4ELNS1_11target_archE910ELNS1_3gpuE8ELNS1_3repE0EEENS1_30default_config_static_selectorELNS0_4arch9wavefront6targetE0EEEvT1_,"axG",@progbits,_ZN7rocprim17ROCPRIM_400000_NS6detail17trampoline_kernelINS0_14default_configENS1_25partition_config_selectorILNS1_17partition_subalgoE9EllbEEZZNS1_14partition_implILS5_9ELb0ES3_jPlS8_PNS0_10empty_typeENS0_5tupleIJS8_S9_EEENSB_IJS8_SA_EEENS0_18inequality_wrapperIZN2at6native12_GLOBAL__N_124unique_dim_cuda_templateIsEESt5tupleIJNSF_6TensorESK_SK_EERKSK_lbbbEUlllE0_EEPmJS9_EEE10hipError_tPvRmT3_T4_T5_T6_T7_T9_mT8_P12ihipStream_tbDpT10_ENKUlT_T0_E_clISt17integral_constantIbLb1EES1A_EEDaS15_S16_EUlS15_E_NS1_11comp_targetILNS1_3genE4ELNS1_11target_archE910ELNS1_3gpuE8ELNS1_3repE0EEENS1_30default_config_static_selectorELNS0_4arch9wavefront6targetE0EEEvT1_,comdat
	.globl	_ZN7rocprim17ROCPRIM_400000_NS6detail17trampoline_kernelINS0_14default_configENS1_25partition_config_selectorILNS1_17partition_subalgoE9EllbEEZZNS1_14partition_implILS5_9ELb0ES3_jPlS8_PNS0_10empty_typeENS0_5tupleIJS8_S9_EEENSB_IJS8_SA_EEENS0_18inequality_wrapperIZN2at6native12_GLOBAL__N_124unique_dim_cuda_templateIsEESt5tupleIJNSF_6TensorESK_SK_EERKSK_lbbbEUlllE0_EEPmJS9_EEE10hipError_tPvRmT3_T4_T5_T6_T7_T9_mT8_P12ihipStream_tbDpT10_ENKUlT_T0_E_clISt17integral_constantIbLb1EES1A_EEDaS15_S16_EUlS15_E_NS1_11comp_targetILNS1_3genE4ELNS1_11target_archE910ELNS1_3gpuE8ELNS1_3repE0EEENS1_30default_config_static_selectorELNS0_4arch9wavefront6targetE0EEEvT1_ ; -- Begin function _ZN7rocprim17ROCPRIM_400000_NS6detail17trampoline_kernelINS0_14default_configENS1_25partition_config_selectorILNS1_17partition_subalgoE9EllbEEZZNS1_14partition_implILS5_9ELb0ES3_jPlS8_PNS0_10empty_typeENS0_5tupleIJS8_S9_EEENSB_IJS8_SA_EEENS0_18inequality_wrapperIZN2at6native12_GLOBAL__N_124unique_dim_cuda_templateIsEESt5tupleIJNSF_6TensorESK_SK_EERKSK_lbbbEUlllE0_EEPmJS9_EEE10hipError_tPvRmT3_T4_T5_T6_T7_T9_mT8_P12ihipStream_tbDpT10_ENKUlT_T0_E_clISt17integral_constantIbLb1EES1A_EEDaS15_S16_EUlS15_E_NS1_11comp_targetILNS1_3genE4ELNS1_11target_archE910ELNS1_3gpuE8ELNS1_3repE0EEENS1_30default_config_static_selectorELNS0_4arch9wavefront6targetE0EEEvT1_
	.p2align	8
	.type	_ZN7rocprim17ROCPRIM_400000_NS6detail17trampoline_kernelINS0_14default_configENS1_25partition_config_selectorILNS1_17partition_subalgoE9EllbEEZZNS1_14partition_implILS5_9ELb0ES3_jPlS8_PNS0_10empty_typeENS0_5tupleIJS8_S9_EEENSB_IJS8_SA_EEENS0_18inequality_wrapperIZN2at6native12_GLOBAL__N_124unique_dim_cuda_templateIsEESt5tupleIJNSF_6TensorESK_SK_EERKSK_lbbbEUlllE0_EEPmJS9_EEE10hipError_tPvRmT3_T4_T5_T6_T7_T9_mT8_P12ihipStream_tbDpT10_ENKUlT_T0_E_clISt17integral_constantIbLb1EES1A_EEDaS15_S16_EUlS15_E_NS1_11comp_targetILNS1_3genE4ELNS1_11target_archE910ELNS1_3gpuE8ELNS1_3repE0EEENS1_30default_config_static_selectorELNS0_4arch9wavefront6targetE0EEEvT1_,@function
_ZN7rocprim17ROCPRIM_400000_NS6detail17trampoline_kernelINS0_14default_configENS1_25partition_config_selectorILNS1_17partition_subalgoE9EllbEEZZNS1_14partition_implILS5_9ELb0ES3_jPlS8_PNS0_10empty_typeENS0_5tupleIJS8_S9_EEENSB_IJS8_SA_EEENS0_18inequality_wrapperIZN2at6native12_GLOBAL__N_124unique_dim_cuda_templateIsEESt5tupleIJNSF_6TensorESK_SK_EERKSK_lbbbEUlllE0_EEPmJS9_EEE10hipError_tPvRmT3_T4_T5_T6_T7_T9_mT8_P12ihipStream_tbDpT10_ENKUlT_T0_E_clISt17integral_constantIbLb1EES1A_EEDaS15_S16_EUlS15_E_NS1_11comp_targetILNS1_3genE4ELNS1_11target_archE910ELNS1_3gpuE8ELNS1_3repE0EEENS1_30default_config_static_selectorELNS0_4arch9wavefront6targetE0EEEvT1_: ; @_ZN7rocprim17ROCPRIM_400000_NS6detail17trampoline_kernelINS0_14default_configENS1_25partition_config_selectorILNS1_17partition_subalgoE9EllbEEZZNS1_14partition_implILS5_9ELb0ES3_jPlS8_PNS0_10empty_typeENS0_5tupleIJS8_S9_EEENSB_IJS8_SA_EEENS0_18inequality_wrapperIZN2at6native12_GLOBAL__N_124unique_dim_cuda_templateIsEESt5tupleIJNSF_6TensorESK_SK_EERKSK_lbbbEUlllE0_EEPmJS9_EEE10hipError_tPvRmT3_T4_T5_T6_T7_T9_mT8_P12ihipStream_tbDpT10_ENKUlT_T0_E_clISt17integral_constantIbLb1EES1A_EEDaS15_S16_EUlS15_E_NS1_11comp_targetILNS1_3genE4ELNS1_11target_archE910ELNS1_3gpuE8ELNS1_3repE0EEENS1_30default_config_static_selectorELNS0_4arch9wavefront6targetE0EEEvT1_
; %bb.0:
	.section	.rodata,"a",@progbits
	.p2align	6, 0x0
	.amdhsa_kernel _ZN7rocprim17ROCPRIM_400000_NS6detail17trampoline_kernelINS0_14default_configENS1_25partition_config_selectorILNS1_17partition_subalgoE9EllbEEZZNS1_14partition_implILS5_9ELb0ES3_jPlS8_PNS0_10empty_typeENS0_5tupleIJS8_S9_EEENSB_IJS8_SA_EEENS0_18inequality_wrapperIZN2at6native12_GLOBAL__N_124unique_dim_cuda_templateIsEESt5tupleIJNSF_6TensorESK_SK_EERKSK_lbbbEUlllE0_EEPmJS9_EEE10hipError_tPvRmT3_T4_T5_T6_T7_T9_mT8_P12ihipStream_tbDpT10_ENKUlT_T0_E_clISt17integral_constantIbLb1EES1A_EEDaS15_S16_EUlS15_E_NS1_11comp_targetILNS1_3genE4ELNS1_11target_archE910ELNS1_3gpuE8ELNS1_3repE0EEENS1_30default_config_static_selectorELNS0_4arch9wavefront6targetE0EEEvT1_
		.amdhsa_group_segment_fixed_size 0
		.amdhsa_private_segment_fixed_size 0
		.amdhsa_kernarg_size 136
		.amdhsa_user_sgpr_count 2
		.amdhsa_user_sgpr_dispatch_ptr 0
		.amdhsa_user_sgpr_queue_ptr 0
		.amdhsa_user_sgpr_kernarg_segment_ptr 1
		.amdhsa_user_sgpr_dispatch_id 0
		.amdhsa_user_sgpr_kernarg_preload_length 0
		.amdhsa_user_sgpr_kernarg_preload_offset 0
		.amdhsa_user_sgpr_private_segment_size 0
		.amdhsa_wavefront_size32 1
		.amdhsa_uses_dynamic_stack 0
		.amdhsa_enable_private_segment 0
		.amdhsa_system_sgpr_workgroup_id_x 1
		.amdhsa_system_sgpr_workgroup_id_y 0
		.amdhsa_system_sgpr_workgroup_id_z 0
		.amdhsa_system_sgpr_workgroup_info 0
		.amdhsa_system_vgpr_workitem_id 0
		.amdhsa_next_free_vgpr 1
		.amdhsa_next_free_sgpr 1
		.amdhsa_named_barrier_count 0
		.amdhsa_reserve_vcc 0
		.amdhsa_float_round_mode_32 0
		.amdhsa_float_round_mode_16_64 0
		.amdhsa_float_denorm_mode_32 3
		.amdhsa_float_denorm_mode_16_64 3
		.amdhsa_fp16_overflow 0
		.amdhsa_memory_ordered 1
		.amdhsa_forward_progress 1
		.amdhsa_inst_pref_size 0
		.amdhsa_round_robin_scheduling 0
		.amdhsa_exception_fp_ieee_invalid_op 0
		.amdhsa_exception_fp_denorm_src 0
		.amdhsa_exception_fp_ieee_div_zero 0
		.amdhsa_exception_fp_ieee_overflow 0
		.amdhsa_exception_fp_ieee_underflow 0
		.amdhsa_exception_fp_ieee_inexact 0
		.amdhsa_exception_int_div_zero 0
	.end_amdhsa_kernel
	.section	.text._ZN7rocprim17ROCPRIM_400000_NS6detail17trampoline_kernelINS0_14default_configENS1_25partition_config_selectorILNS1_17partition_subalgoE9EllbEEZZNS1_14partition_implILS5_9ELb0ES3_jPlS8_PNS0_10empty_typeENS0_5tupleIJS8_S9_EEENSB_IJS8_SA_EEENS0_18inequality_wrapperIZN2at6native12_GLOBAL__N_124unique_dim_cuda_templateIsEESt5tupleIJNSF_6TensorESK_SK_EERKSK_lbbbEUlllE0_EEPmJS9_EEE10hipError_tPvRmT3_T4_T5_T6_T7_T9_mT8_P12ihipStream_tbDpT10_ENKUlT_T0_E_clISt17integral_constantIbLb1EES1A_EEDaS15_S16_EUlS15_E_NS1_11comp_targetILNS1_3genE4ELNS1_11target_archE910ELNS1_3gpuE8ELNS1_3repE0EEENS1_30default_config_static_selectorELNS0_4arch9wavefront6targetE0EEEvT1_,"axG",@progbits,_ZN7rocprim17ROCPRIM_400000_NS6detail17trampoline_kernelINS0_14default_configENS1_25partition_config_selectorILNS1_17partition_subalgoE9EllbEEZZNS1_14partition_implILS5_9ELb0ES3_jPlS8_PNS0_10empty_typeENS0_5tupleIJS8_S9_EEENSB_IJS8_SA_EEENS0_18inequality_wrapperIZN2at6native12_GLOBAL__N_124unique_dim_cuda_templateIsEESt5tupleIJNSF_6TensorESK_SK_EERKSK_lbbbEUlllE0_EEPmJS9_EEE10hipError_tPvRmT3_T4_T5_T6_T7_T9_mT8_P12ihipStream_tbDpT10_ENKUlT_T0_E_clISt17integral_constantIbLb1EES1A_EEDaS15_S16_EUlS15_E_NS1_11comp_targetILNS1_3genE4ELNS1_11target_archE910ELNS1_3gpuE8ELNS1_3repE0EEENS1_30default_config_static_selectorELNS0_4arch9wavefront6targetE0EEEvT1_,comdat
.Lfunc_end727:
	.size	_ZN7rocprim17ROCPRIM_400000_NS6detail17trampoline_kernelINS0_14default_configENS1_25partition_config_selectorILNS1_17partition_subalgoE9EllbEEZZNS1_14partition_implILS5_9ELb0ES3_jPlS8_PNS0_10empty_typeENS0_5tupleIJS8_S9_EEENSB_IJS8_SA_EEENS0_18inequality_wrapperIZN2at6native12_GLOBAL__N_124unique_dim_cuda_templateIsEESt5tupleIJNSF_6TensorESK_SK_EERKSK_lbbbEUlllE0_EEPmJS9_EEE10hipError_tPvRmT3_T4_T5_T6_T7_T9_mT8_P12ihipStream_tbDpT10_ENKUlT_T0_E_clISt17integral_constantIbLb1EES1A_EEDaS15_S16_EUlS15_E_NS1_11comp_targetILNS1_3genE4ELNS1_11target_archE910ELNS1_3gpuE8ELNS1_3repE0EEENS1_30default_config_static_selectorELNS0_4arch9wavefront6targetE0EEEvT1_, .Lfunc_end727-_ZN7rocprim17ROCPRIM_400000_NS6detail17trampoline_kernelINS0_14default_configENS1_25partition_config_selectorILNS1_17partition_subalgoE9EllbEEZZNS1_14partition_implILS5_9ELb0ES3_jPlS8_PNS0_10empty_typeENS0_5tupleIJS8_S9_EEENSB_IJS8_SA_EEENS0_18inequality_wrapperIZN2at6native12_GLOBAL__N_124unique_dim_cuda_templateIsEESt5tupleIJNSF_6TensorESK_SK_EERKSK_lbbbEUlllE0_EEPmJS9_EEE10hipError_tPvRmT3_T4_T5_T6_T7_T9_mT8_P12ihipStream_tbDpT10_ENKUlT_T0_E_clISt17integral_constantIbLb1EES1A_EEDaS15_S16_EUlS15_E_NS1_11comp_targetILNS1_3genE4ELNS1_11target_archE910ELNS1_3gpuE8ELNS1_3repE0EEENS1_30default_config_static_selectorELNS0_4arch9wavefront6targetE0EEEvT1_
                                        ; -- End function
	.set _ZN7rocprim17ROCPRIM_400000_NS6detail17trampoline_kernelINS0_14default_configENS1_25partition_config_selectorILNS1_17partition_subalgoE9EllbEEZZNS1_14partition_implILS5_9ELb0ES3_jPlS8_PNS0_10empty_typeENS0_5tupleIJS8_S9_EEENSB_IJS8_SA_EEENS0_18inequality_wrapperIZN2at6native12_GLOBAL__N_124unique_dim_cuda_templateIsEESt5tupleIJNSF_6TensorESK_SK_EERKSK_lbbbEUlllE0_EEPmJS9_EEE10hipError_tPvRmT3_T4_T5_T6_T7_T9_mT8_P12ihipStream_tbDpT10_ENKUlT_T0_E_clISt17integral_constantIbLb1EES1A_EEDaS15_S16_EUlS15_E_NS1_11comp_targetILNS1_3genE4ELNS1_11target_archE910ELNS1_3gpuE8ELNS1_3repE0EEENS1_30default_config_static_selectorELNS0_4arch9wavefront6targetE0EEEvT1_.num_vgpr, 0
	.set _ZN7rocprim17ROCPRIM_400000_NS6detail17trampoline_kernelINS0_14default_configENS1_25partition_config_selectorILNS1_17partition_subalgoE9EllbEEZZNS1_14partition_implILS5_9ELb0ES3_jPlS8_PNS0_10empty_typeENS0_5tupleIJS8_S9_EEENSB_IJS8_SA_EEENS0_18inequality_wrapperIZN2at6native12_GLOBAL__N_124unique_dim_cuda_templateIsEESt5tupleIJNSF_6TensorESK_SK_EERKSK_lbbbEUlllE0_EEPmJS9_EEE10hipError_tPvRmT3_T4_T5_T6_T7_T9_mT8_P12ihipStream_tbDpT10_ENKUlT_T0_E_clISt17integral_constantIbLb1EES1A_EEDaS15_S16_EUlS15_E_NS1_11comp_targetILNS1_3genE4ELNS1_11target_archE910ELNS1_3gpuE8ELNS1_3repE0EEENS1_30default_config_static_selectorELNS0_4arch9wavefront6targetE0EEEvT1_.num_agpr, 0
	.set _ZN7rocprim17ROCPRIM_400000_NS6detail17trampoline_kernelINS0_14default_configENS1_25partition_config_selectorILNS1_17partition_subalgoE9EllbEEZZNS1_14partition_implILS5_9ELb0ES3_jPlS8_PNS0_10empty_typeENS0_5tupleIJS8_S9_EEENSB_IJS8_SA_EEENS0_18inequality_wrapperIZN2at6native12_GLOBAL__N_124unique_dim_cuda_templateIsEESt5tupleIJNSF_6TensorESK_SK_EERKSK_lbbbEUlllE0_EEPmJS9_EEE10hipError_tPvRmT3_T4_T5_T6_T7_T9_mT8_P12ihipStream_tbDpT10_ENKUlT_T0_E_clISt17integral_constantIbLb1EES1A_EEDaS15_S16_EUlS15_E_NS1_11comp_targetILNS1_3genE4ELNS1_11target_archE910ELNS1_3gpuE8ELNS1_3repE0EEENS1_30default_config_static_selectorELNS0_4arch9wavefront6targetE0EEEvT1_.numbered_sgpr, 0
	.set _ZN7rocprim17ROCPRIM_400000_NS6detail17trampoline_kernelINS0_14default_configENS1_25partition_config_selectorILNS1_17partition_subalgoE9EllbEEZZNS1_14partition_implILS5_9ELb0ES3_jPlS8_PNS0_10empty_typeENS0_5tupleIJS8_S9_EEENSB_IJS8_SA_EEENS0_18inequality_wrapperIZN2at6native12_GLOBAL__N_124unique_dim_cuda_templateIsEESt5tupleIJNSF_6TensorESK_SK_EERKSK_lbbbEUlllE0_EEPmJS9_EEE10hipError_tPvRmT3_T4_T5_T6_T7_T9_mT8_P12ihipStream_tbDpT10_ENKUlT_T0_E_clISt17integral_constantIbLb1EES1A_EEDaS15_S16_EUlS15_E_NS1_11comp_targetILNS1_3genE4ELNS1_11target_archE910ELNS1_3gpuE8ELNS1_3repE0EEENS1_30default_config_static_selectorELNS0_4arch9wavefront6targetE0EEEvT1_.num_named_barrier, 0
	.set _ZN7rocprim17ROCPRIM_400000_NS6detail17trampoline_kernelINS0_14default_configENS1_25partition_config_selectorILNS1_17partition_subalgoE9EllbEEZZNS1_14partition_implILS5_9ELb0ES3_jPlS8_PNS0_10empty_typeENS0_5tupleIJS8_S9_EEENSB_IJS8_SA_EEENS0_18inequality_wrapperIZN2at6native12_GLOBAL__N_124unique_dim_cuda_templateIsEESt5tupleIJNSF_6TensorESK_SK_EERKSK_lbbbEUlllE0_EEPmJS9_EEE10hipError_tPvRmT3_T4_T5_T6_T7_T9_mT8_P12ihipStream_tbDpT10_ENKUlT_T0_E_clISt17integral_constantIbLb1EES1A_EEDaS15_S16_EUlS15_E_NS1_11comp_targetILNS1_3genE4ELNS1_11target_archE910ELNS1_3gpuE8ELNS1_3repE0EEENS1_30default_config_static_selectorELNS0_4arch9wavefront6targetE0EEEvT1_.private_seg_size, 0
	.set _ZN7rocprim17ROCPRIM_400000_NS6detail17trampoline_kernelINS0_14default_configENS1_25partition_config_selectorILNS1_17partition_subalgoE9EllbEEZZNS1_14partition_implILS5_9ELb0ES3_jPlS8_PNS0_10empty_typeENS0_5tupleIJS8_S9_EEENSB_IJS8_SA_EEENS0_18inequality_wrapperIZN2at6native12_GLOBAL__N_124unique_dim_cuda_templateIsEESt5tupleIJNSF_6TensorESK_SK_EERKSK_lbbbEUlllE0_EEPmJS9_EEE10hipError_tPvRmT3_T4_T5_T6_T7_T9_mT8_P12ihipStream_tbDpT10_ENKUlT_T0_E_clISt17integral_constantIbLb1EES1A_EEDaS15_S16_EUlS15_E_NS1_11comp_targetILNS1_3genE4ELNS1_11target_archE910ELNS1_3gpuE8ELNS1_3repE0EEENS1_30default_config_static_selectorELNS0_4arch9wavefront6targetE0EEEvT1_.uses_vcc, 0
	.set _ZN7rocprim17ROCPRIM_400000_NS6detail17trampoline_kernelINS0_14default_configENS1_25partition_config_selectorILNS1_17partition_subalgoE9EllbEEZZNS1_14partition_implILS5_9ELb0ES3_jPlS8_PNS0_10empty_typeENS0_5tupleIJS8_S9_EEENSB_IJS8_SA_EEENS0_18inequality_wrapperIZN2at6native12_GLOBAL__N_124unique_dim_cuda_templateIsEESt5tupleIJNSF_6TensorESK_SK_EERKSK_lbbbEUlllE0_EEPmJS9_EEE10hipError_tPvRmT3_T4_T5_T6_T7_T9_mT8_P12ihipStream_tbDpT10_ENKUlT_T0_E_clISt17integral_constantIbLb1EES1A_EEDaS15_S16_EUlS15_E_NS1_11comp_targetILNS1_3genE4ELNS1_11target_archE910ELNS1_3gpuE8ELNS1_3repE0EEENS1_30default_config_static_selectorELNS0_4arch9wavefront6targetE0EEEvT1_.uses_flat_scratch, 0
	.set _ZN7rocprim17ROCPRIM_400000_NS6detail17trampoline_kernelINS0_14default_configENS1_25partition_config_selectorILNS1_17partition_subalgoE9EllbEEZZNS1_14partition_implILS5_9ELb0ES3_jPlS8_PNS0_10empty_typeENS0_5tupleIJS8_S9_EEENSB_IJS8_SA_EEENS0_18inequality_wrapperIZN2at6native12_GLOBAL__N_124unique_dim_cuda_templateIsEESt5tupleIJNSF_6TensorESK_SK_EERKSK_lbbbEUlllE0_EEPmJS9_EEE10hipError_tPvRmT3_T4_T5_T6_T7_T9_mT8_P12ihipStream_tbDpT10_ENKUlT_T0_E_clISt17integral_constantIbLb1EES1A_EEDaS15_S16_EUlS15_E_NS1_11comp_targetILNS1_3genE4ELNS1_11target_archE910ELNS1_3gpuE8ELNS1_3repE0EEENS1_30default_config_static_selectorELNS0_4arch9wavefront6targetE0EEEvT1_.has_dyn_sized_stack, 0
	.set _ZN7rocprim17ROCPRIM_400000_NS6detail17trampoline_kernelINS0_14default_configENS1_25partition_config_selectorILNS1_17partition_subalgoE9EllbEEZZNS1_14partition_implILS5_9ELb0ES3_jPlS8_PNS0_10empty_typeENS0_5tupleIJS8_S9_EEENSB_IJS8_SA_EEENS0_18inequality_wrapperIZN2at6native12_GLOBAL__N_124unique_dim_cuda_templateIsEESt5tupleIJNSF_6TensorESK_SK_EERKSK_lbbbEUlllE0_EEPmJS9_EEE10hipError_tPvRmT3_T4_T5_T6_T7_T9_mT8_P12ihipStream_tbDpT10_ENKUlT_T0_E_clISt17integral_constantIbLb1EES1A_EEDaS15_S16_EUlS15_E_NS1_11comp_targetILNS1_3genE4ELNS1_11target_archE910ELNS1_3gpuE8ELNS1_3repE0EEENS1_30default_config_static_selectorELNS0_4arch9wavefront6targetE0EEEvT1_.has_recursion, 0
	.set _ZN7rocprim17ROCPRIM_400000_NS6detail17trampoline_kernelINS0_14default_configENS1_25partition_config_selectorILNS1_17partition_subalgoE9EllbEEZZNS1_14partition_implILS5_9ELb0ES3_jPlS8_PNS0_10empty_typeENS0_5tupleIJS8_S9_EEENSB_IJS8_SA_EEENS0_18inequality_wrapperIZN2at6native12_GLOBAL__N_124unique_dim_cuda_templateIsEESt5tupleIJNSF_6TensorESK_SK_EERKSK_lbbbEUlllE0_EEPmJS9_EEE10hipError_tPvRmT3_T4_T5_T6_T7_T9_mT8_P12ihipStream_tbDpT10_ENKUlT_T0_E_clISt17integral_constantIbLb1EES1A_EEDaS15_S16_EUlS15_E_NS1_11comp_targetILNS1_3genE4ELNS1_11target_archE910ELNS1_3gpuE8ELNS1_3repE0EEENS1_30default_config_static_selectorELNS0_4arch9wavefront6targetE0EEEvT1_.has_indirect_call, 0
	.section	.AMDGPU.csdata,"",@progbits
; Kernel info:
; codeLenInByte = 0
; TotalNumSgprs: 0
; NumVgprs: 0
; ScratchSize: 0
; MemoryBound: 0
; FloatMode: 240
; IeeeMode: 1
; LDSByteSize: 0 bytes/workgroup (compile time only)
; SGPRBlocks: 0
; VGPRBlocks: 0
; NumSGPRsForWavesPerEU: 1
; NumVGPRsForWavesPerEU: 1
; NamedBarCnt: 0
; Occupancy: 16
; WaveLimiterHint : 0
; COMPUTE_PGM_RSRC2:SCRATCH_EN: 0
; COMPUTE_PGM_RSRC2:USER_SGPR: 2
; COMPUTE_PGM_RSRC2:TRAP_HANDLER: 0
; COMPUTE_PGM_RSRC2:TGID_X_EN: 1
; COMPUTE_PGM_RSRC2:TGID_Y_EN: 0
; COMPUTE_PGM_RSRC2:TGID_Z_EN: 0
; COMPUTE_PGM_RSRC2:TIDIG_COMP_CNT: 0
	.section	.text._ZN7rocprim17ROCPRIM_400000_NS6detail17trampoline_kernelINS0_14default_configENS1_25partition_config_selectorILNS1_17partition_subalgoE9EllbEEZZNS1_14partition_implILS5_9ELb0ES3_jPlS8_PNS0_10empty_typeENS0_5tupleIJS8_S9_EEENSB_IJS8_SA_EEENS0_18inequality_wrapperIZN2at6native12_GLOBAL__N_124unique_dim_cuda_templateIsEESt5tupleIJNSF_6TensorESK_SK_EERKSK_lbbbEUlllE0_EEPmJS9_EEE10hipError_tPvRmT3_T4_T5_T6_T7_T9_mT8_P12ihipStream_tbDpT10_ENKUlT_T0_E_clISt17integral_constantIbLb1EES1A_EEDaS15_S16_EUlS15_E_NS1_11comp_targetILNS1_3genE3ELNS1_11target_archE908ELNS1_3gpuE7ELNS1_3repE0EEENS1_30default_config_static_selectorELNS0_4arch9wavefront6targetE0EEEvT1_,"axG",@progbits,_ZN7rocprim17ROCPRIM_400000_NS6detail17trampoline_kernelINS0_14default_configENS1_25partition_config_selectorILNS1_17partition_subalgoE9EllbEEZZNS1_14partition_implILS5_9ELb0ES3_jPlS8_PNS0_10empty_typeENS0_5tupleIJS8_S9_EEENSB_IJS8_SA_EEENS0_18inequality_wrapperIZN2at6native12_GLOBAL__N_124unique_dim_cuda_templateIsEESt5tupleIJNSF_6TensorESK_SK_EERKSK_lbbbEUlllE0_EEPmJS9_EEE10hipError_tPvRmT3_T4_T5_T6_T7_T9_mT8_P12ihipStream_tbDpT10_ENKUlT_T0_E_clISt17integral_constantIbLb1EES1A_EEDaS15_S16_EUlS15_E_NS1_11comp_targetILNS1_3genE3ELNS1_11target_archE908ELNS1_3gpuE7ELNS1_3repE0EEENS1_30default_config_static_selectorELNS0_4arch9wavefront6targetE0EEEvT1_,comdat
	.globl	_ZN7rocprim17ROCPRIM_400000_NS6detail17trampoline_kernelINS0_14default_configENS1_25partition_config_selectorILNS1_17partition_subalgoE9EllbEEZZNS1_14partition_implILS5_9ELb0ES3_jPlS8_PNS0_10empty_typeENS0_5tupleIJS8_S9_EEENSB_IJS8_SA_EEENS0_18inequality_wrapperIZN2at6native12_GLOBAL__N_124unique_dim_cuda_templateIsEESt5tupleIJNSF_6TensorESK_SK_EERKSK_lbbbEUlllE0_EEPmJS9_EEE10hipError_tPvRmT3_T4_T5_T6_T7_T9_mT8_P12ihipStream_tbDpT10_ENKUlT_T0_E_clISt17integral_constantIbLb1EES1A_EEDaS15_S16_EUlS15_E_NS1_11comp_targetILNS1_3genE3ELNS1_11target_archE908ELNS1_3gpuE7ELNS1_3repE0EEENS1_30default_config_static_selectorELNS0_4arch9wavefront6targetE0EEEvT1_ ; -- Begin function _ZN7rocprim17ROCPRIM_400000_NS6detail17trampoline_kernelINS0_14default_configENS1_25partition_config_selectorILNS1_17partition_subalgoE9EllbEEZZNS1_14partition_implILS5_9ELb0ES3_jPlS8_PNS0_10empty_typeENS0_5tupleIJS8_S9_EEENSB_IJS8_SA_EEENS0_18inequality_wrapperIZN2at6native12_GLOBAL__N_124unique_dim_cuda_templateIsEESt5tupleIJNSF_6TensorESK_SK_EERKSK_lbbbEUlllE0_EEPmJS9_EEE10hipError_tPvRmT3_T4_T5_T6_T7_T9_mT8_P12ihipStream_tbDpT10_ENKUlT_T0_E_clISt17integral_constantIbLb1EES1A_EEDaS15_S16_EUlS15_E_NS1_11comp_targetILNS1_3genE3ELNS1_11target_archE908ELNS1_3gpuE7ELNS1_3repE0EEENS1_30default_config_static_selectorELNS0_4arch9wavefront6targetE0EEEvT1_
	.p2align	8
	.type	_ZN7rocprim17ROCPRIM_400000_NS6detail17trampoline_kernelINS0_14default_configENS1_25partition_config_selectorILNS1_17partition_subalgoE9EllbEEZZNS1_14partition_implILS5_9ELb0ES3_jPlS8_PNS0_10empty_typeENS0_5tupleIJS8_S9_EEENSB_IJS8_SA_EEENS0_18inequality_wrapperIZN2at6native12_GLOBAL__N_124unique_dim_cuda_templateIsEESt5tupleIJNSF_6TensorESK_SK_EERKSK_lbbbEUlllE0_EEPmJS9_EEE10hipError_tPvRmT3_T4_T5_T6_T7_T9_mT8_P12ihipStream_tbDpT10_ENKUlT_T0_E_clISt17integral_constantIbLb1EES1A_EEDaS15_S16_EUlS15_E_NS1_11comp_targetILNS1_3genE3ELNS1_11target_archE908ELNS1_3gpuE7ELNS1_3repE0EEENS1_30default_config_static_selectorELNS0_4arch9wavefront6targetE0EEEvT1_,@function
_ZN7rocprim17ROCPRIM_400000_NS6detail17trampoline_kernelINS0_14default_configENS1_25partition_config_selectorILNS1_17partition_subalgoE9EllbEEZZNS1_14partition_implILS5_9ELb0ES3_jPlS8_PNS0_10empty_typeENS0_5tupleIJS8_S9_EEENSB_IJS8_SA_EEENS0_18inequality_wrapperIZN2at6native12_GLOBAL__N_124unique_dim_cuda_templateIsEESt5tupleIJNSF_6TensorESK_SK_EERKSK_lbbbEUlllE0_EEPmJS9_EEE10hipError_tPvRmT3_T4_T5_T6_T7_T9_mT8_P12ihipStream_tbDpT10_ENKUlT_T0_E_clISt17integral_constantIbLb1EES1A_EEDaS15_S16_EUlS15_E_NS1_11comp_targetILNS1_3genE3ELNS1_11target_archE908ELNS1_3gpuE7ELNS1_3repE0EEENS1_30default_config_static_selectorELNS0_4arch9wavefront6targetE0EEEvT1_: ; @_ZN7rocprim17ROCPRIM_400000_NS6detail17trampoline_kernelINS0_14default_configENS1_25partition_config_selectorILNS1_17partition_subalgoE9EllbEEZZNS1_14partition_implILS5_9ELb0ES3_jPlS8_PNS0_10empty_typeENS0_5tupleIJS8_S9_EEENSB_IJS8_SA_EEENS0_18inequality_wrapperIZN2at6native12_GLOBAL__N_124unique_dim_cuda_templateIsEESt5tupleIJNSF_6TensorESK_SK_EERKSK_lbbbEUlllE0_EEPmJS9_EEE10hipError_tPvRmT3_T4_T5_T6_T7_T9_mT8_P12ihipStream_tbDpT10_ENKUlT_T0_E_clISt17integral_constantIbLb1EES1A_EEDaS15_S16_EUlS15_E_NS1_11comp_targetILNS1_3genE3ELNS1_11target_archE908ELNS1_3gpuE7ELNS1_3repE0EEENS1_30default_config_static_selectorELNS0_4arch9wavefront6targetE0EEEvT1_
; %bb.0:
	.section	.rodata,"a",@progbits
	.p2align	6, 0x0
	.amdhsa_kernel _ZN7rocprim17ROCPRIM_400000_NS6detail17trampoline_kernelINS0_14default_configENS1_25partition_config_selectorILNS1_17partition_subalgoE9EllbEEZZNS1_14partition_implILS5_9ELb0ES3_jPlS8_PNS0_10empty_typeENS0_5tupleIJS8_S9_EEENSB_IJS8_SA_EEENS0_18inequality_wrapperIZN2at6native12_GLOBAL__N_124unique_dim_cuda_templateIsEESt5tupleIJNSF_6TensorESK_SK_EERKSK_lbbbEUlllE0_EEPmJS9_EEE10hipError_tPvRmT3_T4_T5_T6_T7_T9_mT8_P12ihipStream_tbDpT10_ENKUlT_T0_E_clISt17integral_constantIbLb1EES1A_EEDaS15_S16_EUlS15_E_NS1_11comp_targetILNS1_3genE3ELNS1_11target_archE908ELNS1_3gpuE7ELNS1_3repE0EEENS1_30default_config_static_selectorELNS0_4arch9wavefront6targetE0EEEvT1_
		.amdhsa_group_segment_fixed_size 0
		.amdhsa_private_segment_fixed_size 0
		.amdhsa_kernarg_size 136
		.amdhsa_user_sgpr_count 2
		.amdhsa_user_sgpr_dispatch_ptr 0
		.amdhsa_user_sgpr_queue_ptr 0
		.amdhsa_user_sgpr_kernarg_segment_ptr 1
		.amdhsa_user_sgpr_dispatch_id 0
		.amdhsa_user_sgpr_kernarg_preload_length 0
		.amdhsa_user_sgpr_kernarg_preload_offset 0
		.amdhsa_user_sgpr_private_segment_size 0
		.amdhsa_wavefront_size32 1
		.amdhsa_uses_dynamic_stack 0
		.amdhsa_enable_private_segment 0
		.amdhsa_system_sgpr_workgroup_id_x 1
		.amdhsa_system_sgpr_workgroup_id_y 0
		.amdhsa_system_sgpr_workgroup_id_z 0
		.amdhsa_system_sgpr_workgroup_info 0
		.amdhsa_system_vgpr_workitem_id 0
		.amdhsa_next_free_vgpr 1
		.amdhsa_next_free_sgpr 1
		.amdhsa_named_barrier_count 0
		.amdhsa_reserve_vcc 0
		.amdhsa_float_round_mode_32 0
		.amdhsa_float_round_mode_16_64 0
		.amdhsa_float_denorm_mode_32 3
		.amdhsa_float_denorm_mode_16_64 3
		.amdhsa_fp16_overflow 0
		.amdhsa_memory_ordered 1
		.amdhsa_forward_progress 1
		.amdhsa_inst_pref_size 0
		.amdhsa_round_robin_scheduling 0
		.amdhsa_exception_fp_ieee_invalid_op 0
		.amdhsa_exception_fp_denorm_src 0
		.amdhsa_exception_fp_ieee_div_zero 0
		.amdhsa_exception_fp_ieee_overflow 0
		.amdhsa_exception_fp_ieee_underflow 0
		.amdhsa_exception_fp_ieee_inexact 0
		.amdhsa_exception_int_div_zero 0
	.end_amdhsa_kernel
	.section	.text._ZN7rocprim17ROCPRIM_400000_NS6detail17trampoline_kernelINS0_14default_configENS1_25partition_config_selectorILNS1_17partition_subalgoE9EllbEEZZNS1_14partition_implILS5_9ELb0ES3_jPlS8_PNS0_10empty_typeENS0_5tupleIJS8_S9_EEENSB_IJS8_SA_EEENS0_18inequality_wrapperIZN2at6native12_GLOBAL__N_124unique_dim_cuda_templateIsEESt5tupleIJNSF_6TensorESK_SK_EERKSK_lbbbEUlllE0_EEPmJS9_EEE10hipError_tPvRmT3_T4_T5_T6_T7_T9_mT8_P12ihipStream_tbDpT10_ENKUlT_T0_E_clISt17integral_constantIbLb1EES1A_EEDaS15_S16_EUlS15_E_NS1_11comp_targetILNS1_3genE3ELNS1_11target_archE908ELNS1_3gpuE7ELNS1_3repE0EEENS1_30default_config_static_selectorELNS0_4arch9wavefront6targetE0EEEvT1_,"axG",@progbits,_ZN7rocprim17ROCPRIM_400000_NS6detail17trampoline_kernelINS0_14default_configENS1_25partition_config_selectorILNS1_17partition_subalgoE9EllbEEZZNS1_14partition_implILS5_9ELb0ES3_jPlS8_PNS0_10empty_typeENS0_5tupleIJS8_S9_EEENSB_IJS8_SA_EEENS0_18inequality_wrapperIZN2at6native12_GLOBAL__N_124unique_dim_cuda_templateIsEESt5tupleIJNSF_6TensorESK_SK_EERKSK_lbbbEUlllE0_EEPmJS9_EEE10hipError_tPvRmT3_T4_T5_T6_T7_T9_mT8_P12ihipStream_tbDpT10_ENKUlT_T0_E_clISt17integral_constantIbLb1EES1A_EEDaS15_S16_EUlS15_E_NS1_11comp_targetILNS1_3genE3ELNS1_11target_archE908ELNS1_3gpuE7ELNS1_3repE0EEENS1_30default_config_static_selectorELNS0_4arch9wavefront6targetE0EEEvT1_,comdat
.Lfunc_end728:
	.size	_ZN7rocprim17ROCPRIM_400000_NS6detail17trampoline_kernelINS0_14default_configENS1_25partition_config_selectorILNS1_17partition_subalgoE9EllbEEZZNS1_14partition_implILS5_9ELb0ES3_jPlS8_PNS0_10empty_typeENS0_5tupleIJS8_S9_EEENSB_IJS8_SA_EEENS0_18inequality_wrapperIZN2at6native12_GLOBAL__N_124unique_dim_cuda_templateIsEESt5tupleIJNSF_6TensorESK_SK_EERKSK_lbbbEUlllE0_EEPmJS9_EEE10hipError_tPvRmT3_T4_T5_T6_T7_T9_mT8_P12ihipStream_tbDpT10_ENKUlT_T0_E_clISt17integral_constantIbLb1EES1A_EEDaS15_S16_EUlS15_E_NS1_11comp_targetILNS1_3genE3ELNS1_11target_archE908ELNS1_3gpuE7ELNS1_3repE0EEENS1_30default_config_static_selectorELNS0_4arch9wavefront6targetE0EEEvT1_, .Lfunc_end728-_ZN7rocprim17ROCPRIM_400000_NS6detail17trampoline_kernelINS0_14default_configENS1_25partition_config_selectorILNS1_17partition_subalgoE9EllbEEZZNS1_14partition_implILS5_9ELb0ES3_jPlS8_PNS0_10empty_typeENS0_5tupleIJS8_S9_EEENSB_IJS8_SA_EEENS0_18inequality_wrapperIZN2at6native12_GLOBAL__N_124unique_dim_cuda_templateIsEESt5tupleIJNSF_6TensorESK_SK_EERKSK_lbbbEUlllE0_EEPmJS9_EEE10hipError_tPvRmT3_T4_T5_T6_T7_T9_mT8_P12ihipStream_tbDpT10_ENKUlT_T0_E_clISt17integral_constantIbLb1EES1A_EEDaS15_S16_EUlS15_E_NS1_11comp_targetILNS1_3genE3ELNS1_11target_archE908ELNS1_3gpuE7ELNS1_3repE0EEENS1_30default_config_static_selectorELNS0_4arch9wavefront6targetE0EEEvT1_
                                        ; -- End function
	.set _ZN7rocprim17ROCPRIM_400000_NS6detail17trampoline_kernelINS0_14default_configENS1_25partition_config_selectorILNS1_17partition_subalgoE9EllbEEZZNS1_14partition_implILS5_9ELb0ES3_jPlS8_PNS0_10empty_typeENS0_5tupleIJS8_S9_EEENSB_IJS8_SA_EEENS0_18inequality_wrapperIZN2at6native12_GLOBAL__N_124unique_dim_cuda_templateIsEESt5tupleIJNSF_6TensorESK_SK_EERKSK_lbbbEUlllE0_EEPmJS9_EEE10hipError_tPvRmT3_T4_T5_T6_T7_T9_mT8_P12ihipStream_tbDpT10_ENKUlT_T0_E_clISt17integral_constantIbLb1EES1A_EEDaS15_S16_EUlS15_E_NS1_11comp_targetILNS1_3genE3ELNS1_11target_archE908ELNS1_3gpuE7ELNS1_3repE0EEENS1_30default_config_static_selectorELNS0_4arch9wavefront6targetE0EEEvT1_.num_vgpr, 0
	.set _ZN7rocprim17ROCPRIM_400000_NS6detail17trampoline_kernelINS0_14default_configENS1_25partition_config_selectorILNS1_17partition_subalgoE9EllbEEZZNS1_14partition_implILS5_9ELb0ES3_jPlS8_PNS0_10empty_typeENS0_5tupleIJS8_S9_EEENSB_IJS8_SA_EEENS0_18inequality_wrapperIZN2at6native12_GLOBAL__N_124unique_dim_cuda_templateIsEESt5tupleIJNSF_6TensorESK_SK_EERKSK_lbbbEUlllE0_EEPmJS9_EEE10hipError_tPvRmT3_T4_T5_T6_T7_T9_mT8_P12ihipStream_tbDpT10_ENKUlT_T0_E_clISt17integral_constantIbLb1EES1A_EEDaS15_S16_EUlS15_E_NS1_11comp_targetILNS1_3genE3ELNS1_11target_archE908ELNS1_3gpuE7ELNS1_3repE0EEENS1_30default_config_static_selectorELNS0_4arch9wavefront6targetE0EEEvT1_.num_agpr, 0
	.set _ZN7rocprim17ROCPRIM_400000_NS6detail17trampoline_kernelINS0_14default_configENS1_25partition_config_selectorILNS1_17partition_subalgoE9EllbEEZZNS1_14partition_implILS5_9ELb0ES3_jPlS8_PNS0_10empty_typeENS0_5tupleIJS8_S9_EEENSB_IJS8_SA_EEENS0_18inequality_wrapperIZN2at6native12_GLOBAL__N_124unique_dim_cuda_templateIsEESt5tupleIJNSF_6TensorESK_SK_EERKSK_lbbbEUlllE0_EEPmJS9_EEE10hipError_tPvRmT3_T4_T5_T6_T7_T9_mT8_P12ihipStream_tbDpT10_ENKUlT_T0_E_clISt17integral_constantIbLb1EES1A_EEDaS15_S16_EUlS15_E_NS1_11comp_targetILNS1_3genE3ELNS1_11target_archE908ELNS1_3gpuE7ELNS1_3repE0EEENS1_30default_config_static_selectorELNS0_4arch9wavefront6targetE0EEEvT1_.numbered_sgpr, 0
	.set _ZN7rocprim17ROCPRIM_400000_NS6detail17trampoline_kernelINS0_14default_configENS1_25partition_config_selectorILNS1_17partition_subalgoE9EllbEEZZNS1_14partition_implILS5_9ELb0ES3_jPlS8_PNS0_10empty_typeENS0_5tupleIJS8_S9_EEENSB_IJS8_SA_EEENS0_18inequality_wrapperIZN2at6native12_GLOBAL__N_124unique_dim_cuda_templateIsEESt5tupleIJNSF_6TensorESK_SK_EERKSK_lbbbEUlllE0_EEPmJS9_EEE10hipError_tPvRmT3_T4_T5_T6_T7_T9_mT8_P12ihipStream_tbDpT10_ENKUlT_T0_E_clISt17integral_constantIbLb1EES1A_EEDaS15_S16_EUlS15_E_NS1_11comp_targetILNS1_3genE3ELNS1_11target_archE908ELNS1_3gpuE7ELNS1_3repE0EEENS1_30default_config_static_selectorELNS0_4arch9wavefront6targetE0EEEvT1_.num_named_barrier, 0
	.set _ZN7rocprim17ROCPRIM_400000_NS6detail17trampoline_kernelINS0_14default_configENS1_25partition_config_selectorILNS1_17partition_subalgoE9EllbEEZZNS1_14partition_implILS5_9ELb0ES3_jPlS8_PNS0_10empty_typeENS0_5tupleIJS8_S9_EEENSB_IJS8_SA_EEENS0_18inequality_wrapperIZN2at6native12_GLOBAL__N_124unique_dim_cuda_templateIsEESt5tupleIJNSF_6TensorESK_SK_EERKSK_lbbbEUlllE0_EEPmJS9_EEE10hipError_tPvRmT3_T4_T5_T6_T7_T9_mT8_P12ihipStream_tbDpT10_ENKUlT_T0_E_clISt17integral_constantIbLb1EES1A_EEDaS15_S16_EUlS15_E_NS1_11comp_targetILNS1_3genE3ELNS1_11target_archE908ELNS1_3gpuE7ELNS1_3repE0EEENS1_30default_config_static_selectorELNS0_4arch9wavefront6targetE0EEEvT1_.private_seg_size, 0
	.set _ZN7rocprim17ROCPRIM_400000_NS6detail17trampoline_kernelINS0_14default_configENS1_25partition_config_selectorILNS1_17partition_subalgoE9EllbEEZZNS1_14partition_implILS5_9ELb0ES3_jPlS8_PNS0_10empty_typeENS0_5tupleIJS8_S9_EEENSB_IJS8_SA_EEENS0_18inequality_wrapperIZN2at6native12_GLOBAL__N_124unique_dim_cuda_templateIsEESt5tupleIJNSF_6TensorESK_SK_EERKSK_lbbbEUlllE0_EEPmJS9_EEE10hipError_tPvRmT3_T4_T5_T6_T7_T9_mT8_P12ihipStream_tbDpT10_ENKUlT_T0_E_clISt17integral_constantIbLb1EES1A_EEDaS15_S16_EUlS15_E_NS1_11comp_targetILNS1_3genE3ELNS1_11target_archE908ELNS1_3gpuE7ELNS1_3repE0EEENS1_30default_config_static_selectorELNS0_4arch9wavefront6targetE0EEEvT1_.uses_vcc, 0
	.set _ZN7rocprim17ROCPRIM_400000_NS6detail17trampoline_kernelINS0_14default_configENS1_25partition_config_selectorILNS1_17partition_subalgoE9EllbEEZZNS1_14partition_implILS5_9ELb0ES3_jPlS8_PNS0_10empty_typeENS0_5tupleIJS8_S9_EEENSB_IJS8_SA_EEENS0_18inequality_wrapperIZN2at6native12_GLOBAL__N_124unique_dim_cuda_templateIsEESt5tupleIJNSF_6TensorESK_SK_EERKSK_lbbbEUlllE0_EEPmJS9_EEE10hipError_tPvRmT3_T4_T5_T6_T7_T9_mT8_P12ihipStream_tbDpT10_ENKUlT_T0_E_clISt17integral_constantIbLb1EES1A_EEDaS15_S16_EUlS15_E_NS1_11comp_targetILNS1_3genE3ELNS1_11target_archE908ELNS1_3gpuE7ELNS1_3repE0EEENS1_30default_config_static_selectorELNS0_4arch9wavefront6targetE0EEEvT1_.uses_flat_scratch, 0
	.set _ZN7rocprim17ROCPRIM_400000_NS6detail17trampoline_kernelINS0_14default_configENS1_25partition_config_selectorILNS1_17partition_subalgoE9EllbEEZZNS1_14partition_implILS5_9ELb0ES3_jPlS8_PNS0_10empty_typeENS0_5tupleIJS8_S9_EEENSB_IJS8_SA_EEENS0_18inequality_wrapperIZN2at6native12_GLOBAL__N_124unique_dim_cuda_templateIsEESt5tupleIJNSF_6TensorESK_SK_EERKSK_lbbbEUlllE0_EEPmJS9_EEE10hipError_tPvRmT3_T4_T5_T6_T7_T9_mT8_P12ihipStream_tbDpT10_ENKUlT_T0_E_clISt17integral_constantIbLb1EES1A_EEDaS15_S16_EUlS15_E_NS1_11comp_targetILNS1_3genE3ELNS1_11target_archE908ELNS1_3gpuE7ELNS1_3repE0EEENS1_30default_config_static_selectorELNS0_4arch9wavefront6targetE0EEEvT1_.has_dyn_sized_stack, 0
	.set _ZN7rocprim17ROCPRIM_400000_NS6detail17trampoline_kernelINS0_14default_configENS1_25partition_config_selectorILNS1_17partition_subalgoE9EllbEEZZNS1_14partition_implILS5_9ELb0ES3_jPlS8_PNS0_10empty_typeENS0_5tupleIJS8_S9_EEENSB_IJS8_SA_EEENS0_18inequality_wrapperIZN2at6native12_GLOBAL__N_124unique_dim_cuda_templateIsEESt5tupleIJNSF_6TensorESK_SK_EERKSK_lbbbEUlllE0_EEPmJS9_EEE10hipError_tPvRmT3_T4_T5_T6_T7_T9_mT8_P12ihipStream_tbDpT10_ENKUlT_T0_E_clISt17integral_constantIbLb1EES1A_EEDaS15_S16_EUlS15_E_NS1_11comp_targetILNS1_3genE3ELNS1_11target_archE908ELNS1_3gpuE7ELNS1_3repE0EEENS1_30default_config_static_selectorELNS0_4arch9wavefront6targetE0EEEvT1_.has_recursion, 0
	.set _ZN7rocprim17ROCPRIM_400000_NS6detail17trampoline_kernelINS0_14default_configENS1_25partition_config_selectorILNS1_17partition_subalgoE9EllbEEZZNS1_14partition_implILS5_9ELb0ES3_jPlS8_PNS0_10empty_typeENS0_5tupleIJS8_S9_EEENSB_IJS8_SA_EEENS0_18inequality_wrapperIZN2at6native12_GLOBAL__N_124unique_dim_cuda_templateIsEESt5tupleIJNSF_6TensorESK_SK_EERKSK_lbbbEUlllE0_EEPmJS9_EEE10hipError_tPvRmT3_T4_T5_T6_T7_T9_mT8_P12ihipStream_tbDpT10_ENKUlT_T0_E_clISt17integral_constantIbLb1EES1A_EEDaS15_S16_EUlS15_E_NS1_11comp_targetILNS1_3genE3ELNS1_11target_archE908ELNS1_3gpuE7ELNS1_3repE0EEENS1_30default_config_static_selectorELNS0_4arch9wavefront6targetE0EEEvT1_.has_indirect_call, 0
	.section	.AMDGPU.csdata,"",@progbits
; Kernel info:
; codeLenInByte = 0
; TotalNumSgprs: 0
; NumVgprs: 0
; ScratchSize: 0
; MemoryBound: 0
; FloatMode: 240
; IeeeMode: 1
; LDSByteSize: 0 bytes/workgroup (compile time only)
; SGPRBlocks: 0
; VGPRBlocks: 0
; NumSGPRsForWavesPerEU: 1
; NumVGPRsForWavesPerEU: 1
; NamedBarCnt: 0
; Occupancy: 16
; WaveLimiterHint : 0
; COMPUTE_PGM_RSRC2:SCRATCH_EN: 0
; COMPUTE_PGM_RSRC2:USER_SGPR: 2
; COMPUTE_PGM_RSRC2:TRAP_HANDLER: 0
; COMPUTE_PGM_RSRC2:TGID_X_EN: 1
; COMPUTE_PGM_RSRC2:TGID_Y_EN: 0
; COMPUTE_PGM_RSRC2:TGID_Z_EN: 0
; COMPUTE_PGM_RSRC2:TIDIG_COMP_CNT: 0
	.section	.text._ZN7rocprim17ROCPRIM_400000_NS6detail17trampoline_kernelINS0_14default_configENS1_25partition_config_selectorILNS1_17partition_subalgoE9EllbEEZZNS1_14partition_implILS5_9ELb0ES3_jPlS8_PNS0_10empty_typeENS0_5tupleIJS8_S9_EEENSB_IJS8_SA_EEENS0_18inequality_wrapperIZN2at6native12_GLOBAL__N_124unique_dim_cuda_templateIsEESt5tupleIJNSF_6TensorESK_SK_EERKSK_lbbbEUlllE0_EEPmJS9_EEE10hipError_tPvRmT3_T4_T5_T6_T7_T9_mT8_P12ihipStream_tbDpT10_ENKUlT_T0_E_clISt17integral_constantIbLb1EES1A_EEDaS15_S16_EUlS15_E_NS1_11comp_targetILNS1_3genE2ELNS1_11target_archE906ELNS1_3gpuE6ELNS1_3repE0EEENS1_30default_config_static_selectorELNS0_4arch9wavefront6targetE0EEEvT1_,"axG",@progbits,_ZN7rocprim17ROCPRIM_400000_NS6detail17trampoline_kernelINS0_14default_configENS1_25partition_config_selectorILNS1_17partition_subalgoE9EllbEEZZNS1_14partition_implILS5_9ELb0ES3_jPlS8_PNS0_10empty_typeENS0_5tupleIJS8_S9_EEENSB_IJS8_SA_EEENS0_18inequality_wrapperIZN2at6native12_GLOBAL__N_124unique_dim_cuda_templateIsEESt5tupleIJNSF_6TensorESK_SK_EERKSK_lbbbEUlllE0_EEPmJS9_EEE10hipError_tPvRmT3_T4_T5_T6_T7_T9_mT8_P12ihipStream_tbDpT10_ENKUlT_T0_E_clISt17integral_constantIbLb1EES1A_EEDaS15_S16_EUlS15_E_NS1_11comp_targetILNS1_3genE2ELNS1_11target_archE906ELNS1_3gpuE6ELNS1_3repE0EEENS1_30default_config_static_selectorELNS0_4arch9wavefront6targetE0EEEvT1_,comdat
	.globl	_ZN7rocprim17ROCPRIM_400000_NS6detail17trampoline_kernelINS0_14default_configENS1_25partition_config_selectorILNS1_17partition_subalgoE9EllbEEZZNS1_14partition_implILS5_9ELb0ES3_jPlS8_PNS0_10empty_typeENS0_5tupleIJS8_S9_EEENSB_IJS8_SA_EEENS0_18inequality_wrapperIZN2at6native12_GLOBAL__N_124unique_dim_cuda_templateIsEESt5tupleIJNSF_6TensorESK_SK_EERKSK_lbbbEUlllE0_EEPmJS9_EEE10hipError_tPvRmT3_T4_T5_T6_T7_T9_mT8_P12ihipStream_tbDpT10_ENKUlT_T0_E_clISt17integral_constantIbLb1EES1A_EEDaS15_S16_EUlS15_E_NS1_11comp_targetILNS1_3genE2ELNS1_11target_archE906ELNS1_3gpuE6ELNS1_3repE0EEENS1_30default_config_static_selectorELNS0_4arch9wavefront6targetE0EEEvT1_ ; -- Begin function _ZN7rocprim17ROCPRIM_400000_NS6detail17trampoline_kernelINS0_14default_configENS1_25partition_config_selectorILNS1_17partition_subalgoE9EllbEEZZNS1_14partition_implILS5_9ELb0ES3_jPlS8_PNS0_10empty_typeENS0_5tupleIJS8_S9_EEENSB_IJS8_SA_EEENS0_18inequality_wrapperIZN2at6native12_GLOBAL__N_124unique_dim_cuda_templateIsEESt5tupleIJNSF_6TensorESK_SK_EERKSK_lbbbEUlllE0_EEPmJS9_EEE10hipError_tPvRmT3_T4_T5_T6_T7_T9_mT8_P12ihipStream_tbDpT10_ENKUlT_T0_E_clISt17integral_constantIbLb1EES1A_EEDaS15_S16_EUlS15_E_NS1_11comp_targetILNS1_3genE2ELNS1_11target_archE906ELNS1_3gpuE6ELNS1_3repE0EEENS1_30default_config_static_selectorELNS0_4arch9wavefront6targetE0EEEvT1_
	.p2align	8
	.type	_ZN7rocprim17ROCPRIM_400000_NS6detail17trampoline_kernelINS0_14default_configENS1_25partition_config_selectorILNS1_17partition_subalgoE9EllbEEZZNS1_14partition_implILS5_9ELb0ES3_jPlS8_PNS0_10empty_typeENS0_5tupleIJS8_S9_EEENSB_IJS8_SA_EEENS0_18inequality_wrapperIZN2at6native12_GLOBAL__N_124unique_dim_cuda_templateIsEESt5tupleIJNSF_6TensorESK_SK_EERKSK_lbbbEUlllE0_EEPmJS9_EEE10hipError_tPvRmT3_T4_T5_T6_T7_T9_mT8_P12ihipStream_tbDpT10_ENKUlT_T0_E_clISt17integral_constantIbLb1EES1A_EEDaS15_S16_EUlS15_E_NS1_11comp_targetILNS1_3genE2ELNS1_11target_archE906ELNS1_3gpuE6ELNS1_3repE0EEENS1_30default_config_static_selectorELNS0_4arch9wavefront6targetE0EEEvT1_,@function
_ZN7rocprim17ROCPRIM_400000_NS6detail17trampoline_kernelINS0_14default_configENS1_25partition_config_selectorILNS1_17partition_subalgoE9EllbEEZZNS1_14partition_implILS5_9ELb0ES3_jPlS8_PNS0_10empty_typeENS0_5tupleIJS8_S9_EEENSB_IJS8_SA_EEENS0_18inequality_wrapperIZN2at6native12_GLOBAL__N_124unique_dim_cuda_templateIsEESt5tupleIJNSF_6TensorESK_SK_EERKSK_lbbbEUlllE0_EEPmJS9_EEE10hipError_tPvRmT3_T4_T5_T6_T7_T9_mT8_P12ihipStream_tbDpT10_ENKUlT_T0_E_clISt17integral_constantIbLb1EES1A_EEDaS15_S16_EUlS15_E_NS1_11comp_targetILNS1_3genE2ELNS1_11target_archE906ELNS1_3gpuE6ELNS1_3repE0EEENS1_30default_config_static_selectorELNS0_4arch9wavefront6targetE0EEEvT1_: ; @_ZN7rocprim17ROCPRIM_400000_NS6detail17trampoline_kernelINS0_14default_configENS1_25partition_config_selectorILNS1_17partition_subalgoE9EllbEEZZNS1_14partition_implILS5_9ELb0ES3_jPlS8_PNS0_10empty_typeENS0_5tupleIJS8_S9_EEENSB_IJS8_SA_EEENS0_18inequality_wrapperIZN2at6native12_GLOBAL__N_124unique_dim_cuda_templateIsEESt5tupleIJNSF_6TensorESK_SK_EERKSK_lbbbEUlllE0_EEPmJS9_EEE10hipError_tPvRmT3_T4_T5_T6_T7_T9_mT8_P12ihipStream_tbDpT10_ENKUlT_T0_E_clISt17integral_constantIbLb1EES1A_EEDaS15_S16_EUlS15_E_NS1_11comp_targetILNS1_3genE2ELNS1_11target_archE906ELNS1_3gpuE6ELNS1_3repE0EEENS1_30default_config_static_selectorELNS0_4arch9wavefront6targetE0EEEvT1_
; %bb.0:
	.section	.rodata,"a",@progbits
	.p2align	6, 0x0
	.amdhsa_kernel _ZN7rocprim17ROCPRIM_400000_NS6detail17trampoline_kernelINS0_14default_configENS1_25partition_config_selectorILNS1_17partition_subalgoE9EllbEEZZNS1_14partition_implILS5_9ELb0ES3_jPlS8_PNS0_10empty_typeENS0_5tupleIJS8_S9_EEENSB_IJS8_SA_EEENS0_18inequality_wrapperIZN2at6native12_GLOBAL__N_124unique_dim_cuda_templateIsEESt5tupleIJNSF_6TensorESK_SK_EERKSK_lbbbEUlllE0_EEPmJS9_EEE10hipError_tPvRmT3_T4_T5_T6_T7_T9_mT8_P12ihipStream_tbDpT10_ENKUlT_T0_E_clISt17integral_constantIbLb1EES1A_EEDaS15_S16_EUlS15_E_NS1_11comp_targetILNS1_3genE2ELNS1_11target_archE906ELNS1_3gpuE6ELNS1_3repE0EEENS1_30default_config_static_selectorELNS0_4arch9wavefront6targetE0EEEvT1_
		.amdhsa_group_segment_fixed_size 0
		.amdhsa_private_segment_fixed_size 0
		.amdhsa_kernarg_size 136
		.amdhsa_user_sgpr_count 2
		.amdhsa_user_sgpr_dispatch_ptr 0
		.amdhsa_user_sgpr_queue_ptr 0
		.amdhsa_user_sgpr_kernarg_segment_ptr 1
		.amdhsa_user_sgpr_dispatch_id 0
		.amdhsa_user_sgpr_kernarg_preload_length 0
		.amdhsa_user_sgpr_kernarg_preload_offset 0
		.amdhsa_user_sgpr_private_segment_size 0
		.amdhsa_wavefront_size32 1
		.amdhsa_uses_dynamic_stack 0
		.amdhsa_enable_private_segment 0
		.amdhsa_system_sgpr_workgroup_id_x 1
		.amdhsa_system_sgpr_workgroup_id_y 0
		.amdhsa_system_sgpr_workgroup_id_z 0
		.amdhsa_system_sgpr_workgroup_info 0
		.amdhsa_system_vgpr_workitem_id 0
		.amdhsa_next_free_vgpr 1
		.amdhsa_next_free_sgpr 1
		.amdhsa_named_barrier_count 0
		.amdhsa_reserve_vcc 0
		.amdhsa_float_round_mode_32 0
		.amdhsa_float_round_mode_16_64 0
		.amdhsa_float_denorm_mode_32 3
		.amdhsa_float_denorm_mode_16_64 3
		.amdhsa_fp16_overflow 0
		.amdhsa_memory_ordered 1
		.amdhsa_forward_progress 1
		.amdhsa_inst_pref_size 0
		.amdhsa_round_robin_scheduling 0
		.amdhsa_exception_fp_ieee_invalid_op 0
		.amdhsa_exception_fp_denorm_src 0
		.amdhsa_exception_fp_ieee_div_zero 0
		.amdhsa_exception_fp_ieee_overflow 0
		.amdhsa_exception_fp_ieee_underflow 0
		.amdhsa_exception_fp_ieee_inexact 0
		.amdhsa_exception_int_div_zero 0
	.end_amdhsa_kernel
	.section	.text._ZN7rocprim17ROCPRIM_400000_NS6detail17trampoline_kernelINS0_14default_configENS1_25partition_config_selectorILNS1_17partition_subalgoE9EllbEEZZNS1_14partition_implILS5_9ELb0ES3_jPlS8_PNS0_10empty_typeENS0_5tupleIJS8_S9_EEENSB_IJS8_SA_EEENS0_18inequality_wrapperIZN2at6native12_GLOBAL__N_124unique_dim_cuda_templateIsEESt5tupleIJNSF_6TensorESK_SK_EERKSK_lbbbEUlllE0_EEPmJS9_EEE10hipError_tPvRmT3_T4_T5_T6_T7_T9_mT8_P12ihipStream_tbDpT10_ENKUlT_T0_E_clISt17integral_constantIbLb1EES1A_EEDaS15_S16_EUlS15_E_NS1_11comp_targetILNS1_3genE2ELNS1_11target_archE906ELNS1_3gpuE6ELNS1_3repE0EEENS1_30default_config_static_selectorELNS0_4arch9wavefront6targetE0EEEvT1_,"axG",@progbits,_ZN7rocprim17ROCPRIM_400000_NS6detail17trampoline_kernelINS0_14default_configENS1_25partition_config_selectorILNS1_17partition_subalgoE9EllbEEZZNS1_14partition_implILS5_9ELb0ES3_jPlS8_PNS0_10empty_typeENS0_5tupleIJS8_S9_EEENSB_IJS8_SA_EEENS0_18inequality_wrapperIZN2at6native12_GLOBAL__N_124unique_dim_cuda_templateIsEESt5tupleIJNSF_6TensorESK_SK_EERKSK_lbbbEUlllE0_EEPmJS9_EEE10hipError_tPvRmT3_T4_T5_T6_T7_T9_mT8_P12ihipStream_tbDpT10_ENKUlT_T0_E_clISt17integral_constantIbLb1EES1A_EEDaS15_S16_EUlS15_E_NS1_11comp_targetILNS1_3genE2ELNS1_11target_archE906ELNS1_3gpuE6ELNS1_3repE0EEENS1_30default_config_static_selectorELNS0_4arch9wavefront6targetE0EEEvT1_,comdat
.Lfunc_end729:
	.size	_ZN7rocprim17ROCPRIM_400000_NS6detail17trampoline_kernelINS0_14default_configENS1_25partition_config_selectorILNS1_17partition_subalgoE9EllbEEZZNS1_14partition_implILS5_9ELb0ES3_jPlS8_PNS0_10empty_typeENS0_5tupleIJS8_S9_EEENSB_IJS8_SA_EEENS0_18inequality_wrapperIZN2at6native12_GLOBAL__N_124unique_dim_cuda_templateIsEESt5tupleIJNSF_6TensorESK_SK_EERKSK_lbbbEUlllE0_EEPmJS9_EEE10hipError_tPvRmT3_T4_T5_T6_T7_T9_mT8_P12ihipStream_tbDpT10_ENKUlT_T0_E_clISt17integral_constantIbLb1EES1A_EEDaS15_S16_EUlS15_E_NS1_11comp_targetILNS1_3genE2ELNS1_11target_archE906ELNS1_3gpuE6ELNS1_3repE0EEENS1_30default_config_static_selectorELNS0_4arch9wavefront6targetE0EEEvT1_, .Lfunc_end729-_ZN7rocprim17ROCPRIM_400000_NS6detail17trampoline_kernelINS0_14default_configENS1_25partition_config_selectorILNS1_17partition_subalgoE9EllbEEZZNS1_14partition_implILS5_9ELb0ES3_jPlS8_PNS0_10empty_typeENS0_5tupleIJS8_S9_EEENSB_IJS8_SA_EEENS0_18inequality_wrapperIZN2at6native12_GLOBAL__N_124unique_dim_cuda_templateIsEESt5tupleIJNSF_6TensorESK_SK_EERKSK_lbbbEUlllE0_EEPmJS9_EEE10hipError_tPvRmT3_T4_T5_T6_T7_T9_mT8_P12ihipStream_tbDpT10_ENKUlT_T0_E_clISt17integral_constantIbLb1EES1A_EEDaS15_S16_EUlS15_E_NS1_11comp_targetILNS1_3genE2ELNS1_11target_archE906ELNS1_3gpuE6ELNS1_3repE0EEENS1_30default_config_static_selectorELNS0_4arch9wavefront6targetE0EEEvT1_
                                        ; -- End function
	.set _ZN7rocprim17ROCPRIM_400000_NS6detail17trampoline_kernelINS0_14default_configENS1_25partition_config_selectorILNS1_17partition_subalgoE9EllbEEZZNS1_14partition_implILS5_9ELb0ES3_jPlS8_PNS0_10empty_typeENS0_5tupleIJS8_S9_EEENSB_IJS8_SA_EEENS0_18inequality_wrapperIZN2at6native12_GLOBAL__N_124unique_dim_cuda_templateIsEESt5tupleIJNSF_6TensorESK_SK_EERKSK_lbbbEUlllE0_EEPmJS9_EEE10hipError_tPvRmT3_T4_T5_T6_T7_T9_mT8_P12ihipStream_tbDpT10_ENKUlT_T0_E_clISt17integral_constantIbLb1EES1A_EEDaS15_S16_EUlS15_E_NS1_11comp_targetILNS1_3genE2ELNS1_11target_archE906ELNS1_3gpuE6ELNS1_3repE0EEENS1_30default_config_static_selectorELNS0_4arch9wavefront6targetE0EEEvT1_.num_vgpr, 0
	.set _ZN7rocprim17ROCPRIM_400000_NS6detail17trampoline_kernelINS0_14default_configENS1_25partition_config_selectorILNS1_17partition_subalgoE9EllbEEZZNS1_14partition_implILS5_9ELb0ES3_jPlS8_PNS0_10empty_typeENS0_5tupleIJS8_S9_EEENSB_IJS8_SA_EEENS0_18inequality_wrapperIZN2at6native12_GLOBAL__N_124unique_dim_cuda_templateIsEESt5tupleIJNSF_6TensorESK_SK_EERKSK_lbbbEUlllE0_EEPmJS9_EEE10hipError_tPvRmT3_T4_T5_T6_T7_T9_mT8_P12ihipStream_tbDpT10_ENKUlT_T0_E_clISt17integral_constantIbLb1EES1A_EEDaS15_S16_EUlS15_E_NS1_11comp_targetILNS1_3genE2ELNS1_11target_archE906ELNS1_3gpuE6ELNS1_3repE0EEENS1_30default_config_static_selectorELNS0_4arch9wavefront6targetE0EEEvT1_.num_agpr, 0
	.set _ZN7rocprim17ROCPRIM_400000_NS6detail17trampoline_kernelINS0_14default_configENS1_25partition_config_selectorILNS1_17partition_subalgoE9EllbEEZZNS1_14partition_implILS5_9ELb0ES3_jPlS8_PNS0_10empty_typeENS0_5tupleIJS8_S9_EEENSB_IJS8_SA_EEENS0_18inequality_wrapperIZN2at6native12_GLOBAL__N_124unique_dim_cuda_templateIsEESt5tupleIJNSF_6TensorESK_SK_EERKSK_lbbbEUlllE0_EEPmJS9_EEE10hipError_tPvRmT3_T4_T5_T6_T7_T9_mT8_P12ihipStream_tbDpT10_ENKUlT_T0_E_clISt17integral_constantIbLb1EES1A_EEDaS15_S16_EUlS15_E_NS1_11comp_targetILNS1_3genE2ELNS1_11target_archE906ELNS1_3gpuE6ELNS1_3repE0EEENS1_30default_config_static_selectorELNS0_4arch9wavefront6targetE0EEEvT1_.numbered_sgpr, 0
	.set _ZN7rocprim17ROCPRIM_400000_NS6detail17trampoline_kernelINS0_14default_configENS1_25partition_config_selectorILNS1_17partition_subalgoE9EllbEEZZNS1_14partition_implILS5_9ELb0ES3_jPlS8_PNS0_10empty_typeENS0_5tupleIJS8_S9_EEENSB_IJS8_SA_EEENS0_18inequality_wrapperIZN2at6native12_GLOBAL__N_124unique_dim_cuda_templateIsEESt5tupleIJNSF_6TensorESK_SK_EERKSK_lbbbEUlllE0_EEPmJS9_EEE10hipError_tPvRmT3_T4_T5_T6_T7_T9_mT8_P12ihipStream_tbDpT10_ENKUlT_T0_E_clISt17integral_constantIbLb1EES1A_EEDaS15_S16_EUlS15_E_NS1_11comp_targetILNS1_3genE2ELNS1_11target_archE906ELNS1_3gpuE6ELNS1_3repE0EEENS1_30default_config_static_selectorELNS0_4arch9wavefront6targetE0EEEvT1_.num_named_barrier, 0
	.set _ZN7rocprim17ROCPRIM_400000_NS6detail17trampoline_kernelINS0_14default_configENS1_25partition_config_selectorILNS1_17partition_subalgoE9EllbEEZZNS1_14partition_implILS5_9ELb0ES3_jPlS8_PNS0_10empty_typeENS0_5tupleIJS8_S9_EEENSB_IJS8_SA_EEENS0_18inequality_wrapperIZN2at6native12_GLOBAL__N_124unique_dim_cuda_templateIsEESt5tupleIJNSF_6TensorESK_SK_EERKSK_lbbbEUlllE0_EEPmJS9_EEE10hipError_tPvRmT3_T4_T5_T6_T7_T9_mT8_P12ihipStream_tbDpT10_ENKUlT_T0_E_clISt17integral_constantIbLb1EES1A_EEDaS15_S16_EUlS15_E_NS1_11comp_targetILNS1_3genE2ELNS1_11target_archE906ELNS1_3gpuE6ELNS1_3repE0EEENS1_30default_config_static_selectorELNS0_4arch9wavefront6targetE0EEEvT1_.private_seg_size, 0
	.set _ZN7rocprim17ROCPRIM_400000_NS6detail17trampoline_kernelINS0_14default_configENS1_25partition_config_selectorILNS1_17partition_subalgoE9EllbEEZZNS1_14partition_implILS5_9ELb0ES3_jPlS8_PNS0_10empty_typeENS0_5tupleIJS8_S9_EEENSB_IJS8_SA_EEENS0_18inequality_wrapperIZN2at6native12_GLOBAL__N_124unique_dim_cuda_templateIsEESt5tupleIJNSF_6TensorESK_SK_EERKSK_lbbbEUlllE0_EEPmJS9_EEE10hipError_tPvRmT3_T4_T5_T6_T7_T9_mT8_P12ihipStream_tbDpT10_ENKUlT_T0_E_clISt17integral_constantIbLb1EES1A_EEDaS15_S16_EUlS15_E_NS1_11comp_targetILNS1_3genE2ELNS1_11target_archE906ELNS1_3gpuE6ELNS1_3repE0EEENS1_30default_config_static_selectorELNS0_4arch9wavefront6targetE0EEEvT1_.uses_vcc, 0
	.set _ZN7rocprim17ROCPRIM_400000_NS6detail17trampoline_kernelINS0_14default_configENS1_25partition_config_selectorILNS1_17partition_subalgoE9EllbEEZZNS1_14partition_implILS5_9ELb0ES3_jPlS8_PNS0_10empty_typeENS0_5tupleIJS8_S9_EEENSB_IJS8_SA_EEENS0_18inequality_wrapperIZN2at6native12_GLOBAL__N_124unique_dim_cuda_templateIsEESt5tupleIJNSF_6TensorESK_SK_EERKSK_lbbbEUlllE0_EEPmJS9_EEE10hipError_tPvRmT3_T4_T5_T6_T7_T9_mT8_P12ihipStream_tbDpT10_ENKUlT_T0_E_clISt17integral_constantIbLb1EES1A_EEDaS15_S16_EUlS15_E_NS1_11comp_targetILNS1_3genE2ELNS1_11target_archE906ELNS1_3gpuE6ELNS1_3repE0EEENS1_30default_config_static_selectorELNS0_4arch9wavefront6targetE0EEEvT1_.uses_flat_scratch, 0
	.set _ZN7rocprim17ROCPRIM_400000_NS6detail17trampoline_kernelINS0_14default_configENS1_25partition_config_selectorILNS1_17partition_subalgoE9EllbEEZZNS1_14partition_implILS5_9ELb0ES3_jPlS8_PNS0_10empty_typeENS0_5tupleIJS8_S9_EEENSB_IJS8_SA_EEENS0_18inequality_wrapperIZN2at6native12_GLOBAL__N_124unique_dim_cuda_templateIsEESt5tupleIJNSF_6TensorESK_SK_EERKSK_lbbbEUlllE0_EEPmJS9_EEE10hipError_tPvRmT3_T4_T5_T6_T7_T9_mT8_P12ihipStream_tbDpT10_ENKUlT_T0_E_clISt17integral_constantIbLb1EES1A_EEDaS15_S16_EUlS15_E_NS1_11comp_targetILNS1_3genE2ELNS1_11target_archE906ELNS1_3gpuE6ELNS1_3repE0EEENS1_30default_config_static_selectorELNS0_4arch9wavefront6targetE0EEEvT1_.has_dyn_sized_stack, 0
	.set _ZN7rocprim17ROCPRIM_400000_NS6detail17trampoline_kernelINS0_14default_configENS1_25partition_config_selectorILNS1_17partition_subalgoE9EllbEEZZNS1_14partition_implILS5_9ELb0ES3_jPlS8_PNS0_10empty_typeENS0_5tupleIJS8_S9_EEENSB_IJS8_SA_EEENS0_18inequality_wrapperIZN2at6native12_GLOBAL__N_124unique_dim_cuda_templateIsEESt5tupleIJNSF_6TensorESK_SK_EERKSK_lbbbEUlllE0_EEPmJS9_EEE10hipError_tPvRmT3_T4_T5_T6_T7_T9_mT8_P12ihipStream_tbDpT10_ENKUlT_T0_E_clISt17integral_constantIbLb1EES1A_EEDaS15_S16_EUlS15_E_NS1_11comp_targetILNS1_3genE2ELNS1_11target_archE906ELNS1_3gpuE6ELNS1_3repE0EEENS1_30default_config_static_selectorELNS0_4arch9wavefront6targetE0EEEvT1_.has_recursion, 0
	.set _ZN7rocprim17ROCPRIM_400000_NS6detail17trampoline_kernelINS0_14default_configENS1_25partition_config_selectorILNS1_17partition_subalgoE9EllbEEZZNS1_14partition_implILS5_9ELb0ES3_jPlS8_PNS0_10empty_typeENS0_5tupleIJS8_S9_EEENSB_IJS8_SA_EEENS0_18inequality_wrapperIZN2at6native12_GLOBAL__N_124unique_dim_cuda_templateIsEESt5tupleIJNSF_6TensorESK_SK_EERKSK_lbbbEUlllE0_EEPmJS9_EEE10hipError_tPvRmT3_T4_T5_T6_T7_T9_mT8_P12ihipStream_tbDpT10_ENKUlT_T0_E_clISt17integral_constantIbLb1EES1A_EEDaS15_S16_EUlS15_E_NS1_11comp_targetILNS1_3genE2ELNS1_11target_archE906ELNS1_3gpuE6ELNS1_3repE0EEENS1_30default_config_static_selectorELNS0_4arch9wavefront6targetE0EEEvT1_.has_indirect_call, 0
	.section	.AMDGPU.csdata,"",@progbits
; Kernel info:
; codeLenInByte = 0
; TotalNumSgprs: 0
; NumVgprs: 0
; ScratchSize: 0
; MemoryBound: 0
; FloatMode: 240
; IeeeMode: 1
; LDSByteSize: 0 bytes/workgroup (compile time only)
; SGPRBlocks: 0
; VGPRBlocks: 0
; NumSGPRsForWavesPerEU: 1
; NumVGPRsForWavesPerEU: 1
; NamedBarCnt: 0
; Occupancy: 16
; WaveLimiterHint : 0
; COMPUTE_PGM_RSRC2:SCRATCH_EN: 0
; COMPUTE_PGM_RSRC2:USER_SGPR: 2
; COMPUTE_PGM_RSRC2:TRAP_HANDLER: 0
; COMPUTE_PGM_RSRC2:TGID_X_EN: 1
; COMPUTE_PGM_RSRC2:TGID_Y_EN: 0
; COMPUTE_PGM_RSRC2:TGID_Z_EN: 0
; COMPUTE_PGM_RSRC2:TIDIG_COMP_CNT: 0
	.section	.text._ZN7rocprim17ROCPRIM_400000_NS6detail17trampoline_kernelINS0_14default_configENS1_25partition_config_selectorILNS1_17partition_subalgoE9EllbEEZZNS1_14partition_implILS5_9ELb0ES3_jPlS8_PNS0_10empty_typeENS0_5tupleIJS8_S9_EEENSB_IJS8_SA_EEENS0_18inequality_wrapperIZN2at6native12_GLOBAL__N_124unique_dim_cuda_templateIsEESt5tupleIJNSF_6TensorESK_SK_EERKSK_lbbbEUlllE0_EEPmJS9_EEE10hipError_tPvRmT3_T4_T5_T6_T7_T9_mT8_P12ihipStream_tbDpT10_ENKUlT_T0_E_clISt17integral_constantIbLb1EES1A_EEDaS15_S16_EUlS15_E_NS1_11comp_targetILNS1_3genE10ELNS1_11target_archE1200ELNS1_3gpuE4ELNS1_3repE0EEENS1_30default_config_static_selectorELNS0_4arch9wavefront6targetE0EEEvT1_,"axG",@progbits,_ZN7rocprim17ROCPRIM_400000_NS6detail17trampoline_kernelINS0_14default_configENS1_25partition_config_selectorILNS1_17partition_subalgoE9EllbEEZZNS1_14partition_implILS5_9ELb0ES3_jPlS8_PNS0_10empty_typeENS0_5tupleIJS8_S9_EEENSB_IJS8_SA_EEENS0_18inequality_wrapperIZN2at6native12_GLOBAL__N_124unique_dim_cuda_templateIsEESt5tupleIJNSF_6TensorESK_SK_EERKSK_lbbbEUlllE0_EEPmJS9_EEE10hipError_tPvRmT3_T4_T5_T6_T7_T9_mT8_P12ihipStream_tbDpT10_ENKUlT_T0_E_clISt17integral_constantIbLb1EES1A_EEDaS15_S16_EUlS15_E_NS1_11comp_targetILNS1_3genE10ELNS1_11target_archE1200ELNS1_3gpuE4ELNS1_3repE0EEENS1_30default_config_static_selectorELNS0_4arch9wavefront6targetE0EEEvT1_,comdat
	.globl	_ZN7rocprim17ROCPRIM_400000_NS6detail17trampoline_kernelINS0_14default_configENS1_25partition_config_selectorILNS1_17partition_subalgoE9EllbEEZZNS1_14partition_implILS5_9ELb0ES3_jPlS8_PNS0_10empty_typeENS0_5tupleIJS8_S9_EEENSB_IJS8_SA_EEENS0_18inequality_wrapperIZN2at6native12_GLOBAL__N_124unique_dim_cuda_templateIsEESt5tupleIJNSF_6TensorESK_SK_EERKSK_lbbbEUlllE0_EEPmJS9_EEE10hipError_tPvRmT3_T4_T5_T6_T7_T9_mT8_P12ihipStream_tbDpT10_ENKUlT_T0_E_clISt17integral_constantIbLb1EES1A_EEDaS15_S16_EUlS15_E_NS1_11comp_targetILNS1_3genE10ELNS1_11target_archE1200ELNS1_3gpuE4ELNS1_3repE0EEENS1_30default_config_static_selectorELNS0_4arch9wavefront6targetE0EEEvT1_ ; -- Begin function _ZN7rocprim17ROCPRIM_400000_NS6detail17trampoline_kernelINS0_14default_configENS1_25partition_config_selectorILNS1_17partition_subalgoE9EllbEEZZNS1_14partition_implILS5_9ELb0ES3_jPlS8_PNS0_10empty_typeENS0_5tupleIJS8_S9_EEENSB_IJS8_SA_EEENS0_18inequality_wrapperIZN2at6native12_GLOBAL__N_124unique_dim_cuda_templateIsEESt5tupleIJNSF_6TensorESK_SK_EERKSK_lbbbEUlllE0_EEPmJS9_EEE10hipError_tPvRmT3_T4_T5_T6_T7_T9_mT8_P12ihipStream_tbDpT10_ENKUlT_T0_E_clISt17integral_constantIbLb1EES1A_EEDaS15_S16_EUlS15_E_NS1_11comp_targetILNS1_3genE10ELNS1_11target_archE1200ELNS1_3gpuE4ELNS1_3repE0EEENS1_30default_config_static_selectorELNS0_4arch9wavefront6targetE0EEEvT1_
	.p2align	8
	.type	_ZN7rocprim17ROCPRIM_400000_NS6detail17trampoline_kernelINS0_14default_configENS1_25partition_config_selectorILNS1_17partition_subalgoE9EllbEEZZNS1_14partition_implILS5_9ELb0ES3_jPlS8_PNS0_10empty_typeENS0_5tupleIJS8_S9_EEENSB_IJS8_SA_EEENS0_18inequality_wrapperIZN2at6native12_GLOBAL__N_124unique_dim_cuda_templateIsEESt5tupleIJNSF_6TensorESK_SK_EERKSK_lbbbEUlllE0_EEPmJS9_EEE10hipError_tPvRmT3_T4_T5_T6_T7_T9_mT8_P12ihipStream_tbDpT10_ENKUlT_T0_E_clISt17integral_constantIbLb1EES1A_EEDaS15_S16_EUlS15_E_NS1_11comp_targetILNS1_3genE10ELNS1_11target_archE1200ELNS1_3gpuE4ELNS1_3repE0EEENS1_30default_config_static_selectorELNS0_4arch9wavefront6targetE0EEEvT1_,@function
_ZN7rocprim17ROCPRIM_400000_NS6detail17trampoline_kernelINS0_14default_configENS1_25partition_config_selectorILNS1_17partition_subalgoE9EllbEEZZNS1_14partition_implILS5_9ELb0ES3_jPlS8_PNS0_10empty_typeENS0_5tupleIJS8_S9_EEENSB_IJS8_SA_EEENS0_18inequality_wrapperIZN2at6native12_GLOBAL__N_124unique_dim_cuda_templateIsEESt5tupleIJNSF_6TensorESK_SK_EERKSK_lbbbEUlllE0_EEPmJS9_EEE10hipError_tPvRmT3_T4_T5_T6_T7_T9_mT8_P12ihipStream_tbDpT10_ENKUlT_T0_E_clISt17integral_constantIbLb1EES1A_EEDaS15_S16_EUlS15_E_NS1_11comp_targetILNS1_3genE10ELNS1_11target_archE1200ELNS1_3gpuE4ELNS1_3repE0EEENS1_30default_config_static_selectorELNS0_4arch9wavefront6targetE0EEEvT1_: ; @_ZN7rocprim17ROCPRIM_400000_NS6detail17trampoline_kernelINS0_14default_configENS1_25partition_config_selectorILNS1_17partition_subalgoE9EllbEEZZNS1_14partition_implILS5_9ELb0ES3_jPlS8_PNS0_10empty_typeENS0_5tupleIJS8_S9_EEENSB_IJS8_SA_EEENS0_18inequality_wrapperIZN2at6native12_GLOBAL__N_124unique_dim_cuda_templateIsEESt5tupleIJNSF_6TensorESK_SK_EERKSK_lbbbEUlllE0_EEPmJS9_EEE10hipError_tPvRmT3_T4_T5_T6_T7_T9_mT8_P12ihipStream_tbDpT10_ENKUlT_T0_E_clISt17integral_constantIbLb1EES1A_EEDaS15_S16_EUlS15_E_NS1_11comp_targetILNS1_3genE10ELNS1_11target_archE1200ELNS1_3gpuE4ELNS1_3repE0EEENS1_30default_config_static_selectorELNS0_4arch9wavefront6targetE0EEEvT1_
; %bb.0:
	.section	.rodata,"a",@progbits
	.p2align	6, 0x0
	.amdhsa_kernel _ZN7rocprim17ROCPRIM_400000_NS6detail17trampoline_kernelINS0_14default_configENS1_25partition_config_selectorILNS1_17partition_subalgoE9EllbEEZZNS1_14partition_implILS5_9ELb0ES3_jPlS8_PNS0_10empty_typeENS0_5tupleIJS8_S9_EEENSB_IJS8_SA_EEENS0_18inequality_wrapperIZN2at6native12_GLOBAL__N_124unique_dim_cuda_templateIsEESt5tupleIJNSF_6TensorESK_SK_EERKSK_lbbbEUlllE0_EEPmJS9_EEE10hipError_tPvRmT3_T4_T5_T6_T7_T9_mT8_P12ihipStream_tbDpT10_ENKUlT_T0_E_clISt17integral_constantIbLb1EES1A_EEDaS15_S16_EUlS15_E_NS1_11comp_targetILNS1_3genE10ELNS1_11target_archE1200ELNS1_3gpuE4ELNS1_3repE0EEENS1_30default_config_static_selectorELNS0_4arch9wavefront6targetE0EEEvT1_
		.amdhsa_group_segment_fixed_size 0
		.amdhsa_private_segment_fixed_size 0
		.amdhsa_kernarg_size 136
		.amdhsa_user_sgpr_count 2
		.amdhsa_user_sgpr_dispatch_ptr 0
		.amdhsa_user_sgpr_queue_ptr 0
		.amdhsa_user_sgpr_kernarg_segment_ptr 1
		.amdhsa_user_sgpr_dispatch_id 0
		.amdhsa_user_sgpr_kernarg_preload_length 0
		.amdhsa_user_sgpr_kernarg_preload_offset 0
		.amdhsa_user_sgpr_private_segment_size 0
		.amdhsa_wavefront_size32 1
		.amdhsa_uses_dynamic_stack 0
		.amdhsa_enable_private_segment 0
		.amdhsa_system_sgpr_workgroup_id_x 1
		.amdhsa_system_sgpr_workgroup_id_y 0
		.amdhsa_system_sgpr_workgroup_id_z 0
		.amdhsa_system_sgpr_workgroup_info 0
		.amdhsa_system_vgpr_workitem_id 0
		.amdhsa_next_free_vgpr 1
		.amdhsa_next_free_sgpr 1
		.amdhsa_named_barrier_count 0
		.amdhsa_reserve_vcc 0
		.amdhsa_float_round_mode_32 0
		.amdhsa_float_round_mode_16_64 0
		.amdhsa_float_denorm_mode_32 3
		.amdhsa_float_denorm_mode_16_64 3
		.amdhsa_fp16_overflow 0
		.amdhsa_memory_ordered 1
		.amdhsa_forward_progress 1
		.amdhsa_inst_pref_size 0
		.amdhsa_round_robin_scheduling 0
		.amdhsa_exception_fp_ieee_invalid_op 0
		.amdhsa_exception_fp_denorm_src 0
		.amdhsa_exception_fp_ieee_div_zero 0
		.amdhsa_exception_fp_ieee_overflow 0
		.amdhsa_exception_fp_ieee_underflow 0
		.amdhsa_exception_fp_ieee_inexact 0
		.amdhsa_exception_int_div_zero 0
	.end_amdhsa_kernel
	.section	.text._ZN7rocprim17ROCPRIM_400000_NS6detail17trampoline_kernelINS0_14default_configENS1_25partition_config_selectorILNS1_17partition_subalgoE9EllbEEZZNS1_14partition_implILS5_9ELb0ES3_jPlS8_PNS0_10empty_typeENS0_5tupleIJS8_S9_EEENSB_IJS8_SA_EEENS0_18inequality_wrapperIZN2at6native12_GLOBAL__N_124unique_dim_cuda_templateIsEESt5tupleIJNSF_6TensorESK_SK_EERKSK_lbbbEUlllE0_EEPmJS9_EEE10hipError_tPvRmT3_T4_T5_T6_T7_T9_mT8_P12ihipStream_tbDpT10_ENKUlT_T0_E_clISt17integral_constantIbLb1EES1A_EEDaS15_S16_EUlS15_E_NS1_11comp_targetILNS1_3genE10ELNS1_11target_archE1200ELNS1_3gpuE4ELNS1_3repE0EEENS1_30default_config_static_selectorELNS0_4arch9wavefront6targetE0EEEvT1_,"axG",@progbits,_ZN7rocprim17ROCPRIM_400000_NS6detail17trampoline_kernelINS0_14default_configENS1_25partition_config_selectorILNS1_17partition_subalgoE9EllbEEZZNS1_14partition_implILS5_9ELb0ES3_jPlS8_PNS0_10empty_typeENS0_5tupleIJS8_S9_EEENSB_IJS8_SA_EEENS0_18inequality_wrapperIZN2at6native12_GLOBAL__N_124unique_dim_cuda_templateIsEESt5tupleIJNSF_6TensorESK_SK_EERKSK_lbbbEUlllE0_EEPmJS9_EEE10hipError_tPvRmT3_T4_T5_T6_T7_T9_mT8_P12ihipStream_tbDpT10_ENKUlT_T0_E_clISt17integral_constantIbLb1EES1A_EEDaS15_S16_EUlS15_E_NS1_11comp_targetILNS1_3genE10ELNS1_11target_archE1200ELNS1_3gpuE4ELNS1_3repE0EEENS1_30default_config_static_selectorELNS0_4arch9wavefront6targetE0EEEvT1_,comdat
.Lfunc_end730:
	.size	_ZN7rocprim17ROCPRIM_400000_NS6detail17trampoline_kernelINS0_14default_configENS1_25partition_config_selectorILNS1_17partition_subalgoE9EllbEEZZNS1_14partition_implILS5_9ELb0ES3_jPlS8_PNS0_10empty_typeENS0_5tupleIJS8_S9_EEENSB_IJS8_SA_EEENS0_18inequality_wrapperIZN2at6native12_GLOBAL__N_124unique_dim_cuda_templateIsEESt5tupleIJNSF_6TensorESK_SK_EERKSK_lbbbEUlllE0_EEPmJS9_EEE10hipError_tPvRmT3_T4_T5_T6_T7_T9_mT8_P12ihipStream_tbDpT10_ENKUlT_T0_E_clISt17integral_constantIbLb1EES1A_EEDaS15_S16_EUlS15_E_NS1_11comp_targetILNS1_3genE10ELNS1_11target_archE1200ELNS1_3gpuE4ELNS1_3repE0EEENS1_30default_config_static_selectorELNS0_4arch9wavefront6targetE0EEEvT1_, .Lfunc_end730-_ZN7rocprim17ROCPRIM_400000_NS6detail17trampoline_kernelINS0_14default_configENS1_25partition_config_selectorILNS1_17partition_subalgoE9EllbEEZZNS1_14partition_implILS5_9ELb0ES3_jPlS8_PNS0_10empty_typeENS0_5tupleIJS8_S9_EEENSB_IJS8_SA_EEENS0_18inequality_wrapperIZN2at6native12_GLOBAL__N_124unique_dim_cuda_templateIsEESt5tupleIJNSF_6TensorESK_SK_EERKSK_lbbbEUlllE0_EEPmJS9_EEE10hipError_tPvRmT3_T4_T5_T6_T7_T9_mT8_P12ihipStream_tbDpT10_ENKUlT_T0_E_clISt17integral_constantIbLb1EES1A_EEDaS15_S16_EUlS15_E_NS1_11comp_targetILNS1_3genE10ELNS1_11target_archE1200ELNS1_3gpuE4ELNS1_3repE0EEENS1_30default_config_static_selectorELNS0_4arch9wavefront6targetE0EEEvT1_
                                        ; -- End function
	.set _ZN7rocprim17ROCPRIM_400000_NS6detail17trampoline_kernelINS0_14default_configENS1_25partition_config_selectorILNS1_17partition_subalgoE9EllbEEZZNS1_14partition_implILS5_9ELb0ES3_jPlS8_PNS0_10empty_typeENS0_5tupleIJS8_S9_EEENSB_IJS8_SA_EEENS0_18inequality_wrapperIZN2at6native12_GLOBAL__N_124unique_dim_cuda_templateIsEESt5tupleIJNSF_6TensorESK_SK_EERKSK_lbbbEUlllE0_EEPmJS9_EEE10hipError_tPvRmT3_T4_T5_T6_T7_T9_mT8_P12ihipStream_tbDpT10_ENKUlT_T0_E_clISt17integral_constantIbLb1EES1A_EEDaS15_S16_EUlS15_E_NS1_11comp_targetILNS1_3genE10ELNS1_11target_archE1200ELNS1_3gpuE4ELNS1_3repE0EEENS1_30default_config_static_selectorELNS0_4arch9wavefront6targetE0EEEvT1_.num_vgpr, 0
	.set _ZN7rocprim17ROCPRIM_400000_NS6detail17trampoline_kernelINS0_14default_configENS1_25partition_config_selectorILNS1_17partition_subalgoE9EllbEEZZNS1_14partition_implILS5_9ELb0ES3_jPlS8_PNS0_10empty_typeENS0_5tupleIJS8_S9_EEENSB_IJS8_SA_EEENS0_18inequality_wrapperIZN2at6native12_GLOBAL__N_124unique_dim_cuda_templateIsEESt5tupleIJNSF_6TensorESK_SK_EERKSK_lbbbEUlllE0_EEPmJS9_EEE10hipError_tPvRmT3_T4_T5_T6_T7_T9_mT8_P12ihipStream_tbDpT10_ENKUlT_T0_E_clISt17integral_constantIbLb1EES1A_EEDaS15_S16_EUlS15_E_NS1_11comp_targetILNS1_3genE10ELNS1_11target_archE1200ELNS1_3gpuE4ELNS1_3repE0EEENS1_30default_config_static_selectorELNS0_4arch9wavefront6targetE0EEEvT1_.num_agpr, 0
	.set _ZN7rocprim17ROCPRIM_400000_NS6detail17trampoline_kernelINS0_14default_configENS1_25partition_config_selectorILNS1_17partition_subalgoE9EllbEEZZNS1_14partition_implILS5_9ELb0ES3_jPlS8_PNS0_10empty_typeENS0_5tupleIJS8_S9_EEENSB_IJS8_SA_EEENS0_18inequality_wrapperIZN2at6native12_GLOBAL__N_124unique_dim_cuda_templateIsEESt5tupleIJNSF_6TensorESK_SK_EERKSK_lbbbEUlllE0_EEPmJS9_EEE10hipError_tPvRmT3_T4_T5_T6_T7_T9_mT8_P12ihipStream_tbDpT10_ENKUlT_T0_E_clISt17integral_constantIbLb1EES1A_EEDaS15_S16_EUlS15_E_NS1_11comp_targetILNS1_3genE10ELNS1_11target_archE1200ELNS1_3gpuE4ELNS1_3repE0EEENS1_30default_config_static_selectorELNS0_4arch9wavefront6targetE0EEEvT1_.numbered_sgpr, 0
	.set _ZN7rocprim17ROCPRIM_400000_NS6detail17trampoline_kernelINS0_14default_configENS1_25partition_config_selectorILNS1_17partition_subalgoE9EllbEEZZNS1_14partition_implILS5_9ELb0ES3_jPlS8_PNS0_10empty_typeENS0_5tupleIJS8_S9_EEENSB_IJS8_SA_EEENS0_18inequality_wrapperIZN2at6native12_GLOBAL__N_124unique_dim_cuda_templateIsEESt5tupleIJNSF_6TensorESK_SK_EERKSK_lbbbEUlllE0_EEPmJS9_EEE10hipError_tPvRmT3_T4_T5_T6_T7_T9_mT8_P12ihipStream_tbDpT10_ENKUlT_T0_E_clISt17integral_constantIbLb1EES1A_EEDaS15_S16_EUlS15_E_NS1_11comp_targetILNS1_3genE10ELNS1_11target_archE1200ELNS1_3gpuE4ELNS1_3repE0EEENS1_30default_config_static_selectorELNS0_4arch9wavefront6targetE0EEEvT1_.num_named_barrier, 0
	.set _ZN7rocprim17ROCPRIM_400000_NS6detail17trampoline_kernelINS0_14default_configENS1_25partition_config_selectorILNS1_17partition_subalgoE9EllbEEZZNS1_14partition_implILS5_9ELb0ES3_jPlS8_PNS0_10empty_typeENS0_5tupleIJS8_S9_EEENSB_IJS8_SA_EEENS0_18inequality_wrapperIZN2at6native12_GLOBAL__N_124unique_dim_cuda_templateIsEESt5tupleIJNSF_6TensorESK_SK_EERKSK_lbbbEUlllE0_EEPmJS9_EEE10hipError_tPvRmT3_T4_T5_T6_T7_T9_mT8_P12ihipStream_tbDpT10_ENKUlT_T0_E_clISt17integral_constantIbLb1EES1A_EEDaS15_S16_EUlS15_E_NS1_11comp_targetILNS1_3genE10ELNS1_11target_archE1200ELNS1_3gpuE4ELNS1_3repE0EEENS1_30default_config_static_selectorELNS0_4arch9wavefront6targetE0EEEvT1_.private_seg_size, 0
	.set _ZN7rocprim17ROCPRIM_400000_NS6detail17trampoline_kernelINS0_14default_configENS1_25partition_config_selectorILNS1_17partition_subalgoE9EllbEEZZNS1_14partition_implILS5_9ELb0ES3_jPlS8_PNS0_10empty_typeENS0_5tupleIJS8_S9_EEENSB_IJS8_SA_EEENS0_18inequality_wrapperIZN2at6native12_GLOBAL__N_124unique_dim_cuda_templateIsEESt5tupleIJNSF_6TensorESK_SK_EERKSK_lbbbEUlllE0_EEPmJS9_EEE10hipError_tPvRmT3_T4_T5_T6_T7_T9_mT8_P12ihipStream_tbDpT10_ENKUlT_T0_E_clISt17integral_constantIbLb1EES1A_EEDaS15_S16_EUlS15_E_NS1_11comp_targetILNS1_3genE10ELNS1_11target_archE1200ELNS1_3gpuE4ELNS1_3repE0EEENS1_30default_config_static_selectorELNS0_4arch9wavefront6targetE0EEEvT1_.uses_vcc, 0
	.set _ZN7rocprim17ROCPRIM_400000_NS6detail17trampoline_kernelINS0_14default_configENS1_25partition_config_selectorILNS1_17partition_subalgoE9EllbEEZZNS1_14partition_implILS5_9ELb0ES3_jPlS8_PNS0_10empty_typeENS0_5tupleIJS8_S9_EEENSB_IJS8_SA_EEENS0_18inequality_wrapperIZN2at6native12_GLOBAL__N_124unique_dim_cuda_templateIsEESt5tupleIJNSF_6TensorESK_SK_EERKSK_lbbbEUlllE0_EEPmJS9_EEE10hipError_tPvRmT3_T4_T5_T6_T7_T9_mT8_P12ihipStream_tbDpT10_ENKUlT_T0_E_clISt17integral_constantIbLb1EES1A_EEDaS15_S16_EUlS15_E_NS1_11comp_targetILNS1_3genE10ELNS1_11target_archE1200ELNS1_3gpuE4ELNS1_3repE0EEENS1_30default_config_static_selectorELNS0_4arch9wavefront6targetE0EEEvT1_.uses_flat_scratch, 0
	.set _ZN7rocprim17ROCPRIM_400000_NS6detail17trampoline_kernelINS0_14default_configENS1_25partition_config_selectorILNS1_17partition_subalgoE9EllbEEZZNS1_14partition_implILS5_9ELb0ES3_jPlS8_PNS0_10empty_typeENS0_5tupleIJS8_S9_EEENSB_IJS8_SA_EEENS0_18inequality_wrapperIZN2at6native12_GLOBAL__N_124unique_dim_cuda_templateIsEESt5tupleIJNSF_6TensorESK_SK_EERKSK_lbbbEUlllE0_EEPmJS9_EEE10hipError_tPvRmT3_T4_T5_T6_T7_T9_mT8_P12ihipStream_tbDpT10_ENKUlT_T0_E_clISt17integral_constantIbLb1EES1A_EEDaS15_S16_EUlS15_E_NS1_11comp_targetILNS1_3genE10ELNS1_11target_archE1200ELNS1_3gpuE4ELNS1_3repE0EEENS1_30default_config_static_selectorELNS0_4arch9wavefront6targetE0EEEvT1_.has_dyn_sized_stack, 0
	.set _ZN7rocprim17ROCPRIM_400000_NS6detail17trampoline_kernelINS0_14default_configENS1_25partition_config_selectorILNS1_17partition_subalgoE9EllbEEZZNS1_14partition_implILS5_9ELb0ES3_jPlS8_PNS0_10empty_typeENS0_5tupleIJS8_S9_EEENSB_IJS8_SA_EEENS0_18inequality_wrapperIZN2at6native12_GLOBAL__N_124unique_dim_cuda_templateIsEESt5tupleIJNSF_6TensorESK_SK_EERKSK_lbbbEUlllE0_EEPmJS9_EEE10hipError_tPvRmT3_T4_T5_T6_T7_T9_mT8_P12ihipStream_tbDpT10_ENKUlT_T0_E_clISt17integral_constantIbLb1EES1A_EEDaS15_S16_EUlS15_E_NS1_11comp_targetILNS1_3genE10ELNS1_11target_archE1200ELNS1_3gpuE4ELNS1_3repE0EEENS1_30default_config_static_selectorELNS0_4arch9wavefront6targetE0EEEvT1_.has_recursion, 0
	.set _ZN7rocprim17ROCPRIM_400000_NS6detail17trampoline_kernelINS0_14default_configENS1_25partition_config_selectorILNS1_17partition_subalgoE9EllbEEZZNS1_14partition_implILS5_9ELb0ES3_jPlS8_PNS0_10empty_typeENS0_5tupleIJS8_S9_EEENSB_IJS8_SA_EEENS0_18inequality_wrapperIZN2at6native12_GLOBAL__N_124unique_dim_cuda_templateIsEESt5tupleIJNSF_6TensorESK_SK_EERKSK_lbbbEUlllE0_EEPmJS9_EEE10hipError_tPvRmT3_T4_T5_T6_T7_T9_mT8_P12ihipStream_tbDpT10_ENKUlT_T0_E_clISt17integral_constantIbLb1EES1A_EEDaS15_S16_EUlS15_E_NS1_11comp_targetILNS1_3genE10ELNS1_11target_archE1200ELNS1_3gpuE4ELNS1_3repE0EEENS1_30default_config_static_selectorELNS0_4arch9wavefront6targetE0EEEvT1_.has_indirect_call, 0
	.section	.AMDGPU.csdata,"",@progbits
; Kernel info:
; codeLenInByte = 0
; TotalNumSgprs: 0
; NumVgprs: 0
; ScratchSize: 0
; MemoryBound: 0
; FloatMode: 240
; IeeeMode: 1
; LDSByteSize: 0 bytes/workgroup (compile time only)
; SGPRBlocks: 0
; VGPRBlocks: 0
; NumSGPRsForWavesPerEU: 1
; NumVGPRsForWavesPerEU: 1
; NamedBarCnt: 0
; Occupancy: 16
; WaveLimiterHint : 0
; COMPUTE_PGM_RSRC2:SCRATCH_EN: 0
; COMPUTE_PGM_RSRC2:USER_SGPR: 2
; COMPUTE_PGM_RSRC2:TRAP_HANDLER: 0
; COMPUTE_PGM_RSRC2:TGID_X_EN: 1
; COMPUTE_PGM_RSRC2:TGID_Y_EN: 0
; COMPUTE_PGM_RSRC2:TGID_Z_EN: 0
; COMPUTE_PGM_RSRC2:TIDIG_COMP_CNT: 0
	.section	.text._ZN7rocprim17ROCPRIM_400000_NS6detail17trampoline_kernelINS0_14default_configENS1_25partition_config_selectorILNS1_17partition_subalgoE9EllbEEZZNS1_14partition_implILS5_9ELb0ES3_jPlS8_PNS0_10empty_typeENS0_5tupleIJS8_S9_EEENSB_IJS8_SA_EEENS0_18inequality_wrapperIZN2at6native12_GLOBAL__N_124unique_dim_cuda_templateIsEESt5tupleIJNSF_6TensorESK_SK_EERKSK_lbbbEUlllE0_EEPmJS9_EEE10hipError_tPvRmT3_T4_T5_T6_T7_T9_mT8_P12ihipStream_tbDpT10_ENKUlT_T0_E_clISt17integral_constantIbLb1EES1A_EEDaS15_S16_EUlS15_E_NS1_11comp_targetILNS1_3genE9ELNS1_11target_archE1100ELNS1_3gpuE3ELNS1_3repE0EEENS1_30default_config_static_selectorELNS0_4arch9wavefront6targetE0EEEvT1_,"axG",@progbits,_ZN7rocprim17ROCPRIM_400000_NS6detail17trampoline_kernelINS0_14default_configENS1_25partition_config_selectorILNS1_17partition_subalgoE9EllbEEZZNS1_14partition_implILS5_9ELb0ES3_jPlS8_PNS0_10empty_typeENS0_5tupleIJS8_S9_EEENSB_IJS8_SA_EEENS0_18inequality_wrapperIZN2at6native12_GLOBAL__N_124unique_dim_cuda_templateIsEESt5tupleIJNSF_6TensorESK_SK_EERKSK_lbbbEUlllE0_EEPmJS9_EEE10hipError_tPvRmT3_T4_T5_T6_T7_T9_mT8_P12ihipStream_tbDpT10_ENKUlT_T0_E_clISt17integral_constantIbLb1EES1A_EEDaS15_S16_EUlS15_E_NS1_11comp_targetILNS1_3genE9ELNS1_11target_archE1100ELNS1_3gpuE3ELNS1_3repE0EEENS1_30default_config_static_selectorELNS0_4arch9wavefront6targetE0EEEvT1_,comdat
	.globl	_ZN7rocprim17ROCPRIM_400000_NS6detail17trampoline_kernelINS0_14default_configENS1_25partition_config_selectorILNS1_17partition_subalgoE9EllbEEZZNS1_14partition_implILS5_9ELb0ES3_jPlS8_PNS0_10empty_typeENS0_5tupleIJS8_S9_EEENSB_IJS8_SA_EEENS0_18inequality_wrapperIZN2at6native12_GLOBAL__N_124unique_dim_cuda_templateIsEESt5tupleIJNSF_6TensorESK_SK_EERKSK_lbbbEUlllE0_EEPmJS9_EEE10hipError_tPvRmT3_T4_T5_T6_T7_T9_mT8_P12ihipStream_tbDpT10_ENKUlT_T0_E_clISt17integral_constantIbLb1EES1A_EEDaS15_S16_EUlS15_E_NS1_11comp_targetILNS1_3genE9ELNS1_11target_archE1100ELNS1_3gpuE3ELNS1_3repE0EEENS1_30default_config_static_selectorELNS0_4arch9wavefront6targetE0EEEvT1_ ; -- Begin function _ZN7rocprim17ROCPRIM_400000_NS6detail17trampoline_kernelINS0_14default_configENS1_25partition_config_selectorILNS1_17partition_subalgoE9EllbEEZZNS1_14partition_implILS5_9ELb0ES3_jPlS8_PNS0_10empty_typeENS0_5tupleIJS8_S9_EEENSB_IJS8_SA_EEENS0_18inequality_wrapperIZN2at6native12_GLOBAL__N_124unique_dim_cuda_templateIsEESt5tupleIJNSF_6TensorESK_SK_EERKSK_lbbbEUlllE0_EEPmJS9_EEE10hipError_tPvRmT3_T4_T5_T6_T7_T9_mT8_P12ihipStream_tbDpT10_ENKUlT_T0_E_clISt17integral_constantIbLb1EES1A_EEDaS15_S16_EUlS15_E_NS1_11comp_targetILNS1_3genE9ELNS1_11target_archE1100ELNS1_3gpuE3ELNS1_3repE0EEENS1_30default_config_static_selectorELNS0_4arch9wavefront6targetE0EEEvT1_
	.p2align	8
	.type	_ZN7rocprim17ROCPRIM_400000_NS6detail17trampoline_kernelINS0_14default_configENS1_25partition_config_selectorILNS1_17partition_subalgoE9EllbEEZZNS1_14partition_implILS5_9ELb0ES3_jPlS8_PNS0_10empty_typeENS0_5tupleIJS8_S9_EEENSB_IJS8_SA_EEENS0_18inequality_wrapperIZN2at6native12_GLOBAL__N_124unique_dim_cuda_templateIsEESt5tupleIJNSF_6TensorESK_SK_EERKSK_lbbbEUlllE0_EEPmJS9_EEE10hipError_tPvRmT3_T4_T5_T6_T7_T9_mT8_P12ihipStream_tbDpT10_ENKUlT_T0_E_clISt17integral_constantIbLb1EES1A_EEDaS15_S16_EUlS15_E_NS1_11comp_targetILNS1_3genE9ELNS1_11target_archE1100ELNS1_3gpuE3ELNS1_3repE0EEENS1_30default_config_static_selectorELNS0_4arch9wavefront6targetE0EEEvT1_,@function
_ZN7rocprim17ROCPRIM_400000_NS6detail17trampoline_kernelINS0_14default_configENS1_25partition_config_selectorILNS1_17partition_subalgoE9EllbEEZZNS1_14partition_implILS5_9ELb0ES3_jPlS8_PNS0_10empty_typeENS0_5tupleIJS8_S9_EEENSB_IJS8_SA_EEENS0_18inequality_wrapperIZN2at6native12_GLOBAL__N_124unique_dim_cuda_templateIsEESt5tupleIJNSF_6TensorESK_SK_EERKSK_lbbbEUlllE0_EEPmJS9_EEE10hipError_tPvRmT3_T4_T5_T6_T7_T9_mT8_P12ihipStream_tbDpT10_ENKUlT_T0_E_clISt17integral_constantIbLb1EES1A_EEDaS15_S16_EUlS15_E_NS1_11comp_targetILNS1_3genE9ELNS1_11target_archE1100ELNS1_3gpuE3ELNS1_3repE0EEENS1_30default_config_static_selectorELNS0_4arch9wavefront6targetE0EEEvT1_: ; @_ZN7rocprim17ROCPRIM_400000_NS6detail17trampoline_kernelINS0_14default_configENS1_25partition_config_selectorILNS1_17partition_subalgoE9EllbEEZZNS1_14partition_implILS5_9ELb0ES3_jPlS8_PNS0_10empty_typeENS0_5tupleIJS8_S9_EEENSB_IJS8_SA_EEENS0_18inequality_wrapperIZN2at6native12_GLOBAL__N_124unique_dim_cuda_templateIsEESt5tupleIJNSF_6TensorESK_SK_EERKSK_lbbbEUlllE0_EEPmJS9_EEE10hipError_tPvRmT3_T4_T5_T6_T7_T9_mT8_P12ihipStream_tbDpT10_ENKUlT_T0_E_clISt17integral_constantIbLb1EES1A_EEDaS15_S16_EUlS15_E_NS1_11comp_targetILNS1_3genE9ELNS1_11target_archE1100ELNS1_3gpuE3ELNS1_3repE0EEENS1_30default_config_static_selectorELNS0_4arch9wavefront6targetE0EEEvT1_
; %bb.0:
	.section	.rodata,"a",@progbits
	.p2align	6, 0x0
	.amdhsa_kernel _ZN7rocprim17ROCPRIM_400000_NS6detail17trampoline_kernelINS0_14default_configENS1_25partition_config_selectorILNS1_17partition_subalgoE9EllbEEZZNS1_14partition_implILS5_9ELb0ES3_jPlS8_PNS0_10empty_typeENS0_5tupleIJS8_S9_EEENSB_IJS8_SA_EEENS0_18inequality_wrapperIZN2at6native12_GLOBAL__N_124unique_dim_cuda_templateIsEESt5tupleIJNSF_6TensorESK_SK_EERKSK_lbbbEUlllE0_EEPmJS9_EEE10hipError_tPvRmT3_T4_T5_T6_T7_T9_mT8_P12ihipStream_tbDpT10_ENKUlT_T0_E_clISt17integral_constantIbLb1EES1A_EEDaS15_S16_EUlS15_E_NS1_11comp_targetILNS1_3genE9ELNS1_11target_archE1100ELNS1_3gpuE3ELNS1_3repE0EEENS1_30default_config_static_selectorELNS0_4arch9wavefront6targetE0EEEvT1_
		.amdhsa_group_segment_fixed_size 0
		.amdhsa_private_segment_fixed_size 0
		.amdhsa_kernarg_size 136
		.amdhsa_user_sgpr_count 2
		.amdhsa_user_sgpr_dispatch_ptr 0
		.amdhsa_user_sgpr_queue_ptr 0
		.amdhsa_user_sgpr_kernarg_segment_ptr 1
		.amdhsa_user_sgpr_dispatch_id 0
		.amdhsa_user_sgpr_kernarg_preload_length 0
		.amdhsa_user_sgpr_kernarg_preload_offset 0
		.amdhsa_user_sgpr_private_segment_size 0
		.amdhsa_wavefront_size32 1
		.amdhsa_uses_dynamic_stack 0
		.amdhsa_enable_private_segment 0
		.amdhsa_system_sgpr_workgroup_id_x 1
		.amdhsa_system_sgpr_workgroup_id_y 0
		.amdhsa_system_sgpr_workgroup_id_z 0
		.amdhsa_system_sgpr_workgroup_info 0
		.amdhsa_system_vgpr_workitem_id 0
		.amdhsa_next_free_vgpr 1
		.amdhsa_next_free_sgpr 1
		.amdhsa_named_barrier_count 0
		.amdhsa_reserve_vcc 0
		.amdhsa_float_round_mode_32 0
		.amdhsa_float_round_mode_16_64 0
		.amdhsa_float_denorm_mode_32 3
		.amdhsa_float_denorm_mode_16_64 3
		.amdhsa_fp16_overflow 0
		.amdhsa_memory_ordered 1
		.amdhsa_forward_progress 1
		.amdhsa_inst_pref_size 0
		.amdhsa_round_robin_scheduling 0
		.amdhsa_exception_fp_ieee_invalid_op 0
		.amdhsa_exception_fp_denorm_src 0
		.amdhsa_exception_fp_ieee_div_zero 0
		.amdhsa_exception_fp_ieee_overflow 0
		.amdhsa_exception_fp_ieee_underflow 0
		.amdhsa_exception_fp_ieee_inexact 0
		.amdhsa_exception_int_div_zero 0
	.end_amdhsa_kernel
	.section	.text._ZN7rocprim17ROCPRIM_400000_NS6detail17trampoline_kernelINS0_14default_configENS1_25partition_config_selectorILNS1_17partition_subalgoE9EllbEEZZNS1_14partition_implILS5_9ELb0ES3_jPlS8_PNS0_10empty_typeENS0_5tupleIJS8_S9_EEENSB_IJS8_SA_EEENS0_18inequality_wrapperIZN2at6native12_GLOBAL__N_124unique_dim_cuda_templateIsEESt5tupleIJNSF_6TensorESK_SK_EERKSK_lbbbEUlllE0_EEPmJS9_EEE10hipError_tPvRmT3_T4_T5_T6_T7_T9_mT8_P12ihipStream_tbDpT10_ENKUlT_T0_E_clISt17integral_constantIbLb1EES1A_EEDaS15_S16_EUlS15_E_NS1_11comp_targetILNS1_3genE9ELNS1_11target_archE1100ELNS1_3gpuE3ELNS1_3repE0EEENS1_30default_config_static_selectorELNS0_4arch9wavefront6targetE0EEEvT1_,"axG",@progbits,_ZN7rocprim17ROCPRIM_400000_NS6detail17trampoline_kernelINS0_14default_configENS1_25partition_config_selectorILNS1_17partition_subalgoE9EllbEEZZNS1_14partition_implILS5_9ELb0ES3_jPlS8_PNS0_10empty_typeENS0_5tupleIJS8_S9_EEENSB_IJS8_SA_EEENS0_18inequality_wrapperIZN2at6native12_GLOBAL__N_124unique_dim_cuda_templateIsEESt5tupleIJNSF_6TensorESK_SK_EERKSK_lbbbEUlllE0_EEPmJS9_EEE10hipError_tPvRmT3_T4_T5_T6_T7_T9_mT8_P12ihipStream_tbDpT10_ENKUlT_T0_E_clISt17integral_constantIbLb1EES1A_EEDaS15_S16_EUlS15_E_NS1_11comp_targetILNS1_3genE9ELNS1_11target_archE1100ELNS1_3gpuE3ELNS1_3repE0EEENS1_30default_config_static_selectorELNS0_4arch9wavefront6targetE0EEEvT1_,comdat
.Lfunc_end731:
	.size	_ZN7rocprim17ROCPRIM_400000_NS6detail17trampoline_kernelINS0_14default_configENS1_25partition_config_selectorILNS1_17partition_subalgoE9EllbEEZZNS1_14partition_implILS5_9ELb0ES3_jPlS8_PNS0_10empty_typeENS0_5tupleIJS8_S9_EEENSB_IJS8_SA_EEENS0_18inequality_wrapperIZN2at6native12_GLOBAL__N_124unique_dim_cuda_templateIsEESt5tupleIJNSF_6TensorESK_SK_EERKSK_lbbbEUlllE0_EEPmJS9_EEE10hipError_tPvRmT3_T4_T5_T6_T7_T9_mT8_P12ihipStream_tbDpT10_ENKUlT_T0_E_clISt17integral_constantIbLb1EES1A_EEDaS15_S16_EUlS15_E_NS1_11comp_targetILNS1_3genE9ELNS1_11target_archE1100ELNS1_3gpuE3ELNS1_3repE0EEENS1_30default_config_static_selectorELNS0_4arch9wavefront6targetE0EEEvT1_, .Lfunc_end731-_ZN7rocprim17ROCPRIM_400000_NS6detail17trampoline_kernelINS0_14default_configENS1_25partition_config_selectorILNS1_17partition_subalgoE9EllbEEZZNS1_14partition_implILS5_9ELb0ES3_jPlS8_PNS0_10empty_typeENS0_5tupleIJS8_S9_EEENSB_IJS8_SA_EEENS0_18inequality_wrapperIZN2at6native12_GLOBAL__N_124unique_dim_cuda_templateIsEESt5tupleIJNSF_6TensorESK_SK_EERKSK_lbbbEUlllE0_EEPmJS9_EEE10hipError_tPvRmT3_T4_T5_T6_T7_T9_mT8_P12ihipStream_tbDpT10_ENKUlT_T0_E_clISt17integral_constantIbLb1EES1A_EEDaS15_S16_EUlS15_E_NS1_11comp_targetILNS1_3genE9ELNS1_11target_archE1100ELNS1_3gpuE3ELNS1_3repE0EEENS1_30default_config_static_selectorELNS0_4arch9wavefront6targetE0EEEvT1_
                                        ; -- End function
	.set _ZN7rocprim17ROCPRIM_400000_NS6detail17trampoline_kernelINS0_14default_configENS1_25partition_config_selectorILNS1_17partition_subalgoE9EllbEEZZNS1_14partition_implILS5_9ELb0ES3_jPlS8_PNS0_10empty_typeENS0_5tupleIJS8_S9_EEENSB_IJS8_SA_EEENS0_18inequality_wrapperIZN2at6native12_GLOBAL__N_124unique_dim_cuda_templateIsEESt5tupleIJNSF_6TensorESK_SK_EERKSK_lbbbEUlllE0_EEPmJS9_EEE10hipError_tPvRmT3_T4_T5_T6_T7_T9_mT8_P12ihipStream_tbDpT10_ENKUlT_T0_E_clISt17integral_constantIbLb1EES1A_EEDaS15_S16_EUlS15_E_NS1_11comp_targetILNS1_3genE9ELNS1_11target_archE1100ELNS1_3gpuE3ELNS1_3repE0EEENS1_30default_config_static_selectorELNS0_4arch9wavefront6targetE0EEEvT1_.num_vgpr, 0
	.set _ZN7rocprim17ROCPRIM_400000_NS6detail17trampoline_kernelINS0_14default_configENS1_25partition_config_selectorILNS1_17partition_subalgoE9EllbEEZZNS1_14partition_implILS5_9ELb0ES3_jPlS8_PNS0_10empty_typeENS0_5tupleIJS8_S9_EEENSB_IJS8_SA_EEENS0_18inequality_wrapperIZN2at6native12_GLOBAL__N_124unique_dim_cuda_templateIsEESt5tupleIJNSF_6TensorESK_SK_EERKSK_lbbbEUlllE0_EEPmJS9_EEE10hipError_tPvRmT3_T4_T5_T6_T7_T9_mT8_P12ihipStream_tbDpT10_ENKUlT_T0_E_clISt17integral_constantIbLb1EES1A_EEDaS15_S16_EUlS15_E_NS1_11comp_targetILNS1_3genE9ELNS1_11target_archE1100ELNS1_3gpuE3ELNS1_3repE0EEENS1_30default_config_static_selectorELNS0_4arch9wavefront6targetE0EEEvT1_.num_agpr, 0
	.set _ZN7rocprim17ROCPRIM_400000_NS6detail17trampoline_kernelINS0_14default_configENS1_25partition_config_selectorILNS1_17partition_subalgoE9EllbEEZZNS1_14partition_implILS5_9ELb0ES3_jPlS8_PNS0_10empty_typeENS0_5tupleIJS8_S9_EEENSB_IJS8_SA_EEENS0_18inequality_wrapperIZN2at6native12_GLOBAL__N_124unique_dim_cuda_templateIsEESt5tupleIJNSF_6TensorESK_SK_EERKSK_lbbbEUlllE0_EEPmJS9_EEE10hipError_tPvRmT3_T4_T5_T6_T7_T9_mT8_P12ihipStream_tbDpT10_ENKUlT_T0_E_clISt17integral_constantIbLb1EES1A_EEDaS15_S16_EUlS15_E_NS1_11comp_targetILNS1_3genE9ELNS1_11target_archE1100ELNS1_3gpuE3ELNS1_3repE0EEENS1_30default_config_static_selectorELNS0_4arch9wavefront6targetE0EEEvT1_.numbered_sgpr, 0
	.set _ZN7rocprim17ROCPRIM_400000_NS6detail17trampoline_kernelINS0_14default_configENS1_25partition_config_selectorILNS1_17partition_subalgoE9EllbEEZZNS1_14partition_implILS5_9ELb0ES3_jPlS8_PNS0_10empty_typeENS0_5tupleIJS8_S9_EEENSB_IJS8_SA_EEENS0_18inequality_wrapperIZN2at6native12_GLOBAL__N_124unique_dim_cuda_templateIsEESt5tupleIJNSF_6TensorESK_SK_EERKSK_lbbbEUlllE0_EEPmJS9_EEE10hipError_tPvRmT3_T4_T5_T6_T7_T9_mT8_P12ihipStream_tbDpT10_ENKUlT_T0_E_clISt17integral_constantIbLb1EES1A_EEDaS15_S16_EUlS15_E_NS1_11comp_targetILNS1_3genE9ELNS1_11target_archE1100ELNS1_3gpuE3ELNS1_3repE0EEENS1_30default_config_static_selectorELNS0_4arch9wavefront6targetE0EEEvT1_.num_named_barrier, 0
	.set _ZN7rocprim17ROCPRIM_400000_NS6detail17trampoline_kernelINS0_14default_configENS1_25partition_config_selectorILNS1_17partition_subalgoE9EllbEEZZNS1_14partition_implILS5_9ELb0ES3_jPlS8_PNS0_10empty_typeENS0_5tupleIJS8_S9_EEENSB_IJS8_SA_EEENS0_18inequality_wrapperIZN2at6native12_GLOBAL__N_124unique_dim_cuda_templateIsEESt5tupleIJNSF_6TensorESK_SK_EERKSK_lbbbEUlllE0_EEPmJS9_EEE10hipError_tPvRmT3_T4_T5_T6_T7_T9_mT8_P12ihipStream_tbDpT10_ENKUlT_T0_E_clISt17integral_constantIbLb1EES1A_EEDaS15_S16_EUlS15_E_NS1_11comp_targetILNS1_3genE9ELNS1_11target_archE1100ELNS1_3gpuE3ELNS1_3repE0EEENS1_30default_config_static_selectorELNS0_4arch9wavefront6targetE0EEEvT1_.private_seg_size, 0
	.set _ZN7rocprim17ROCPRIM_400000_NS6detail17trampoline_kernelINS0_14default_configENS1_25partition_config_selectorILNS1_17partition_subalgoE9EllbEEZZNS1_14partition_implILS5_9ELb0ES3_jPlS8_PNS0_10empty_typeENS0_5tupleIJS8_S9_EEENSB_IJS8_SA_EEENS0_18inequality_wrapperIZN2at6native12_GLOBAL__N_124unique_dim_cuda_templateIsEESt5tupleIJNSF_6TensorESK_SK_EERKSK_lbbbEUlllE0_EEPmJS9_EEE10hipError_tPvRmT3_T4_T5_T6_T7_T9_mT8_P12ihipStream_tbDpT10_ENKUlT_T0_E_clISt17integral_constantIbLb1EES1A_EEDaS15_S16_EUlS15_E_NS1_11comp_targetILNS1_3genE9ELNS1_11target_archE1100ELNS1_3gpuE3ELNS1_3repE0EEENS1_30default_config_static_selectorELNS0_4arch9wavefront6targetE0EEEvT1_.uses_vcc, 0
	.set _ZN7rocprim17ROCPRIM_400000_NS6detail17trampoline_kernelINS0_14default_configENS1_25partition_config_selectorILNS1_17partition_subalgoE9EllbEEZZNS1_14partition_implILS5_9ELb0ES3_jPlS8_PNS0_10empty_typeENS0_5tupleIJS8_S9_EEENSB_IJS8_SA_EEENS0_18inequality_wrapperIZN2at6native12_GLOBAL__N_124unique_dim_cuda_templateIsEESt5tupleIJNSF_6TensorESK_SK_EERKSK_lbbbEUlllE0_EEPmJS9_EEE10hipError_tPvRmT3_T4_T5_T6_T7_T9_mT8_P12ihipStream_tbDpT10_ENKUlT_T0_E_clISt17integral_constantIbLb1EES1A_EEDaS15_S16_EUlS15_E_NS1_11comp_targetILNS1_3genE9ELNS1_11target_archE1100ELNS1_3gpuE3ELNS1_3repE0EEENS1_30default_config_static_selectorELNS0_4arch9wavefront6targetE0EEEvT1_.uses_flat_scratch, 0
	.set _ZN7rocprim17ROCPRIM_400000_NS6detail17trampoline_kernelINS0_14default_configENS1_25partition_config_selectorILNS1_17partition_subalgoE9EllbEEZZNS1_14partition_implILS5_9ELb0ES3_jPlS8_PNS0_10empty_typeENS0_5tupleIJS8_S9_EEENSB_IJS8_SA_EEENS0_18inequality_wrapperIZN2at6native12_GLOBAL__N_124unique_dim_cuda_templateIsEESt5tupleIJNSF_6TensorESK_SK_EERKSK_lbbbEUlllE0_EEPmJS9_EEE10hipError_tPvRmT3_T4_T5_T6_T7_T9_mT8_P12ihipStream_tbDpT10_ENKUlT_T0_E_clISt17integral_constantIbLb1EES1A_EEDaS15_S16_EUlS15_E_NS1_11comp_targetILNS1_3genE9ELNS1_11target_archE1100ELNS1_3gpuE3ELNS1_3repE0EEENS1_30default_config_static_selectorELNS0_4arch9wavefront6targetE0EEEvT1_.has_dyn_sized_stack, 0
	.set _ZN7rocprim17ROCPRIM_400000_NS6detail17trampoline_kernelINS0_14default_configENS1_25partition_config_selectorILNS1_17partition_subalgoE9EllbEEZZNS1_14partition_implILS5_9ELb0ES3_jPlS8_PNS0_10empty_typeENS0_5tupleIJS8_S9_EEENSB_IJS8_SA_EEENS0_18inequality_wrapperIZN2at6native12_GLOBAL__N_124unique_dim_cuda_templateIsEESt5tupleIJNSF_6TensorESK_SK_EERKSK_lbbbEUlllE0_EEPmJS9_EEE10hipError_tPvRmT3_T4_T5_T6_T7_T9_mT8_P12ihipStream_tbDpT10_ENKUlT_T0_E_clISt17integral_constantIbLb1EES1A_EEDaS15_S16_EUlS15_E_NS1_11comp_targetILNS1_3genE9ELNS1_11target_archE1100ELNS1_3gpuE3ELNS1_3repE0EEENS1_30default_config_static_selectorELNS0_4arch9wavefront6targetE0EEEvT1_.has_recursion, 0
	.set _ZN7rocprim17ROCPRIM_400000_NS6detail17trampoline_kernelINS0_14default_configENS1_25partition_config_selectorILNS1_17partition_subalgoE9EllbEEZZNS1_14partition_implILS5_9ELb0ES3_jPlS8_PNS0_10empty_typeENS0_5tupleIJS8_S9_EEENSB_IJS8_SA_EEENS0_18inequality_wrapperIZN2at6native12_GLOBAL__N_124unique_dim_cuda_templateIsEESt5tupleIJNSF_6TensorESK_SK_EERKSK_lbbbEUlllE0_EEPmJS9_EEE10hipError_tPvRmT3_T4_T5_T6_T7_T9_mT8_P12ihipStream_tbDpT10_ENKUlT_T0_E_clISt17integral_constantIbLb1EES1A_EEDaS15_S16_EUlS15_E_NS1_11comp_targetILNS1_3genE9ELNS1_11target_archE1100ELNS1_3gpuE3ELNS1_3repE0EEENS1_30default_config_static_selectorELNS0_4arch9wavefront6targetE0EEEvT1_.has_indirect_call, 0
	.section	.AMDGPU.csdata,"",@progbits
; Kernel info:
; codeLenInByte = 0
; TotalNumSgprs: 0
; NumVgprs: 0
; ScratchSize: 0
; MemoryBound: 0
; FloatMode: 240
; IeeeMode: 1
; LDSByteSize: 0 bytes/workgroup (compile time only)
; SGPRBlocks: 0
; VGPRBlocks: 0
; NumSGPRsForWavesPerEU: 1
; NumVGPRsForWavesPerEU: 1
; NamedBarCnt: 0
; Occupancy: 16
; WaveLimiterHint : 0
; COMPUTE_PGM_RSRC2:SCRATCH_EN: 0
; COMPUTE_PGM_RSRC2:USER_SGPR: 2
; COMPUTE_PGM_RSRC2:TRAP_HANDLER: 0
; COMPUTE_PGM_RSRC2:TGID_X_EN: 1
; COMPUTE_PGM_RSRC2:TGID_Y_EN: 0
; COMPUTE_PGM_RSRC2:TGID_Z_EN: 0
; COMPUTE_PGM_RSRC2:TIDIG_COMP_CNT: 0
	.section	.text._ZN7rocprim17ROCPRIM_400000_NS6detail17trampoline_kernelINS0_14default_configENS1_25partition_config_selectorILNS1_17partition_subalgoE9EllbEEZZNS1_14partition_implILS5_9ELb0ES3_jPlS8_PNS0_10empty_typeENS0_5tupleIJS8_S9_EEENSB_IJS8_SA_EEENS0_18inequality_wrapperIZN2at6native12_GLOBAL__N_124unique_dim_cuda_templateIsEESt5tupleIJNSF_6TensorESK_SK_EERKSK_lbbbEUlllE0_EEPmJS9_EEE10hipError_tPvRmT3_T4_T5_T6_T7_T9_mT8_P12ihipStream_tbDpT10_ENKUlT_T0_E_clISt17integral_constantIbLb1EES1A_EEDaS15_S16_EUlS15_E_NS1_11comp_targetILNS1_3genE8ELNS1_11target_archE1030ELNS1_3gpuE2ELNS1_3repE0EEENS1_30default_config_static_selectorELNS0_4arch9wavefront6targetE0EEEvT1_,"axG",@progbits,_ZN7rocprim17ROCPRIM_400000_NS6detail17trampoline_kernelINS0_14default_configENS1_25partition_config_selectorILNS1_17partition_subalgoE9EllbEEZZNS1_14partition_implILS5_9ELb0ES3_jPlS8_PNS0_10empty_typeENS0_5tupleIJS8_S9_EEENSB_IJS8_SA_EEENS0_18inequality_wrapperIZN2at6native12_GLOBAL__N_124unique_dim_cuda_templateIsEESt5tupleIJNSF_6TensorESK_SK_EERKSK_lbbbEUlllE0_EEPmJS9_EEE10hipError_tPvRmT3_T4_T5_T6_T7_T9_mT8_P12ihipStream_tbDpT10_ENKUlT_T0_E_clISt17integral_constantIbLb1EES1A_EEDaS15_S16_EUlS15_E_NS1_11comp_targetILNS1_3genE8ELNS1_11target_archE1030ELNS1_3gpuE2ELNS1_3repE0EEENS1_30default_config_static_selectorELNS0_4arch9wavefront6targetE0EEEvT1_,comdat
	.globl	_ZN7rocprim17ROCPRIM_400000_NS6detail17trampoline_kernelINS0_14default_configENS1_25partition_config_selectorILNS1_17partition_subalgoE9EllbEEZZNS1_14partition_implILS5_9ELb0ES3_jPlS8_PNS0_10empty_typeENS0_5tupleIJS8_S9_EEENSB_IJS8_SA_EEENS0_18inequality_wrapperIZN2at6native12_GLOBAL__N_124unique_dim_cuda_templateIsEESt5tupleIJNSF_6TensorESK_SK_EERKSK_lbbbEUlllE0_EEPmJS9_EEE10hipError_tPvRmT3_T4_T5_T6_T7_T9_mT8_P12ihipStream_tbDpT10_ENKUlT_T0_E_clISt17integral_constantIbLb1EES1A_EEDaS15_S16_EUlS15_E_NS1_11comp_targetILNS1_3genE8ELNS1_11target_archE1030ELNS1_3gpuE2ELNS1_3repE0EEENS1_30default_config_static_selectorELNS0_4arch9wavefront6targetE0EEEvT1_ ; -- Begin function _ZN7rocprim17ROCPRIM_400000_NS6detail17trampoline_kernelINS0_14default_configENS1_25partition_config_selectorILNS1_17partition_subalgoE9EllbEEZZNS1_14partition_implILS5_9ELb0ES3_jPlS8_PNS0_10empty_typeENS0_5tupleIJS8_S9_EEENSB_IJS8_SA_EEENS0_18inequality_wrapperIZN2at6native12_GLOBAL__N_124unique_dim_cuda_templateIsEESt5tupleIJNSF_6TensorESK_SK_EERKSK_lbbbEUlllE0_EEPmJS9_EEE10hipError_tPvRmT3_T4_T5_T6_T7_T9_mT8_P12ihipStream_tbDpT10_ENKUlT_T0_E_clISt17integral_constantIbLb1EES1A_EEDaS15_S16_EUlS15_E_NS1_11comp_targetILNS1_3genE8ELNS1_11target_archE1030ELNS1_3gpuE2ELNS1_3repE0EEENS1_30default_config_static_selectorELNS0_4arch9wavefront6targetE0EEEvT1_
	.p2align	8
	.type	_ZN7rocprim17ROCPRIM_400000_NS6detail17trampoline_kernelINS0_14default_configENS1_25partition_config_selectorILNS1_17partition_subalgoE9EllbEEZZNS1_14partition_implILS5_9ELb0ES3_jPlS8_PNS0_10empty_typeENS0_5tupleIJS8_S9_EEENSB_IJS8_SA_EEENS0_18inequality_wrapperIZN2at6native12_GLOBAL__N_124unique_dim_cuda_templateIsEESt5tupleIJNSF_6TensorESK_SK_EERKSK_lbbbEUlllE0_EEPmJS9_EEE10hipError_tPvRmT3_T4_T5_T6_T7_T9_mT8_P12ihipStream_tbDpT10_ENKUlT_T0_E_clISt17integral_constantIbLb1EES1A_EEDaS15_S16_EUlS15_E_NS1_11comp_targetILNS1_3genE8ELNS1_11target_archE1030ELNS1_3gpuE2ELNS1_3repE0EEENS1_30default_config_static_selectorELNS0_4arch9wavefront6targetE0EEEvT1_,@function
_ZN7rocprim17ROCPRIM_400000_NS6detail17trampoline_kernelINS0_14default_configENS1_25partition_config_selectorILNS1_17partition_subalgoE9EllbEEZZNS1_14partition_implILS5_9ELb0ES3_jPlS8_PNS0_10empty_typeENS0_5tupleIJS8_S9_EEENSB_IJS8_SA_EEENS0_18inequality_wrapperIZN2at6native12_GLOBAL__N_124unique_dim_cuda_templateIsEESt5tupleIJNSF_6TensorESK_SK_EERKSK_lbbbEUlllE0_EEPmJS9_EEE10hipError_tPvRmT3_T4_T5_T6_T7_T9_mT8_P12ihipStream_tbDpT10_ENKUlT_T0_E_clISt17integral_constantIbLb1EES1A_EEDaS15_S16_EUlS15_E_NS1_11comp_targetILNS1_3genE8ELNS1_11target_archE1030ELNS1_3gpuE2ELNS1_3repE0EEENS1_30default_config_static_selectorELNS0_4arch9wavefront6targetE0EEEvT1_: ; @_ZN7rocprim17ROCPRIM_400000_NS6detail17trampoline_kernelINS0_14default_configENS1_25partition_config_selectorILNS1_17partition_subalgoE9EllbEEZZNS1_14partition_implILS5_9ELb0ES3_jPlS8_PNS0_10empty_typeENS0_5tupleIJS8_S9_EEENSB_IJS8_SA_EEENS0_18inequality_wrapperIZN2at6native12_GLOBAL__N_124unique_dim_cuda_templateIsEESt5tupleIJNSF_6TensorESK_SK_EERKSK_lbbbEUlllE0_EEPmJS9_EEE10hipError_tPvRmT3_T4_T5_T6_T7_T9_mT8_P12ihipStream_tbDpT10_ENKUlT_T0_E_clISt17integral_constantIbLb1EES1A_EEDaS15_S16_EUlS15_E_NS1_11comp_targetILNS1_3genE8ELNS1_11target_archE1030ELNS1_3gpuE2ELNS1_3repE0EEENS1_30default_config_static_selectorELNS0_4arch9wavefront6targetE0EEEvT1_
; %bb.0:
	.section	.rodata,"a",@progbits
	.p2align	6, 0x0
	.amdhsa_kernel _ZN7rocprim17ROCPRIM_400000_NS6detail17trampoline_kernelINS0_14default_configENS1_25partition_config_selectorILNS1_17partition_subalgoE9EllbEEZZNS1_14partition_implILS5_9ELb0ES3_jPlS8_PNS0_10empty_typeENS0_5tupleIJS8_S9_EEENSB_IJS8_SA_EEENS0_18inequality_wrapperIZN2at6native12_GLOBAL__N_124unique_dim_cuda_templateIsEESt5tupleIJNSF_6TensorESK_SK_EERKSK_lbbbEUlllE0_EEPmJS9_EEE10hipError_tPvRmT3_T4_T5_T6_T7_T9_mT8_P12ihipStream_tbDpT10_ENKUlT_T0_E_clISt17integral_constantIbLb1EES1A_EEDaS15_S16_EUlS15_E_NS1_11comp_targetILNS1_3genE8ELNS1_11target_archE1030ELNS1_3gpuE2ELNS1_3repE0EEENS1_30default_config_static_selectorELNS0_4arch9wavefront6targetE0EEEvT1_
		.amdhsa_group_segment_fixed_size 0
		.amdhsa_private_segment_fixed_size 0
		.amdhsa_kernarg_size 136
		.amdhsa_user_sgpr_count 2
		.amdhsa_user_sgpr_dispatch_ptr 0
		.amdhsa_user_sgpr_queue_ptr 0
		.amdhsa_user_sgpr_kernarg_segment_ptr 1
		.amdhsa_user_sgpr_dispatch_id 0
		.amdhsa_user_sgpr_kernarg_preload_length 0
		.amdhsa_user_sgpr_kernarg_preload_offset 0
		.amdhsa_user_sgpr_private_segment_size 0
		.amdhsa_wavefront_size32 1
		.amdhsa_uses_dynamic_stack 0
		.amdhsa_enable_private_segment 0
		.amdhsa_system_sgpr_workgroup_id_x 1
		.amdhsa_system_sgpr_workgroup_id_y 0
		.amdhsa_system_sgpr_workgroup_id_z 0
		.amdhsa_system_sgpr_workgroup_info 0
		.amdhsa_system_vgpr_workitem_id 0
		.amdhsa_next_free_vgpr 1
		.amdhsa_next_free_sgpr 1
		.amdhsa_named_barrier_count 0
		.amdhsa_reserve_vcc 0
		.amdhsa_float_round_mode_32 0
		.amdhsa_float_round_mode_16_64 0
		.amdhsa_float_denorm_mode_32 3
		.amdhsa_float_denorm_mode_16_64 3
		.amdhsa_fp16_overflow 0
		.amdhsa_memory_ordered 1
		.amdhsa_forward_progress 1
		.amdhsa_inst_pref_size 0
		.amdhsa_round_robin_scheduling 0
		.amdhsa_exception_fp_ieee_invalid_op 0
		.amdhsa_exception_fp_denorm_src 0
		.amdhsa_exception_fp_ieee_div_zero 0
		.amdhsa_exception_fp_ieee_overflow 0
		.amdhsa_exception_fp_ieee_underflow 0
		.amdhsa_exception_fp_ieee_inexact 0
		.amdhsa_exception_int_div_zero 0
	.end_amdhsa_kernel
	.section	.text._ZN7rocprim17ROCPRIM_400000_NS6detail17trampoline_kernelINS0_14default_configENS1_25partition_config_selectorILNS1_17partition_subalgoE9EllbEEZZNS1_14partition_implILS5_9ELb0ES3_jPlS8_PNS0_10empty_typeENS0_5tupleIJS8_S9_EEENSB_IJS8_SA_EEENS0_18inequality_wrapperIZN2at6native12_GLOBAL__N_124unique_dim_cuda_templateIsEESt5tupleIJNSF_6TensorESK_SK_EERKSK_lbbbEUlllE0_EEPmJS9_EEE10hipError_tPvRmT3_T4_T5_T6_T7_T9_mT8_P12ihipStream_tbDpT10_ENKUlT_T0_E_clISt17integral_constantIbLb1EES1A_EEDaS15_S16_EUlS15_E_NS1_11comp_targetILNS1_3genE8ELNS1_11target_archE1030ELNS1_3gpuE2ELNS1_3repE0EEENS1_30default_config_static_selectorELNS0_4arch9wavefront6targetE0EEEvT1_,"axG",@progbits,_ZN7rocprim17ROCPRIM_400000_NS6detail17trampoline_kernelINS0_14default_configENS1_25partition_config_selectorILNS1_17partition_subalgoE9EllbEEZZNS1_14partition_implILS5_9ELb0ES3_jPlS8_PNS0_10empty_typeENS0_5tupleIJS8_S9_EEENSB_IJS8_SA_EEENS0_18inequality_wrapperIZN2at6native12_GLOBAL__N_124unique_dim_cuda_templateIsEESt5tupleIJNSF_6TensorESK_SK_EERKSK_lbbbEUlllE0_EEPmJS9_EEE10hipError_tPvRmT3_T4_T5_T6_T7_T9_mT8_P12ihipStream_tbDpT10_ENKUlT_T0_E_clISt17integral_constantIbLb1EES1A_EEDaS15_S16_EUlS15_E_NS1_11comp_targetILNS1_3genE8ELNS1_11target_archE1030ELNS1_3gpuE2ELNS1_3repE0EEENS1_30default_config_static_selectorELNS0_4arch9wavefront6targetE0EEEvT1_,comdat
.Lfunc_end732:
	.size	_ZN7rocprim17ROCPRIM_400000_NS6detail17trampoline_kernelINS0_14default_configENS1_25partition_config_selectorILNS1_17partition_subalgoE9EllbEEZZNS1_14partition_implILS5_9ELb0ES3_jPlS8_PNS0_10empty_typeENS0_5tupleIJS8_S9_EEENSB_IJS8_SA_EEENS0_18inequality_wrapperIZN2at6native12_GLOBAL__N_124unique_dim_cuda_templateIsEESt5tupleIJNSF_6TensorESK_SK_EERKSK_lbbbEUlllE0_EEPmJS9_EEE10hipError_tPvRmT3_T4_T5_T6_T7_T9_mT8_P12ihipStream_tbDpT10_ENKUlT_T0_E_clISt17integral_constantIbLb1EES1A_EEDaS15_S16_EUlS15_E_NS1_11comp_targetILNS1_3genE8ELNS1_11target_archE1030ELNS1_3gpuE2ELNS1_3repE0EEENS1_30default_config_static_selectorELNS0_4arch9wavefront6targetE0EEEvT1_, .Lfunc_end732-_ZN7rocprim17ROCPRIM_400000_NS6detail17trampoline_kernelINS0_14default_configENS1_25partition_config_selectorILNS1_17partition_subalgoE9EllbEEZZNS1_14partition_implILS5_9ELb0ES3_jPlS8_PNS0_10empty_typeENS0_5tupleIJS8_S9_EEENSB_IJS8_SA_EEENS0_18inequality_wrapperIZN2at6native12_GLOBAL__N_124unique_dim_cuda_templateIsEESt5tupleIJNSF_6TensorESK_SK_EERKSK_lbbbEUlllE0_EEPmJS9_EEE10hipError_tPvRmT3_T4_T5_T6_T7_T9_mT8_P12ihipStream_tbDpT10_ENKUlT_T0_E_clISt17integral_constantIbLb1EES1A_EEDaS15_S16_EUlS15_E_NS1_11comp_targetILNS1_3genE8ELNS1_11target_archE1030ELNS1_3gpuE2ELNS1_3repE0EEENS1_30default_config_static_selectorELNS0_4arch9wavefront6targetE0EEEvT1_
                                        ; -- End function
	.set _ZN7rocprim17ROCPRIM_400000_NS6detail17trampoline_kernelINS0_14default_configENS1_25partition_config_selectorILNS1_17partition_subalgoE9EllbEEZZNS1_14partition_implILS5_9ELb0ES3_jPlS8_PNS0_10empty_typeENS0_5tupleIJS8_S9_EEENSB_IJS8_SA_EEENS0_18inequality_wrapperIZN2at6native12_GLOBAL__N_124unique_dim_cuda_templateIsEESt5tupleIJNSF_6TensorESK_SK_EERKSK_lbbbEUlllE0_EEPmJS9_EEE10hipError_tPvRmT3_T4_T5_T6_T7_T9_mT8_P12ihipStream_tbDpT10_ENKUlT_T0_E_clISt17integral_constantIbLb1EES1A_EEDaS15_S16_EUlS15_E_NS1_11comp_targetILNS1_3genE8ELNS1_11target_archE1030ELNS1_3gpuE2ELNS1_3repE0EEENS1_30default_config_static_selectorELNS0_4arch9wavefront6targetE0EEEvT1_.num_vgpr, 0
	.set _ZN7rocprim17ROCPRIM_400000_NS6detail17trampoline_kernelINS0_14default_configENS1_25partition_config_selectorILNS1_17partition_subalgoE9EllbEEZZNS1_14partition_implILS5_9ELb0ES3_jPlS8_PNS0_10empty_typeENS0_5tupleIJS8_S9_EEENSB_IJS8_SA_EEENS0_18inequality_wrapperIZN2at6native12_GLOBAL__N_124unique_dim_cuda_templateIsEESt5tupleIJNSF_6TensorESK_SK_EERKSK_lbbbEUlllE0_EEPmJS9_EEE10hipError_tPvRmT3_T4_T5_T6_T7_T9_mT8_P12ihipStream_tbDpT10_ENKUlT_T0_E_clISt17integral_constantIbLb1EES1A_EEDaS15_S16_EUlS15_E_NS1_11comp_targetILNS1_3genE8ELNS1_11target_archE1030ELNS1_3gpuE2ELNS1_3repE0EEENS1_30default_config_static_selectorELNS0_4arch9wavefront6targetE0EEEvT1_.num_agpr, 0
	.set _ZN7rocprim17ROCPRIM_400000_NS6detail17trampoline_kernelINS0_14default_configENS1_25partition_config_selectorILNS1_17partition_subalgoE9EllbEEZZNS1_14partition_implILS5_9ELb0ES3_jPlS8_PNS0_10empty_typeENS0_5tupleIJS8_S9_EEENSB_IJS8_SA_EEENS0_18inequality_wrapperIZN2at6native12_GLOBAL__N_124unique_dim_cuda_templateIsEESt5tupleIJNSF_6TensorESK_SK_EERKSK_lbbbEUlllE0_EEPmJS9_EEE10hipError_tPvRmT3_T4_T5_T6_T7_T9_mT8_P12ihipStream_tbDpT10_ENKUlT_T0_E_clISt17integral_constantIbLb1EES1A_EEDaS15_S16_EUlS15_E_NS1_11comp_targetILNS1_3genE8ELNS1_11target_archE1030ELNS1_3gpuE2ELNS1_3repE0EEENS1_30default_config_static_selectorELNS0_4arch9wavefront6targetE0EEEvT1_.numbered_sgpr, 0
	.set _ZN7rocprim17ROCPRIM_400000_NS6detail17trampoline_kernelINS0_14default_configENS1_25partition_config_selectorILNS1_17partition_subalgoE9EllbEEZZNS1_14partition_implILS5_9ELb0ES3_jPlS8_PNS0_10empty_typeENS0_5tupleIJS8_S9_EEENSB_IJS8_SA_EEENS0_18inequality_wrapperIZN2at6native12_GLOBAL__N_124unique_dim_cuda_templateIsEESt5tupleIJNSF_6TensorESK_SK_EERKSK_lbbbEUlllE0_EEPmJS9_EEE10hipError_tPvRmT3_T4_T5_T6_T7_T9_mT8_P12ihipStream_tbDpT10_ENKUlT_T0_E_clISt17integral_constantIbLb1EES1A_EEDaS15_S16_EUlS15_E_NS1_11comp_targetILNS1_3genE8ELNS1_11target_archE1030ELNS1_3gpuE2ELNS1_3repE0EEENS1_30default_config_static_selectorELNS0_4arch9wavefront6targetE0EEEvT1_.num_named_barrier, 0
	.set _ZN7rocprim17ROCPRIM_400000_NS6detail17trampoline_kernelINS0_14default_configENS1_25partition_config_selectorILNS1_17partition_subalgoE9EllbEEZZNS1_14partition_implILS5_9ELb0ES3_jPlS8_PNS0_10empty_typeENS0_5tupleIJS8_S9_EEENSB_IJS8_SA_EEENS0_18inequality_wrapperIZN2at6native12_GLOBAL__N_124unique_dim_cuda_templateIsEESt5tupleIJNSF_6TensorESK_SK_EERKSK_lbbbEUlllE0_EEPmJS9_EEE10hipError_tPvRmT3_T4_T5_T6_T7_T9_mT8_P12ihipStream_tbDpT10_ENKUlT_T0_E_clISt17integral_constantIbLb1EES1A_EEDaS15_S16_EUlS15_E_NS1_11comp_targetILNS1_3genE8ELNS1_11target_archE1030ELNS1_3gpuE2ELNS1_3repE0EEENS1_30default_config_static_selectorELNS0_4arch9wavefront6targetE0EEEvT1_.private_seg_size, 0
	.set _ZN7rocprim17ROCPRIM_400000_NS6detail17trampoline_kernelINS0_14default_configENS1_25partition_config_selectorILNS1_17partition_subalgoE9EllbEEZZNS1_14partition_implILS5_9ELb0ES3_jPlS8_PNS0_10empty_typeENS0_5tupleIJS8_S9_EEENSB_IJS8_SA_EEENS0_18inequality_wrapperIZN2at6native12_GLOBAL__N_124unique_dim_cuda_templateIsEESt5tupleIJNSF_6TensorESK_SK_EERKSK_lbbbEUlllE0_EEPmJS9_EEE10hipError_tPvRmT3_T4_T5_T6_T7_T9_mT8_P12ihipStream_tbDpT10_ENKUlT_T0_E_clISt17integral_constantIbLb1EES1A_EEDaS15_S16_EUlS15_E_NS1_11comp_targetILNS1_3genE8ELNS1_11target_archE1030ELNS1_3gpuE2ELNS1_3repE0EEENS1_30default_config_static_selectorELNS0_4arch9wavefront6targetE0EEEvT1_.uses_vcc, 0
	.set _ZN7rocprim17ROCPRIM_400000_NS6detail17trampoline_kernelINS0_14default_configENS1_25partition_config_selectorILNS1_17partition_subalgoE9EllbEEZZNS1_14partition_implILS5_9ELb0ES3_jPlS8_PNS0_10empty_typeENS0_5tupleIJS8_S9_EEENSB_IJS8_SA_EEENS0_18inequality_wrapperIZN2at6native12_GLOBAL__N_124unique_dim_cuda_templateIsEESt5tupleIJNSF_6TensorESK_SK_EERKSK_lbbbEUlllE0_EEPmJS9_EEE10hipError_tPvRmT3_T4_T5_T6_T7_T9_mT8_P12ihipStream_tbDpT10_ENKUlT_T0_E_clISt17integral_constantIbLb1EES1A_EEDaS15_S16_EUlS15_E_NS1_11comp_targetILNS1_3genE8ELNS1_11target_archE1030ELNS1_3gpuE2ELNS1_3repE0EEENS1_30default_config_static_selectorELNS0_4arch9wavefront6targetE0EEEvT1_.uses_flat_scratch, 0
	.set _ZN7rocprim17ROCPRIM_400000_NS6detail17trampoline_kernelINS0_14default_configENS1_25partition_config_selectorILNS1_17partition_subalgoE9EllbEEZZNS1_14partition_implILS5_9ELb0ES3_jPlS8_PNS0_10empty_typeENS0_5tupleIJS8_S9_EEENSB_IJS8_SA_EEENS0_18inequality_wrapperIZN2at6native12_GLOBAL__N_124unique_dim_cuda_templateIsEESt5tupleIJNSF_6TensorESK_SK_EERKSK_lbbbEUlllE0_EEPmJS9_EEE10hipError_tPvRmT3_T4_T5_T6_T7_T9_mT8_P12ihipStream_tbDpT10_ENKUlT_T0_E_clISt17integral_constantIbLb1EES1A_EEDaS15_S16_EUlS15_E_NS1_11comp_targetILNS1_3genE8ELNS1_11target_archE1030ELNS1_3gpuE2ELNS1_3repE0EEENS1_30default_config_static_selectorELNS0_4arch9wavefront6targetE0EEEvT1_.has_dyn_sized_stack, 0
	.set _ZN7rocprim17ROCPRIM_400000_NS6detail17trampoline_kernelINS0_14default_configENS1_25partition_config_selectorILNS1_17partition_subalgoE9EllbEEZZNS1_14partition_implILS5_9ELb0ES3_jPlS8_PNS0_10empty_typeENS0_5tupleIJS8_S9_EEENSB_IJS8_SA_EEENS0_18inequality_wrapperIZN2at6native12_GLOBAL__N_124unique_dim_cuda_templateIsEESt5tupleIJNSF_6TensorESK_SK_EERKSK_lbbbEUlllE0_EEPmJS9_EEE10hipError_tPvRmT3_T4_T5_T6_T7_T9_mT8_P12ihipStream_tbDpT10_ENKUlT_T0_E_clISt17integral_constantIbLb1EES1A_EEDaS15_S16_EUlS15_E_NS1_11comp_targetILNS1_3genE8ELNS1_11target_archE1030ELNS1_3gpuE2ELNS1_3repE0EEENS1_30default_config_static_selectorELNS0_4arch9wavefront6targetE0EEEvT1_.has_recursion, 0
	.set _ZN7rocprim17ROCPRIM_400000_NS6detail17trampoline_kernelINS0_14default_configENS1_25partition_config_selectorILNS1_17partition_subalgoE9EllbEEZZNS1_14partition_implILS5_9ELb0ES3_jPlS8_PNS0_10empty_typeENS0_5tupleIJS8_S9_EEENSB_IJS8_SA_EEENS0_18inequality_wrapperIZN2at6native12_GLOBAL__N_124unique_dim_cuda_templateIsEESt5tupleIJNSF_6TensorESK_SK_EERKSK_lbbbEUlllE0_EEPmJS9_EEE10hipError_tPvRmT3_T4_T5_T6_T7_T9_mT8_P12ihipStream_tbDpT10_ENKUlT_T0_E_clISt17integral_constantIbLb1EES1A_EEDaS15_S16_EUlS15_E_NS1_11comp_targetILNS1_3genE8ELNS1_11target_archE1030ELNS1_3gpuE2ELNS1_3repE0EEENS1_30default_config_static_selectorELNS0_4arch9wavefront6targetE0EEEvT1_.has_indirect_call, 0
	.section	.AMDGPU.csdata,"",@progbits
; Kernel info:
; codeLenInByte = 0
; TotalNumSgprs: 0
; NumVgprs: 0
; ScratchSize: 0
; MemoryBound: 0
; FloatMode: 240
; IeeeMode: 1
; LDSByteSize: 0 bytes/workgroup (compile time only)
; SGPRBlocks: 0
; VGPRBlocks: 0
; NumSGPRsForWavesPerEU: 1
; NumVGPRsForWavesPerEU: 1
; NamedBarCnt: 0
; Occupancy: 16
; WaveLimiterHint : 0
; COMPUTE_PGM_RSRC2:SCRATCH_EN: 0
; COMPUTE_PGM_RSRC2:USER_SGPR: 2
; COMPUTE_PGM_RSRC2:TRAP_HANDLER: 0
; COMPUTE_PGM_RSRC2:TGID_X_EN: 1
; COMPUTE_PGM_RSRC2:TGID_Y_EN: 0
; COMPUTE_PGM_RSRC2:TGID_Z_EN: 0
; COMPUTE_PGM_RSRC2:TIDIG_COMP_CNT: 0
	.section	.text._ZN7rocprim17ROCPRIM_400000_NS6detail17trampoline_kernelINS0_14default_configENS1_25partition_config_selectorILNS1_17partition_subalgoE9EllbEEZZNS1_14partition_implILS5_9ELb0ES3_jPlS8_PNS0_10empty_typeENS0_5tupleIJS8_S9_EEENSB_IJS8_SA_EEENS0_18inequality_wrapperIZN2at6native12_GLOBAL__N_124unique_dim_cuda_templateIsEESt5tupleIJNSF_6TensorESK_SK_EERKSK_lbbbEUlllE0_EEPmJS9_EEE10hipError_tPvRmT3_T4_T5_T6_T7_T9_mT8_P12ihipStream_tbDpT10_ENKUlT_T0_E_clISt17integral_constantIbLb1EES19_IbLb0EEEEDaS15_S16_EUlS15_E_NS1_11comp_targetILNS1_3genE0ELNS1_11target_archE4294967295ELNS1_3gpuE0ELNS1_3repE0EEENS1_30default_config_static_selectorELNS0_4arch9wavefront6targetE0EEEvT1_,"axG",@progbits,_ZN7rocprim17ROCPRIM_400000_NS6detail17trampoline_kernelINS0_14default_configENS1_25partition_config_selectorILNS1_17partition_subalgoE9EllbEEZZNS1_14partition_implILS5_9ELb0ES3_jPlS8_PNS0_10empty_typeENS0_5tupleIJS8_S9_EEENSB_IJS8_SA_EEENS0_18inequality_wrapperIZN2at6native12_GLOBAL__N_124unique_dim_cuda_templateIsEESt5tupleIJNSF_6TensorESK_SK_EERKSK_lbbbEUlllE0_EEPmJS9_EEE10hipError_tPvRmT3_T4_T5_T6_T7_T9_mT8_P12ihipStream_tbDpT10_ENKUlT_T0_E_clISt17integral_constantIbLb1EES19_IbLb0EEEEDaS15_S16_EUlS15_E_NS1_11comp_targetILNS1_3genE0ELNS1_11target_archE4294967295ELNS1_3gpuE0ELNS1_3repE0EEENS1_30default_config_static_selectorELNS0_4arch9wavefront6targetE0EEEvT1_,comdat
	.globl	_ZN7rocprim17ROCPRIM_400000_NS6detail17trampoline_kernelINS0_14default_configENS1_25partition_config_selectorILNS1_17partition_subalgoE9EllbEEZZNS1_14partition_implILS5_9ELb0ES3_jPlS8_PNS0_10empty_typeENS0_5tupleIJS8_S9_EEENSB_IJS8_SA_EEENS0_18inequality_wrapperIZN2at6native12_GLOBAL__N_124unique_dim_cuda_templateIsEESt5tupleIJNSF_6TensorESK_SK_EERKSK_lbbbEUlllE0_EEPmJS9_EEE10hipError_tPvRmT3_T4_T5_T6_T7_T9_mT8_P12ihipStream_tbDpT10_ENKUlT_T0_E_clISt17integral_constantIbLb1EES19_IbLb0EEEEDaS15_S16_EUlS15_E_NS1_11comp_targetILNS1_3genE0ELNS1_11target_archE4294967295ELNS1_3gpuE0ELNS1_3repE0EEENS1_30default_config_static_selectorELNS0_4arch9wavefront6targetE0EEEvT1_ ; -- Begin function _ZN7rocprim17ROCPRIM_400000_NS6detail17trampoline_kernelINS0_14default_configENS1_25partition_config_selectorILNS1_17partition_subalgoE9EllbEEZZNS1_14partition_implILS5_9ELb0ES3_jPlS8_PNS0_10empty_typeENS0_5tupleIJS8_S9_EEENSB_IJS8_SA_EEENS0_18inequality_wrapperIZN2at6native12_GLOBAL__N_124unique_dim_cuda_templateIsEESt5tupleIJNSF_6TensorESK_SK_EERKSK_lbbbEUlllE0_EEPmJS9_EEE10hipError_tPvRmT3_T4_T5_T6_T7_T9_mT8_P12ihipStream_tbDpT10_ENKUlT_T0_E_clISt17integral_constantIbLb1EES19_IbLb0EEEEDaS15_S16_EUlS15_E_NS1_11comp_targetILNS1_3genE0ELNS1_11target_archE4294967295ELNS1_3gpuE0ELNS1_3repE0EEENS1_30default_config_static_selectorELNS0_4arch9wavefront6targetE0EEEvT1_
	.p2align	8
	.type	_ZN7rocprim17ROCPRIM_400000_NS6detail17trampoline_kernelINS0_14default_configENS1_25partition_config_selectorILNS1_17partition_subalgoE9EllbEEZZNS1_14partition_implILS5_9ELb0ES3_jPlS8_PNS0_10empty_typeENS0_5tupleIJS8_S9_EEENSB_IJS8_SA_EEENS0_18inequality_wrapperIZN2at6native12_GLOBAL__N_124unique_dim_cuda_templateIsEESt5tupleIJNSF_6TensorESK_SK_EERKSK_lbbbEUlllE0_EEPmJS9_EEE10hipError_tPvRmT3_T4_T5_T6_T7_T9_mT8_P12ihipStream_tbDpT10_ENKUlT_T0_E_clISt17integral_constantIbLb1EES19_IbLb0EEEEDaS15_S16_EUlS15_E_NS1_11comp_targetILNS1_3genE0ELNS1_11target_archE4294967295ELNS1_3gpuE0ELNS1_3repE0EEENS1_30default_config_static_selectorELNS0_4arch9wavefront6targetE0EEEvT1_,@function
_ZN7rocprim17ROCPRIM_400000_NS6detail17trampoline_kernelINS0_14default_configENS1_25partition_config_selectorILNS1_17partition_subalgoE9EllbEEZZNS1_14partition_implILS5_9ELb0ES3_jPlS8_PNS0_10empty_typeENS0_5tupleIJS8_S9_EEENSB_IJS8_SA_EEENS0_18inequality_wrapperIZN2at6native12_GLOBAL__N_124unique_dim_cuda_templateIsEESt5tupleIJNSF_6TensorESK_SK_EERKSK_lbbbEUlllE0_EEPmJS9_EEE10hipError_tPvRmT3_T4_T5_T6_T7_T9_mT8_P12ihipStream_tbDpT10_ENKUlT_T0_E_clISt17integral_constantIbLb1EES19_IbLb0EEEEDaS15_S16_EUlS15_E_NS1_11comp_targetILNS1_3genE0ELNS1_11target_archE4294967295ELNS1_3gpuE0ELNS1_3repE0EEENS1_30default_config_static_selectorELNS0_4arch9wavefront6targetE0EEEvT1_: ; @_ZN7rocprim17ROCPRIM_400000_NS6detail17trampoline_kernelINS0_14default_configENS1_25partition_config_selectorILNS1_17partition_subalgoE9EllbEEZZNS1_14partition_implILS5_9ELb0ES3_jPlS8_PNS0_10empty_typeENS0_5tupleIJS8_S9_EEENSB_IJS8_SA_EEENS0_18inequality_wrapperIZN2at6native12_GLOBAL__N_124unique_dim_cuda_templateIsEESt5tupleIJNSF_6TensorESK_SK_EERKSK_lbbbEUlllE0_EEPmJS9_EEE10hipError_tPvRmT3_T4_T5_T6_T7_T9_mT8_P12ihipStream_tbDpT10_ENKUlT_T0_E_clISt17integral_constantIbLb1EES19_IbLb0EEEEDaS15_S16_EUlS15_E_NS1_11comp_targetILNS1_3genE0ELNS1_11target_archE4294967295ELNS1_3gpuE0ELNS1_3repE0EEENS1_30default_config_static_selectorELNS0_4arch9wavefront6targetE0EEEvT1_
; %bb.0:
	s_endpgm
	.section	.rodata,"a",@progbits
	.p2align	6, 0x0
	.amdhsa_kernel _ZN7rocprim17ROCPRIM_400000_NS6detail17trampoline_kernelINS0_14default_configENS1_25partition_config_selectorILNS1_17partition_subalgoE9EllbEEZZNS1_14partition_implILS5_9ELb0ES3_jPlS8_PNS0_10empty_typeENS0_5tupleIJS8_S9_EEENSB_IJS8_SA_EEENS0_18inequality_wrapperIZN2at6native12_GLOBAL__N_124unique_dim_cuda_templateIsEESt5tupleIJNSF_6TensorESK_SK_EERKSK_lbbbEUlllE0_EEPmJS9_EEE10hipError_tPvRmT3_T4_T5_T6_T7_T9_mT8_P12ihipStream_tbDpT10_ENKUlT_T0_E_clISt17integral_constantIbLb1EES19_IbLb0EEEEDaS15_S16_EUlS15_E_NS1_11comp_targetILNS1_3genE0ELNS1_11target_archE4294967295ELNS1_3gpuE0ELNS1_3repE0EEENS1_30default_config_static_selectorELNS0_4arch9wavefront6targetE0EEEvT1_
		.amdhsa_group_segment_fixed_size 0
		.amdhsa_private_segment_fixed_size 0
		.amdhsa_kernarg_size 120
		.amdhsa_user_sgpr_count 2
		.amdhsa_user_sgpr_dispatch_ptr 0
		.amdhsa_user_sgpr_queue_ptr 0
		.amdhsa_user_sgpr_kernarg_segment_ptr 1
		.amdhsa_user_sgpr_dispatch_id 0
		.amdhsa_user_sgpr_kernarg_preload_length 0
		.amdhsa_user_sgpr_kernarg_preload_offset 0
		.amdhsa_user_sgpr_private_segment_size 0
		.amdhsa_wavefront_size32 1
		.amdhsa_uses_dynamic_stack 0
		.amdhsa_enable_private_segment 0
		.amdhsa_system_sgpr_workgroup_id_x 1
		.amdhsa_system_sgpr_workgroup_id_y 0
		.amdhsa_system_sgpr_workgroup_id_z 0
		.amdhsa_system_sgpr_workgroup_info 0
		.amdhsa_system_vgpr_workitem_id 0
		.amdhsa_next_free_vgpr 1
		.amdhsa_next_free_sgpr 1
		.amdhsa_named_barrier_count 0
		.amdhsa_reserve_vcc 0
		.amdhsa_float_round_mode_32 0
		.amdhsa_float_round_mode_16_64 0
		.amdhsa_float_denorm_mode_32 3
		.amdhsa_float_denorm_mode_16_64 3
		.amdhsa_fp16_overflow 0
		.amdhsa_memory_ordered 1
		.amdhsa_forward_progress 1
		.amdhsa_inst_pref_size 1
		.amdhsa_round_robin_scheduling 0
		.amdhsa_exception_fp_ieee_invalid_op 0
		.amdhsa_exception_fp_denorm_src 0
		.amdhsa_exception_fp_ieee_div_zero 0
		.amdhsa_exception_fp_ieee_overflow 0
		.amdhsa_exception_fp_ieee_underflow 0
		.amdhsa_exception_fp_ieee_inexact 0
		.amdhsa_exception_int_div_zero 0
	.end_amdhsa_kernel
	.section	.text._ZN7rocprim17ROCPRIM_400000_NS6detail17trampoline_kernelINS0_14default_configENS1_25partition_config_selectorILNS1_17partition_subalgoE9EllbEEZZNS1_14partition_implILS5_9ELb0ES3_jPlS8_PNS0_10empty_typeENS0_5tupleIJS8_S9_EEENSB_IJS8_SA_EEENS0_18inequality_wrapperIZN2at6native12_GLOBAL__N_124unique_dim_cuda_templateIsEESt5tupleIJNSF_6TensorESK_SK_EERKSK_lbbbEUlllE0_EEPmJS9_EEE10hipError_tPvRmT3_T4_T5_T6_T7_T9_mT8_P12ihipStream_tbDpT10_ENKUlT_T0_E_clISt17integral_constantIbLb1EES19_IbLb0EEEEDaS15_S16_EUlS15_E_NS1_11comp_targetILNS1_3genE0ELNS1_11target_archE4294967295ELNS1_3gpuE0ELNS1_3repE0EEENS1_30default_config_static_selectorELNS0_4arch9wavefront6targetE0EEEvT1_,"axG",@progbits,_ZN7rocprim17ROCPRIM_400000_NS6detail17trampoline_kernelINS0_14default_configENS1_25partition_config_selectorILNS1_17partition_subalgoE9EllbEEZZNS1_14partition_implILS5_9ELb0ES3_jPlS8_PNS0_10empty_typeENS0_5tupleIJS8_S9_EEENSB_IJS8_SA_EEENS0_18inequality_wrapperIZN2at6native12_GLOBAL__N_124unique_dim_cuda_templateIsEESt5tupleIJNSF_6TensorESK_SK_EERKSK_lbbbEUlllE0_EEPmJS9_EEE10hipError_tPvRmT3_T4_T5_T6_T7_T9_mT8_P12ihipStream_tbDpT10_ENKUlT_T0_E_clISt17integral_constantIbLb1EES19_IbLb0EEEEDaS15_S16_EUlS15_E_NS1_11comp_targetILNS1_3genE0ELNS1_11target_archE4294967295ELNS1_3gpuE0ELNS1_3repE0EEENS1_30default_config_static_selectorELNS0_4arch9wavefront6targetE0EEEvT1_,comdat
.Lfunc_end733:
	.size	_ZN7rocprim17ROCPRIM_400000_NS6detail17trampoline_kernelINS0_14default_configENS1_25partition_config_selectorILNS1_17partition_subalgoE9EllbEEZZNS1_14partition_implILS5_9ELb0ES3_jPlS8_PNS0_10empty_typeENS0_5tupleIJS8_S9_EEENSB_IJS8_SA_EEENS0_18inequality_wrapperIZN2at6native12_GLOBAL__N_124unique_dim_cuda_templateIsEESt5tupleIJNSF_6TensorESK_SK_EERKSK_lbbbEUlllE0_EEPmJS9_EEE10hipError_tPvRmT3_T4_T5_T6_T7_T9_mT8_P12ihipStream_tbDpT10_ENKUlT_T0_E_clISt17integral_constantIbLb1EES19_IbLb0EEEEDaS15_S16_EUlS15_E_NS1_11comp_targetILNS1_3genE0ELNS1_11target_archE4294967295ELNS1_3gpuE0ELNS1_3repE0EEENS1_30default_config_static_selectorELNS0_4arch9wavefront6targetE0EEEvT1_, .Lfunc_end733-_ZN7rocprim17ROCPRIM_400000_NS6detail17trampoline_kernelINS0_14default_configENS1_25partition_config_selectorILNS1_17partition_subalgoE9EllbEEZZNS1_14partition_implILS5_9ELb0ES3_jPlS8_PNS0_10empty_typeENS0_5tupleIJS8_S9_EEENSB_IJS8_SA_EEENS0_18inequality_wrapperIZN2at6native12_GLOBAL__N_124unique_dim_cuda_templateIsEESt5tupleIJNSF_6TensorESK_SK_EERKSK_lbbbEUlllE0_EEPmJS9_EEE10hipError_tPvRmT3_T4_T5_T6_T7_T9_mT8_P12ihipStream_tbDpT10_ENKUlT_T0_E_clISt17integral_constantIbLb1EES19_IbLb0EEEEDaS15_S16_EUlS15_E_NS1_11comp_targetILNS1_3genE0ELNS1_11target_archE4294967295ELNS1_3gpuE0ELNS1_3repE0EEENS1_30default_config_static_selectorELNS0_4arch9wavefront6targetE0EEEvT1_
                                        ; -- End function
	.set _ZN7rocprim17ROCPRIM_400000_NS6detail17trampoline_kernelINS0_14default_configENS1_25partition_config_selectorILNS1_17partition_subalgoE9EllbEEZZNS1_14partition_implILS5_9ELb0ES3_jPlS8_PNS0_10empty_typeENS0_5tupleIJS8_S9_EEENSB_IJS8_SA_EEENS0_18inequality_wrapperIZN2at6native12_GLOBAL__N_124unique_dim_cuda_templateIsEESt5tupleIJNSF_6TensorESK_SK_EERKSK_lbbbEUlllE0_EEPmJS9_EEE10hipError_tPvRmT3_T4_T5_T6_T7_T9_mT8_P12ihipStream_tbDpT10_ENKUlT_T0_E_clISt17integral_constantIbLb1EES19_IbLb0EEEEDaS15_S16_EUlS15_E_NS1_11comp_targetILNS1_3genE0ELNS1_11target_archE4294967295ELNS1_3gpuE0ELNS1_3repE0EEENS1_30default_config_static_selectorELNS0_4arch9wavefront6targetE0EEEvT1_.num_vgpr, 0
	.set _ZN7rocprim17ROCPRIM_400000_NS6detail17trampoline_kernelINS0_14default_configENS1_25partition_config_selectorILNS1_17partition_subalgoE9EllbEEZZNS1_14partition_implILS5_9ELb0ES3_jPlS8_PNS0_10empty_typeENS0_5tupleIJS8_S9_EEENSB_IJS8_SA_EEENS0_18inequality_wrapperIZN2at6native12_GLOBAL__N_124unique_dim_cuda_templateIsEESt5tupleIJNSF_6TensorESK_SK_EERKSK_lbbbEUlllE0_EEPmJS9_EEE10hipError_tPvRmT3_T4_T5_T6_T7_T9_mT8_P12ihipStream_tbDpT10_ENKUlT_T0_E_clISt17integral_constantIbLb1EES19_IbLb0EEEEDaS15_S16_EUlS15_E_NS1_11comp_targetILNS1_3genE0ELNS1_11target_archE4294967295ELNS1_3gpuE0ELNS1_3repE0EEENS1_30default_config_static_selectorELNS0_4arch9wavefront6targetE0EEEvT1_.num_agpr, 0
	.set _ZN7rocprim17ROCPRIM_400000_NS6detail17trampoline_kernelINS0_14default_configENS1_25partition_config_selectorILNS1_17partition_subalgoE9EllbEEZZNS1_14partition_implILS5_9ELb0ES3_jPlS8_PNS0_10empty_typeENS0_5tupleIJS8_S9_EEENSB_IJS8_SA_EEENS0_18inequality_wrapperIZN2at6native12_GLOBAL__N_124unique_dim_cuda_templateIsEESt5tupleIJNSF_6TensorESK_SK_EERKSK_lbbbEUlllE0_EEPmJS9_EEE10hipError_tPvRmT3_T4_T5_T6_T7_T9_mT8_P12ihipStream_tbDpT10_ENKUlT_T0_E_clISt17integral_constantIbLb1EES19_IbLb0EEEEDaS15_S16_EUlS15_E_NS1_11comp_targetILNS1_3genE0ELNS1_11target_archE4294967295ELNS1_3gpuE0ELNS1_3repE0EEENS1_30default_config_static_selectorELNS0_4arch9wavefront6targetE0EEEvT1_.numbered_sgpr, 0
	.set _ZN7rocprim17ROCPRIM_400000_NS6detail17trampoline_kernelINS0_14default_configENS1_25partition_config_selectorILNS1_17partition_subalgoE9EllbEEZZNS1_14partition_implILS5_9ELb0ES3_jPlS8_PNS0_10empty_typeENS0_5tupleIJS8_S9_EEENSB_IJS8_SA_EEENS0_18inequality_wrapperIZN2at6native12_GLOBAL__N_124unique_dim_cuda_templateIsEESt5tupleIJNSF_6TensorESK_SK_EERKSK_lbbbEUlllE0_EEPmJS9_EEE10hipError_tPvRmT3_T4_T5_T6_T7_T9_mT8_P12ihipStream_tbDpT10_ENKUlT_T0_E_clISt17integral_constantIbLb1EES19_IbLb0EEEEDaS15_S16_EUlS15_E_NS1_11comp_targetILNS1_3genE0ELNS1_11target_archE4294967295ELNS1_3gpuE0ELNS1_3repE0EEENS1_30default_config_static_selectorELNS0_4arch9wavefront6targetE0EEEvT1_.num_named_barrier, 0
	.set _ZN7rocprim17ROCPRIM_400000_NS6detail17trampoline_kernelINS0_14default_configENS1_25partition_config_selectorILNS1_17partition_subalgoE9EllbEEZZNS1_14partition_implILS5_9ELb0ES3_jPlS8_PNS0_10empty_typeENS0_5tupleIJS8_S9_EEENSB_IJS8_SA_EEENS0_18inequality_wrapperIZN2at6native12_GLOBAL__N_124unique_dim_cuda_templateIsEESt5tupleIJNSF_6TensorESK_SK_EERKSK_lbbbEUlllE0_EEPmJS9_EEE10hipError_tPvRmT3_T4_T5_T6_T7_T9_mT8_P12ihipStream_tbDpT10_ENKUlT_T0_E_clISt17integral_constantIbLb1EES19_IbLb0EEEEDaS15_S16_EUlS15_E_NS1_11comp_targetILNS1_3genE0ELNS1_11target_archE4294967295ELNS1_3gpuE0ELNS1_3repE0EEENS1_30default_config_static_selectorELNS0_4arch9wavefront6targetE0EEEvT1_.private_seg_size, 0
	.set _ZN7rocprim17ROCPRIM_400000_NS6detail17trampoline_kernelINS0_14default_configENS1_25partition_config_selectorILNS1_17partition_subalgoE9EllbEEZZNS1_14partition_implILS5_9ELb0ES3_jPlS8_PNS0_10empty_typeENS0_5tupleIJS8_S9_EEENSB_IJS8_SA_EEENS0_18inequality_wrapperIZN2at6native12_GLOBAL__N_124unique_dim_cuda_templateIsEESt5tupleIJNSF_6TensorESK_SK_EERKSK_lbbbEUlllE0_EEPmJS9_EEE10hipError_tPvRmT3_T4_T5_T6_T7_T9_mT8_P12ihipStream_tbDpT10_ENKUlT_T0_E_clISt17integral_constantIbLb1EES19_IbLb0EEEEDaS15_S16_EUlS15_E_NS1_11comp_targetILNS1_3genE0ELNS1_11target_archE4294967295ELNS1_3gpuE0ELNS1_3repE0EEENS1_30default_config_static_selectorELNS0_4arch9wavefront6targetE0EEEvT1_.uses_vcc, 0
	.set _ZN7rocprim17ROCPRIM_400000_NS6detail17trampoline_kernelINS0_14default_configENS1_25partition_config_selectorILNS1_17partition_subalgoE9EllbEEZZNS1_14partition_implILS5_9ELb0ES3_jPlS8_PNS0_10empty_typeENS0_5tupleIJS8_S9_EEENSB_IJS8_SA_EEENS0_18inequality_wrapperIZN2at6native12_GLOBAL__N_124unique_dim_cuda_templateIsEESt5tupleIJNSF_6TensorESK_SK_EERKSK_lbbbEUlllE0_EEPmJS9_EEE10hipError_tPvRmT3_T4_T5_T6_T7_T9_mT8_P12ihipStream_tbDpT10_ENKUlT_T0_E_clISt17integral_constantIbLb1EES19_IbLb0EEEEDaS15_S16_EUlS15_E_NS1_11comp_targetILNS1_3genE0ELNS1_11target_archE4294967295ELNS1_3gpuE0ELNS1_3repE0EEENS1_30default_config_static_selectorELNS0_4arch9wavefront6targetE0EEEvT1_.uses_flat_scratch, 0
	.set _ZN7rocprim17ROCPRIM_400000_NS6detail17trampoline_kernelINS0_14default_configENS1_25partition_config_selectorILNS1_17partition_subalgoE9EllbEEZZNS1_14partition_implILS5_9ELb0ES3_jPlS8_PNS0_10empty_typeENS0_5tupleIJS8_S9_EEENSB_IJS8_SA_EEENS0_18inequality_wrapperIZN2at6native12_GLOBAL__N_124unique_dim_cuda_templateIsEESt5tupleIJNSF_6TensorESK_SK_EERKSK_lbbbEUlllE0_EEPmJS9_EEE10hipError_tPvRmT3_T4_T5_T6_T7_T9_mT8_P12ihipStream_tbDpT10_ENKUlT_T0_E_clISt17integral_constantIbLb1EES19_IbLb0EEEEDaS15_S16_EUlS15_E_NS1_11comp_targetILNS1_3genE0ELNS1_11target_archE4294967295ELNS1_3gpuE0ELNS1_3repE0EEENS1_30default_config_static_selectorELNS0_4arch9wavefront6targetE0EEEvT1_.has_dyn_sized_stack, 0
	.set _ZN7rocprim17ROCPRIM_400000_NS6detail17trampoline_kernelINS0_14default_configENS1_25partition_config_selectorILNS1_17partition_subalgoE9EllbEEZZNS1_14partition_implILS5_9ELb0ES3_jPlS8_PNS0_10empty_typeENS0_5tupleIJS8_S9_EEENSB_IJS8_SA_EEENS0_18inequality_wrapperIZN2at6native12_GLOBAL__N_124unique_dim_cuda_templateIsEESt5tupleIJNSF_6TensorESK_SK_EERKSK_lbbbEUlllE0_EEPmJS9_EEE10hipError_tPvRmT3_T4_T5_T6_T7_T9_mT8_P12ihipStream_tbDpT10_ENKUlT_T0_E_clISt17integral_constantIbLb1EES19_IbLb0EEEEDaS15_S16_EUlS15_E_NS1_11comp_targetILNS1_3genE0ELNS1_11target_archE4294967295ELNS1_3gpuE0ELNS1_3repE0EEENS1_30default_config_static_selectorELNS0_4arch9wavefront6targetE0EEEvT1_.has_recursion, 0
	.set _ZN7rocprim17ROCPRIM_400000_NS6detail17trampoline_kernelINS0_14default_configENS1_25partition_config_selectorILNS1_17partition_subalgoE9EllbEEZZNS1_14partition_implILS5_9ELb0ES3_jPlS8_PNS0_10empty_typeENS0_5tupleIJS8_S9_EEENSB_IJS8_SA_EEENS0_18inequality_wrapperIZN2at6native12_GLOBAL__N_124unique_dim_cuda_templateIsEESt5tupleIJNSF_6TensorESK_SK_EERKSK_lbbbEUlllE0_EEPmJS9_EEE10hipError_tPvRmT3_T4_T5_T6_T7_T9_mT8_P12ihipStream_tbDpT10_ENKUlT_T0_E_clISt17integral_constantIbLb1EES19_IbLb0EEEEDaS15_S16_EUlS15_E_NS1_11comp_targetILNS1_3genE0ELNS1_11target_archE4294967295ELNS1_3gpuE0ELNS1_3repE0EEENS1_30default_config_static_selectorELNS0_4arch9wavefront6targetE0EEEvT1_.has_indirect_call, 0
	.section	.AMDGPU.csdata,"",@progbits
; Kernel info:
; codeLenInByte = 4
; TotalNumSgprs: 0
; NumVgprs: 0
; ScratchSize: 0
; MemoryBound: 0
; FloatMode: 240
; IeeeMode: 1
; LDSByteSize: 0 bytes/workgroup (compile time only)
; SGPRBlocks: 0
; VGPRBlocks: 0
; NumSGPRsForWavesPerEU: 1
; NumVGPRsForWavesPerEU: 1
; NamedBarCnt: 0
; Occupancy: 16
; WaveLimiterHint : 0
; COMPUTE_PGM_RSRC2:SCRATCH_EN: 0
; COMPUTE_PGM_RSRC2:USER_SGPR: 2
; COMPUTE_PGM_RSRC2:TRAP_HANDLER: 0
; COMPUTE_PGM_RSRC2:TGID_X_EN: 1
; COMPUTE_PGM_RSRC2:TGID_Y_EN: 0
; COMPUTE_PGM_RSRC2:TGID_Z_EN: 0
; COMPUTE_PGM_RSRC2:TIDIG_COMP_CNT: 0
	.section	.text._ZN7rocprim17ROCPRIM_400000_NS6detail17trampoline_kernelINS0_14default_configENS1_25partition_config_selectorILNS1_17partition_subalgoE9EllbEEZZNS1_14partition_implILS5_9ELb0ES3_jPlS8_PNS0_10empty_typeENS0_5tupleIJS8_S9_EEENSB_IJS8_SA_EEENS0_18inequality_wrapperIZN2at6native12_GLOBAL__N_124unique_dim_cuda_templateIsEESt5tupleIJNSF_6TensorESK_SK_EERKSK_lbbbEUlllE0_EEPmJS9_EEE10hipError_tPvRmT3_T4_T5_T6_T7_T9_mT8_P12ihipStream_tbDpT10_ENKUlT_T0_E_clISt17integral_constantIbLb1EES19_IbLb0EEEEDaS15_S16_EUlS15_E_NS1_11comp_targetILNS1_3genE5ELNS1_11target_archE942ELNS1_3gpuE9ELNS1_3repE0EEENS1_30default_config_static_selectorELNS0_4arch9wavefront6targetE0EEEvT1_,"axG",@progbits,_ZN7rocprim17ROCPRIM_400000_NS6detail17trampoline_kernelINS0_14default_configENS1_25partition_config_selectorILNS1_17partition_subalgoE9EllbEEZZNS1_14partition_implILS5_9ELb0ES3_jPlS8_PNS0_10empty_typeENS0_5tupleIJS8_S9_EEENSB_IJS8_SA_EEENS0_18inequality_wrapperIZN2at6native12_GLOBAL__N_124unique_dim_cuda_templateIsEESt5tupleIJNSF_6TensorESK_SK_EERKSK_lbbbEUlllE0_EEPmJS9_EEE10hipError_tPvRmT3_T4_T5_T6_T7_T9_mT8_P12ihipStream_tbDpT10_ENKUlT_T0_E_clISt17integral_constantIbLb1EES19_IbLb0EEEEDaS15_S16_EUlS15_E_NS1_11comp_targetILNS1_3genE5ELNS1_11target_archE942ELNS1_3gpuE9ELNS1_3repE0EEENS1_30default_config_static_selectorELNS0_4arch9wavefront6targetE0EEEvT1_,comdat
	.globl	_ZN7rocprim17ROCPRIM_400000_NS6detail17trampoline_kernelINS0_14default_configENS1_25partition_config_selectorILNS1_17partition_subalgoE9EllbEEZZNS1_14partition_implILS5_9ELb0ES3_jPlS8_PNS0_10empty_typeENS0_5tupleIJS8_S9_EEENSB_IJS8_SA_EEENS0_18inequality_wrapperIZN2at6native12_GLOBAL__N_124unique_dim_cuda_templateIsEESt5tupleIJNSF_6TensorESK_SK_EERKSK_lbbbEUlllE0_EEPmJS9_EEE10hipError_tPvRmT3_T4_T5_T6_T7_T9_mT8_P12ihipStream_tbDpT10_ENKUlT_T0_E_clISt17integral_constantIbLb1EES19_IbLb0EEEEDaS15_S16_EUlS15_E_NS1_11comp_targetILNS1_3genE5ELNS1_11target_archE942ELNS1_3gpuE9ELNS1_3repE0EEENS1_30default_config_static_selectorELNS0_4arch9wavefront6targetE0EEEvT1_ ; -- Begin function _ZN7rocprim17ROCPRIM_400000_NS6detail17trampoline_kernelINS0_14default_configENS1_25partition_config_selectorILNS1_17partition_subalgoE9EllbEEZZNS1_14partition_implILS5_9ELb0ES3_jPlS8_PNS0_10empty_typeENS0_5tupleIJS8_S9_EEENSB_IJS8_SA_EEENS0_18inequality_wrapperIZN2at6native12_GLOBAL__N_124unique_dim_cuda_templateIsEESt5tupleIJNSF_6TensorESK_SK_EERKSK_lbbbEUlllE0_EEPmJS9_EEE10hipError_tPvRmT3_T4_T5_T6_T7_T9_mT8_P12ihipStream_tbDpT10_ENKUlT_T0_E_clISt17integral_constantIbLb1EES19_IbLb0EEEEDaS15_S16_EUlS15_E_NS1_11comp_targetILNS1_3genE5ELNS1_11target_archE942ELNS1_3gpuE9ELNS1_3repE0EEENS1_30default_config_static_selectorELNS0_4arch9wavefront6targetE0EEEvT1_
	.p2align	8
	.type	_ZN7rocprim17ROCPRIM_400000_NS6detail17trampoline_kernelINS0_14default_configENS1_25partition_config_selectorILNS1_17partition_subalgoE9EllbEEZZNS1_14partition_implILS5_9ELb0ES3_jPlS8_PNS0_10empty_typeENS0_5tupleIJS8_S9_EEENSB_IJS8_SA_EEENS0_18inequality_wrapperIZN2at6native12_GLOBAL__N_124unique_dim_cuda_templateIsEESt5tupleIJNSF_6TensorESK_SK_EERKSK_lbbbEUlllE0_EEPmJS9_EEE10hipError_tPvRmT3_T4_T5_T6_T7_T9_mT8_P12ihipStream_tbDpT10_ENKUlT_T0_E_clISt17integral_constantIbLb1EES19_IbLb0EEEEDaS15_S16_EUlS15_E_NS1_11comp_targetILNS1_3genE5ELNS1_11target_archE942ELNS1_3gpuE9ELNS1_3repE0EEENS1_30default_config_static_selectorELNS0_4arch9wavefront6targetE0EEEvT1_,@function
_ZN7rocprim17ROCPRIM_400000_NS6detail17trampoline_kernelINS0_14default_configENS1_25partition_config_selectorILNS1_17partition_subalgoE9EllbEEZZNS1_14partition_implILS5_9ELb0ES3_jPlS8_PNS0_10empty_typeENS0_5tupleIJS8_S9_EEENSB_IJS8_SA_EEENS0_18inequality_wrapperIZN2at6native12_GLOBAL__N_124unique_dim_cuda_templateIsEESt5tupleIJNSF_6TensorESK_SK_EERKSK_lbbbEUlllE0_EEPmJS9_EEE10hipError_tPvRmT3_T4_T5_T6_T7_T9_mT8_P12ihipStream_tbDpT10_ENKUlT_T0_E_clISt17integral_constantIbLb1EES19_IbLb0EEEEDaS15_S16_EUlS15_E_NS1_11comp_targetILNS1_3genE5ELNS1_11target_archE942ELNS1_3gpuE9ELNS1_3repE0EEENS1_30default_config_static_selectorELNS0_4arch9wavefront6targetE0EEEvT1_: ; @_ZN7rocprim17ROCPRIM_400000_NS6detail17trampoline_kernelINS0_14default_configENS1_25partition_config_selectorILNS1_17partition_subalgoE9EllbEEZZNS1_14partition_implILS5_9ELb0ES3_jPlS8_PNS0_10empty_typeENS0_5tupleIJS8_S9_EEENSB_IJS8_SA_EEENS0_18inequality_wrapperIZN2at6native12_GLOBAL__N_124unique_dim_cuda_templateIsEESt5tupleIJNSF_6TensorESK_SK_EERKSK_lbbbEUlllE0_EEPmJS9_EEE10hipError_tPvRmT3_T4_T5_T6_T7_T9_mT8_P12ihipStream_tbDpT10_ENKUlT_T0_E_clISt17integral_constantIbLb1EES19_IbLb0EEEEDaS15_S16_EUlS15_E_NS1_11comp_targetILNS1_3genE5ELNS1_11target_archE942ELNS1_3gpuE9ELNS1_3repE0EEENS1_30default_config_static_selectorELNS0_4arch9wavefront6targetE0EEEvT1_
; %bb.0:
	.section	.rodata,"a",@progbits
	.p2align	6, 0x0
	.amdhsa_kernel _ZN7rocprim17ROCPRIM_400000_NS6detail17trampoline_kernelINS0_14default_configENS1_25partition_config_selectorILNS1_17partition_subalgoE9EllbEEZZNS1_14partition_implILS5_9ELb0ES3_jPlS8_PNS0_10empty_typeENS0_5tupleIJS8_S9_EEENSB_IJS8_SA_EEENS0_18inequality_wrapperIZN2at6native12_GLOBAL__N_124unique_dim_cuda_templateIsEESt5tupleIJNSF_6TensorESK_SK_EERKSK_lbbbEUlllE0_EEPmJS9_EEE10hipError_tPvRmT3_T4_T5_T6_T7_T9_mT8_P12ihipStream_tbDpT10_ENKUlT_T0_E_clISt17integral_constantIbLb1EES19_IbLb0EEEEDaS15_S16_EUlS15_E_NS1_11comp_targetILNS1_3genE5ELNS1_11target_archE942ELNS1_3gpuE9ELNS1_3repE0EEENS1_30default_config_static_selectorELNS0_4arch9wavefront6targetE0EEEvT1_
		.amdhsa_group_segment_fixed_size 0
		.amdhsa_private_segment_fixed_size 0
		.amdhsa_kernarg_size 120
		.amdhsa_user_sgpr_count 2
		.amdhsa_user_sgpr_dispatch_ptr 0
		.amdhsa_user_sgpr_queue_ptr 0
		.amdhsa_user_sgpr_kernarg_segment_ptr 1
		.amdhsa_user_sgpr_dispatch_id 0
		.amdhsa_user_sgpr_kernarg_preload_length 0
		.amdhsa_user_sgpr_kernarg_preload_offset 0
		.amdhsa_user_sgpr_private_segment_size 0
		.amdhsa_wavefront_size32 1
		.amdhsa_uses_dynamic_stack 0
		.amdhsa_enable_private_segment 0
		.amdhsa_system_sgpr_workgroup_id_x 1
		.amdhsa_system_sgpr_workgroup_id_y 0
		.amdhsa_system_sgpr_workgroup_id_z 0
		.amdhsa_system_sgpr_workgroup_info 0
		.amdhsa_system_vgpr_workitem_id 0
		.amdhsa_next_free_vgpr 1
		.amdhsa_next_free_sgpr 1
		.amdhsa_named_barrier_count 0
		.amdhsa_reserve_vcc 0
		.amdhsa_float_round_mode_32 0
		.amdhsa_float_round_mode_16_64 0
		.amdhsa_float_denorm_mode_32 3
		.amdhsa_float_denorm_mode_16_64 3
		.amdhsa_fp16_overflow 0
		.amdhsa_memory_ordered 1
		.amdhsa_forward_progress 1
		.amdhsa_inst_pref_size 0
		.amdhsa_round_robin_scheduling 0
		.amdhsa_exception_fp_ieee_invalid_op 0
		.amdhsa_exception_fp_denorm_src 0
		.amdhsa_exception_fp_ieee_div_zero 0
		.amdhsa_exception_fp_ieee_overflow 0
		.amdhsa_exception_fp_ieee_underflow 0
		.amdhsa_exception_fp_ieee_inexact 0
		.amdhsa_exception_int_div_zero 0
	.end_amdhsa_kernel
	.section	.text._ZN7rocprim17ROCPRIM_400000_NS6detail17trampoline_kernelINS0_14default_configENS1_25partition_config_selectorILNS1_17partition_subalgoE9EllbEEZZNS1_14partition_implILS5_9ELb0ES3_jPlS8_PNS0_10empty_typeENS0_5tupleIJS8_S9_EEENSB_IJS8_SA_EEENS0_18inequality_wrapperIZN2at6native12_GLOBAL__N_124unique_dim_cuda_templateIsEESt5tupleIJNSF_6TensorESK_SK_EERKSK_lbbbEUlllE0_EEPmJS9_EEE10hipError_tPvRmT3_T4_T5_T6_T7_T9_mT8_P12ihipStream_tbDpT10_ENKUlT_T0_E_clISt17integral_constantIbLb1EES19_IbLb0EEEEDaS15_S16_EUlS15_E_NS1_11comp_targetILNS1_3genE5ELNS1_11target_archE942ELNS1_3gpuE9ELNS1_3repE0EEENS1_30default_config_static_selectorELNS0_4arch9wavefront6targetE0EEEvT1_,"axG",@progbits,_ZN7rocprim17ROCPRIM_400000_NS6detail17trampoline_kernelINS0_14default_configENS1_25partition_config_selectorILNS1_17partition_subalgoE9EllbEEZZNS1_14partition_implILS5_9ELb0ES3_jPlS8_PNS0_10empty_typeENS0_5tupleIJS8_S9_EEENSB_IJS8_SA_EEENS0_18inequality_wrapperIZN2at6native12_GLOBAL__N_124unique_dim_cuda_templateIsEESt5tupleIJNSF_6TensorESK_SK_EERKSK_lbbbEUlllE0_EEPmJS9_EEE10hipError_tPvRmT3_T4_T5_T6_T7_T9_mT8_P12ihipStream_tbDpT10_ENKUlT_T0_E_clISt17integral_constantIbLb1EES19_IbLb0EEEEDaS15_S16_EUlS15_E_NS1_11comp_targetILNS1_3genE5ELNS1_11target_archE942ELNS1_3gpuE9ELNS1_3repE0EEENS1_30default_config_static_selectorELNS0_4arch9wavefront6targetE0EEEvT1_,comdat
.Lfunc_end734:
	.size	_ZN7rocprim17ROCPRIM_400000_NS6detail17trampoline_kernelINS0_14default_configENS1_25partition_config_selectorILNS1_17partition_subalgoE9EllbEEZZNS1_14partition_implILS5_9ELb0ES3_jPlS8_PNS0_10empty_typeENS0_5tupleIJS8_S9_EEENSB_IJS8_SA_EEENS0_18inequality_wrapperIZN2at6native12_GLOBAL__N_124unique_dim_cuda_templateIsEESt5tupleIJNSF_6TensorESK_SK_EERKSK_lbbbEUlllE0_EEPmJS9_EEE10hipError_tPvRmT3_T4_T5_T6_T7_T9_mT8_P12ihipStream_tbDpT10_ENKUlT_T0_E_clISt17integral_constantIbLb1EES19_IbLb0EEEEDaS15_S16_EUlS15_E_NS1_11comp_targetILNS1_3genE5ELNS1_11target_archE942ELNS1_3gpuE9ELNS1_3repE0EEENS1_30default_config_static_selectorELNS0_4arch9wavefront6targetE0EEEvT1_, .Lfunc_end734-_ZN7rocprim17ROCPRIM_400000_NS6detail17trampoline_kernelINS0_14default_configENS1_25partition_config_selectorILNS1_17partition_subalgoE9EllbEEZZNS1_14partition_implILS5_9ELb0ES3_jPlS8_PNS0_10empty_typeENS0_5tupleIJS8_S9_EEENSB_IJS8_SA_EEENS0_18inequality_wrapperIZN2at6native12_GLOBAL__N_124unique_dim_cuda_templateIsEESt5tupleIJNSF_6TensorESK_SK_EERKSK_lbbbEUlllE0_EEPmJS9_EEE10hipError_tPvRmT3_T4_T5_T6_T7_T9_mT8_P12ihipStream_tbDpT10_ENKUlT_T0_E_clISt17integral_constantIbLb1EES19_IbLb0EEEEDaS15_S16_EUlS15_E_NS1_11comp_targetILNS1_3genE5ELNS1_11target_archE942ELNS1_3gpuE9ELNS1_3repE0EEENS1_30default_config_static_selectorELNS0_4arch9wavefront6targetE0EEEvT1_
                                        ; -- End function
	.set _ZN7rocprim17ROCPRIM_400000_NS6detail17trampoline_kernelINS0_14default_configENS1_25partition_config_selectorILNS1_17partition_subalgoE9EllbEEZZNS1_14partition_implILS5_9ELb0ES3_jPlS8_PNS0_10empty_typeENS0_5tupleIJS8_S9_EEENSB_IJS8_SA_EEENS0_18inequality_wrapperIZN2at6native12_GLOBAL__N_124unique_dim_cuda_templateIsEESt5tupleIJNSF_6TensorESK_SK_EERKSK_lbbbEUlllE0_EEPmJS9_EEE10hipError_tPvRmT3_T4_T5_T6_T7_T9_mT8_P12ihipStream_tbDpT10_ENKUlT_T0_E_clISt17integral_constantIbLb1EES19_IbLb0EEEEDaS15_S16_EUlS15_E_NS1_11comp_targetILNS1_3genE5ELNS1_11target_archE942ELNS1_3gpuE9ELNS1_3repE0EEENS1_30default_config_static_selectorELNS0_4arch9wavefront6targetE0EEEvT1_.num_vgpr, 0
	.set _ZN7rocprim17ROCPRIM_400000_NS6detail17trampoline_kernelINS0_14default_configENS1_25partition_config_selectorILNS1_17partition_subalgoE9EllbEEZZNS1_14partition_implILS5_9ELb0ES3_jPlS8_PNS0_10empty_typeENS0_5tupleIJS8_S9_EEENSB_IJS8_SA_EEENS0_18inequality_wrapperIZN2at6native12_GLOBAL__N_124unique_dim_cuda_templateIsEESt5tupleIJNSF_6TensorESK_SK_EERKSK_lbbbEUlllE0_EEPmJS9_EEE10hipError_tPvRmT3_T4_T5_T6_T7_T9_mT8_P12ihipStream_tbDpT10_ENKUlT_T0_E_clISt17integral_constantIbLb1EES19_IbLb0EEEEDaS15_S16_EUlS15_E_NS1_11comp_targetILNS1_3genE5ELNS1_11target_archE942ELNS1_3gpuE9ELNS1_3repE0EEENS1_30default_config_static_selectorELNS0_4arch9wavefront6targetE0EEEvT1_.num_agpr, 0
	.set _ZN7rocprim17ROCPRIM_400000_NS6detail17trampoline_kernelINS0_14default_configENS1_25partition_config_selectorILNS1_17partition_subalgoE9EllbEEZZNS1_14partition_implILS5_9ELb0ES3_jPlS8_PNS0_10empty_typeENS0_5tupleIJS8_S9_EEENSB_IJS8_SA_EEENS0_18inequality_wrapperIZN2at6native12_GLOBAL__N_124unique_dim_cuda_templateIsEESt5tupleIJNSF_6TensorESK_SK_EERKSK_lbbbEUlllE0_EEPmJS9_EEE10hipError_tPvRmT3_T4_T5_T6_T7_T9_mT8_P12ihipStream_tbDpT10_ENKUlT_T0_E_clISt17integral_constantIbLb1EES19_IbLb0EEEEDaS15_S16_EUlS15_E_NS1_11comp_targetILNS1_3genE5ELNS1_11target_archE942ELNS1_3gpuE9ELNS1_3repE0EEENS1_30default_config_static_selectorELNS0_4arch9wavefront6targetE0EEEvT1_.numbered_sgpr, 0
	.set _ZN7rocprim17ROCPRIM_400000_NS6detail17trampoline_kernelINS0_14default_configENS1_25partition_config_selectorILNS1_17partition_subalgoE9EllbEEZZNS1_14partition_implILS5_9ELb0ES3_jPlS8_PNS0_10empty_typeENS0_5tupleIJS8_S9_EEENSB_IJS8_SA_EEENS0_18inequality_wrapperIZN2at6native12_GLOBAL__N_124unique_dim_cuda_templateIsEESt5tupleIJNSF_6TensorESK_SK_EERKSK_lbbbEUlllE0_EEPmJS9_EEE10hipError_tPvRmT3_T4_T5_T6_T7_T9_mT8_P12ihipStream_tbDpT10_ENKUlT_T0_E_clISt17integral_constantIbLb1EES19_IbLb0EEEEDaS15_S16_EUlS15_E_NS1_11comp_targetILNS1_3genE5ELNS1_11target_archE942ELNS1_3gpuE9ELNS1_3repE0EEENS1_30default_config_static_selectorELNS0_4arch9wavefront6targetE0EEEvT1_.num_named_barrier, 0
	.set _ZN7rocprim17ROCPRIM_400000_NS6detail17trampoline_kernelINS0_14default_configENS1_25partition_config_selectorILNS1_17partition_subalgoE9EllbEEZZNS1_14partition_implILS5_9ELb0ES3_jPlS8_PNS0_10empty_typeENS0_5tupleIJS8_S9_EEENSB_IJS8_SA_EEENS0_18inequality_wrapperIZN2at6native12_GLOBAL__N_124unique_dim_cuda_templateIsEESt5tupleIJNSF_6TensorESK_SK_EERKSK_lbbbEUlllE0_EEPmJS9_EEE10hipError_tPvRmT3_T4_T5_T6_T7_T9_mT8_P12ihipStream_tbDpT10_ENKUlT_T0_E_clISt17integral_constantIbLb1EES19_IbLb0EEEEDaS15_S16_EUlS15_E_NS1_11comp_targetILNS1_3genE5ELNS1_11target_archE942ELNS1_3gpuE9ELNS1_3repE0EEENS1_30default_config_static_selectorELNS0_4arch9wavefront6targetE0EEEvT1_.private_seg_size, 0
	.set _ZN7rocprim17ROCPRIM_400000_NS6detail17trampoline_kernelINS0_14default_configENS1_25partition_config_selectorILNS1_17partition_subalgoE9EllbEEZZNS1_14partition_implILS5_9ELb0ES3_jPlS8_PNS0_10empty_typeENS0_5tupleIJS8_S9_EEENSB_IJS8_SA_EEENS0_18inequality_wrapperIZN2at6native12_GLOBAL__N_124unique_dim_cuda_templateIsEESt5tupleIJNSF_6TensorESK_SK_EERKSK_lbbbEUlllE0_EEPmJS9_EEE10hipError_tPvRmT3_T4_T5_T6_T7_T9_mT8_P12ihipStream_tbDpT10_ENKUlT_T0_E_clISt17integral_constantIbLb1EES19_IbLb0EEEEDaS15_S16_EUlS15_E_NS1_11comp_targetILNS1_3genE5ELNS1_11target_archE942ELNS1_3gpuE9ELNS1_3repE0EEENS1_30default_config_static_selectorELNS0_4arch9wavefront6targetE0EEEvT1_.uses_vcc, 0
	.set _ZN7rocprim17ROCPRIM_400000_NS6detail17trampoline_kernelINS0_14default_configENS1_25partition_config_selectorILNS1_17partition_subalgoE9EllbEEZZNS1_14partition_implILS5_9ELb0ES3_jPlS8_PNS0_10empty_typeENS0_5tupleIJS8_S9_EEENSB_IJS8_SA_EEENS0_18inequality_wrapperIZN2at6native12_GLOBAL__N_124unique_dim_cuda_templateIsEESt5tupleIJNSF_6TensorESK_SK_EERKSK_lbbbEUlllE0_EEPmJS9_EEE10hipError_tPvRmT3_T4_T5_T6_T7_T9_mT8_P12ihipStream_tbDpT10_ENKUlT_T0_E_clISt17integral_constantIbLb1EES19_IbLb0EEEEDaS15_S16_EUlS15_E_NS1_11comp_targetILNS1_3genE5ELNS1_11target_archE942ELNS1_3gpuE9ELNS1_3repE0EEENS1_30default_config_static_selectorELNS0_4arch9wavefront6targetE0EEEvT1_.uses_flat_scratch, 0
	.set _ZN7rocprim17ROCPRIM_400000_NS6detail17trampoline_kernelINS0_14default_configENS1_25partition_config_selectorILNS1_17partition_subalgoE9EllbEEZZNS1_14partition_implILS5_9ELb0ES3_jPlS8_PNS0_10empty_typeENS0_5tupleIJS8_S9_EEENSB_IJS8_SA_EEENS0_18inequality_wrapperIZN2at6native12_GLOBAL__N_124unique_dim_cuda_templateIsEESt5tupleIJNSF_6TensorESK_SK_EERKSK_lbbbEUlllE0_EEPmJS9_EEE10hipError_tPvRmT3_T4_T5_T6_T7_T9_mT8_P12ihipStream_tbDpT10_ENKUlT_T0_E_clISt17integral_constantIbLb1EES19_IbLb0EEEEDaS15_S16_EUlS15_E_NS1_11comp_targetILNS1_3genE5ELNS1_11target_archE942ELNS1_3gpuE9ELNS1_3repE0EEENS1_30default_config_static_selectorELNS0_4arch9wavefront6targetE0EEEvT1_.has_dyn_sized_stack, 0
	.set _ZN7rocprim17ROCPRIM_400000_NS6detail17trampoline_kernelINS0_14default_configENS1_25partition_config_selectorILNS1_17partition_subalgoE9EllbEEZZNS1_14partition_implILS5_9ELb0ES3_jPlS8_PNS0_10empty_typeENS0_5tupleIJS8_S9_EEENSB_IJS8_SA_EEENS0_18inequality_wrapperIZN2at6native12_GLOBAL__N_124unique_dim_cuda_templateIsEESt5tupleIJNSF_6TensorESK_SK_EERKSK_lbbbEUlllE0_EEPmJS9_EEE10hipError_tPvRmT3_T4_T5_T6_T7_T9_mT8_P12ihipStream_tbDpT10_ENKUlT_T0_E_clISt17integral_constantIbLb1EES19_IbLb0EEEEDaS15_S16_EUlS15_E_NS1_11comp_targetILNS1_3genE5ELNS1_11target_archE942ELNS1_3gpuE9ELNS1_3repE0EEENS1_30default_config_static_selectorELNS0_4arch9wavefront6targetE0EEEvT1_.has_recursion, 0
	.set _ZN7rocprim17ROCPRIM_400000_NS6detail17trampoline_kernelINS0_14default_configENS1_25partition_config_selectorILNS1_17partition_subalgoE9EllbEEZZNS1_14partition_implILS5_9ELb0ES3_jPlS8_PNS0_10empty_typeENS0_5tupleIJS8_S9_EEENSB_IJS8_SA_EEENS0_18inequality_wrapperIZN2at6native12_GLOBAL__N_124unique_dim_cuda_templateIsEESt5tupleIJNSF_6TensorESK_SK_EERKSK_lbbbEUlllE0_EEPmJS9_EEE10hipError_tPvRmT3_T4_T5_T6_T7_T9_mT8_P12ihipStream_tbDpT10_ENKUlT_T0_E_clISt17integral_constantIbLb1EES19_IbLb0EEEEDaS15_S16_EUlS15_E_NS1_11comp_targetILNS1_3genE5ELNS1_11target_archE942ELNS1_3gpuE9ELNS1_3repE0EEENS1_30default_config_static_selectorELNS0_4arch9wavefront6targetE0EEEvT1_.has_indirect_call, 0
	.section	.AMDGPU.csdata,"",@progbits
; Kernel info:
; codeLenInByte = 0
; TotalNumSgprs: 0
; NumVgprs: 0
; ScratchSize: 0
; MemoryBound: 0
; FloatMode: 240
; IeeeMode: 1
; LDSByteSize: 0 bytes/workgroup (compile time only)
; SGPRBlocks: 0
; VGPRBlocks: 0
; NumSGPRsForWavesPerEU: 1
; NumVGPRsForWavesPerEU: 1
; NamedBarCnt: 0
; Occupancy: 16
; WaveLimiterHint : 0
; COMPUTE_PGM_RSRC2:SCRATCH_EN: 0
; COMPUTE_PGM_RSRC2:USER_SGPR: 2
; COMPUTE_PGM_RSRC2:TRAP_HANDLER: 0
; COMPUTE_PGM_RSRC2:TGID_X_EN: 1
; COMPUTE_PGM_RSRC2:TGID_Y_EN: 0
; COMPUTE_PGM_RSRC2:TGID_Z_EN: 0
; COMPUTE_PGM_RSRC2:TIDIG_COMP_CNT: 0
	.section	.text._ZN7rocprim17ROCPRIM_400000_NS6detail17trampoline_kernelINS0_14default_configENS1_25partition_config_selectorILNS1_17partition_subalgoE9EllbEEZZNS1_14partition_implILS5_9ELb0ES3_jPlS8_PNS0_10empty_typeENS0_5tupleIJS8_S9_EEENSB_IJS8_SA_EEENS0_18inequality_wrapperIZN2at6native12_GLOBAL__N_124unique_dim_cuda_templateIsEESt5tupleIJNSF_6TensorESK_SK_EERKSK_lbbbEUlllE0_EEPmJS9_EEE10hipError_tPvRmT3_T4_T5_T6_T7_T9_mT8_P12ihipStream_tbDpT10_ENKUlT_T0_E_clISt17integral_constantIbLb1EES19_IbLb0EEEEDaS15_S16_EUlS15_E_NS1_11comp_targetILNS1_3genE4ELNS1_11target_archE910ELNS1_3gpuE8ELNS1_3repE0EEENS1_30default_config_static_selectorELNS0_4arch9wavefront6targetE0EEEvT1_,"axG",@progbits,_ZN7rocprim17ROCPRIM_400000_NS6detail17trampoline_kernelINS0_14default_configENS1_25partition_config_selectorILNS1_17partition_subalgoE9EllbEEZZNS1_14partition_implILS5_9ELb0ES3_jPlS8_PNS0_10empty_typeENS0_5tupleIJS8_S9_EEENSB_IJS8_SA_EEENS0_18inequality_wrapperIZN2at6native12_GLOBAL__N_124unique_dim_cuda_templateIsEESt5tupleIJNSF_6TensorESK_SK_EERKSK_lbbbEUlllE0_EEPmJS9_EEE10hipError_tPvRmT3_T4_T5_T6_T7_T9_mT8_P12ihipStream_tbDpT10_ENKUlT_T0_E_clISt17integral_constantIbLb1EES19_IbLb0EEEEDaS15_S16_EUlS15_E_NS1_11comp_targetILNS1_3genE4ELNS1_11target_archE910ELNS1_3gpuE8ELNS1_3repE0EEENS1_30default_config_static_selectorELNS0_4arch9wavefront6targetE0EEEvT1_,comdat
	.globl	_ZN7rocprim17ROCPRIM_400000_NS6detail17trampoline_kernelINS0_14default_configENS1_25partition_config_selectorILNS1_17partition_subalgoE9EllbEEZZNS1_14partition_implILS5_9ELb0ES3_jPlS8_PNS0_10empty_typeENS0_5tupleIJS8_S9_EEENSB_IJS8_SA_EEENS0_18inequality_wrapperIZN2at6native12_GLOBAL__N_124unique_dim_cuda_templateIsEESt5tupleIJNSF_6TensorESK_SK_EERKSK_lbbbEUlllE0_EEPmJS9_EEE10hipError_tPvRmT3_T4_T5_T6_T7_T9_mT8_P12ihipStream_tbDpT10_ENKUlT_T0_E_clISt17integral_constantIbLb1EES19_IbLb0EEEEDaS15_S16_EUlS15_E_NS1_11comp_targetILNS1_3genE4ELNS1_11target_archE910ELNS1_3gpuE8ELNS1_3repE0EEENS1_30default_config_static_selectorELNS0_4arch9wavefront6targetE0EEEvT1_ ; -- Begin function _ZN7rocprim17ROCPRIM_400000_NS6detail17trampoline_kernelINS0_14default_configENS1_25partition_config_selectorILNS1_17partition_subalgoE9EllbEEZZNS1_14partition_implILS5_9ELb0ES3_jPlS8_PNS0_10empty_typeENS0_5tupleIJS8_S9_EEENSB_IJS8_SA_EEENS0_18inequality_wrapperIZN2at6native12_GLOBAL__N_124unique_dim_cuda_templateIsEESt5tupleIJNSF_6TensorESK_SK_EERKSK_lbbbEUlllE0_EEPmJS9_EEE10hipError_tPvRmT3_T4_T5_T6_T7_T9_mT8_P12ihipStream_tbDpT10_ENKUlT_T0_E_clISt17integral_constantIbLb1EES19_IbLb0EEEEDaS15_S16_EUlS15_E_NS1_11comp_targetILNS1_3genE4ELNS1_11target_archE910ELNS1_3gpuE8ELNS1_3repE0EEENS1_30default_config_static_selectorELNS0_4arch9wavefront6targetE0EEEvT1_
	.p2align	8
	.type	_ZN7rocprim17ROCPRIM_400000_NS6detail17trampoline_kernelINS0_14default_configENS1_25partition_config_selectorILNS1_17partition_subalgoE9EllbEEZZNS1_14partition_implILS5_9ELb0ES3_jPlS8_PNS0_10empty_typeENS0_5tupleIJS8_S9_EEENSB_IJS8_SA_EEENS0_18inequality_wrapperIZN2at6native12_GLOBAL__N_124unique_dim_cuda_templateIsEESt5tupleIJNSF_6TensorESK_SK_EERKSK_lbbbEUlllE0_EEPmJS9_EEE10hipError_tPvRmT3_T4_T5_T6_T7_T9_mT8_P12ihipStream_tbDpT10_ENKUlT_T0_E_clISt17integral_constantIbLb1EES19_IbLb0EEEEDaS15_S16_EUlS15_E_NS1_11comp_targetILNS1_3genE4ELNS1_11target_archE910ELNS1_3gpuE8ELNS1_3repE0EEENS1_30default_config_static_selectorELNS0_4arch9wavefront6targetE0EEEvT1_,@function
_ZN7rocprim17ROCPRIM_400000_NS6detail17trampoline_kernelINS0_14default_configENS1_25partition_config_selectorILNS1_17partition_subalgoE9EllbEEZZNS1_14partition_implILS5_9ELb0ES3_jPlS8_PNS0_10empty_typeENS0_5tupleIJS8_S9_EEENSB_IJS8_SA_EEENS0_18inequality_wrapperIZN2at6native12_GLOBAL__N_124unique_dim_cuda_templateIsEESt5tupleIJNSF_6TensorESK_SK_EERKSK_lbbbEUlllE0_EEPmJS9_EEE10hipError_tPvRmT3_T4_T5_T6_T7_T9_mT8_P12ihipStream_tbDpT10_ENKUlT_T0_E_clISt17integral_constantIbLb1EES19_IbLb0EEEEDaS15_S16_EUlS15_E_NS1_11comp_targetILNS1_3genE4ELNS1_11target_archE910ELNS1_3gpuE8ELNS1_3repE0EEENS1_30default_config_static_selectorELNS0_4arch9wavefront6targetE0EEEvT1_: ; @_ZN7rocprim17ROCPRIM_400000_NS6detail17trampoline_kernelINS0_14default_configENS1_25partition_config_selectorILNS1_17partition_subalgoE9EllbEEZZNS1_14partition_implILS5_9ELb0ES3_jPlS8_PNS0_10empty_typeENS0_5tupleIJS8_S9_EEENSB_IJS8_SA_EEENS0_18inequality_wrapperIZN2at6native12_GLOBAL__N_124unique_dim_cuda_templateIsEESt5tupleIJNSF_6TensorESK_SK_EERKSK_lbbbEUlllE0_EEPmJS9_EEE10hipError_tPvRmT3_T4_T5_T6_T7_T9_mT8_P12ihipStream_tbDpT10_ENKUlT_T0_E_clISt17integral_constantIbLb1EES19_IbLb0EEEEDaS15_S16_EUlS15_E_NS1_11comp_targetILNS1_3genE4ELNS1_11target_archE910ELNS1_3gpuE8ELNS1_3repE0EEENS1_30default_config_static_selectorELNS0_4arch9wavefront6targetE0EEEvT1_
; %bb.0:
	.section	.rodata,"a",@progbits
	.p2align	6, 0x0
	.amdhsa_kernel _ZN7rocprim17ROCPRIM_400000_NS6detail17trampoline_kernelINS0_14default_configENS1_25partition_config_selectorILNS1_17partition_subalgoE9EllbEEZZNS1_14partition_implILS5_9ELb0ES3_jPlS8_PNS0_10empty_typeENS0_5tupleIJS8_S9_EEENSB_IJS8_SA_EEENS0_18inequality_wrapperIZN2at6native12_GLOBAL__N_124unique_dim_cuda_templateIsEESt5tupleIJNSF_6TensorESK_SK_EERKSK_lbbbEUlllE0_EEPmJS9_EEE10hipError_tPvRmT3_T4_T5_T6_T7_T9_mT8_P12ihipStream_tbDpT10_ENKUlT_T0_E_clISt17integral_constantIbLb1EES19_IbLb0EEEEDaS15_S16_EUlS15_E_NS1_11comp_targetILNS1_3genE4ELNS1_11target_archE910ELNS1_3gpuE8ELNS1_3repE0EEENS1_30default_config_static_selectorELNS0_4arch9wavefront6targetE0EEEvT1_
		.amdhsa_group_segment_fixed_size 0
		.amdhsa_private_segment_fixed_size 0
		.amdhsa_kernarg_size 120
		.amdhsa_user_sgpr_count 2
		.amdhsa_user_sgpr_dispatch_ptr 0
		.amdhsa_user_sgpr_queue_ptr 0
		.amdhsa_user_sgpr_kernarg_segment_ptr 1
		.amdhsa_user_sgpr_dispatch_id 0
		.amdhsa_user_sgpr_kernarg_preload_length 0
		.amdhsa_user_sgpr_kernarg_preload_offset 0
		.amdhsa_user_sgpr_private_segment_size 0
		.amdhsa_wavefront_size32 1
		.amdhsa_uses_dynamic_stack 0
		.amdhsa_enable_private_segment 0
		.amdhsa_system_sgpr_workgroup_id_x 1
		.amdhsa_system_sgpr_workgroup_id_y 0
		.amdhsa_system_sgpr_workgroup_id_z 0
		.amdhsa_system_sgpr_workgroup_info 0
		.amdhsa_system_vgpr_workitem_id 0
		.amdhsa_next_free_vgpr 1
		.amdhsa_next_free_sgpr 1
		.amdhsa_named_barrier_count 0
		.amdhsa_reserve_vcc 0
		.amdhsa_float_round_mode_32 0
		.amdhsa_float_round_mode_16_64 0
		.amdhsa_float_denorm_mode_32 3
		.amdhsa_float_denorm_mode_16_64 3
		.amdhsa_fp16_overflow 0
		.amdhsa_memory_ordered 1
		.amdhsa_forward_progress 1
		.amdhsa_inst_pref_size 0
		.amdhsa_round_robin_scheduling 0
		.amdhsa_exception_fp_ieee_invalid_op 0
		.amdhsa_exception_fp_denorm_src 0
		.amdhsa_exception_fp_ieee_div_zero 0
		.amdhsa_exception_fp_ieee_overflow 0
		.amdhsa_exception_fp_ieee_underflow 0
		.amdhsa_exception_fp_ieee_inexact 0
		.amdhsa_exception_int_div_zero 0
	.end_amdhsa_kernel
	.section	.text._ZN7rocprim17ROCPRIM_400000_NS6detail17trampoline_kernelINS0_14default_configENS1_25partition_config_selectorILNS1_17partition_subalgoE9EllbEEZZNS1_14partition_implILS5_9ELb0ES3_jPlS8_PNS0_10empty_typeENS0_5tupleIJS8_S9_EEENSB_IJS8_SA_EEENS0_18inequality_wrapperIZN2at6native12_GLOBAL__N_124unique_dim_cuda_templateIsEESt5tupleIJNSF_6TensorESK_SK_EERKSK_lbbbEUlllE0_EEPmJS9_EEE10hipError_tPvRmT3_T4_T5_T6_T7_T9_mT8_P12ihipStream_tbDpT10_ENKUlT_T0_E_clISt17integral_constantIbLb1EES19_IbLb0EEEEDaS15_S16_EUlS15_E_NS1_11comp_targetILNS1_3genE4ELNS1_11target_archE910ELNS1_3gpuE8ELNS1_3repE0EEENS1_30default_config_static_selectorELNS0_4arch9wavefront6targetE0EEEvT1_,"axG",@progbits,_ZN7rocprim17ROCPRIM_400000_NS6detail17trampoline_kernelINS0_14default_configENS1_25partition_config_selectorILNS1_17partition_subalgoE9EllbEEZZNS1_14partition_implILS5_9ELb0ES3_jPlS8_PNS0_10empty_typeENS0_5tupleIJS8_S9_EEENSB_IJS8_SA_EEENS0_18inequality_wrapperIZN2at6native12_GLOBAL__N_124unique_dim_cuda_templateIsEESt5tupleIJNSF_6TensorESK_SK_EERKSK_lbbbEUlllE0_EEPmJS9_EEE10hipError_tPvRmT3_T4_T5_T6_T7_T9_mT8_P12ihipStream_tbDpT10_ENKUlT_T0_E_clISt17integral_constantIbLb1EES19_IbLb0EEEEDaS15_S16_EUlS15_E_NS1_11comp_targetILNS1_3genE4ELNS1_11target_archE910ELNS1_3gpuE8ELNS1_3repE0EEENS1_30default_config_static_selectorELNS0_4arch9wavefront6targetE0EEEvT1_,comdat
.Lfunc_end735:
	.size	_ZN7rocprim17ROCPRIM_400000_NS6detail17trampoline_kernelINS0_14default_configENS1_25partition_config_selectorILNS1_17partition_subalgoE9EllbEEZZNS1_14partition_implILS5_9ELb0ES3_jPlS8_PNS0_10empty_typeENS0_5tupleIJS8_S9_EEENSB_IJS8_SA_EEENS0_18inequality_wrapperIZN2at6native12_GLOBAL__N_124unique_dim_cuda_templateIsEESt5tupleIJNSF_6TensorESK_SK_EERKSK_lbbbEUlllE0_EEPmJS9_EEE10hipError_tPvRmT3_T4_T5_T6_T7_T9_mT8_P12ihipStream_tbDpT10_ENKUlT_T0_E_clISt17integral_constantIbLb1EES19_IbLb0EEEEDaS15_S16_EUlS15_E_NS1_11comp_targetILNS1_3genE4ELNS1_11target_archE910ELNS1_3gpuE8ELNS1_3repE0EEENS1_30default_config_static_selectorELNS0_4arch9wavefront6targetE0EEEvT1_, .Lfunc_end735-_ZN7rocprim17ROCPRIM_400000_NS6detail17trampoline_kernelINS0_14default_configENS1_25partition_config_selectorILNS1_17partition_subalgoE9EllbEEZZNS1_14partition_implILS5_9ELb0ES3_jPlS8_PNS0_10empty_typeENS0_5tupleIJS8_S9_EEENSB_IJS8_SA_EEENS0_18inequality_wrapperIZN2at6native12_GLOBAL__N_124unique_dim_cuda_templateIsEESt5tupleIJNSF_6TensorESK_SK_EERKSK_lbbbEUlllE0_EEPmJS9_EEE10hipError_tPvRmT3_T4_T5_T6_T7_T9_mT8_P12ihipStream_tbDpT10_ENKUlT_T0_E_clISt17integral_constantIbLb1EES19_IbLb0EEEEDaS15_S16_EUlS15_E_NS1_11comp_targetILNS1_3genE4ELNS1_11target_archE910ELNS1_3gpuE8ELNS1_3repE0EEENS1_30default_config_static_selectorELNS0_4arch9wavefront6targetE0EEEvT1_
                                        ; -- End function
	.set _ZN7rocprim17ROCPRIM_400000_NS6detail17trampoline_kernelINS0_14default_configENS1_25partition_config_selectorILNS1_17partition_subalgoE9EllbEEZZNS1_14partition_implILS5_9ELb0ES3_jPlS8_PNS0_10empty_typeENS0_5tupleIJS8_S9_EEENSB_IJS8_SA_EEENS0_18inequality_wrapperIZN2at6native12_GLOBAL__N_124unique_dim_cuda_templateIsEESt5tupleIJNSF_6TensorESK_SK_EERKSK_lbbbEUlllE0_EEPmJS9_EEE10hipError_tPvRmT3_T4_T5_T6_T7_T9_mT8_P12ihipStream_tbDpT10_ENKUlT_T0_E_clISt17integral_constantIbLb1EES19_IbLb0EEEEDaS15_S16_EUlS15_E_NS1_11comp_targetILNS1_3genE4ELNS1_11target_archE910ELNS1_3gpuE8ELNS1_3repE0EEENS1_30default_config_static_selectorELNS0_4arch9wavefront6targetE0EEEvT1_.num_vgpr, 0
	.set _ZN7rocprim17ROCPRIM_400000_NS6detail17trampoline_kernelINS0_14default_configENS1_25partition_config_selectorILNS1_17partition_subalgoE9EllbEEZZNS1_14partition_implILS5_9ELb0ES3_jPlS8_PNS0_10empty_typeENS0_5tupleIJS8_S9_EEENSB_IJS8_SA_EEENS0_18inequality_wrapperIZN2at6native12_GLOBAL__N_124unique_dim_cuda_templateIsEESt5tupleIJNSF_6TensorESK_SK_EERKSK_lbbbEUlllE0_EEPmJS9_EEE10hipError_tPvRmT3_T4_T5_T6_T7_T9_mT8_P12ihipStream_tbDpT10_ENKUlT_T0_E_clISt17integral_constantIbLb1EES19_IbLb0EEEEDaS15_S16_EUlS15_E_NS1_11comp_targetILNS1_3genE4ELNS1_11target_archE910ELNS1_3gpuE8ELNS1_3repE0EEENS1_30default_config_static_selectorELNS0_4arch9wavefront6targetE0EEEvT1_.num_agpr, 0
	.set _ZN7rocprim17ROCPRIM_400000_NS6detail17trampoline_kernelINS0_14default_configENS1_25partition_config_selectorILNS1_17partition_subalgoE9EllbEEZZNS1_14partition_implILS5_9ELb0ES3_jPlS8_PNS0_10empty_typeENS0_5tupleIJS8_S9_EEENSB_IJS8_SA_EEENS0_18inequality_wrapperIZN2at6native12_GLOBAL__N_124unique_dim_cuda_templateIsEESt5tupleIJNSF_6TensorESK_SK_EERKSK_lbbbEUlllE0_EEPmJS9_EEE10hipError_tPvRmT3_T4_T5_T6_T7_T9_mT8_P12ihipStream_tbDpT10_ENKUlT_T0_E_clISt17integral_constantIbLb1EES19_IbLb0EEEEDaS15_S16_EUlS15_E_NS1_11comp_targetILNS1_3genE4ELNS1_11target_archE910ELNS1_3gpuE8ELNS1_3repE0EEENS1_30default_config_static_selectorELNS0_4arch9wavefront6targetE0EEEvT1_.numbered_sgpr, 0
	.set _ZN7rocprim17ROCPRIM_400000_NS6detail17trampoline_kernelINS0_14default_configENS1_25partition_config_selectorILNS1_17partition_subalgoE9EllbEEZZNS1_14partition_implILS5_9ELb0ES3_jPlS8_PNS0_10empty_typeENS0_5tupleIJS8_S9_EEENSB_IJS8_SA_EEENS0_18inequality_wrapperIZN2at6native12_GLOBAL__N_124unique_dim_cuda_templateIsEESt5tupleIJNSF_6TensorESK_SK_EERKSK_lbbbEUlllE0_EEPmJS9_EEE10hipError_tPvRmT3_T4_T5_T6_T7_T9_mT8_P12ihipStream_tbDpT10_ENKUlT_T0_E_clISt17integral_constantIbLb1EES19_IbLb0EEEEDaS15_S16_EUlS15_E_NS1_11comp_targetILNS1_3genE4ELNS1_11target_archE910ELNS1_3gpuE8ELNS1_3repE0EEENS1_30default_config_static_selectorELNS0_4arch9wavefront6targetE0EEEvT1_.num_named_barrier, 0
	.set _ZN7rocprim17ROCPRIM_400000_NS6detail17trampoline_kernelINS0_14default_configENS1_25partition_config_selectorILNS1_17partition_subalgoE9EllbEEZZNS1_14partition_implILS5_9ELb0ES3_jPlS8_PNS0_10empty_typeENS0_5tupleIJS8_S9_EEENSB_IJS8_SA_EEENS0_18inequality_wrapperIZN2at6native12_GLOBAL__N_124unique_dim_cuda_templateIsEESt5tupleIJNSF_6TensorESK_SK_EERKSK_lbbbEUlllE0_EEPmJS9_EEE10hipError_tPvRmT3_T4_T5_T6_T7_T9_mT8_P12ihipStream_tbDpT10_ENKUlT_T0_E_clISt17integral_constantIbLb1EES19_IbLb0EEEEDaS15_S16_EUlS15_E_NS1_11comp_targetILNS1_3genE4ELNS1_11target_archE910ELNS1_3gpuE8ELNS1_3repE0EEENS1_30default_config_static_selectorELNS0_4arch9wavefront6targetE0EEEvT1_.private_seg_size, 0
	.set _ZN7rocprim17ROCPRIM_400000_NS6detail17trampoline_kernelINS0_14default_configENS1_25partition_config_selectorILNS1_17partition_subalgoE9EllbEEZZNS1_14partition_implILS5_9ELb0ES3_jPlS8_PNS0_10empty_typeENS0_5tupleIJS8_S9_EEENSB_IJS8_SA_EEENS0_18inequality_wrapperIZN2at6native12_GLOBAL__N_124unique_dim_cuda_templateIsEESt5tupleIJNSF_6TensorESK_SK_EERKSK_lbbbEUlllE0_EEPmJS9_EEE10hipError_tPvRmT3_T4_T5_T6_T7_T9_mT8_P12ihipStream_tbDpT10_ENKUlT_T0_E_clISt17integral_constantIbLb1EES19_IbLb0EEEEDaS15_S16_EUlS15_E_NS1_11comp_targetILNS1_3genE4ELNS1_11target_archE910ELNS1_3gpuE8ELNS1_3repE0EEENS1_30default_config_static_selectorELNS0_4arch9wavefront6targetE0EEEvT1_.uses_vcc, 0
	.set _ZN7rocprim17ROCPRIM_400000_NS6detail17trampoline_kernelINS0_14default_configENS1_25partition_config_selectorILNS1_17partition_subalgoE9EllbEEZZNS1_14partition_implILS5_9ELb0ES3_jPlS8_PNS0_10empty_typeENS0_5tupleIJS8_S9_EEENSB_IJS8_SA_EEENS0_18inequality_wrapperIZN2at6native12_GLOBAL__N_124unique_dim_cuda_templateIsEESt5tupleIJNSF_6TensorESK_SK_EERKSK_lbbbEUlllE0_EEPmJS9_EEE10hipError_tPvRmT3_T4_T5_T6_T7_T9_mT8_P12ihipStream_tbDpT10_ENKUlT_T0_E_clISt17integral_constantIbLb1EES19_IbLb0EEEEDaS15_S16_EUlS15_E_NS1_11comp_targetILNS1_3genE4ELNS1_11target_archE910ELNS1_3gpuE8ELNS1_3repE0EEENS1_30default_config_static_selectorELNS0_4arch9wavefront6targetE0EEEvT1_.uses_flat_scratch, 0
	.set _ZN7rocprim17ROCPRIM_400000_NS6detail17trampoline_kernelINS0_14default_configENS1_25partition_config_selectorILNS1_17partition_subalgoE9EllbEEZZNS1_14partition_implILS5_9ELb0ES3_jPlS8_PNS0_10empty_typeENS0_5tupleIJS8_S9_EEENSB_IJS8_SA_EEENS0_18inequality_wrapperIZN2at6native12_GLOBAL__N_124unique_dim_cuda_templateIsEESt5tupleIJNSF_6TensorESK_SK_EERKSK_lbbbEUlllE0_EEPmJS9_EEE10hipError_tPvRmT3_T4_T5_T6_T7_T9_mT8_P12ihipStream_tbDpT10_ENKUlT_T0_E_clISt17integral_constantIbLb1EES19_IbLb0EEEEDaS15_S16_EUlS15_E_NS1_11comp_targetILNS1_3genE4ELNS1_11target_archE910ELNS1_3gpuE8ELNS1_3repE0EEENS1_30default_config_static_selectorELNS0_4arch9wavefront6targetE0EEEvT1_.has_dyn_sized_stack, 0
	.set _ZN7rocprim17ROCPRIM_400000_NS6detail17trampoline_kernelINS0_14default_configENS1_25partition_config_selectorILNS1_17partition_subalgoE9EllbEEZZNS1_14partition_implILS5_9ELb0ES3_jPlS8_PNS0_10empty_typeENS0_5tupleIJS8_S9_EEENSB_IJS8_SA_EEENS0_18inequality_wrapperIZN2at6native12_GLOBAL__N_124unique_dim_cuda_templateIsEESt5tupleIJNSF_6TensorESK_SK_EERKSK_lbbbEUlllE0_EEPmJS9_EEE10hipError_tPvRmT3_T4_T5_T6_T7_T9_mT8_P12ihipStream_tbDpT10_ENKUlT_T0_E_clISt17integral_constantIbLb1EES19_IbLb0EEEEDaS15_S16_EUlS15_E_NS1_11comp_targetILNS1_3genE4ELNS1_11target_archE910ELNS1_3gpuE8ELNS1_3repE0EEENS1_30default_config_static_selectorELNS0_4arch9wavefront6targetE0EEEvT1_.has_recursion, 0
	.set _ZN7rocprim17ROCPRIM_400000_NS6detail17trampoline_kernelINS0_14default_configENS1_25partition_config_selectorILNS1_17partition_subalgoE9EllbEEZZNS1_14partition_implILS5_9ELb0ES3_jPlS8_PNS0_10empty_typeENS0_5tupleIJS8_S9_EEENSB_IJS8_SA_EEENS0_18inequality_wrapperIZN2at6native12_GLOBAL__N_124unique_dim_cuda_templateIsEESt5tupleIJNSF_6TensorESK_SK_EERKSK_lbbbEUlllE0_EEPmJS9_EEE10hipError_tPvRmT3_T4_T5_T6_T7_T9_mT8_P12ihipStream_tbDpT10_ENKUlT_T0_E_clISt17integral_constantIbLb1EES19_IbLb0EEEEDaS15_S16_EUlS15_E_NS1_11comp_targetILNS1_3genE4ELNS1_11target_archE910ELNS1_3gpuE8ELNS1_3repE0EEENS1_30default_config_static_selectorELNS0_4arch9wavefront6targetE0EEEvT1_.has_indirect_call, 0
	.section	.AMDGPU.csdata,"",@progbits
; Kernel info:
; codeLenInByte = 0
; TotalNumSgprs: 0
; NumVgprs: 0
; ScratchSize: 0
; MemoryBound: 0
; FloatMode: 240
; IeeeMode: 1
; LDSByteSize: 0 bytes/workgroup (compile time only)
; SGPRBlocks: 0
; VGPRBlocks: 0
; NumSGPRsForWavesPerEU: 1
; NumVGPRsForWavesPerEU: 1
; NamedBarCnt: 0
; Occupancy: 16
; WaveLimiterHint : 0
; COMPUTE_PGM_RSRC2:SCRATCH_EN: 0
; COMPUTE_PGM_RSRC2:USER_SGPR: 2
; COMPUTE_PGM_RSRC2:TRAP_HANDLER: 0
; COMPUTE_PGM_RSRC2:TGID_X_EN: 1
; COMPUTE_PGM_RSRC2:TGID_Y_EN: 0
; COMPUTE_PGM_RSRC2:TGID_Z_EN: 0
; COMPUTE_PGM_RSRC2:TIDIG_COMP_CNT: 0
	.section	.text._ZN7rocprim17ROCPRIM_400000_NS6detail17trampoline_kernelINS0_14default_configENS1_25partition_config_selectorILNS1_17partition_subalgoE9EllbEEZZNS1_14partition_implILS5_9ELb0ES3_jPlS8_PNS0_10empty_typeENS0_5tupleIJS8_S9_EEENSB_IJS8_SA_EEENS0_18inequality_wrapperIZN2at6native12_GLOBAL__N_124unique_dim_cuda_templateIsEESt5tupleIJNSF_6TensorESK_SK_EERKSK_lbbbEUlllE0_EEPmJS9_EEE10hipError_tPvRmT3_T4_T5_T6_T7_T9_mT8_P12ihipStream_tbDpT10_ENKUlT_T0_E_clISt17integral_constantIbLb1EES19_IbLb0EEEEDaS15_S16_EUlS15_E_NS1_11comp_targetILNS1_3genE3ELNS1_11target_archE908ELNS1_3gpuE7ELNS1_3repE0EEENS1_30default_config_static_selectorELNS0_4arch9wavefront6targetE0EEEvT1_,"axG",@progbits,_ZN7rocprim17ROCPRIM_400000_NS6detail17trampoline_kernelINS0_14default_configENS1_25partition_config_selectorILNS1_17partition_subalgoE9EllbEEZZNS1_14partition_implILS5_9ELb0ES3_jPlS8_PNS0_10empty_typeENS0_5tupleIJS8_S9_EEENSB_IJS8_SA_EEENS0_18inequality_wrapperIZN2at6native12_GLOBAL__N_124unique_dim_cuda_templateIsEESt5tupleIJNSF_6TensorESK_SK_EERKSK_lbbbEUlllE0_EEPmJS9_EEE10hipError_tPvRmT3_T4_T5_T6_T7_T9_mT8_P12ihipStream_tbDpT10_ENKUlT_T0_E_clISt17integral_constantIbLb1EES19_IbLb0EEEEDaS15_S16_EUlS15_E_NS1_11comp_targetILNS1_3genE3ELNS1_11target_archE908ELNS1_3gpuE7ELNS1_3repE0EEENS1_30default_config_static_selectorELNS0_4arch9wavefront6targetE0EEEvT1_,comdat
	.globl	_ZN7rocprim17ROCPRIM_400000_NS6detail17trampoline_kernelINS0_14default_configENS1_25partition_config_selectorILNS1_17partition_subalgoE9EllbEEZZNS1_14partition_implILS5_9ELb0ES3_jPlS8_PNS0_10empty_typeENS0_5tupleIJS8_S9_EEENSB_IJS8_SA_EEENS0_18inequality_wrapperIZN2at6native12_GLOBAL__N_124unique_dim_cuda_templateIsEESt5tupleIJNSF_6TensorESK_SK_EERKSK_lbbbEUlllE0_EEPmJS9_EEE10hipError_tPvRmT3_T4_T5_T6_T7_T9_mT8_P12ihipStream_tbDpT10_ENKUlT_T0_E_clISt17integral_constantIbLb1EES19_IbLb0EEEEDaS15_S16_EUlS15_E_NS1_11comp_targetILNS1_3genE3ELNS1_11target_archE908ELNS1_3gpuE7ELNS1_3repE0EEENS1_30default_config_static_selectorELNS0_4arch9wavefront6targetE0EEEvT1_ ; -- Begin function _ZN7rocprim17ROCPRIM_400000_NS6detail17trampoline_kernelINS0_14default_configENS1_25partition_config_selectorILNS1_17partition_subalgoE9EllbEEZZNS1_14partition_implILS5_9ELb0ES3_jPlS8_PNS0_10empty_typeENS0_5tupleIJS8_S9_EEENSB_IJS8_SA_EEENS0_18inequality_wrapperIZN2at6native12_GLOBAL__N_124unique_dim_cuda_templateIsEESt5tupleIJNSF_6TensorESK_SK_EERKSK_lbbbEUlllE0_EEPmJS9_EEE10hipError_tPvRmT3_T4_T5_T6_T7_T9_mT8_P12ihipStream_tbDpT10_ENKUlT_T0_E_clISt17integral_constantIbLb1EES19_IbLb0EEEEDaS15_S16_EUlS15_E_NS1_11comp_targetILNS1_3genE3ELNS1_11target_archE908ELNS1_3gpuE7ELNS1_3repE0EEENS1_30default_config_static_selectorELNS0_4arch9wavefront6targetE0EEEvT1_
	.p2align	8
	.type	_ZN7rocprim17ROCPRIM_400000_NS6detail17trampoline_kernelINS0_14default_configENS1_25partition_config_selectorILNS1_17partition_subalgoE9EllbEEZZNS1_14partition_implILS5_9ELb0ES3_jPlS8_PNS0_10empty_typeENS0_5tupleIJS8_S9_EEENSB_IJS8_SA_EEENS0_18inequality_wrapperIZN2at6native12_GLOBAL__N_124unique_dim_cuda_templateIsEESt5tupleIJNSF_6TensorESK_SK_EERKSK_lbbbEUlllE0_EEPmJS9_EEE10hipError_tPvRmT3_T4_T5_T6_T7_T9_mT8_P12ihipStream_tbDpT10_ENKUlT_T0_E_clISt17integral_constantIbLb1EES19_IbLb0EEEEDaS15_S16_EUlS15_E_NS1_11comp_targetILNS1_3genE3ELNS1_11target_archE908ELNS1_3gpuE7ELNS1_3repE0EEENS1_30default_config_static_selectorELNS0_4arch9wavefront6targetE0EEEvT1_,@function
_ZN7rocprim17ROCPRIM_400000_NS6detail17trampoline_kernelINS0_14default_configENS1_25partition_config_selectorILNS1_17partition_subalgoE9EllbEEZZNS1_14partition_implILS5_9ELb0ES3_jPlS8_PNS0_10empty_typeENS0_5tupleIJS8_S9_EEENSB_IJS8_SA_EEENS0_18inequality_wrapperIZN2at6native12_GLOBAL__N_124unique_dim_cuda_templateIsEESt5tupleIJNSF_6TensorESK_SK_EERKSK_lbbbEUlllE0_EEPmJS9_EEE10hipError_tPvRmT3_T4_T5_T6_T7_T9_mT8_P12ihipStream_tbDpT10_ENKUlT_T0_E_clISt17integral_constantIbLb1EES19_IbLb0EEEEDaS15_S16_EUlS15_E_NS1_11comp_targetILNS1_3genE3ELNS1_11target_archE908ELNS1_3gpuE7ELNS1_3repE0EEENS1_30default_config_static_selectorELNS0_4arch9wavefront6targetE0EEEvT1_: ; @_ZN7rocprim17ROCPRIM_400000_NS6detail17trampoline_kernelINS0_14default_configENS1_25partition_config_selectorILNS1_17partition_subalgoE9EllbEEZZNS1_14partition_implILS5_9ELb0ES3_jPlS8_PNS0_10empty_typeENS0_5tupleIJS8_S9_EEENSB_IJS8_SA_EEENS0_18inequality_wrapperIZN2at6native12_GLOBAL__N_124unique_dim_cuda_templateIsEESt5tupleIJNSF_6TensorESK_SK_EERKSK_lbbbEUlllE0_EEPmJS9_EEE10hipError_tPvRmT3_T4_T5_T6_T7_T9_mT8_P12ihipStream_tbDpT10_ENKUlT_T0_E_clISt17integral_constantIbLb1EES19_IbLb0EEEEDaS15_S16_EUlS15_E_NS1_11comp_targetILNS1_3genE3ELNS1_11target_archE908ELNS1_3gpuE7ELNS1_3repE0EEENS1_30default_config_static_selectorELNS0_4arch9wavefront6targetE0EEEvT1_
; %bb.0:
	.section	.rodata,"a",@progbits
	.p2align	6, 0x0
	.amdhsa_kernel _ZN7rocprim17ROCPRIM_400000_NS6detail17trampoline_kernelINS0_14default_configENS1_25partition_config_selectorILNS1_17partition_subalgoE9EllbEEZZNS1_14partition_implILS5_9ELb0ES3_jPlS8_PNS0_10empty_typeENS0_5tupleIJS8_S9_EEENSB_IJS8_SA_EEENS0_18inequality_wrapperIZN2at6native12_GLOBAL__N_124unique_dim_cuda_templateIsEESt5tupleIJNSF_6TensorESK_SK_EERKSK_lbbbEUlllE0_EEPmJS9_EEE10hipError_tPvRmT3_T4_T5_T6_T7_T9_mT8_P12ihipStream_tbDpT10_ENKUlT_T0_E_clISt17integral_constantIbLb1EES19_IbLb0EEEEDaS15_S16_EUlS15_E_NS1_11comp_targetILNS1_3genE3ELNS1_11target_archE908ELNS1_3gpuE7ELNS1_3repE0EEENS1_30default_config_static_selectorELNS0_4arch9wavefront6targetE0EEEvT1_
		.amdhsa_group_segment_fixed_size 0
		.amdhsa_private_segment_fixed_size 0
		.amdhsa_kernarg_size 120
		.amdhsa_user_sgpr_count 2
		.amdhsa_user_sgpr_dispatch_ptr 0
		.amdhsa_user_sgpr_queue_ptr 0
		.amdhsa_user_sgpr_kernarg_segment_ptr 1
		.amdhsa_user_sgpr_dispatch_id 0
		.amdhsa_user_sgpr_kernarg_preload_length 0
		.amdhsa_user_sgpr_kernarg_preload_offset 0
		.amdhsa_user_sgpr_private_segment_size 0
		.amdhsa_wavefront_size32 1
		.amdhsa_uses_dynamic_stack 0
		.amdhsa_enable_private_segment 0
		.amdhsa_system_sgpr_workgroup_id_x 1
		.amdhsa_system_sgpr_workgroup_id_y 0
		.amdhsa_system_sgpr_workgroup_id_z 0
		.amdhsa_system_sgpr_workgroup_info 0
		.amdhsa_system_vgpr_workitem_id 0
		.amdhsa_next_free_vgpr 1
		.amdhsa_next_free_sgpr 1
		.amdhsa_named_barrier_count 0
		.amdhsa_reserve_vcc 0
		.amdhsa_float_round_mode_32 0
		.amdhsa_float_round_mode_16_64 0
		.amdhsa_float_denorm_mode_32 3
		.amdhsa_float_denorm_mode_16_64 3
		.amdhsa_fp16_overflow 0
		.amdhsa_memory_ordered 1
		.amdhsa_forward_progress 1
		.amdhsa_inst_pref_size 0
		.amdhsa_round_robin_scheduling 0
		.amdhsa_exception_fp_ieee_invalid_op 0
		.amdhsa_exception_fp_denorm_src 0
		.amdhsa_exception_fp_ieee_div_zero 0
		.amdhsa_exception_fp_ieee_overflow 0
		.amdhsa_exception_fp_ieee_underflow 0
		.amdhsa_exception_fp_ieee_inexact 0
		.amdhsa_exception_int_div_zero 0
	.end_amdhsa_kernel
	.section	.text._ZN7rocprim17ROCPRIM_400000_NS6detail17trampoline_kernelINS0_14default_configENS1_25partition_config_selectorILNS1_17partition_subalgoE9EllbEEZZNS1_14partition_implILS5_9ELb0ES3_jPlS8_PNS0_10empty_typeENS0_5tupleIJS8_S9_EEENSB_IJS8_SA_EEENS0_18inequality_wrapperIZN2at6native12_GLOBAL__N_124unique_dim_cuda_templateIsEESt5tupleIJNSF_6TensorESK_SK_EERKSK_lbbbEUlllE0_EEPmJS9_EEE10hipError_tPvRmT3_T4_T5_T6_T7_T9_mT8_P12ihipStream_tbDpT10_ENKUlT_T0_E_clISt17integral_constantIbLb1EES19_IbLb0EEEEDaS15_S16_EUlS15_E_NS1_11comp_targetILNS1_3genE3ELNS1_11target_archE908ELNS1_3gpuE7ELNS1_3repE0EEENS1_30default_config_static_selectorELNS0_4arch9wavefront6targetE0EEEvT1_,"axG",@progbits,_ZN7rocprim17ROCPRIM_400000_NS6detail17trampoline_kernelINS0_14default_configENS1_25partition_config_selectorILNS1_17partition_subalgoE9EllbEEZZNS1_14partition_implILS5_9ELb0ES3_jPlS8_PNS0_10empty_typeENS0_5tupleIJS8_S9_EEENSB_IJS8_SA_EEENS0_18inequality_wrapperIZN2at6native12_GLOBAL__N_124unique_dim_cuda_templateIsEESt5tupleIJNSF_6TensorESK_SK_EERKSK_lbbbEUlllE0_EEPmJS9_EEE10hipError_tPvRmT3_T4_T5_T6_T7_T9_mT8_P12ihipStream_tbDpT10_ENKUlT_T0_E_clISt17integral_constantIbLb1EES19_IbLb0EEEEDaS15_S16_EUlS15_E_NS1_11comp_targetILNS1_3genE3ELNS1_11target_archE908ELNS1_3gpuE7ELNS1_3repE0EEENS1_30default_config_static_selectorELNS0_4arch9wavefront6targetE0EEEvT1_,comdat
.Lfunc_end736:
	.size	_ZN7rocprim17ROCPRIM_400000_NS6detail17trampoline_kernelINS0_14default_configENS1_25partition_config_selectorILNS1_17partition_subalgoE9EllbEEZZNS1_14partition_implILS5_9ELb0ES3_jPlS8_PNS0_10empty_typeENS0_5tupleIJS8_S9_EEENSB_IJS8_SA_EEENS0_18inequality_wrapperIZN2at6native12_GLOBAL__N_124unique_dim_cuda_templateIsEESt5tupleIJNSF_6TensorESK_SK_EERKSK_lbbbEUlllE0_EEPmJS9_EEE10hipError_tPvRmT3_T4_T5_T6_T7_T9_mT8_P12ihipStream_tbDpT10_ENKUlT_T0_E_clISt17integral_constantIbLb1EES19_IbLb0EEEEDaS15_S16_EUlS15_E_NS1_11comp_targetILNS1_3genE3ELNS1_11target_archE908ELNS1_3gpuE7ELNS1_3repE0EEENS1_30default_config_static_selectorELNS0_4arch9wavefront6targetE0EEEvT1_, .Lfunc_end736-_ZN7rocprim17ROCPRIM_400000_NS6detail17trampoline_kernelINS0_14default_configENS1_25partition_config_selectorILNS1_17partition_subalgoE9EllbEEZZNS1_14partition_implILS5_9ELb0ES3_jPlS8_PNS0_10empty_typeENS0_5tupleIJS8_S9_EEENSB_IJS8_SA_EEENS0_18inequality_wrapperIZN2at6native12_GLOBAL__N_124unique_dim_cuda_templateIsEESt5tupleIJNSF_6TensorESK_SK_EERKSK_lbbbEUlllE0_EEPmJS9_EEE10hipError_tPvRmT3_T4_T5_T6_T7_T9_mT8_P12ihipStream_tbDpT10_ENKUlT_T0_E_clISt17integral_constantIbLb1EES19_IbLb0EEEEDaS15_S16_EUlS15_E_NS1_11comp_targetILNS1_3genE3ELNS1_11target_archE908ELNS1_3gpuE7ELNS1_3repE0EEENS1_30default_config_static_selectorELNS0_4arch9wavefront6targetE0EEEvT1_
                                        ; -- End function
	.set _ZN7rocprim17ROCPRIM_400000_NS6detail17trampoline_kernelINS0_14default_configENS1_25partition_config_selectorILNS1_17partition_subalgoE9EllbEEZZNS1_14partition_implILS5_9ELb0ES3_jPlS8_PNS0_10empty_typeENS0_5tupleIJS8_S9_EEENSB_IJS8_SA_EEENS0_18inequality_wrapperIZN2at6native12_GLOBAL__N_124unique_dim_cuda_templateIsEESt5tupleIJNSF_6TensorESK_SK_EERKSK_lbbbEUlllE0_EEPmJS9_EEE10hipError_tPvRmT3_T4_T5_T6_T7_T9_mT8_P12ihipStream_tbDpT10_ENKUlT_T0_E_clISt17integral_constantIbLb1EES19_IbLb0EEEEDaS15_S16_EUlS15_E_NS1_11comp_targetILNS1_3genE3ELNS1_11target_archE908ELNS1_3gpuE7ELNS1_3repE0EEENS1_30default_config_static_selectorELNS0_4arch9wavefront6targetE0EEEvT1_.num_vgpr, 0
	.set _ZN7rocprim17ROCPRIM_400000_NS6detail17trampoline_kernelINS0_14default_configENS1_25partition_config_selectorILNS1_17partition_subalgoE9EllbEEZZNS1_14partition_implILS5_9ELb0ES3_jPlS8_PNS0_10empty_typeENS0_5tupleIJS8_S9_EEENSB_IJS8_SA_EEENS0_18inequality_wrapperIZN2at6native12_GLOBAL__N_124unique_dim_cuda_templateIsEESt5tupleIJNSF_6TensorESK_SK_EERKSK_lbbbEUlllE0_EEPmJS9_EEE10hipError_tPvRmT3_T4_T5_T6_T7_T9_mT8_P12ihipStream_tbDpT10_ENKUlT_T0_E_clISt17integral_constantIbLb1EES19_IbLb0EEEEDaS15_S16_EUlS15_E_NS1_11comp_targetILNS1_3genE3ELNS1_11target_archE908ELNS1_3gpuE7ELNS1_3repE0EEENS1_30default_config_static_selectorELNS0_4arch9wavefront6targetE0EEEvT1_.num_agpr, 0
	.set _ZN7rocprim17ROCPRIM_400000_NS6detail17trampoline_kernelINS0_14default_configENS1_25partition_config_selectorILNS1_17partition_subalgoE9EllbEEZZNS1_14partition_implILS5_9ELb0ES3_jPlS8_PNS0_10empty_typeENS0_5tupleIJS8_S9_EEENSB_IJS8_SA_EEENS0_18inequality_wrapperIZN2at6native12_GLOBAL__N_124unique_dim_cuda_templateIsEESt5tupleIJNSF_6TensorESK_SK_EERKSK_lbbbEUlllE0_EEPmJS9_EEE10hipError_tPvRmT3_T4_T5_T6_T7_T9_mT8_P12ihipStream_tbDpT10_ENKUlT_T0_E_clISt17integral_constantIbLb1EES19_IbLb0EEEEDaS15_S16_EUlS15_E_NS1_11comp_targetILNS1_3genE3ELNS1_11target_archE908ELNS1_3gpuE7ELNS1_3repE0EEENS1_30default_config_static_selectorELNS0_4arch9wavefront6targetE0EEEvT1_.numbered_sgpr, 0
	.set _ZN7rocprim17ROCPRIM_400000_NS6detail17trampoline_kernelINS0_14default_configENS1_25partition_config_selectorILNS1_17partition_subalgoE9EllbEEZZNS1_14partition_implILS5_9ELb0ES3_jPlS8_PNS0_10empty_typeENS0_5tupleIJS8_S9_EEENSB_IJS8_SA_EEENS0_18inequality_wrapperIZN2at6native12_GLOBAL__N_124unique_dim_cuda_templateIsEESt5tupleIJNSF_6TensorESK_SK_EERKSK_lbbbEUlllE0_EEPmJS9_EEE10hipError_tPvRmT3_T4_T5_T6_T7_T9_mT8_P12ihipStream_tbDpT10_ENKUlT_T0_E_clISt17integral_constantIbLb1EES19_IbLb0EEEEDaS15_S16_EUlS15_E_NS1_11comp_targetILNS1_3genE3ELNS1_11target_archE908ELNS1_3gpuE7ELNS1_3repE0EEENS1_30default_config_static_selectorELNS0_4arch9wavefront6targetE0EEEvT1_.num_named_barrier, 0
	.set _ZN7rocprim17ROCPRIM_400000_NS6detail17trampoline_kernelINS0_14default_configENS1_25partition_config_selectorILNS1_17partition_subalgoE9EllbEEZZNS1_14partition_implILS5_9ELb0ES3_jPlS8_PNS0_10empty_typeENS0_5tupleIJS8_S9_EEENSB_IJS8_SA_EEENS0_18inequality_wrapperIZN2at6native12_GLOBAL__N_124unique_dim_cuda_templateIsEESt5tupleIJNSF_6TensorESK_SK_EERKSK_lbbbEUlllE0_EEPmJS9_EEE10hipError_tPvRmT3_T4_T5_T6_T7_T9_mT8_P12ihipStream_tbDpT10_ENKUlT_T0_E_clISt17integral_constantIbLb1EES19_IbLb0EEEEDaS15_S16_EUlS15_E_NS1_11comp_targetILNS1_3genE3ELNS1_11target_archE908ELNS1_3gpuE7ELNS1_3repE0EEENS1_30default_config_static_selectorELNS0_4arch9wavefront6targetE0EEEvT1_.private_seg_size, 0
	.set _ZN7rocprim17ROCPRIM_400000_NS6detail17trampoline_kernelINS0_14default_configENS1_25partition_config_selectorILNS1_17partition_subalgoE9EllbEEZZNS1_14partition_implILS5_9ELb0ES3_jPlS8_PNS0_10empty_typeENS0_5tupleIJS8_S9_EEENSB_IJS8_SA_EEENS0_18inequality_wrapperIZN2at6native12_GLOBAL__N_124unique_dim_cuda_templateIsEESt5tupleIJNSF_6TensorESK_SK_EERKSK_lbbbEUlllE0_EEPmJS9_EEE10hipError_tPvRmT3_T4_T5_T6_T7_T9_mT8_P12ihipStream_tbDpT10_ENKUlT_T0_E_clISt17integral_constantIbLb1EES19_IbLb0EEEEDaS15_S16_EUlS15_E_NS1_11comp_targetILNS1_3genE3ELNS1_11target_archE908ELNS1_3gpuE7ELNS1_3repE0EEENS1_30default_config_static_selectorELNS0_4arch9wavefront6targetE0EEEvT1_.uses_vcc, 0
	.set _ZN7rocprim17ROCPRIM_400000_NS6detail17trampoline_kernelINS0_14default_configENS1_25partition_config_selectorILNS1_17partition_subalgoE9EllbEEZZNS1_14partition_implILS5_9ELb0ES3_jPlS8_PNS0_10empty_typeENS0_5tupleIJS8_S9_EEENSB_IJS8_SA_EEENS0_18inequality_wrapperIZN2at6native12_GLOBAL__N_124unique_dim_cuda_templateIsEESt5tupleIJNSF_6TensorESK_SK_EERKSK_lbbbEUlllE0_EEPmJS9_EEE10hipError_tPvRmT3_T4_T5_T6_T7_T9_mT8_P12ihipStream_tbDpT10_ENKUlT_T0_E_clISt17integral_constantIbLb1EES19_IbLb0EEEEDaS15_S16_EUlS15_E_NS1_11comp_targetILNS1_3genE3ELNS1_11target_archE908ELNS1_3gpuE7ELNS1_3repE0EEENS1_30default_config_static_selectorELNS0_4arch9wavefront6targetE0EEEvT1_.uses_flat_scratch, 0
	.set _ZN7rocprim17ROCPRIM_400000_NS6detail17trampoline_kernelINS0_14default_configENS1_25partition_config_selectorILNS1_17partition_subalgoE9EllbEEZZNS1_14partition_implILS5_9ELb0ES3_jPlS8_PNS0_10empty_typeENS0_5tupleIJS8_S9_EEENSB_IJS8_SA_EEENS0_18inequality_wrapperIZN2at6native12_GLOBAL__N_124unique_dim_cuda_templateIsEESt5tupleIJNSF_6TensorESK_SK_EERKSK_lbbbEUlllE0_EEPmJS9_EEE10hipError_tPvRmT3_T4_T5_T6_T7_T9_mT8_P12ihipStream_tbDpT10_ENKUlT_T0_E_clISt17integral_constantIbLb1EES19_IbLb0EEEEDaS15_S16_EUlS15_E_NS1_11comp_targetILNS1_3genE3ELNS1_11target_archE908ELNS1_3gpuE7ELNS1_3repE0EEENS1_30default_config_static_selectorELNS0_4arch9wavefront6targetE0EEEvT1_.has_dyn_sized_stack, 0
	.set _ZN7rocprim17ROCPRIM_400000_NS6detail17trampoline_kernelINS0_14default_configENS1_25partition_config_selectorILNS1_17partition_subalgoE9EllbEEZZNS1_14partition_implILS5_9ELb0ES3_jPlS8_PNS0_10empty_typeENS0_5tupleIJS8_S9_EEENSB_IJS8_SA_EEENS0_18inequality_wrapperIZN2at6native12_GLOBAL__N_124unique_dim_cuda_templateIsEESt5tupleIJNSF_6TensorESK_SK_EERKSK_lbbbEUlllE0_EEPmJS9_EEE10hipError_tPvRmT3_T4_T5_T6_T7_T9_mT8_P12ihipStream_tbDpT10_ENKUlT_T0_E_clISt17integral_constantIbLb1EES19_IbLb0EEEEDaS15_S16_EUlS15_E_NS1_11comp_targetILNS1_3genE3ELNS1_11target_archE908ELNS1_3gpuE7ELNS1_3repE0EEENS1_30default_config_static_selectorELNS0_4arch9wavefront6targetE0EEEvT1_.has_recursion, 0
	.set _ZN7rocprim17ROCPRIM_400000_NS6detail17trampoline_kernelINS0_14default_configENS1_25partition_config_selectorILNS1_17partition_subalgoE9EllbEEZZNS1_14partition_implILS5_9ELb0ES3_jPlS8_PNS0_10empty_typeENS0_5tupleIJS8_S9_EEENSB_IJS8_SA_EEENS0_18inequality_wrapperIZN2at6native12_GLOBAL__N_124unique_dim_cuda_templateIsEESt5tupleIJNSF_6TensorESK_SK_EERKSK_lbbbEUlllE0_EEPmJS9_EEE10hipError_tPvRmT3_T4_T5_T6_T7_T9_mT8_P12ihipStream_tbDpT10_ENKUlT_T0_E_clISt17integral_constantIbLb1EES19_IbLb0EEEEDaS15_S16_EUlS15_E_NS1_11comp_targetILNS1_3genE3ELNS1_11target_archE908ELNS1_3gpuE7ELNS1_3repE0EEENS1_30default_config_static_selectorELNS0_4arch9wavefront6targetE0EEEvT1_.has_indirect_call, 0
	.section	.AMDGPU.csdata,"",@progbits
; Kernel info:
; codeLenInByte = 0
; TotalNumSgprs: 0
; NumVgprs: 0
; ScratchSize: 0
; MemoryBound: 0
; FloatMode: 240
; IeeeMode: 1
; LDSByteSize: 0 bytes/workgroup (compile time only)
; SGPRBlocks: 0
; VGPRBlocks: 0
; NumSGPRsForWavesPerEU: 1
; NumVGPRsForWavesPerEU: 1
; NamedBarCnt: 0
; Occupancy: 16
; WaveLimiterHint : 0
; COMPUTE_PGM_RSRC2:SCRATCH_EN: 0
; COMPUTE_PGM_RSRC2:USER_SGPR: 2
; COMPUTE_PGM_RSRC2:TRAP_HANDLER: 0
; COMPUTE_PGM_RSRC2:TGID_X_EN: 1
; COMPUTE_PGM_RSRC2:TGID_Y_EN: 0
; COMPUTE_PGM_RSRC2:TGID_Z_EN: 0
; COMPUTE_PGM_RSRC2:TIDIG_COMP_CNT: 0
	.section	.text._ZN7rocprim17ROCPRIM_400000_NS6detail17trampoline_kernelINS0_14default_configENS1_25partition_config_selectorILNS1_17partition_subalgoE9EllbEEZZNS1_14partition_implILS5_9ELb0ES3_jPlS8_PNS0_10empty_typeENS0_5tupleIJS8_S9_EEENSB_IJS8_SA_EEENS0_18inequality_wrapperIZN2at6native12_GLOBAL__N_124unique_dim_cuda_templateIsEESt5tupleIJNSF_6TensorESK_SK_EERKSK_lbbbEUlllE0_EEPmJS9_EEE10hipError_tPvRmT3_T4_T5_T6_T7_T9_mT8_P12ihipStream_tbDpT10_ENKUlT_T0_E_clISt17integral_constantIbLb1EES19_IbLb0EEEEDaS15_S16_EUlS15_E_NS1_11comp_targetILNS1_3genE2ELNS1_11target_archE906ELNS1_3gpuE6ELNS1_3repE0EEENS1_30default_config_static_selectorELNS0_4arch9wavefront6targetE0EEEvT1_,"axG",@progbits,_ZN7rocprim17ROCPRIM_400000_NS6detail17trampoline_kernelINS0_14default_configENS1_25partition_config_selectorILNS1_17partition_subalgoE9EllbEEZZNS1_14partition_implILS5_9ELb0ES3_jPlS8_PNS0_10empty_typeENS0_5tupleIJS8_S9_EEENSB_IJS8_SA_EEENS0_18inequality_wrapperIZN2at6native12_GLOBAL__N_124unique_dim_cuda_templateIsEESt5tupleIJNSF_6TensorESK_SK_EERKSK_lbbbEUlllE0_EEPmJS9_EEE10hipError_tPvRmT3_T4_T5_T6_T7_T9_mT8_P12ihipStream_tbDpT10_ENKUlT_T0_E_clISt17integral_constantIbLb1EES19_IbLb0EEEEDaS15_S16_EUlS15_E_NS1_11comp_targetILNS1_3genE2ELNS1_11target_archE906ELNS1_3gpuE6ELNS1_3repE0EEENS1_30default_config_static_selectorELNS0_4arch9wavefront6targetE0EEEvT1_,comdat
	.globl	_ZN7rocprim17ROCPRIM_400000_NS6detail17trampoline_kernelINS0_14default_configENS1_25partition_config_selectorILNS1_17partition_subalgoE9EllbEEZZNS1_14partition_implILS5_9ELb0ES3_jPlS8_PNS0_10empty_typeENS0_5tupleIJS8_S9_EEENSB_IJS8_SA_EEENS0_18inequality_wrapperIZN2at6native12_GLOBAL__N_124unique_dim_cuda_templateIsEESt5tupleIJNSF_6TensorESK_SK_EERKSK_lbbbEUlllE0_EEPmJS9_EEE10hipError_tPvRmT3_T4_T5_T6_T7_T9_mT8_P12ihipStream_tbDpT10_ENKUlT_T0_E_clISt17integral_constantIbLb1EES19_IbLb0EEEEDaS15_S16_EUlS15_E_NS1_11comp_targetILNS1_3genE2ELNS1_11target_archE906ELNS1_3gpuE6ELNS1_3repE0EEENS1_30default_config_static_selectorELNS0_4arch9wavefront6targetE0EEEvT1_ ; -- Begin function _ZN7rocprim17ROCPRIM_400000_NS6detail17trampoline_kernelINS0_14default_configENS1_25partition_config_selectorILNS1_17partition_subalgoE9EllbEEZZNS1_14partition_implILS5_9ELb0ES3_jPlS8_PNS0_10empty_typeENS0_5tupleIJS8_S9_EEENSB_IJS8_SA_EEENS0_18inequality_wrapperIZN2at6native12_GLOBAL__N_124unique_dim_cuda_templateIsEESt5tupleIJNSF_6TensorESK_SK_EERKSK_lbbbEUlllE0_EEPmJS9_EEE10hipError_tPvRmT3_T4_T5_T6_T7_T9_mT8_P12ihipStream_tbDpT10_ENKUlT_T0_E_clISt17integral_constantIbLb1EES19_IbLb0EEEEDaS15_S16_EUlS15_E_NS1_11comp_targetILNS1_3genE2ELNS1_11target_archE906ELNS1_3gpuE6ELNS1_3repE0EEENS1_30default_config_static_selectorELNS0_4arch9wavefront6targetE0EEEvT1_
	.p2align	8
	.type	_ZN7rocprim17ROCPRIM_400000_NS6detail17trampoline_kernelINS0_14default_configENS1_25partition_config_selectorILNS1_17partition_subalgoE9EllbEEZZNS1_14partition_implILS5_9ELb0ES3_jPlS8_PNS0_10empty_typeENS0_5tupleIJS8_S9_EEENSB_IJS8_SA_EEENS0_18inequality_wrapperIZN2at6native12_GLOBAL__N_124unique_dim_cuda_templateIsEESt5tupleIJNSF_6TensorESK_SK_EERKSK_lbbbEUlllE0_EEPmJS9_EEE10hipError_tPvRmT3_T4_T5_T6_T7_T9_mT8_P12ihipStream_tbDpT10_ENKUlT_T0_E_clISt17integral_constantIbLb1EES19_IbLb0EEEEDaS15_S16_EUlS15_E_NS1_11comp_targetILNS1_3genE2ELNS1_11target_archE906ELNS1_3gpuE6ELNS1_3repE0EEENS1_30default_config_static_selectorELNS0_4arch9wavefront6targetE0EEEvT1_,@function
_ZN7rocprim17ROCPRIM_400000_NS6detail17trampoline_kernelINS0_14default_configENS1_25partition_config_selectorILNS1_17partition_subalgoE9EllbEEZZNS1_14partition_implILS5_9ELb0ES3_jPlS8_PNS0_10empty_typeENS0_5tupleIJS8_S9_EEENSB_IJS8_SA_EEENS0_18inequality_wrapperIZN2at6native12_GLOBAL__N_124unique_dim_cuda_templateIsEESt5tupleIJNSF_6TensorESK_SK_EERKSK_lbbbEUlllE0_EEPmJS9_EEE10hipError_tPvRmT3_T4_T5_T6_T7_T9_mT8_P12ihipStream_tbDpT10_ENKUlT_T0_E_clISt17integral_constantIbLb1EES19_IbLb0EEEEDaS15_S16_EUlS15_E_NS1_11comp_targetILNS1_3genE2ELNS1_11target_archE906ELNS1_3gpuE6ELNS1_3repE0EEENS1_30default_config_static_selectorELNS0_4arch9wavefront6targetE0EEEvT1_: ; @_ZN7rocprim17ROCPRIM_400000_NS6detail17trampoline_kernelINS0_14default_configENS1_25partition_config_selectorILNS1_17partition_subalgoE9EllbEEZZNS1_14partition_implILS5_9ELb0ES3_jPlS8_PNS0_10empty_typeENS0_5tupleIJS8_S9_EEENSB_IJS8_SA_EEENS0_18inequality_wrapperIZN2at6native12_GLOBAL__N_124unique_dim_cuda_templateIsEESt5tupleIJNSF_6TensorESK_SK_EERKSK_lbbbEUlllE0_EEPmJS9_EEE10hipError_tPvRmT3_T4_T5_T6_T7_T9_mT8_P12ihipStream_tbDpT10_ENKUlT_T0_E_clISt17integral_constantIbLb1EES19_IbLb0EEEEDaS15_S16_EUlS15_E_NS1_11comp_targetILNS1_3genE2ELNS1_11target_archE906ELNS1_3gpuE6ELNS1_3repE0EEENS1_30default_config_static_selectorELNS0_4arch9wavefront6targetE0EEEvT1_
; %bb.0:
	.section	.rodata,"a",@progbits
	.p2align	6, 0x0
	.amdhsa_kernel _ZN7rocprim17ROCPRIM_400000_NS6detail17trampoline_kernelINS0_14default_configENS1_25partition_config_selectorILNS1_17partition_subalgoE9EllbEEZZNS1_14partition_implILS5_9ELb0ES3_jPlS8_PNS0_10empty_typeENS0_5tupleIJS8_S9_EEENSB_IJS8_SA_EEENS0_18inequality_wrapperIZN2at6native12_GLOBAL__N_124unique_dim_cuda_templateIsEESt5tupleIJNSF_6TensorESK_SK_EERKSK_lbbbEUlllE0_EEPmJS9_EEE10hipError_tPvRmT3_T4_T5_T6_T7_T9_mT8_P12ihipStream_tbDpT10_ENKUlT_T0_E_clISt17integral_constantIbLb1EES19_IbLb0EEEEDaS15_S16_EUlS15_E_NS1_11comp_targetILNS1_3genE2ELNS1_11target_archE906ELNS1_3gpuE6ELNS1_3repE0EEENS1_30default_config_static_selectorELNS0_4arch9wavefront6targetE0EEEvT1_
		.amdhsa_group_segment_fixed_size 0
		.amdhsa_private_segment_fixed_size 0
		.amdhsa_kernarg_size 120
		.amdhsa_user_sgpr_count 2
		.amdhsa_user_sgpr_dispatch_ptr 0
		.amdhsa_user_sgpr_queue_ptr 0
		.amdhsa_user_sgpr_kernarg_segment_ptr 1
		.amdhsa_user_sgpr_dispatch_id 0
		.amdhsa_user_sgpr_kernarg_preload_length 0
		.amdhsa_user_sgpr_kernarg_preload_offset 0
		.amdhsa_user_sgpr_private_segment_size 0
		.amdhsa_wavefront_size32 1
		.amdhsa_uses_dynamic_stack 0
		.amdhsa_enable_private_segment 0
		.amdhsa_system_sgpr_workgroup_id_x 1
		.amdhsa_system_sgpr_workgroup_id_y 0
		.amdhsa_system_sgpr_workgroup_id_z 0
		.amdhsa_system_sgpr_workgroup_info 0
		.amdhsa_system_vgpr_workitem_id 0
		.amdhsa_next_free_vgpr 1
		.amdhsa_next_free_sgpr 1
		.amdhsa_named_barrier_count 0
		.amdhsa_reserve_vcc 0
		.amdhsa_float_round_mode_32 0
		.amdhsa_float_round_mode_16_64 0
		.amdhsa_float_denorm_mode_32 3
		.amdhsa_float_denorm_mode_16_64 3
		.amdhsa_fp16_overflow 0
		.amdhsa_memory_ordered 1
		.amdhsa_forward_progress 1
		.amdhsa_inst_pref_size 0
		.amdhsa_round_robin_scheduling 0
		.amdhsa_exception_fp_ieee_invalid_op 0
		.amdhsa_exception_fp_denorm_src 0
		.amdhsa_exception_fp_ieee_div_zero 0
		.amdhsa_exception_fp_ieee_overflow 0
		.amdhsa_exception_fp_ieee_underflow 0
		.amdhsa_exception_fp_ieee_inexact 0
		.amdhsa_exception_int_div_zero 0
	.end_amdhsa_kernel
	.section	.text._ZN7rocprim17ROCPRIM_400000_NS6detail17trampoline_kernelINS0_14default_configENS1_25partition_config_selectorILNS1_17partition_subalgoE9EllbEEZZNS1_14partition_implILS5_9ELb0ES3_jPlS8_PNS0_10empty_typeENS0_5tupleIJS8_S9_EEENSB_IJS8_SA_EEENS0_18inequality_wrapperIZN2at6native12_GLOBAL__N_124unique_dim_cuda_templateIsEESt5tupleIJNSF_6TensorESK_SK_EERKSK_lbbbEUlllE0_EEPmJS9_EEE10hipError_tPvRmT3_T4_T5_T6_T7_T9_mT8_P12ihipStream_tbDpT10_ENKUlT_T0_E_clISt17integral_constantIbLb1EES19_IbLb0EEEEDaS15_S16_EUlS15_E_NS1_11comp_targetILNS1_3genE2ELNS1_11target_archE906ELNS1_3gpuE6ELNS1_3repE0EEENS1_30default_config_static_selectorELNS0_4arch9wavefront6targetE0EEEvT1_,"axG",@progbits,_ZN7rocprim17ROCPRIM_400000_NS6detail17trampoline_kernelINS0_14default_configENS1_25partition_config_selectorILNS1_17partition_subalgoE9EllbEEZZNS1_14partition_implILS5_9ELb0ES3_jPlS8_PNS0_10empty_typeENS0_5tupleIJS8_S9_EEENSB_IJS8_SA_EEENS0_18inequality_wrapperIZN2at6native12_GLOBAL__N_124unique_dim_cuda_templateIsEESt5tupleIJNSF_6TensorESK_SK_EERKSK_lbbbEUlllE0_EEPmJS9_EEE10hipError_tPvRmT3_T4_T5_T6_T7_T9_mT8_P12ihipStream_tbDpT10_ENKUlT_T0_E_clISt17integral_constantIbLb1EES19_IbLb0EEEEDaS15_S16_EUlS15_E_NS1_11comp_targetILNS1_3genE2ELNS1_11target_archE906ELNS1_3gpuE6ELNS1_3repE0EEENS1_30default_config_static_selectorELNS0_4arch9wavefront6targetE0EEEvT1_,comdat
.Lfunc_end737:
	.size	_ZN7rocprim17ROCPRIM_400000_NS6detail17trampoline_kernelINS0_14default_configENS1_25partition_config_selectorILNS1_17partition_subalgoE9EllbEEZZNS1_14partition_implILS5_9ELb0ES3_jPlS8_PNS0_10empty_typeENS0_5tupleIJS8_S9_EEENSB_IJS8_SA_EEENS0_18inequality_wrapperIZN2at6native12_GLOBAL__N_124unique_dim_cuda_templateIsEESt5tupleIJNSF_6TensorESK_SK_EERKSK_lbbbEUlllE0_EEPmJS9_EEE10hipError_tPvRmT3_T4_T5_T6_T7_T9_mT8_P12ihipStream_tbDpT10_ENKUlT_T0_E_clISt17integral_constantIbLb1EES19_IbLb0EEEEDaS15_S16_EUlS15_E_NS1_11comp_targetILNS1_3genE2ELNS1_11target_archE906ELNS1_3gpuE6ELNS1_3repE0EEENS1_30default_config_static_selectorELNS0_4arch9wavefront6targetE0EEEvT1_, .Lfunc_end737-_ZN7rocprim17ROCPRIM_400000_NS6detail17trampoline_kernelINS0_14default_configENS1_25partition_config_selectorILNS1_17partition_subalgoE9EllbEEZZNS1_14partition_implILS5_9ELb0ES3_jPlS8_PNS0_10empty_typeENS0_5tupleIJS8_S9_EEENSB_IJS8_SA_EEENS0_18inequality_wrapperIZN2at6native12_GLOBAL__N_124unique_dim_cuda_templateIsEESt5tupleIJNSF_6TensorESK_SK_EERKSK_lbbbEUlllE0_EEPmJS9_EEE10hipError_tPvRmT3_T4_T5_T6_T7_T9_mT8_P12ihipStream_tbDpT10_ENKUlT_T0_E_clISt17integral_constantIbLb1EES19_IbLb0EEEEDaS15_S16_EUlS15_E_NS1_11comp_targetILNS1_3genE2ELNS1_11target_archE906ELNS1_3gpuE6ELNS1_3repE0EEENS1_30default_config_static_selectorELNS0_4arch9wavefront6targetE0EEEvT1_
                                        ; -- End function
	.set _ZN7rocprim17ROCPRIM_400000_NS6detail17trampoline_kernelINS0_14default_configENS1_25partition_config_selectorILNS1_17partition_subalgoE9EllbEEZZNS1_14partition_implILS5_9ELb0ES3_jPlS8_PNS0_10empty_typeENS0_5tupleIJS8_S9_EEENSB_IJS8_SA_EEENS0_18inequality_wrapperIZN2at6native12_GLOBAL__N_124unique_dim_cuda_templateIsEESt5tupleIJNSF_6TensorESK_SK_EERKSK_lbbbEUlllE0_EEPmJS9_EEE10hipError_tPvRmT3_T4_T5_T6_T7_T9_mT8_P12ihipStream_tbDpT10_ENKUlT_T0_E_clISt17integral_constantIbLb1EES19_IbLb0EEEEDaS15_S16_EUlS15_E_NS1_11comp_targetILNS1_3genE2ELNS1_11target_archE906ELNS1_3gpuE6ELNS1_3repE0EEENS1_30default_config_static_selectorELNS0_4arch9wavefront6targetE0EEEvT1_.num_vgpr, 0
	.set _ZN7rocprim17ROCPRIM_400000_NS6detail17trampoline_kernelINS0_14default_configENS1_25partition_config_selectorILNS1_17partition_subalgoE9EllbEEZZNS1_14partition_implILS5_9ELb0ES3_jPlS8_PNS0_10empty_typeENS0_5tupleIJS8_S9_EEENSB_IJS8_SA_EEENS0_18inequality_wrapperIZN2at6native12_GLOBAL__N_124unique_dim_cuda_templateIsEESt5tupleIJNSF_6TensorESK_SK_EERKSK_lbbbEUlllE0_EEPmJS9_EEE10hipError_tPvRmT3_T4_T5_T6_T7_T9_mT8_P12ihipStream_tbDpT10_ENKUlT_T0_E_clISt17integral_constantIbLb1EES19_IbLb0EEEEDaS15_S16_EUlS15_E_NS1_11comp_targetILNS1_3genE2ELNS1_11target_archE906ELNS1_3gpuE6ELNS1_3repE0EEENS1_30default_config_static_selectorELNS0_4arch9wavefront6targetE0EEEvT1_.num_agpr, 0
	.set _ZN7rocprim17ROCPRIM_400000_NS6detail17trampoline_kernelINS0_14default_configENS1_25partition_config_selectorILNS1_17partition_subalgoE9EllbEEZZNS1_14partition_implILS5_9ELb0ES3_jPlS8_PNS0_10empty_typeENS0_5tupleIJS8_S9_EEENSB_IJS8_SA_EEENS0_18inequality_wrapperIZN2at6native12_GLOBAL__N_124unique_dim_cuda_templateIsEESt5tupleIJNSF_6TensorESK_SK_EERKSK_lbbbEUlllE0_EEPmJS9_EEE10hipError_tPvRmT3_T4_T5_T6_T7_T9_mT8_P12ihipStream_tbDpT10_ENKUlT_T0_E_clISt17integral_constantIbLb1EES19_IbLb0EEEEDaS15_S16_EUlS15_E_NS1_11comp_targetILNS1_3genE2ELNS1_11target_archE906ELNS1_3gpuE6ELNS1_3repE0EEENS1_30default_config_static_selectorELNS0_4arch9wavefront6targetE0EEEvT1_.numbered_sgpr, 0
	.set _ZN7rocprim17ROCPRIM_400000_NS6detail17trampoline_kernelINS0_14default_configENS1_25partition_config_selectorILNS1_17partition_subalgoE9EllbEEZZNS1_14partition_implILS5_9ELb0ES3_jPlS8_PNS0_10empty_typeENS0_5tupleIJS8_S9_EEENSB_IJS8_SA_EEENS0_18inequality_wrapperIZN2at6native12_GLOBAL__N_124unique_dim_cuda_templateIsEESt5tupleIJNSF_6TensorESK_SK_EERKSK_lbbbEUlllE0_EEPmJS9_EEE10hipError_tPvRmT3_T4_T5_T6_T7_T9_mT8_P12ihipStream_tbDpT10_ENKUlT_T0_E_clISt17integral_constantIbLb1EES19_IbLb0EEEEDaS15_S16_EUlS15_E_NS1_11comp_targetILNS1_3genE2ELNS1_11target_archE906ELNS1_3gpuE6ELNS1_3repE0EEENS1_30default_config_static_selectorELNS0_4arch9wavefront6targetE0EEEvT1_.num_named_barrier, 0
	.set _ZN7rocprim17ROCPRIM_400000_NS6detail17trampoline_kernelINS0_14default_configENS1_25partition_config_selectorILNS1_17partition_subalgoE9EllbEEZZNS1_14partition_implILS5_9ELb0ES3_jPlS8_PNS0_10empty_typeENS0_5tupleIJS8_S9_EEENSB_IJS8_SA_EEENS0_18inequality_wrapperIZN2at6native12_GLOBAL__N_124unique_dim_cuda_templateIsEESt5tupleIJNSF_6TensorESK_SK_EERKSK_lbbbEUlllE0_EEPmJS9_EEE10hipError_tPvRmT3_T4_T5_T6_T7_T9_mT8_P12ihipStream_tbDpT10_ENKUlT_T0_E_clISt17integral_constantIbLb1EES19_IbLb0EEEEDaS15_S16_EUlS15_E_NS1_11comp_targetILNS1_3genE2ELNS1_11target_archE906ELNS1_3gpuE6ELNS1_3repE0EEENS1_30default_config_static_selectorELNS0_4arch9wavefront6targetE0EEEvT1_.private_seg_size, 0
	.set _ZN7rocprim17ROCPRIM_400000_NS6detail17trampoline_kernelINS0_14default_configENS1_25partition_config_selectorILNS1_17partition_subalgoE9EllbEEZZNS1_14partition_implILS5_9ELb0ES3_jPlS8_PNS0_10empty_typeENS0_5tupleIJS8_S9_EEENSB_IJS8_SA_EEENS0_18inequality_wrapperIZN2at6native12_GLOBAL__N_124unique_dim_cuda_templateIsEESt5tupleIJNSF_6TensorESK_SK_EERKSK_lbbbEUlllE0_EEPmJS9_EEE10hipError_tPvRmT3_T4_T5_T6_T7_T9_mT8_P12ihipStream_tbDpT10_ENKUlT_T0_E_clISt17integral_constantIbLb1EES19_IbLb0EEEEDaS15_S16_EUlS15_E_NS1_11comp_targetILNS1_3genE2ELNS1_11target_archE906ELNS1_3gpuE6ELNS1_3repE0EEENS1_30default_config_static_selectorELNS0_4arch9wavefront6targetE0EEEvT1_.uses_vcc, 0
	.set _ZN7rocprim17ROCPRIM_400000_NS6detail17trampoline_kernelINS0_14default_configENS1_25partition_config_selectorILNS1_17partition_subalgoE9EllbEEZZNS1_14partition_implILS5_9ELb0ES3_jPlS8_PNS0_10empty_typeENS0_5tupleIJS8_S9_EEENSB_IJS8_SA_EEENS0_18inequality_wrapperIZN2at6native12_GLOBAL__N_124unique_dim_cuda_templateIsEESt5tupleIJNSF_6TensorESK_SK_EERKSK_lbbbEUlllE0_EEPmJS9_EEE10hipError_tPvRmT3_T4_T5_T6_T7_T9_mT8_P12ihipStream_tbDpT10_ENKUlT_T0_E_clISt17integral_constantIbLb1EES19_IbLb0EEEEDaS15_S16_EUlS15_E_NS1_11comp_targetILNS1_3genE2ELNS1_11target_archE906ELNS1_3gpuE6ELNS1_3repE0EEENS1_30default_config_static_selectorELNS0_4arch9wavefront6targetE0EEEvT1_.uses_flat_scratch, 0
	.set _ZN7rocprim17ROCPRIM_400000_NS6detail17trampoline_kernelINS0_14default_configENS1_25partition_config_selectorILNS1_17partition_subalgoE9EllbEEZZNS1_14partition_implILS5_9ELb0ES3_jPlS8_PNS0_10empty_typeENS0_5tupleIJS8_S9_EEENSB_IJS8_SA_EEENS0_18inequality_wrapperIZN2at6native12_GLOBAL__N_124unique_dim_cuda_templateIsEESt5tupleIJNSF_6TensorESK_SK_EERKSK_lbbbEUlllE0_EEPmJS9_EEE10hipError_tPvRmT3_T4_T5_T6_T7_T9_mT8_P12ihipStream_tbDpT10_ENKUlT_T0_E_clISt17integral_constantIbLb1EES19_IbLb0EEEEDaS15_S16_EUlS15_E_NS1_11comp_targetILNS1_3genE2ELNS1_11target_archE906ELNS1_3gpuE6ELNS1_3repE0EEENS1_30default_config_static_selectorELNS0_4arch9wavefront6targetE0EEEvT1_.has_dyn_sized_stack, 0
	.set _ZN7rocprim17ROCPRIM_400000_NS6detail17trampoline_kernelINS0_14default_configENS1_25partition_config_selectorILNS1_17partition_subalgoE9EllbEEZZNS1_14partition_implILS5_9ELb0ES3_jPlS8_PNS0_10empty_typeENS0_5tupleIJS8_S9_EEENSB_IJS8_SA_EEENS0_18inequality_wrapperIZN2at6native12_GLOBAL__N_124unique_dim_cuda_templateIsEESt5tupleIJNSF_6TensorESK_SK_EERKSK_lbbbEUlllE0_EEPmJS9_EEE10hipError_tPvRmT3_T4_T5_T6_T7_T9_mT8_P12ihipStream_tbDpT10_ENKUlT_T0_E_clISt17integral_constantIbLb1EES19_IbLb0EEEEDaS15_S16_EUlS15_E_NS1_11comp_targetILNS1_3genE2ELNS1_11target_archE906ELNS1_3gpuE6ELNS1_3repE0EEENS1_30default_config_static_selectorELNS0_4arch9wavefront6targetE0EEEvT1_.has_recursion, 0
	.set _ZN7rocprim17ROCPRIM_400000_NS6detail17trampoline_kernelINS0_14default_configENS1_25partition_config_selectorILNS1_17partition_subalgoE9EllbEEZZNS1_14partition_implILS5_9ELb0ES3_jPlS8_PNS0_10empty_typeENS0_5tupleIJS8_S9_EEENSB_IJS8_SA_EEENS0_18inequality_wrapperIZN2at6native12_GLOBAL__N_124unique_dim_cuda_templateIsEESt5tupleIJNSF_6TensorESK_SK_EERKSK_lbbbEUlllE0_EEPmJS9_EEE10hipError_tPvRmT3_T4_T5_T6_T7_T9_mT8_P12ihipStream_tbDpT10_ENKUlT_T0_E_clISt17integral_constantIbLb1EES19_IbLb0EEEEDaS15_S16_EUlS15_E_NS1_11comp_targetILNS1_3genE2ELNS1_11target_archE906ELNS1_3gpuE6ELNS1_3repE0EEENS1_30default_config_static_selectorELNS0_4arch9wavefront6targetE0EEEvT1_.has_indirect_call, 0
	.section	.AMDGPU.csdata,"",@progbits
; Kernel info:
; codeLenInByte = 0
; TotalNumSgprs: 0
; NumVgprs: 0
; ScratchSize: 0
; MemoryBound: 0
; FloatMode: 240
; IeeeMode: 1
; LDSByteSize: 0 bytes/workgroup (compile time only)
; SGPRBlocks: 0
; VGPRBlocks: 0
; NumSGPRsForWavesPerEU: 1
; NumVGPRsForWavesPerEU: 1
; NamedBarCnt: 0
; Occupancy: 16
; WaveLimiterHint : 0
; COMPUTE_PGM_RSRC2:SCRATCH_EN: 0
; COMPUTE_PGM_RSRC2:USER_SGPR: 2
; COMPUTE_PGM_RSRC2:TRAP_HANDLER: 0
; COMPUTE_PGM_RSRC2:TGID_X_EN: 1
; COMPUTE_PGM_RSRC2:TGID_Y_EN: 0
; COMPUTE_PGM_RSRC2:TGID_Z_EN: 0
; COMPUTE_PGM_RSRC2:TIDIG_COMP_CNT: 0
	.section	.text._ZN7rocprim17ROCPRIM_400000_NS6detail17trampoline_kernelINS0_14default_configENS1_25partition_config_selectorILNS1_17partition_subalgoE9EllbEEZZNS1_14partition_implILS5_9ELb0ES3_jPlS8_PNS0_10empty_typeENS0_5tupleIJS8_S9_EEENSB_IJS8_SA_EEENS0_18inequality_wrapperIZN2at6native12_GLOBAL__N_124unique_dim_cuda_templateIsEESt5tupleIJNSF_6TensorESK_SK_EERKSK_lbbbEUlllE0_EEPmJS9_EEE10hipError_tPvRmT3_T4_T5_T6_T7_T9_mT8_P12ihipStream_tbDpT10_ENKUlT_T0_E_clISt17integral_constantIbLb1EES19_IbLb0EEEEDaS15_S16_EUlS15_E_NS1_11comp_targetILNS1_3genE10ELNS1_11target_archE1200ELNS1_3gpuE4ELNS1_3repE0EEENS1_30default_config_static_selectorELNS0_4arch9wavefront6targetE0EEEvT1_,"axG",@progbits,_ZN7rocprim17ROCPRIM_400000_NS6detail17trampoline_kernelINS0_14default_configENS1_25partition_config_selectorILNS1_17partition_subalgoE9EllbEEZZNS1_14partition_implILS5_9ELb0ES3_jPlS8_PNS0_10empty_typeENS0_5tupleIJS8_S9_EEENSB_IJS8_SA_EEENS0_18inequality_wrapperIZN2at6native12_GLOBAL__N_124unique_dim_cuda_templateIsEESt5tupleIJNSF_6TensorESK_SK_EERKSK_lbbbEUlllE0_EEPmJS9_EEE10hipError_tPvRmT3_T4_T5_T6_T7_T9_mT8_P12ihipStream_tbDpT10_ENKUlT_T0_E_clISt17integral_constantIbLb1EES19_IbLb0EEEEDaS15_S16_EUlS15_E_NS1_11comp_targetILNS1_3genE10ELNS1_11target_archE1200ELNS1_3gpuE4ELNS1_3repE0EEENS1_30default_config_static_selectorELNS0_4arch9wavefront6targetE0EEEvT1_,comdat
	.globl	_ZN7rocprim17ROCPRIM_400000_NS6detail17trampoline_kernelINS0_14default_configENS1_25partition_config_selectorILNS1_17partition_subalgoE9EllbEEZZNS1_14partition_implILS5_9ELb0ES3_jPlS8_PNS0_10empty_typeENS0_5tupleIJS8_S9_EEENSB_IJS8_SA_EEENS0_18inequality_wrapperIZN2at6native12_GLOBAL__N_124unique_dim_cuda_templateIsEESt5tupleIJNSF_6TensorESK_SK_EERKSK_lbbbEUlllE0_EEPmJS9_EEE10hipError_tPvRmT3_T4_T5_T6_T7_T9_mT8_P12ihipStream_tbDpT10_ENKUlT_T0_E_clISt17integral_constantIbLb1EES19_IbLb0EEEEDaS15_S16_EUlS15_E_NS1_11comp_targetILNS1_3genE10ELNS1_11target_archE1200ELNS1_3gpuE4ELNS1_3repE0EEENS1_30default_config_static_selectorELNS0_4arch9wavefront6targetE0EEEvT1_ ; -- Begin function _ZN7rocprim17ROCPRIM_400000_NS6detail17trampoline_kernelINS0_14default_configENS1_25partition_config_selectorILNS1_17partition_subalgoE9EllbEEZZNS1_14partition_implILS5_9ELb0ES3_jPlS8_PNS0_10empty_typeENS0_5tupleIJS8_S9_EEENSB_IJS8_SA_EEENS0_18inequality_wrapperIZN2at6native12_GLOBAL__N_124unique_dim_cuda_templateIsEESt5tupleIJNSF_6TensorESK_SK_EERKSK_lbbbEUlllE0_EEPmJS9_EEE10hipError_tPvRmT3_T4_T5_T6_T7_T9_mT8_P12ihipStream_tbDpT10_ENKUlT_T0_E_clISt17integral_constantIbLb1EES19_IbLb0EEEEDaS15_S16_EUlS15_E_NS1_11comp_targetILNS1_3genE10ELNS1_11target_archE1200ELNS1_3gpuE4ELNS1_3repE0EEENS1_30default_config_static_selectorELNS0_4arch9wavefront6targetE0EEEvT1_
	.p2align	8
	.type	_ZN7rocprim17ROCPRIM_400000_NS6detail17trampoline_kernelINS0_14default_configENS1_25partition_config_selectorILNS1_17partition_subalgoE9EllbEEZZNS1_14partition_implILS5_9ELb0ES3_jPlS8_PNS0_10empty_typeENS0_5tupleIJS8_S9_EEENSB_IJS8_SA_EEENS0_18inequality_wrapperIZN2at6native12_GLOBAL__N_124unique_dim_cuda_templateIsEESt5tupleIJNSF_6TensorESK_SK_EERKSK_lbbbEUlllE0_EEPmJS9_EEE10hipError_tPvRmT3_T4_T5_T6_T7_T9_mT8_P12ihipStream_tbDpT10_ENKUlT_T0_E_clISt17integral_constantIbLb1EES19_IbLb0EEEEDaS15_S16_EUlS15_E_NS1_11comp_targetILNS1_3genE10ELNS1_11target_archE1200ELNS1_3gpuE4ELNS1_3repE0EEENS1_30default_config_static_selectorELNS0_4arch9wavefront6targetE0EEEvT1_,@function
_ZN7rocprim17ROCPRIM_400000_NS6detail17trampoline_kernelINS0_14default_configENS1_25partition_config_selectorILNS1_17partition_subalgoE9EllbEEZZNS1_14partition_implILS5_9ELb0ES3_jPlS8_PNS0_10empty_typeENS0_5tupleIJS8_S9_EEENSB_IJS8_SA_EEENS0_18inequality_wrapperIZN2at6native12_GLOBAL__N_124unique_dim_cuda_templateIsEESt5tupleIJNSF_6TensorESK_SK_EERKSK_lbbbEUlllE0_EEPmJS9_EEE10hipError_tPvRmT3_T4_T5_T6_T7_T9_mT8_P12ihipStream_tbDpT10_ENKUlT_T0_E_clISt17integral_constantIbLb1EES19_IbLb0EEEEDaS15_S16_EUlS15_E_NS1_11comp_targetILNS1_3genE10ELNS1_11target_archE1200ELNS1_3gpuE4ELNS1_3repE0EEENS1_30default_config_static_selectorELNS0_4arch9wavefront6targetE0EEEvT1_: ; @_ZN7rocprim17ROCPRIM_400000_NS6detail17trampoline_kernelINS0_14default_configENS1_25partition_config_selectorILNS1_17partition_subalgoE9EllbEEZZNS1_14partition_implILS5_9ELb0ES3_jPlS8_PNS0_10empty_typeENS0_5tupleIJS8_S9_EEENSB_IJS8_SA_EEENS0_18inequality_wrapperIZN2at6native12_GLOBAL__N_124unique_dim_cuda_templateIsEESt5tupleIJNSF_6TensorESK_SK_EERKSK_lbbbEUlllE0_EEPmJS9_EEE10hipError_tPvRmT3_T4_T5_T6_T7_T9_mT8_P12ihipStream_tbDpT10_ENKUlT_T0_E_clISt17integral_constantIbLb1EES19_IbLb0EEEEDaS15_S16_EUlS15_E_NS1_11comp_targetILNS1_3genE10ELNS1_11target_archE1200ELNS1_3gpuE4ELNS1_3repE0EEENS1_30default_config_static_selectorELNS0_4arch9wavefront6targetE0EEEvT1_
; %bb.0:
	.section	.rodata,"a",@progbits
	.p2align	6, 0x0
	.amdhsa_kernel _ZN7rocprim17ROCPRIM_400000_NS6detail17trampoline_kernelINS0_14default_configENS1_25partition_config_selectorILNS1_17partition_subalgoE9EllbEEZZNS1_14partition_implILS5_9ELb0ES3_jPlS8_PNS0_10empty_typeENS0_5tupleIJS8_S9_EEENSB_IJS8_SA_EEENS0_18inequality_wrapperIZN2at6native12_GLOBAL__N_124unique_dim_cuda_templateIsEESt5tupleIJNSF_6TensorESK_SK_EERKSK_lbbbEUlllE0_EEPmJS9_EEE10hipError_tPvRmT3_T4_T5_T6_T7_T9_mT8_P12ihipStream_tbDpT10_ENKUlT_T0_E_clISt17integral_constantIbLb1EES19_IbLb0EEEEDaS15_S16_EUlS15_E_NS1_11comp_targetILNS1_3genE10ELNS1_11target_archE1200ELNS1_3gpuE4ELNS1_3repE0EEENS1_30default_config_static_selectorELNS0_4arch9wavefront6targetE0EEEvT1_
		.amdhsa_group_segment_fixed_size 0
		.amdhsa_private_segment_fixed_size 0
		.amdhsa_kernarg_size 120
		.amdhsa_user_sgpr_count 2
		.amdhsa_user_sgpr_dispatch_ptr 0
		.amdhsa_user_sgpr_queue_ptr 0
		.amdhsa_user_sgpr_kernarg_segment_ptr 1
		.amdhsa_user_sgpr_dispatch_id 0
		.amdhsa_user_sgpr_kernarg_preload_length 0
		.amdhsa_user_sgpr_kernarg_preload_offset 0
		.amdhsa_user_sgpr_private_segment_size 0
		.amdhsa_wavefront_size32 1
		.amdhsa_uses_dynamic_stack 0
		.amdhsa_enable_private_segment 0
		.amdhsa_system_sgpr_workgroup_id_x 1
		.amdhsa_system_sgpr_workgroup_id_y 0
		.amdhsa_system_sgpr_workgroup_id_z 0
		.amdhsa_system_sgpr_workgroup_info 0
		.amdhsa_system_vgpr_workitem_id 0
		.amdhsa_next_free_vgpr 1
		.amdhsa_next_free_sgpr 1
		.amdhsa_named_barrier_count 0
		.amdhsa_reserve_vcc 0
		.amdhsa_float_round_mode_32 0
		.amdhsa_float_round_mode_16_64 0
		.amdhsa_float_denorm_mode_32 3
		.amdhsa_float_denorm_mode_16_64 3
		.amdhsa_fp16_overflow 0
		.amdhsa_memory_ordered 1
		.amdhsa_forward_progress 1
		.amdhsa_inst_pref_size 0
		.amdhsa_round_robin_scheduling 0
		.amdhsa_exception_fp_ieee_invalid_op 0
		.amdhsa_exception_fp_denorm_src 0
		.amdhsa_exception_fp_ieee_div_zero 0
		.amdhsa_exception_fp_ieee_overflow 0
		.amdhsa_exception_fp_ieee_underflow 0
		.amdhsa_exception_fp_ieee_inexact 0
		.amdhsa_exception_int_div_zero 0
	.end_amdhsa_kernel
	.section	.text._ZN7rocprim17ROCPRIM_400000_NS6detail17trampoline_kernelINS0_14default_configENS1_25partition_config_selectorILNS1_17partition_subalgoE9EllbEEZZNS1_14partition_implILS5_9ELb0ES3_jPlS8_PNS0_10empty_typeENS0_5tupleIJS8_S9_EEENSB_IJS8_SA_EEENS0_18inequality_wrapperIZN2at6native12_GLOBAL__N_124unique_dim_cuda_templateIsEESt5tupleIJNSF_6TensorESK_SK_EERKSK_lbbbEUlllE0_EEPmJS9_EEE10hipError_tPvRmT3_T4_T5_T6_T7_T9_mT8_P12ihipStream_tbDpT10_ENKUlT_T0_E_clISt17integral_constantIbLb1EES19_IbLb0EEEEDaS15_S16_EUlS15_E_NS1_11comp_targetILNS1_3genE10ELNS1_11target_archE1200ELNS1_3gpuE4ELNS1_3repE0EEENS1_30default_config_static_selectorELNS0_4arch9wavefront6targetE0EEEvT1_,"axG",@progbits,_ZN7rocprim17ROCPRIM_400000_NS6detail17trampoline_kernelINS0_14default_configENS1_25partition_config_selectorILNS1_17partition_subalgoE9EllbEEZZNS1_14partition_implILS5_9ELb0ES3_jPlS8_PNS0_10empty_typeENS0_5tupleIJS8_S9_EEENSB_IJS8_SA_EEENS0_18inequality_wrapperIZN2at6native12_GLOBAL__N_124unique_dim_cuda_templateIsEESt5tupleIJNSF_6TensorESK_SK_EERKSK_lbbbEUlllE0_EEPmJS9_EEE10hipError_tPvRmT3_T4_T5_T6_T7_T9_mT8_P12ihipStream_tbDpT10_ENKUlT_T0_E_clISt17integral_constantIbLb1EES19_IbLb0EEEEDaS15_S16_EUlS15_E_NS1_11comp_targetILNS1_3genE10ELNS1_11target_archE1200ELNS1_3gpuE4ELNS1_3repE0EEENS1_30default_config_static_selectorELNS0_4arch9wavefront6targetE0EEEvT1_,comdat
.Lfunc_end738:
	.size	_ZN7rocprim17ROCPRIM_400000_NS6detail17trampoline_kernelINS0_14default_configENS1_25partition_config_selectorILNS1_17partition_subalgoE9EllbEEZZNS1_14partition_implILS5_9ELb0ES3_jPlS8_PNS0_10empty_typeENS0_5tupleIJS8_S9_EEENSB_IJS8_SA_EEENS0_18inequality_wrapperIZN2at6native12_GLOBAL__N_124unique_dim_cuda_templateIsEESt5tupleIJNSF_6TensorESK_SK_EERKSK_lbbbEUlllE0_EEPmJS9_EEE10hipError_tPvRmT3_T4_T5_T6_T7_T9_mT8_P12ihipStream_tbDpT10_ENKUlT_T0_E_clISt17integral_constantIbLb1EES19_IbLb0EEEEDaS15_S16_EUlS15_E_NS1_11comp_targetILNS1_3genE10ELNS1_11target_archE1200ELNS1_3gpuE4ELNS1_3repE0EEENS1_30default_config_static_selectorELNS0_4arch9wavefront6targetE0EEEvT1_, .Lfunc_end738-_ZN7rocprim17ROCPRIM_400000_NS6detail17trampoline_kernelINS0_14default_configENS1_25partition_config_selectorILNS1_17partition_subalgoE9EllbEEZZNS1_14partition_implILS5_9ELb0ES3_jPlS8_PNS0_10empty_typeENS0_5tupleIJS8_S9_EEENSB_IJS8_SA_EEENS0_18inequality_wrapperIZN2at6native12_GLOBAL__N_124unique_dim_cuda_templateIsEESt5tupleIJNSF_6TensorESK_SK_EERKSK_lbbbEUlllE0_EEPmJS9_EEE10hipError_tPvRmT3_T4_T5_T6_T7_T9_mT8_P12ihipStream_tbDpT10_ENKUlT_T0_E_clISt17integral_constantIbLb1EES19_IbLb0EEEEDaS15_S16_EUlS15_E_NS1_11comp_targetILNS1_3genE10ELNS1_11target_archE1200ELNS1_3gpuE4ELNS1_3repE0EEENS1_30default_config_static_selectorELNS0_4arch9wavefront6targetE0EEEvT1_
                                        ; -- End function
	.set _ZN7rocprim17ROCPRIM_400000_NS6detail17trampoline_kernelINS0_14default_configENS1_25partition_config_selectorILNS1_17partition_subalgoE9EllbEEZZNS1_14partition_implILS5_9ELb0ES3_jPlS8_PNS0_10empty_typeENS0_5tupleIJS8_S9_EEENSB_IJS8_SA_EEENS0_18inequality_wrapperIZN2at6native12_GLOBAL__N_124unique_dim_cuda_templateIsEESt5tupleIJNSF_6TensorESK_SK_EERKSK_lbbbEUlllE0_EEPmJS9_EEE10hipError_tPvRmT3_T4_T5_T6_T7_T9_mT8_P12ihipStream_tbDpT10_ENKUlT_T0_E_clISt17integral_constantIbLb1EES19_IbLb0EEEEDaS15_S16_EUlS15_E_NS1_11comp_targetILNS1_3genE10ELNS1_11target_archE1200ELNS1_3gpuE4ELNS1_3repE0EEENS1_30default_config_static_selectorELNS0_4arch9wavefront6targetE0EEEvT1_.num_vgpr, 0
	.set _ZN7rocprim17ROCPRIM_400000_NS6detail17trampoline_kernelINS0_14default_configENS1_25partition_config_selectorILNS1_17partition_subalgoE9EllbEEZZNS1_14partition_implILS5_9ELb0ES3_jPlS8_PNS0_10empty_typeENS0_5tupleIJS8_S9_EEENSB_IJS8_SA_EEENS0_18inequality_wrapperIZN2at6native12_GLOBAL__N_124unique_dim_cuda_templateIsEESt5tupleIJNSF_6TensorESK_SK_EERKSK_lbbbEUlllE0_EEPmJS9_EEE10hipError_tPvRmT3_T4_T5_T6_T7_T9_mT8_P12ihipStream_tbDpT10_ENKUlT_T0_E_clISt17integral_constantIbLb1EES19_IbLb0EEEEDaS15_S16_EUlS15_E_NS1_11comp_targetILNS1_3genE10ELNS1_11target_archE1200ELNS1_3gpuE4ELNS1_3repE0EEENS1_30default_config_static_selectorELNS0_4arch9wavefront6targetE0EEEvT1_.num_agpr, 0
	.set _ZN7rocprim17ROCPRIM_400000_NS6detail17trampoline_kernelINS0_14default_configENS1_25partition_config_selectorILNS1_17partition_subalgoE9EllbEEZZNS1_14partition_implILS5_9ELb0ES3_jPlS8_PNS0_10empty_typeENS0_5tupleIJS8_S9_EEENSB_IJS8_SA_EEENS0_18inequality_wrapperIZN2at6native12_GLOBAL__N_124unique_dim_cuda_templateIsEESt5tupleIJNSF_6TensorESK_SK_EERKSK_lbbbEUlllE0_EEPmJS9_EEE10hipError_tPvRmT3_T4_T5_T6_T7_T9_mT8_P12ihipStream_tbDpT10_ENKUlT_T0_E_clISt17integral_constantIbLb1EES19_IbLb0EEEEDaS15_S16_EUlS15_E_NS1_11comp_targetILNS1_3genE10ELNS1_11target_archE1200ELNS1_3gpuE4ELNS1_3repE0EEENS1_30default_config_static_selectorELNS0_4arch9wavefront6targetE0EEEvT1_.numbered_sgpr, 0
	.set _ZN7rocprim17ROCPRIM_400000_NS6detail17trampoline_kernelINS0_14default_configENS1_25partition_config_selectorILNS1_17partition_subalgoE9EllbEEZZNS1_14partition_implILS5_9ELb0ES3_jPlS8_PNS0_10empty_typeENS0_5tupleIJS8_S9_EEENSB_IJS8_SA_EEENS0_18inequality_wrapperIZN2at6native12_GLOBAL__N_124unique_dim_cuda_templateIsEESt5tupleIJNSF_6TensorESK_SK_EERKSK_lbbbEUlllE0_EEPmJS9_EEE10hipError_tPvRmT3_T4_T5_T6_T7_T9_mT8_P12ihipStream_tbDpT10_ENKUlT_T0_E_clISt17integral_constantIbLb1EES19_IbLb0EEEEDaS15_S16_EUlS15_E_NS1_11comp_targetILNS1_3genE10ELNS1_11target_archE1200ELNS1_3gpuE4ELNS1_3repE0EEENS1_30default_config_static_selectorELNS0_4arch9wavefront6targetE0EEEvT1_.num_named_barrier, 0
	.set _ZN7rocprim17ROCPRIM_400000_NS6detail17trampoline_kernelINS0_14default_configENS1_25partition_config_selectorILNS1_17partition_subalgoE9EllbEEZZNS1_14partition_implILS5_9ELb0ES3_jPlS8_PNS0_10empty_typeENS0_5tupleIJS8_S9_EEENSB_IJS8_SA_EEENS0_18inequality_wrapperIZN2at6native12_GLOBAL__N_124unique_dim_cuda_templateIsEESt5tupleIJNSF_6TensorESK_SK_EERKSK_lbbbEUlllE0_EEPmJS9_EEE10hipError_tPvRmT3_T4_T5_T6_T7_T9_mT8_P12ihipStream_tbDpT10_ENKUlT_T0_E_clISt17integral_constantIbLb1EES19_IbLb0EEEEDaS15_S16_EUlS15_E_NS1_11comp_targetILNS1_3genE10ELNS1_11target_archE1200ELNS1_3gpuE4ELNS1_3repE0EEENS1_30default_config_static_selectorELNS0_4arch9wavefront6targetE0EEEvT1_.private_seg_size, 0
	.set _ZN7rocprim17ROCPRIM_400000_NS6detail17trampoline_kernelINS0_14default_configENS1_25partition_config_selectorILNS1_17partition_subalgoE9EllbEEZZNS1_14partition_implILS5_9ELb0ES3_jPlS8_PNS0_10empty_typeENS0_5tupleIJS8_S9_EEENSB_IJS8_SA_EEENS0_18inequality_wrapperIZN2at6native12_GLOBAL__N_124unique_dim_cuda_templateIsEESt5tupleIJNSF_6TensorESK_SK_EERKSK_lbbbEUlllE0_EEPmJS9_EEE10hipError_tPvRmT3_T4_T5_T6_T7_T9_mT8_P12ihipStream_tbDpT10_ENKUlT_T0_E_clISt17integral_constantIbLb1EES19_IbLb0EEEEDaS15_S16_EUlS15_E_NS1_11comp_targetILNS1_3genE10ELNS1_11target_archE1200ELNS1_3gpuE4ELNS1_3repE0EEENS1_30default_config_static_selectorELNS0_4arch9wavefront6targetE0EEEvT1_.uses_vcc, 0
	.set _ZN7rocprim17ROCPRIM_400000_NS6detail17trampoline_kernelINS0_14default_configENS1_25partition_config_selectorILNS1_17partition_subalgoE9EllbEEZZNS1_14partition_implILS5_9ELb0ES3_jPlS8_PNS0_10empty_typeENS0_5tupleIJS8_S9_EEENSB_IJS8_SA_EEENS0_18inequality_wrapperIZN2at6native12_GLOBAL__N_124unique_dim_cuda_templateIsEESt5tupleIJNSF_6TensorESK_SK_EERKSK_lbbbEUlllE0_EEPmJS9_EEE10hipError_tPvRmT3_T4_T5_T6_T7_T9_mT8_P12ihipStream_tbDpT10_ENKUlT_T0_E_clISt17integral_constantIbLb1EES19_IbLb0EEEEDaS15_S16_EUlS15_E_NS1_11comp_targetILNS1_3genE10ELNS1_11target_archE1200ELNS1_3gpuE4ELNS1_3repE0EEENS1_30default_config_static_selectorELNS0_4arch9wavefront6targetE0EEEvT1_.uses_flat_scratch, 0
	.set _ZN7rocprim17ROCPRIM_400000_NS6detail17trampoline_kernelINS0_14default_configENS1_25partition_config_selectorILNS1_17partition_subalgoE9EllbEEZZNS1_14partition_implILS5_9ELb0ES3_jPlS8_PNS0_10empty_typeENS0_5tupleIJS8_S9_EEENSB_IJS8_SA_EEENS0_18inequality_wrapperIZN2at6native12_GLOBAL__N_124unique_dim_cuda_templateIsEESt5tupleIJNSF_6TensorESK_SK_EERKSK_lbbbEUlllE0_EEPmJS9_EEE10hipError_tPvRmT3_T4_T5_T6_T7_T9_mT8_P12ihipStream_tbDpT10_ENKUlT_T0_E_clISt17integral_constantIbLb1EES19_IbLb0EEEEDaS15_S16_EUlS15_E_NS1_11comp_targetILNS1_3genE10ELNS1_11target_archE1200ELNS1_3gpuE4ELNS1_3repE0EEENS1_30default_config_static_selectorELNS0_4arch9wavefront6targetE0EEEvT1_.has_dyn_sized_stack, 0
	.set _ZN7rocprim17ROCPRIM_400000_NS6detail17trampoline_kernelINS0_14default_configENS1_25partition_config_selectorILNS1_17partition_subalgoE9EllbEEZZNS1_14partition_implILS5_9ELb0ES3_jPlS8_PNS0_10empty_typeENS0_5tupleIJS8_S9_EEENSB_IJS8_SA_EEENS0_18inequality_wrapperIZN2at6native12_GLOBAL__N_124unique_dim_cuda_templateIsEESt5tupleIJNSF_6TensorESK_SK_EERKSK_lbbbEUlllE0_EEPmJS9_EEE10hipError_tPvRmT3_T4_T5_T6_T7_T9_mT8_P12ihipStream_tbDpT10_ENKUlT_T0_E_clISt17integral_constantIbLb1EES19_IbLb0EEEEDaS15_S16_EUlS15_E_NS1_11comp_targetILNS1_3genE10ELNS1_11target_archE1200ELNS1_3gpuE4ELNS1_3repE0EEENS1_30default_config_static_selectorELNS0_4arch9wavefront6targetE0EEEvT1_.has_recursion, 0
	.set _ZN7rocprim17ROCPRIM_400000_NS6detail17trampoline_kernelINS0_14default_configENS1_25partition_config_selectorILNS1_17partition_subalgoE9EllbEEZZNS1_14partition_implILS5_9ELb0ES3_jPlS8_PNS0_10empty_typeENS0_5tupleIJS8_S9_EEENSB_IJS8_SA_EEENS0_18inequality_wrapperIZN2at6native12_GLOBAL__N_124unique_dim_cuda_templateIsEESt5tupleIJNSF_6TensorESK_SK_EERKSK_lbbbEUlllE0_EEPmJS9_EEE10hipError_tPvRmT3_T4_T5_T6_T7_T9_mT8_P12ihipStream_tbDpT10_ENKUlT_T0_E_clISt17integral_constantIbLb1EES19_IbLb0EEEEDaS15_S16_EUlS15_E_NS1_11comp_targetILNS1_3genE10ELNS1_11target_archE1200ELNS1_3gpuE4ELNS1_3repE0EEENS1_30default_config_static_selectorELNS0_4arch9wavefront6targetE0EEEvT1_.has_indirect_call, 0
	.section	.AMDGPU.csdata,"",@progbits
; Kernel info:
; codeLenInByte = 0
; TotalNumSgprs: 0
; NumVgprs: 0
; ScratchSize: 0
; MemoryBound: 0
; FloatMode: 240
; IeeeMode: 1
; LDSByteSize: 0 bytes/workgroup (compile time only)
; SGPRBlocks: 0
; VGPRBlocks: 0
; NumSGPRsForWavesPerEU: 1
; NumVGPRsForWavesPerEU: 1
; NamedBarCnt: 0
; Occupancy: 16
; WaveLimiterHint : 0
; COMPUTE_PGM_RSRC2:SCRATCH_EN: 0
; COMPUTE_PGM_RSRC2:USER_SGPR: 2
; COMPUTE_PGM_RSRC2:TRAP_HANDLER: 0
; COMPUTE_PGM_RSRC2:TGID_X_EN: 1
; COMPUTE_PGM_RSRC2:TGID_Y_EN: 0
; COMPUTE_PGM_RSRC2:TGID_Z_EN: 0
; COMPUTE_PGM_RSRC2:TIDIG_COMP_CNT: 0
	.section	.text._ZN7rocprim17ROCPRIM_400000_NS6detail17trampoline_kernelINS0_14default_configENS1_25partition_config_selectorILNS1_17partition_subalgoE9EllbEEZZNS1_14partition_implILS5_9ELb0ES3_jPlS8_PNS0_10empty_typeENS0_5tupleIJS8_S9_EEENSB_IJS8_SA_EEENS0_18inequality_wrapperIZN2at6native12_GLOBAL__N_124unique_dim_cuda_templateIsEESt5tupleIJNSF_6TensorESK_SK_EERKSK_lbbbEUlllE0_EEPmJS9_EEE10hipError_tPvRmT3_T4_T5_T6_T7_T9_mT8_P12ihipStream_tbDpT10_ENKUlT_T0_E_clISt17integral_constantIbLb1EES19_IbLb0EEEEDaS15_S16_EUlS15_E_NS1_11comp_targetILNS1_3genE9ELNS1_11target_archE1100ELNS1_3gpuE3ELNS1_3repE0EEENS1_30default_config_static_selectorELNS0_4arch9wavefront6targetE0EEEvT1_,"axG",@progbits,_ZN7rocprim17ROCPRIM_400000_NS6detail17trampoline_kernelINS0_14default_configENS1_25partition_config_selectorILNS1_17partition_subalgoE9EllbEEZZNS1_14partition_implILS5_9ELb0ES3_jPlS8_PNS0_10empty_typeENS0_5tupleIJS8_S9_EEENSB_IJS8_SA_EEENS0_18inequality_wrapperIZN2at6native12_GLOBAL__N_124unique_dim_cuda_templateIsEESt5tupleIJNSF_6TensorESK_SK_EERKSK_lbbbEUlllE0_EEPmJS9_EEE10hipError_tPvRmT3_T4_T5_T6_T7_T9_mT8_P12ihipStream_tbDpT10_ENKUlT_T0_E_clISt17integral_constantIbLb1EES19_IbLb0EEEEDaS15_S16_EUlS15_E_NS1_11comp_targetILNS1_3genE9ELNS1_11target_archE1100ELNS1_3gpuE3ELNS1_3repE0EEENS1_30default_config_static_selectorELNS0_4arch9wavefront6targetE0EEEvT1_,comdat
	.globl	_ZN7rocprim17ROCPRIM_400000_NS6detail17trampoline_kernelINS0_14default_configENS1_25partition_config_selectorILNS1_17partition_subalgoE9EllbEEZZNS1_14partition_implILS5_9ELb0ES3_jPlS8_PNS0_10empty_typeENS0_5tupleIJS8_S9_EEENSB_IJS8_SA_EEENS0_18inequality_wrapperIZN2at6native12_GLOBAL__N_124unique_dim_cuda_templateIsEESt5tupleIJNSF_6TensorESK_SK_EERKSK_lbbbEUlllE0_EEPmJS9_EEE10hipError_tPvRmT3_T4_T5_T6_T7_T9_mT8_P12ihipStream_tbDpT10_ENKUlT_T0_E_clISt17integral_constantIbLb1EES19_IbLb0EEEEDaS15_S16_EUlS15_E_NS1_11comp_targetILNS1_3genE9ELNS1_11target_archE1100ELNS1_3gpuE3ELNS1_3repE0EEENS1_30default_config_static_selectorELNS0_4arch9wavefront6targetE0EEEvT1_ ; -- Begin function _ZN7rocprim17ROCPRIM_400000_NS6detail17trampoline_kernelINS0_14default_configENS1_25partition_config_selectorILNS1_17partition_subalgoE9EllbEEZZNS1_14partition_implILS5_9ELb0ES3_jPlS8_PNS0_10empty_typeENS0_5tupleIJS8_S9_EEENSB_IJS8_SA_EEENS0_18inequality_wrapperIZN2at6native12_GLOBAL__N_124unique_dim_cuda_templateIsEESt5tupleIJNSF_6TensorESK_SK_EERKSK_lbbbEUlllE0_EEPmJS9_EEE10hipError_tPvRmT3_T4_T5_T6_T7_T9_mT8_P12ihipStream_tbDpT10_ENKUlT_T0_E_clISt17integral_constantIbLb1EES19_IbLb0EEEEDaS15_S16_EUlS15_E_NS1_11comp_targetILNS1_3genE9ELNS1_11target_archE1100ELNS1_3gpuE3ELNS1_3repE0EEENS1_30default_config_static_selectorELNS0_4arch9wavefront6targetE0EEEvT1_
	.p2align	8
	.type	_ZN7rocprim17ROCPRIM_400000_NS6detail17trampoline_kernelINS0_14default_configENS1_25partition_config_selectorILNS1_17partition_subalgoE9EllbEEZZNS1_14partition_implILS5_9ELb0ES3_jPlS8_PNS0_10empty_typeENS0_5tupleIJS8_S9_EEENSB_IJS8_SA_EEENS0_18inequality_wrapperIZN2at6native12_GLOBAL__N_124unique_dim_cuda_templateIsEESt5tupleIJNSF_6TensorESK_SK_EERKSK_lbbbEUlllE0_EEPmJS9_EEE10hipError_tPvRmT3_T4_T5_T6_T7_T9_mT8_P12ihipStream_tbDpT10_ENKUlT_T0_E_clISt17integral_constantIbLb1EES19_IbLb0EEEEDaS15_S16_EUlS15_E_NS1_11comp_targetILNS1_3genE9ELNS1_11target_archE1100ELNS1_3gpuE3ELNS1_3repE0EEENS1_30default_config_static_selectorELNS0_4arch9wavefront6targetE0EEEvT1_,@function
_ZN7rocprim17ROCPRIM_400000_NS6detail17trampoline_kernelINS0_14default_configENS1_25partition_config_selectorILNS1_17partition_subalgoE9EllbEEZZNS1_14partition_implILS5_9ELb0ES3_jPlS8_PNS0_10empty_typeENS0_5tupleIJS8_S9_EEENSB_IJS8_SA_EEENS0_18inequality_wrapperIZN2at6native12_GLOBAL__N_124unique_dim_cuda_templateIsEESt5tupleIJNSF_6TensorESK_SK_EERKSK_lbbbEUlllE0_EEPmJS9_EEE10hipError_tPvRmT3_T4_T5_T6_T7_T9_mT8_P12ihipStream_tbDpT10_ENKUlT_T0_E_clISt17integral_constantIbLb1EES19_IbLb0EEEEDaS15_S16_EUlS15_E_NS1_11comp_targetILNS1_3genE9ELNS1_11target_archE1100ELNS1_3gpuE3ELNS1_3repE0EEENS1_30default_config_static_selectorELNS0_4arch9wavefront6targetE0EEEvT1_: ; @_ZN7rocprim17ROCPRIM_400000_NS6detail17trampoline_kernelINS0_14default_configENS1_25partition_config_selectorILNS1_17partition_subalgoE9EllbEEZZNS1_14partition_implILS5_9ELb0ES3_jPlS8_PNS0_10empty_typeENS0_5tupleIJS8_S9_EEENSB_IJS8_SA_EEENS0_18inequality_wrapperIZN2at6native12_GLOBAL__N_124unique_dim_cuda_templateIsEESt5tupleIJNSF_6TensorESK_SK_EERKSK_lbbbEUlllE0_EEPmJS9_EEE10hipError_tPvRmT3_T4_T5_T6_T7_T9_mT8_P12ihipStream_tbDpT10_ENKUlT_T0_E_clISt17integral_constantIbLb1EES19_IbLb0EEEEDaS15_S16_EUlS15_E_NS1_11comp_targetILNS1_3genE9ELNS1_11target_archE1100ELNS1_3gpuE3ELNS1_3repE0EEENS1_30default_config_static_selectorELNS0_4arch9wavefront6targetE0EEEvT1_
; %bb.0:
	.section	.rodata,"a",@progbits
	.p2align	6, 0x0
	.amdhsa_kernel _ZN7rocprim17ROCPRIM_400000_NS6detail17trampoline_kernelINS0_14default_configENS1_25partition_config_selectorILNS1_17partition_subalgoE9EllbEEZZNS1_14partition_implILS5_9ELb0ES3_jPlS8_PNS0_10empty_typeENS0_5tupleIJS8_S9_EEENSB_IJS8_SA_EEENS0_18inequality_wrapperIZN2at6native12_GLOBAL__N_124unique_dim_cuda_templateIsEESt5tupleIJNSF_6TensorESK_SK_EERKSK_lbbbEUlllE0_EEPmJS9_EEE10hipError_tPvRmT3_T4_T5_T6_T7_T9_mT8_P12ihipStream_tbDpT10_ENKUlT_T0_E_clISt17integral_constantIbLb1EES19_IbLb0EEEEDaS15_S16_EUlS15_E_NS1_11comp_targetILNS1_3genE9ELNS1_11target_archE1100ELNS1_3gpuE3ELNS1_3repE0EEENS1_30default_config_static_selectorELNS0_4arch9wavefront6targetE0EEEvT1_
		.amdhsa_group_segment_fixed_size 0
		.amdhsa_private_segment_fixed_size 0
		.amdhsa_kernarg_size 120
		.amdhsa_user_sgpr_count 2
		.amdhsa_user_sgpr_dispatch_ptr 0
		.amdhsa_user_sgpr_queue_ptr 0
		.amdhsa_user_sgpr_kernarg_segment_ptr 1
		.amdhsa_user_sgpr_dispatch_id 0
		.amdhsa_user_sgpr_kernarg_preload_length 0
		.amdhsa_user_sgpr_kernarg_preload_offset 0
		.amdhsa_user_sgpr_private_segment_size 0
		.amdhsa_wavefront_size32 1
		.amdhsa_uses_dynamic_stack 0
		.amdhsa_enable_private_segment 0
		.amdhsa_system_sgpr_workgroup_id_x 1
		.amdhsa_system_sgpr_workgroup_id_y 0
		.amdhsa_system_sgpr_workgroup_id_z 0
		.amdhsa_system_sgpr_workgroup_info 0
		.amdhsa_system_vgpr_workitem_id 0
		.amdhsa_next_free_vgpr 1
		.amdhsa_next_free_sgpr 1
		.amdhsa_named_barrier_count 0
		.amdhsa_reserve_vcc 0
		.amdhsa_float_round_mode_32 0
		.amdhsa_float_round_mode_16_64 0
		.amdhsa_float_denorm_mode_32 3
		.amdhsa_float_denorm_mode_16_64 3
		.amdhsa_fp16_overflow 0
		.amdhsa_memory_ordered 1
		.amdhsa_forward_progress 1
		.amdhsa_inst_pref_size 0
		.amdhsa_round_robin_scheduling 0
		.amdhsa_exception_fp_ieee_invalid_op 0
		.amdhsa_exception_fp_denorm_src 0
		.amdhsa_exception_fp_ieee_div_zero 0
		.amdhsa_exception_fp_ieee_overflow 0
		.amdhsa_exception_fp_ieee_underflow 0
		.amdhsa_exception_fp_ieee_inexact 0
		.amdhsa_exception_int_div_zero 0
	.end_amdhsa_kernel
	.section	.text._ZN7rocprim17ROCPRIM_400000_NS6detail17trampoline_kernelINS0_14default_configENS1_25partition_config_selectorILNS1_17partition_subalgoE9EllbEEZZNS1_14partition_implILS5_9ELb0ES3_jPlS8_PNS0_10empty_typeENS0_5tupleIJS8_S9_EEENSB_IJS8_SA_EEENS0_18inequality_wrapperIZN2at6native12_GLOBAL__N_124unique_dim_cuda_templateIsEESt5tupleIJNSF_6TensorESK_SK_EERKSK_lbbbEUlllE0_EEPmJS9_EEE10hipError_tPvRmT3_T4_T5_T6_T7_T9_mT8_P12ihipStream_tbDpT10_ENKUlT_T0_E_clISt17integral_constantIbLb1EES19_IbLb0EEEEDaS15_S16_EUlS15_E_NS1_11comp_targetILNS1_3genE9ELNS1_11target_archE1100ELNS1_3gpuE3ELNS1_3repE0EEENS1_30default_config_static_selectorELNS0_4arch9wavefront6targetE0EEEvT1_,"axG",@progbits,_ZN7rocprim17ROCPRIM_400000_NS6detail17trampoline_kernelINS0_14default_configENS1_25partition_config_selectorILNS1_17partition_subalgoE9EllbEEZZNS1_14partition_implILS5_9ELb0ES3_jPlS8_PNS0_10empty_typeENS0_5tupleIJS8_S9_EEENSB_IJS8_SA_EEENS0_18inequality_wrapperIZN2at6native12_GLOBAL__N_124unique_dim_cuda_templateIsEESt5tupleIJNSF_6TensorESK_SK_EERKSK_lbbbEUlllE0_EEPmJS9_EEE10hipError_tPvRmT3_T4_T5_T6_T7_T9_mT8_P12ihipStream_tbDpT10_ENKUlT_T0_E_clISt17integral_constantIbLb1EES19_IbLb0EEEEDaS15_S16_EUlS15_E_NS1_11comp_targetILNS1_3genE9ELNS1_11target_archE1100ELNS1_3gpuE3ELNS1_3repE0EEENS1_30default_config_static_selectorELNS0_4arch9wavefront6targetE0EEEvT1_,comdat
.Lfunc_end739:
	.size	_ZN7rocprim17ROCPRIM_400000_NS6detail17trampoline_kernelINS0_14default_configENS1_25partition_config_selectorILNS1_17partition_subalgoE9EllbEEZZNS1_14partition_implILS5_9ELb0ES3_jPlS8_PNS0_10empty_typeENS0_5tupleIJS8_S9_EEENSB_IJS8_SA_EEENS0_18inequality_wrapperIZN2at6native12_GLOBAL__N_124unique_dim_cuda_templateIsEESt5tupleIJNSF_6TensorESK_SK_EERKSK_lbbbEUlllE0_EEPmJS9_EEE10hipError_tPvRmT3_T4_T5_T6_T7_T9_mT8_P12ihipStream_tbDpT10_ENKUlT_T0_E_clISt17integral_constantIbLb1EES19_IbLb0EEEEDaS15_S16_EUlS15_E_NS1_11comp_targetILNS1_3genE9ELNS1_11target_archE1100ELNS1_3gpuE3ELNS1_3repE0EEENS1_30default_config_static_selectorELNS0_4arch9wavefront6targetE0EEEvT1_, .Lfunc_end739-_ZN7rocprim17ROCPRIM_400000_NS6detail17trampoline_kernelINS0_14default_configENS1_25partition_config_selectorILNS1_17partition_subalgoE9EllbEEZZNS1_14partition_implILS5_9ELb0ES3_jPlS8_PNS0_10empty_typeENS0_5tupleIJS8_S9_EEENSB_IJS8_SA_EEENS0_18inequality_wrapperIZN2at6native12_GLOBAL__N_124unique_dim_cuda_templateIsEESt5tupleIJNSF_6TensorESK_SK_EERKSK_lbbbEUlllE0_EEPmJS9_EEE10hipError_tPvRmT3_T4_T5_T6_T7_T9_mT8_P12ihipStream_tbDpT10_ENKUlT_T0_E_clISt17integral_constantIbLb1EES19_IbLb0EEEEDaS15_S16_EUlS15_E_NS1_11comp_targetILNS1_3genE9ELNS1_11target_archE1100ELNS1_3gpuE3ELNS1_3repE0EEENS1_30default_config_static_selectorELNS0_4arch9wavefront6targetE0EEEvT1_
                                        ; -- End function
	.set _ZN7rocprim17ROCPRIM_400000_NS6detail17trampoline_kernelINS0_14default_configENS1_25partition_config_selectorILNS1_17partition_subalgoE9EllbEEZZNS1_14partition_implILS5_9ELb0ES3_jPlS8_PNS0_10empty_typeENS0_5tupleIJS8_S9_EEENSB_IJS8_SA_EEENS0_18inequality_wrapperIZN2at6native12_GLOBAL__N_124unique_dim_cuda_templateIsEESt5tupleIJNSF_6TensorESK_SK_EERKSK_lbbbEUlllE0_EEPmJS9_EEE10hipError_tPvRmT3_T4_T5_T6_T7_T9_mT8_P12ihipStream_tbDpT10_ENKUlT_T0_E_clISt17integral_constantIbLb1EES19_IbLb0EEEEDaS15_S16_EUlS15_E_NS1_11comp_targetILNS1_3genE9ELNS1_11target_archE1100ELNS1_3gpuE3ELNS1_3repE0EEENS1_30default_config_static_selectorELNS0_4arch9wavefront6targetE0EEEvT1_.num_vgpr, 0
	.set _ZN7rocprim17ROCPRIM_400000_NS6detail17trampoline_kernelINS0_14default_configENS1_25partition_config_selectorILNS1_17partition_subalgoE9EllbEEZZNS1_14partition_implILS5_9ELb0ES3_jPlS8_PNS0_10empty_typeENS0_5tupleIJS8_S9_EEENSB_IJS8_SA_EEENS0_18inequality_wrapperIZN2at6native12_GLOBAL__N_124unique_dim_cuda_templateIsEESt5tupleIJNSF_6TensorESK_SK_EERKSK_lbbbEUlllE0_EEPmJS9_EEE10hipError_tPvRmT3_T4_T5_T6_T7_T9_mT8_P12ihipStream_tbDpT10_ENKUlT_T0_E_clISt17integral_constantIbLb1EES19_IbLb0EEEEDaS15_S16_EUlS15_E_NS1_11comp_targetILNS1_3genE9ELNS1_11target_archE1100ELNS1_3gpuE3ELNS1_3repE0EEENS1_30default_config_static_selectorELNS0_4arch9wavefront6targetE0EEEvT1_.num_agpr, 0
	.set _ZN7rocprim17ROCPRIM_400000_NS6detail17trampoline_kernelINS0_14default_configENS1_25partition_config_selectorILNS1_17partition_subalgoE9EllbEEZZNS1_14partition_implILS5_9ELb0ES3_jPlS8_PNS0_10empty_typeENS0_5tupleIJS8_S9_EEENSB_IJS8_SA_EEENS0_18inequality_wrapperIZN2at6native12_GLOBAL__N_124unique_dim_cuda_templateIsEESt5tupleIJNSF_6TensorESK_SK_EERKSK_lbbbEUlllE0_EEPmJS9_EEE10hipError_tPvRmT3_T4_T5_T6_T7_T9_mT8_P12ihipStream_tbDpT10_ENKUlT_T0_E_clISt17integral_constantIbLb1EES19_IbLb0EEEEDaS15_S16_EUlS15_E_NS1_11comp_targetILNS1_3genE9ELNS1_11target_archE1100ELNS1_3gpuE3ELNS1_3repE0EEENS1_30default_config_static_selectorELNS0_4arch9wavefront6targetE0EEEvT1_.numbered_sgpr, 0
	.set _ZN7rocprim17ROCPRIM_400000_NS6detail17trampoline_kernelINS0_14default_configENS1_25partition_config_selectorILNS1_17partition_subalgoE9EllbEEZZNS1_14partition_implILS5_9ELb0ES3_jPlS8_PNS0_10empty_typeENS0_5tupleIJS8_S9_EEENSB_IJS8_SA_EEENS0_18inequality_wrapperIZN2at6native12_GLOBAL__N_124unique_dim_cuda_templateIsEESt5tupleIJNSF_6TensorESK_SK_EERKSK_lbbbEUlllE0_EEPmJS9_EEE10hipError_tPvRmT3_T4_T5_T6_T7_T9_mT8_P12ihipStream_tbDpT10_ENKUlT_T0_E_clISt17integral_constantIbLb1EES19_IbLb0EEEEDaS15_S16_EUlS15_E_NS1_11comp_targetILNS1_3genE9ELNS1_11target_archE1100ELNS1_3gpuE3ELNS1_3repE0EEENS1_30default_config_static_selectorELNS0_4arch9wavefront6targetE0EEEvT1_.num_named_barrier, 0
	.set _ZN7rocprim17ROCPRIM_400000_NS6detail17trampoline_kernelINS0_14default_configENS1_25partition_config_selectorILNS1_17partition_subalgoE9EllbEEZZNS1_14partition_implILS5_9ELb0ES3_jPlS8_PNS0_10empty_typeENS0_5tupleIJS8_S9_EEENSB_IJS8_SA_EEENS0_18inequality_wrapperIZN2at6native12_GLOBAL__N_124unique_dim_cuda_templateIsEESt5tupleIJNSF_6TensorESK_SK_EERKSK_lbbbEUlllE0_EEPmJS9_EEE10hipError_tPvRmT3_T4_T5_T6_T7_T9_mT8_P12ihipStream_tbDpT10_ENKUlT_T0_E_clISt17integral_constantIbLb1EES19_IbLb0EEEEDaS15_S16_EUlS15_E_NS1_11comp_targetILNS1_3genE9ELNS1_11target_archE1100ELNS1_3gpuE3ELNS1_3repE0EEENS1_30default_config_static_selectorELNS0_4arch9wavefront6targetE0EEEvT1_.private_seg_size, 0
	.set _ZN7rocprim17ROCPRIM_400000_NS6detail17trampoline_kernelINS0_14default_configENS1_25partition_config_selectorILNS1_17partition_subalgoE9EllbEEZZNS1_14partition_implILS5_9ELb0ES3_jPlS8_PNS0_10empty_typeENS0_5tupleIJS8_S9_EEENSB_IJS8_SA_EEENS0_18inequality_wrapperIZN2at6native12_GLOBAL__N_124unique_dim_cuda_templateIsEESt5tupleIJNSF_6TensorESK_SK_EERKSK_lbbbEUlllE0_EEPmJS9_EEE10hipError_tPvRmT3_T4_T5_T6_T7_T9_mT8_P12ihipStream_tbDpT10_ENKUlT_T0_E_clISt17integral_constantIbLb1EES19_IbLb0EEEEDaS15_S16_EUlS15_E_NS1_11comp_targetILNS1_3genE9ELNS1_11target_archE1100ELNS1_3gpuE3ELNS1_3repE0EEENS1_30default_config_static_selectorELNS0_4arch9wavefront6targetE0EEEvT1_.uses_vcc, 0
	.set _ZN7rocprim17ROCPRIM_400000_NS6detail17trampoline_kernelINS0_14default_configENS1_25partition_config_selectorILNS1_17partition_subalgoE9EllbEEZZNS1_14partition_implILS5_9ELb0ES3_jPlS8_PNS0_10empty_typeENS0_5tupleIJS8_S9_EEENSB_IJS8_SA_EEENS0_18inequality_wrapperIZN2at6native12_GLOBAL__N_124unique_dim_cuda_templateIsEESt5tupleIJNSF_6TensorESK_SK_EERKSK_lbbbEUlllE0_EEPmJS9_EEE10hipError_tPvRmT3_T4_T5_T6_T7_T9_mT8_P12ihipStream_tbDpT10_ENKUlT_T0_E_clISt17integral_constantIbLb1EES19_IbLb0EEEEDaS15_S16_EUlS15_E_NS1_11comp_targetILNS1_3genE9ELNS1_11target_archE1100ELNS1_3gpuE3ELNS1_3repE0EEENS1_30default_config_static_selectorELNS0_4arch9wavefront6targetE0EEEvT1_.uses_flat_scratch, 0
	.set _ZN7rocprim17ROCPRIM_400000_NS6detail17trampoline_kernelINS0_14default_configENS1_25partition_config_selectorILNS1_17partition_subalgoE9EllbEEZZNS1_14partition_implILS5_9ELb0ES3_jPlS8_PNS0_10empty_typeENS0_5tupleIJS8_S9_EEENSB_IJS8_SA_EEENS0_18inequality_wrapperIZN2at6native12_GLOBAL__N_124unique_dim_cuda_templateIsEESt5tupleIJNSF_6TensorESK_SK_EERKSK_lbbbEUlllE0_EEPmJS9_EEE10hipError_tPvRmT3_T4_T5_T6_T7_T9_mT8_P12ihipStream_tbDpT10_ENKUlT_T0_E_clISt17integral_constantIbLb1EES19_IbLb0EEEEDaS15_S16_EUlS15_E_NS1_11comp_targetILNS1_3genE9ELNS1_11target_archE1100ELNS1_3gpuE3ELNS1_3repE0EEENS1_30default_config_static_selectorELNS0_4arch9wavefront6targetE0EEEvT1_.has_dyn_sized_stack, 0
	.set _ZN7rocprim17ROCPRIM_400000_NS6detail17trampoline_kernelINS0_14default_configENS1_25partition_config_selectorILNS1_17partition_subalgoE9EllbEEZZNS1_14partition_implILS5_9ELb0ES3_jPlS8_PNS0_10empty_typeENS0_5tupleIJS8_S9_EEENSB_IJS8_SA_EEENS0_18inequality_wrapperIZN2at6native12_GLOBAL__N_124unique_dim_cuda_templateIsEESt5tupleIJNSF_6TensorESK_SK_EERKSK_lbbbEUlllE0_EEPmJS9_EEE10hipError_tPvRmT3_T4_T5_T6_T7_T9_mT8_P12ihipStream_tbDpT10_ENKUlT_T0_E_clISt17integral_constantIbLb1EES19_IbLb0EEEEDaS15_S16_EUlS15_E_NS1_11comp_targetILNS1_3genE9ELNS1_11target_archE1100ELNS1_3gpuE3ELNS1_3repE0EEENS1_30default_config_static_selectorELNS0_4arch9wavefront6targetE0EEEvT1_.has_recursion, 0
	.set _ZN7rocprim17ROCPRIM_400000_NS6detail17trampoline_kernelINS0_14default_configENS1_25partition_config_selectorILNS1_17partition_subalgoE9EllbEEZZNS1_14partition_implILS5_9ELb0ES3_jPlS8_PNS0_10empty_typeENS0_5tupleIJS8_S9_EEENSB_IJS8_SA_EEENS0_18inequality_wrapperIZN2at6native12_GLOBAL__N_124unique_dim_cuda_templateIsEESt5tupleIJNSF_6TensorESK_SK_EERKSK_lbbbEUlllE0_EEPmJS9_EEE10hipError_tPvRmT3_T4_T5_T6_T7_T9_mT8_P12ihipStream_tbDpT10_ENKUlT_T0_E_clISt17integral_constantIbLb1EES19_IbLb0EEEEDaS15_S16_EUlS15_E_NS1_11comp_targetILNS1_3genE9ELNS1_11target_archE1100ELNS1_3gpuE3ELNS1_3repE0EEENS1_30default_config_static_selectorELNS0_4arch9wavefront6targetE0EEEvT1_.has_indirect_call, 0
	.section	.AMDGPU.csdata,"",@progbits
; Kernel info:
; codeLenInByte = 0
; TotalNumSgprs: 0
; NumVgprs: 0
; ScratchSize: 0
; MemoryBound: 0
; FloatMode: 240
; IeeeMode: 1
; LDSByteSize: 0 bytes/workgroup (compile time only)
; SGPRBlocks: 0
; VGPRBlocks: 0
; NumSGPRsForWavesPerEU: 1
; NumVGPRsForWavesPerEU: 1
; NamedBarCnt: 0
; Occupancy: 16
; WaveLimiterHint : 0
; COMPUTE_PGM_RSRC2:SCRATCH_EN: 0
; COMPUTE_PGM_RSRC2:USER_SGPR: 2
; COMPUTE_PGM_RSRC2:TRAP_HANDLER: 0
; COMPUTE_PGM_RSRC2:TGID_X_EN: 1
; COMPUTE_PGM_RSRC2:TGID_Y_EN: 0
; COMPUTE_PGM_RSRC2:TGID_Z_EN: 0
; COMPUTE_PGM_RSRC2:TIDIG_COMP_CNT: 0
	.section	.text._ZN7rocprim17ROCPRIM_400000_NS6detail17trampoline_kernelINS0_14default_configENS1_25partition_config_selectorILNS1_17partition_subalgoE9EllbEEZZNS1_14partition_implILS5_9ELb0ES3_jPlS8_PNS0_10empty_typeENS0_5tupleIJS8_S9_EEENSB_IJS8_SA_EEENS0_18inequality_wrapperIZN2at6native12_GLOBAL__N_124unique_dim_cuda_templateIsEESt5tupleIJNSF_6TensorESK_SK_EERKSK_lbbbEUlllE0_EEPmJS9_EEE10hipError_tPvRmT3_T4_T5_T6_T7_T9_mT8_P12ihipStream_tbDpT10_ENKUlT_T0_E_clISt17integral_constantIbLb1EES19_IbLb0EEEEDaS15_S16_EUlS15_E_NS1_11comp_targetILNS1_3genE8ELNS1_11target_archE1030ELNS1_3gpuE2ELNS1_3repE0EEENS1_30default_config_static_selectorELNS0_4arch9wavefront6targetE0EEEvT1_,"axG",@progbits,_ZN7rocprim17ROCPRIM_400000_NS6detail17trampoline_kernelINS0_14default_configENS1_25partition_config_selectorILNS1_17partition_subalgoE9EllbEEZZNS1_14partition_implILS5_9ELb0ES3_jPlS8_PNS0_10empty_typeENS0_5tupleIJS8_S9_EEENSB_IJS8_SA_EEENS0_18inequality_wrapperIZN2at6native12_GLOBAL__N_124unique_dim_cuda_templateIsEESt5tupleIJNSF_6TensorESK_SK_EERKSK_lbbbEUlllE0_EEPmJS9_EEE10hipError_tPvRmT3_T4_T5_T6_T7_T9_mT8_P12ihipStream_tbDpT10_ENKUlT_T0_E_clISt17integral_constantIbLb1EES19_IbLb0EEEEDaS15_S16_EUlS15_E_NS1_11comp_targetILNS1_3genE8ELNS1_11target_archE1030ELNS1_3gpuE2ELNS1_3repE0EEENS1_30default_config_static_selectorELNS0_4arch9wavefront6targetE0EEEvT1_,comdat
	.globl	_ZN7rocprim17ROCPRIM_400000_NS6detail17trampoline_kernelINS0_14default_configENS1_25partition_config_selectorILNS1_17partition_subalgoE9EllbEEZZNS1_14partition_implILS5_9ELb0ES3_jPlS8_PNS0_10empty_typeENS0_5tupleIJS8_S9_EEENSB_IJS8_SA_EEENS0_18inequality_wrapperIZN2at6native12_GLOBAL__N_124unique_dim_cuda_templateIsEESt5tupleIJNSF_6TensorESK_SK_EERKSK_lbbbEUlllE0_EEPmJS9_EEE10hipError_tPvRmT3_T4_T5_T6_T7_T9_mT8_P12ihipStream_tbDpT10_ENKUlT_T0_E_clISt17integral_constantIbLb1EES19_IbLb0EEEEDaS15_S16_EUlS15_E_NS1_11comp_targetILNS1_3genE8ELNS1_11target_archE1030ELNS1_3gpuE2ELNS1_3repE0EEENS1_30default_config_static_selectorELNS0_4arch9wavefront6targetE0EEEvT1_ ; -- Begin function _ZN7rocprim17ROCPRIM_400000_NS6detail17trampoline_kernelINS0_14default_configENS1_25partition_config_selectorILNS1_17partition_subalgoE9EllbEEZZNS1_14partition_implILS5_9ELb0ES3_jPlS8_PNS0_10empty_typeENS0_5tupleIJS8_S9_EEENSB_IJS8_SA_EEENS0_18inequality_wrapperIZN2at6native12_GLOBAL__N_124unique_dim_cuda_templateIsEESt5tupleIJNSF_6TensorESK_SK_EERKSK_lbbbEUlllE0_EEPmJS9_EEE10hipError_tPvRmT3_T4_T5_T6_T7_T9_mT8_P12ihipStream_tbDpT10_ENKUlT_T0_E_clISt17integral_constantIbLb1EES19_IbLb0EEEEDaS15_S16_EUlS15_E_NS1_11comp_targetILNS1_3genE8ELNS1_11target_archE1030ELNS1_3gpuE2ELNS1_3repE0EEENS1_30default_config_static_selectorELNS0_4arch9wavefront6targetE0EEEvT1_
	.p2align	8
	.type	_ZN7rocprim17ROCPRIM_400000_NS6detail17trampoline_kernelINS0_14default_configENS1_25partition_config_selectorILNS1_17partition_subalgoE9EllbEEZZNS1_14partition_implILS5_9ELb0ES3_jPlS8_PNS0_10empty_typeENS0_5tupleIJS8_S9_EEENSB_IJS8_SA_EEENS0_18inequality_wrapperIZN2at6native12_GLOBAL__N_124unique_dim_cuda_templateIsEESt5tupleIJNSF_6TensorESK_SK_EERKSK_lbbbEUlllE0_EEPmJS9_EEE10hipError_tPvRmT3_T4_T5_T6_T7_T9_mT8_P12ihipStream_tbDpT10_ENKUlT_T0_E_clISt17integral_constantIbLb1EES19_IbLb0EEEEDaS15_S16_EUlS15_E_NS1_11comp_targetILNS1_3genE8ELNS1_11target_archE1030ELNS1_3gpuE2ELNS1_3repE0EEENS1_30default_config_static_selectorELNS0_4arch9wavefront6targetE0EEEvT1_,@function
_ZN7rocprim17ROCPRIM_400000_NS6detail17trampoline_kernelINS0_14default_configENS1_25partition_config_selectorILNS1_17partition_subalgoE9EllbEEZZNS1_14partition_implILS5_9ELb0ES3_jPlS8_PNS0_10empty_typeENS0_5tupleIJS8_S9_EEENSB_IJS8_SA_EEENS0_18inequality_wrapperIZN2at6native12_GLOBAL__N_124unique_dim_cuda_templateIsEESt5tupleIJNSF_6TensorESK_SK_EERKSK_lbbbEUlllE0_EEPmJS9_EEE10hipError_tPvRmT3_T4_T5_T6_T7_T9_mT8_P12ihipStream_tbDpT10_ENKUlT_T0_E_clISt17integral_constantIbLb1EES19_IbLb0EEEEDaS15_S16_EUlS15_E_NS1_11comp_targetILNS1_3genE8ELNS1_11target_archE1030ELNS1_3gpuE2ELNS1_3repE0EEENS1_30default_config_static_selectorELNS0_4arch9wavefront6targetE0EEEvT1_: ; @_ZN7rocprim17ROCPRIM_400000_NS6detail17trampoline_kernelINS0_14default_configENS1_25partition_config_selectorILNS1_17partition_subalgoE9EllbEEZZNS1_14partition_implILS5_9ELb0ES3_jPlS8_PNS0_10empty_typeENS0_5tupleIJS8_S9_EEENSB_IJS8_SA_EEENS0_18inequality_wrapperIZN2at6native12_GLOBAL__N_124unique_dim_cuda_templateIsEESt5tupleIJNSF_6TensorESK_SK_EERKSK_lbbbEUlllE0_EEPmJS9_EEE10hipError_tPvRmT3_T4_T5_T6_T7_T9_mT8_P12ihipStream_tbDpT10_ENKUlT_T0_E_clISt17integral_constantIbLb1EES19_IbLb0EEEEDaS15_S16_EUlS15_E_NS1_11comp_targetILNS1_3genE8ELNS1_11target_archE1030ELNS1_3gpuE2ELNS1_3repE0EEENS1_30default_config_static_selectorELNS0_4arch9wavefront6targetE0EEEvT1_
; %bb.0:
	.section	.rodata,"a",@progbits
	.p2align	6, 0x0
	.amdhsa_kernel _ZN7rocprim17ROCPRIM_400000_NS6detail17trampoline_kernelINS0_14default_configENS1_25partition_config_selectorILNS1_17partition_subalgoE9EllbEEZZNS1_14partition_implILS5_9ELb0ES3_jPlS8_PNS0_10empty_typeENS0_5tupleIJS8_S9_EEENSB_IJS8_SA_EEENS0_18inequality_wrapperIZN2at6native12_GLOBAL__N_124unique_dim_cuda_templateIsEESt5tupleIJNSF_6TensorESK_SK_EERKSK_lbbbEUlllE0_EEPmJS9_EEE10hipError_tPvRmT3_T4_T5_T6_T7_T9_mT8_P12ihipStream_tbDpT10_ENKUlT_T0_E_clISt17integral_constantIbLb1EES19_IbLb0EEEEDaS15_S16_EUlS15_E_NS1_11comp_targetILNS1_3genE8ELNS1_11target_archE1030ELNS1_3gpuE2ELNS1_3repE0EEENS1_30default_config_static_selectorELNS0_4arch9wavefront6targetE0EEEvT1_
		.amdhsa_group_segment_fixed_size 0
		.amdhsa_private_segment_fixed_size 0
		.amdhsa_kernarg_size 120
		.amdhsa_user_sgpr_count 2
		.amdhsa_user_sgpr_dispatch_ptr 0
		.amdhsa_user_sgpr_queue_ptr 0
		.amdhsa_user_sgpr_kernarg_segment_ptr 1
		.amdhsa_user_sgpr_dispatch_id 0
		.amdhsa_user_sgpr_kernarg_preload_length 0
		.amdhsa_user_sgpr_kernarg_preload_offset 0
		.amdhsa_user_sgpr_private_segment_size 0
		.amdhsa_wavefront_size32 1
		.amdhsa_uses_dynamic_stack 0
		.amdhsa_enable_private_segment 0
		.amdhsa_system_sgpr_workgroup_id_x 1
		.amdhsa_system_sgpr_workgroup_id_y 0
		.amdhsa_system_sgpr_workgroup_id_z 0
		.amdhsa_system_sgpr_workgroup_info 0
		.amdhsa_system_vgpr_workitem_id 0
		.amdhsa_next_free_vgpr 1
		.amdhsa_next_free_sgpr 1
		.amdhsa_named_barrier_count 0
		.amdhsa_reserve_vcc 0
		.amdhsa_float_round_mode_32 0
		.amdhsa_float_round_mode_16_64 0
		.amdhsa_float_denorm_mode_32 3
		.amdhsa_float_denorm_mode_16_64 3
		.amdhsa_fp16_overflow 0
		.amdhsa_memory_ordered 1
		.amdhsa_forward_progress 1
		.amdhsa_inst_pref_size 0
		.amdhsa_round_robin_scheduling 0
		.amdhsa_exception_fp_ieee_invalid_op 0
		.amdhsa_exception_fp_denorm_src 0
		.amdhsa_exception_fp_ieee_div_zero 0
		.amdhsa_exception_fp_ieee_overflow 0
		.amdhsa_exception_fp_ieee_underflow 0
		.amdhsa_exception_fp_ieee_inexact 0
		.amdhsa_exception_int_div_zero 0
	.end_amdhsa_kernel
	.section	.text._ZN7rocprim17ROCPRIM_400000_NS6detail17trampoline_kernelINS0_14default_configENS1_25partition_config_selectorILNS1_17partition_subalgoE9EllbEEZZNS1_14partition_implILS5_9ELb0ES3_jPlS8_PNS0_10empty_typeENS0_5tupleIJS8_S9_EEENSB_IJS8_SA_EEENS0_18inequality_wrapperIZN2at6native12_GLOBAL__N_124unique_dim_cuda_templateIsEESt5tupleIJNSF_6TensorESK_SK_EERKSK_lbbbEUlllE0_EEPmJS9_EEE10hipError_tPvRmT3_T4_T5_T6_T7_T9_mT8_P12ihipStream_tbDpT10_ENKUlT_T0_E_clISt17integral_constantIbLb1EES19_IbLb0EEEEDaS15_S16_EUlS15_E_NS1_11comp_targetILNS1_3genE8ELNS1_11target_archE1030ELNS1_3gpuE2ELNS1_3repE0EEENS1_30default_config_static_selectorELNS0_4arch9wavefront6targetE0EEEvT1_,"axG",@progbits,_ZN7rocprim17ROCPRIM_400000_NS6detail17trampoline_kernelINS0_14default_configENS1_25partition_config_selectorILNS1_17partition_subalgoE9EllbEEZZNS1_14partition_implILS5_9ELb0ES3_jPlS8_PNS0_10empty_typeENS0_5tupleIJS8_S9_EEENSB_IJS8_SA_EEENS0_18inequality_wrapperIZN2at6native12_GLOBAL__N_124unique_dim_cuda_templateIsEESt5tupleIJNSF_6TensorESK_SK_EERKSK_lbbbEUlllE0_EEPmJS9_EEE10hipError_tPvRmT3_T4_T5_T6_T7_T9_mT8_P12ihipStream_tbDpT10_ENKUlT_T0_E_clISt17integral_constantIbLb1EES19_IbLb0EEEEDaS15_S16_EUlS15_E_NS1_11comp_targetILNS1_3genE8ELNS1_11target_archE1030ELNS1_3gpuE2ELNS1_3repE0EEENS1_30default_config_static_selectorELNS0_4arch9wavefront6targetE0EEEvT1_,comdat
.Lfunc_end740:
	.size	_ZN7rocprim17ROCPRIM_400000_NS6detail17trampoline_kernelINS0_14default_configENS1_25partition_config_selectorILNS1_17partition_subalgoE9EllbEEZZNS1_14partition_implILS5_9ELb0ES3_jPlS8_PNS0_10empty_typeENS0_5tupleIJS8_S9_EEENSB_IJS8_SA_EEENS0_18inequality_wrapperIZN2at6native12_GLOBAL__N_124unique_dim_cuda_templateIsEESt5tupleIJNSF_6TensorESK_SK_EERKSK_lbbbEUlllE0_EEPmJS9_EEE10hipError_tPvRmT3_T4_T5_T6_T7_T9_mT8_P12ihipStream_tbDpT10_ENKUlT_T0_E_clISt17integral_constantIbLb1EES19_IbLb0EEEEDaS15_S16_EUlS15_E_NS1_11comp_targetILNS1_3genE8ELNS1_11target_archE1030ELNS1_3gpuE2ELNS1_3repE0EEENS1_30default_config_static_selectorELNS0_4arch9wavefront6targetE0EEEvT1_, .Lfunc_end740-_ZN7rocprim17ROCPRIM_400000_NS6detail17trampoline_kernelINS0_14default_configENS1_25partition_config_selectorILNS1_17partition_subalgoE9EllbEEZZNS1_14partition_implILS5_9ELb0ES3_jPlS8_PNS0_10empty_typeENS0_5tupleIJS8_S9_EEENSB_IJS8_SA_EEENS0_18inequality_wrapperIZN2at6native12_GLOBAL__N_124unique_dim_cuda_templateIsEESt5tupleIJNSF_6TensorESK_SK_EERKSK_lbbbEUlllE0_EEPmJS9_EEE10hipError_tPvRmT3_T4_T5_T6_T7_T9_mT8_P12ihipStream_tbDpT10_ENKUlT_T0_E_clISt17integral_constantIbLb1EES19_IbLb0EEEEDaS15_S16_EUlS15_E_NS1_11comp_targetILNS1_3genE8ELNS1_11target_archE1030ELNS1_3gpuE2ELNS1_3repE0EEENS1_30default_config_static_selectorELNS0_4arch9wavefront6targetE0EEEvT1_
                                        ; -- End function
	.set _ZN7rocprim17ROCPRIM_400000_NS6detail17trampoline_kernelINS0_14default_configENS1_25partition_config_selectorILNS1_17partition_subalgoE9EllbEEZZNS1_14partition_implILS5_9ELb0ES3_jPlS8_PNS0_10empty_typeENS0_5tupleIJS8_S9_EEENSB_IJS8_SA_EEENS0_18inequality_wrapperIZN2at6native12_GLOBAL__N_124unique_dim_cuda_templateIsEESt5tupleIJNSF_6TensorESK_SK_EERKSK_lbbbEUlllE0_EEPmJS9_EEE10hipError_tPvRmT3_T4_T5_T6_T7_T9_mT8_P12ihipStream_tbDpT10_ENKUlT_T0_E_clISt17integral_constantIbLb1EES19_IbLb0EEEEDaS15_S16_EUlS15_E_NS1_11comp_targetILNS1_3genE8ELNS1_11target_archE1030ELNS1_3gpuE2ELNS1_3repE0EEENS1_30default_config_static_selectorELNS0_4arch9wavefront6targetE0EEEvT1_.num_vgpr, 0
	.set _ZN7rocprim17ROCPRIM_400000_NS6detail17trampoline_kernelINS0_14default_configENS1_25partition_config_selectorILNS1_17partition_subalgoE9EllbEEZZNS1_14partition_implILS5_9ELb0ES3_jPlS8_PNS0_10empty_typeENS0_5tupleIJS8_S9_EEENSB_IJS8_SA_EEENS0_18inequality_wrapperIZN2at6native12_GLOBAL__N_124unique_dim_cuda_templateIsEESt5tupleIJNSF_6TensorESK_SK_EERKSK_lbbbEUlllE0_EEPmJS9_EEE10hipError_tPvRmT3_T4_T5_T6_T7_T9_mT8_P12ihipStream_tbDpT10_ENKUlT_T0_E_clISt17integral_constantIbLb1EES19_IbLb0EEEEDaS15_S16_EUlS15_E_NS1_11comp_targetILNS1_3genE8ELNS1_11target_archE1030ELNS1_3gpuE2ELNS1_3repE0EEENS1_30default_config_static_selectorELNS0_4arch9wavefront6targetE0EEEvT1_.num_agpr, 0
	.set _ZN7rocprim17ROCPRIM_400000_NS6detail17trampoline_kernelINS0_14default_configENS1_25partition_config_selectorILNS1_17partition_subalgoE9EllbEEZZNS1_14partition_implILS5_9ELb0ES3_jPlS8_PNS0_10empty_typeENS0_5tupleIJS8_S9_EEENSB_IJS8_SA_EEENS0_18inequality_wrapperIZN2at6native12_GLOBAL__N_124unique_dim_cuda_templateIsEESt5tupleIJNSF_6TensorESK_SK_EERKSK_lbbbEUlllE0_EEPmJS9_EEE10hipError_tPvRmT3_T4_T5_T6_T7_T9_mT8_P12ihipStream_tbDpT10_ENKUlT_T0_E_clISt17integral_constantIbLb1EES19_IbLb0EEEEDaS15_S16_EUlS15_E_NS1_11comp_targetILNS1_3genE8ELNS1_11target_archE1030ELNS1_3gpuE2ELNS1_3repE0EEENS1_30default_config_static_selectorELNS0_4arch9wavefront6targetE0EEEvT1_.numbered_sgpr, 0
	.set _ZN7rocprim17ROCPRIM_400000_NS6detail17trampoline_kernelINS0_14default_configENS1_25partition_config_selectorILNS1_17partition_subalgoE9EllbEEZZNS1_14partition_implILS5_9ELb0ES3_jPlS8_PNS0_10empty_typeENS0_5tupleIJS8_S9_EEENSB_IJS8_SA_EEENS0_18inequality_wrapperIZN2at6native12_GLOBAL__N_124unique_dim_cuda_templateIsEESt5tupleIJNSF_6TensorESK_SK_EERKSK_lbbbEUlllE0_EEPmJS9_EEE10hipError_tPvRmT3_T4_T5_T6_T7_T9_mT8_P12ihipStream_tbDpT10_ENKUlT_T0_E_clISt17integral_constantIbLb1EES19_IbLb0EEEEDaS15_S16_EUlS15_E_NS1_11comp_targetILNS1_3genE8ELNS1_11target_archE1030ELNS1_3gpuE2ELNS1_3repE0EEENS1_30default_config_static_selectorELNS0_4arch9wavefront6targetE0EEEvT1_.num_named_barrier, 0
	.set _ZN7rocprim17ROCPRIM_400000_NS6detail17trampoline_kernelINS0_14default_configENS1_25partition_config_selectorILNS1_17partition_subalgoE9EllbEEZZNS1_14partition_implILS5_9ELb0ES3_jPlS8_PNS0_10empty_typeENS0_5tupleIJS8_S9_EEENSB_IJS8_SA_EEENS0_18inequality_wrapperIZN2at6native12_GLOBAL__N_124unique_dim_cuda_templateIsEESt5tupleIJNSF_6TensorESK_SK_EERKSK_lbbbEUlllE0_EEPmJS9_EEE10hipError_tPvRmT3_T4_T5_T6_T7_T9_mT8_P12ihipStream_tbDpT10_ENKUlT_T0_E_clISt17integral_constantIbLb1EES19_IbLb0EEEEDaS15_S16_EUlS15_E_NS1_11comp_targetILNS1_3genE8ELNS1_11target_archE1030ELNS1_3gpuE2ELNS1_3repE0EEENS1_30default_config_static_selectorELNS0_4arch9wavefront6targetE0EEEvT1_.private_seg_size, 0
	.set _ZN7rocprim17ROCPRIM_400000_NS6detail17trampoline_kernelINS0_14default_configENS1_25partition_config_selectorILNS1_17partition_subalgoE9EllbEEZZNS1_14partition_implILS5_9ELb0ES3_jPlS8_PNS0_10empty_typeENS0_5tupleIJS8_S9_EEENSB_IJS8_SA_EEENS0_18inequality_wrapperIZN2at6native12_GLOBAL__N_124unique_dim_cuda_templateIsEESt5tupleIJNSF_6TensorESK_SK_EERKSK_lbbbEUlllE0_EEPmJS9_EEE10hipError_tPvRmT3_T4_T5_T6_T7_T9_mT8_P12ihipStream_tbDpT10_ENKUlT_T0_E_clISt17integral_constantIbLb1EES19_IbLb0EEEEDaS15_S16_EUlS15_E_NS1_11comp_targetILNS1_3genE8ELNS1_11target_archE1030ELNS1_3gpuE2ELNS1_3repE0EEENS1_30default_config_static_selectorELNS0_4arch9wavefront6targetE0EEEvT1_.uses_vcc, 0
	.set _ZN7rocprim17ROCPRIM_400000_NS6detail17trampoline_kernelINS0_14default_configENS1_25partition_config_selectorILNS1_17partition_subalgoE9EllbEEZZNS1_14partition_implILS5_9ELb0ES3_jPlS8_PNS0_10empty_typeENS0_5tupleIJS8_S9_EEENSB_IJS8_SA_EEENS0_18inequality_wrapperIZN2at6native12_GLOBAL__N_124unique_dim_cuda_templateIsEESt5tupleIJNSF_6TensorESK_SK_EERKSK_lbbbEUlllE0_EEPmJS9_EEE10hipError_tPvRmT3_T4_T5_T6_T7_T9_mT8_P12ihipStream_tbDpT10_ENKUlT_T0_E_clISt17integral_constantIbLb1EES19_IbLb0EEEEDaS15_S16_EUlS15_E_NS1_11comp_targetILNS1_3genE8ELNS1_11target_archE1030ELNS1_3gpuE2ELNS1_3repE0EEENS1_30default_config_static_selectorELNS0_4arch9wavefront6targetE0EEEvT1_.uses_flat_scratch, 0
	.set _ZN7rocprim17ROCPRIM_400000_NS6detail17trampoline_kernelINS0_14default_configENS1_25partition_config_selectorILNS1_17partition_subalgoE9EllbEEZZNS1_14partition_implILS5_9ELb0ES3_jPlS8_PNS0_10empty_typeENS0_5tupleIJS8_S9_EEENSB_IJS8_SA_EEENS0_18inequality_wrapperIZN2at6native12_GLOBAL__N_124unique_dim_cuda_templateIsEESt5tupleIJNSF_6TensorESK_SK_EERKSK_lbbbEUlllE0_EEPmJS9_EEE10hipError_tPvRmT3_T4_T5_T6_T7_T9_mT8_P12ihipStream_tbDpT10_ENKUlT_T0_E_clISt17integral_constantIbLb1EES19_IbLb0EEEEDaS15_S16_EUlS15_E_NS1_11comp_targetILNS1_3genE8ELNS1_11target_archE1030ELNS1_3gpuE2ELNS1_3repE0EEENS1_30default_config_static_selectorELNS0_4arch9wavefront6targetE0EEEvT1_.has_dyn_sized_stack, 0
	.set _ZN7rocprim17ROCPRIM_400000_NS6detail17trampoline_kernelINS0_14default_configENS1_25partition_config_selectorILNS1_17partition_subalgoE9EllbEEZZNS1_14partition_implILS5_9ELb0ES3_jPlS8_PNS0_10empty_typeENS0_5tupleIJS8_S9_EEENSB_IJS8_SA_EEENS0_18inequality_wrapperIZN2at6native12_GLOBAL__N_124unique_dim_cuda_templateIsEESt5tupleIJNSF_6TensorESK_SK_EERKSK_lbbbEUlllE0_EEPmJS9_EEE10hipError_tPvRmT3_T4_T5_T6_T7_T9_mT8_P12ihipStream_tbDpT10_ENKUlT_T0_E_clISt17integral_constantIbLb1EES19_IbLb0EEEEDaS15_S16_EUlS15_E_NS1_11comp_targetILNS1_3genE8ELNS1_11target_archE1030ELNS1_3gpuE2ELNS1_3repE0EEENS1_30default_config_static_selectorELNS0_4arch9wavefront6targetE0EEEvT1_.has_recursion, 0
	.set _ZN7rocprim17ROCPRIM_400000_NS6detail17trampoline_kernelINS0_14default_configENS1_25partition_config_selectorILNS1_17partition_subalgoE9EllbEEZZNS1_14partition_implILS5_9ELb0ES3_jPlS8_PNS0_10empty_typeENS0_5tupleIJS8_S9_EEENSB_IJS8_SA_EEENS0_18inequality_wrapperIZN2at6native12_GLOBAL__N_124unique_dim_cuda_templateIsEESt5tupleIJNSF_6TensorESK_SK_EERKSK_lbbbEUlllE0_EEPmJS9_EEE10hipError_tPvRmT3_T4_T5_T6_T7_T9_mT8_P12ihipStream_tbDpT10_ENKUlT_T0_E_clISt17integral_constantIbLb1EES19_IbLb0EEEEDaS15_S16_EUlS15_E_NS1_11comp_targetILNS1_3genE8ELNS1_11target_archE1030ELNS1_3gpuE2ELNS1_3repE0EEENS1_30default_config_static_selectorELNS0_4arch9wavefront6targetE0EEEvT1_.has_indirect_call, 0
	.section	.AMDGPU.csdata,"",@progbits
; Kernel info:
; codeLenInByte = 0
; TotalNumSgprs: 0
; NumVgprs: 0
; ScratchSize: 0
; MemoryBound: 0
; FloatMode: 240
; IeeeMode: 1
; LDSByteSize: 0 bytes/workgroup (compile time only)
; SGPRBlocks: 0
; VGPRBlocks: 0
; NumSGPRsForWavesPerEU: 1
; NumVGPRsForWavesPerEU: 1
; NamedBarCnt: 0
; Occupancy: 16
; WaveLimiterHint : 0
; COMPUTE_PGM_RSRC2:SCRATCH_EN: 0
; COMPUTE_PGM_RSRC2:USER_SGPR: 2
; COMPUTE_PGM_RSRC2:TRAP_HANDLER: 0
; COMPUTE_PGM_RSRC2:TGID_X_EN: 1
; COMPUTE_PGM_RSRC2:TGID_Y_EN: 0
; COMPUTE_PGM_RSRC2:TGID_Z_EN: 0
; COMPUTE_PGM_RSRC2:TIDIG_COMP_CNT: 0
	.section	.text._ZN7rocprim17ROCPRIM_400000_NS6detail17trampoline_kernelINS0_14default_configENS1_25partition_config_selectorILNS1_17partition_subalgoE9EllbEEZZNS1_14partition_implILS5_9ELb0ES3_jPlS8_PNS0_10empty_typeENS0_5tupleIJS8_S9_EEENSB_IJS8_SA_EEENS0_18inequality_wrapperIZN2at6native12_GLOBAL__N_124unique_dim_cuda_templateIsEESt5tupleIJNSF_6TensorESK_SK_EERKSK_lbbbEUlllE0_EEPmJS9_EEE10hipError_tPvRmT3_T4_T5_T6_T7_T9_mT8_P12ihipStream_tbDpT10_ENKUlT_T0_E_clISt17integral_constantIbLb0EES19_IbLb1EEEEDaS15_S16_EUlS15_E_NS1_11comp_targetILNS1_3genE0ELNS1_11target_archE4294967295ELNS1_3gpuE0ELNS1_3repE0EEENS1_30default_config_static_selectorELNS0_4arch9wavefront6targetE0EEEvT1_,"axG",@progbits,_ZN7rocprim17ROCPRIM_400000_NS6detail17trampoline_kernelINS0_14default_configENS1_25partition_config_selectorILNS1_17partition_subalgoE9EllbEEZZNS1_14partition_implILS5_9ELb0ES3_jPlS8_PNS0_10empty_typeENS0_5tupleIJS8_S9_EEENSB_IJS8_SA_EEENS0_18inequality_wrapperIZN2at6native12_GLOBAL__N_124unique_dim_cuda_templateIsEESt5tupleIJNSF_6TensorESK_SK_EERKSK_lbbbEUlllE0_EEPmJS9_EEE10hipError_tPvRmT3_T4_T5_T6_T7_T9_mT8_P12ihipStream_tbDpT10_ENKUlT_T0_E_clISt17integral_constantIbLb0EES19_IbLb1EEEEDaS15_S16_EUlS15_E_NS1_11comp_targetILNS1_3genE0ELNS1_11target_archE4294967295ELNS1_3gpuE0ELNS1_3repE0EEENS1_30default_config_static_selectorELNS0_4arch9wavefront6targetE0EEEvT1_,comdat
	.globl	_ZN7rocprim17ROCPRIM_400000_NS6detail17trampoline_kernelINS0_14default_configENS1_25partition_config_selectorILNS1_17partition_subalgoE9EllbEEZZNS1_14partition_implILS5_9ELb0ES3_jPlS8_PNS0_10empty_typeENS0_5tupleIJS8_S9_EEENSB_IJS8_SA_EEENS0_18inequality_wrapperIZN2at6native12_GLOBAL__N_124unique_dim_cuda_templateIsEESt5tupleIJNSF_6TensorESK_SK_EERKSK_lbbbEUlllE0_EEPmJS9_EEE10hipError_tPvRmT3_T4_T5_T6_T7_T9_mT8_P12ihipStream_tbDpT10_ENKUlT_T0_E_clISt17integral_constantIbLb0EES19_IbLb1EEEEDaS15_S16_EUlS15_E_NS1_11comp_targetILNS1_3genE0ELNS1_11target_archE4294967295ELNS1_3gpuE0ELNS1_3repE0EEENS1_30default_config_static_selectorELNS0_4arch9wavefront6targetE0EEEvT1_ ; -- Begin function _ZN7rocprim17ROCPRIM_400000_NS6detail17trampoline_kernelINS0_14default_configENS1_25partition_config_selectorILNS1_17partition_subalgoE9EllbEEZZNS1_14partition_implILS5_9ELb0ES3_jPlS8_PNS0_10empty_typeENS0_5tupleIJS8_S9_EEENSB_IJS8_SA_EEENS0_18inequality_wrapperIZN2at6native12_GLOBAL__N_124unique_dim_cuda_templateIsEESt5tupleIJNSF_6TensorESK_SK_EERKSK_lbbbEUlllE0_EEPmJS9_EEE10hipError_tPvRmT3_T4_T5_T6_T7_T9_mT8_P12ihipStream_tbDpT10_ENKUlT_T0_E_clISt17integral_constantIbLb0EES19_IbLb1EEEEDaS15_S16_EUlS15_E_NS1_11comp_targetILNS1_3genE0ELNS1_11target_archE4294967295ELNS1_3gpuE0ELNS1_3repE0EEENS1_30default_config_static_selectorELNS0_4arch9wavefront6targetE0EEEvT1_
	.p2align	8
	.type	_ZN7rocprim17ROCPRIM_400000_NS6detail17trampoline_kernelINS0_14default_configENS1_25partition_config_selectorILNS1_17partition_subalgoE9EllbEEZZNS1_14partition_implILS5_9ELb0ES3_jPlS8_PNS0_10empty_typeENS0_5tupleIJS8_S9_EEENSB_IJS8_SA_EEENS0_18inequality_wrapperIZN2at6native12_GLOBAL__N_124unique_dim_cuda_templateIsEESt5tupleIJNSF_6TensorESK_SK_EERKSK_lbbbEUlllE0_EEPmJS9_EEE10hipError_tPvRmT3_T4_T5_T6_T7_T9_mT8_P12ihipStream_tbDpT10_ENKUlT_T0_E_clISt17integral_constantIbLb0EES19_IbLb1EEEEDaS15_S16_EUlS15_E_NS1_11comp_targetILNS1_3genE0ELNS1_11target_archE4294967295ELNS1_3gpuE0ELNS1_3repE0EEENS1_30default_config_static_selectorELNS0_4arch9wavefront6targetE0EEEvT1_,@function
_ZN7rocprim17ROCPRIM_400000_NS6detail17trampoline_kernelINS0_14default_configENS1_25partition_config_selectorILNS1_17partition_subalgoE9EllbEEZZNS1_14partition_implILS5_9ELb0ES3_jPlS8_PNS0_10empty_typeENS0_5tupleIJS8_S9_EEENSB_IJS8_SA_EEENS0_18inequality_wrapperIZN2at6native12_GLOBAL__N_124unique_dim_cuda_templateIsEESt5tupleIJNSF_6TensorESK_SK_EERKSK_lbbbEUlllE0_EEPmJS9_EEE10hipError_tPvRmT3_T4_T5_T6_T7_T9_mT8_P12ihipStream_tbDpT10_ENKUlT_T0_E_clISt17integral_constantIbLb0EES19_IbLb1EEEEDaS15_S16_EUlS15_E_NS1_11comp_targetILNS1_3genE0ELNS1_11target_archE4294967295ELNS1_3gpuE0ELNS1_3repE0EEENS1_30default_config_static_selectorELNS0_4arch9wavefront6targetE0EEEvT1_: ; @_ZN7rocprim17ROCPRIM_400000_NS6detail17trampoline_kernelINS0_14default_configENS1_25partition_config_selectorILNS1_17partition_subalgoE9EllbEEZZNS1_14partition_implILS5_9ELb0ES3_jPlS8_PNS0_10empty_typeENS0_5tupleIJS8_S9_EEENSB_IJS8_SA_EEENS0_18inequality_wrapperIZN2at6native12_GLOBAL__N_124unique_dim_cuda_templateIsEESt5tupleIJNSF_6TensorESK_SK_EERKSK_lbbbEUlllE0_EEPmJS9_EEE10hipError_tPvRmT3_T4_T5_T6_T7_T9_mT8_P12ihipStream_tbDpT10_ENKUlT_T0_E_clISt17integral_constantIbLb0EES19_IbLb1EEEEDaS15_S16_EUlS15_E_NS1_11comp_targetILNS1_3genE0ELNS1_11target_archE4294967295ELNS1_3gpuE0ELNS1_3repE0EEENS1_30default_config_static_selectorELNS0_4arch9wavefront6targetE0EEEvT1_
; %bb.0:
	s_clause 0x3
	s_load_b128 s[4:7], s[0:1], 0x8
	s_load_b64 s[24:25], s[0:1], 0x18
	s_load_b256 s[12:19], s[0:1], 0x40
	s_load_b128 s[8:11], s[0:1], 0x60
	v_cmp_ne_u32_e64 s3, 0, v0
	v_cmp_eq_u32_e64 s2, 0, v0
	s_and_saveexec_b32 s20, s2
	s_cbranch_execz .LBB741_4
; %bb.1:
	s_mov_b32 s22, exec_lo
	s_mov_b32 s21, exec_lo
	v_mbcnt_lo_u32_b32 v1, s22, 0
                                        ; implicit-def: $vgpr2
	s_delay_alu instid0(VALU_DEP_1)
	v_cmpx_eq_u32_e32 0, v1
	s_cbranch_execz .LBB741_3
; %bb.2:
	s_load_b64 s[26:27], s[0:1], 0x78
	s_bcnt1_i32_b32 s22, s22
	s_delay_alu instid0(SALU_CYCLE_1)
	v_dual_mov_b32 v2, 0 :: v_dual_mov_b32 v3, s22
	s_wait_xcnt 0x0
	s_wait_kmcnt 0x0
	global_atomic_add_u32 v2, v2, v3, s[26:27] th:TH_ATOMIC_RETURN scope:SCOPE_DEV
.LBB741_3:
	s_wait_xcnt 0x0
	s_or_b32 exec_lo, exec_lo, s21
	s_wait_loadcnt 0x0
	v_readfirstlane_b32 s21, v2
	s_delay_alu instid0(VALU_DEP_1)
	v_dual_mov_b32 v2, 0 :: v_dual_add_nc_u32 v1, s21, v1
	ds_store_b32 v2, v1
.LBB741_4:
	s_or_b32 exec_lo, exec_lo, s20
	v_mov_b32_e32 v1, 0
	s_clause 0x1
	s_load_b128 s[20:23], s[0:1], 0x28
	s_load_b32 s28, s[0:1], 0x70
	s_wait_dscnt 0x0
	s_barrier_signal -1
	s_barrier_wait -1
	ds_load_b32 v4, v1
	s_wait_dscnt 0x0
	s_barrier_signal -1
	s_barrier_wait -1
	s_wait_kmcnt 0x0
	global_load_b64 v[2:3], v1, s[14:15]
	s_wait_xcnt 0x0
	s_mov_b32 s15, 0
	s_lshl_b64 s[26:27], s[6:7], 3
	v_lshlrev_b32_e32 v1, 3, v0
	s_add_nc_u64 s[4:5], s[4:5], s[26:27]
	s_mov_b32 s1, -1
	s_mul_i32 s14, s28, 0x280
	s_add_co_i32 s28, s28, -1
	s_add_co_i32 s0, s14, s6
	s_add_nc_u64 s[34:35], s[6:7], s[14:15]
	s_sub_co_i32 s31, s16, s0
	v_readfirstlane_b32 s30, v4
	v_cmp_le_u64_e64 s0, s[16:17], s[34:35]
	s_addk_co_i32 s31, 0x280
	s_cmp_eq_u32 s30, s28
	s_mul_i32 s14, s30, 0x280
	s_cselect_b32 s28, -1, 0
	s_lshl_b64 s[16:17], s[14:15], 3
	s_and_b32 s33, s0, s28
	s_add_nc_u64 s[4:5], s[4:5], s[16:17]
	s_xor_b32 s29, s33, -1
	s_delay_alu instid0(SALU_CYCLE_1)
	s_and_b32 vcc_lo, exec_lo, s29
	s_wait_loadcnt 0x0
	v_readfirstlane_b32 s14, v2
	v_readfirstlane_b32 s15, v3
	s_cbranch_vccz .LBB741_6
; %bb.5:
	s_clause 0x4
	global_load_b64 v[2:3], v0, s[4:5] scale_offset
	global_load_b64 v[4:5], v0, s[4:5] offset:1024 scale_offset
	global_load_b64 v[6:7], v0, s[4:5] offset:2048 scale_offset
	;; [unrolled: 1-line block ×4, first 2 shown]
	v_lshlrev_b32_e32 v12, 3, v0
	s_mov_b32 s1, 0
	s_wait_loadcnt 0x3
	ds_store_2addr_stride64_b64 v12, v[2:3], v[4:5] offset1:2
	s_wait_loadcnt 0x1
	ds_store_2addr_stride64_b64 v12, v[6:7], v[8:9] offset0:4 offset1:6
	s_wait_loadcnt 0x0
	ds_store_b64 v12, v[10:11] offset:4096
	s_wait_dscnt 0x0
	s_barrier_signal -1
	s_barrier_wait -1
.LBB741_6:
	v_cmp_gt_u32_e64 s0, s31, v0
	s_and_not1_b32 vcc_lo, exec_lo, s1
	s_cbranch_vccnz .LBB741_18
; %bb.7:
	v_mov_b32_e32 v2, 0
	s_delay_alu instid0(VALU_DEP_1)
	v_dual_mov_b32 v3, v2 :: v_dual_mov_b32 v4, v2
	v_dual_mov_b32 v5, v2 :: v_dual_mov_b32 v6, v2
	;; [unrolled: 1-line block ×4, first 2 shown]
	v_mov_b32_e32 v11, v2
	s_and_saveexec_b32 s1, s0
	s_cbranch_execz .LBB741_9
; %bb.8:
	global_load_b64 v[4:5], v0, s[4:5] scale_offset
	v_dual_mov_b32 v6, v2 :: v_dual_mov_b32 v7, v2
	v_dual_mov_b32 v8, v2 :: v_dual_mov_b32 v9, v2
	;; [unrolled: 1-line block ×4, first 2 shown]
	s_wait_loadcnt 0x0
	v_mov_b64_e32 v[2:3], v[4:5]
	v_mov_b64_e32 v[4:5], v[6:7]
	;; [unrolled: 1-line block ×8, first 2 shown]
.LBB741_9:
	s_or_b32 exec_lo, exec_lo, s1
	v_or_b32_e32 v12, 0x80, v0
	s_mov_b32 s0, exec_lo
	s_delay_alu instid0(VALU_DEP_1)
	v_cmpx_gt_u32_e64 s31, v12
	s_cbranch_execz .LBB741_11
; %bb.10:
	global_load_b64 v[4:5], v0, s[4:5] offset:1024 scale_offset
.LBB741_11:
	s_wait_xcnt 0x0
	s_or_b32 exec_lo, exec_lo, s0
	v_or_b32_e32 v12, 0x100, v0
	s_mov_b32 s0, exec_lo
	s_delay_alu instid0(VALU_DEP_1)
	v_cmpx_gt_u32_e64 s31, v12
	s_cbranch_execz .LBB741_13
; %bb.12:
	global_load_b64 v[6:7], v0, s[4:5] offset:2048 scale_offset
.LBB741_13:
	s_wait_xcnt 0x0
	;; [unrolled: 10-line block ×4, first 2 shown]
	s_or_b32 exec_lo, exec_lo, s0
	v_lshlrev_b32_e32 v12, 3, v0
	s_wait_loadcnt 0x0
	ds_store_2addr_stride64_b64 v12, v[2:3], v[4:5] offset1:2
	ds_store_2addr_stride64_b64 v12, v[6:7], v[8:9] offset0:4 offset1:6
	ds_store_b64 v12, v[10:11] offset:4096
	s_wait_dscnt 0x0
	s_barrier_signal -1
	s_barrier_wait -1
.LBB741_18:
	v_mul_u32_u24_e32 v30, 5, v0
	s_add_nc_u64 s[0:1], s[24:25], s[26:27]
	s_and_b32 vcc_lo, exec_lo, s29
	s_add_nc_u64 s[0:1], s[0:1], s[16:17]
	s_delay_alu instid0(VALU_DEP_1)
	v_lshlrev_b32_e32 v31, 3, v30
	s_mov_b32 s16, -1
	ds_load_2addr_b64 v[14:17], v31 offset1:1
	ds_load_2addr_b64 v[10:13], v31 offset0:2 offset1:3
	ds_load_b64 v[20:21], v31 offset:32
	s_wait_dscnt 0x0
	s_barrier_signal -1
	s_barrier_wait -1
	s_cbranch_vccz .LBB741_20
; %bb.19:
	s_clause 0x4
	global_load_b64 v[2:3], v0, s[0:1] scale_offset
	global_load_b64 v[4:5], v0, s[0:1] offset:1024 scale_offset
	global_load_b64 v[6:7], v0, s[0:1] offset:2048 scale_offset
	;; [unrolled: 1-line block ×4, first 2 shown]
	v_lshlrev_b32_e32 v22, 3, v0
	s_mov_b32 s16, 0
	s_wait_loadcnt 0x3
	ds_store_2addr_stride64_b64 v22, v[2:3], v[4:5] offset1:2
	s_wait_loadcnt 0x1
	ds_store_2addr_stride64_b64 v22, v[6:7], v[8:9] offset0:4 offset1:6
	s_wait_loadcnt 0x0
	ds_store_b64 v22, v[18:19] offset:4096
	s_wait_dscnt 0x0
	s_barrier_signal -1
	s_barrier_wait -1
.LBB741_20:
	s_and_not1_b32 vcc_lo, exec_lo, s16
	s_cbranch_vccnz .LBB741_32
; %bb.21:
	s_mov_b32 s16, exec_lo
                                        ; implicit-def: $vgpr2_vgpr3
	v_cmpx_gt_u32_e64 s31, v0
	s_cbranch_execz .LBB741_23
; %bb.22:
	global_load_b64 v[2:3], v0, s[0:1] scale_offset
.LBB741_23:
	s_wait_xcnt 0x0
	s_or_b32 exec_lo, exec_lo, s16
	v_or_b32_e32 v4, 0x80, v0
	s_delay_alu instid0(VALU_DEP_1)
	v_cmp_gt_u32_e32 vcc_lo, s31, v4
                                        ; implicit-def: $vgpr4_vgpr5
	s_and_saveexec_b32 s16, vcc_lo
	s_cbranch_execz .LBB741_25
; %bb.24:
	global_load_b64 v[4:5], v0, s[0:1] offset:1024 scale_offset
.LBB741_25:
	s_wait_xcnt 0x0
	s_or_b32 exec_lo, exec_lo, s16
	v_or_b32_e32 v6, 0x100, v0
	s_delay_alu instid0(VALU_DEP_1)
	v_cmp_gt_u32_e32 vcc_lo, s31, v6
                                        ; implicit-def: $vgpr6_vgpr7
	s_and_saveexec_b32 s16, vcc_lo
	s_cbranch_execz .LBB741_27
; %bb.26:
	global_load_b64 v[6:7], v0, s[0:1] offset:2048 scale_offset
.LBB741_27:
	s_wait_xcnt 0x0
	s_or_b32 exec_lo, exec_lo, s16
	v_or_b32_e32 v8, 0x180, v0
	s_delay_alu instid0(VALU_DEP_1)
	v_cmp_gt_u32_e32 vcc_lo, s31, v8
                                        ; implicit-def: $vgpr8_vgpr9
	s_and_saveexec_b32 s16, vcc_lo
	s_cbranch_execz .LBB741_29
; %bb.28:
	global_load_b64 v[8:9], v0, s[0:1] offset:3072 scale_offset
.LBB741_29:
	s_wait_xcnt 0x0
	s_or_b32 exec_lo, exec_lo, s16
	v_or_b32_e32 v18, 0x200, v0
	s_delay_alu instid0(VALU_DEP_1)
	v_cmp_gt_u32_e32 vcc_lo, s31, v18
                                        ; implicit-def: $vgpr18_vgpr19
	s_and_saveexec_b32 s16, vcc_lo
	s_cbranch_execz .LBB741_31
; %bb.30:
	global_load_b64 v[18:19], v0, s[0:1] offset:4096 scale_offset
.LBB741_31:
	s_wait_xcnt 0x0
	s_or_b32 exec_lo, exec_lo, s16
	v_lshlrev_b32_e32 v22, 5, v0
	s_delay_alu instid0(VALU_DEP_1)
	v_sub_nc_u32_e32 v22, v31, v22
	s_wait_loadcnt 0x0
	ds_store_2addr_stride64_b64 v22, v[2:3], v[4:5] offset1:2
	ds_store_2addr_stride64_b64 v22, v[6:7], v[8:9] offset0:4 offset1:6
	ds_store_b64 v22, v[18:19] offset:4096
	s_wait_dscnt 0x0
	s_barrier_signal -1
	s_barrier_wait -1
.LBB741_32:
	ds_load_b64 v[18:19], v31 offset:32
	ds_load_2addr_b64 v[2:5], v31 offset0:2 offset1:3
	ds_load_2addr_b64 v[6:9], v31 offset1:1
	s_cmp_lg_u32 s30, 0
	s_wait_dscnt 0x0
	s_cselect_b32 s16, -1, 0
	s_cmp_lg_u64 s[6:7], 0
	v_cmp_gt_i64_e64 s7, s[18:19], 0
	s_cselect_b32 s0, -1, 0
	s_mov_b32 s6, 0
	s_or_b32 s0, s0, s16
	s_barrier_signal -1
	s_and_b32 vcc_lo, exec_lo, s0
	s_barrier_wait -1
	s_cbranch_vccz .LBB741_44
; %bb.33:
	v_dual_mov_b32 v26, 0 :: v_dual_lshlrev_b32 v33, 3, v0
	v_cndmask_b32_e64 v32, 0, 1, s7
	s_and_b32 vcc_lo, exec_lo, s29
	global_load_b64 v[22:23], v26, s[4:5] offset:-8
	ds_store_b64 v33, v[20:21]
	v_cmp_ne_u32_e64 s0, 1, v32
	s_cbranch_vccz .LBB741_46
; %bb.34:
	s_and_b32 vcc_lo, exec_lo, s0
	s_cbranch_vccnz .LBB741_47
; %bb.35:
	v_mul_u64_e32 v[24:25], s[18:19], v[12:13]
	s_wait_xcnt 0x0
	v_mul_u64_e32 v[26:27], s[18:19], v[20:21]
	s_add_nc_u64 s[4:5], s[18:19], -1
	s_mov_b32 s17, 0
	s_mov_b64 s[0:1], s[4:5]
                                        ; implicit-def: $sgpr6
	s_delay_alu instid0(VALU_DEP_2) | instskip(NEXT) | instid1(VALU_DEP_2)
	v_lshl_add_u64 v[24:25], v[24:25], 1, s[8:9]
	v_lshl_add_u64 v[26:27], v[26:27], 1, s[8:9]
	s_delay_alu instid0(VALU_DEP_2)
	v_mov_b64_e32 v[28:29], v[24:25]
.LBB741_36:                             ; =>This Inner Loop Header: Depth=1
	global_load_u16 v34, v[28:29], off
	global_load_u16 v35, v[26:27], off
	s_cmp_eq_u64 s[0:1], 0
	s_add_nc_u64 s[24:25], s[0:1], -1
	s_cselect_b32 s1, -1, 0
	s_wait_xcnt 0x1
	v_add_nc_u64_e32 v[28:29], 2, v[28:29]
	s_wait_xcnt 0x0
	v_add_nc_u64_e32 v[26:27], 2, v[26:27]
	s_wait_loadcnt 0x0
	v_cmp_ne_u16_e32 vcc_lo, v34, v35
	v_cmp_eq_u16_e64 s0, v34, v35
	s_or_b32 s1, vcc_lo, s1
	s_delay_alu instid0(SALU_CYCLE_1) | instskip(NEXT) | instid1(SALU_CYCLE_1)
	s_and_b32 s1, exec_lo, s1
	s_or_b32 s17, s1, s17
	s_and_not1_b32 s6, s6, exec_lo
	s_and_b32 s26, s0, exec_lo
	s_mov_b64 s[0:1], s[24:25]
	s_or_b32 s6, s6, s26
	s_and_not1_b32 exec_lo, exec_lo, s17
	s_cbranch_execnz .LBB741_36
; %bb.37:
	s_or_b32 exec_lo, exec_lo, s17
	v_mul_u64_e32 v[26:27], s[18:19], v[10:11]
	s_mov_b32 s24, 0
	s_mov_b64 s[0:1], s[4:5]
                                        ; implicit-def: $sgpr17
	s_delay_alu instid0(VALU_DEP_1) | instskip(NEXT) | instid1(VALU_DEP_1)
	v_lshl_add_u64 v[26:27], v[26:27], 1, s[8:9]
	v_mov_b64_e32 v[28:29], v[26:27]
.LBB741_38:                             ; =>This Inner Loop Header: Depth=1
	global_load_u16 v34, v[28:29], off
	global_load_u16 v35, v[24:25], off
	s_cmp_eq_u64 s[0:1], 0
	s_add_nc_u64 s[26:27], s[0:1], -1
	s_cselect_b32 s1, -1, 0
	s_wait_xcnt 0x1
	v_add_nc_u64_e32 v[28:29], 2, v[28:29]
	s_wait_xcnt 0x0
	v_add_nc_u64_e32 v[24:25], 2, v[24:25]
	s_wait_loadcnt 0x0
	v_cmp_ne_u16_e32 vcc_lo, v34, v35
	v_cmp_eq_u16_e64 s0, v34, v35
	s_or_b32 s1, vcc_lo, s1
	s_delay_alu instid0(SALU_CYCLE_1) | instskip(NEXT) | instid1(SALU_CYCLE_1)
	s_and_b32 s1, exec_lo, s1
	s_or_b32 s24, s1, s24
	s_and_not1_b32 s17, s17, exec_lo
	s_and_b32 s25, s0, exec_lo
	s_mov_b64 s[0:1], s[26:27]
	s_or_b32 s17, s17, s25
	s_and_not1_b32 exec_lo, exec_lo, s24
	s_cbranch_execnz .LBB741_38
; %bb.39:
	s_or_b32 exec_lo, exec_lo, s24
	v_mul_u64_e32 v[24:25], s[18:19], v[16:17]
	s_mov_b32 s25, 0
	s_mov_b64 s[0:1], s[4:5]
                                        ; implicit-def: $sgpr24
	s_delay_alu instid0(VALU_DEP_1) | instskip(NEXT) | instid1(VALU_DEP_1)
	v_lshl_add_u64 v[24:25], v[24:25], 1, s[8:9]
	v_mov_b64_e32 v[28:29], v[24:25]
.LBB741_40:                             ; =>This Inner Loop Header: Depth=1
	global_load_u16 v34, v[28:29], off
	global_load_u16 v35, v[26:27], off
	s_cmp_eq_u64 s[0:1], 0
	s_add_nc_u64 s[26:27], s[0:1], -1
	s_cselect_b32 s1, -1, 0
	s_wait_xcnt 0x1
	v_add_nc_u64_e32 v[28:29], 2, v[28:29]
	s_wait_xcnt 0x0
	v_add_nc_u64_e32 v[26:27], 2, v[26:27]
	s_wait_loadcnt 0x0
	v_cmp_ne_u16_e32 vcc_lo, v34, v35
	v_cmp_eq_u16_e64 s0, v34, v35
	s_or_b32 s1, vcc_lo, s1
	s_delay_alu instid0(SALU_CYCLE_1) | instskip(NEXT) | instid1(SALU_CYCLE_1)
	s_and_b32 s1, exec_lo, s1
	s_or_b32 s25, s1, s25
	s_and_not1_b32 s24, s24, exec_lo
	s_and_b32 s34, s0, exec_lo
	s_mov_b64 s[0:1], s[26:27]
	s_or_b32 s24, s24, s34
	s_and_not1_b32 exec_lo, exec_lo, s25
	s_cbranch_execnz .LBB741_40
; %bb.41:
	s_or_b32 exec_lo, exec_lo, s25
	v_mul_u64_e32 v[26:27], s[18:19], v[14:15]
	s_mov_b32 s25, 0
                                        ; implicit-def: $sgpr1
	s_delay_alu instid0(VALU_DEP_1)
	v_lshl_add_u64 v[26:27], v[26:27], 1, s[8:9]
.LBB741_42:                             ; =>This Inner Loop Header: Depth=1
	global_load_u16 v28, v[26:27], off
	global_load_u16 v29, v[24:25], off
	s_cmp_eq_u64 s[4:5], 0
	s_add_nc_u64 s[26:27], s[4:5], -1
	s_cselect_b32 s4, -1, 0
	s_wait_xcnt 0x1
	v_add_nc_u64_e32 v[26:27], 2, v[26:27]
	s_wait_xcnt 0x0
	v_add_nc_u64_e32 v[24:25], 2, v[24:25]
	s_wait_loadcnt 0x0
	v_cmp_ne_u16_e32 vcc_lo, v28, v29
	v_cmp_eq_u16_e64 s0, v28, v29
	s_or_b32 s4, vcc_lo, s4
	s_delay_alu instid0(SALU_CYCLE_1) | instskip(NEXT) | instid1(SALU_CYCLE_1)
	s_and_b32 s4, exec_lo, s4
	s_or_b32 s25, s4, s25
	s_and_not1_b32 s1, s1, exec_lo
	s_and_b32 s0, s0, exec_lo
	s_mov_b64 s[4:5], s[26:27]
	s_or_b32 s1, s1, s0
	s_and_not1_b32 exec_lo, exec_lo, s25
	s_cbranch_execnz .LBB741_42
; %bb.43:
	s_or_b32 exec_lo, exec_lo, s25
	s_xor_b32 s0, s17, -1
	s_delay_alu instid0(SALU_CYCLE_1) | instskip(SKIP_1) | instid1(SALU_CYCLE_1)
	v_cndmask_b32_e64 v24, 0, 1, s0
	s_xor_b32 s0, s24, -1
	v_cndmask_b32_e64 v25, 0, 1, s0
	s_xor_b32 s0, s6, -1
	s_delay_alu instid0(VALU_DEP_2) | instskip(SKIP_2) | instid1(VALU_DEP_2)
	v_lshlrev_b16 v24, 8, v24
	v_cndmask_b32_e64 v34, 0, 1, s0
	s_xor_b32 s0, s1, -1
	v_lshrrev_b32_e32 v24, 8, v24
	s_delay_alu instid0(VALU_DEP_1) | instskip(NEXT) | instid1(VALU_DEP_1)
	v_lshlrev_b16 v24, 8, v24
	v_or_b32_e32 v24, v25, v24
	s_delay_alu instid0(VALU_DEP_1)
	v_lshlrev_b32_e32 v26, 16, v24
	s_branch .LBB741_48
.LBB741_44:
                                        ; implicit-def: $sgpr0
                                        ; implicit-def: $vgpr34
                                        ; implicit-def: $vgpr25
	s_branch .LBB741_89
.LBB741_45:
                                        ; implicit-def: $vgpr24
                                        ; implicit-def: $vgpr23
                                        ; implicit-def: $vgpr35
                                        ; implicit-def: $vgpr22
	s_branch .LBB741_142
.LBB741_46:
	s_wait_xcnt 0x0
                                        ; implicit-def: $sgpr0
                                        ; implicit-def: $vgpr34
                                        ; implicit-def: $vgpr25
	s_cbranch_execnz .LBB741_55
	s_branch .LBB741_88
.LBB741_47:
	v_mov_b32_e32 v34, 0
	s_mov_b32 s0, 0
.LBB741_48:
	s_wait_loadcnt 0x0
	v_mov_b64_e32 v[24:25], v[22:23]
	s_wait_dscnt 0x0
	s_barrier_signal -1
	s_barrier_wait -1
	s_and_saveexec_b32 s1, s3
; %bb.49:
	v_add_nc_u32_e32 v24, -8, v33
	ds_load_b64 v[24:25], v24
; %bb.50:
	s_or_b32 exec_lo, exec_lo, s1
	v_cndmask_b32_e64 v27, 0, 1, s0
	v_lshrrev_b32_e32 v28, 16, v26
	s_mov_b32 s4, 0
	s_and_not1_b32 vcc_lo, exec_lo, s7
	s_mov_b32 s0, 0
	v_lshlrev_b16 v27, 8, v27
	v_perm_b32 v28, v28, v26, 0xc0c0304
	s_delay_alu instid0(VALU_DEP_2) | instskip(NEXT) | instid1(VALU_DEP_1)
	v_bitop3_b16 v27, v26, v27, 0xff bitop3:0xec
	v_and_b32_e32 v29, 0xffff, v27
	s_cbranch_vccnz .LBB741_54
; %bb.51:
	s_wait_dscnt 0x0
	v_mul_u64_e32 v[24:25], s[18:19], v[24:25]
	v_mul_u64_e32 v[26:27], s[18:19], v[14:15]
	s_add_nc_u64 s[0:1], s[18:19], -1
	s_mov_b32 s5, 0
                                        ; implicit-def: $sgpr6
	s_delay_alu instid0(VALU_DEP_2) | instskip(NEXT) | instid1(VALU_DEP_2)
	v_lshl_add_u64 v[24:25], v[24:25], 1, s[8:9]
	v_lshl_add_u64 v[26:27], v[26:27], 1, s[8:9]
.LBB741_52:                             ; =>This Inner Loop Header: Depth=1
	global_load_u16 v35, v[24:25], off
	global_load_u16 v36, v[26:27], off
	s_cmp_eq_u64 s[0:1], 0
	s_add_nc_u64 s[24:25], s[0:1], -1
	s_cselect_b32 s1, -1, 0
	s_wait_xcnt 0x1
	v_add_nc_u64_e32 v[24:25], 2, v[24:25]
	s_wait_xcnt 0x0
	v_add_nc_u64_e32 v[26:27], 2, v[26:27]
	s_wait_loadcnt 0x0
	v_cmp_ne_u16_e32 vcc_lo, v35, v36
	v_cmp_eq_u16_e64 s0, v35, v36
	s_or_b32 s1, vcc_lo, s1
	s_delay_alu instid0(SALU_CYCLE_1) | instskip(NEXT) | instid1(SALU_CYCLE_1)
	s_and_b32 s1, exec_lo, s1
	s_or_b32 s5, s1, s5
	s_and_not1_b32 s6, s6, exec_lo
	s_and_b32 s17, s0, exec_lo
	s_mov_b64 s[0:1], s[24:25]
	s_or_b32 s6, s6, s17
	s_and_not1_b32 exec_lo, exec_lo, s5
	s_cbranch_execnz .LBB741_52
; %bb.53:
	s_or_b32 exec_lo, exec_lo, s5
	s_xor_b32 s0, s6, -1
.LBB741_54:
	s_wait_dscnt 0x0
	s_delay_alu instid0(VALU_DEP_1)
	v_lshl_or_b32 v25, v28, 16, v29
	s_and_b32 vcc_lo, exec_lo, s4
	s_cbranch_vccz .LBB741_88
.LBB741_55:
	v_add_nc_u32_e32 v24, 4, v30
	s_mov_b32 s5, 0
	s_mov_b32 s4, 0
	s_mov_b32 s6, exec_lo
	s_delay_alu instid0(VALU_DEP_1)
	v_cmpx_gt_u32_e64 s31, v24
	s_cbranch_execz .LBB741_61
; %bb.56:
	s_and_not1_b32 vcc_lo, exec_lo, s7
	s_mov_b32 s0, 0
	s_cbranch_vccnz .LBB741_60
; %bb.57:
	v_mul_u64_e32 v[24:25], s[18:19], v[12:13]
	v_mul_u64_e32 v[26:27], s[18:19], v[20:21]
	s_add_nc_u64 s[0:1], s[18:19], -1
                                        ; implicit-def: $sgpr7
	s_delay_alu instid0(VALU_DEP_2) | instskip(NEXT) | instid1(VALU_DEP_2)
	v_lshl_add_u64 v[24:25], v[24:25], 1, s[8:9]
	v_lshl_add_u64 v[26:27], v[26:27], 1, s[8:9]
.LBB741_58:                             ; =>This Inner Loop Header: Depth=1
	global_load_u16 v28, v[24:25], off
	global_load_u16 v29, v[26:27], off
	s_cmp_eq_u64 s[0:1], 0
	s_add_nc_u64 s[24:25], s[0:1], -1
	s_cselect_b32 s1, -1, 0
	s_wait_xcnt 0x1
	v_add_nc_u64_e32 v[24:25], 2, v[24:25]
	s_wait_xcnt 0x0
	v_add_nc_u64_e32 v[26:27], 2, v[26:27]
	s_wait_loadcnt 0x0
	v_cmp_ne_u16_e32 vcc_lo, v28, v29
	v_cmp_eq_u16_e64 s0, v28, v29
	s_or_b32 s1, vcc_lo, s1
	s_delay_alu instid0(SALU_CYCLE_1) | instskip(NEXT) | instid1(SALU_CYCLE_1)
	s_and_b32 s1, exec_lo, s1
	s_or_b32 s4, s1, s4
	s_and_not1_b32 s7, s7, exec_lo
	s_and_b32 s17, s0, exec_lo
	s_mov_b64 s[0:1], s[24:25]
	s_or_b32 s7, s7, s17
	s_and_not1_b32 exec_lo, exec_lo, s4
	s_cbranch_execnz .LBB741_58
; %bb.59:
	s_or_b32 exec_lo, exec_lo, s4
	s_xor_b32 s0, s7, -1
.LBB741_60:
	s_delay_alu instid0(SALU_CYCLE_1)
	s_and_b32 s4, s0, exec_lo
.LBB741_61:
	s_or_b32 exec_lo, exec_lo, s6
	v_add_nc_u32_e32 v24, 3, v30
	s_mov_b32 s6, exec_lo
	s_delay_alu instid0(VALU_DEP_1)
	v_cmpx_gt_u32_e64 s31, v24
	s_cbranch_execz .LBB741_67
; %bb.62:
	v_cmp_ne_u32_e32 vcc_lo, 1, v32
	s_mov_b32 s0, 0
	s_cbranch_vccnz .LBB741_66
; %bb.63:
	v_mul_u64_e32 v[24:25], s[18:19], v[10:11]
	v_mul_u64_e32 v[26:27], s[18:19], v[12:13]
	s_add_nc_u64 s[0:1], s[18:19], -1
	s_mov_b32 s5, 0
                                        ; implicit-def: $sgpr7
	s_delay_alu instid0(VALU_DEP_2) | instskip(NEXT) | instid1(VALU_DEP_2)
	v_lshl_add_u64 v[24:25], v[24:25], 1, s[8:9]
	v_lshl_add_u64 v[26:27], v[26:27], 1, s[8:9]
.LBB741_64:                             ; =>This Inner Loop Header: Depth=1
	global_load_u16 v28, v[24:25], off
	global_load_u16 v29, v[26:27], off
	s_cmp_eq_u64 s[0:1], 0
	s_add_nc_u64 s[24:25], s[0:1], -1
	s_cselect_b32 s1, -1, 0
	s_wait_xcnt 0x1
	v_add_nc_u64_e32 v[24:25], 2, v[24:25]
	s_wait_xcnt 0x0
	v_add_nc_u64_e32 v[26:27], 2, v[26:27]
	s_wait_loadcnt 0x0
	v_cmp_ne_u16_e32 vcc_lo, v28, v29
	v_cmp_eq_u16_e64 s0, v28, v29
	s_or_b32 s1, vcc_lo, s1
	s_delay_alu instid0(SALU_CYCLE_1) | instskip(NEXT) | instid1(SALU_CYCLE_1)
	s_and_b32 s1, exec_lo, s1
	s_or_b32 s5, s1, s5
	s_and_not1_b32 s7, s7, exec_lo
	s_and_b32 s17, s0, exec_lo
	s_mov_b64 s[0:1], s[24:25]
	s_or_b32 s7, s7, s17
	s_and_not1_b32 exec_lo, exec_lo, s5
	s_cbranch_execnz .LBB741_64
; %bb.65:
	s_or_b32 exec_lo, exec_lo, s5
	s_xor_b32 s0, s7, -1
.LBB741_66:
	s_delay_alu instid0(SALU_CYCLE_1)
	s_and_b32 s5, s0, exec_lo
.LBB741_67:
	s_or_b32 exec_lo, exec_lo, s6
	v_add_nc_u32_e32 v24, 2, v30
	s_mov_b32 s6, 0
	s_mov_b32 s7, 0
	s_mov_b32 s17, exec_lo
	s_delay_alu instid0(VALU_DEP_1)
	v_cmpx_gt_u32_e64 s31, v24
	s_cbranch_execz .LBB741_73
; %bb.68:
	v_cmp_ne_u32_e32 vcc_lo, 1, v32
	s_mov_b32 s0, 0
	s_cbranch_vccnz .LBB741_72
; %bb.69:
	v_mul_u64_e32 v[24:25], s[18:19], v[16:17]
	v_mul_u64_e32 v[26:27], s[18:19], v[10:11]
	s_add_nc_u64 s[0:1], s[18:19], -1
                                        ; implicit-def: $sgpr24
	s_delay_alu instid0(VALU_DEP_2) | instskip(NEXT) | instid1(VALU_DEP_2)
	v_lshl_add_u64 v[24:25], v[24:25], 1, s[8:9]
	v_lshl_add_u64 v[26:27], v[26:27], 1, s[8:9]
.LBB741_70:                             ; =>This Inner Loop Header: Depth=1
	global_load_u16 v28, v[24:25], off
	global_load_u16 v29, v[26:27], off
	s_cmp_eq_u64 s[0:1], 0
	s_add_nc_u64 s[26:27], s[0:1], -1
	s_cselect_b32 s1, -1, 0
	s_wait_xcnt 0x1
	v_add_nc_u64_e32 v[24:25], 2, v[24:25]
	s_wait_xcnt 0x0
	v_add_nc_u64_e32 v[26:27], 2, v[26:27]
	s_wait_loadcnt 0x0
	v_cmp_ne_u16_e32 vcc_lo, v28, v29
	v_cmp_eq_u16_e64 s0, v28, v29
	s_or_b32 s1, vcc_lo, s1
	s_delay_alu instid0(SALU_CYCLE_1) | instskip(NEXT) | instid1(SALU_CYCLE_1)
	s_and_b32 s1, exec_lo, s1
	s_or_b32 s7, s1, s7
	s_and_not1_b32 s24, s24, exec_lo
	s_and_b32 s25, s0, exec_lo
	s_mov_b64 s[0:1], s[26:27]
	s_or_b32 s24, s24, s25
	s_and_not1_b32 exec_lo, exec_lo, s7
	s_cbranch_execnz .LBB741_70
; %bb.71:
	s_or_b32 exec_lo, exec_lo, s7
	s_xor_b32 s0, s24, -1
.LBB741_72:
	s_delay_alu instid0(SALU_CYCLE_1)
	s_and_b32 s7, s0, exec_lo
.LBB741_73:
	s_or_b32 exec_lo, exec_lo, s17
	v_add_nc_u32_e32 v24, 1, v30
	s_mov_b32 s17, exec_lo
	s_delay_alu instid0(VALU_DEP_1)
	v_cmpx_gt_u32_e64 s31, v24
	s_cbranch_execz .LBB741_79
; %bb.74:
	v_cmp_ne_u32_e32 vcc_lo, 1, v32
	s_mov_b32 s0, 0
	s_cbranch_vccnz .LBB741_78
; %bb.75:
	v_mul_u64_e32 v[24:25], s[18:19], v[14:15]
	v_mul_u64_e32 v[26:27], s[18:19], v[16:17]
	s_add_nc_u64 s[0:1], s[18:19], -1
	s_mov_b32 s6, 0
                                        ; implicit-def: $sgpr24
	s_delay_alu instid0(VALU_DEP_2) | instskip(NEXT) | instid1(VALU_DEP_2)
	v_lshl_add_u64 v[24:25], v[24:25], 1, s[8:9]
	v_lshl_add_u64 v[26:27], v[26:27], 1, s[8:9]
.LBB741_76:                             ; =>This Inner Loop Header: Depth=1
	global_load_u16 v28, v[24:25], off
	global_load_u16 v29, v[26:27], off
	s_cmp_eq_u64 s[0:1], 0
	s_add_nc_u64 s[26:27], s[0:1], -1
	s_cselect_b32 s1, -1, 0
	s_wait_xcnt 0x1
	v_add_nc_u64_e32 v[24:25], 2, v[24:25]
	s_wait_xcnt 0x0
	v_add_nc_u64_e32 v[26:27], 2, v[26:27]
	s_wait_loadcnt 0x0
	v_cmp_ne_u16_e32 vcc_lo, v28, v29
	v_cmp_eq_u16_e64 s0, v28, v29
	s_or_b32 s1, vcc_lo, s1
	s_delay_alu instid0(SALU_CYCLE_1) | instskip(NEXT) | instid1(SALU_CYCLE_1)
	s_and_b32 s1, exec_lo, s1
	s_or_b32 s6, s1, s6
	s_and_not1_b32 s24, s24, exec_lo
	s_and_b32 s25, s0, exec_lo
	s_mov_b64 s[0:1], s[26:27]
	s_or_b32 s24, s24, s25
	s_and_not1_b32 exec_lo, exec_lo, s6
	s_cbranch_execnz .LBB741_76
; %bb.77:
	s_or_b32 exec_lo, exec_lo, s6
	s_xor_b32 s0, s24, -1
.LBB741_78:
	s_delay_alu instid0(SALU_CYCLE_1)
	s_and_b32 s6, s0, exec_lo
.LBB741_79:
	s_or_b32 exec_lo, exec_lo, s17
	s_wait_loadcnt_dscnt 0x0
	s_barrier_signal -1
	s_barrier_wait -1
	s_and_saveexec_b32 s0, s3
; %bb.80:
	v_add_nc_u32_e32 v22, -8, v33
	ds_load_b64 v[22:23], v22
; %bb.81:
	s_or_b32 exec_lo, exec_lo, s0
	v_cndmask_b32_e64 v24, 0, 1, s5
	v_cndmask_b32_e64 v25, 0, 1, s7
	;; [unrolled: 1-line block ×3, first 2 shown]
	s_mov_b32 s0, 0
	s_mov_b32 s5, exec_lo
	v_lshlrev_b16 v24, 8, v24
	s_delay_alu instid0(VALU_DEP_2) | instskip(NEXT) | instid1(VALU_DEP_2)
	v_lshlrev_b16 v26, 8, v26
	v_or_b32_e32 v24, v25, v24
	s_delay_alu instid0(VALU_DEP_2) | instskip(NEXT) | instid1(VALU_DEP_2)
	v_and_b32_e32 v26, 0xffff, v26
	v_lshlrev_b32_e32 v27, 16, v24
	v_cmpx_gt_u32_e64 s31, v30
	s_cbranch_execz .LBB741_87
; %bb.82:
	v_cmp_ne_u32_e32 vcc_lo, 1, v32
	s_cbranch_vccnz .LBB741_86
; %bb.83:
	s_wait_dscnt 0x0
	v_mul_u64_e32 v[22:23], s[18:19], v[22:23]
	v_mul_u64_e32 v[24:25], s[18:19], v[14:15]
	s_add_nc_u64 s[0:1], s[18:19], -1
	s_mov_b32 s6, 0
                                        ; implicit-def: $sgpr7
	s_delay_alu instid0(VALU_DEP_2) | instskip(NEXT) | instid1(VALU_DEP_2)
	v_lshl_add_u64 v[22:23], v[22:23], 1, s[8:9]
	v_lshl_add_u64 v[24:25], v[24:25], 1, s[8:9]
.LBB741_84:                             ; =>This Inner Loop Header: Depth=1
	global_load_u16 v28, v[22:23], off
	global_load_u16 v29, v[24:25], off
	s_cmp_eq_u64 s[0:1], 0
	s_add_nc_u64 s[24:25], s[0:1], -1
	s_cselect_b32 s1, -1, 0
	s_wait_xcnt 0x1
	v_add_nc_u64_e32 v[22:23], 2, v[22:23]
	s_wait_xcnt 0x0
	v_add_nc_u64_e32 v[24:25], 2, v[24:25]
	s_wait_loadcnt 0x0
	v_cmp_ne_u16_e32 vcc_lo, v28, v29
	v_cmp_eq_u16_e64 s0, v28, v29
	s_or_b32 s1, vcc_lo, s1
	s_delay_alu instid0(SALU_CYCLE_1) | instskip(NEXT) | instid1(SALU_CYCLE_1)
	s_and_b32 s1, exec_lo, s1
	s_or_b32 s6, s1, s6
	s_and_not1_b32 s7, s7, exec_lo
	s_and_b32 s17, s0, exec_lo
	s_mov_b64 s[0:1], s[24:25]
	s_or_b32 s7, s7, s17
	s_and_not1_b32 exec_lo, exec_lo, s6
	s_cbranch_execnz .LBB741_84
; %bb.85:
	s_or_b32 exec_lo, exec_lo, s6
	s_xor_b32 s0, s7, -1
.LBB741_86:
	s_delay_alu instid0(SALU_CYCLE_1)
	s_and_b32 s0, s0, exec_lo
.LBB741_87:
	s_or_b32 exec_lo, exec_lo, s5
	v_cndmask_b32_e64 v34, 0, 1, s4
	v_or_b32_e32 v25, v26, v27
.LBB741_88:
	s_mov_b32 s6, -1
	s_cbranch_execnz .LBB741_45
.LBB741_89:
	s_wait_loadcnt_dscnt 0x0
	v_lshlrev_b32_e32 v22, 5, v0
	v_cmp_gt_i64_e64 s7, s[18:19], 0
	s_and_b32 vcc_lo, exec_lo, s29
	v_sub_nc_u32_e32 v31, v31, v22
	ds_store_b64 v31, v[20:21]
	s_cbranch_vccz .LBB741_100
; %bb.90:
	s_and_not1_b32 vcc_lo, exec_lo, s7
	s_cbranch_vccnz .LBB741_101
; %bb.91:
	v_mul_u64_e32 v[22:23], s[18:19], v[12:13]
	v_mul_u64_e32 v[24:25], s[18:19], v[20:21]
	s_add_nc_u64 s[4:5], s[18:19], -1
	s_mov_b32 s24, 0
	s_mov_b64 s[0:1], s[4:5]
                                        ; implicit-def: $sgpr17
	s_delay_alu instid0(VALU_DEP_2) | instskip(NEXT) | instid1(VALU_DEP_2)
	v_lshl_add_u64 v[22:23], v[22:23], 1, s[8:9]
	v_lshl_add_u64 v[24:25], v[24:25], 1, s[8:9]
	s_delay_alu instid0(VALU_DEP_2)
	v_mov_b64_e32 v[26:27], v[22:23]
.LBB741_92:                             ; =>This Inner Loop Header: Depth=1
	global_load_u16 v28, v[26:27], off
	global_load_u16 v29, v[24:25], off
	s_cmp_eq_u64 s[0:1], 0
	s_add_nc_u64 s[26:27], s[0:1], -1
	s_cselect_b32 s1, -1, 0
	s_wait_xcnt 0x1
	v_add_nc_u64_e32 v[26:27], 2, v[26:27]
	s_wait_xcnt 0x0
	v_add_nc_u64_e32 v[24:25], 2, v[24:25]
	s_wait_loadcnt 0x0
	v_cmp_ne_u16_e32 vcc_lo, v28, v29
	v_cmp_eq_u16_e64 s0, v28, v29
	s_or_b32 s1, vcc_lo, s1
	s_delay_alu instid0(SALU_CYCLE_1) | instskip(NEXT) | instid1(SALU_CYCLE_1)
	s_and_b32 s1, exec_lo, s1
	s_or_b32 s24, s1, s24
	s_and_not1_b32 s17, s17, exec_lo
	s_and_b32 s25, s0, exec_lo
	s_mov_b64 s[0:1], s[26:27]
	s_or_b32 s17, s17, s25
	s_and_not1_b32 exec_lo, exec_lo, s24
	s_cbranch_execnz .LBB741_92
; %bb.93:
	s_or_b32 exec_lo, exec_lo, s24
	v_mul_u64_e32 v[24:25], s[18:19], v[10:11]
	s_mov_b32 s25, 0
	s_mov_b64 s[0:1], s[4:5]
                                        ; implicit-def: $sgpr24
	s_delay_alu instid0(VALU_DEP_1) | instskip(NEXT) | instid1(VALU_DEP_1)
	v_lshl_add_u64 v[24:25], v[24:25], 1, s[8:9]
	v_mov_b64_e32 v[26:27], v[24:25]
.LBB741_94:                             ; =>This Inner Loop Header: Depth=1
	global_load_u16 v28, v[26:27], off
	global_load_u16 v29, v[22:23], off
	s_cmp_eq_u64 s[0:1], 0
	s_add_nc_u64 s[26:27], s[0:1], -1
	s_cselect_b32 s1, -1, 0
	s_wait_xcnt 0x1
	v_add_nc_u64_e32 v[26:27], 2, v[26:27]
	s_wait_xcnt 0x0
	v_add_nc_u64_e32 v[22:23], 2, v[22:23]
	s_wait_loadcnt 0x0
	v_cmp_ne_u16_e32 vcc_lo, v28, v29
	v_cmp_eq_u16_e64 s0, v28, v29
	s_or_b32 s1, vcc_lo, s1
	s_delay_alu instid0(SALU_CYCLE_1) | instskip(NEXT) | instid1(SALU_CYCLE_1)
	s_and_b32 s1, exec_lo, s1
	s_or_b32 s25, s1, s25
	s_and_not1_b32 s24, s24, exec_lo
	s_and_b32 s34, s0, exec_lo
	s_mov_b64 s[0:1], s[26:27]
	s_or_b32 s24, s24, s34
	s_and_not1_b32 exec_lo, exec_lo, s25
	s_cbranch_execnz .LBB741_94
; %bb.95:
	s_or_b32 exec_lo, exec_lo, s25
	v_mul_u64_e32 v[22:23], s[18:19], v[16:17]
	s_mov_b32 s26, 0
	s_mov_b64 s[0:1], s[4:5]
                                        ; implicit-def: $sgpr25
	s_delay_alu instid0(VALU_DEP_1) | instskip(NEXT) | instid1(VALU_DEP_1)
	v_lshl_add_u64 v[22:23], v[22:23], 1, s[8:9]
	v_mov_b64_e32 v[26:27], v[22:23]
.LBB741_96:                             ; =>This Inner Loop Header: Depth=1
	global_load_u16 v28, v[26:27], off
	global_load_u16 v29, v[24:25], off
	s_cmp_eq_u64 s[0:1], 0
	s_add_nc_u64 s[34:35], s[0:1], -1
	s_cselect_b32 s1, -1, 0
	s_wait_xcnt 0x1
	v_add_nc_u64_e32 v[26:27], 2, v[26:27]
	s_wait_xcnt 0x0
	v_add_nc_u64_e32 v[24:25], 2, v[24:25]
	s_wait_loadcnt 0x0
	v_cmp_ne_u16_e32 vcc_lo, v28, v29
	v_cmp_eq_u16_e64 s0, v28, v29
	s_or_b32 s1, vcc_lo, s1
	s_delay_alu instid0(SALU_CYCLE_1) | instskip(NEXT) | instid1(SALU_CYCLE_1)
	s_and_b32 s1, exec_lo, s1
	s_or_b32 s26, s1, s26
	s_and_not1_b32 s25, s25, exec_lo
	s_and_b32 s27, s0, exec_lo
	s_mov_b64 s[0:1], s[34:35]
	s_or_b32 s25, s25, s27
	s_and_not1_b32 exec_lo, exec_lo, s26
	s_cbranch_execnz .LBB741_96
; %bb.97:
	s_or_b32 exec_lo, exec_lo, s26
	v_mul_u64_e32 v[24:25], s[18:19], v[14:15]
	s_mov_b32 s26, 0
                                        ; implicit-def: $sgpr1
	s_delay_alu instid0(VALU_DEP_1)
	v_lshl_add_u64 v[24:25], v[24:25], 1, s[8:9]
.LBB741_98:                             ; =>This Inner Loop Header: Depth=1
	global_load_u16 v26, v[24:25], off
	global_load_u16 v27, v[22:23], off
	s_cmp_eq_u64 s[4:5], 0
	s_add_nc_u64 s[34:35], s[4:5], -1
	s_cselect_b32 s4, -1, 0
	s_wait_xcnt 0x1
	v_add_nc_u64_e32 v[24:25], 2, v[24:25]
	s_wait_xcnt 0x0
	v_add_nc_u64_e32 v[22:23], 2, v[22:23]
	s_wait_loadcnt 0x0
	v_cmp_ne_u16_e32 vcc_lo, v26, v27
	v_cmp_eq_u16_e64 s0, v26, v27
	s_or_b32 s4, vcc_lo, s4
	s_delay_alu instid0(SALU_CYCLE_1) | instskip(NEXT) | instid1(SALU_CYCLE_1)
	s_and_b32 s4, exec_lo, s4
	s_or_b32 s26, s4, s26
	s_and_not1_b32 s1, s1, exec_lo
	s_and_b32 s0, s0, exec_lo
	s_mov_b64 s[4:5], s[34:35]
	s_or_b32 s1, s1, s0
	s_and_not1_b32 exec_lo, exec_lo, s26
	s_cbranch_execnz .LBB741_98
; %bb.99:
	s_or_b32 exec_lo, exec_lo, s26
	s_xor_b32 s0, s24, -1
	s_delay_alu instid0(SALU_CYCLE_1) | instskip(SKIP_1) | instid1(SALU_CYCLE_1)
	v_cndmask_b32_e64 v22, 0, 1, s0
	s_xor_b32 s0, s25, -1
	v_cndmask_b32_e64 v23, 0, 1, s0
	s_xor_b32 s0, s17, -1
	s_delay_alu instid0(VALU_DEP_2) | instskip(SKIP_2) | instid1(VALU_DEP_2)
	v_lshlrev_b16 v22, 8, v22
	v_cndmask_b32_e64 v34, 0, 1, s0
	s_xor_b32 s0, s1, -1
	v_lshrrev_b32_e32 v22, 8, v22
	s_delay_alu instid0(VALU_DEP_1) | instskip(NEXT) | instid1(VALU_DEP_1)
	v_lshlrev_b16 v22, 8, v22
	v_or_b32_e32 v22, v23, v22
	s_delay_alu instid0(VALU_DEP_1)
	v_lshlrev_b32_e32 v22, 16, v22
	s_branch .LBB741_102
.LBB741_100:
                                        ; implicit-def: $sgpr0
                                        ; implicit-def: $vgpr34
                                        ; implicit-def: $vgpr25
                                        ; implicit-def: $vgpr24
                                        ; implicit-def: $vgpr23
                                        ; implicit-def: $vgpr35
                                        ; implicit-def: $vgpr22
	s_cbranch_execnz .LBB741_109
	s_branch .LBB741_142
.LBB741_101:
	v_dual_mov_b32 v22, 0 :: v_dual_mov_b32 v34, 0
	s_mov_b32 s0, 0
.LBB741_102:
	s_delay_alu instid0(VALU_DEP_1)
	v_dual_lshrrev_b32 v35, 16, v22 :: v_dual_lshrrev_b32 v22, 24, v22
	v_cndmask_b32_e64 v23, 0, 1, s0
	v_mov_b32_e32 v24, 1
	s_wait_dscnt 0x0
	s_barrier_signal -1
	s_barrier_wait -1
                                        ; implicit-def: $sgpr0
                                        ; implicit-def: $vgpr25
	s_and_saveexec_b32 s1, s3
	s_delay_alu instid0(SALU_CYCLE_1)
	s_xor_b32 s4, exec_lo, s1
	s_cbranch_execz .LBB741_108
; %bb.103:
	v_lshlrev_b16 v25, 8, v22
	v_lshlrev_b16 v26, 8, v23
	s_and_not1_b32 vcc_lo, exec_lo, s7
	s_mov_b32 s0, 0
	s_delay_alu instid0(VALU_DEP_2) | instskip(NEXT) | instid1(VALU_DEP_1)
	v_bitop3_b16 v25, v35, v25, 0xff bitop3:0xec
	v_dual_lshlrev_b32 v25, 16, v25 :: v_dual_bitop2_b32 v26, 1, v26 bitop3:0x54
	s_delay_alu instid0(VALU_DEP_1) | instskip(NEXT) | instid1(VALU_DEP_1)
	v_and_b32_e32 v26, 0xffff, v26
	v_or_b32_e32 v25, v26, v25
	s_cbranch_vccnz .LBB741_107
; %bb.104:
	v_add_nc_u32_e32 v26, -8, v31
	v_mul_u64_e32 v[28:29], s[18:19], v[14:15]
	s_add_nc_u64 s[0:1], s[18:19], -1
	s_mov_b32 s5, 0
                                        ; implicit-def: $sgpr17
	ds_load_b64 v[26:27], v26
	s_wait_dscnt 0x0
	v_mul_u64_e32 v[26:27], s[18:19], v[26:27]
	v_lshl_add_u64 v[28:29], v[28:29], 1, s[8:9]
	s_delay_alu instid0(VALU_DEP_2)
	v_lshl_add_u64 v[26:27], v[26:27], 1, s[8:9]
.LBB741_105:                            ; =>This Inner Loop Header: Depth=1
	global_load_u16 v32, v[26:27], off
	global_load_u16 v33, v[28:29], off
	s_cmp_eq_u64 s[0:1], 0
	s_add_nc_u64 s[24:25], s[0:1], -1
	s_cselect_b32 s1, -1, 0
	s_wait_xcnt 0x1
	v_add_nc_u64_e32 v[26:27], 2, v[26:27]
	s_wait_xcnt 0x0
	v_add_nc_u64_e32 v[28:29], 2, v[28:29]
	s_wait_loadcnt 0x0
	v_cmp_ne_u16_e32 vcc_lo, v32, v33
	v_cmp_eq_u16_e64 s0, v32, v33
	s_or_b32 s1, vcc_lo, s1
	s_delay_alu instid0(SALU_CYCLE_1) | instskip(NEXT) | instid1(SALU_CYCLE_1)
	s_and_b32 s1, exec_lo, s1
	s_or_b32 s5, s1, s5
	s_and_not1_b32 s17, s17, exec_lo
	s_and_b32 s26, s0, exec_lo
	s_mov_b64 s[0:1], s[24:25]
	s_or_b32 s17, s17, s26
	s_and_not1_b32 exec_lo, exec_lo, s5
	s_cbranch_execnz .LBB741_105
; %bb.106:
	s_or_b32 exec_lo, exec_lo, s5
	s_xor_b32 s0, s17, -1
.LBB741_107:
	s_delay_alu instid0(VALU_DEP_1)
	v_perm_b32 v25, v25, v25, 0x3020104
	s_or_b32 s6, s6, exec_lo
.LBB741_108:
	s_or_b32 exec_lo, exec_lo, s4
	s_branch .LBB741_142
.LBB741_109:
	v_add_nc_u32_e32 v22, 4, v30
	s_mov_b32 s4, 0
	s_mov_b32 s5, 0
	s_mov_b32 s17, exec_lo
	s_delay_alu instid0(VALU_DEP_1)
	v_cmpx_gt_u32_e64 s31, v22
	s_cbranch_execz .LBB741_115
; %bb.110:
	s_and_not1_b32 vcc_lo, exec_lo, s7
	s_mov_b32 s0, 0
	s_cbranch_vccnz .LBB741_114
; %bb.111:
	v_mul_u64_e32 v[22:23], s[18:19], v[12:13]
	v_mul_u64_e32 v[24:25], s[18:19], v[20:21]
	s_add_nc_u64 s[0:1], s[18:19], -1
                                        ; implicit-def: $sgpr24
	s_delay_alu instid0(VALU_DEP_2) | instskip(NEXT) | instid1(VALU_DEP_2)
	v_lshl_add_u64 v[22:23], v[22:23], 1, s[8:9]
	v_lshl_add_u64 v[24:25], v[24:25], 1, s[8:9]
.LBB741_112:                            ; =>This Inner Loop Header: Depth=1
	global_load_u16 v26, v[22:23], off
	global_load_u16 v27, v[24:25], off
	s_cmp_eq_u64 s[0:1], 0
	s_add_nc_u64 s[26:27], s[0:1], -1
	s_cselect_b32 s1, -1, 0
	s_wait_xcnt 0x1
	v_add_nc_u64_e32 v[22:23], 2, v[22:23]
	s_wait_xcnt 0x0
	v_add_nc_u64_e32 v[24:25], 2, v[24:25]
	s_wait_loadcnt 0x0
	v_cmp_ne_u16_e32 vcc_lo, v26, v27
	v_cmp_eq_u16_e64 s0, v26, v27
	s_or_b32 s1, vcc_lo, s1
	s_delay_alu instid0(SALU_CYCLE_1) | instskip(NEXT) | instid1(SALU_CYCLE_1)
	s_and_b32 s1, exec_lo, s1
	s_or_b32 s5, s1, s5
	s_and_not1_b32 s24, s24, exec_lo
	s_and_b32 s25, s0, exec_lo
	s_mov_b64 s[0:1], s[26:27]
	s_or_b32 s24, s24, s25
	s_and_not1_b32 exec_lo, exec_lo, s5
	s_cbranch_execnz .LBB741_112
; %bb.113:
	s_or_b32 exec_lo, exec_lo, s5
	s_xor_b32 s0, s24, -1
.LBB741_114:
	s_delay_alu instid0(SALU_CYCLE_1)
	s_and_b32 s5, s0, exec_lo
.LBB741_115:
	s_or_b32 exec_lo, exec_lo, s17
	v_add_nc_u32_e32 v22, 3, v30
	s_mov_b32 s17, exec_lo
	s_delay_alu instid0(VALU_DEP_1)
	v_cmpx_gt_u32_e64 s31, v22
	s_cbranch_execz .LBB741_121
; %bb.116:
	s_and_not1_b32 vcc_lo, exec_lo, s7
	s_mov_b32 s0, 0
	s_cbranch_vccnz .LBB741_120
; %bb.117:
	v_mul_u64_e32 v[22:23], s[18:19], v[10:11]
	v_mul_u64_e32 v[24:25], s[18:19], v[12:13]
	s_add_nc_u64 s[0:1], s[18:19], -1
	s_mov_b32 s4, 0
                                        ; implicit-def: $sgpr24
	s_delay_alu instid0(VALU_DEP_2) | instskip(NEXT) | instid1(VALU_DEP_2)
	v_lshl_add_u64 v[22:23], v[22:23], 1, s[8:9]
	v_lshl_add_u64 v[24:25], v[24:25], 1, s[8:9]
.LBB741_118:                            ; =>This Inner Loop Header: Depth=1
	global_load_u16 v26, v[22:23], off
	global_load_u16 v27, v[24:25], off
	s_cmp_eq_u64 s[0:1], 0
	s_add_nc_u64 s[26:27], s[0:1], -1
	s_cselect_b32 s1, -1, 0
	s_wait_xcnt 0x1
	v_add_nc_u64_e32 v[22:23], 2, v[22:23]
	s_wait_xcnt 0x0
	v_add_nc_u64_e32 v[24:25], 2, v[24:25]
	s_wait_loadcnt 0x0
	v_cmp_ne_u16_e32 vcc_lo, v26, v27
	v_cmp_eq_u16_e64 s0, v26, v27
	s_or_b32 s1, vcc_lo, s1
	s_delay_alu instid0(SALU_CYCLE_1) | instskip(NEXT) | instid1(SALU_CYCLE_1)
	s_and_b32 s1, exec_lo, s1
	s_or_b32 s4, s1, s4
	s_and_not1_b32 s24, s24, exec_lo
	s_and_b32 s25, s0, exec_lo
	s_mov_b64 s[0:1], s[26:27]
	s_or_b32 s24, s24, s25
	s_and_not1_b32 exec_lo, exec_lo, s4
	s_cbranch_execnz .LBB741_118
; %bb.119:
	s_or_b32 exec_lo, exec_lo, s4
	s_xor_b32 s0, s24, -1
.LBB741_120:
	s_delay_alu instid0(SALU_CYCLE_1)
	s_and_b32 s4, s0, exec_lo
.LBB741_121:
	s_or_b32 exec_lo, exec_lo, s17
	v_add_nc_u32_e32 v22, 2, v30
	s_mov_b32 s17, 0
	s_mov_b32 s24, 0
	s_mov_b32 s25, exec_lo
	s_delay_alu instid0(VALU_DEP_1)
	v_cmpx_gt_u32_e64 s31, v22
	s_cbranch_execz .LBB741_127
; %bb.122:
	s_and_not1_b32 vcc_lo, exec_lo, s7
	s_mov_b32 s0, 0
	s_cbranch_vccnz .LBB741_126
; %bb.123:
	v_mul_u64_e32 v[22:23], s[18:19], v[16:17]
	v_mul_u64_e32 v[24:25], s[18:19], v[10:11]
	s_add_nc_u64 s[0:1], s[18:19], -1
                                        ; implicit-def: $sgpr26
	s_delay_alu instid0(VALU_DEP_2) | instskip(NEXT) | instid1(VALU_DEP_2)
	v_lshl_add_u64 v[22:23], v[22:23], 1, s[8:9]
	v_lshl_add_u64 v[24:25], v[24:25], 1, s[8:9]
.LBB741_124:                            ; =>This Inner Loop Header: Depth=1
	global_load_u16 v26, v[22:23], off
	global_load_u16 v27, v[24:25], off
	s_cmp_eq_u64 s[0:1], 0
	s_add_nc_u64 s[34:35], s[0:1], -1
	s_cselect_b32 s1, -1, 0
	s_wait_xcnt 0x1
	v_add_nc_u64_e32 v[22:23], 2, v[22:23]
	s_wait_xcnt 0x0
	v_add_nc_u64_e32 v[24:25], 2, v[24:25]
	s_wait_loadcnt 0x0
	v_cmp_ne_u16_e32 vcc_lo, v26, v27
	v_cmp_eq_u16_e64 s0, v26, v27
	s_or_b32 s1, vcc_lo, s1
	s_delay_alu instid0(SALU_CYCLE_1) | instskip(NEXT) | instid1(SALU_CYCLE_1)
	s_and_b32 s1, exec_lo, s1
	s_or_b32 s24, s1, s24
	s_and_not1_b32 s26, s26, exec_lo
	s_and_b32 s27, s0, exec_lo
	s_mov_b64 s[0:1], s[34:35]
	s_or_b32 s26, s26, s27
	s_and_not1_b32 exec_lo, exec_lo, s24
	s_cbranch_execnz .LBB741_124
; %bb.125:
	s_or_b32 exec_lo, exec_lo, s24
	s_xor_b32 s0, s26, -1
.LBB741_126:
	s_delay_alu instid0(SALU_CYCLE_1)
	s_and_b32 s24, s0, exec_lo
.LBB741_127:
	s_or_b32 exec_lo, exec_lo, s25
	v_add_nc_u32_e32 v22, 1, v30
	s_mov_b32 s25, exec_lo
	s_delay_alu instid0(VALU_DEP_1)
	v_cmpx_gt_u32_e64 s31, v22
	s_cbranch_execz .LBB741_133
; %bb.128:
	s_and_not1_b32 vcc_lo, exec_lo, s7
	s_mov_b32 s0, 0
	s_cbranch_vccnz .LBB741_132
; %bb.129:
	v_mul_u64_e32 v[22:23], s[18:19], v[14:15]
	v_mul_u64_e32 v[24:25], s[18:19], v[16:17]
	s_add_nc_u64 s[0:1], s[18:19], -1
	s_mov_b32 s17, 0
                                        ; implicit-def: $sgpr26
	s_delay_alu instid0(VALU_DEP_2) | instskip(NEXT) | instid1(VALU_DEP_2)
	v_lshl_add_u64 v[22:23], v[22:23], 1, s[8:9]
	v_lshl_add_u64 v[24:25], v[24:25], 1, s[8:9]
.LBB741_130:                            ; =>This Inner Loop Header: Depth=1
	global_load_u16 v26, v[22:23], off
	global_load_u16 v27, v[24:25], off
	s_cmp_eq_u64 s[0:1], 0
	s_add_nc_u64 s[34:35], s[0:1], -1
	s_cselect_b32 s1, -1, 0
	s_wait_xcnt 0x1
	v_add_nc_u64_e32 v[22:23], 2, v[22:23]
	s_wait_xcnt 0x0
	v_add_nc_u64_e32 v[24:25], 2, v[24:25]
	s_wait_loadcnt 0x0
	v_cmp_ne_u16_e32 vcc_lo, v26, v27
	v_cmp_eq_u16_e64 s0, v26, v27
	s_or_b32 s1, vcc_lo, s1
	s_delay_alu instid0(SALU_CYCLE_1) | instskip(NEXT) | instid1(SALU_CYCLE_1)
	s_and_b32 s1, exec_lo, s1
	s_or_b32 s17, s1, s17
	s_and_not1_b32 s26, s26, exec_lo
	s_and_b32 s27, s0, exec_lo
	s_mov_b64 s[0:1], s[34:35]
	s_or_b32 s26, s26, s27
	s_and_not1_b32 exec_lo, exec_lo, s17
	s_cbranch_execnz .LBB741_130
; %bb.131:
	s_or_b32 exec_lo, exec_lo, s17
	s_xor_b32 s0, s26, -1
.LBB741_132:
	s_delay_alu instid0(SALU_CYCLE_1)
	s_and_b32 s17, s0, exec_lo
.LBB741_133:
	s_or_b32 exec_lo, exec_lo, s25
	v_cndmask_b32_e64 v34, 0, 1, s5
	v_cndmask_b32_e64 v35, 0, 1, s24
	;; [unrolled: 1-line block ×4, first 2 shown]
	v_mov_b32_e32 v24, 1
	s_wait_dscnt 0x0
	s_barrier_signal -1
	s_barrier_wait -1
                                        ; implicit-def: $sgpr0
                                        ; implicit-def: $vgpr25
	s_and_saveexec_b32 s4, s3
	s_cbranch_execz .LBB741_141
; %bb.134:
	v_lshlrev_b16 v25, 8, v23
	v_lshlrev_b16 v26, 8, v22
	s_mov_b32 s0, 0
	s_mov_b32 s3, exec_lo
	s_delay_alu instid0(VALU_DEP_1) | instskip(NEXT) | instid1(VALU_DEP_1)
	v_or_b32_e32 v26, v35, v26
	v_dual_lshlrev_b32 v26, 16, v26 :: v_dual_bitop2_b32 v25, 1, v25 bitop3:0x54
	s_delay_alu instid0(VALU_DEP_1) | instskip(NEXT) | instid1(VALU_DEP_1)
	v_and_b32_e32 v25, 0xffff, v25
	v_or_b32_e32 v25, v25, v26
	v_cmpx_gt_u32_e64 s31, v30
	s_cbranch_execz .LBB741_140
; %bb.135:
	s_and_not1_b32 vcc_lo, exec_lo, s7
	s_cbranch_vccnz .LBB741_139
; %bb.136:
	v_add_nc_u32_e32 v26, -8, v31
	v_mul_u64_e32 v[28:29], s[18:19], v[14:15]
	s_add_nc_u64 s[0:1], s[18:19], -1
	s_mov_b32 s5, 0
                                        ; implicit-def: $sgpr7
	ds_load_b64 v[26:27], v26
	s_wait_dscnt 0x0
	v_mul_u64_e32 v[26:27], s[18:19], v[26:27]
	v_lshl_add_u64 v[28:29], v[28:29], 1, s[8:9]
	s_delay_alu instid0(VALU_DEP_2)
	v_lshl_add_u64 v[26:27], v[26:27], 1, s[8:9]
.LBB741_137:                            ; =>This Inner Loop Header: Depth=1
	global_load_u16 v31, v[26:27], off
	global_load_u16 v32, v[28:29], off
	s_cmp_eq_u64 s[0:1], 0
	s_add_nc_u64 s[8:9], s[0:1], -1
	s_cselect_b32 s1, -1, 0
	s_wait_xcnt 0x1
	v_add_nc_u64_e32 v[26:27], 2, v[26:27]
	s_wait_xcnt 0x0
	v_add_nc_u64_e32 v[28:29], 2, v[28:29]
	s_wait_loadcnt 0x0
	v_cmp_ne_u16_e32 vcc_lo, v31, v32
	v_cmp_eq_u16_e64 s0, v31, v32
	s_or_b32 s1, vcc_lo, s1
	s_delay_alu instid0(SALU_CYCLE_1) | instskip(NEXT) | instid1(SALU_CYCLE_1)
	s_and_b32 s1, exec_lo, s1
	s_or_b32 s5, s1, s5
	s_and_not1_b32 s7, s7, exec_lo
	s_and_b32 s17, s0, exec_lo
	s_mov_b64 s[0:1], s[8:9]
	s_or_b32 s7, s7, s17
	s_and_not1_b32 exec_lo, exec_lo, s5
	s_cbranch_execnz .LBB741_137
; %bb.138:
	s_or_b32 exec_lo, exec_lo, s5
	s_xor_b32 s0, s7, -1
.LBB741_139:
	s_delay_alu instid0(SALU_CYCLE_1)
	s_and_b32 s0, s0, exec_lo
.LBB741_140:
	s_or_b32 exec_lo, exec_lo, s3
	s_delay_alu instid0(VALU_DEP_2)
	v_perm_b32 v25, v25, v25, 0x3020104
	s_or_b32 s6, s6, exec_lo
.LBB741_141:
	s_or_b32 exec_lo, exec_lo, s4
.LBB741_142:
	s_and_saveexec_b32 s1, s6
	s_cbranch_execz .LBB741_144
; %bb.143:
	s_wait_loadcnt_dscnt 0x0
	v_dual_lshrrev_b32 v22, 24, v25 :: v_dual_lshrrev_b32 v35, 16, v25
	v_lshrrev_b32_e32 v23, 8, v25
	v_cndmask_b32_e64 v24, 0, 1, s0
.LBB741_144:
	s_or_b32 exec_lo, exec_lo, s1
	s_delay_alu instid0(SALU_CYCLE_1)
	s_and_not1_b32 vcc_lo, exec_lo, s33
	s_cbranch_vccnz .LBB741_148
; %bb.145:
	s_wait_loadcnt_dscnt 0x0
	v_perm_b32 v23, v24, v23, 0xc0c0004
	v_perm_b32 v22, v35, v22, 0xc0c0004
	v_cmp_gt_u32_e32 vcc_lo, s31, v30
	v_dual_add_nc_u32 v24, 1, v30 :: v_dual_add_nc_u32 v26, 4, v30
	v_and_b32_e32 v34, 0xff, v34
	s_delay_alu instid0(VALU_DEP_4) | instskip(SKIP_1) | instid1(VALU_DEP_2)
	v_lshl_or_b32 v22, v22, 16, v23
	s_mov_b32 s0, exec_lo
	v_and_b32_e32 v25, 0xffff, v34
	s_delay_alu instid0(VALU_DEP_2) | instskip(SKIP_2) | instid1(VALU_DEP_3)
	v_cndmask_b32_e32 v23, 0, v22, vcc_lo
	v_cmp_gt_u32_e32 vcc_lo, s31, v24
	v_add_nc_u32_e32 v24, 2, v30
	v_and_b32_e32 v23, 0xff, v23
	s_delay_alu instid0(VALU_DEP_1) | instskip(NEXT) | instid1(VALU_DEP_3)
	v_cndmask_b32_e32 v23, v23, v22, vcc_lo
	v_cmp_gt_u32_e32 vcc_lo, s31, v24
	v_add_nc_u32_e32 v24, 3, v30
	s_delay_alu instid0(VALU_DEP_3) | instskip(NEXT) | instid1(VALU_DEP_1)
	v_and_b32_e32 v23, 0xffff, v23
	v_cndmask_b32_e32 v23, v23, v22, vcc_lo
	s_delay_alu instid0(VALU_DEP_3) | instskip(NEXT) | instid1(VALU_DEP_2)
	v_cmp_gt_u32_e32 vcc_lo, s31, v24
	v_and_b32_e32 v23, 0xffffff, v23
	s_delay_alu instid0(VALU_DEP_1) | instskip(NEXT) | instid1(VALU_DEP_1)
	v_cndmask_b32_e32 v24, v23, v22, vcc_lo
	v_lshrrev_b64 v[22:23], 24, v[24:25]
	v_dual_lshrrev_b32 v35, 16, v24 :: v_dual_lshrrev_b32 v23, 8, v24
	v_cmpx_le_u32_e64 s31, v26
; %bb.146:
	v_mov_b32_e32 v34, 0
; %bb.147:
	s_or_b32 exec_lo, exec_lo, s0
.LBB741_148:
	s_delay_alu instid0(VALU_DEP_1)
	v_and_b32_e32 v25, 0xff, v24
	s_wait_loadcnt_dscnt 0x0
	v_and_b32_e32 v36, 0xff, v23
	v_and_b32_e32 v37, 0xff, v35
	v_mbcnt_lo_u32_b32 v39, -1, 0
	v_and_b32_e32 v38, 0xff, v22
	v_and_b32_e32 v26, 0xff, v34
	v_lshrrev_b32_e32 v40, 5, v0
	v_add3_u32 v27, v36, v25, v37
	v_and_b32_e32 v28, 15, v39
	s_and_b32 vcc_lo, exec_lo, s16
	s_mov_b32 s7, -1
	s_delay_alu instid0(VALU_DEP_2)
	v_add3_u32 v41, v27, v38, v26
	v_and_b32_e32 v26, 16, v39
	v_or_b32_e32 v27, 31, v0
	v_cmp_eq_u32_e64 s3, 0, v28
	v_cmp_lt_u32_e64 s5, 1, v28
	v_cmp_lt_u32_e64 s6, 3, v28
	;; [unrolled: 1-line block ×3, first 2 shown]
	v_cmp_eq_u32_e64 s1, 0, v26
	v_cmp_eq_u32_e64 s0, v0, v27
	s_barrier_signal -1
	s_barrier_wait -1
                                        ; implicit-def: $vgpr30
                                        ; implicit-def: $vgpr31
                                        ; implicit-def: $vgpr32
                                        ; implicit-def: $vgpr33
                                        ; implicit-def: $vgpr42
                                        ; implicit-def: $vgpr28
                                        ; implicit-def: $vgpr26
	s_cbranch_vccz .LBB741_175
; %bb.149:
	v_mov_b32_dpp v26, v41 row_shr:1 row_mask:0xf bank_mask:0xf
	s_delay_alu instid0(VALU_DEP_1) | instskip(NEXT) | instid1(VALU_DEP_1)
	v_cndmask_b32_e64 v26, v26, 0, s3
	v_add_nc_u32_e32 v26, v26, v41
	s_delay_alu instid0(VALU_DEP_1) | instskip(NEXT) | instid1(VALU_DEP_1)
	v_mov_b32_dpp v27, v26 row_shr:2 row_mask:0xf bank_mask:0xf
	v_cndmask_b32_e64 v27, 0, v27, s5
	s_delay_alu instid0(VALU_DEP_1) | instskip(NEXT) | instid1(VALU_DEP_1)
	v_add_nc_u32_e32 v26, v26, v27
	v_mov_b32_dpp v27, v26 row_shr:4 row_mask:0xf bank_mask:0xf
	s_delay_alu instid0(VALU_DEP_1) | instskip(NEXT) | instid1(VALU_DEP_1)
	v_cndmask_b32_e64 v27, 0, v27, s6
	v_add_nc_u32_e32 v26, v26, v27
	s_delay_alu instid0(VALU_DEP_1) | instskip(NEXT) | instid1(VALU_DEP_1)
	v_mov_b32_dpp v27, v26 row_shr:8 row_mask:0xf bank_mask:0xf
	v_cndmask_b32_e64 v27, 0, v27, s4
	s_delay_alu instid0(VALU_DEP_1) | instskip(SKIP_3) | instid1(VALU_DEP_1)
	v_add_nc_u32_e32 v26, v26, v27
	ds_swizzle_b32 v27, v26 offset:swizzle(BROADCAST,32,15)
	s_wait_dscnt 0x0
	v_cndmask_b32_e64 v27, v27, 0, s1
	v_add_nc_u32_e32 v26, v26, v27
	s_and_saveexec_b32 s7, s0
; %bb.150:
	v_lshlrev_b32_e32 v27, 2, v40
	ds_store_b32 v27, v26
; %bb.151:
	s_or_b32 exec_lo, exec_lo, s7
	s_delay_alu instid0(SALU_CYCLE_1)
	s_mov_b32 s7, exec_lo
	s_wait_dscnt 0x0
	s_barrier_signal -1
	s_barrier_wait -1
	v_cmpx_gt_u32_e32 4, v0
	s_cbranch_execz .LBB741_153
; %bb.152:
	v_dual_lshlrev_b32 v27, 2, v0 :: v_dual_bitop2_b32 v29, 3, v39 bitop3:0x40
	ds_load_b32 v28, v27
	v_cmp_ne_u32_e32 vcc_lo, 0, v29
	s_wait_dscnt 0x0
	v_mov_b32_dpp v30, v28 row_shr:1 row_mask:0xf bank_mask:0xf
	s_delay_alu instid0(VALU_DEP_1) | instskip(SKIP_1) | instid1(VALU_DEP_2)
	v_cndmask_b32_e32 v30, 0, v30, vcc_lo
	v_cmp_lt_u32_e32 vcc_lo, 1, v29
	v_add_nc_u32_e32 v28, v30, v28
	s_delay_alu instid0(VALU_DEP_1) | instskip(NEXT) | instid1(VALU_DEP_1)
	v_mov_b32_dpp v30, v28 row_shr:2 row_mask:0xf bank_mask:0xf
	v_cndmask_b32_e32 v29, 0, v30, vcc_lo
	s_delay_alu instid0(VALU_DEP_1)
	v_add_nc_u32_e32 v28, v28, v29
	ds_store_b32 v27, v28
.LBB741_153:
	s_or_b32 exec_lo, exec_lo, s7
	s_delay_alu instid0(SALU_CYCLE_1)
	s_mov_b32 s8, exec_lo
	v_cmp_gt_u32_e32 vcc_lo, 32, v0
	s_wait_dscnt 0x0
	s_barrier_signal -1
	s_barrier_wait -1
                                        ; implicit-def: $vgpr42
	v_cmpx_lt_u32_e32 31, v0
	s_cbranch_execz .LBB741_155
; %bb.154:
	v_lshl_add_u32 v27, v40, 2, -4
	ds_load_b32 v42, v27
	s_wait_dscnt 0x0
	v_add_nc_u32_e32 v26, v42, v26
.LBB741_155:
	s_or_b32 exec_lo, exec_lo, s8
	v_sub_co_u32 v27, s7, v39, 1
	s_delay_alu instid0(VALU_DEP_1) | instskip(NEXT) | instid1(VALU_DEP_1)
	v_cmp_gt_i32_e64 s8, 0, v27
	v_cndmask_b32_e64 v27, v27, v39, s8
	s_delay_alu instid0(VALU_DEP_1)
	v_lshlrev_b32_e32 v27, 2, v27
	ds_bpermute_b32 v43, v27, v26
	s_and_saveexec_b32 s8, vcc_lo
	s_cbranch_execz .LBB741_174
; %bb.156:
	v_mov_b32_e32 v33, 0
	ds_load_b32 v26, v33 offset:12
	s_and_saveexec_b32 s9, s7
	s_cbranch_execz .LBB741_158
; %bb.157:
	s_add_co_i32 s16, s30, 32
	s_delay_alu instid0(SALU_CYCLE_1)
	v_dual_mov_b32 v27, 1 :: v_dual_mov_b32 v28, s16
	s_wait_dscnt 0x0
	global_store_b64 v28, v[26:27], s[10:11] scale_offset scope:SCOPE_DEV
.LBB741_158:
	s_wait_xcnt 0x0
	s_or_b32 exec_lo, exec_lo, s9
	v_xad_u32 v28, v39, -1, s30
	s_mov_b32 s16, 0
	s_mov_b32 s9, exec_lo
	s_delay_alu instid0(VALU_DEP_1) | instskip(SKIP_4) | instid1(VALU_DEP_1)
	v_add_nc_u32_e32 v32, 32, v28
	global_load_b64 v[30:31], v32, s[10:11] scale_offset scope:SCOPE_DEV
	s_wait_loadcnt 0x0
	v_and_b32_e32 v27, 0xff, v31
	s_wait_xcnt 0x0
	v_cmpx_eq_u16_e32 0, v27
	s_cbranch_execz .LBB741_162
; %bb.159:
	v_lshl_add_u64 v[32:33], v[32:33], 3, s[10:11]
.LBB741_160:                            ; =>This Inner Loop Header: Depth=1
	global_load_b64 v[30:31], v[32:33], off scope:SCOPE_DEV
	s_wait_loadcnt 0x0
	v_and_b32_e32 v27, 0xff, v31
	s_delay_alu instid0(VALU_DEP_1)
	v_cmp_ne_u16_e32 vcc_lo, 0, v27
	s_or_b32 s16, vcc_lo, s16
	s_wait_xcnt 0x0
	s_and_not1_b32 exec_lo, exec_lo, s16
	s_cbranch_execnz .LBB741_160
; %bb.161:
	s_or_b32 exec_lo, exec_lo, s16
.LBB741_162:
	s_delay_alu instid0(SALU_CYCLE_1)
	s_or_b32 exec_lo, exec_lo, s9
	v_cmp_ne_u32_e32 vcc_lo, 31, v39
	v_lshlrev_b32_e64 v45, v39, -1
	v_lshl_or_b32 v52, v39, 2, 64
	v_dual_add_nc_u32 v47, 2, v39 :: v_dual_add_nc_u32 v49, 4, v39
	v_add_co_ci_u32_e64 v27, null, 0, v39, vcc_lo
	v_dual_add_nc_u32 v51, 8, v39 :: v_dual_add_nc_u32 v53, 16, v39
	s_delay_alu instid0(VALU_DEP_2)
	v_lshlrev_b32_e32 v44, 2, v27
	v_and_b32_e32 v27, 0xff, v31
	ds_bpermute_b32 v29, v44, v30
	v_cmp_eq_u16_e32 vcc_lo, 2, v27
	v_and_or_b32 v27, vcc_lo, v45, 0x80000000
	v_cmp_gt_u32_e32 vcc_lo, 30, v39
	s_delay_alu instid0(VALU_DEP_2) | instskip(SKIP_1) | instid1(VALU_DEP_2)
	v_ctz_i32_b32_e32 v27, v27
	v_cndmask_b32_e64 v32, 0, 2, vcc_lo
	v_cmp_lt_u32_e32 vcc_lo, v39, v27
	s_delay_alu instid0(VALU_DEP_2) | instskip(SKIP_3) | instid1(VALU_DEP_2)
	v_add_lshl_u32 v46, v32, v39, 2
	s_wait_dscnt 0x0
	v_cndmask_b32_e32 v29, 0, v29, vcc_lo
	v_cmp_gt_u32_e32 vcc_lo, 28, v39
	v_add_nc_u32_e32 v29, v29, v30
	v_cndmask_b32_e64 v32, 0, 4, vcc_lo
	v_cmp_le_u32_e32 vcc_lo, v47, v27
	ds_bpermute_b32 v30, v46, v29
	v_add_lshl_u32 v48, v32, v39, 2
	s_wait_dscnt 0x0
	v_cndmask_b32_e32 v30, 0, v30, vcc_lo
	v_cmp_gt_u32_e32 vcc_lo, 24, v39
	v_cndmask_b32_e64 v32, 0, 8, vcc_lo
	v_cmp_le_u32_e32 vcc_lo, v49, v27
	s_delay_alu instid0(VALU_DEP_4) | instskip(NEXT) | instid1(VALU_DEP_3)
	v_add_nc_u32_e32 v29, v29, v30
	v_add_lshl_u32 v50, v32, v39, 2
	ds_bpermute_b32 v30, v48, v29
	s_wait_dscnt 0x0
	v_cndmask_b32_e32 v30, 0, v30, vcc_lo
	v_cmp_le_u32_e32 vcc_lo, v51, v27
	s_delay_alu instid0(VALU_DEP_2) | instskip(SKIP_4) | instid1(VALU_DEP_2)
	v_add_nc_u32_e32 v29, v29, v30
	ds_bpermute_b32 v30, v50, v29
	s_wait_dscnt 0x0
	v_cndmask_b32_e32 v30, 0, v30, vcc_lo
	v_cmp_le_u32_e32 vcc_lo, v53, v27
	v_add_nc_u32_e32 v29, v29, v30
	ds_bpermute_b32 v30, v52, v29
	s_wait_dscnt 0x0
	v_cndmask_b32_e32 v27, 0, v30, vcc_lo
	s_delay_alu instid0(VALU_DEP_1)
	v_dual_mov_b32 v29, 0 :: v_dual_add_nc_u32 v30, v29, v27
	s_branch .LBB741_165
.LBB741_163:                            ;   in Loop: Header=BB741_165 Depth=1
	s_or_b32 exec_lo, exec_lo, s9
	v_and_b32_e32 v32, 0xff, v31
	ds_bpermute_b32 v33, v44, v30
	v_subrev_nc_u32_e32 v28, 32, v28
	s_mov_b32 s9, 0
	v_cmp_eq_u16_e32 vcc_lo, 2, v32
	v_and_or_b32 v32, vcc_lo, v45, 0x80000000
	s_delay_alu instid0(VALU_DEP_1) | instskip(NEXT) | instid1(VALU_DEP_1)
	v_ctz_i32_b32_e32 v32, v32
	v_cmp_lt_u32_e32 vcc_lo, v39, v32
	s_wait_dscnt 0x0
	v_cndmask_b32_e32 v33, 0, v33, vcc_lo
	v_cmp_le_u32_e32 vcc_lo, v47, v32
	s_delay_alu instid0(VALU_DEP_2) | instskip(SKIP_4) | instid1(VALU_DEP_2)
	v_add_nc_u32_e32 v30, v33, v30
	ds_bpermute_b32 v33, v46, v30
	s_wait_dscnt 0x0
	v_cndmask_b32_e32 v33, 0, v33, vcc_lo
	v_cmp_le_u32_e32 vcc_lo, v49, v32
	v_add_nc_u32_e32 v30, v30, v33
	ds_bpermute_b32 v33, v48, v30
	s_wait_dscnt 0x0
	v_cndmask_b32_e32 v33, 0, v33, vcc_lo
	v_cmp_le_u32_e32 vcc_lo, v51, v32
	s_delay_alu instid0(VALU_DEP_2) | instskip(SKIP_4) | instid1(VALU_DEP_2)
	v_add_nc_u32_e32 v30, v30, v33
	ds_bpermute_b32 v33, v50, v30
	s_wait_dscnt 0x0
	v_cndmask_b32_e32 v33, 0, v33, vcc_lo
	v_cmp_le_u32_e32 vcc_lo, v53, v32
	v_add_nc_u32_e32 v30, v30, v33
	ds_bpermute_b32 v33, v52, v30
	s_wait_dscnt 0x0
	v_cndmask_b32_e32 v32, 0, v33, vcc_lo
	s_delay_alu instid0(VALU_DEP_1)
	v_add3_u32 v30, v32, v27, v30
.LBB741_164:                            ;   in Loop: Header=BB741_165 Depth=1
	s_and_b32 vcc_lo, exec_lo, s9
	s_cbranch_vccnz .LBB741_170
.LBB741_165:                            ; =>This Loop Header: Depth=1
                                        ;     Child Loop BB741_168 Depth 2
	v_and_b32_e32 v27, 0xff, v31
	s_mov_b32 s9, -1
                                        ; implicit-def: $vgpr31
	s_delay_alu instid0(VALU_DEP_1)
	v_cmp_ne_u16_e32 vcc_lo, 2, v27
	v_mov_b32_e32 v27, v30
                                        ; implicit-def: $vgpr30
	s_cmp_lg_u32 vcc_lo, exec_lo
	s_cbranch_scc1 .LBB741_164
; %bb.166:                              ;   in Loop: Header=BB741_165 Depth=1
	global_load_b64 v[30:31], v28, s[10:11] scale_offset scope:SCOPE_DEV
	s_mov_b32 s9, exec_lo
	s_wait_loadcnt 0x0
	v_and_b32_e32 v32, 0xff, v31
	s_wait_xcnt 0x0
	s_delay_alu instid0(VALU_DEP_1)
	v_cmpx_eq_u16_e32 0, v32
	s_cbranch_execz .LBB741_163
; %bb.167:                              ;   in Loop: Header=BB741_165 Depth=1
	v_lshl_add_u64 v[32:33], v[28:29], 3, s[10:11]
	s_mov_b32 s16, 0
.LBB741_168:                            ;   Parent Loop BB741_165 Depth=1
                                        ; =>  This Inner Loop Header: Depth=2
	global_load_b64 v[30:31], v[32:33], off scope:SCOPE_DEV
	s_wait_loadcnt 0x0
	v_and_b32_e32 v54, 0xff, v31
	s_delay_alu instid0(VALU_DEP_1)
	v_cmp_ne_u16_e32 vcc_lo, 0, v54
	s_or_b32 s16, vcc_lo, s16
	s_wait_xcnt 0x0
	s_and_not1_b32 exec_lo, exec_lo, s16
	s_cbranch_execnz .LBB741_168
; %bb.169:                              ;   in Loop: Header=BB741_165 Depth=1
	s_or_b32 exec_lo, exec_lo, s16
	s_branch .LBB741_163
.LBB741_170:
	s_and_saveexec_b32 s9, s7
	s_cbranch_execz .LBB741_172
; %bb.171:
	s_add_co_i32 s16, s30, 32
	v_dual_mov_b32 v29, 2 :: v_dual_add_nc_u32 v28, v27, v26
	v_dual_mov_b32 v30, s16 :: v_dual_mov_b32 v31, 0
	global_store_b64 v30, v[28:29], s[10:11] scale_offset scope:SCOPE_DEV
	ds_store_b64 v31, v[26:27] offset:5120
.LBB741_172:
	s_wait_xcnt 0x0
	s_or_b32 exec_lo, exec_lo, s9
	s_delay_alu instid0(SALU_CYCLE_1)
	s_and_b32 exec_lo, exec_lo, s2
; %bb.173:
	v_mov_b32_e32 v26, 0
	ds_store_b32 v26, v27 offset:12
.LBB741_174:
	s_or_b32 exec_lo, exec_lo, s8
	s_wait_dscnt 0x0
	v_dual_mov_b32 v26, 0 :: v_dual_cndmask_b32 v28, v43, v42, s7
	s_wait_storecnt 0x0
	s_barrier_signal -1
	s_barrier_wait -1
	ds_load_b32 v27, v26 offset:12
	v_cndmask_b32_e64 v28, v28, 0, s2
	s_wait_dscnt 0x0
	s_barrier_signal -1
	s_barrier_wait -1
	s_mov_b32 s7, 0
	v_add_nc_u32_e32 v42, v27, v28
	ds_load_b64 v[26:27], v26 offset:5120
	v_add_nc_u32_e32 v33, v42, v25
	s_wait_dscnt 0x0
	s_delay_alu instid0(VALU_DEP_1) | instskip(NEXT) | instid1(VALU_DEP_1)
	v_dual_add_nc_u32 v32, v33, v36 :: v_dual_mov_b32 v28, v27
	v_add_nc_u32_e32 v31, v32, v37
	s_delay_alu instid0(VALU_DEP_1)
	v_add_nc_u32_e32 v30, v31, v38
.LBB741_175:
	s_and_b32 vcc_lo, exec_lo, s7
	s_cbranch_vccz .LBB741_185
; %bb.176:
	v_mov_b32_dpp v26, v41 row_shr:1 row_mask:0xf bank_mask:0xf
	s_delay_alu instid0(VALU_DEP_1) | instskip(NEXT) | instid1(VALU_DEP_1)
	v_cndmask_b32_e64 v26, v26, 0, s3
	v_add_nc_u32_e32 v26, v26, v41
	s_delay_alu instid0(VALU_DEP_1) | instskip(NEXT) | instid1(VALU_DEP_1)
	v_mov_b32_dpp v27, v26 row_shr:2 row_mask:0xf bank_mask:0xf
	v_cndmask_b32_e64 v27, 0, v27, s5
	s_delay_alu instid0(VALU_DEP_1) | instskip(NEXT) | instid1(VALU_DEP_1)
	v_add_nc_u32_e32 v26, v26, v27
	v_mov_b32_dpp v27, v26 row_shr:4 row_mask:0xf bank_mask:0xf
	s_delay_alu instid0(VALU_DEP_1) | instskip(NEXT) | instid1(VALU_DEP_1)
	v_cndmask_b32_e64 v27, 0, v27, s6
	v_add_nc_u32_e32 v26, v26, v27
	s_delay_alu instid0(VALU_DEP_1) | instskip(NEXT) | instid1(VALU_DEP_1)
	v_mov_b32_dpp v27, v26 row_shr:8 row_mask:0xf bank_mask:0xf
	v_cndmask_b32_e64 v27, 0, v27, s4
	s_delay_alu instid0(VALU_DEP_1) | instskip(SKIP_3) | instid1(VALU_DEP_1)
	v_add_nc_u32_e32 v26, v26, v27
	ds_swizzle_b32 v27, v26 offset:swizzle(BROADCAST,32,15)
	s_wait_dscnt 0x0
	v_cndmask_b32_e64 v27, v27, 0, s1
	v_add_nc_u32_e32 v26, v26, v27
	s_and_saveexec_b32 s1, s0
; %bb.177:
	v_lshlrev_b32_e32 v27, 2, v40
	ds_store_b32 v27, v26
; %bb.178:
	s_or_b32 exec_lo, exec_lo, s1
	s_delay_alu instid0(SALU_CYCLE_1)
	s_mov_b32 s0, exec_lo
	s_wait_dscnt 0x0
	s_barrier_signal -1
	s_barrier_wait -1
	v_cmpx_gt_u32_e32 4, v0
	s_cbranch_execz .LBB741_180
; %bb.179:
	v_dual_lshlrev_b32 v27, 2, v0 :: v_dual_bitop2_b32 v29, 3, v39 bitop3:0x40
	ds_load_b32 v28, v27
	v_cmp_ne_u32_e32 vcc_lo, 0, v29
	s_wait_dscnt 0x0
	v_mov_b32_dpp v30, v28 row_shr:1 row_mask:0xf bank_mask:0xf
	s_delay_alu instid0(VALU_DEP_1) | instskip(SKIP_1) | instid1(VALU_DEP_2)
	v_cndmask_b32_e32 v30, 0, v30, vcc_lo
	v_cmp_lt_u32_e32 vcc_lo, 1, v29
	v_add_nc_u32_e32 v28, v30, v28
	s_delay_alu instid0(VALU_DEP_1) | instskip(NEXT) | instid1(VALU_DEP_1)
	v_mov_b32_dpp v30, v28 row_shr:2 row_mask:0xf bank_mask:0xf
	v_cndmask_b32_e32 v29, 0, v30, vcc_lo
	s_delay_alu instid0(VALU_DEP_1)
	v_add_nc_u32_e32 v28, v28, v29
	ds_store_b32 v27, v28
.LBB741_180:
	s_or_b32 exec_lo, exec_lo, s0
	v_dual_mov_b32 v27, 0 :: v_dual_mov_b32 v28, 0
	s_mov_b32 s0, exec_lo
	s_wait_dscnt 0x0
	s_barrier_signal -1
	s_barrier_wait -1
	v_cmpx_lt_u32_e32 31, v0
; %bb.181:
	v_lshl_add_u32 v28, v40, 2, -4
	ds_load_b32 v28, v28
; %bb.182:
	s_or_b32 exec_lo, exec_lo, s0
	v_sub_co_u32 v29, vcc_lo, v39, 1
	s_wait_dscnt 0x0
	v_add_nc_u32_e32 v26, v28, v26
	s_delay_alu instid0(VALU_DEP_2) | instskip(NEXT) | instid1(VALU_DEP_1)
	v_cmp_gt_i32_e64 s0, 0, v29
	v_cndmask_b32_e64 v29, v29, v39, s0
	s_delay_alu instid0(VALU_DEP_1)
	v_lshlrev_b32_e32 v29, 2, v29
	ds_bpermute_b32 v29, v29, v26
	ds_load_b32 v26, v27 offset:12
	s_and_saveexec_b32 s0, s2
	s_cbranch_execz .LBB741_184
; %bb.183:
	v_dual_mov_b32 v30, 0 :: v_dual_mov_b32 v27, 2
	s_wait_dscnt 0x0
	global_store_b64 v30, v[26:27], s[10:11] offset:256 scope:SCOPE_DEV
.LBB741_184:
	s_wait_xcnt 0x0
	s_or_b32 exec_lo, exec_lo, s0
	s_wait_dscnt 0x1
	v_cndmask_b32_e32 v27, v29, v28, vcc_lo
	s_wait_storecnt_dscnt 0x0
	s_barrier_signal -1
	s_barrier_wait -1
	s_delay_alu instid0(VALU_DEP_1) | instskip(NEXT) | instid1(VALU_DEP_1)
	v_cndmask_b32_e64 v42, v27, 0, s2
	v_dual_mov_b32 v28, 0 :: v_dual_add_nc_u32 v33, v42, v25
	s_delay_alu instid0(VALU_DEP_1) | instskip(NEXT) | instid1(VALU_DEP_1)
	v_add_nc_u32_e32 v32, v33, v36
	v_add_nc_u32_e32 v31, v32, v37
	s_delay_alu instid0(VALU_DEP_1)
	v_add_nc_u32_e32 v30, v31, v38
.LBB741_185:
	s_delay_alu instid0(VALU_DEP_4)
	v_dual_add_nc_u32 v25, v28, v26 :: v_dual_bitop2_b32 v24, 1, v24 bitop3:0x40
	v_cmp_gt_u32_e64 s0, 0x81, v26
	s_mov_b32 s4, -1
	v_cmp_lt_u32_e64 s1, v42, v25
	v_cmp_eq_u32_e64 s3, 1, v24
	s_and_b32 vcc_lo, exec_lo, s0
	s_cbranch_vccz .LBB741_197
; %bb.186:
	s_or_b32 s1, s29, s1
	s_delay_alu instid0(SALU_CYCLE_1) | instskip(NEXT) | instid1(SALU_CYCLE_1)
	s_and_b32 s3, s1, s3
	s_and_saveexec_b32 s1, s3
	s_cbranch_execz .LBB741_188
; %bb.187:
	s_lshl_b64 s[4:5], s[14:15], 3
	s_delay_alu instid0(SALU_CYCLE_1)
	s_add_nc_u64 s[4:5], s[20:21], s[4:5]
	global_store_b64 v42, v[14:15], s[4:5] scale_offset
.LBB741_188:
	s_wait_xcnt 0x0
	s_or_b32 exec_lo, exec_lo, s1
	v_and_b32_e32 v27, 1, v23
	v_cmp_lt_u32_e32 vcc_lo, v33, v25
	s_delay_alu instid0(VALU_DEP_2) | instskip(SKIP_1) | instid1(SALU_CYCLE_1)
	v_cmp_eq_u32_e64 s1, 1, v27
	s_or_b32 s3, s29, vcc_lo
	s_and_b32 s3, s3, s1
	s_delay_alu instid0(SALU_CYCLE_1)
	s_and_saveexec_b32 s1, s3
	s_cbranch_execz .LBB741_190
; %bb.189:
	s_lshl_b64 s[4:5], s[14:15], 3
	s_delay_alu instid0(SALU_CYCLE_1)
	s_add_nc_u64 s[4:5], s[20:21], s[4:5]
	global_store_b64 v33, v[16:17], s[4:5] scale_offset
.LBB741_190:
	s_wait_xcnt 0x0
	s_or_b32 exec_lo, exec_lo, s1
	v_and_b32_e32 v27, 1, v35
	v_cmp_lt_u32_e32 vcc_lo, v32, v25
	s_delay_alu instid0(VALU_DEP_2) | instskip(SKIP_1) | instid1(SALU_CYCLE_1)
	v_cmp_eq_u32_e64 s1, 1, v27
	s_or_b32 s3, s29, vcc_lo
	s_and_b32 s3, s3, s1
	s_delay_alu instid0(SALU_CYCLE_1)
	;; [unrolled: 17-line block ×4, first 2 shown]
	s_and_saveexec_b32 s1, s3
	s_cbranch_execz .LBB741_196
; %bb.195:
	s_lshl_b64 s[4:5], s[14:15], 3
	s_delay_alu instid0(SALU_CYCLE_1)
	s_add_nc_u64 s[4:5], s[20:21], s[4:5]
	global_store_b64 v30, v[20:21], s[4:5] scale_offset
.LBB741_196:
	s_wait_xcnt 0x0
	s_or_b32 exec_lo, exec_lo, s1
	s_mov_b32 s4, 0
.LBB741_197:
	s_delay_alu instid0(SALU_CYCLE_1)
	s_and_b32 vcc_lo, exec_lo, s4
	s_cbranch_vccz .LBB741_211
; %bb.198:
	s_mov_b32 s1, exec_lo
	v_cmpx_eq_u32_e32 1, v24
; %bb.199:
	v_sub_nc_u32_e32 v27, v42, v28
	s_delay_alu instid0(VALU_DEP_1)
	v_lshlrev_b32_e32 v27, 3, v27
	ds_store_b64 v27, v[14:15]
; %bb.200:
	s_or_b32 exec_lo, exec_lo, s1
	v_and_b32_e32 v14, 1, v23
	s_mov_b32 s1, exec_lo
	s_delay_alu instid0(VALU_DEP_1)
	v_cmpx_eq_u32_e32 1, v14
; %bb.201:
	v_sub_nc_u32_e32 v14, v33, v28
	s_delay_alu instid0(VALU_DEP_1)
	v_lshlrev_b32_e32 v14, 3, v14
	ds_store_b64 v14, v[16:17]
; %bb.202:
	s_or_b32 exec_lo, exec_lo, s1
	v_and_b32_e32 v14, 1, v35
	s_mov_b32 s1, exec_lo
	s_delay_alu instid0(VALU_DEP_1)
	;; [unrolled: 11-line block ×4, first 2 shown]
	v_cmpx_eq_u32_e32 1, v10
; %bb.207:
	v_sub_nc_u32_e32 v10, v30, v28
	s_delay_alu instid0(VALU_DEP_1)
	v_lshlrev_b32_e32 v10, 3, v10
	ds_store_b64 v10, v[20:21]
; %bb.208:
	s_or_b32 exec_lo, exec_lo, s1
	v_dual_mov_b32 v29, 0 :: v_dual_lshlrev_b32 v12, 3, v0
	s_lshl_b64 s[4:5], s[14:15], 3
	v_mov_b32_e32 v13, v0
	s_mov_b32 s1, 0
	s_delay_alu instid0(VALU_DEP_2) | instskip(SKIP_3) | instid1(VALU_DEP_1)
	v_lshlrev_b64_e32 v[10:11], 3, v[28:29]
	s_wait_storecnt_dscnt 0x0
	s_barrier_signal -1
	s_barrier_wait -1
	v_add_nc_u64_e32 v[10:11], s[20:21], v[10:11]
	s_delay_alu instid0(VALU_DEP_1)
	v_add_nc_u64_e32 v[10:11], s[4:5], v[10:11]
.LBB741_209:                            ; =>This Inner Loop Header: Depth=1
	ds_load_b64 v[14:15], v12
	v_readfirstlane_b32 s4, v10
	v_readfirstlane_b32 s5, v11
	v_add_nc_u32_e32 v12, 0x400, v12
	s_wait_dscnt 0x0
	global_store_b64 v13, v[14:15], s[4:5] scale_offset
	s_wait_xcnt 0x0
	v_add_nc_u32_e32 v13, 0x80, v13
	s_delay_alu instid0(VALU_DEP_1) | instskip(SKIP_1) | instid1(SALU_CYCLE_1)
	v_cmp_ge_u32_e32 vcc_lo, v13, v26
	s_or_b32 s1, vcc_lo, s1
	s_and_not1_b32 exec_lo, exec_lo, s1
	s_cbranch_execnz .LBB741_209
; %bb.210:
	s_or_b32 exec_lo, exec_lo, s1
.LBB741_211:
	s_delay_alu instid0(SALU_CYCLE_1)
	s_and_b32 vcc_lo, exec_lo, s0
	s_mov_b32 s0, -1
	s_wait_storecnt 0x0
	s_barrier_signal -1
	s_barrier_wait -1
	s_cbranch_vccnz .LBB741_215
; %bb.212:
	s_and_b32 vcc_lo, exec_lo, s0
	s_cbranch_vccnz .LBB741_226
.LBB741_213:
	s_and_b32 s0, s2, s28
	s_delay_alu instid0(SALU_CYCLE_1)
	s_and_saveexec_b32 s1, s0
	s_cbranch_execnz .LBB741_239
.LBB741_214:
	s_endpgm
.LBB741_215:
	v_cmp_lt_u32_e32 vcc_lo, v42, v25
	v_cmp_eq_u32_e64 s0, 1, v24
	s_or_b32 s1, s29, vcc_lo
	s_delay_alu instid0(SALU_CYCLE_1) | instskip(NEXT) | instid1(SALU_CYCLE_1)
	s_and_b32 s1, s1, s0
	s_and_saveexec_b32 s0, s1
	s_cbranch_execz .LBB741_217
; %bb.216:
	s_lshl_b64 s[4:5], s[14:15], 3
	s_delay_alu instid0(SALU_CYCLE_1)
	s_add_nc_u64 s[4:5], s[22:23], s[4:5]
	global_store_b64 v42, v[6:7], s[4:5] scale_offset
.LBB741_217:
	s_wait_xcnt 0x0
	s_or_b32 exec_lo, exec_lo, s0
	v_and_b32_e32 v10, 1, v23
	v_cmp_lt_u32_e32 vcc_lo, v33, v25
	s_delay_alu instid0(VALU_DEP_2) | instskip(SKIP_1) | instid1(SALU_CYCLE_1)
	v_cmp_eq_u32_e64 s0, 1, v10
	s_or_b32 s1, s29, vcc_lo
	s_and_b32 s1, s1, s0
	s_delay_alu instid0(SALU_CYCLE_1)
	s_and_saveexec_b32 s0, s1
	s_cbranch_execz .LBB741_219
; %bb.218:
	s_lshl_b64 s[4:5], s[14:15], 3
	s_delay_alu instid0(SALU_CYCLE_1)
	s_add_nc_u64 s[4:5], s[22:23], s[4:5]
	global_store_b64 v33, v[8:9], s[4:5] scale_offset
.LBB741_219:
	s_wait_xcnt 0x0
	s_or_b32 exec_lo, exec_lo, s0
	v_and_b32_e32 v10, 1, v35
	v_cmp_lt_u32_e32 vcc_lo, v32, v25
	s_delay_alu instid0(VALU_DEP_2) | instskip(SKIP_1) | instid1(SALU_CYCLE_1)
	v_cmp_eq_u32_e64 s0, 1, v10
	s_or_b32 s1, s29, vcc_lo
	s_and_b32 s1, s1, s0
	s_delay_alu instid0(SALU_CYCLE_1)
	s_and_saveexec_b32 s0, s1
	s_cbranch_execz .LBB741_221
; %bb.220:
	s_lshl_b64 s[4:5], s[14:15], 3
	s_delay_alu instid0(SALU_CYCLE_1)
	s_add_nc_u64 s[4:5], s[22:23], s[4:5]
	global_store_b64 v32, v[2:3], s[4:5] scale_offset
.LBB741_221:
	s_wait_xcnt 0x0
	s_or_b32 exec_lo, exec_lo, s0
	v_and_b32_e32 v10, 1, v22
	v_cmp_lt_u32_e32 vcc_lo, v31, v25
	s_delay_alu instid0(VALU_DEP_2) | instskip(SKIP_1) | instid1(SALU_CYCLE_1)
	v_cmp_eq_u32_e64 s0, 1, v10
	s_or_b32 s1, s29, vcc_lo
	s_and_b32 s1, s1, s0
	s_delay_alu instid0(SALU_CYCLE_1)
	s_and_saveexec_b32 s0, s1
	s_cbranch_execz .LBB741_223
; %bb.222:
	s_lshl_b64 s[4:5], s[14:15], 3
	s_delay_alu instid0(SALU_CYCLE_1)
	s_add_nc_u64 s[4:5], s[22:23], s[4:5]
	global_store_b64 v31, v[4:5], s[4:5] scale_offset
.LBB741_223:
	s_wait_xcnt 0x0
	s_or_b32 exec_lo, exec_lo, s0
	v_and_b32_e32 v10, 1, v34
	v_cmp_lt_u32_e32 vcc_lo, v30, v25
	s_delay_alu instid0(VALU_DEP_2) | instskip(SKIP_1) | instid1(SALU_CYCLE_1)
	v_cmp_eq_u32_e64 s0, 1, v10
	s_or_b32 s1, s29, vcc_lo
	s_and_b32 s1, s1, s0
	s_delay_alu instid0(SALU_CYCLE_1)
	s_and_saveexec_b32 s0, s1
	s_cbranch_execz .LBB741_225
; %bb.224:
	s_lshl_b64 s[4:5], s[14:15], 3
	s_delay_alu instid0(SALU_CYCLE_1)
	s_add_nc_u64 s[4:5], s[22:23], s[4:5]
	global_store_b64 v30, v[18:19], s[4:5] scale_offset
.LBB741_225:
	s_wait_xcnt 0x0
	s_or_b32 exec_lo, exec_lo, s0
	s_branch .LBB741_213
.LBB741_226:
	s_mov_b32 s0, exec_lo
	v_cmpx_eq_u32_e32 1, v24
; %bb.227:
	v_sub_nc_u32_e32 v10, v42, v28
	s_delay_alu instid0(VALU_DEP_1)
	v_lshlrev_b32_e32 v10, 3, v10
	ds_store_b64 v10, v[6:7]
; %bb.228:
	s_or_b32 exec_lo, exec_lo, s0
	v_and_b32_e32 v6, 1, v23
	s_mov_b32 s0, exec_lo
	s_delay_alu instid0(VALU_DEP_1)
	v_cmpx_eq_u32_e32 1, v6
; %bb.229:
	v_sub_nc_u32_e32 v6, v33, v28
	s_delay_alu instid0(VALU_DEP_1)
	v_lshlrev_b32_e32 v6, 3, v6
	ds_store_b64 v6, v[8:9]
; %bb.230:
	s_or_b32 exec_lo, exec_lo, s0
	v_and_b32_e32 v6, 1, v35
	s_mov_b32 s0, exec_lo
	s_delay_alu instid0(VALU_DEP_1)
	;; [unrolled: 11-line block ×4, first 2 shown]
	v_cmpx_eq_u32_e32 1, v2
; %bb.235:
	v_sub_nc_u32_e32 v2, v30, v28
	s_delay_alu instid0(VALU_DEP_1)
	v_lshlrev_b32_e32 v2, 3, v2
	ds_store_b64 v2, v[18:19]
; %bb.236:
	s_or_b32 exec_lo, exec_lo, s0
	v_mov_b32_e32 v29, 0
	s_lshl_b64 s[0:1], s[14:15], 3
	s_wait_storecnt_dscnt 0x0
	s_barrier_signal -1
	s_barrier_wait -1
	v_lshlrev_b64_e32 v[2:3], 3, v[28:29]
	s_delay_alu instid0(VALU_DEP_1) | instskip(NEXT) | instid1(VALU_DEP_1)
	v_add_nc_u64_e32 v[2:3], s[22:23], v[2:3]
	v_add_nc_u64_e32 v[2:3], s[0:1], v[2:3]
	s_mov_b32 s0, 0
.LBB741_237:                            ; =>This Inner Loop Header: Depth=1
	ds_load_b64 v[4:5], v1
	v_readfirstlane_b32 s4, v2
	v_readfirstlane_b32 s5, v3
	v_add_nc_u32_e32 v1, 0x400, v1
	s_wait_dscnt 0x0
	global_store_b64 v0, v[4:5], s[4:5] scale_offset
	s_wait_xcnt 0x0
	v_add_nc_u32_e32 v0, 0x80, v0
	s_delay_alu instid0(VALU_DEP_1) | instskip(SKIP_1) | instid1(SALU_CYCLE_1)
	v_cmp_ge_u32_e32 vcc_lo, v0, v26
	s_or_b32 s0, vcc_lo, s0
	s_and_not1_b32 exec_lo, exec_lo, s0
	s_cbranch_execnz .LBB741_237
; %bb.238:
	s_or_b32 exec_lo, exec_lo, s0
	s_and_b32 s0, s2, s28
	s_delay_alu instid0(SALU_CYCLE_1)
	s_and_saveexec_b32 s1, s0
	s_cbranch_execz .LBB741_214
.LBB741_239:
	v_mov_b32_e32 v27, 0
	s_delay_alu instid0(VALU_DEP_1) | instskip(SKIP_1) | instid1(VALU_DEP_1)
	v_add_nc_u64_e32 v[0:1], s[14:15], v[26:27]
	v_mov_b32_e32 v29, v27
	v_add_nc_u64_e32 v[0:1], v[0:1], v[28:29]
	global_store_b64 v27, v[0:1], s[12:13]
	s_endpgm
	.section	.rodata,"a",@progbits
	.p2align	6, 0x0
	.amdhsa_kernel _ZN7rocprim17ROCPRIM_400000_NS6detail17trampoline_kernelINS0_14default_configENS1_25partition_config_selectorILNS1_17partition_subalgoE9EllbEEZZNS1_14partition_implILS5_9ELb0ES3_jPlS8_PNS0_10empty_typeENS0_5tupleIJS8_S9_EEENSB_IJS8_SA_EEENS0_18inequality_wrapperIZN2at6native12_GLOBAL__N_124unique_dim_cuda_templateIsEESt5tupleIJNSF_6TensorESK_SK_EERKSK_lbbbEUlllE0_EEPmJS9_EEE10hipError_tPvRmT3_T4_T5_T6_T7_T9_mT8_P12ihipStream_tbDpT10_ENKUlT_T0_E_clISt17integral_constantIbLb0EES19_IbLb1EEEEDaS15_S16_EUlS15_E_NS1_11comp_targetILNS1_3genE0ELNS1_11target_archE4294967295ELNS1_3gpuE0ELNS1_3repE0EEENS1_30default_config_static_selectorELNS0_4arch9wavefront6targetE0EEEvT1_
		.amdhsa_group_segment_fixed_size 5128
		.amdhsa_private_segment_fixed_size 0
		.amdhsa_kernarg_size 136
		.amdhsa_user_sgpr_count 2
		.amdhsa_user_sgpr_dispatch_ptr 0
		.amdhsa_user_sgpr_queue_ptr 0
		.amdhsa_user_sgpr_kernarg_segment_ptr 1
		.amdhsa_user_sgpr_dispatch_id 0
		.amdhsa_user_sgpr_kernarg_preload_length 0
		.amdhsa_user_sgpr_kernarg_preload_offset 0
		.amdhsa_user_sgpr_private_segment_size 0
		.amdhsa_wavefront_size32 1
		.amdhsa_uses_dynamic_stack 0
		.amdhsa_enable_private_segment 0
		.amdhsa_system_sgpr_workgroup_id_x 1
		.amdhsa_system_sgpr_workgroup_id_y 0
		.amdhsa_system_sgpr_workgroup_id_z 0
		.amdhsa_system_sgpr_workgroup_info 0
		.amdhsa_system_vgpr_workitem_id 0
		.amdhsa_next_free_vgpr 55
		.amdhsa_next_free_sgpr 36
		.amdhsa_named_barrier_count 0
		.amdhsa_reserve_vcc 1
		.amdhsa_float_round_mode_32 0
		.amdhsa_float_round_mode_16_64 0
		.amdhsa_float_denorm_mode_32 3
		.amdhsa_float_denorm_mode_16_64 3
		.amdhsa_fp16_overflow 0
		.amdhsa_memory_ordered 1
		.amdhsa_forward_progress 1
		.amdhsa_inst_pref_size 75
		.amdhsa_round_robin_scheduling 0
		.amdhsa_exception_fp_ieee_invalid_op 0
		.amdhsa_exception_fp_denorm_src 0
		.amdhsa_exception_fp_ieee_div_zero 0
		.amdhsa_exception_fp_ieee_overflow 0
		.amdhsa_exception_fp_ieee_underflow 0
		.amdhsa_exception_fp_ieee_inexact 0
		.amdhsa_exception_int_div_zero 0
	.end_amdhsa_kernel
	.section	.text._ZN7rocprim17ROCPRIM_400000_NS6detail17trampoline_kernelINS0_14default_configENS1_25partition_config_selectorILNS1_17partition_subalgoE9EllbEEZZNS1_14partition_implILS5_9ELb0ES3_jPlS8_PNS0_10empty_typeENS0_5tupleIJS8_S9_EEENSB_IJS8_SA_EEENS0_18inequality_wrapperIZN2at6native12_GLOBAL__N_124unique_dim_cuda_templateIsEESt5tupleIJNSF_6TensorESK_SK_EERKSK_lbbbEUlllE0_EEPmJS9_EEE10hipError_tPvRmT3_T4_T5_T6_T7_T9_mT8_P12ihipStream_tbDpT10_ENKUlT_T0_E_clISt17integral_constantIbLb0EES19_IbLb1EEEEDaS15_S16_EUlS15_E_NS1_11comp_targetILNS1_3genE0ELNS1_11target_archE4294967295ELNS1_3gpuE0ELNS1_3repE0EEENS1_30default_config_static_selectorELNS0_4arch9wavefront6targetE0EEEvT1_,"axG",@progbits,_ZN7rocprim17ROCPRIM_400000_NS6detail17trampoline_kernelINS0_14default_configENS1_25partition_config_selectorILNS1_17partition_subalgoE9EllbEEZZNS1_14partition_implILS5_9ELb0ES3_jPlS8_PNS0_10empty_typeENS0_5tupleIJS8_S9_EEENSB_IJS8_SA_EEENS0_18inequality_wrapperIZN2at6native12_GLOBAL__N_124unique_dim_cuda_templateIsEESt5tupleIJNSF_6TensorESK_SK_EERKSK_lbbbEUlllE0_EEPmJS9_EEE10hipError_tPvRmT3_T4_T5_T6_T7_T9_mT8_P12ihipStream_tbDpT10_ENKUlT_T0_E_clISt17integral_constantIbLb0EES19_IbLb1EEEEDaS15_S16_EUlS15_E_NS1_11comp_targetILNS1_3genE0ELNS1_11target_archE4294967295ELNS1_3gpuE0ELNS1_3repE0EEENS1_30default_config_static_selectorELNS0_4arch9wavefront6targetE0EEEvT1_,comdat
.Lfunc_end741:
	.size	_ZN7rocprim17ROCPRIM_400000_NS6detail17trampoline_kernelINS0_14default_configENS1_25partition_config_selectorILNS1_17partition_subalgoE9EllbEEZZNS1_14partition_implILS5_9ELb0ES3_jPlS8_PNS0_10empty_typeENS0_5tupleIJS8_S9_EEENSB_IJS8_SA_EEENS0_18inequality_wrapperIZN2at6native12_GLOBAL__N_124unique_dim_cuda_templateIsEESt5tupleIJNSF_6TensorESK_SK_EERKSK_lbbbEUlllE0_EEPmJS9_EEE10hipError_tPvRmT3_T4_T5_T6_T7_T9_mT8_P12ihipStream_tbDpT10_ENKUlT_T0_E_clISt17integral_constantIbLb0EES19_IbLb1EEEEDaS15_S16_EUlS15_E_NS1_11comp_targetILNS1_3genE0ELNS1_11target_archE4294967295ELNS1_3gpuE0ELNS1_3repE0EEENS1_30default_config_static_selectorELNS0_4arch9wavefront6targetE0EEEvT1_, .Lfunc_end741-_ZN7rocprim17ROCPRIM_400000_NS6detail17trampoline_kernelINS0_14default_configENS1_25partition_config_selectorILNS1_17partition_subalgoE9EllbEEZZNS1_14partition_implILS5_9ELb0ES3_jPlS8_PNS0_10empty_typeENS0_5tupleIJS8_S9_EEENSB_IJS8_SA_EEENS0_18inequality_wrapperIZN2at6native12_GLOBAL__N_124unique_dim_cuda_templateIsEESt5tupleIJNSF_6TensorESK_SK_EERKSK_lbbbEUlllE0_EEPmJS9_EEE10hipError_tPvRmT3_T4_T5_T6_T7_T9_mT8_P12ihipStream_tbDpT10_ENKUlT_T0_E_clISt17integral_constantIbLb0EES19_IbLb1EEEEDaS15_S16_EUlS15_E_NS1_11comp_targetILNS1_3genE0ELNS1_11target_archE4294967295ELNS1_3gpuE0ELNS1_3repE0EEENS1_30default_config_static_selectorELNS0_4arch9wavefront6targetE0EEEvT1_
                                        ; -- End function
	.set _ZN7rocprim17ROCPRIM_400000_NS6detail17trampoline_kernelINS0_14default_configENS1_25partition_config_selectorILNS1_17partition_subalgoE9EllbEEZZNS1_14partition_implILS5_9ELb0ES3_jPlS8_PNS0_10empty_typeENS0_5tupleIJS8_S9_EEENSB_IJS8_SA_EEENS0_18inequality_wrapperIZN2at6native12_GLOBAL__N_124unique_dim_cuda_templateIsEESt5tupleIJNSF_6TensorESK_SK_EERKSK_lbbbEUlllE0_EEPmJS9_EEE10hipError_tPvRmT3_T4_T5_T6_T7_T9_mT8_P12ihipStream_tbDpT10_ENKUlT_T0_E_clISt17integral_constantIbLb0EES19_IbLb1EEEEDaS15_S16_EUlS15_E_NS1_11comp_targetILNS1_3genE0ELNS1_11target_archE4294967295ELNS1_3gpuE0ELNS1_3repE0EEENS1_30default_config_static_selectorELNS0_4arch9wavefront6targetE0EEEvT1_.num_vgpr, 55
	.set _ZN7rocprim17ROCPRIM_400000_NS6detail17trampoline_kernelINS0_14default_configENS1_25partition_config_selectorILNS1_17partition_subalgoE9EllbEEZZNS1_14partition_implILS5_9ELb0ES3_jPlS8_PNS0_10empty_typeENS0_5tupleIJS8_S9_EEENSB_IJS8_SA_EEENS0_18inequality_wrapperIZN2at6native12_GLOBAL__N_124unique_dim_cuda_templateIsEESt5tupleIJNSF_6TensorESK_SK_EERKSK_lbbbEUlllE0_EEPmJS9_EEE10hipError_tPvRmT3_T4_T5_T6_T7_T9_mT8_P12ihipStream_tbDpT10_ENKUlT_T0_E_clISt17integral_constantIbLb0EES19_IbLb1EEEEDaS15_S16_EUlS15_E_NS1_11comp_targetILNS1_3genE0ELNS1_11target_archE4294967295ELNS1_3gpuE0ELNS1_3repE0EEENS1_30default_config_static_selectorELNS0_4arch9wavefront6targetE0EEEvT1_.num_agpr, 0
	.set _ZN7rocprim17ROCPRIM_400000_NS6detail17trampoline_kernelINS0_14default_configENS1_25partition_config_selectorILNS1_17partition_subalgoE9EllbEEZZNS1_14partition_implILS5_9ELb0ES3_jPlS8_PNS0_10empty_typeENS0_5tupleIJS8_S9_EEENSB_IJS8_SA_EEENS0_18inequality_wrapperIZN2at6native12_GLOBAL__N_124unique_dim_cuda_templateIsEESt5tupleIJNSF_6TensorESK_SK_EERKSK_lbbbEUlllE0_EEPmJS9_EEE10hipError_tPvRmT3_T4_T5_T6_T7_T9_mT8_P12ihipStream_tbDpT10_ENKUlT_T0_E_clISt17integral_constantIbLb0EES19_IbLb1EEEEDaS15_S16_EUlS15_E_NS1_11comp_targetILNS1_3genE0ELNS1_11target_archE4294967295ELNS1_3gpuE0ELNS1_3repE0EEENS1_30default_config_static_selectorELNS0_4arch9wavefront6targetE0EEEvT1_.numbered_sgpr, 36
	.set _ZN7rocprim17ROCPRIM_400000_NS6detail17trampoline_kernelINS0_14default_configENS1_25partition_config_selectorILNS1_17partition_subalgoE9EllbEEZZNS1_14partition_implILS5_9ELb0ES3_jPlS8_PNS0_10empty_typeENS0_5tupleIJS8_S9_EEENSB_IJS8_SA_EEENS0_18inequality_wrapperIZN2at6native12_GLOBAL__N_124unique_dim_cuda_templateIsEESt5tupleIJNSF_6TensorESK_SK_EERKSK_lbbbEUlllE0_EEPmJS9_EEE10hipError_tPvRmT3_T4_T5_T6_T7_T9_mT8_P12ihipStream_tbDpT10_ENKUlT_T0_E_clISt17integral_constantIbLb0EES19_IbLb1EEEEDaS15_S16_EUlS15_E_NS1_11comp_targetILNS1_3genE0ELNS1_11target_archE4294967295ELNS1_3gpuE0ELNS1_3repE0EEENS1_30default_config_static_selectorELNS0_4arch9wavefront6targetE0EEEvT1_.num_named_barrier, 0
	.set _ZN7rocprim17ROCPRIM_400000_NS6detail17trampoline_kernelINS0_14default_configENS1_25partition_config_selectorILNS1_17partition_subalgoE9EllbEEZZNS1_14partition_implILS5_9ELb0ES3_jPlS8_PNS0_10empty_typeENS0_5tupleIJS8_S9_EEENSB_IJS8_SA_EEENS0_18inequality_wrapperIZN2at6native12_GLOBAL__N_124unique_dim_cuda_templateIsEESt5tupleIJNSF_6TensorESK_SK_EERKSK_lbbbEUlllE0_EEPmJS9_EEE10hipError_tPvRmT3_T4_T5_T6_T7_T9_mT8_P12ihipStream_tbDpT10_ENKUlT_T0_E_clISt17integral_constantIbLb0EES19_IbLb1EEEEDaS15_S16_EUlS15_E_NS1_11comp_targetILNS1_3genE0ELNS1_11target_archE4294967295ELNS1_3gpuE0ELNS1_3repE0EEENS1_30default_config_static_selectorELNS0_4arch9wavefront6targetE0EEEvT1_.private_seg_size, 0
	.set _ZN7rocprim17ROCPRIM_400000_NS6detail17trampoline_kernelINS0_14default_configENS1_25partition_config_selectorILNS1_17partition_subalgoE9EllbEEZZNS1_14partition_implILS5_9ELb0ES3_jPlS8_PNS0_10empty_typeENS0_5tupleIJS8_S9_EEENSB_IJS8_SA_EEENS0_18inequality_wrapperIZN2at6native12_GLOBAL__N_124unique_dim_cuda_templateIsEESt5tupleIJNSF_6TensorESK_SK_EERKSK_lbbbEUlllE0_EEPmJS9_EEE10hipError_tPvRmT3_T4_T5_T6_T7_T9_mT8_P12ihipStream_tbDpT10_ENKUlT_T0_E_clISt17integral_constantIbLb0EES19_IbLb1EEEEDaS15_S16_EUlS15_E_NS1_11comp_targetILNS1_3genE0ELNS1_11target_archE4294967295ELNS1_3gpuE0ELNS1_3repE0EEENS1_30default_config_static_selectorELNS0_4arch9wavefront6targetE0EEEvT1_.uses_vcc, 1
	.set _ZN7rocprim17ROCPRIM_400000_NS6detail17trampoline_kernelINS0_14default_configENS1_25partition_config_selectorILNS1_17partition_subalgoE9EllbEEZZNS1_14partition_implILS5_9ELb0ES3_jPlS8_PNS0_10empty_typeENS0_5tupleIJS8_S9_EEENSB_IJS8_SA_EEENS0_18inequality_wrapperIZN2at6native12_GLOBAL__N_124unique_dim_cuda_templateIsEESt5tupleIJNSF_6TensorESK_SK_EERKSK_lbbbEUlllE0_EEPmJS9_EEE10hipError_tPvRmT3_T4_T5_T6_T7_T9_mT8_P12ihipStream_tbDpT10_ENKUlT_T0_E_clISt17integral_constantIbLb0EES19_IbLb1EEEEDaS15_S16_EUlS15_E_NS1_11comp_targetILNS1_3genE0ELNS1_11target_archE4294967295ELNS1_3gpuE0ELNS1_3repE0EEENS1_30default_config_static_selectorELNS0_4arch9wavefront6targetE0EEEvT1_.uses_flat_scratch, 0
	.set _ZN7rocprim17ROCPRIM_400000_NS6detail17trampoline_kernelINS0_14default_configENS1_25partition_config_selectorILNS1_17partition_subalgoE9EllbEEZZNS1_14partition_implILS5_9ELb0ES3_jPlS8_PNS0_10empty_typeENS0_5tupleIJS8_S9_EEENSB_IJS8_SA_EEENS0_18inequality_wrapperIZN2at6native12_GLOBAL__N_124unique_dim_cuda_templateIsEESt5tupleIJNSF_6TensorESK_SK_EERKSK_lbbbEUlllE0_EEPmJS9_EEE10hipError_tPvRmT3_T4_T5_T6_T7_T9_mT8_P12ihipStream_tbDpT10_ENKUlT_T0_E_clISt17integral_constantIbLb0EES19_IbLb1EEEEDaS15_S16_EUlS15_E_NS1_11comp_targetILNS1_3genE0ELNS1_11target_archE4294967295ELNS1_3gpuE0ELNS1_3repE0EEENS1_30default_config_static_selectorELNS0_4arch9wavefront6targetE0EEEvT1_.has_dyn_sized_stack, 0
	.set _ZN7rocprim17ROCPRIM_400000_NS6detail17trampoline_kernelINS0_14default_configENS1_25partition_config_selectorILNS1_17partition_subalgoE9EllbEEZZNS1_14partition_implILS5_9ELb0ES3_jPlS8_PNS0_10empty_typeENS0_5tupleIJS8_S9_EEENSB_IJS8_SA_EEENS0_18inequality_wrapperIZN2at6native12_GLOBAL__N_124unique_dim_cuda_templateIsEESt5tupleIJNSF_6TensorESK_SK_EERKSK_lbbbEUlllE0_EEPmJS9_EEE10hipError_tPvRmT3_T4_T5_T6_T7_T9_mT8_P12ihipStream_tbDpT10_ENKUlT_T0_E_clISt17integral_constantIbLb0EES19_IbLb1EEEEDaS15_S16_EUlS15_E_NS1_11comp_targetILNS1_3genE0ELNS1_11target_archE4294967295ELNS1_3gpuE0ELNS1_3repE0EEENS1_30default_config_static_selectorELNS0_4arch9wavefront6targetE0EEEvT1_.has_recursion, 0
	.set _ZN7rocprim17ROCPRIM_400000_NS6detail17trampoline_kernelINS0_14default_configENS1_25partition_config_selectorILNS1_17partition_subalgoE9EllbEEZZNS1_14partition_implILS5_9ELb0ES3_jPlS8_PNS0_10empty_typeENS0_5tupleIJS8_S9_EEENSB_IJS8_SA_EEENS0_18inequality_wrapperIZN2at6native12_GLOBAL__N_124unique_dim_cuda_templateIsEESt5tupleIJNSF_6TensorESK_SK_EERKSK_lbbbEUlllE0_EEPmJS9_EEE10hipError_tPvRmT3_T4_T5_T6_T7_T9_mT8_P12ihipStream_tbDpT10_ENKUlT_T0_E_clISt17integral_constantIbLb0EES19_IbLb1EEEEDaS15_S16_EUlS15_E_NS1_11comp_targetILNS1_3genE0ELNS1_11target_archE4294967295ELNS1_3gpuE0ELNS1_3repE0EEENS1_30default_config_static_selectorELNS0_4arch9wavefront6targetE0EEEvT1_.has_indirect_call, 0
	.section	.AMDGPU.csdata,"",@progbits
; Kernel info:
; codeLenInByte = 9540
; TotalNumSgprs: 38
; NumVgprs: 55
; ScratchSize: 0
; MemoryBound: 0
; FloatMode: 240
; IeeeMode: 1
; LDSByteSize: 5128 bytes/workgroup (compile time only)
; SGPRBlocks: 0
; VGPRBlocks: 3
; NumSGPRsForWavesPerEU: 38
; NumVGPRsForWavesPerEU: 55
; NamedBarCnt: 0
; Occupancy: 16
; WaveLimiterHint : 1
; COMPUTE_PGM_RSRC2:SCRATCH_EN: 0
; COMPUTE_PGM_RSRC2:USER_SGPR: 2
; COMPUTE_PGM_RSRC2:TRAP_HANDLER: 0
; COMPUTE_PGM_RSRC2:TGID_X_EN: 1
; COMPUTE_PGM_RSRC2:TGID_Y_EN: 0
; COMPUTE_PGM_RSRC2:TGID_Z_EN: 0
; COMPUTE_PGM_RSRC2:TIDIG_COMP_CNT: 0
	.section	.text._ZN7rocprim17ROCPRIM_400000_NS6detail17trampoline_kernelINS0_14default_configENS1_25partition_config_selectorILNS1_17partition_subalgoE9EllbEEZZNS1_14partition_implILS5_9ELb0ES3_jPlS8_PNS0_10empty_typeENS0_5tupleIJS8_S9_EEENSB_IJS8_SA_EEENS0_18inequality_wrapperIZN2at6native12_GLOBAL__N_124unique_dim_cuda_templateIsEESt5tupleIJNSF_6TensorESK_SK_EERKSK_lbbbEUlllE0_EEPmJS9_EEE10hipError_tPvRmT3_T4_T5_T6_T7_T9_mT8_P12ihipStream_tbDpT10_ENKUlT_T0_E_clISt17integral_constantIbLb0EES19_IbLb1EEEEDaS15_S16_EUlS15_E_NS1_11comp_targetILNS1_3genE5ELNS1_11target_archE942ELNS1_3gpuE9ELNS1_3repE0EEENS1_30default_config_static_selectorELNS0_4arch9wavefront6targetE0EEEvT1_,"axG",@progbits,_ZN7rocprim17ROCPRIM_400000_NS6detail17trampoline_kernelINS0_14default_configENS1_25partition_config_selectorILNS1_17partition_subalgoE9EllbEEZZNS1_14partition_implILS5_9ELb0ES3_jPlS8_PNS0_10empty_typeENS0_5tupleIJS8_S9_EEENSB_IJS8_SA_EEENS0_18inequality_wrapperIZN2at6native12_GLOBAL__N_124unique_dim_cuda_templateIsEESt5tupleIJNSF_6TensorESK_SK_EERKSK_lbbbEUlllE0_EEPmJS9_EEE10hipError_tPvRmT3_T4_T5_T6_T7_T9_mT8_P12ihipStream_tbDpT10_ENKUlT_T0_E_clISt17integral_constantIbLb0EES19_IbLb1EEEEDaS15_S16_EUlS15_E_NS1_11comp_targetILNS1_3genE5ELNS1_11target_archE942ELNS1_3gpuE9ELNS1_3repE0EEENS1_30default_config_static_selectorELNS0_4arch9wavefront6targetE0EEEvT1_,comdat
	.globl	_ZN7rocprim17ROCPRIM_400000_NS6detail17trampoline_kernelINS0_14default_configENS1_25partition_config_selectorILNS1_17partition_subalgoE9EllbEEZZNS1_14partition_implILS5_9ELb0ES3_jPlS8_PNS0_10empty_typeENS0_5tupleIJS8_S9_EEENSB_IJS8_SA_EEENS0_18inequality_wrapperIZN2at6native12_GLOBAL__N_124unique_dim_cuda_templateIsEESt5tupleIJNSF_6TensorESK_SK_EERKSK_lbbbEUlllE0_EEPmJS9_EEE10hipError_tPvRmT3_T4_T5_T6_T7_T9_mT8_P12ihipStream_tbDpT10_ENKUlT_T0_E_clISt17integral_constantIbLb0EES19_IbLb1EEEEDaS15_S16_EUlS15_E_NS1_11comp_targetILNS1_3genE5ELNS1_11target_archE942ELNS1_3gpuE9ELNS1_3repE0EEENS1_30default_config_static_selectorELNS0_4arch9wavefront6targetE0EEEvT1_ ; -- Begin function _ZN7rocprim17ROCPRIM_400000_NS6detail17trampoline_kernelINS0_14default_configENS1_25partition_config_selectorILNS1_17partition_subalgoE9EllbEEZZNS1_14partition_implILS5_9ELb0ES3_jPlS8_PNS0_10empty_typeENS0_5tupleIJS8_S9_EEENSB_IJS8_SA_EEENS0_18inequality_wrapperIZN2at6native12_GLOBAL__N_124unique_dim_cuda_templateIsEESt5tupleIJNSF_6TensorESK_SK_EERKSK_lbbbEUlllE0_EEPmJS9_EEE10hipError_tPvRmT3_T4_T5_T6_T7_T9_mT8_P12ihipStream_tbDpT10_ENKUlT_T0_E_clISt17integral_constantIbLb0EES19_IbLb1EEEEDaS15_S16_EUlS15_E_NS1_11comp_targetILNS1_3genE5ELNS1_11target_archE942ELNS1_3gpuE9ELNS1_3repE0EEENS1_30default_config_static_selectorELNS0_4arch9wavefront6targetE0EEEvT1_
	.p2align	8
	.type	_ZN7rocprim17ROCPRIM_400000_NS6detail17trampoline_kernelINS0_14default_configENS1_25partition_config_selectorILNS1_17partition_subalgoE9EllbEEZZNS1_14partition_implILS5_9ELb0ES3_jPlS8_PNS0_10empty_typeENS0_5tupleIJS8_S9_EEENSB_IJS8_SA_EEENS0_18inequality_wrapperIZN2at6native12_GLOBAL__N_124unique_dim_cuda_templateIsEESt5tupleIJNSF_6TensorESK_SK_EERKSK_lbbbEUlllE0_EEPmJS9_EEE10hipError_tPvRmT3_T4_T5_T6_T7_T9_mT8_P12ihipStream_tbDpT10_ENKUlT_T0_E_clISt17integral_constantIbLb0EES19_IbLb1EEEEDaS15_S16_EUlS15_E_NS1_11comp_targetILNS1_3genE5ELNS1_11target_archE942ELNS1_3gpuE9ELNS1_3repE0EEENS1_30default_config_static_selectorELNS0_4arch9wavefront6targetE0EEEvT1_,@function
_ZN7rocprim17ROCPRIM_400000_NS6detail17trampoline_kernelINS0_14default_configENS1_25partition_config_selectorILNS1_17partition_subalgoE9EllbEEZZNS1_14partition_implILS5_9ELb0ES3_jPlS8_PNS0_10empty_typeENS0_5tupleIJS8_S9_EEENSB_IJS8_SA_EEENS0_18inequality_wrapperIZN2at6native12_GLOBAL__N_124unique_dim_cuda_templateIsEESt5tupleIJNSF_6TensorESK_SK_EERKSK_lbbbEUlllE0_EEPmJS9_EEE10hipError_tPvRmT3_T4_T5_T6_T7_T9_mT8_P12ihipStream_tbDpT10_ENKUlT_T0_E_clISt17integral_constantIbLb0EES19_IbLb1EEEEDaS15_S16_EUlS15_E_NS1_11comp_targetILNS1_3genE5ELNS1_11target_archE942ELNS1_3gpuE9ELNS1_3repE0EEENS1_30default_config_static_selectorELNS0_4arch9wavefront6targetE0EEEvT1_: ; @_ZN7rocprim17ROCPRIM_400000_NS6detail17trampoline_kernelINS0_14default_configENS1_25partition_config_selectorILNS1_17partition_subalgoE9EllbEEZZNS1_14partition_implILS5_9ELb0ES3_jPlS8_PNS0_10empty_typeENS0_5tupleIJS8_S9_EEENSB_IJS8_SA_EEENS0_18inequality_wrapperIZN2at6native12_GLOBAL__N_124unique_dim_cuda_templateIsEESt5tupleIJNSF_6TensorESK_SK_EERKSK_lbbbEUlllE0_EEPmJS9_EEE10hipError_tPvRmT3_T4_T5_T6_T7_T9_mT8_P12ihipStream_tbDpT10_ENKUlT_T0_E_clISt17integral_constantIbLb0EES19_IbLb1EEEEDaS15_S16_EUlS15_E_NS1_11comp_targetILNS1_3genE5ELNS1_11target_archE942ELNS1_3gpuE9ELNS1_3repE0EEENS1_30default_config_static_selectorELNS0_4arch9wavefront6targetE0EEEvT1_
; %bb.0:
	.section	.rodata,"a",@progbits
	.p2align	6, 0x0
	.amdhsa_kernel _ZN7rocprim17ROCPRIM_400000_NS6detail17trampoline_kernelINS0_14default_configENS1_25partition_config_selectorILNS1_17partition_subalgoE9EllbEEZZNS1_14partition_implILS5_9ELb0ES3_jPlS8_PNS0_10empty_typeENS0_5tupleIJS8_S9_EEENSB_IJS8_SA_EEENS0_18inequality_wrapperIZN2at6native12_GLOBAL__N_124unique_dim_cuda_templateIsEESt5tupleIJNSF_6TensorESK_SK_EERKSK_lbbbEUlllE0_EEPmJS9_EEE10hipError_tPvRmT3_T4_T5_T6_T7_T9_mT8_P12ihipStream_tbDpT10_ENKUlT_T0_E_clISt17integral_constantIbLb0EES19_IbLb1EEEEDaS15_S16_EUlS15_E_NS1_11comp_targetILNS1_3genE5ELNS1_11target_archE942ELNS1_3gpuE9ELNS1_3repE0EEENS1_30default_config_static_selectorELNS0_4arch9wavefront6targetE0EEEvT1_
		.amdhsa_group_segment_fixed_size 0
		.amdhsa_private_segment_fixed_size 0
		.amdhsa_kernarg_size 136
		.amdhsa_user_sgpr_count 2
		.amdhsa_user_sgpr_dispatch_ptr 0
		.amdhsa_user_sgpr_queue_ptr 0
		.amdhsa_user_sgpr_kernarg_segment_ptr 1
		.amdhsa_user_sgpr_dispatch_id 0
		.amdhsa_user_sgpr_kernarg_preload_length 0
		.amdhsa_user_sgpr_kernarg_preload_offset 0
		.amdhsa_user_sgpr_private_segment_size 0
		.amdhsa_wavefront_size32 1
		.amdhsa_uses_dynamic_stack 0
		.amdhsa_enable_private_segment 0
		.amdhsa_system_sgpr_workgroup_id_x 1
		.amdhsa_system_sgpr_workgroup_id_y 0
		.amdhsa_system_sgpr_workgroup_id_z 0
		.amdhsa_system_sgpr_workgroup_info 0
		.amdhsa_system_vgpr_workitem_id 0
		.amdhsa_next_free_vgpr 1
		.amdhsa_next_free_sgpr 1
		.amdhsa_named_barrier_count 0
		.amdhsa_reserve_vcc 0
		.amdhsa_float_round_mode_32 0
		.amdhsa_float_round_mode_16_64 0
		.amdhsa_float_denorm_mode_32 3
		.amdhsa_float_denorm_mode_16_64 3
		.amdhsa_fp16_overflow 0
		.amdhsa_memory_ordered 1
		.amdhsa_forward_progress 1
		.amdhsa_inst_pref_size 0
		.amdhsa_round_robin_scheduling 0
		.amdhsa_exception_fp_ieee_invalid_op 0
		.amdhsa_exception_fp_denorm_src 0
		.amdhsa_exception_fp_ieee_div_zero 0
		.amdhsa_exception_fp_ieee_overflow 0
		.amdhsa_exception_fp_ieee_underflow 0
		.amdhsa_exception_fp_ieee_inexact 0
		.amdhsa_exception_int_div_zero 0
	.end_amdhsa_kernel
	.section	.text._ZN7rocprim17ROCPRIM_400000_NS6detail17trampoline_kernelINS0_14default_configENS1_25partition_config_selectorILNS1_17partition_subalgoE9EllbEEZZNS1_14partition_implILS5_9ELb0ES3_jPlS8_PNS0_10empty_typeENS0_5tupleIJS8_S9_EEENSB_IJS8_SA_EEENS0_18inequality_wrapperIZN2at6native12_GLOBAL__N_124unique_dim_cuda_templateIsEESt5tupleIJNSF_6TensorESK_SK_EERKSK_lbbbEUlllE0_EEPmJS9_EEE10hipError_tPvRmT3_T4_T5_T6_T7_T9_mT8_P12ihipStream_tbDpT10_ENKUlT_T0_E_clISt17integral_constantIbLb0EES19_IbLb1EEEEDaS15_S16_EUlS15_E_NS1_11comp_targetILNS1_3genE5ELNS1_11target_archE942ELNS1_3gpuE9ELNS1_3repE0EEENS1_30default_config_static_selectorELNS0_4arch9wavefront6targetE0EEEvT1_,"axG",@progbits,_ZN7rocprim17ROCPRIM_400000_NS6detail17trampoline_kernelINS0_14default_configENS1_25partition_config_selectorILNS1_17partition_subalgoE9EllbEEZZNS1_14partition_implILS5_9ELb0ES3_jPlS8_PNS0_10empty_typeENS0_5tupleIJS8_S9_EEENSB_IJS8_SA_EEENS0_18inequality_wrapperIZN2at6native12_GLOBAL__N_124unique_dim_cuda_templateIsEESt5tupleIJNSF_6TensorESK_SK_EERKSK_lbbbEUlllE0_EEPmJS9_EEE10hipError_tPvRmT3_T4_T5_T6_T7_T9_mT8_P12ihipStream_tbDpT10_ENKUlT_T0_E_clISt17integral_constantIbLb0EES19_IbLb1EEEEDaS15_S16_EUlS15_E_NS1_11comp_targetILNS1_3genE5ELNS1_11target_archE942ELNS1_3gpuE9ELNS1_3repE0EEENS1_30default_config_static_selectorELNS0_4arch9wavefront6targetE0EEEvT1_,comdat
.Lfunc_end742:
	.size	_ZN7rocprim17ROCPRIM_400000_NS6detail17trampoline_kernelINS0_14default_configENS1_25partition_config_selectorILNS1_17partition_subalgoE9EllbEEZZNS1_14partition_implILS5_9ELb0ES3_jPlS8_PNS0_10empty_typeENS0_5tupleIJS8_S9_EEENSB_IJS8_SA_EEENS0_18inequality_wrapperIZN2at6native12_GLOBAL__N_124unique_dim_cuda_templateIsEESt5tupleIJNSF_6TensorESK_SK_EERKSK_lbbbEUlllE0_EEPmJS9_EEE10hipError_tPvRmT3_T4_T5_T6_T7_T9_mT8_P12ihipStream_tbDpT10_ENKUlT_T0_E_clISt17integral_constantIbLb0EES19_IbLb1EEEEDaS15_S16_EUlS15_E_NS1_11comp_targetILNS1_3genE5ELNS1_11target_archE942ELNS1_3gpuE9ELNS1_3repE0EEENS1_30default_config_static_selectorELNS0_4arch9wavefront6targetE0EEEvT1_, .Lfunc_end742-_ZN7rocprim17ROCPRIM_400000_NS6detail17trampoline_kernelINS0_14default_configENS1_25partition_config_selectorILNS1_17partition_subalgoE9EllbEEZZNS1_14partition_implILS5_9ELb0ES3_jPlS8_PNS0_10empty_typeENS0_5tupleIJS8_S9_EEENSB_IJS8_SA_EEENS0_18inequality_wrapperIZN2at6native12_GLOBAL__N_124unique_dim_cuda_templateIsEESt5tupleIJNSF_6TensorESK_SK_EERKSK_lbbbEUlllE0_EEPmJS9_EEE10hipError_tPvRmT3_T4_T5_T6_T7_T9_mT8_P12ihipStream_tbDpT10_ENKUlT_T0_E_clISt17integral_constantIbLb0EES19_IbLb1EEEEDaS15_S16_EUlS15_E_NS1_11comp_targetILNS1_3genE5ELNS1_11target_archE942ELNS1_3gpuE9ELNS1_3repE0EEENS1_30default_config_static_selectorELNS0_4arch9wavefront6targetE0EEEvT1_
                                        ; -- End function
	.set _ZN7rocprim17ROCPRIM_400000_NS6detail17trampoline_kernelINS0_14default_configENS1_25partition_config_selectorILNS1_17partition_subalgoE9EllbEEZZNS1_14partition_implILS5_9ELb0ES3_jPlS8_PNS0_10empty_typeENS0_5tupleIJS8_S9_EEENSB_IJS8_SA_EEENS0_18inequality_wrapperIZN2at6native12_GLOBAL__N_124unique_dim_cuda_templateIsEESt5tupleIJNSF_6TensorESK_SK_EERKSK_lbbbEUlllE0_EEPmJS9_EEE10hipError_tPvRmT3_T4_T5_T6_T7_T9_mT8_P12ihipStream_tbDpT10_ENKUlT_T0_E_clISt17integral_constantIbLb0EES19_IbLb1EEEEDaS15_S16_EUlS15_E_NS1_11comp_targetILNS1_3genE5ELNS1_11target_archE942ELNS1_3gpuE9ELNS1_3repE0EEENS1_30default_config_static_selectorELNS0_4arch9wavefront6targetE0EEEvT1_.num_vgpr, 0
	.set _ZN7rocprim17ROCPRIM_400000_NS6detail17trampoline_kernelINS0_14default_configENS1_25partition_config_selectorILNS1_17partition_subalgoE9EllbEEZZNS1_14partition_implILS5_9ELb0ES3_jPlS8_PNS0_10empty_typeENS0_5tupleIJS8_S9_EEENSB_IJS8_SA_EEENS0_18inequality_wrapperIZN2at6native12_GLOBAL__N_124unique_dim_cuda_templateIsEESt5tupleIJNSF_6TensorESK_SK_EERKSK_lbbbEUlllE0_EEPmJS9_EEE10hipError_tPvRmT3_T4_T5_T6_T7_T9_mT8_P12ihipStream_tbDpT10_ENKUlT_T0_E_clISt17integral_constantIbLb0EES19_IbLb1EEEEDaS15_S16_EUlS15_E_NS1_11comp_targetILNS1_3genE5ELNS1_11target_archE942ELNS1_3gpuE9ELNS1_3repE0EEENS1_30default_config_static_selectorELNS0_4arch9wavefront6targetE0EEEvT1_.num_agpr, 0
	.set _ZN7rocprim17ROCPRIM_400000_NS6detail17trampoline_kernelINS0_14default_configENS1_25partition_config_selectorILNS1_17partition_subalgoE9EllbEEZZNS1_14partition_implILS5_9ELb0ES3_jPlS8_PNS0_10empty_typeENS0_5tupleIJS8_S9_EEENSB_IJS8_SA_EEENS0_18inequality_wrapperIZN2at6native12_GLOBAL__N_124unique_dim_cuda_templateIsEESt5tupleIJNSF_6TensorESK_SK_EERKSK_lbbbEUlllE0_EEPmJS9_EEE10hipError_tPvRmT3_T4_T5_T6_T7_T9_mT8_P12ihipStream_tbDpT10_ENKUlT_T0_E_clISt17integral_constantIbLb0EES19_IbLb1EEEEDaS15_S16_EUlS15_E_NS1_11comp_targetILNS1_3genE5ELNS1_11target_archE942ELNS1_3gpuE9ELNS1_3repE0EEENS1_30default_config_static_selectorELNS0_4arch9wavefront6targetE0EEEvT1_.numbered_sgpr, 0
	.set _ZN7rocprim17ROCPRIM_400000_NS6detail17trampoline_kernelINS0_14default_configENS1_25partition_config_selectorILNS1_17partition_subalgoE9EllbEEZZNS1_14partition_implILS5_9ELb0ES3_jPlS8_PNS0_10empty_typeENS0_5tupleIJS8_S9_EEENSB_IJS8_SA_EEENS0_18inequality_wrapperIZN2at6native12_GLOBAL__N_124unique_dim_cuda_templateIsEESt5tupleIJNSF_6TensorESK_SK_EERKSK_lbbbEUlllE0_EEPmJS9_EEE10hipError_tPvRmT3_T4_T5_T6_T7_T9_mT8_P12ihipStream_tbDpT10_ENKUlT_T0_E_clISt17integral_constantIbLb0EES19_IbLb1EEEEDaS15_S16_EUlS15_E_NS1_11comp_targetILNS1_3genE5ELNS1_11target_archE942ELNS1_3gpuE9ELNS1_3repE0EEENS1_30default_config_static_selectorELNS0_4arch9wavefront6targetE0EEEvT1_.num_named_barrier, 0
	.set _ZN7rocprim17ROCPRIM_400000_NS6detail17trampoline_kernelINS0_14default_configENS1_25partition_config_selectorILNS1_17partition_subalgoE9EllbEEZZNS1_14partition_implILS5_9ELb0ES3_jPlS8_PNS0_10empty_typeENS0_5tupleIJS8_S9_EEENSB_IJS8_SA_EEENS0_18inequality_wrapperIZN2at6native12_GLOBAL__N_124unique_dim_cuda_templateIsEESt5tupleIJNSF_6TensorESK_SK_EERKSK_lbbbEUlllE0_EEPmJS9_EEE10hipError_tPvRmT3_T4_T5_T6_T7_T9_mT8_P12ihipStream_tbDpT10_ENKUlT_T0_E_clISt17integral_constantIbLb0EES19_IbLb1EEEEDaS15_S16_EUlS15_E_NS1_11comp_targetILNS1_3genE5ELNS1_11target_archE942ELNS1_3gpuE9ELNS1_3repE0EEENS1_30default_config_static_selectorELNS0_4arch9wavefront6targetE0EEEvT1_.private_seg_size, 0
	.set _ZN7rocprim17ROCPRIM_400000_NS6detail17trampoline_kernelINS0_14default_configENS1_25partition_config_selectorILNS1_17partition_subalgoE9EllbEEZZNS1_14partition_implILS5_9ELb0ES3_jPlS8_PNS0_10empty_typeENS0_5tupleIJS8_S9_EEENSB_IJS8_SA_EEENS0_18inequality_wrapperIZN2at6native12_GLOBAL__N_124unique_dim_cuda_templateIsEESt5tupleIJNSF_6TensorESK_SK_EERKSK_lbbbEUlllE0_EEPmJS9_EEE10hipError_tPvRmT3_T4_T5_T6_T7_T9_mT8_P12ihipStream_tbDpT10_ENKUlT_T0_E_clISt17integral_constantIbLb0EES19_IbLb1EEEEDaS15_S16_EUlS15_E_NS1_11comp_targetILNS1_3genE5ELNS1_11target_archE942ELNS1_3gpuE9ELNS1_3repE0EEENS1_30default_config_static_selectorELNS0_4arch9wavefront6targetE0EEEvT1_.uses_vcc, 0
	.set _ZN7rocprim17ROCPRIM_400000_NS6detail17trampoline_kernelINS0_14default_configENS1_25partition_config_selectorILNS1_17partition_subalgoE9EllbEEZZNS1_14partition_implILS5_9ELb0ES3_jPlS8_PNS0_10empty_typeENS0_5tupleIJS8_S9_EEENSB_IJS8_SA_EEENS0_18inequality_wrapperIZN2at6native12_GLOBAL__N_124unique_dim_cuda_templateIsEESt5tupleIJNSF_6TensorESK_SK_EERKSK_lbbbEUlllE0_EEPmJS9_EEE10hipError_tPvRmT3_T4_T5_T6_T7_T9_mT8_P12ihipStream_tbDpT10_ENKUlT_T0_E_clISt17integral_constantIbLb0EES19_IbLb1EEEEDaS15_S16_EUlS15_E_NS1_11comp_targetILNS1_3genE5ELNS1_11target_archE942ELNS1_3gpuE9ELNS1_3repE0EEENS1_30default_config_static_selectorELNS0_4arch9wavefront6targetE0EEEvT1_.uses_flat_scratch, 0
	.set _ZN7rocprim17ROCPRIM_400000_NS6detail17trampoline_kernelINS0_14default_configENS1_25partition_config_selectorILNS1_17partition_subalgoE9EllbEEZZNS1_14partition_implILS5_9ELb0ES3_jPlS8_PNS0_10empty_typeENS0_5tupleIJS8_S9_EEENSB_IJS8_SA_EEENS0_18inequality_wrapperIZN2at6native12_GLOBAL__N_124unique_dim_cuda_templateIsEESt5tupleIJNSF_6TensorESK_SK_EERKSK_lbbbEUlllE0_EEPmJS9_EEE10hipError_tPvRmT3_T4_T5_T6_T7_T9_mT8_P12ihipStream_tbDpT10_ENKUlT_T0_E_clISt17integral_constantIbLb0EES19_IbLb1EEEEDaS15_S16_EUlS15_E_NS1_11comp_targetILNS1_3genE5ELNS1_11target_archE942ELNS1_3gpuE9ELNS1_3repE0EEENS1_30default_config_static_selectorELNS0_4arch9wavefront6targetE0EEEvT1_.has_dyn_sized_stack, 0
	.set _ZN7rocprim17ROCPRIM_400000_NS6detail17trampoline_kernelINS0_14default_configENS1_25partition_config_selectorILNS1_17partition_subalgoE9EllbEEZZNS1_14partition_implILS5_9ELb0ES3_jPlS8_PNS0_10empty_typeENS0_5tupleIJS8_S9_EEENSB_IJS8_SA_EEENS0_18inequality_wrapperIZN2at6native12_GLOBAL__N_124unique_dim_cuda_templateIsEESt5tupleIJNSF_6TensorESK_SK_EERKSK_lbbbEUlllE0_EEPmJS9_EEE10hipError_tPvRmT3_T4_T5_T6_T7_T9_mT8_P12ihipStream_tbDpT10_ENKUlT_T0_E_clISt17integral_constantIbLb0EES19_IbLb1EEEEDaS15_S16_EUlS15_E_NS1_11comp_targetILNS1_3genE5ELNS1_11target_archE942ELNS1_3gpuE9ELNS1_3repE0EEENS1_30default_config_static_selectorELNS0_4arch9wavefront6targetE0EEEvT1_.has_recursion, 0
	.set _ZN7rocprim17ROCPRIM_400000_NS6detail17trampoline_kernelINS0_14default_configENS1_25partition_config_selectorILNS1_17partition_subalgoE9EllbEEZZNS1_14partition_implILS5_9ELb0ES3_jPlS8_PNS0_10empty_typeENS0_5tupleIJS8_S9_EEENSB_IJS8_SA_EEENS0_18inequality_wrapperIZN2at6native12_GLOBAL__N_124unique_dim_cuda_templateIsEESt5tupleIJNSF_6TensorESK_SK_EERKSK_lbbbEUlllE0_EEPmJS9_EEE10hipError_tPvRmT3_T4_T5_T6_T7_T9_mT8_P12ihipStream_tbDpT10_ENKUlT_T0_E_clISt17integral_constantIbLb0EES19_IbLb1EEEEDaS15_S16_EUlS15_E_NS1_11comp_targetILNS1_3genE5ELNS1_11target_archE942ELNS1_3gpuE9ELNS1_3repE0EEENS1_30default_config_static_selectorELNS0_4arch9wavefront6targetE0EEEvT1_.has_indirect_call, 0
	.section	.AMDGPU.csdata,"",@progbits
; Kernel info:
; codeLenInByte = 0
; TotalNumSgprs: 0
; NumVgprs: 0
; ScratchSize: 0
; MemoryBound: 0
; FloatMode: 240
; IeeeMode: 1
; LDSByteSize: 0 bytes/workgroup (compile time only)
; SGPRBlocks: 0
; VGPRBlocks: 0
; NumSGPRsForWavesPerEU: 1
; NumVGPRsForWavesPerEU: 1
; NamedBarCnt: 0
; Occupancy: 16
; WaveLimiterHint : 0
; COMPUTE_PGM_RSRC2:SCRATCH_EN: 0
; COMPUTE_PGM_RSRC2:USER_SGPR: 2
; COMPUTE_PGM_RSRC2:TRAP_HANDLER: 0
; COMPUTE_PGM_RSRC2:TGID_X_EN: 1
; COMPUTE_PGM_RSRC2:TGID_Y_EN: 0
; COMPUTE_PGM_RSRC2:TGID_Z_EN: 0
; COMPUTE_PGM_RSRC2:TIDIG_COMP_CNT: 0
	.section	.text._ZN7rocprim17ROCPRIM_400000_NS6detail17trampoline_kernelINS0_14default_configENS1_25partition_config_selectorILNS1_17partition_subalgoE9EllbEEZZNS1_14partition_implILS5_9ELb0ES3_jPlS8_PNS0_10empty_typeENS0_5tupleIJS8_S9_EEENSB_IJS8_SA_EEENS0_18inequality_wrapperIZN2at6native12_GLOBAL__N_124unique_dim_cuda_templateIsEESt5tupleIJNSF_6TensorESK_SK_EERKSK_lbbbEUlllE0_EEPmJS9_EEE10hipError_tPvRmT3_T4_T5_T6_T7_T9_mT8_P12ihipStream_tbDpT10_ENKUlT_T0_E_clISt17integral_constantIbLb0EES19_IbLb1EEEEDaS15_S16_EUlS15_E_NS1_11comp_targetILNS1_3genE4ELNS1_11target_archE910ELNS1_3gpuE8ELNS1_3repE0EEENS1_30default_config_static_selectorELNS0_4arch9wavefront6targetE0EEEvT1_,"axG",@progbits,_ZN7rocprim17ROCPRIM_400000_NS6detail17trampoline_kernelINS0_14default_configENS1_25partition_config_selectorILNS1_17partition_subalgoE9EllbEEZZNS1_14partition_implILS5_9ELb0ES3_jPlS8_PNS0_10empty_typeENS0_5tupleIJS8_S9_EEENSB_IJS8_SA_EEENS0_18inequality_wrapperIZN2at6native12_GLOBAL__N_124unique_dim_cuda_templateIsEESt5tupleIJNSF_6TensorESK_SK_EERKSK_lbbbEUlllE0_EEPmJS9_EEE10hipError_tPvRmT3_T4_T5_T6_T7_T9_mT8_P12ihipStream_tbDpT10_ENKUlT_T0_E_clISt17integral_constantIbLb0EES19_IbLb1EEEEDaS15_S16_EUlS15_E_NS1_11comp_targetILNS1_3genE4ELNS1_11target_archE910ELNS1_3gpuE8ELNS1_3repE0EEENS1_30default_config_static_selectorELNS0_4arch9wavefront6targetE0EEEvT1_,comdat
	.globl	_ZN7rocprim17ROCPRIM_400000_NS6detail17trampoline_kernelINS0_14default_configENS1_25partition_config_selectorILNS1_17partition_subalgoE9EllbEEZZNS1_14partition_implILS5_9ELb0ES3_jPlS8_PNS0_10empty_typeENS0_5tupleIJS8_S9_EEENSB_IJS8_SA_EEENS0_18inequality_wrapperIZN2at6native12_GLOBAL__N_124unique_dim_cuda_templateIsEESt5tupleIJNSF_6TensorESK_SK_EERKSK_lbbbEUlllE0_EEPmJS9_EEE10hipError_tPvRmT3_T4_T5_T6_T7_T9_mT8_P12ihipStream_tbDpT10_ENKUlT_T0_E_clISt17integral_constantIbLb0EES19_IbLb1EEEEDaS15_S16_EUlS15_E_NS1_11comp_targetILNS1_3genE4ELNS1_11target_archE910ELNS1_3gpuE8ELNS1_3repE0EEENS1_30default_config_static_selectorELNS0_4arch9wavefront6targetE0EEEvT1_ ; -- Begin function _ZN7rocprim17ROCPRIM_400000_NS6detail17trampoline_kernelINS0_14default_configENS1_25partition_config_selectorILNS1_17partition_subalgoE9EllbEEZZNS1_14partition_implILS5_9ELb0ES3_jPlS8_PNS0_10empty_typeENS0_5tupleIJS8_S9_EEENSB_IJS8_SA_EEENS0_18inequality_wrapperIZN2at6native12_GLOBAL__N_124unique_dim_cuda_templateIsEESt5tupleIJNSF_6TensorESK_SK_EERKSK_lbbbEUlllE0_EEPmJS9_EEE10hipError_tPvRmT3_T4_T5_T6_T7_T9_mT8_P12ihipStream_tbDpT10_ENKUlT_T0_E_clISt17integral_constantIbLb0EES19_IbLb1EEEEDaS15_S16_EUlS15_E_NS1_11comp_targetILNS1_3genE4ELNS1_11target_archE910ELNS1_3gpuE8ELNS1_3repE0EEENS1_30default_config_static_selectorELNS0_4arch9wavefront6targetE0EEEvT1_
	.p2align	8
	.type	_ZN7rocprim17ROCPRIM_400000_NS6detail17trampoline_kernelINS0_14default_configENS1_25partition_config_selectorILNS1_17partition_subalgoE9EllbEEZZNS1_14partition_implILS5_9ELb0ES3_jPlS8_PNS0_10empty_typeENS0_5tupleIJS8_S9_EEENSB_IJS8_SA_EEENS0_18inequality_wrapperIZN2at6native12_GLOBAL__N_124unique_dim_cuda_templateIsEESt5tupleIJNSF_6TensorESK_SK_EERKSK_lbbbEUlllE0_EEPmJS9_EEE10hipError_tPvRmT3_T4_T5_T6_T7_T9_mT8_P12ihipStream_tbDpT10_ENKUlT_T0_E_clISt17integral_constantIbLb0EES19_IbLb1EEEEDaS15_S16_EUlS15_E_NS1_11comp_targetILNS1_3genE4ELNS1_11target_archE910ELNS1_3gpuE8ELNS1_3repE0EEENS1_30default_config_static_selectorELNS0_4arch9wavefront6targetE0EEEvT1_,@function
_ZN7rocprim17ROCPRIM_400000_NS6detail17trampoline_kernelINS0_14default_configENS1_25partition_config_selectorILNS1_17partition_subalgoE9EllbEEZZNS1_14partition_implILS5_9ELb0ES3_jPlS8_PNS0_10empty_typeENS0_5tupleIJS8_S9_EEENSB_IJS8_SA_EEENS0_18inequality_wrapperIZN2at6native12_GLOBAL__N_124unique_dim_cuda_templateIsEESt5tupleIJNSF_6TensorESK_SK_EERKSK_lbbbEUlllE0_EEPmJS9_EEE10hipError_tPvRmT3_T4_T5_T6_T7_T9_mT8_P12ihipStream_tbDpT10_ENKUlT_T0_E_clISt17integral_constantIbLb0EES19_IbLb1EEEEDaS15_S16_EUlS15_E_NS1_11comp_targetILNS1_3genE4ELNS1_11target_archE910ELNS1_3gpuE8ELNS1_3repE0EEENS1_30default_config_static_selectorELNS0_4arch9wavefront6targetE0EEEvT1_: ; @_ZN7rocprim17ROCPRIM_400000_NS6detail17trampoline_kernelINS0_14default_configENS1_25partition_config_selectorILNS1_17partition_subalgoE9EllbEEZZNS1_14partition_implILS5_9ELb0ES3_jPlS8_PNS0_10empty_typeENS0_5tupleIJS8_S9_EEENSB_IJS8_SA_EEENS0_18inequality_wrapperIZN2at6native12_GLOBAL__N_124unique_dim_cuda_templateIsEESt5tupleIJNSF_6TensorESK_SK_EERKSK_lbbbEUlllE0_EEPmJS9_EEE10hipError_tPvRmT3_T4_T5_T6_T7_T9_mT8_P12ihipStream_tbDpT10_ENKUlT_T0_E_clISt17integral_constantIbLb0EES19_IbLb1EEEEDaS15_S16_EUlS15_E_NS1_11comp_targetILNS1_3genE4ELNS1_11target_archE910ELNS1_3gpuE8ELNS1_3repE0EEENS1_30default_config_static_selectorELNS0_4arch9wavefront6targetE0EEEvT1_
; %bb.0:
	.section	.rodata,"a",@progbits
	.p2align	6, 0x0
	.amdhsa_kernel _ZN7rocprim17ROCPRIM_400000_NS6detail17trampoline_kernelINS0_14default_configENS1_25partition_config_selectorILNS1_17partition_subalgoE9EllbEEZZNS1_14partition_implILS5_9ELb0ES3_jPlS8_PNS0_10empty_typeENS0_5tupleIJS8_S9_EEENSB_IJS8_SA_EEENS0_18inequality_wrapperIZN2at6native12_GLOBAL__N_124unique_dim_cuda_templateIsEESt5tupleIJNSF_6TensorESK_SK_EERKSK_lbbbEUlllE0_EEPmJS9_EEE10hipError_tPvRmT3_T4_T5_T6_T7_T9_mT8_P12ihipStream_tbDpT10_ENKUlT_T0_E_clISt17integral_constantIbLb0EES19_IbLb1EEEEDaS15_S16_EUlS15_E_NS1_11comp_targetILNS1_3genE4ELNS1_11target_archE910ELNS1_3gpuE8ELNS1_3repE0EEENS1_30default_config_static_selectorELNS0_4arch9wavefront6targetE0EEEvT1_
		.amdhsa_group_segment_fixed_size 0
		.amdhsa_private_segment_fixed_size 0
		.amdhsa_kernarg_size 136
		.amdhsa_user_sgpr_count 2
		.amdhsa_user_sgpr_dispatch_ptr 0
		.amdhsa_user_sgpr_queue_ptr 0
		.amdhsa_user_sgpr_kernarg_segment_ptr 1
		.amdhsa_user_sgpr_dispatch_id 0
		.amdhsa_user_sgpr_kernarg_preload_length 0
		.amdhsa_user_sgpr_kernarg_preload_offset 0
		.amdhsa_user_sgpr_private_segment_size 0
		.amdhsa_wavefront_size32 1
		.amdhsa_uses_dynamic_stack 0
		.amdhsa_enable_private_segment 0
		.amdhsa_system_sgpr_workgroup_id_x 1
		.amdhsa_system_sgpr_workgroup_id_y 0
		.amdhsa_system_sgpr_workgroup_id_z 0
		.amdhsa_system_sgpr_workgroup_info 0
		.amdhsa_system_vgpr_workitem_id 0
		.amdhsa_next_free_vgpr 1
		.amdhsa_next_free_sgpr 1
		.amdhsa_named_barrier_count 0
		.amdhsa_reserve_vcc 0
		.amdhsa_float_round_mode_32 0
		.amdhsa_float_round_mode_16_64 0
		.amdhsa_float_denorm_mode_32 3
		.amdhsa_float_denorm_mode_16_64 3
		.amdhsa_fp16_overflow 0
		.amdhsa_memory_ordered 1
		.amdhsa_forward_progress 1
		.amdhsa_inst_pref_size 0
		.amdhsa_round_robin_scheduling 0
		.amdhsa_exception_fp_ieee_invalid_op 0
		.amdhsa_exception_fp_denorm_src 0
		.amdhsa_exception_fp_ieee_div_zero 0
		.amdhsa_exception_fp_ieee_overflow 0
		.amdhsa_exception_fp_ieee_underflow 0
		.amdhsa_exception_fp_ieee_inexact 0
		.amdhsa_exception_int_div_zero 0
	.end_amdhsa_kernel
	.section	.text._ZN7rocprim17ROCPRIM_400000_NS6detail17trampoline_kernelINS0_14default_configENS1_25partition_config_selectorILNS1_17partition_subalgoE9EllbEEZZNS1_14partition_implILS5_9ELb0ES3_jPlS8_PNS0_10empty_typeENS0_5tupleIJS8_S9_EEENSB_IJS8_SA_EEENS0_18inequality_wrapperIZN2at6native12_GLOBAL__N_124unique_dim_cuda_templateIsEESt5tupleIJNSF_6TensorESK_SK_EERKSK_lbbbEUlllE0_EEPmJS9_EEE10hipError_tPvRmT3_T4_T5_T6_T7_T9_mT8_P12ihipStream_tbDpT10_ENKUlT_T0_E_clISt17integral_constantIbLb0EES19_IbLb1EEEEDaS15_S16_EUlS15_E_NS1_11comp_targetILNS1_3genE4ELNS1_11target_archE910ELNS1_3gpuE8ELNS1_3repE0EEENS1_30default_config_static_selectorELNS0_4arch9wavefront6targetE0EEEvT1_,"axG",@progbits,_ZN7rocprim17ROCPRIM_400000_NS6detail17trampoline_kernelINS0_14default_configENS1_25partition_config_selectorILNS1_17partition_subalgoE9EllbEEZZNS1_14partition_implILS5_9ELb0ES3_jPlS8_PNS0_10empty_typeENS0_5tupleIJS8_S9_EEENSB_IJS8_SA_EEENS0_18inequality_wrapperIZN2at6native12_GLOBAL__N_124unique_dim_cuda_templateIsEESt5tupleIJNSF_6TensorESK_SK_EERKSK_lbbbEUlllE0_EEPmJS9_EEE10hipError_tPvRmT3_T4_T5_T6_T7_T9_mT8_P12ihipStream_tbDpT10_ENKUlT_T0_E_clISt17integral_constantIbLb0EES19_IbLb1EEEEDaS15_S16_EUlS15_E_NS1_11comp_targetILNS1_3genE4ELNS1_11target_archE910ELNS1_3gpuE8ELNS1_3repE0EEENS1_30default_config_static_selectorELNS0_4arch9wavefront6targetE0EEEvT1_,comdat
.Lfunc_end743:
	.size	_ZN7rocprim17ROCPRIM_400000_NS6detail17trampoline_kernelINS0_14default_configENS1_25partition_config_selectorILNS1_17partition_subalgoE9EllbEEZZNS1_14partition_implILS5_9ELb0ES3_jPlS8_PNS0_10empty_typeENS0_5tupleIJS8_S9_EEENSB_IJS8_SA_EEENS0_18inequality_wrapperIZN2at6native12_GLOBAL__N_124unique_dim_cuda_templateIsEESt5tupleIJNSF_6TensorESK_SK_EERKSK_lbbbEUlllE0_EEPmJS9_EEE10hipError_tPvRmT3_T4_T5_T6_T7_T9_mT8_P12ihipStream_tbDpT10_ENKUlT_T0_E_clISt17integral_constantIbLb0EES19_IbLb1EEEEDaS15_S16_EUlS15_E_NS1_11comp_targetILNS1_3genE4ELNS1_11target_archE910ELNS1_3gpuE8ELNS1_3repE0EEENS1_30default_config_static_selectorELNS0_4arch9wavefront6targetE0EEEvT1_, .Lfunc_end743-_ZN7rocprim17ROCPRIM_400000_NS6detail17trampoline_kernelINS0_14default_configENS1_25partition_config_selectorILNS1_17partition_subalgoE9EllbEEZZNS1_14partition_implILS5_9ELb0ES3_jPlS8_PNS0_10empty_typeENS0_5tupleIJS8_S9_EEENSB_IJS8_SA_EEENS0_18inequality_wrapperIZN2at6native12_GLOBAL__N_124unique_dim_cuda_templateIsEESt5tupleIJNSF_6TensorESK_SK_EERKSK_lbbbEUlllE0_EEPmJS9_EEE10hipError_tPvRmT3_T4_T5_T6_T7_T9_mT8_P12ihipStream_tbDpT10_ENKUlT_T0_E_clISt17integral_constantIbLb0EES19_IbLb1EEEEDaS15_S16_EUlS15_E_NS1_11comp_targetILNS1_3genE4ELNS1_11target_archE910ELNS1_3gpuE8ELNS1_3repE0EEENS1_30default_config_static_selectorELNS0_4arch9wavefront6targetE0EEEvT1_
                                        ; -- End function
	.set _ZN7rocprim17ROCPRIM_400000_NS6detail17trampoline_kernelINS0_14default_configENS1_25partition_config_selectorILNS1_17partition_subalgoE9EllbEEZZNS1_14partition_implILS5_9ELb0ES3_jPlS8_PNS0_10empty_typeENS0_5tupleIJS8_S9_EEENSB_IJS8_SA_EEENS0_18inequality_wrapperIZN2at6native12_GLOBAL__N_124unique_dim_cuda_templateIsEESt5tupleIJNSF_6TensorESK_SK_EERKSK_lbbbEUlllE0_EEPmJS9_EEE10hipError_tPvRmT3_T4_T5_T6_T7_T9_mT8_P12ihipStream_tbDpT10_ENKUlT_T0_E_clISt17integral_constantIbLb0EES19_IbLb1EEEEDaS15_S16_EUlS15_E_NS1_11comp_targetILNS1_3genE4ELNS1_11target_archE910ELNS1_3gpuE8ELNS1_3repE0EEENS1_30default_config_static_selectorELNS0_4arch9wavefront6targetE0EEEvT1_.num_vgpr, 0
	.set _ZN7rocprim17ROCPRIM_400000_NS6detail17trampoline_kernelINS0_14default_configENS1_25partition_config_selectorILNS1_17partition_subalgoE9EllbEEZZNS1_14partition_implILS5_9ELb0ES3_jPlS8_PNS0_10empty_typeENS0_5tupleIJS8_S9_EEENSB_IJS8_SA_EEENS0_18inequality_wrapperIZN2at6native12_GLOBAL__N_124unique_dim_cuda_templateIsEESt5tupleIJNSF_6TensorESK_SK_EERKSK_lbbbEUlllE0_EEPmJS9_EEE10hipError_tPvRmT3_T4_T5_T6_T7_T9_mT8_P12ihipStream_tbDpT10_ENKUlT_T0_E_clISt17integral_constantIbLb0EES19_IbLb1EEEEDaS15_S16_EUlS15_E_NS1_11comp_targetILNS1_3genE4ELNS1_11target_archE910ELNS1_3gpuE8ELNS1_3repE0EEENS1_30default_config_static_selectorELNS0_4arch9wavefront6targetE0EEEvT1_.num_agpr, 0
	.set _ZN7rocprim17ROCPRIM_400000_NS6detail17trampoline_kernelINS0_14default_configENS1_25partition_config_selectorILNS1_17partition_subalgoE9EllbEEZZNS1_14partition_implILS5_9ELb0ES3_jPlS8_PNS0_10empty_typeENS0_5tupleIJS8_S9_EEENSB_IJS8_SA_EEENS0_18inequality_wrapperIZN2at6native12_GLOBAL__N_124unique_dim_cuda_templateIsEESt5tupleIJNSF_6TensorESK_SK_EERKSK_lbbbEUlllE0_EEPmJS9_EEE10hipError_tPvRmT3_T4_T5_T6_T7_T9_mT8_P12ihipStream_tbDpT10_ENKUlT_T0_E_clISt17integral_constantIbLb0EES19_IbLb1EEEEDaS15_S16_EUlS15_E_NS1_11comp_targetILNS1_3genE4ELNS1_11target_archE910ELNS1_3gpuE8ELNS1_3repE0EEENS1_30default_config_static_selectorELNS0_4arch9wavefront6targetE0EEEvT1_.numbered_sgpr, 0
	.set _ZN7rocprim17ROCPRIM_400000_NS6detail17trampoline_kernelINS0_14default_configENS1_25partition_config_selectorILNS1_17partition_subalgoE9EllbEEZZNS1_14partition_implILS5_9ELb0ES3_jPlS8_PNS0_10empty_typeENS0_5tupleIJS8_S9_EEENSB_IJS8_SA_EEENS0_18inequality_wrapperIZN2at6native12_GLOBAL__N_124unique_dim_cuda_templateIsEESt5tupleIJNSF_6TensorESK_SK_EERKSK_lbbbEUlllE0_EEPmJS9_EEE10hipError_tPvRmT3_T4_T5_T6_T7_T9_mT8_P12ihipStream_tbDpT10_ENKUlT_T0_E_clISt17integral_constantIbLb0EES19_IbLb1EEEEDaS15_S16_EUlS15_E_NS1_11comp_targetILNS1_3genE4ELNS1_11target_archE910ELNS1_3gpuE8ELNS1_3repE0EEENS1_30default_config_static_selectorELNS0_4arch9wavefront6targetE0EEEvT1_.num_named_barrier, 0
	.set _ZN7rocprim17ROCPRIM_400000_NS6detail17trampoline_kernelINS0_14default_configENS1_25partition_config_selectorILNS1_17partition_subalgoE9EllbEEZZNS1_14partition_implILS5_9ELb0ES3_jPlS8_PNS0_10empty_typeENS0_5tupleIJS8_S9_EEENSB_IJS8_SA_EEENS0_18inequality_wrapperIZN2at6native12_GLOBAL__N_124unique_dim_cuda_templateIsEESt5tupleIJNSF_6TensorESK_SK_EERKSK_lbbbEUlllE0_EEPmJS9_EEE10hipError_tPvRmT3_T4_T5_T6_T7_T9_mT8_P12ihipStream_tbDpT10_ENKUlT_T0_E_clISt17integral_constantIbLb0EES19_IbLb1EEEEDaS15_S16_EUlS15_E_NS1_11comp_targetILNS1_3genE4ELNS1_11target_archE910ELNS1_3gpuE8ELNS1_3repE0EEENS1_30default_config_static_selectorELNS0_4arch9wavefront6targetE0EEEvT1_.private_seg_size, 0
	.set _ZN7rocprim17ROCPRIM_400000_NS6detail17trampoline_kernelINS0_14default_configENS1_25partition_config_selectorILNS1_17partition_subalgoE9EllbEEZZNS1_14partition_implILS5_9ELb0ES3_jPlS8_PNS0_10empty_typeENS0_5tupleIJS8_S9_EEENSB_IJS8_SA_EEENS0_18inequality_wrapperIZN2at6native12_GLOBAL__N_124unique_dim_cuda_templateIsEESt5tupleIJNSF_6TensorESK_SK_EERKSK_lbbbEUlllE0_EEPmJS9_EEE10hipError_tPvRmT3_T4_T5_T6_T7_T9_mT8_P12ihipStream_tbDpT10_ENKUlT_T0_E_clISt17integral_constantIbLb0EES19_IbLb1EEEEDaS15_S16_EUlS15_E_NS1_11comp_targetILNS1_3genE4ELNS1_11target_archE910ELNS1_3gpuE8ELNS1_3repE0EEENS1_30default_config_static_selectorELNS0_4arch9wavefront6targetE0EEEvT1_.uses_vcc, 0
	.set _ZN7rocprim17ROCPRIM_400000_NS6detail17trampoline_kernelINS0_14default_configENS1_25partition_config_selectorILNS1_17partition_subalgoE9EllbEEZZNS1_14partition_implILS5_9ELb0ES3_jPlS8_PNS0_10empty_typeENS0_5tupleIJS8_S9_EEENSB_IJS8_SA_EEENS0_18inequality_wrapperIZN2at6native12_GLOBAL__N_124unique_dim_cuda_templateIsEESt5tupleIJNSF_6TensorESK_SK_EERKSK_lbbbEUlllE0_EEPmJS9_EEE10hipError_tPvRmT3_T4_T5_T6_T7_T9_mT8_P12ihipStream_tbDpT10_ENKUlT_T0_E_clISt17integral_constantIbLb0EES19_IbLb1EEEEDaS15_S16_EUlS15_E_NS1_11comp_targetILNS1_3genE4ELNS1_11target_archE910ELNS1_3gpuE8ELNS1_3repE0EEENS1_30default_config_static_selectorELNS0_4arch9wavefront6targetE0EEEvT1_.uses_flat_scratch, 0
	.set _ZN7rocprim17ROCPRIM_400000_NS6detail17trampoline_kernelINS0_14default_configENS1_25partition_config_selectorILNS1_17partition_subalgoE9EllbEEZZNS1_14partition_implILS5_9ELb0ES3_jPlS8_PNS0_10empty_typeENS0_5tupleIJS8_S9_EEENSB_IJS8_SA_EEENS0_18inequality_wrapperIZN2at6native12_GLOBAL__N_124unique_dim_cuda_templateIsEESt5tupleIJNSF_6TensorESK_SK_EERKSK_lbbbEUlllE0_EEPmJS9_EEE10hipError_tPvRmT3_T4_T5_T6_T7_T9_mT8_P12ihipStream_tbDpT10_ENKUlT_T0_E_clISt17integral_constantIbLb0EES19_IbLb1EEEEDaS15_S16_EUlS15_E_NS1_11comp_targetILNS1_3genE4ELNS1_11target_archE910ELNS1_3gpuE8ELNS1_3repE0EEENS1_30default_config_static_selectorELNS0_4arch9wavefront6targetE0EEEvT1_.has_dyn_sized_stack, 0
	.set _ZN7rocprim17ROCPRIM_400000_NS6detail17trampoline_kernelINS0_14default_configENS1_25partition_config_selectorILNS1_17partition_subalgoE9EllbEEZZNS1_14partition_implILS5_9ELb0ES3_jPlS8_PNS0_10empty_typeENS0_5tupleIJS8_S9_EEENSB_IJS8_SA_EEENS0_18inequality_wrapperIZN2at6native12_GLOBAL__N_124unique_dim_cuda_templateIsEESt5tupleIJNSF_6TensorESK_SK_EERKSK_lbbbEUlllE0_EEPmJS9_EEE10hipError_tPvRmT3_T4_T5_T6_T7_T9_mT8_P12ihipStream_tbDpT10_ENKUlT_T0_E_clISt17integral_constantIbLb0EES19_IbLb1EEEEDaS15_S16_EUlS15_E_NS1_11comp_targetILNS1_3genE4ELNS1_11target_archE910ELNS1_3gpuE8ELNS1_3repE0EEENS1_30default_config_static_selectorELNS0_4arch9wavefront6targetE0EEEvT1_.has_recursion, 0
	.set _ZN7rocprim17ROCPRIM_400000_NS6detail17trampoline_kernelINS0_14default_configENS1_25partition_config_selectorILNS1_17partition_subalgoE9EllbEEZZNS1_14partition_implILS5_9ELb0ES3_jPlS8_PNS0_10empty_typeENS0_5tupleIJS8_S9_EEENSB_IJS8_SA_EEENS0_18inequality_wrapperIZN2at6native12_GLOBAL__N_124unique_dim_cuda_templateIsEESt5tupleIJNSF_6TensorESK_SK_EERKSK_lbbbEUlllE0_EEPmJS9_EEE10hipError_tPvRmT3_T4_T5_T6_T7_T9_mT8_P12ihipStream_tbDpT10_ENKUlT_T0_E_clISt17integral_constantIbLb0EES19_IbLb1EEEEDaS15_S16_EUlS15_E_NS1_11comp_targetILNS1_3genE4ELNS1_11target_archE910ELNS1_3gpuE8ELNS1_3repE0EEENS1_30default_config_static_selectorELNS0_4arch9wavefront6targetE0EEEvT1_.has_indirect_call, 0
	.section	.AMDGPU.csdata,"",@progbits
; Kernel info:
; codeLenInByte = 0
; TotalNumSgprs: 0
; NumVgprs: 0
; ScratchSize: 0
; MemoryBound: 0
; FloatMode: 240
; IeeeMode: 1
; LDSByteSize: 0 bytes/workgroup (compile time only)
; SGPRBlocks: 0
; VGPRBlocks: 0
; NumSGPRsForWavesPerEU: 1
; NumVGPRsForWavesPerEU: 1
; NamedBarCnt: 0
; Occupancy: 16
; WaveLimiterHint : 0
; COMPUTE_PGM_RSRC2:SCRATCH_EN: 0
; COMPUTE_PGM_RSRC2:USER_SGPR: 2
; COMPUTE_PGM_RSRC2:TRAP_HANDLER: 0
; COMPUTE_PGM_RSRC2:TGID_X_EN: 1
; COMPUTE_PGM_RSRC2:TGID_Y_EN: 0
; COMPUTE_PGM_RSRC2:TGID_Z_EN: 0
; COMPUTE_PGM_RSRC2:TIDIG_COMP_CNT: 0
	.section	.text._ZN7rocprim17ROCPRIM_400000_NS6detail17trampoline_kernelINS0_14default_configENS1_25partition_config_selectorILNS1_17partition_subalgoE9EllbEEZZNS1_14partition_implILS5_9ELb0ES3_jPlS8_PNS0_10empty_typeENS0_5tupleIJS8_S9_EEENSB_IJS8_SA_EEENS0_18inequality_wrapperIZN2at6native12_GLOBAL__N_124unique_dim_cuda_templateIsEESt5tupleIJNSF_6TensorESK_SK_EERKSK_lbbbEUlllE0_EEPmJS9_EEE10hipError_tPvRmT3_T4_T5_T6_T7_T9_mT8_P12ihipStream_tbDpT10_ENKUlT_T0_E_clISt17integral_constantIbLb0EES19_IbLb1EEEEDaS15_S16_EUlS15_E_NS1_11comp_targetILNS1_3genE3ELNS1_11target_archE908ELNS1_3gpuE7ELNS1_3repE0EEENS1_30default_config_static_selectorELNS0_4arch9wavefront6targetE0EEEvT1_,"axG",@progbits,_ZN7rocprim17ROCPRIM_400000_NS6detail17trampoline_kernelINS0_14default_configENS1_25partition_config_selectorILNS1_17partition_subalgoE9EllbEEZZNS1_14partition_implILS5_9ELb0ES3_jPlS8_PNS0_10empty_typeENS0_5tupleIJS8_S9_EEENSB_IJS8_SA_EEENS0_18inequality_wrapperIZN2at6native12_GLOBAL__N_124unique_dim_cuda_templateIsEESt5tupleIJNSF_6TensorESK_SK_EERKSK_lbbbEUlllE0_EEPmJS9_EEE10hipError_tPvRmT3_T4_T5_T6_T7_T9_mT8_P12ihipStream_tbDpT10_ENKUlT_T0_E_clISt17integral_constantIbLb0EES19_IbLb1EEEEDaS15_S16_EUlS15_E_NS1_11comp_targetILNS1_3genE3ELNS1_11target_archE908ELNS1_3gpuE7ELNS1_3repE0EEENS1_30default_config_static_selectorELNS0_4arch9wavefront6targetE0EEEvT1_,comdat
	.globl	_ZN7rocprim17ROCPRIM_400000_NS6detail17trampoline_kernelINS0_14default_configENS1_25partition_config_selectorILNS1_17partition_subalgoE9EllbEEZZNS1_14partition_implILS5_9ELb0ES3_jPlS8_PNS0_10empty_typeENS0_5tupleIJS8_S9_EEENSB_IJS8_SA_EEENS0_18inequality_wrapperIZN2at6native12_GLOBAL__N_124unique_dim_cuda_templateIsEESt5tupleIJNSF_6TensorESK_SK_EERKSK_lbbbEUlllE0_EEPmJS9_EEE10hipError_tPvRmT3_T4_T5_T6_T7_T9_mT8_P12ihipStream_tbDpT10_ENKUlT_T0_E_clISt17integral_constantIbLb0EES19_IbLb1EEEEDaS15_S16_EUlS15_E_NS1_11comp_targetILNS1_3genE3ELNS1_11target_archE908ELNS1_3gpuE7ELNS1_3repE0EEENS1_30default_config_static_selectorELNS0_4arch9wavefront6targetE0EEEvT1_ ; -- Begin function _ZN7rocprim17ROCPRIM_400000_NS6detail17trampoline_kernelINS0_14default_configENS1_25partition_config_selectorILNS1_17partition_subalgoE9EllbEEZZNS1_14partition_implILS5_9ELb0ES3_jPlS8_PNS0_10empty_typeENS0_5tupleIJS8_S9_EEENSB_IJS8_SA_EEENS0_18inequality_wrapperIZN2at6native12_GLOBAL__N_124unique_dim_cuda_templateIsEESt5tupleIJNSF_6TensorESK_SK_EERKSK_lbbbEUlllE0_EEPmJS9_EEE10hipError_tPvRmT3_T4_T5_T6_T7_T9_mT8_P12ihipStream_tbDpT10_ENKUlT_T0_E_clISt17integral_constantIbLb0EES19_IbLb1EEEEDaS15_S16_EUlS15_E_NS1_11comp_targetILNS1_3genE3ELNS1_11target_archE908ELNS1_3gpuE7ELNS1_3repE0EEENS1_30default_config_static_selectorELNS0_4arch9wavefront6targetE0EEEvT1_
	.p2align	8
	.type	_ZN7rocprim17ROCPRIM_400000_NS6detail17trampoline_kernelINS0_14default_configENS1_25partition_config_selectorILNS1_17partition_subalgoE9EllbEEZZNS1_14partition_implILS5_9ELb0ES3_jPlS8_PNS0_10empty_typeENS0_5tupleIJS8_S9_EEENSB_IJS8_SA_EEENS0_18inequality_wrapperIZN2at6native12_GLOBAL__N_124unique_dim_cuda_templateIsEESt5tupleIJNSF_6TensorESK_SK_EERKSK_lbbbEUlllE0_EEPmJS9_EEE10hipError_tPvRmT3_T4_T5_T6_T7_T9_mT8_P12ihipStream_tbDpT10_ENKUlT_T0_E_clISt17integral_constantIbLb0EES19_IbLb1EEEEDaS15_S16_EUlS15_E_NS1_11comp_targetILNS1_3genE3ELNS1_11target_archE908ELNS1_3gpuE7ELNS1_3repE0EEENS1_30default_config_static_selectorELNS0_4arch9wavefront6targetE0EEEvT1_,@function
_ZN7rocprim17ROCPRIM_400000_NS6detail17trampoline_kernelINS0_14default_configENS1_25partition_config_selectorILNS1_17partition_subalgoE9EllbEEZZNS1_14partition_implILS5_9ELb0ES3_jPlS8_PNS0_10empty_typeENS0_5tupleIJS8_S9_EEENSB_IJS8_SA_EEENS0_18inequality_wrapperIZN2at6native12_GLOBAL__N_124unique_dim_cuda_templateIsEESt5tupleIJNSF_6TensorESK_SK_EERKSK_lbbbEUlllE0_EEPmJS9_EEE10hipError_tPvRmT3_T4_T5_T6_T7_T9_mT8_P12ihipStream_tbDpT10_ENKUlT_T0_E_clISt17integral_constantIbLb0EES19_IbLb1EEEEDaS15_S16_EUlS15_E_NS1_11comp_targetILNS1_3genE3ELNS1_11target_archE908ELNS1_3gpuE7ELNS1_3repE0EEENS1_30default_config_static_selectorELNS0_4arch9wavefront6targetE0EEEvT1_: ; @_ZN7rocprim17ROCPRIM_400000_NS6detail17trampoline_kernelINS0_14default_configENS1_25partition_config_selectorILNS1_17partition_subalgoE9EllbEEZZNS1_14partition_implILS5_9ELb0ES3_jPlS8_PNS0_10empty_typeENS0_5tupleIJS8_S9_EEENSB_IJS8_SA_EEENS0_18inequality_wrapperIZN2at6native12_GLOBAL__N_124unique_dim_cuda_templateIsEESt5tupleIJNSF_6TensorESK_SK_EERKSK_lbbbEUlllE0_EEPmJS9_EEE10hipError_tPvRmT3_T4_T5_T6_T7_T9_mT8_P12ihipStream_tbDpT10_ENKUlT_T0_E_clISt17integral_constantIbLb0EES19_IbLb1EEEEDaS15_S16_EUlS15_E_NS1_11comp_targetILNS1_3genE3ELNS1_11target_archE908ELNS1_3gpuE7ELNS1_3repE0EEENS1_30default_config_static_selectorELNS0_4arch9wavefront6targetE0EEEvT1_
; %bb.0:
	.section	.rodata,"a",@progbits
	.p2align	6, 0x0
	.amdhsa_kernel _ZN7rocprim17ROCPRIM_400000_NS6detail17trampoline_kernelINS0_14default_configENS1_25partition_config_selectorILNS1_17partition_subalgoE9EllbEEZZNS1_14partition_implILS5_9ELb0ES3_jPlS8_PNS0_10empty_typeENS0_5tupleIJS8_S9_EEENSB_IJS8_SA_EEENS0_18inequality_wrapperIZN2at6native12_GLOBAL__N_124unique_dim_cuda_templateIsEESt5tupleIJNSF_6TensorESK_SK_EERKSK_lbbbEUlllE0_EEPmJS9_EEE10hipError_tPvRmT3_T4_T5_T6_T7_T9_mT8_P12ihipStream_tbDpT10_ENKUlT_T0_E_clISt17integral_constantIbLb0EES19_IbLb1EEEEDaS15_S16_EUlS15_E_NS1_11comp_targetILNS1_3genE3ELNS1_11target_archE908ELNS1_3gpuE7ELNS1_3repE0EEENS1_30default_config_static_selectorELNS0_4arch9wavefront6targetE0EEEvT1_
		.amdhsa_group_segment_fixed_size 0
		.amdhsa_private_segment_fixed_size 0
		.amdhsa_kernarg_size 136
		.amdhsa_user_sgpr_count 2
		.amdhsa_user_sgpr_dispatch_ptr 0
		.amdhsa_user_sgpr_queue_ptr 0
		.amdhsa_user_sgpr_kernarg_segment_ptr 1
		.amdhsa_user_sgpr_dispatch_id 0
		.amdhsa_user_sgpr_kernarg_preload_length 0
		.amdhsa_user_sgpr_kernarg_preload_offset 0
		.amdhsa_user_sgpr_private_segment_size 0
		.amdhsa_wavefront_size32 1
		.amdhsa_uses_dynamic_stack 0
		.amdhsa_enable_private_segment 0
		.amdhsa_system_sgpr_workgroup_id_x 1
		.amdhsa_system_sgpr_workgroup_id_y 0
		.amdhsa_system_sgpr_workgroup_id_z 0
		.amdhsa_system_sgpr_workgroup_info 0
		.amdhsa_system_vgpr_workitem_id 0
		.amdhsa_next_free_vgpr 1
		.amdhsa_next_free_sgpr 1
		.amdhsa_named_barrier_count 0
		.amdhsa_reserve_vcc 0
		.amdhsa_float_round_mode_32 0
		.amdhsa_float_round_mode_16_64 0
		.amdhsa_float_denorm_mode_32 3
		.amdhsa_float_denorm_mode_16_64 3
		.amdhsa_fp16_overflow 0
		.amdhsa_memory_ordered 1
		.amdhsa_forward_progress 1
		.amdhsa_inst_pref_size 0
		.amdhsa_round_robin_scheduling 0
		.amdhsa_exception_fp_ieee_invalid_op 0
		.amdhsa_exception_fp_denorm_src 0
		.amdhsa_exception_fp_ieee_div_zero 0
		.amdhsa_exception_fp_ieee_overflow 0
		.amdhsa_exception_fp_ieee_underflow 0
		.amdhsa_exception_fp_ieee_inexact 0
		.amdhsa_exception_int_div_zero 0
	.end_amdhsa_kernel
	.section	.text._ZN7rocprim17ROCPRIM_400000_NS6detail17trampoline_kernelINS0_14default_configENS1_25partition_config_selectorILNS1_17partition_subalgoE9EllbEEZZNS1_14partition_implILS5_9ELb0ES3_jPlS8_PNS0_10empty_typeENS0_5tupleIJS8_S9_EEENSB_IJS8_SA_EEENS0_18inequality_wrapperIZN2at6native12_GLOBAL__N_124unique_dim_cuda_templateIsEESt5tupleIJNSF_6TensorESK_SK_EERKSK_lbbbEUlllE0_EEPmJS9_EEE10hipError_tPvRmT3_T4_T5_T6_T7_T9_mT8_P12ihipStream_tbDpT10_ENKUlT_T0_E_clISt17integral_constantIbLb0EES19_IbLb1EEEEDaS15_S16_EUlS15_E_NS1_11comp_targetILNS1_3genE3ELNS1_11target_archE908ELNS1_3gpuE7ELNS1_3repE0EEENS1_30default_config_static_selectorELNS0_4arch9wavefront6targetE0EEEvT1_,"axG",@progbits,_ZN7rocprim17ROCPRIM_400000_NS6detail17trampoline_kernelINS0_14default_configENS1_25partition_config_selectorILNS1_17partition_subalgoE9EllbEEZZNS1_14partition_implILS5_9ELb0ES3_jPlS8_PNS0_10empty_typeENS0_5tupleIJS8_S9_EEENSB_IJS8_SA_EEENS0_18inequality_wrapperIZN2at6native12_GLOBAL__N_124unique_dim_cuda_templateIsEESt5tupleIJNSF_6TensorESK_SK_EERKSK_lbbbEUlllE0_EEPmJS9_EEE10hipError_tPvRmT3_T4_T5_T6_T7_T9_mT8_P12ihipStream_tbDpT10_ENKUlT_T0_E_clISt17integral_constantIbLb0EES19_IbLb1EEEEDaS15_S16_EUlS15_E_NS1_11comp_targetILNS1_3genE3ELNS1_11target_archE908ELNS1_3gpuE7ELNS1_3repE0EEENS1_30default_config_static_selectorELNS0_4arch9wavefront6targetE0EEEvT1_,comdat
.Lfunc_end744:
	.size	_ZN7rocprim17ROCPRIM_400000_NS6detail17trampoline_kernelINS0_14default_configENS1_25partition_config_selectorILNS1_17partition_subalgoE9EllbEEZZNS1_14partition_implILS5_9ELb0ES3_jPlS8_PNS0_10empty_typeENS0_5tupleIJS8_S9_EEENSB_IJS8_SA_EEENS0_18inequality_wrapperIZN2at6native12_GLOBAL__N_124unique_dim_cuda_templateIsEESt5tupleIJNSF_6TensorESK_SK_EERKSK_lbbbEUlllE0_EEPmJS9_EEE10hipError_tPvRmT3_T4_T5_T6_T7_T9_mT8_P12ihipStream_tbDpT10_ENKUlT_T0_E_clISt17integral_constantIbLb0EES19_IbLb1EEEEDaS15_S16_EUlS15_E_NS1_11comp_targetILNS1_3genE3ELNS1_11target_archE908ELNS1_3gpuE7ELNS1_3repE0EEENS1_30default_config_static_selectorELNS0_4arch9wavefront6targetE0EEEvT1_, .Lfunc_end744-_ZN7rocprim17ROCPRIM_400000_NS6detail17trampoline_kernelINS0_14default_configENS1_25partition_config_selectorILNS1_17partition_subalgoE9EllbEEZZNS1_14partition_implILS5_9ELb0ES3_jPlS8_PNS0_10empty_typeENS0_5tupleIJS8_S9_EEENSB_IJS8_SA_EEENS0_18inequality_wrapperIZN2at6native12_GLOBAL__N_124unique_dim_cuda_templateIsEESt5tupleIJNSF_6TensorESK_SK_EERKSK_lbbbEUlllE0_EEPmJS9_EEE10hipError_tPvRmT3_T4_T5_T6_T7_T9_mT8_P12ihipStream_tbDpT10_ENKUlT_T0_E_clISt17integral_constantIbLb0EES19_IbLb1EEEEDaS15_S16_EUlS15_E_NS1_11comp_targetILNS1_3genE3ELNS1_11target_archE908ELNS1_3gpuE7ELNS1_3repE0EEENS1_30default_config_static_selectorELNS0_4arch9wavefront6targetE0EEEvT1_
                                        ; -- End function
	.set _ZN7rocprim17ROCPRIM_400000_NS6detail17trampoline_kernelINS0_14default_configENS1_25partition_config_selectorILNS1_17partition_subalgoE9EllbEEZZNS1_14partition_implILS5_9ELb0ES3_jPlS8_PNS0_10empty_typeENS0_5tupleIJS8_S9_EEENSB_IJS8_SA_EEENS0_18inequality_wrapperIZN2at6native12_GLOBAL__N_124unique_dim_cuda_templateIsEESt5tupleIJNSF_6TensorESK_SK_EERKSK_lbbbEUlllE0_EEPmJS9_EEE10hipError_tPvRmT3_T4_T5_T6_T7_T9_mT8_P12ihipStream_tbDpT10_ENKUlT_T0_E_clISt17integral_constantIbLb0EES19_IbLb1EEEEDaS15_S16_EUlS15_E_NS1_11comp_targetILNS1_3genE3ELNS1_11target_archE908ELNS1_3gpuE7ELNS1_3repE0EEENS1_30default_config_static_selectorELNS0_4arch9wavefront6targetE0EEEvT1_.num_vgpr, 0
	.set _ZN7rocprim17ROCPRIM_400000_NS6detail17trampoline_kernelINS0_14default_configENS1_25partition_config_selectorILNS1_17partition_subalgoE9EllbEEZZNS1_14partition_implILS5_9ELb0ES3_jPlS8_PNS0_10empty_typeENS0_5tupleIJS8_S9_EEENSB_IJS8_SA_EEENS0_18inequality_wrapperIZN2at6native12_GLOBAL__N_124unique_dim_cuda_templateIsEESt5tupleIJNSF_6TensorESK_SK_EERKSK_lbbbEUlllE0_EEPmJS9_EEE10hipError_tPvRmT3_T4_T5_T6_T7_T9_mT8_P12ihipStream_tbDpT10_ENKUlT_T0_E_clISt17integral_constantIbLb0EES19_IbLb1EEEEDaS15_S16_EUlS15_E_NS1_11comp_targetILNS1_3genE3ELNS1_11target_archE908ELNS1_3gpuE7ELNS1_3repE0EEENS1_30default_config_static_selectorELNS0_4arch9wavefront6targetE0EEEvT1_.num_agpr, 0
	.set _ZN7rocprim17ROCPRIM_400000_NS6detail17trampoline_kernelINS0_14default_configENS1_25partition_config_selectorILNS1_17partition_subalgoE9EllbEEZZNS1_14partition_implILS5_9ELb0ES3_jPlS8_PNS0_10empty_typeENS0_5tupleIJS8_S9_EEENSB_IJS8_SA_EEENS0_18inequality_wrapperIZN2at6native12_GLOBAL__N_124unique_dim_cuda_templateIsEESt5tupleIJNSF_6TensorESK_SK_EERKSK_lbbbEUlllE0_EEPmJS9_EEE10hipError_tPvRmT3_T4_T5_T6_T7_T9_mT8_P12ihipStream_tbDpT10_ENKUlT_T0_E_clISt17integral_constantIbLb0EES19_IbLb1EEEEDaS15_S16_EUlS15_E_NS1_11comp_targetILNS1_3genE3ELNS1_11target_archE908ELNS1_3gpuE7ELNS1_3repE0EEENS1_30default_config_static_selectorELNS0_4arch9wavefront6targetE0EEEvT1_.numbered_sgpr, 0
	.set _ZN7rocprim17ROCPRIM_400000_NS6detail17trampoline_kernelINS0_14default_configENS1_25partition_config_selectorILNS1_17partition_subalgoE9EllbEEZZNS1_14partition_implILS5_9ELb0ES3_jPlS8_PNS0_10empty_typeENS0_5tupleIJS8_S9_EEENSB_IJS8_SA_EEENS0_18inequality_wrapperIZN2at6native12_GLOBAL__N_124unique_dim_cuda_templateIsEESt5tupleIJNSF_6TensorESK_SK_EERKSK_lbbbEUlllE0_EEPmJS9_EEE10hipError_tPvRmT3_T4_T5_T6_T7_T9_mT8_P12ihipStream_tbDpT10_ENKUlT_T0_E_clISt17integral_constantIbLb0EES19_IbLb1EEEEDaS15_S16_EUlS15_E_NS1_11comp_targetILNS1_3genE3ELNS1_11target_archE908ELNS1_3gpuE7ELNS1_3repE0EEENS1_30default_config_static_selectorELNS0_4arch9wavefront6targetE0EEEvT1_.num_named_barrier, 0
	.set _ZN7rocprim17ROCPRIM_400000_NS6detail17trampoline_kernelINS0_14default_configENS1_25partition_config_selectorILNS1_17partition_subalgoE9EllbEEZZNS1_14partition_implILS5_9ELb0ES3_jPlS8_PNS0_10empty_typeENS0_5tupleIJS8_S9_EEENSB_IJS8_SA_EEENS0_18inequality_wrapperIZN2at6native12_GLOBAL__N_124unique_dim_cuda_templateIsEESt5tupleIJNSF_6TensorESK_SK_EERKSK_lbbbEUlllE0_EEPmJS9_EEE10hipError_tPvRmT3_T4_T5_T6_T7_T9_mT8_P12ihipStream_tbDpT10_ENKUlT_T0_E_clISt17integral_constantIbLb0EES19_IbLb1EEEEDaS15_S16_EUlS15_E_NS1_11comp_targetILNS1_3genE3ELNS1_11target_archE908ELNS1_3gpuE7ELNS1_3repE0EEENS1_30default_config_static_selectorELNS0_4arch9wavefront6targetE0EEEvT1_.private_seg_size, 0
	.set _ZN7rocprim17ROCPRIM_400000_NS6detail17trampoline_kernelINS0_14default_configENS1_25partition_config_selectorILNS1_17partition_subalgoE9EllbEEZZNS1_14partition_implILS5_9ELb0ES3_jPlS8_PNS0_10empty_typeENS0_5tupleIJS8_S9_EEENSB_IJS8_SA_EEENS0_18inequality_wrapperIZN2at6native12_GLOBAL__N_124unique_dim_cuda_templateIsEESt5tupleIJNSF_6TensorESK_SK_EERKSK_lbbbEUlllE0_EEPmJS9_EEE10hipError_tPvRmT3_T4_T5_T6_T7_T9_mT8_P12ihipStream_tbDpT10_ENKUlT_T0_E_clISt17integral_constantIbLb0EES19_IbLb1EEEEDaS15_S16_EUlS15_E_NS1_11comp_targetILNS1_3genE3ELNS1_11target_archE908ELNS1_3gpuE7ELNS1_3repE0EEENS1_30default_config_static_selectorELNS0_4arch9wavefront6targetE0EEEvT1_.uses_vcc, 0
	.set _ZN7rocprim17ROCPRIM_400000_NS6detail17trampoline_kernelINS0_14default_configENS1_25partition_config_selectorILNS1_17partition_subalgoE9EllbEEZZNS1_14partition_implILS5_9ELb0ES3_jPlS8_PNS0_10empty_typeENS0_5tupleIJS8_S9_EEENSB_IJS8_SA_EEENS0_18inequality_wrapperIZN2at6native12_GLOBAL__N_124unique_dim_cuda_templateIsEESt5tupleIJNSF_6TensorESK_SK_EERKSK_lbbbEUlllE0_EEPmJS9_EEE10hipError_tPvRmT3_T4_T5_T6_T7_T9_mT8_P12ihipStream_tbDpT10_ENKUlT_T0_E_clISt17integral_constantIbLb0EES19_IbLb1EEEEDaS15_S16_EUlS15_E_NS1_11comp_targetILNS1_3genE3ELNS1_11target_archE908ELNS1_3gpuE7ELNS1_3repE0EEENS1_30default_config_static_selectorELNS0_4arch9wavefront6targetE0EEEvT1_.uses_flat_scratch, 0
	.set _ZN7rocprim17ROCPRIM_400000_NS6detail17trampoline_kernelINS0_14default_configENS1_25partition_config_selectorILNS1_17partition_subalgoE9EllbEEZZNS1_14partition_implILS5_9ELb0ES3_jPlS8_PNS0_10empty_typeENS0_5tupleIJS8_S9_EEENSB_IJS8_SA_EEENS0_18inequality_wrapperIZN2at6native12_GLOBAL__N_124unique_dim_cuda_templateIsEESt5tupleIJNSF_6TensorESK_SK_EERKSK_lbbbEUlllE0_EEPmJS9_EEE10hipError_tPvRmT3_T4_T5_T6_T7_T9_mT8_P12ihipStream_tbDpT10_ENKUlT_T0_E_clISt17integral_constantIbLb0EES19_IbLb1EEEEDaS15_S16_EUlS15_E_NS1_11comp_targetILNS1_3genE3ELNS1_11target_archE908ELNS1_3gpuE7ELNS1_3repE0EEENS1_30default_config_static_selectorELNS0_4arch9wavefront6targetE0EEEvT1_.has_dyn_sized_stack, 0
	.set _ZN7rocprim17ROCPRIM_400000_NS6detail17trampoline_kernelINS0_14default_configENS1_25partition_config_selectorILNS1_17partition_subalgoE9EllbEEZZNS1_14partition_implILS5_9ELb0ES3_jPlS8_PNS0_10empty_typeENS0_5tupleIJS8_S9_EEENSB_IJS8_SA_EEENS0_18inequality_wrapperIZN2at6native12_GLOBAL__N_124unique_dim_cuda_templateIsEESt5tupleIJNSF_6TensorESK_SK_EERKSK_lbbbEUlllE0_EEPmJS9_EEE10hipError_tPvRmT3_T4_T5_T6_T7_T9_mT8_P12ihipStream_tbDpT10_ENKUlT_T0_E_clISt17integral_constantIbLb0EES19_IbLb1EEEEDaS15_S16_EUlS15_E_NS1_11comp_targetILNS1_3genE3ELNS1_11target_archE908ELNS1_3gpuE7ELNS1_3repE0EEENS1_30default_config_static_selectorELNS0_4arch9wavefront6targetE0EEEvT1_.has_recursion, 0
	.set _ZN7rocprim17ROCPRIM_400000_NS6detail17trampoline_kernelINS0_14default_configENS1_25partition_config_selectorILNS1_17partition_subalgoE9EllbEEZZNS1_14partition_implILS5_9ELb0ES3_jPlS8_PNS0_10empty_typeENS0_5tupleIJS8_S9_EEENSB_IJS8_SA_EEENS0_18inequality_wrapperIZN2at6native12_GLOBAL__N_124unique_dim_cuda_templateIsEESt5tupleIJNSF_6TensorESK_SK_EERKSK_lbbbEUlllE0_EEPmJS9_EEE10hipError_tPvRmT3_T4_T5_T6_T7_T9_mT8_P12ihipStream_tbDpT10_ENKUlT_T0_E_clISt17integral_constantIbLb0EES19_IbLb1EEEEDaS15_S16_EUlS15_E_NS1_11comp_targetILNS1_3genE3ELNS1_11target_archE908ELNS1_3gpuE7ELNS1_3repE0EEENS1_30default_config_static_selectorELNS0_4arch9wavefront6targetE0EEEvT1_.has_indirect_call, 0
	.section	.AMDGPU.csdata,"",@progbits
; Kernel info:
; codeLenInByte = 0
; TotalNumSgprs: 0
; NumVgprs: 0
; ScratchSize: 0
; MemoryBound: 0
; FloatMode: 240
; IeeeMode: 1
; LDSByteSize: 0 bytes/workgroup (compile time only)
; SGPRBlocks: 0
; VGPRBlocks: 0
; NumSGPRsForWavesPerEU: 1
; NumVGPRsForWavesPerEU: 1
; NamedBarCnt: 0
; Occupancy: 16
; WaveLimiterHint : 0
; COMPUTE_PGM_RSRC2:SCRATCH_EN: 0
; COMPUTE_PGM_RSRC2:USER_SGPR: 2
; COMPUTE_PGM_RSRC2:TRAP_HANDLER: 0
; COMPUTE_PGM_RSRC2:TGID_X_EN: 1
; COMPUTE_PGM_RSRC2:TGID_Y_EN: 0
; COMPUTE_PGM_RSRC2:TGID_Z_EN: 0
; COMPUTE_PGM_RSRC2:TIDIG_COMP_CNT: 0
	.section	.text._ZN7rocprim17ROCPRIM_400000_NS6detail17trampoline_kernelINS0_14default_configENS1_25partition_config_selectorILNS1_17partition_subalgoE9EllbEEZZNS1_14partition_implILS5_9ELb0ES3_jPlS8_PNS0_10empty_typeENS0_5tupleIJS8_S9_EEENSB_IJS8_SA_EEENS0_18inequality_wrapperIZN2at6native12_GLOBAL__N_124unique_dim_cuda_templateIsEESt5tupleIJNSF_6TensorESK_SK_EERKSK_lbbbEUlllE0_EEPmJS9_EEE10hipError_tPvRmT3_T4_T5_T6_T7_T9_mT8_P12ihipStream_tbDpT10_ENKUlT_T0_E_clISt17integral_constantIbLb0EES19_IbLb1EEEEDaS15_S16_EUlS15_E_NS1_11comp_targetILNS1_3genE2ELNS1_11target_archE906ELNS1_3gpuE6ELNS1_3repE0EEENS1_30default_config_static_selectorELNS0_4arch9wavefront6targetE0EEEvT1_,"axG",@progbits,_ZN7rocprim17ROCPRIM_400000_NS6detail17trampoline_kernelINS0_14default_configENS1_25partition_config_selectorILNS1_17partition_subalgoE9EllbEEZZNS1_14partition_implILS5_9ELb0ES3_jPlS8_PNS0_10empty_typeENS0_5tupleIJS8_S9_EEENSB_IJS8_SA_EEENS0_18inequality_wrapperIZN2at6native12_GLOBAL__N_124unique_dim_cuda_templateIsEESt5tupleIJNSF_6TensorESK_SK_EERKSK_lbbbEUlllE0_EEPmJS9_EEE10hipError_tPvRmT3_T4_T5_T6_T7_T9_mT8_P12ihipStream_tbDpT10_ENKUlT_T0_E_clISt17integral_constantIbLb0EES19_IbLb1EEEEDaS15_S16_EUlS15_E_NS1_11comp_targetILNS1_3genE2ELNS1_11target_archE906ELNS1_3gpuE6ELNS1_3repE0EEENS1_30default_config_static_selectorELNS0_4arch9wavefront6targetE0EEEvT1_,comdat
	.globl	_ZN7rocprim17ROCPRIM_400000_NS6detail17trampoline_kernelINS0_14default_configENS1_25partition_config_selectorILNS1_17partition_subalgoE9EllbEEZZNS1_14partition_implILS5_9ELb0ES3_jPlS8_PNS0_10empty_typeENS0_5tupleIJS8_S9_EEENSB_IJS8_SA_EEENS0_18inequality_wrapperIZN2at6native12_GLOBAL__N_124unique_dim_cuda_templateIsEESt5tupleIJNSF_6TensorESK_SK_EERKSK_lbbbEUlllE0_EEPmJS9_EEE10hipError_tPvRmT3_T4_T5_T6_T7_T9_mT8_P12ihipStream_tbDpT10_ENKUlT_T0_E_clISt17integral_constantIbLb0EES19_IbLb1EEEEDaS15_S16_EUlS15_E_NS1_11comp_targetILNS1_3genE2ELNS1_11target_archE906ELNS1_3gpuE6ELNS1_3repE0EEENS1_30default_config_static_selectorELNS0_4arch9wavefront6targetE0EEEvT1_ ; -- Begin function _ZN7rocprim17ROCPRIM_400000_NS6detail17trampoline_kernelINS0_14default_configENS1_25partition_config_selectorILNS1_17partition_subalgoE9EllbEEZZNS1_14partition_implILS5_9ELb0ES3_jPlS8_PNS0_10empty_typeENS0_5tupleIJS8_S9_EEENSB_IJS8_SA_EEENS0_18inequality_wrapperIZN2at6native12_GLOBAL__N_124unique_dim_cuda_templateIsEESt5tupleIJNSF_6TensorESK_SK_EERKSK_lbbbEUlllE0_EEPmJS9_EEE10hipError_tPvRmT3_T4_T5_T6_T7_T9_mT8_P12ihipStream_tbDpT10_ENKUlT_T0_E_clISt17integral_constantIbLb0EES19_IbLb1EEEEDaS15_S16_EUlS15_E_NS1_11comp_targetILNS1_3genE2ELNS1_11target_archE906ELNS1_3gpuE6ELNS1_3repE0EEENS1_30default_config_static_selectorELNS0_4arch9wavefront6targetE0EEEvT1_
	.p2align	8
	.type	_ZN7rocprim17ROCPRIM_400000_NS6detail17trampoline_kernelINS0_14default_configENS1_25partition_config_selectorILNS1_17partition_subalgoE9EllbEEZZNS1_14partition_implILS5_9ELb0ES3_jPlS8_PNS0_10empty_typeENS0_5tupleIJS8_S9_EEENSB_IJS8_SA_EEENS0_18inequality_wrapperIZN2at6native12_GLOBAL__N_124unique_dim_cuda_templateIsEESt5tupleIJNSF_6TensorESK_SK_EERKSK_lbbbEUlllE0_EEPmJS9_EEE10hipError_tPvRmT3_T4_T5_T6_T7_T9_mT8_P12ihipStream_tbDpT10_ENKUlT_T0_E_clISt17integral_constantIbLb0EES19_IbLb1EEEEDaS15_S16_EUlS15_E_NS1_11comp_targetILNS1_3genE2ELNS1_11target_archE906ELNS1_3gpuE6ELNS1_3repE0EEENS1_30default_config_static_selectorELNS0_4arch9wavefront6targetE0EEEvT1_,@function
_ZN7rocprim17ROCPRIM_400000_NS6detail17trampoline_kernelINS0_14default_configENS1_25partition_config_selectorILNS1_17partition_subalgoE9EllbEEZZNS1_14partition_implILS5_9ELb0ES3_jPlS8_PNS0_10empty_typeENS0_5tupleIJS8_S9_EEENSB_IJS8_SA_EEENS0_18inequality_wrapperIZN2at6native12_GLOBAL__N_124unique_dim_cuda_templateIsEESt5tupleIJNSF_6TensorESK_SK_EERKSK_lbbbEUlllE0_EEPmJS9_EEE10hipError_tPvRmT3_T4_T5_T6_T7_T9_mT8_P12ihipStream_tbDpT10_ENKUlT_T0_E_clISt17integral_constantIbLb0EES19_IbLb1EEEEDaS15_S16_EUlS15_E_NS1_11comp_targetILNS1_3genE2ELNS1_11target_archE906ELNS1_3gpuE6ELNS1_3repE0EEENS1_30default_config_static_selectorELNS0_4arch9wavefront6targetE0EEEvT1_: ; @_ZN7rocprim17ROCPRIM_400000_NS6detail17trampoline_kernelINS0_14default_configENS1_25partition_config_selectorILNS1_17partition_subalgoE9EllbEEZZNS1_14partition_implILS5_9ELb0ES3_jPlS8_PNS0_10empty_typeENS0_5tupleIJS8_S9_EEENSB_IJS8_SA_EEENS0_18inequality_wrapperIZN2at6native12_GLOBAL__N_124unique_dim_cuda_templateIsEESt5tupleIJNSF_6TensorESK_SK_EERKSK_lbbbEUlllE0_EEPmJS9_EEE10hipError_tPvRmT3_T4_T5_T6_T7_T9_mT8_P12ihipStream_tbDpT10_ENKUlT_T0_E_clISt17integral_constantIbLb0EES19_IbLb1EEEEDaS15_S16_EUlS15_E_NS1_11comp_targetILNS1_3genE2ELNS1_11target_archE906ELNS1_3gpuE6ELNS1_3repE0EEENS1_30default_config_static_selectorELNS0_4arch9wavefront6targetE0EEEvT1_
; %bb.0:
	.section	.rodata,"a",@progbits
	.p2align	6, 0x0
	.amdhsa_kernel _ZN7rocprim17ROCPRIM_400000_NS6detail17trampoline_kernelINS0_14default_configENS1_25partition_config_selectorILNS1_17partition_subalgoE9EllbEEZZNS1_14partition_implILS5_9ELb0ES3_jPlS8_PNS0_10empty_typeENS0_5tupleIJS8_S9_EEENSB_IJS8_SA_EEENS0_18inequality_wrapperIZN2at6native12_GLOBAL__N_124unique_dim_cuda_templateIsEESt5tupleIJNSF_6TensorESK_SK_EERKSK_lbbbEUlllE0_EEPmJS9_EEE10hipError_tPvRmT3_T4_T5_T6_T7_T9_mT8_P12ihipStream_tbDpT10_ENKUlT_T0_E_clISt17integral_constantIbLb0EES19_IbLb1EEEEDaS15_S16_EUlS15_E_NS1_11comp_targetILNS1_3genE2ELNS1_11target_archE906ELNS1_3gpuE6ELNS1_3repE0EEENS1_30default_config_static_selectorELNS0_4arch9wavefront6targetE0EEEvT1_
		.amdhsa_group_segment_fixed_size 0
		.amdhsa_private_segment_fixed_size 0
		.amdhsa_kernarg_size 136
		.amdhsa_user_sgpr_count 2
		.amdhsa_user_sgpr_dispatch_ptr 0
		.amdhsa_user_sgpr_queue_ptr 0
		.amdhsa_user_sgpr_kernarg_segment_ptr 1
		.amdhsa_user_sgpr_dispatch_id 0
		.amdhsa_user_sgpr_kernarg_preload_length 0
		.amdhsa_user_sgpr_kernarg_preload_offset 0
		.amdhsa_user_sgpr_private_segment_size 0
		.amdhsa_wavefront_size32 1
		.amdhsa_uses_dynamic_stack 0
		.amdhsa_enable_private_segment 0
		.amdhsa_system_sgpr_workgroup_id_x 1
		.amdhsa_system_sgpr_workgroup_id_y 0
		.amdhsa_system_sgpr_workgroup_id_z 0
		.amdhsa_system_sgpr_workgroup_info 0
		.amdhsa_system_vgpr_workitem_id 0
		.amdhsa_next_free_vgpr 1
		.amdhsa_next_free_sgpr 1
		.amdhsa_named_barrier_count 0
		.amdhsa_reserve_vcc 0
		.amdhsa_float_round_mode_32 0
		.amdhsa_float_round_mode_16_64 0
		.amdhsa_float_denorm_mode_32 3
		.amdhsa_float_denorm_mode_16_64 3
		.amdhsa_fp16_overflow 0
		.amdhsa_memory_ordered 1
		.amdhsa_forward_progress 1
		.amdhsa_inst_pref_size 0
		.amdhsa_round_robin_scheduling 0
		.amdhsa_exception_fp_ieee_invalid_op 0
		.amdhsa_exception_fp_denorm_src 0
		.amdhsa_exception_fp_ieee_div_zero 0
		.amdhsa_exception_fp_ieee_overflow 0
		.amdhsa_exception_fp_ieee_underflow 0
		.amdhsa_exception_fp_ieee_inexact 0
		.amdhsa_exception_int_div_zero 0
	.end_amdhsa_kernel
	.section	.text._ZN7rocprim17ROCPRIM_400000_NS6detail17trampoline_kernelINS0_14default_configENS1_25partition_config_selectorILNS1_17partition_subalgoE9EllbEEZZNS1_14partition_implILS5_9ELb0ES3_jPlS8_PNS0_10empty_typeENS0_5tupleIJS8_S9_EEENSB_IJS8_SA_EEENS0_18inequality_wrapperIZN2at6native12_GLOBAL__N_124unique_dim_cuda_templateIsEESt5tupleIJNSF_6TensorESK_SK_EERKSK_lbbbEUlllE0_EEPmJS9_EEE10hipError_tPvRmT3_T4_T5_T6_T7_T9_mT8_P12ihipStream_tbDpT10_ENKUlT_T0_E_clISt17integral_constantIbLb0EES19_IbLb1EEEEDaS15_S16_EUlS15_E_NS1_11comp_targetILNS1_3genE2ELNS1_11target_archE906ELNS1_3gpuE6ELNS1_3repE0EEENS1_30default_config_static_selectorELNS0_4arch9wavefront6targetE0EEEvT1_,"axG",@progbits,_ZN7rocprim17ROCPRIM_400000_NS6detail17trampoline_kernelINS0_14default_configENS1_25partition_config_selectorILNS1_17partition_subalgoE9EllbEEZZNS1_14partition_implILS5_9ELb0ES3_jPlS8_PNS0_10empty_typeENS0_5tupleIJS8_S9_EEENSB_IJS8_SA_EEENS0_18inequality_wrapperIZN2at6native12_GLOBAL__N_124unique_dim_cuda_templateIsEESt5tupleIJNSF_6TensorESK_SK_EERKSK_lbbbEUlllE0_EEPmJS9_EEE10hipError_tPvRmT3_T4_T5_T6_T7_T9_mT8_P12ihipStream_tbDpT10_ENKUlT_T0_E_clISt17integral_constantIbLb0EES19_IbLb1EEEEDaS15_S16_EUlS15_E_NS1_11comp_targetILNS1_3genE2ELNS1_11target_archE906ELNS1_3gpuE6ELNS1_3repE0EEENS1_30default_config_static_selectorELNS0_4arch9wavefront6targetE0EEEvT1_,comdat
.Lfunc_end745:
	.size	_ZN7rocprim17ROCPRIM_400000_NS6detail17trampoline_kernelINS0_14default_configENS1_25partition_config_selectorILNS1_17partition_subalgoE9EllbEEZZNS1_14partition_implILS5_9ELb0ES3_jPlS8_PNS0_10empty_typeENS0_5tupleIJS8_S9_EEENSB_IJS8_SA_EEENS0_18inequality_wrapperIZN2at6native12_GLOBAL__N_124unique_dim_cuda_templateIsEESt5tupleIJNSF_6TensorESK_SK_EERKSK_lbbbEUlllE0_EEPmJS9_EEE10hipError_tPvRmT3_T4_T5_T6_T7_T9_mT8_P12ihipStream_tbDpT10_ENKUlT_T0_E_clISt17integral_constantIbLb0EES19_IbLb1EEEEDaS15_S16_EUlS15_E_NS1_11comp_targetILNS1_3genE2ELNS1_11target_archE906ELNS1_3gpuE6ELNS1_3repE0EEENS1_30default_config_static_selectorELNS0_4arch9wavefront6targetE0EEEvT1_, .Lfunc_end745-_ZN7rocprim17ROCPRIM_400000_NS6detail17trampoline_kernelINS0_14default_configENS1_25partition_config_selectorILNS1_17partition_subalgoE9EllbEEZZNS1_14partition_implILS5_9ELb0ES3_jPlS8_PNS0_10empty_typeENS0_5tupleIJS8_S9_EEENSB_IJS8_SA_EEENS0_18inequality_wrapperIZN2at6native12_GLOBAL__N_124unique_dim_cuda_templateIsEESt5tupleIJNSF_6TensorESK_SK_EERKSK_lbbbEUlllE0_EEPmJS9_EEE10hipError_tPvRmT3_T4_T5_T6_T7_T9_mT8_P12ihipStream_tbDpT10_ENKUlT_T0_E_clISt17integral_constantIbLb0EES19_IbLb1EEEEDaS15_S16_EUlS15_E_NS1_11comp_targetILNS1_3genE2ELNS1_11target_archE906ELNS1_3gpuE6ELNS1_3repE0EEENS1_30default_config_static_selectorELNS0_4arch9wavefront6targetE0EEEvT1_
                                        ; -- End function
	.set _ZN7rocprim17ROCPRIM_400000_NS6detail17trampoline_kernelINS0_14default_configENS1_25partition_config_selectorILNS1_17partition_subalgoE9EllbEEZZNS1_14partition_implILS5_9ELb0ES3_jPlS8_PNS0_10empty_typeENS0_5tupleIJS8_S9_EEENSB_IJS8_SA_EEENS0_18inequality_wrapperIZN2at6native12_GLOBAL__N_124unique_dim_cuda_templateIsEESt5tupleIJNSF_6TensorESK_SK_EERKSK_lbbbEUlllE0_EEPmJS9_EEE10hipError_tPvRmT3_T4_T5_T6_T7_T9_mT8_P12ihipStream_tbDpT10_ENKUlT_T0_E_clISt17integral_constantIbLb0EES19_IbLb1EEEEDaS15_S16_EUlS15_E_NS1_11comp_targetILNS1_3genE2ELNS1_11target_archE906ELNS1_3gpuE6ELNS1_3repE0EEENS1_30default_config_static_selectorELNS0_4arch9wavefront6targetE0EEEvT1_.num_vgpr, 0
	.set _ZN7rocprim17ROCPRIM_400000_NS6detail17trampoline_kernelINS0_14default_configENS1_25partition_config_selectorILNS1_17partition_subalgoE9EllbEEZZNS1_14partition_implILS5_9ELb0ES3_jPlS8_PNS0_10empty_typeENS0_5tupleIJS8_S9_EEENSB_IJS8_SA_EEENS0_18inequality_wrapperIZN2at6native12_GLOBAL__N_124unique_dim_cuda_templateIsEESt5tupleIJNSF_6TensorESK_SK_EERKSK_lbbbEUlllE0_EEPmJS9_EEE10hipError_tPvRmT3_T4_T5_T6_T7_T9_mT8_P12ihipStream_tbDpT10_ENKUlT_T0_E_clISt17integral_constantIbLb0EES19_IbLb1EEEEDaS15_S16_EUlS15_E_NS1_11comp_targetILNS1_3genE2ELNS1_11target_archE906ELNS1_3gpuE6ELNS1_3repE0EEENS1_30default_config_static_selectorELNS0_4arch9wavefront6targetE0EEEvT1_.num_agpr, 0
	.set _ZN7rocprim17ROCPRIM_400000_NS6detail17trampoline_kernelINS0_14default_configENS1_25partition_config_selectorILNS1_17partition_subalgoE9EllbEEZZNS1_14partition_implILS5_9ELb0ES3_jPlS8_PNS0_10empty_typeENS0_5tupleIJS8_S9_EEENSB_IJS8_SA_EEENS0_18inequality_wrapperIZN2at6native12_GLOBAL__N_124unique_dim_cuda_templateIsEESt5tupleIJNSF_6TensorESK_SK_EERKSK_lbbbEUlllE0_EEPmJS9_EEE10hipError_tPvRmT3_T4_T5_T6_T7_T9_mT8_P12ihipStream_tbDpT10_ENKUlT_T0_E_clISt17integral_constantIbLb0EES19_IbLb1EEEEDaS15_S16_EUlS15_E_NS1_11comp_targetILNS1_3genE2ELNS1_11target_archE906ELNS1_3gpuE6ELNS1_3repE0EEENS1_30default_config_static_selectorELNS0_4arch9wavefront6targetE0EEEvT1_.numbered_sgpr, 0
	.set _ZN7rocprim17ROCPRIM_400000_NS6detail17trampoline_kernelINS0_14default_configENS1_25partition_config_selectorILNS1_17partition_subalgoE9EllbEEZZNS1_14partition_implILS5_9ELb0ES3_jPlS8_PNS0_10empty_typeENS0_5tupleIJS8_S9_EEENSB_IJS8_SA_EEENS0_18inequality_wrapperIZN2at6native12_GLOBAL__N_124unique_dim_cuda_templateIsEESt5tupleIJNSF_6TensorESK_SK_EERKSK_lbbbEUlllE0_EEPmJS9_EEE10hipError_tPvRmT3_T4_T5_T6_T7_T9_mT8_P12ihipStream_tbDpT10_ENKUlT_T0_E_clISt17integral_constantIbLb0EES19_IbLb1EEEEDaS15_S16_EUlS15_E_NS1_11comp_targetILNS1_3genE2ELNS1_11target_archE906ELNS1_3gpuE6ELNS1_3repE0EEENS1_30default_config_static_selectorELNS0_4arch9wavefront6targetE0EEEvT1_.num_named_barrier, 0
	.set _ZN7rocprim17ROCPRIM_400000_NS6detail17trampoline_kernelINS0_14default_configENS1_25partition_config_selectorILNS1_17partition_subalgoE9EllbEEZZNS1_14partition_implILS5_9ELb0ES3_jPlS8_PNS0_10empty_typeENS0_5tupleIJS8_S9_EEENSB_IJS8_SA_EEENS0_18inequality_wrapperIZN2at6native12_GLOBAL__N_124unique_dim_cuda_templateIsEESt5tupleIJNSF_6TensorESK_SK_EERKSK_lbbbEUlllE0_EEPmJS9_EEE10hipError_tPvRmT3_T4_T5_T6_T7_T9_mT8_P12ihipStream_tbDpT10_ENKUlT_T0_E_clISt17integral_constantIbLb0EES19_IbLb1EEEEDaS15_S16_EUlS15_E_NS1_11comp_targetILNS1_3genE2ELNS1_11target_archE906ELNS1_3gpuE6ELNS1_3repE0EEENS1_30default_config_static_selectorELNS0_4arch9wavefront6targetE0EEEvT1_.private_seg_size, 0
	.set _ZN7rocprim17ROCPRIM_400000_NS6detail17trampoline_kernelINS0_14default_configENS1_25partition_config_selectorILNS1_17partition_subalgoE9EllbEEZZNS1_14partition_implILS5_9ELb0ES3_jPlS8_PNS0_10empty_typeENS0_5tupleIJS8_S9_EEENSB_IJS8_SA_EEENS0_18inequality_wrapperIZN2at6native12_GLOBAL__N_124unique_dim_cuda_templateIsEESt5tupleIJNSF_6TensorESK_SK_EERKSK_lbbbEUlllE0_EEPmJS9_EEE10hipError_tPvRmT3_T4_T5_T6_T7_T9_mT8_P12ihipStream_tbDpT10_ENKUlT_T0_E_clISt17integral_constantIbLb0EES19_IbLb1EEEEDaS15_S16_EUlS15_E_NS1_11comp_targetILNS1_3genE2ELNS1_11target_archE906ELNS1_3gpuE6ELNS1_3repE0EEENS1_30default_config_static_selectorELNS0_4arch9wavefront6targetE0EEEvT1_.uses_vcc, 0
	.set _ZN7rocprim17ROCPRIM_400000_NS6detail17trampoline_kernelINS0_14default_configENS1_25partition_config_selectorILNS1_17partition_subalgoE9EllbEEZZNS1_14partition_implILS5_9ELb0ES3_jPlS8_PNS0_10empty_typeENS0_5tupleIJS8_S9_EEENSB_IJS8_SA_EEENS0_18inequality_wrapperIZN2at6native12_GLOBAL__N_124unique_dim_cuda_templateIsEESt5tupleIJNSF_6TensorESK_SK_EERKSK_lbbbEUlllE0_EEPmJS9_EEE10hipError_tPvRmT3_T4_T5_T6_T7_T9_mT8_P12ihipStream_tbDpT10_ENKUlT_T0_E_clISt17integral_constantIbLb0EES19_IbLb1EEEEDaS15_S16_EUlS15_E_NS1_11comp_targetILNS1_3genE2ELNS1_11target_archE906ELNS1_3gpuE6ELNS1_3repE0EEENS1_30default_config_static_selectorELNS0_4arch9wavefront6targetE0EEEvT1_.uses_flat_scratch, 0
	.set _ZN7rocprim17ROCPRIM_400000_NS6detail17trampoline_kernelINS0_14default_configENS1_25partition_config_selectorILNS1_17partition_subalgoE9EllbEEZZNS1_14partition_implILS5_9ELb0ES3_jPlS8_PNS0_10empty_typeENS0_5tupleIJS8_S9_EEENSB_IJS8_SA_EEENS0_18inequality_wrapperIZN2at6native12_GLOBAL__N_124unique_dim_cuda_templateIsEESt5tupleIJNSF_6TensorESK_SK_EERKSK_lbbbEUlllE0_EEPmJS9_EEE10hipError_tPvRmT3_T4_T5_T6_T7_T9_mT8_P12ihipStream_tbDpT10_ENKUlT_T0_E_clISt17integral_constantIbLb0EES19_IbLb1EEEEDaS15_S16_EUlS15_E_NS1_11comp_targetILNS1_3genE2ELNS1_11target_archE906ELNS1_3gpuE6ELNS1_3repE0EEENS1_30default_config_static_selectorELNS0_4arch9wavefront6targetE0EEEvT1_.has_dyn_sized_stack, 0
	.set _ZN7rocprim17ROCPRIM_400000_NS6detail17trampoline_kernelINS0_14default_configENS1_25partition_config_selectorILNS1_17partition_subalgoE9EllbEEZZNS1_14partition_implILS5_9ELb0ES3_jPlS8_PNS0_10empty_typeENS0_5tupleIJS8_S9_EEENSB_IJS8_SA_EEENS0_18inequality_wrapperIZN2at6native12_GLOBAL__N_124unique_dim_cuda_templateIsEESt5tupleIJNSF_6TensorESK_SK_EERKSK_lbbbEUlllE0_EEPmJS9_EEE10hipError_tPvRmT3_T4_T5_T6_T7_T9_mT8_P12ihipStream_tbDpT10_ENKUlT_T0_E_clISt17integral_constantIbLb0EES19_IbLb1EEEEDaS15_S16_EUlS15_E_NS1_11comp_targetILNS1_3genE2ELNS1_11target_archE906ELNS1_3gpuE6ELNS1_3repE0EEENS1_30default_config_static_selectorELNS0_4arch9wavefront6targetE0EEEvT1_.has_recursion, 0
	.set _ZN7rocprim17ROCPRIM_400000_NS6detail17trampoline_kernelINS0_14default_configENS1_25partition_config_selectorILNS1_17partition_subalgoE9EllbEEZZNS1_14partition_implILS5_9ELb0ES3_jPlS8_PNS0_10empty_typeENS0_5tupleIJS8_S9_EEENSB_IJS8_SA_EEENS0_18inequality_wrapperIZN2at6native12_GLOBAL__N_124unique_dim_cuda_templateIsEESt5tupleIJNSF_6TensorESK_SK_EERKSK_lbbbEUlllE0_EEPmJS9_EEE10hipError_tPvRmT3_T4_T5_T6_T7_T9_mT8_P12ihipStream_tbDpT10_ENKUlT_T0_E_clISt17integral_constantIbLb0EES19_IbLb1EEEEDaS15_S16_EUlS15_E_NS1_11comp_targetILNS1_3genE2ELNS1_11target_archE906ELNS1_3gpuE6ELNS1_3repE0EEENS1_30default_config_static_selectorELNS0_4arch9wavefront6targetE0EEEvT1_.has_indirect_call, 0
	.section	.AMDGPU.csdata,"",@progbits
; Kernel info:
; codeLenInByte = 0
; TotalNumSgprs: 0
; NumVgprs: 0
; ScratchSize: 0
; MemoryBound: 0
; FloatMode: 240
; IeeeMode: 1
; LDSByteSize: 0 bytes/workgroup (compile time only)
; SGPRBlocks: 0
; VGPRBlocks: 0
; NumSGPRsForWavesPerEU: 1
; NumVGPRsForWavesPerEU: 1
; NamedBarCnt: 0
; Occupancy: 16
; WaveLimiterHint : 0
; COMPUTE_PGM_RSRC2:SCRATCH_EN: 0
; COMPUTE_PGM_RSRC2:USER_SGPR: 2
; COMPUTE_PGM_RSRC2:TRAP_HANDLER: 0
; COMPUTE_PGM_RSRC2:TGID_X_EN: 1
; COMPUTE_PGM_RSRC2:TGID_Y_EN: 0
; COMPUTE_PGM_RSRC2:TGID_Z_EN: 0
; COMPUTE_PGM_RSRC2:TIDIG_COMP_CNT: 0
	.section	.text._ZN7rocprim17ROCPRIM_400000_NS6detail17trampoline_kernelINS0_14default_configENS1_25partition_config_selectorILNS1_17partition_subalgoE9EllbEEZZNS1_14partition_implILS5_9ELb0ES3_jPlS8_PNS0_10empty_typeENS0_5tupleIJS8_S9_EEENSB_IJS8_SA_EEENS0_18inequality_wrapperIZN2at6native12_GLOBAL__N_124unique_dim_cuda_templateIsEESt5tupleIJNSF_6TensorESK_SK_EERKSK_lbbbEUlllE0_EEPmJS9_EEE10hipError_tPvRmT3_T4_T5_T6_T7_T9_mT8_P12ihipStream_tbDpT10_ENKUlT_T0_E_clISt17integral_constantIbLb0EES19_IbLb1EEEEDaS15_S16_EUlS15_E_NS1_11comp_targetILNS1_3genE10ELNS1_11target_archE1200ELNS1_3gpuE4ELNS1_3repE0EEENS1_30default_config_static_selectorELNS0_4arch9wavefront6targetE0EEEvT1_,"axG",@progbits,_ZN7rocprim17ROCPRIM_400000_NS6detail17trampoline_kernelINS0_14default_configENS1_25partition_config_selectorILNS1_17partition_subalgoE9EllbEEZZNS1_14partition_implILS5_9ELb0ES3_jPlS8_PNS0_10empty_typeENS0_5tupleIJS8_S9_EEENSB_IJS8_SA_EEENS0_18inequality_wrapperIZN2at6native12_GLOBAL__N_124unique_dim_cuda_templateIsEESt5tupleIJNSF_6TensorESK_SK_EERKSK_lbbbEUlllE0_EEPmJS9_EEE10hipError_tPvRmT3_T4_T5_T6_T7_T9_mT8_P12ihipStream_tbDpT10_ENKUlT_T0_E_clISt17integral_constantIbLb0EES19_IbLb1EEEEDaS15_S16_EUlS15_E_NS1_11comp_targetILNS1_3genE10ELNS1_11target_archE1200ELNS1_3gpuE4ELNS1_3repE0EEENS1_30default_config_static_selectorELNS0_4arch9wavefront6targetE0EEEvT1_,comdat
	.globl	_ZN7rocprim17ROCPRIM_400000_NS6detail17trampoline_kernelINS0_14default_configENS1_25partition_config_selectorILNS1_17partition_subalgoE9EllbEEZZNS1_14partition_implILS5_9ELb0ES3_jPlS8_PNS0_10empty_typeENS0_5tupleIJS8_S9_EEENSB_IJS8_SA_EEENS0_18inequality_wrapperIZN2at6native12_GLOBAL__N_124unique_dim_cuda_templateIsEESt5tupleIJNSF_6TensorESK_SK_EERKSK_lbbbEUlllE0_EEPmJS9_EEE10hipError_tPvRmT3_T4_T5_T6_T7_T9_mT8_P12ihipStream_tbDpT10_ENKUlT_T0_E_clISt17integral_constantIbLb0EES19_IbLb1EEEEDaS15_S16_EUlS15_E_NS1_11comp_targetILNS1_3genE10ELNS1_11target_archE1200ELNS1_3gpuE4ELNS1_3repE0EEENS1_30default_config_static_selectorELNS0_4arch9wavefront6targetE0EEEvT1_ ; -- Begin function _ZN7rocprim17ROCPRIM_400000_NS6detail17trampoline_kernelINS0_14default_configENS1_25partition_config_selectorILNS1_17partition_subalgoE9EllbEEZZNS1_14partition_implILS5_9ELb0ES3_jPlS8_PNS0_10empty_typeENS0_5tupleIJS8_S9_EEENSB_IJS8_SA_EEENS0_18inequality_wrapperIZN2at6native12_GLOBAL__N_124unique_dim_cuda_templateIsEESt5tupleIJNSF_6TensorESK_SK_EERKSK_lbbbEUlllE0_EEPmJS9_EEE10hipError_tPvRmT3_T4_T5_T6_T7_T9_mT8_P12ihipStream_tbDpT10_ENKUlT_T0_E_clISt17integral_constantIbLb0EES19_IbLb1EEEEDaS15_S16_EUlS15_E_NS1_11comp_targetILNS1_3genE10ELNS1_11target_archE1200ELNS1_3gpuE4ELNS1_3repE0EEENS1_30default_config_static_selectorELNS0_4arch9wavefront6targetE0EEEvT1_
	.p2align	8
	.type	_ZN7rocprim17ROCPRIM_400000_NS6detail17trampoline_kernelINS0_14default_configENS1_25partition_config_selectorILNS1_17partition_subalgoE9EllbEEZZNS1_14partition_implILS5_9ELb0ES3_jPlS8_PNS0_10empty_typeENS0_5tupleIJS8_S9_EEENSB_IJS8_SA_EEENS0_18inequality_wrapperIZN2at6native12_GLOBAL__N_124unique_dim_cuda_templateIsEESt5tupleIJNSF_6TensorESK_SK_EERKSK_lbbbEUlllE0_EEPmJS9_EEE10hipError_tPvRmT3_T4_T5_T6_T7_T9_mT8_P12ihipStream_tbDpT10_ENKUlT_T0_E_clISt17integral_constantIbLb0EES19_IbLb1EEEEDaS15_S16_EUlS15_E_NS1_11comp_targetILNS1_3genE10ELNS1_11target_archE1200ELNS1_3gpuE4ELNS1_3repE0EEENS1_30default_config_static_selectorELNS0_4arch9wavefront6targetE0EEEvT1_,@function
_ZN7rocprim17ROCPRIM_400000_NS6detail17trampoline_kernelINS0_14default_configENS1_25partition_config_selectorILNS1_17partition_subalgoE9EllbEEZZNS1_14partition_implILS5_9ELb0ES3_jPlS8_PNS0_10empty_typeENS0_5tupleIJS8_S9_EEENSB_IJS8_SA_EEENS0_18inequality_wrapperIZN2at6native12_GLOBAL__N_124unique_dim_cuda_templateIsEESt5tupleIJNSF_6TensorESK_SK_EERKSK_lbbbEUlllE0_EEPmJS9_EEE10hipError_tPvRmT3_T4_T5_T6_T7_T9_mT8_P12ihipStream_tbDpT10_ENKUlT_T0_E_clISt17integral_constantIbLb0EES19_IbLb1EEEEDaS15_S16_EUlS15_E_NS1_11comp_targetILNS1_3genE10ELNS1_11target_archE1200ELNS1_3gpuE4ELNS1_3repE0EEENS1_30default_config_static_selectorELNS0_4arch9wavefront6targetE0EEEvT1_: ; @_ZN7rocprim17ROCPRIM_400000_NS6detail17trampoline_kernelINS0_14default_configENS1_25partition_config_selectorILNS1_17partition_subalgoE9EllbEEZZNS1_14partition_implILS5_9ELb0ES3_jPlS8_PNS0_10empty_typeENS0_5tupleIJS8_S9_EEENSB_IJS8_SA_EEENS0_18inequality_wrapperIZN2at6native12_GLOBAL__N_124unique_dim_cuda_templateIsEESt5tupleIJNSF_6TensorESK_SK_EERKSK_lbbbEUlllE0_EEPmJS9_EEE10hipError_tPvRmT3_T4_T5_T6_T7_T9_mT8_P12ihipStream_tbDpT10_ENKUlT_T0_E_clISt17integral_constantIbLb0EES19_IbLb1EEEEDaS15_S16_EUlS15_E_NS1_11comp_targetILNS1_3genE10ELNS1_11target_archE1200ELNS1_3gpuE4ELNS1_3repE0EEENS1_30default_config_static_selectorELNS0_4arch9wavefront6targetE0EEEvT1_
; %bb.0:
	.section	.rodata,"a",@progbits
	.p2align	6, 0x0
	.amdhsa_kernel _ZN7rocprim17ROCPRIM_400000_NS6detail17trampoline_kernelINS0_14default_configENS1_25partition_config_selectorILNS1_17partition_subalgoE9EllbEEZZNS1_14partition_implILS5_9ELb0ES3_jPlS8_PNS0_10empty_typeENS0_5tupleIJS8_S9_EEENSB_IJS8_SA_EEENS0_18inequality_wrapperIZN2at6native12_GLOBAL__N_124unique_dim_cuda_templateIsEESt5tupleIJNSF_6TensorESK_SK_EERKSK_lbbbEUlllE0_EEPmJS9_EEE10hipError_tPvRmT3_T4_T5_T6_T7_T9_mT8_P12ihipStream_tbDpT10_ENKUlT_T0_E_clISt17integral_constantIbLb0EES19_IbLb1EEEEDaS15_S16_EUlS15_E_NS1_11comp_targetILNS1_3genE10ELNS1_11target_archE1200ELNS1_3gpuE4ELNS1_3repE0EEENS1_30default_config_static_selectorELNS0_4arch9wavefront6targetE0EEEvT1_
		.amdhsa_group_segment_fixed_size 0
		.amdhsa_private_segment_fixed_size 0
		.amdhsa_kernarg_size 136
		.amdhsa_user_sgpr_count 2
		.amdhsa_user_sgpr_dispatch_ptr 0
		.amdhsa_user_sgpr_queue_ptr 0
		.amdhsa_user_sgpr_kernarg_segment_ptr 1
		.amdhsa_user_sgpr_dispatch_id 0
		.amdhsa_user_sgpr_kernarg_preload_length 0
		.amdhsa_user_sgpr_kernarg_preload_offset 0
		.amdhsa_user_sgpr_private_segment_size 0
		.amdhsa_wavefront_size32 1
		.amdhsa_uses_dynamic_stack 0
		.amdhsa_enable_private_segment 0
		.amdhsa_system_sgpr_workgroup_id_x 1
		.amdhsa_system_sgpr_workgroup_id_y 0
		.amdhsa_system_sgpr_workgroup_id_z 0
		.amdhsa_system_sgpr_workgroup_info 0
		.amdhsa_system_vgpr_workitem_id 0
		.amdhsa_next_free_vgpr 1
		.amdhsa_next_free_sgpr 1
		.amdhsa_named_barrier_count 0
		.amdhsa_reserve_vcc 0
		.amdhsa_float_round_mode_32 0
		.amdhsa_float_round_mode_16_64 0
		.amdhsa_float_denorm_mode_32 3
		.amdhsa_float_denorm_mode_16_64 3
		.amdhsa_fp16_overflow 0
		.amdhsa_memory_ordered 1
		.amdhsa_forward_progress 1
		.amdhsa_inst_pref_size 0
		.amdhsa_round_robin_scheduling 0
		.amdhsa_exception_fp_ieee_invalid_op 0
		.amdhsa_exception_fp_denorm_src 0
		.amdhsa_exception_fp_ieee_div_zero 0
		.amdhsa_exception_fp_ieee_overflow 0
		.amdhsa_exception_fp_ieee_underflow 0
		.amdhsa_exception_fp_ieee_inexact 0
		.amdhsa_exception_int_div_zero 0
	.end_amdhsa_kernel
	.section	.text._ZN7rocprim17ROCPRIM_400000_NS6detail17trampoline_kernelINS0_14default_configENS1_25partition_config_selectorILNS1_17partition_subalgoE9EllbEEZZNS1_14partition_implILS5_9ELb0ES3_jPlS8_PNS0_10empty_typeENS0_5tupleIJS8_S9_EEENSB_IJS8_SA_EEENS0_18inequality_wrapperIZN2at6native12_GLOBAL__N_124unique_dim_cuda_templateIsEESt5tupleIJNSF_6TensorESK_SK_EERKSK_lbbbEUlllE0_EEPmJS9_EEE10hipError_tPvRmT3_T4_T5_T6_T7_T9_mT8_P12ihipStream_tbDpT10_ENKUlT_T0_E_clISt17integral_constantIbLb0EES19_IbLb1EEEEDaS15_S16_EUlS15_E_NS1_11comp_targetILNS1_3genE10ELNS1_11target_archE1200ELNS1_3gpuE4ELNS1_3repE0EEENS1_30default_config_static_selectorELNS0_4arch9wavefront6targetE0EEEvT1_,"axG",@progbits,_ZN7rocprim17ROCPRIM_400000_NS6detail17trampoline_kernelINS0_14default_configENS1_25partition_config_selectorILNS1_17partition_subalgoE9EllbEEZZNS1_14partition_implILS5_9ELb0ES3_jPlS8_PNS0_10empty_typeENS0_5tupleIJS8_S9_EEENSB_IJS8_SA_EEENS0_18inequality_wrapperIZN2at6native12_GLOBAL__N_124unique_dim_cuda_templateIsEESt5tupleIJNSF_6TensorESK_SK_EERKSK_lbbbEUlllE0_EEPmJS9_EEE10hipError_tPvRmT3_T4_T5_T6_T7_T9_mT8_P12ihipStream_tbDpT10_ENKUlT_T0_E_clISt17integral_constantIbLb0EES19_IbLb1EEEEDaS15_S16_EUlS15_E_NS1_11comp_targetILNS1_3genE10ELNS1_11target_archE1200ELNS1_3gpuE4ELNS1_3repE0EEENS1_30default_config_static_selectorELNS0_4arch9wavefront6targetE0EEEvT1_,comdat
.Lfunc_end746:
	.size	_ZN7rocprim17ROCPRIM_400000_NS6detail17trampoline_kernelINS0_14default_configENS1_25partition_config_selectorILNS1_17partition_subalgoE9EllbEEZZNS1_14partition_implILS5_9ELb0ES3_jPlS8_PNS0_10empty_typeENS0_5tupleIJS8_S9_EEENSB_IJS8_SA_EEENS0_18inequality_wrapperIZN2at6native12_GLOBAL__N_124unique_dim_cuda_templateIsEESt5tupleIJNSF_6TensorESK_SK_EERKSK_lbbbEUlllE0_EEPmJS9_EEE10hipError_tPvRmT3_T4_T5_T6_T7_T9_mT8_P12ihipStream_tbDpT10_ENKUlT_T0_E_clISt17integral_constantIbLb0EES19_IbLb1EEEEDaS15_S16_EUlS15_E_NS1_11comp_targetILNS1_3genE10ELNS1_11target_archE1200ELNS1_3gpuE4ELNS1_3repE0EEENS1_30default_config_static_selectorELNS0_4arch9wavefront6targetE0EEEvT1_, .Lfunc_end746-_ZN7rocprim17ROCPRIM_400000_NS6detail17trampoline_kernelINS0_14default_configENS1_25partition_config_selectorILNS1_17partition_subalgoE9EllbEEZZNS1_14partition_implILS5_9ELb0ES3_jPlS8_PNS0_10empty_typeENS0_5tupleIJS8_S9_EEENSB_IJS8_SA_EEENS0_18inequality_wrapperIZN2at6native12_GLOBAL__N_124unique_dim_cuda_templateIsEESt5tupleIJNSF_6TensorESK_SK_EERKSK_lbbbEUlllE0_EEPmJS9_EEE10hipError_tPvRmT3_T4_T5_T6_T7_T9_mT8_P12ihipStream_tbDpT10_ENKUlT_T0_E_clISt17integral_constantIbLb0EES19_IbLb1EEEEDaS15_S16_EUlS15_E_NS1_11comp_targetILNS1_3genE10ELNS1_11target_archE1200ELNS1_3gpuE4ELNS1_3repE0EEENS1_30default_config_static_selectorELNS0_4arch9wavefront6targetE0EEEvT1_
                                        ; -- End function
	.set _ZN7rocprim17ROCPRIM_400000_NS6detail17trampoline_kernelINS0_14default_configENS1_25partition_config_selectorILNS1_17partition_subalgoE9EllbEEZZNS1_14partition_implILS5_9ELb0ES3_jPlS8_PNS0_10empty_typeENS0_5tupleIJS8_S9_EEENSB_IJS8_SA_EEENS0_18inequality_wrapperIZN2at6native12_GLOBAL__N_124unique_dim_cuda_templateIsEESt5tupleIJNSF_6TensorESK_SK_EERKSK_lbbbEUlllE0_EEPmJS9_EEE10hipError_tPvRmT3_T4_T5_T6_T7_T9_mT8_P12ihipStream_tbDpT10_ENKUlT_T0_E_clISt17integral_constantIbLb0EES19_IbLb1EEEEDaS15_S16_EUlS15_E_NS1_11comp_targetILNS1_3genE10ELNS1_11target_archE1200ELNS1_3gpuE4ELNS1_3repE0EEENS1_30default_config_static_selectorELNS0_4arch9wavefront6targetE0EEEvT1_.num_vgpr, 0
	.set _ZN7rocprim17ROCPRIM_400000_NS6detail17trampoline_kernelINS0_14default_configENS1_25partition_config_selectorILNS1_17partition_subalgoE9EllbEEZZNS1_14partition_implILS5_9ELb0ES3_jPlS8_PNS0_10empty_typeENS0_5tupleIJS8_S9_EEENSB_IJS8_SA_EEENS0_18inequality_wrapperIZN2at6native12_GLOBAL__N_124unique_dim_cuda_templateIsEESt5tupleIJNSF_6TensorESK_SK_EERKSK_lbbbEUlllE0_EEPmJS9_EEE10hipError_tPvRmT3_T4_T5_T6_T7_T9_mT8_P12ihipStream_tbDpT10_ENKUlT_T0_E_clISt17integral_constantIbLb0EES19_IbLb1EEEEDaS15_S16_EUlS15_E_NS1_11comp_targetILNS1_3genE10ELNS1_11target_archE1200ELNS1_3gpuE4ELNS1_3repE0EEENS1_30default_config_static_selectorELNS0_4arch9wavefront6targetE0EEEvT1_.num_agpr, 0
	.set _ZN7rocprim17ROCPRIM_400000_NS6detail17trampoline_kernelINS0_14default_configENS1_25partition_config_selectorILNS1_17partition_subalgoE9EllbEEZZNS1_14partition_implILS5_9ELb0ES3_jPlS8_PNS0_10empty_typeENS0_5tupleIJS8_S9_EEENSB_IJS8_SA_EEENS0_18inequality_wrapperIZN2at6native12_GLOBAL__N_124unique_dim_cuda_templateIsEESt5tupleIJNSF_6TensorESK_SK_EERKSK_lbbbEUlllE0_EEPmJS9_EEE10hipError_tPvRmT3_T4_T5_T6_T7_T9_mT8_P12ihipStream_tbDpT10_ENKUlT_T0_E_clISt17integral_constantIbLb0EES19_IbLb1EEEEDaS15_S16_EUlS15_E_NS1_11comp_targetILNS1_3genE10ELNS1_11target_archE1200ELNS1_3gpuE4ELNS1_3repE0EEENS1_30default_config_static_selectorELNS0_4arch9wavefront6targetE0EEEvT1_.numbered_sgpr, 0
	.set _ZN7rocprim17ROCPRIM_400000_NS6detail17trampoline_kernelINS0_14default_configENS1_25partition_config_selectorILNS1_17partition_subalgoE9EllbEEZZNS1_14partition_implILS5_9ELb0ES3_jPlS8_PNS0_10empty_typeENS0_5tupleIJS8_S9_EEENSB_IJS8_SA_EEENS0_18inequality_wrapperIZN2at6native12_GLOBAL__N_124unique_dim_cuda_templateIsEESt5tupleIJNSF_6TensorESK_SK_EERKSK_lbbbEUlllE0_EEPmJS9_EEE10hipError_tPvRmT3_T4_T5_T6_T7_T9_mT8_P12ihipStream_tbDpT10_ENKUlT_T0_E_clISt17integral_constantIbLb0EES19_IbLb1EEEEDaS15_S16_EUlS15_E_NS1_11comp_targetILNS1_3genE10ELNS1_11target_archE1200ELNS1_3gpuE4ELNS1_3repE0EEENS1_30default_config_static_selectorELNS0_4arch9wavefront6targetE0EEEvT1_.num_named_barrier, 0
	.set _ZN7rocprim17ROCPRIM_400000_NS6detail17trampoline_kernelINS0_14default_configENS1_25partition_config_selectorILNS1_17partition_subalgoE9EllbEEZZNS1_14partition_implILS5_9ELb0ES3_jPlS8_PNS0_10empty_typeENS0_5tupleIJS8_S9_EEENSB_IJS8_SA_EEENS0_18inequality_wrapperIZN2at6native12_GLOBAL__N_124unique_dim_cuda_templateIsEESt5tupleIJNSF_6TensorESK_SK_EERKSK_lbbbEUlllE0_EEPmJS9_EEE10hipError_tPvRmT3_T4_T5_T6_T7_T9_mT8_P12ihipStream_tbDpT10_ENKUlT_T0_E_clISt17integral_constantIbLb0EES19_IbLb1EEEEDaS15_S16_EUlS15_E_NS1_11comp_targetILNS1_3genE10ELNS1_11target_archE1200ELNS1_3gpuE4ELNS1_3repE0EEENS1_30default_config_static_selectorELNS0_4arch9wavefront6targetE0EEEvT1_.private_seg_size, 0
	.set _ZN7rocprim17ROCPRIM_400000_NS6detail17trampoline_kernelINS0_14default_configENS1_25partition_config_selectorILNS1_17partition_subalgoE9EllbEEZZNS1_14partition_implILS5_9ELb0ES3_jPlS8_PNS0_10empty_typeENS0_5tupleIJS8_S9_EEENSB_IJS8_SA_EEENS0_18inequality_wrapperIZN2at6native12_GLOBAL__N_124unique_dim_cuda_templateIsEESt5tupleIJNSF_6TensorESK_SK_EERKSK_lbbbEUlllE0_EEPmJS9_EEE10hipError_tPvRmT3_T4_T5_T6_T7_T9_mT8_P12ihipStream_tbDpT10_ENKUlT_T0_E_clISt17integral_constantIbLb0EES19_IbLb1EEEEDaS15_S16_EUlS15_E_NS1_11comp_targetILNS1_3genE10ELNS1_11target_archE1200ELNS1_3gpuE4ELNS1_3repE0EEENS1_30default_config_static_selectorELNS0_4arch9wavefront6targetE0EEEvT1_.uses_vcc, 0
	.set _ZN7rocprim17ROCPRIM_400000_NS6detail17trampoline_kernelINS0_14default_configENS1_25partition_config_selectorILNS1_17partition_subalgoE9EllbEEZZNS1_14partition_implILS5_9ELb0ES3_jPlS8_PNS0_10empty_typeENS0_5tupleIJS8_S9_EEENSB_IJS8_SA_EEENS0_18inequality_wrapperIZN2at6native12_GLOBAL__N_124unique_dim_cuda_templateIsEESt5tupleIJNSF_6TensorESK_SK_EERKSK_lbbbEUlllE0_EEPmJS9_EEE10hipError_tPvRmT3_T4_T5_T6_T7_T9_mT8_P12ihipStream_tbDpT10_ENKUlT_T0_E_clISt17integral_constantIbLb0EES19_IbLb1EEEEDaS15_S16_EUlS15_E_NS1_11comp_targetILNS1_3genE10ELNS1_11target_archE1200ELNS1_3gpuE4ELNS1_3repE0EEENS1_30default_config_static_selectorELNS0_4arch9wavefront6targetE0EEEvT1_.uses_flat_scratch, 0
	.set _ZN7rocprim17ROCPRIM_400000_NS6detail17trampoline_kernelINS0_14default_configENS1_25partition_config_selectorILNS1_17partition_subalgoE9EllbEEZZNS1_14partition_implILS5_9ELb0ES3_jPlS8_PNS0_10empty_typeENS0_5tupleIJS8_S9_EEENSB_IJS8_SA_EEENS0_18inequality_wrapperIZN2at6native12_GLOBAL__N_124unique_dim_cuda_templateIsEESt5tupleIJNSF_6TensorESK_SK_EERKSK_lbbbEUlllE0_EEPmJS9_EEE10hipError_tPvRmT3_T4_T5_T6_T7_T9_mT8_P12ihipStream_tbDpT10_ENKUlT_T0_E_clISt17integral_constantIbLb0EES19_IbLb1EEEEDaS15_S16_EUlS15_E_NS1_11comp_targetILNS1_3genE10ELNS1_11target_archE1200ELNS1_3gpuE4ELNS1_3repE0EEENS1_30default_config_static_selectorELNS0_4arch9wavefront6targetE0EEEvT1_.has_dyn_sized_stack, 0
	.set _ZN7rocprim17ROCPRIM_400000_NS6detail17trampoline_kernelINS0_14default_configENS1_25partition_config_selectorILNS1_17partition_subalgoE9EllbEEZZNS1_14partition_implILS5_9ELb0ES3_jPlS8_PNS0_10empty_typeENS0_5tupleIJS8_S9_EEENSB_IJS8_SA_EEENS0_18inequality_wrapperIZN2at6native12_GLOBAL__N_124unique_dim_cuda_templateIsEESt5tupleIJNSF_6TensorESK_SK_EERKSK_lbbbEUlllE0_EEPmJS9_EEE10hipError_tPvRmT3_T4_T5_T6_T7_T9_mT8_P12ihipStream_tbDpT10_ENKUlT_T0_E_clISt17integral_constantIbLb0EES19_IbLb1EEEEDaS15_S16_EUlS15_E_NS1_11comp_targetILNS1_3genE10ELNS1_11target_archE1200ELNS1_3gpuE4ELNS1_3repE0EEENS1_30default_config_static_selectorELNS0_4arch9wavefront6targetE0EEEvT1_.has_recursion, 0
	.set _ZN7rocprim17ROCPRIM_400000_NS6detail17trampoline_kernelINS0_14default_configENS1_25partition_config_selectorILNS1_17partition_subalgoE9EllbEEZZNS1_14partition_implILS5_9ELb0ES3_jPlS8_PNS0_10empty_typeENS0_5tupleIJS8_S9_EEENSB_IJS8_SA_EEENS0_18inequality_wrapperIZN2at6native12_GLOBAL__N_124unique_dim_cuda_templateIsEESt5tupleIJNSF_6TensorESK_SK_EERKSK_lbbbEUlllE0_EEPmJS9_EEE10hipError_tPvRmT3_T4_T5_T6_T7_T9_mT8_P12ihipStream_tbDpT10_ENKUlT_T0_E_clISt17integral_constantIbLb0EES19_IbLb1EEEEDaS15_S16_EUlS15_E_NS1_11comp_targetILNS1_3genE10ELNS1_11target_archE1200ELNS1_3gpuE4ELNS1_3repE0EEENS1_30default_config_static_selectorELNS0_4arch9wavefront6targetE0EEEvT1_.has_indirect_call, 0
	.section	.AMDGPU.csdata,"",@progbits
; Kernel info:
; codeLenInByte = 0
; TotalNumSgprs: 0
; NumVgprs: 0
; ScratchSize: 0
; MemoryBound: 0
; FloatMode: 240
; IeeeMode: 1
; LDSByteSize: 0 bytes/workgroup (compile time only)
; SGPRBlocks: 0
; VGPRBlocks: 0
; NumSGPRsForWavesPerEU: 1
; NumVGPRsForWavesPerEU: 1
; NamedBarCnt: 0
; Occupancy: 16
; WaveLimiterHint : 0
; COMPUTE_PGM_RSRC2:SCRATCH_EN: 0
; COMPUTE_PGM_RSRC2:USER_SGPR: 2
; COMPUTE_PGM_RSRC2:TRAP_HANDLER: 0
; COMPUTE_PGM_RSRC2:TGID_X_EN: 1
; COMPUTE_PGM_RSRC2:TGID_Y_EN: 0
; COMPUTE_PGM_RSRC2:TGID_Z_EN: 0
; COMPUTE_PGM_RSRC2:TIDIG_COMP_CNT: 0
	.section	.text._ZN7rocprim17ROCPRIM_400000_NS6detail17trampoline_kernelINS0_14default_configENS1_25partition_config_selectorILNS1_17partition_subalgoE9EllbEEZZNS1_14partition_implILS5_9ELb0ES3_jPlS8_PNS0_10empty_typeENS0_5tupleIJS8_S9_EEENSB_IJS8_SA_EEENS0_18inequality_wrapperIZN2at6native12_GLOBAL__N_124unique_dim_cuda_templateIsEESt5tupleIJNSF_6TensorESK_SK_EERKSK_lbbbEUlllE0_EEPmJS9_EEE10hipError_tPvRmT3_T4_T5_T6_T7_T9_mT8_P12ihipStream_tbDpT10_ENKUlT_T0_E_clISt17integral_constantIbLb0EES19_IbLb1EEEEDaS15_S16_EUlS15_E_NS1_11comp_targetILNS1_3genE9ELNS1_11target_archE1100ELNS1_3gpuE3ELNS1_3repE0EEENS1_30default_config_static_selectorELNS0_4arch9wavefront6targetE0EEEvT1_,"axG",@progbits,_ZN7rocprim17ROCPRIM_400000_NS6detail17trampoline_kernelINS0_14default_configENS1_25partition_config_selectorILNS1_17partition_subalgoE9EllbEEZZNS1_14partition_implILS5_9ELb0ES3_jPlS8_PNS0_10empty_typeENS0_5tupleIJS8_S9_EEENSB_IJS8_SA_EEENS0_18inequality_wrapperIZN2at6native12_GLOBAL__N_124unique_dim_cuda_templateIsEESt5tupleIJNSF_6TensorESK_SK_EERKSK_lbbbEUlllE0_EEPmJS9_EEE10hipError_tPvRmT3_T4_T5_T6_T7_T9_mT8_P12ihipStream_tbDpT10_ENKUlT_T0_E_clISt17integral_constantIbLb0EES19_IbLb1EEEEDaS15_S16_EUlS15_E_NS1_11comp_targetILNS1_3genE9ELNS1_11target_archE1100ELNS1_3gpuE3ELNS1_3repE0EEENS1_30default_config_static_selectorELNS0_4arch9wavefront6targetE0EEEvT1_,comdat
	.globl	_ZN7rocprim17ROCPRIM_400000_NS6detail17trampoline_kernelINS0_14default_configENS1_25partition_config_selectorILNS1_17partition_subalgoE9EllbEEZZNS1_14partition_implILS5_9ELb0ES3_jPlS8_PNS0_10empty_typeENS0_5tupleIJS8_S9_EEENSB_IJS8_SA_EEENS0_18inequality_wrapperIZN2at6native12_GLOBAL__N_124unique_dim_cuda_templateIsEESt5tupleIJNSF_6TensorESK_SK_EERKSK_lbbbEUlllE0_EEPmJS9_EEE10hipError_tPvRmT3_T4_T5_T6_T7_T9_mT8_P12ihipStream_tbDpT10_ENKUlT_T0_E_clISt17integral_constantIbLb0EES19_IbLb1EEEEDaS15_S16_EUlS15_E_NS1_11comp_targetILNS1_3genE9ELNS1_11target_archE1100ELNS1_3gpuE3ELNS1_3repE0EEENS1_30default_config_static_selectorELNS0_4arch9wavefront6targetE0EEEvT1_ ; -- Begin function _ZN7rocprim17ROCPRIM_400000_NS6detail17trampoline_kernelINS0_14default_configENS1_25partition_config_selectorILNS1_17partition_subalgoE9EllbEEZZNS1_14partition_implILS5_9ELb0ES3_jPlS8_PNS0_10empty_typeENS0_5tupleIJS8_S9_EEENSB_IJS8_SA_EEENS0_18inequality_wrapperIZN2at6native12_GLOBAL__N_124unique_dim_cuda_templateIsEESt5tupleIJNSF_6TensorESK_SK_EERKSK_lbbbEUlllE0_EEPmJS9_EEE10hipError_tPvRmT3_T4_T5_T6_T7_T9_mT8_P12ihipStream_tbDpT10_ENKUlT_T0_E_clISt17integral_constantIbLb0EES19_IbLb1EEEEDaS15_S16_EUlS15_E_NS1_11comp_targetILNS1_3genE9ELNS1_11target_archE1100ELNS1_3gpuE3ELNS1_3repE0EEENS1_30default_config_static_selectorELNS0_4arch9wavefront6targetE0EEEvT1_
	.p2align	8
	.type	_ZN7rocprim17ROCPRIM_400000_NS6detail17trampoline_kernelINS0_14default_configENS1_25partition_config_selectorILNS1_17partition_subalgoE9EllbEEZZNS1_14partition_implILS5_9ELb0ES3_jPlS8_PNS0_10empty_typeENS0_5tupleIJS8_S9_EEENSB_IJS8_SA_EEENS0_18inequality_wrapperIZN2at6native12_GLOBAL__N_124unique_dim_cuda_templateIsEESt5tupleIJNSF_6TensorESK_SK_EERKSK_lbbbEUlllE0_EEPmJS9_EEE10hipError_tPvRmT3_T4_T5_T6_T7_T9_mT8_P12ihipStream_tbDpT10_ENKUlT_T0_E_clISt17integral_constantIbLb0EES19_IbLb1EEEEDaS15_S16_EUlS15_E_NS1_11comp_targetILNS1_3genE9ELNS1_11target_archE1100ELNS1_3gpuE3ELNS1_3repE0EEENS1_30default_config_static_selectorELNS0_4arch9wavefront6targetE0EEEvT1_,@function
_ZN7rocprim17ROCPRIM_400000_NS6detail17trampoline_kernelINS0_14default_configENS1_25partition_config_selectorILNS1_17partition_subalgoE9EllbEEZZNS1_14partition_implILS5_9ELb0ES3_jPlS8_PNS0_10empty_typeENS0_5tupleIJS8_S9_EEENSB_IJS8_SA_EEENS0_18inequality_wrapperIZN2at6native12_GLOBAL__N_124unique_dim_cuda_templateIsEESt5tupleIJNSF_6TensorESK_SK_EERKSK_lbbbEUlllE0_EEPmJS9_EEE10hipError_tPvRmT3_T4_T5_T6_T7_T9_mT8_P12ihipStream_tbDpT10_ENKUlT_T0_E_clISt17integral_constantIbLb0EES19_IbLb1EEEEDaS15_S16_EUlS15_E_NS1_11comp_targetILNS1_3genE9ELNS1_11target_archE1100ELNS1_3gpuE3ELNS1_3repE0EEENS1_30default_config_static_selectorELNS0_4arch9wavefront6targetE0EEEvT1_: ; @_ZN7rocprim17ROCPRIM_400000_NS6detail17trampoline_kernelINS0_14default_configENS1_25partition_config_selectorILNS1_17partition_subalgoE9EllbEEZZNS1_14partition_implILS5_9ELb0ES3_jPlS8_PNS0_10empty_typeENS0_5tupleIJS8_S9_EEENSB_IJS8_SA_EEENS0_18inequality_wrapperIZN2at6native12_GLOBAL__N_124unique_dim_cuda_templateIsEESt5tupleIJNSF_6TensorESK_SK_EERKSK_lbbbEUlllE0_EEPmJS9_EEE10hipError_tPvRmT3_T4_T5_T6_T7_T9_mT8_P12ihipStream_tbDpT10_ENKUlT_T0_E_clISt17integral_constantIbLb0EES19_IbLb1EEEEDaS15_S16_EUlS15_E_NS1_11comp_targetILNS1_3genE9ELNS1_11target_archE1100ELNS1_3gpuE3ELNS1_3repE0EEENS1_30default_config_static_selectorELNS0_4arch9wavefront6targetE0EEEvT1_
; %bb.0:
	.section	.rodata,"a",@progbits
	.p2align	6, 0x0
	.amdhsa_kernel _ZN7rocprim17ROCPRIM_400000_NS6detail17trampoline_kernelINS0_14default_configENS1_25partition_config_selectorILNS1_17partition_subalgoE9EllbEEZZNS1_14partition_implILS5_9ELb0ES3_jPlS8_PNS0_10empty_typeENS0_5tupleIJS8_S9_EEENSB_IJS8_SA_EEENS0_18inequality_wrapperIZN2at6native12_GLOBAL__N_124unique_dim_cuda_templateIsEESt5tupleIJNSF_6TensorESK_SK_EERKSK_lbbbEUlllE0_EEPmJS9_EEE10hipError_tPvRmT3_T4_T5_T6_T7_T9_mT8_P12ihipStream_tbDpT10_ENKUlT_T0_E_clISt17integral_constantIbLb0EES19_IbLb1EEEEDaS15_S16_EUlS15_E_NS1_11comp_targetILNS1_3genE9ELNS1_11target_archE1100ELNS1_3gpuE3ELNS1_3repE0EEENS1_30default_config_static_selectorELNS0_4arch9wavefront6targetE0EEEvT1_
		.amdhsa_group_segment_fixed_size 0
		.amdhsa_private_segment_fixed_size 0
		.amdhsa_kernarg_size 136
		.amdhsa_user_sgpr_count 2
		.amdhsa_user_sgpr_dispatch_ptr 0
		.amdhsa_user_sgpr_queue_ptr 0
		.amdhsa_user_sgpr_kernarg_segment_ptr 1
		.amdhsa_user_sgpr_dispatch_id 0
		.amdhsa_user_sgpr_kernarg_preload_length 0
		.amdhsa_user_sgpr_kernarg_preload_offset 0
		.amdhsa_user_sgpr_private_segment_size 0
		.amdhsa_wavefront_size32 1
		.amdhsa_uses_dynamic_stack 0
		.amdhsa_enable_private_segment 0
		.amdhsa_system_sgpr_workgroup_id_x 1
		.amdhsa_system_sgpr_workgroup_id_y 0
		.amdhsa_system_sgpr_workgroup_id_z 0
		.amdhsa_system_sgpr_workgroup_info 0
		.amdhsa_system_vgpr_workitem_id 0
		.amdhsa_next_free_vgpr 1
		.amdhsa_next_free_sgpr 1
		.amdhsa_named_barrier_count 0
		.amdhsa_reserve_vcc 0
		.amdhsa_float_round_mode_32 0
		.amdhsa_float_round_mode_16_64 0
		.amdhsa_float_denorm_mode_32 3
		.amdhsa_float_denorm_mode_16_64 3
		.amdhsa_fp16_overflow 0
		.amdhsa_memory_ordered 1
		.amdhsa_forward_progress 1
		.amdhsa_inst_pref_size 0
		.amdhsa_round_robin_scheduling 0
		.amdhsa_exception_fp_ieee_invalid_op 0
		.amdhsa_exception_fp_denorm_src 0
		.amdhsa_exception_fp_ieee_div_zero 0
		.amdhsa_exception_fp_ieee_overflow 0
		.amdhsa_exception_fp_ieee_underflow 0
		.amdhsa_exception_fp_ieee_inexact 0
		.amdhsa_exception_int_div_zero 0
	.end_amdhsa_kernel
	.section	.text._ZN7rocprim17ROCPRIM_400000_NS6detail17trampoline_kernelINS0_14default_configENS1_25partition_config_selectorILNS1_17partition_subalgoE9EllbEEZZNS1_14partition_implILS5_9ELb0ES3_jPlS8_PNS0_10empty_typeENS0_5tupleIJS8_S9_EEENSB_IJS8_SA_EEENS0_18inequality_wrapperIZN2at6native12_GLOBAL__N_124unique_dim_cuda_templateIsEESt5tupleIJNSF_6TensorESK_SK_EERKSK_lbbbEUlllE0_EEPmJS9_EEE10hipError_tPvRmT3_T4_T5_T6_T7_T9_mT8_P12ihipStream_tbDpT10_ENKUlT_T0_E_clISt17integral_constantIbLb0EES19_IbLb1EEEEDaS15_S16_EUlS15_E_NS1_11comp_targetILNS1_3genE9ELNS1_11target_archE1100ELNS1_3gpuE3ELNS1_3repE0EEENS1_30default_config_static_selectorELNS0_4arch9wavefront6targetE0EEEvT1_,"axG",@progbits,_ZN7rocprim17ROCPRIM_400000_NS6detail17trampoline_kernelINS0_14default_configENS1_25partition_config_selectorILNS1_17partition_subalgoE9EllbEEZZNS1_14partition_implILS5_9ELb0ES3_jPlS8_PNS0_10empty_typeENS0_5tupleIJS8_S9_EEENSB_IJS8_SA_EEENS0_18inequality_wrapperIZN2at6native12_GLOBAL__N_124unique_dim_cuda_templateIsEESt5tupleIJNSF_6TensorESK_SK_EERKSK_lbbbEUlllE0_EEPmJS9_EEE10hipError_tPvRmT3_T4_T5_T6_T7_T9_mT8_P12ihipStream_tbDpT10_ENKUlT_T0_E_clISt17integral_constantIbLb0EES19_IbLb1EEEEDaS15_S16_EUlS15_E_NS1_11comp_targetILNS1_3genE9ELNS1_11target_archE1100ELNS1_3gpuE3ELNS1_3repE0EEENS1_30default_config_static_selectorELNS0_4arch9wavefront6targetE0EEEvT1_,comdat
.Lfunc_end747:
	.size	_ZN7rocprim17ROCPRIM_400000_NS6detail17trampoline_kernelINS0_14default_configENS1_25partition_config_selectorILNS1_17partition_subalgoE9EllbEEZZNS1_14partition_implILS5_9ELb0ES3_jPlS8_PNS0_10empty_typeENS0_5tupleIJS8_S9_EEENSB_IJS8_SA_EEENS0_18inequality_wrapperIZN2at6native12_GLOBAL__N_124unique_dim_cuda_templateIsEESt5tupleIJNSF_6TensorESK_SK_EERKSK_lbbbEUlllE0_EEPmJS9_EEE10hipError_tPvRmT3_T4_T5_T6_T7_T9_mT8_P12ihipStream_tbDpT10_ENKUlT_T0_E_clISt17integral_constantIbLb0EES19_IbLb1EEEEDaS15_S16_EUlS15_E_NS1_11comp_targetILNS1_3genE9ELNS1_11target_archE1100ELNS1_3gpuE3ELNS1_3repE0EEENS1_30default_config_static_selectorELNS0_4arch9wavefront6targetE0EEEvT1_, .Lfunc_end747-_ZN7rocprim17ROCPRIM_400000_NS6detail17trampoline_kernelINS0_14default_configENS1_25partition_config_selectorILNS1_17partition_subalgoE9EllbEEZZNS1_14partition_implILS5_9ELb0ES3_jPlS8_PNS0_10empty_typeENS0_5tupleIJS8_S9_EEENSB_IJS8_SA_EEENS0_18inequality_wrapperIZN2at6native12_GLOBAL__N_124unique_dim_cuda_templateIsEESt5tupleIJNSF_6TensorESK_SK_EERKSK_lbbbEUlllE0_EEPmJS9_EEE10hipError_tPvRmT3_T4_T5_T6_T7_T9_mT8_P12ihipStream_tbDpT10_ENKUlT_T0_E_clISt17integral_constantIbLb0EES19_IbLb1EEEEDaS15_S16_EUlS15_E_NS1_11comp_targetILNS1_3genE9ELNS1_11target_archE1100ELNS1_3gpuE3ELNS1_3repE0EEENS1_30default_config_static_selectorELNS0_4arch9wavefront6targetE0EEEvT1_
                                        ; -- End function
	.set _ZN7rocprim17ROCPRIM_400000_NS6detail17trampoline_kernelINS0_14default_configENS1_25partition_config_selectorILNS1_17partition_subalgoE9EllbEEZZNS1_14partition_implILS5_9ELb0ES3_jPlS8_PNS0_10empty_typeENS0_5tupleIJS8_S9_EEENSB_IJS8_SA_EEENS0_18inequality_wrapperIZN2at6native12_GLOBAL__N_124unique_dim_cuda_templateIsEESt5tupleIJNSF_6TensorESK_SK_EERKSK_lbbbEUlllE0_EEPmJS9_EEE10hipError_tPvRmT3_T4_T5_T6_T7_T9_mT8_P12ihipStream_tbDpT10_ENKUlT_T0_E_clISt17integral_constantIbLb0EES19_IbLb1EEEEDaS15_S16_EUlS15_E_NS1_11comp_targetILNS1_3genE9ELNS1_11target_archE1100ELNS1_3gpuE3ELNS1_3repE0EEENS1_30default_config_static_selectorELNS0_4arch9wavefront6targetE0EEEvT1_.num_vgpr, 0
	.set _ZN7rocprim17ROCPRIM_400000_NS6detail17trampoline_kernelINS0_14default_configENS1_25partition_config_selectorILNS1_17partition_subalgoE9EllbEEZZNS1_14partition_implILS5_9ELb0ES3_jPlS8_PNS0_10empty_typeENS0_5tupleIJS8_S9_EEENSB_IJS8_SA_EEENS0_18inequality_wrapperIZN2at6native12_GLOBAL__N_124unique_dim_cuda_templateIsEESt5tupleIJNSF_6TensorESK_SK_EERKSK_lbbbEUlllE0_EEPmJS9_EEE10hipError_tPvRmT3_T4_T5_T6_T7_T9_mT8_P12ihipStream_tbDpT10_ENKUlT_T0_E_clISt17integral_constantIbLb0EES19_IbLb1EEEEDaS15_S16_EUlS15_E_NS1_11comp_targetILNS1_3genE9ELNS1_11target_archE1100ELNS1_3gpuE3ELNS1_3repE0EEENS1_30default_config_static_selectorELNS0_4arch9wavefront6targetE0EEEvT1_.num_agpr, 0
	.set _ZN7rocprim17ROCPRIM_400000_NS6detail17trampoline_kernelINS0_14default_configENS1_25partition_config_selectorILNS1_17partition_subalgoE9EllbEEZZNS1_14partition_implILS5_9ELb0ES3_jPlS8_PNS0_10empty_typeENS0_5tupleIJS8_S9_EEENSB_IJS8_SA_EEENS0_18inequality_wrapperIZN2at6native12_GLOBAL__N_124unique_dim_cuda_templateIsEESt5tupleIJNSF_6TensorESK_SK_EERKSK_lbbbEUlllE0_EEPmJS9_EEE10hipError_tPvRmT3_T4_T5_T6_T7_T9_mT8_P12ihipStream_tbDpT10_ENKUlT_T0_E_clISt17integral_constantIbLb0EES19_IbLb1EEEEDaS15_S16_EUlS15_E_NS1_11comp_targetILNS1_3genE9ELNS1_11target_archE1100ELNS1_3gpuE3ELNS1_3repE0EEENS1_30default_config_static_selectorELNS0_4arch9wavefront6targetE0EEEvT1_.numbered_sgpr, 0
	.set _ZN7rocprim17ROCPRIM_400000_NS6detail17trampoline_kernelINS0_14default_configENS1_25partition_config_selectorILNS1_17partition_subalgoE9EllbEEZZNS1_14partition_implILS5_9ELb0ES3_jPlS8_PNS0_10empty_typeENS0_5tupleIJS8_S9_EEENSB_IJS8_SA_EEENS0_18inequality_wrapperIZN2at6native12_GLOBAL__N_124unique_dim_cuda_templateIsEESt5tupleIJNSF_6TensorESK_SK_EERKSK_lbbbEUlllE0_EEPmJS9_EEE10hipError_tPvRmT3_T4_T5_T6_T7_T9_mT8_P12ihipStream_tbDpT10_ENKUlT_T0_E_clISt17integral_constantIbLb0EES19_IbLb1EEEEDaS15_S16_EUlS15_E_NS1_11comp_targetILNS1_3genE9ELNS1_11target_archE1100ELNS1_3gpuE3ELNS1_3repE0EEENS1_30default_config_static_selectorELNS0_4arch9wavefront6targetE0EEEvT1_.num_named_barrier, 0
	.set _ZN7rocprim17ROCPRIM_400000_NS6detail17trampoline_kernelINS0_14default_configENS1_25partition_config_selectorILNS1_17partition_subalgoE9EllbEEZZNS1_14partition_implILS5_9ELb0ES3_jPlS8_PNS0_10empty_typeENS0_5tupleIJS8_S9_EEENSB_IJS8_SA_EEENS0_18inequality_wrapperIZN2at6native12_GLOBAL__N_124unique_dim_cuda_templateIsEESt5tupleIJNSF_6TensorESK_SK_EERKSK_lbbbEUlllE0_EEPmJS9_EEE10hipError_tPvRmT3_T4_T5_T6_T7_T9_mT8_P12ihipStream_tbDpT10_ENKUlT_T0_E_clISt17integral_constantIbLb0EES19_IbLb1EEEEDaS15_S16_EUlS15_E_NS1_11comp_targetILNS1_3genE9ELNS1_11target_archE1100ELNS1_3gpuE3ELNS1_3repE0EEENS1_30default_config_static_selectorELNS0_4arch9wavefront6targetE0EEEvT1_.private_seg_size, 0
	.set _ZN7rocprim17ROCPRIM_400000_NS6detail17trampoline_kernelINS0_14default_configENS1_25partition_config_selectorILNS1_17partition_subalgoE9EllbEEZZNS1_14partition_implILS5_9ELb0ES3_jPlS8_PNS0_10empty_typeENS0_5tupleIJS8_S9_EEENSB_IJS8_SA_EEENS0_18inequality_wrapperIZN2at6native12_GLOBAL__N_124unique_dim_cuda_templateIsEESt5tupleIJNSF_6TensorESK_SK_EERKSK_lbbbEUlllE0_EEPmJS9_EEE10hipError_tPvRmT3_T4_T5_T6_T7_T9_mT8_P12ihipStream_tbDpT10_ENKUlT_T0_E_clISt17integral_constantIbLb0EES19_IbLb1EEEEDaS15_S16_EUlS15_E_NS1_11comp_targetILNS1_3genE9ELNS1_11target_archE1100ELNS1_3gpuE3ELNS1_3repE0EEENS1_30default_config_static_selectorELNS0_4arch9wavefront6targetE0EEEvT1_.uses_vcc, 0
	.set _ZN7rocprim17ROCPRIM_400000_NS6detail17trampoline_kernelINS0_14default_configENS1_25partition_config_selectorILNS1_17partition_subalgoE9EllbEEZZNS1_14partition_implILS5_9ELb0ES3_jPlS8_PNS0_10empty_typeENS0_5tupleIJS8_S9_EEENSB_IJS8_SA_EEENS0_18inequality_wrapperIZN2at6native12_GLOBAL__N_124unique_dim_cuda_templateIsEESt5tupleIJNSF_6TensorESK_SK_EERKSK_lbbbEUlllE0_EEPmJS9_EEE10hipError_tPvRmT3_T4_T5_T6_T7_T9_mT8_P12ihipStream_tbDpT10_ENKUlT_T0_E_clISt17integral_constantIbLb0EES19_IbLb1EEEEDaS15_S16_EUlS15_E_NS1_11comp_targetILNS1_3genE9ELNS1_11target_archE1100ELNS1_3gpuE3ELNS1_3repE0EEENS1_30default_config_static_selectorELNS0_4arch9wavefront6targetE0EEEvT1_.uses_flat_scratch, 0
	.set _ZN7rocprim17ROCPRIM_400000_NS6detail17trampoline_kernelINS0_14default_configENS1_25partition_config_selectorILNS1_17partition_subalgoE9EllbEEZZNS1_14partition_implILS5_9ELb0ES3_jPlS8_PNS0_10empty_typeENS0_5tupleIJS8_S9_EEENSB_IJS8_SA_EEENS0_18inequality_wrapperIZN2at6native12_GLOBAL__N_124unique_dim_cuda_templateIsEESt5tupleIJNSF_6TensorESK_SK_EERKSK_lbbbEUlllE0_EEPmJS9_EEE10hipError_tPvRmT3_T4_T5_T6_T7_T9_mT8_P12ihipStream_tbDpT10_ENKUlT_T0_E_clISt17integral_constantIbLb0EES19_IbLb1EEEEDaS15_S16_EUlS15_E_NS1_11comp_targetILNS1_3genE9ELNS1_11target_archE1100ELNS1_3gpuE3ELNS1_3repE0EEENS1_30default_config_static_selectorELNS0_4arch9wavefront6targetE0EEEvT1_.has_dyn_sized_stack, 0
	.set _ZN7rocprim17ROCPRIM_400000_NS6detail17trampoline_kernelINS0_14default_configENS1_25partition_config_selectorILNS1_17partition_subalgoE9EllbEEZZNS1_14partition_implILS5_9ELb0ES3_jPlS8_PNS0_10empty_typeENS0_5tupleIJS8_S9_EEENSB_IJS8_SA_EEENS0_18inequality_wrapperIZN2at6native12_GLOBAL__N_124unique_dim_cuda_templateIsEESt5tupleIJNSF_6TensorESK_SK_EERKSK_lbbbEUlllE0_EEPmJS9_EEE10hipError_tPvRmT3_T4_T5_T6_T7_T9_mT8_P12ihipStream_tbDpT10_ENKUlT_T0_E_clISt17integral_constantIbLb0EES19_IbLb1EEEEDaS15_S16_EUlS15_E_NS1_11comp_targetILNS1_3genE9ELNS1_11target_archE1100ELNS1_3gpuE3ELNS1_3repE0EEENS1_30default_config_static_selectorELNS0_4arch9wavefront6targetE0EEEvT1_.has_recursion, 0
	.set _ZN7rocprim17ROCPRIM_400000_NS6detail17trampoline_kernelINS0_14default_configENS1_25partition_config_selectorILNS1_17partition_subalgoE9EllbEEZZNS1_14partition_implILS5_9ELb0ES3_jPlS8_PNS0_10empty_typeENS0_5tupleIJS8_S9_EEENSB_IJS8_SA_EEENS0_18inequality_wrapperIZN2at6native12_GLOBAL__N_124unique_dim_cuda_templateIsEESt5tupleIJNSF_6TensorESK_SK_EERKSK_lbbbEUlllE0_EEPmJS9_EEE10hipError_tPvRmT3_T4_T5_T6_T7_T9_mT8_P12ihipStream_tbDpT10_ENKUlT_T0_E_clISt17integral_constantIbLb0EES19_IbLb1EEEEDaS15_S16_EUlS15_E_NS1_11comp_targetILNS1_3genE9ELNS1_11target_archE1100ELNS1_3gpuE3ELNS1_3repE0EEENS1_30default_config_static_selectorELNS0_4arch9wavefront6targetE0EEEvT1_.has_indirect_call, 0
	.section	.AMDGPU.csdata,"",@progbits
; Kernel info:
; codeLenInByte = 0
; TotalNumSgprs: 0
; NumVgprs: 0
; ScratchSize: 0
; MemoryBound: 0
; FloatMode: 240
; IeeeMode: 1
; LDSByteSize: 0 bytes/workgroup (compile time only)
; SGPRBlocks: 0
; VGPRBlocks: 0
; NumSGPRsForWavesPerEU: 1
; NumVGPRsForWavesPerEU: 1
; NamedBarCnt: 0
; Occupancy: 16
; WaveLimiterHint : 0
; COMPUTE_PGM_RSRC2:SCRATCH_EN: 0
; COMPUTE_PGM_RSRC2:USER_SGPR: 2
; COMPUTE_PGM_RSRC2:TRAP_HANDLER: 0
; COMPUTE_PGM_RSRC2:TGID_X_EN: 1
; COMPUTE_PGM_RSRC2:TGID_Y_EN: 0
; COMPUTE_PGM_RSRC2:TGID_Z_EN: 0
; COMPUTE_PGM_RSRC2:TIDIG_COMP_CNT: 0
	.section	.text._ZN7rocprim17ROCPRIM_400000_NS6detail17trampoline_kernelINS0_14default_configENS1_25partition_config_selectorILNS1_17partition_subalgoE9EllbEEZZNS1_14partition_implILS5_9ELb0ES3_jPlS8_PNS0_10empty_typeENS0_5tupleIJS8_S9_EEENSB_IJS8_SA_EEENS0_18inequality_wrapperIZN2at6native12_GLOBAL__N_124unique_dim_cuda_templateIsEESt5tupleIJNSF_6TensorESK_SK_EERKSK_lbbbEUlllE0_EEPmJS9_EEE10hipError_tPvRmT3_T4_T5_T6_T7_T9_mT8_P12ihipStream_tbDpT10_ENKUlT_T0_E_clISt17integral_constantIbLb0EES19_IbLb1EEEEDaS15_S16_EUlS15_E_NS1_11comp_targetILNS1_3genE8ELNS1_11target_archE1030ELNS1_3gpuE2ELNS1_3repE0EEENS1_30default_config_static_selectorELNS0_4arch9wavefront6targetE0EEEvT1_,"axG",@progbits,_ZN7rocprim17ROCPRIM_400000_NS6detail17trampoline_kernelINS0_14default_configENS1_25partition_config_selectorILNS1_17partition_subalgoE9EllbEEZZNS1_14partition_implILS5_9ELb0ES3_jPlS8_PNS0_10empty_typeENS0_5tupleIJS8_S9_EEENSB_IJS8_SA_EEENS0_18inequality_wrapperIZN2at6native12_GLOBAL__N_124unique_dim_cuda_templateIsEESt5tupleIJNSF_6TensorESK_SK_EERKSK_lbbbEUlllE0_EEPmJS9_EEE10hipError_tPvRmT3_T4_T5_T6_T7_T9_mT8_P12ihipStream_tbDpT10_ENKUlT_T0_E_clISt17integral_constantIbLb0EES19_IbLb1EEEEDaS15_S16_EUlS15_E_NS1_11comp_targetILNS1_3genE8ELNS1_11target_archE1030ELNS1_3gpuE2ELNS1_3repE0EEENS1_30default_config_static_selectorELNS0_4arch9wavefront6targetE0EEEvT1_,comdat
	.globl	_ZN7rocprim17ROCPRIM_400000_NS6detail17trampoline_kernelINS0_14default_configENS1_25partition_config_selectorILNS1_17partition_subalgoE9EllbEEZZNS1_14partition_implILS5_9ELb0ES3_jPlS8_PNS0_10empty_typeENS0_5tupleIJS8_S9_EEENSB_IJS8_SA_EEENS0_18inequality_wrapperIZN2at6native12_GLOBAL__N_124unique_dim_cuda_templateIsEESt5tupleIJNSF_6TensorESK_SK_EERKSK_lbbbEUlllE0_EEPmJS9_EEE10hipError_tPvRmT3_T4_T5_T6_T7_T9_mT8_P12ihipStream_tbDpT10_ENKUlT_T0_E_clISt17integral_constantIbLb0EES19_IbLb1EEEEDaS15_S16_EUlS15_E_NS1_11comp_targetILNS1_3genE8ELNS1_11target_archE1030ELNS1_3gpuE2ELNS1_3repE0EEENS1_30default_config_static_selectorELNS0_4arch9wavefront6targetE0EEEvT1_ ; -- Begin function _ZN7rocprim17ROCPRIM_400000_NS6detail17trampoline_kernelINS0_14default_configENS1_25partition_config_selectorILNS1_17partition_subalgoE9EllbEEZZNS1_14partition_implILS5_9ELb0ES3_jPlS8_PNS0_10empty_typeENS0_5tupleIJS8_S9_EEENSB_IJS8_SA_EEENS0_18inequality_wrapperIZN2at6native12_GLOBAL__N_124unique_dim_cuda_templateIsEESt5tupleIJNSF_6TensorESK_SK_EERKSK_lbbbEUlllE0_EEPmJS9_EEE10hipError_tPvRmT3_T4_T5_T6_T7_T9_mT8_P12ihipStream_tbDpT10_ENKUlT_T0_E_clISt17integral_constantIbLb0EES19_IbLb1EEEEDaS15_S16_EUlS15_E_NS1_11comp_targetILNS1_3genE8ELNS1_11target_archE1030ELNS1_3gpuE2ELNS1_3repE0EEENS1_30default_config_static_selectorELNS0_4arch9wavefront6targetE0EEEvT1_
	.p2align	8
	.type	_ZN7rocprim17ROCPRIM_400000_NS6detail17trampoline_kernelINS0_14default_configENS1_25partition_config_selectorILNS1_17partition_subalgoE9EllbEEZZNS1_14partition_implILS5_9ELb0ES3_jPlS8_PNS0_10empty_typeENS0_5tupleIJS8_S9_EEENSB_IJS8_SA_EEENS0_18inequality_wrapperIZN2at6native12_GLOBAL__N_124unique_dim_cuda_templateIsEESt5tupleIJNSF_6TensorESK_SK_EERKSK_lbbbEUlllE0_EEPmJS9_EEE10hipError_tPvRmT3_T4_T5_T6_T7_T9_mT8_P12ihipStream_tbDpT10_ENKUlT_T0_E_clISt17integral_constantIbLb0EES19_IbLb1EEEEDaS15_S16_EUlS15_E_NS1_11comp_targetILNS1_3genE8ELNS1_11target_archE1030ELNS1_3gpuE2ELNS1_3repE0EEENS1_30default_config_static_selectorELNS0_4arch9wavefront6targetE0EEEvT1_,@function
_ZN7rocprim17ROCPRIM_400000_NS6detail17trampoline_kernelINS0_14default_configENS1_25partition_config_selectorILNS1_17partition_subalgoE9EllbEEZZNS1_14partition_implILS5_9ELb0ES3_jPlS8_PNS0_10empty_typeENS0_5tupleIJS8_S9_EEENSB_IJS8_SA_EEENS0_18inequality_wrapperIZN2at6native12_GLOBAL__N_124unique_dim_cuda_templateIsEESt5tupleIJNSF_6TensorESK_SK_EERKSK_lbbbEUlllE0_EEPmJS9_EEE10hipError_tPvRmT3_T4_T5_T6_T7_T9_mT8_P12ihipStream_tbDpT10_ENKUlT_T0_E_clISt17integral_constantIbLb0EES19_IbLb1EEEEDaS15_S16_EUlS15_E_NS1_11comp_targetILNS1_3genE8ELNS1_11target_archE1030ELNS1_3gpuE2ELNS1_3repE0EEENS1_30default_config_static_selectorELNS0_4arch9wavefront6targetE0EEEvT1_: ; @_ZN7rocprim17ROCPRIM_400000_NS6detail17trampoline_kernelINS0_14default_configENS1_25partition_config_selectorILNS1_17partition_subalgoE9EllbEEZZNS1_14partition_implILS5_9ELb0ES3_jPlS8_PNS0_10empty_typeENS0_5tupleIJS8_S9_EEENSB_IJS8_SA_EEENS0_18inequality_wrapperIZN2at6native12_GLOBAL__N_124unique_dim_cuda_templateIsEESt5tupleIJNSF_6TensorESK_SK_EERKSK_lbbbEUlllE0_EEPmJS9_EEE10hipError_tPvRmT3_T4_T5_T6_T7_T9_mT8_P12ihipStream_tbDpT10_ENKUlT_T0_E_clISt17integral_constantIbLb0EES19_IbLb1EEEEDaS15_S16_EUlS15_E_NS1_11comp_targetILNS1_3genE8ELNS1_11target_archE1030ELNS1_3gpuE2ELNS1_3repE0EEENS1_30default_config_static_selectorELNS0_4arch9wavefront6targetE0EEEvT1_
; %bb.0:
	.section	.rodata,"a",@progbits
	.p2align	6, 0x0
	.amdhsa_kernel _ZN7rocprim17ROCPRIM_400000_NS6detail17trampoline_kernelINS0_14default_configENS1_25partition_config_selectorILNS1_17partition_subalgoE9EllbEEZZNS1_14partition_implILS5_9ELb0ES3_jPlS8_PNS0_10empty_typeENS0_5tupleIJS8_S9_EEENSB_IJS8_SA_EEENS0_18inequality_wrapperIZN2at6native12_GLOBAL__N_124unique_dim_cuda_templateIsEESt5tupleIJNSF_6TensorESK_SK_EERKSK_lbbbEUlllE0_EEPmJS9_EEE10hipError_tPvRmT3_T4_T5_T6_T7_T9_mT8_P12ihipStream_tbDpT10_ENKUlT_T0_E_clISt17integral_constantIbLb0EES19_IbLb1EEEEDaS15_S16_EUlS15_E_NS1_11comp_targetILNS1_3genE8ELNS1_11target_archE1030ELNS1_3gpuE2ELNS1_3repE0EEENS1_30default_config_static_selectorELNS0_4arch9wavefront6targetE0EEEvT1_
		.amdhsa_group_segment_fixed_size 0
		.amdhsa_private_segment_fixed_size 0
		.amdhsa_kernarg_size 136
		.amdhsa_user_sgpr_count 2
		.amdhsa_user_sgpr_dispatch_ptr 0
		.amdhsa_user_sgpr_queue_ptr 0
		.amdhsa_user_sgpr_kernarg_segment_ptr 1
		.amdhsa_user_sgpr_dispatch_id 0
		.amdhsa_user_sgpr_kernarg_preload_length 0
		.amdhsa_user_sgpr_kernarg_preload_offset 0
		.amdhsa_user_sgpr_private_segment_size 0
		.amdhsa_wavefront_size32 1
		.amdhsa_uses_dynamic_stack 0
		.amdhsa_enable_private_segment 0
		.amdhsa_system_sgpr_workgroup_id_x 1
		.amdhsa_system_sgpr_workgroup_id_y 0
		.amdhsa_system_sgpr_workgroup_id_z 0
		.amdhsa_system_sgpr_workgroup_info 0
		.amdhsa_system_vgpr_workitem_id 0
		.amdhsa_next_free_vgpr 1
		.amdhsa_next_free_sgpr 1
		.amdhsa_named_barrier_count 0
		.amdhsa_reserve_vcc 0
		.amdhsa_float_round_mode_32 0
		.amdhsa_float_round_mode_16_64 0
		.amdhsa_float_denorm_mode_32 3
		.amdhsa_float_denorm_mode_16_64 3
		.amdhsa_fp16_overflow 0
		.amdhsa_memory_ordered 1
		.amdhsa_forward_progress 1
		.amdhsa_inst_pref_size 0
		.amdhsa_round_robin_scheduling 0
		.amdhsa_exception_fp_ieee_invalid_op 0
		.amdhsa_exception_fp_denorm_src 0
		.amdhsa_exception_fp_ieee_div_zero 0
		.amdhsa_exception_fp_ieee_overflow 0
		.amdhsa_exception_fp_ieee_underflow 0
		.amdhsa_exception_fp_ieee_inexact 0
		.amdhsa_exception_int_div_zero 0
	.end_amdhsa_kernel
	.section	.text._ZN7rocprim17ROCPRIM_400000_NS6detail17trampoline_kernelINS0_14default_configENS1_25partition_config_selectorILNS1_17partition_subalgoE9EllbEEZZNS1_14partition_implILS5_9ELb0ES3_jPlS8_PNS0_10empty_typeENS0_5tupleIJS8_S9_EEENSB_IJS8_SA_EEENS0_18inequality_wrapperIZN2at6native12_GLOBAL__N_124unique_dim_cuda_templateIsEESt5tupleIJNSF_6TensorESK_SK_EERKSK_lbbbEUlllE0_EEPmJS9_EEE10hipError_tPvRmT3_T4_T5_T6_T7_T9_mT8_P12ihipStream_tbDpT10_ENKUlT_T0_E_clISt17integral_constantIbLb0EES19_IbLb1EEEEDaS15_S16_EUlS15_E_NS1_11comp_targetILNS1_3genE8ELNS1_11target_archE1030ELNS1_3gpuE2ELNS1_3repE0EEENS1_30default_config_static_selectorELNS0_4arch9wavefront6targetE0EEEvT1_,"axG",@progbits,_ZN7rocprim17ROCPRIM_400000_NS6detail17trampoline_kernelINS0_14default_configENS1_25partition_config_selectorILNS1_17partition_subalgoE9EllbEEZZNS1_14partition_implILS5_9ELb0ES3_jPlS8_PNS0_10empty_typeENS0_5tupleIJS8_S9_EEENSB_IJS8_SA_EEENS0_18inequality_wrapperIZN2at6native12_GLOBAL__N_124unique_dim_cuda_templateIsEESt5tupleIJNSF_6TensorESK_SK_EERKSK_lbbbEUlllE0_EEPmJS9_EEE10hipError_tPvRmT3_T4_T5_T6_T7_T9_mT8_P12ihipStream_tbDpT10_ENKUlT_T0_E_clISt17integral_constantIbLb0EES19_IbLb1EEEEDaS15_S16_EUlS15_E_NS1_11comp_targetILNS1_3genE8ELNS1_11target_archE1030ELNS1_3gpuE2ELNS1_3repE0EEENS1_30default_config_static_selectorELNS0_4arch9wavefront6targetE0EEEvT1_,comdat
.Lfunc_end748:
	.size	_ZN7rocprim17ROCPRIM_400000_NS6detail17trampoline_kernelINS0_14default_configENS1_25partition_config_selectorILNS1_17partition_subalgoE9EllbEEZZNS1_14partition_implILS5_9ELb0ES3_jPlS8_PNS0_10empty_typeENS0_5tupleIJS8_S9_EEENSB_IJS8_SA_EEENS0_18inequality_wrapperIZN2at6native12_GLOBAL__N_124unique_dim_cuda_templateIsEESt5tupleIJNSF_6TensorESK_SK_EERKSK_lbbbEUlllE0_EEPmJS9_EEE10hipError_tPvRmT3_T4_T5_T6_T7_T9_mT8_P12ihipStream_tbDpT10_ENKUlT_T0_E_clISt17integral_constantIbLb0EES19_IbLb1EEEEDaS15_S16_EUlS15_E_NS1_11comp_targetILNS1_3genE8ELNS1_11target_archE1030ELNS1_3gpuE2ELNS1_3repE0EEENS1_30default_config_static_selectorELNS0_4arch9wavefront6targetE0EEEvT1_, .Lfunc_end748-_ZN7rocprim17ROCPRIM_400000_NS6detail17trampoline_kernelINS0_14default_configENS1_25partition_config_selectorILNS1_17partition_subalgoE9EllbEEZZNS1_14partition_implILS5_9ELb0ES3_jPlS8_PNS0_10empty_typeENS0_5tupleIJS8_S9_EEENSB_IJS8_SA_EEENS0_18inequality_wrapperIZN2at6native12_GLOBAL__N_124unique_dim_cuda_templateIsEESt5tupleIJNSF_6TensorESK_SK_EERKSK_lbbbEUlllE0_EEPmJS9_EEE10hipError_tPvRmT3_T4_T5_T6_T7_T9_mT8_P12ihipStream_tbDpT10_ENKUlT_T0_E_clISt17integral_constantIbLb0EES19_IbLb1EEEEDaS15_S16_EUlS15_E_NS1_11comp_targetILNS1_3genE8ELNS1_11target_archE1030ELNS1_3gpuE2ELNS1_3repE0EEENS1_30default_config_static_selectorELNS0_4arch9wavefront6targetE0EEEvT1_
                                        ; -- End function
	.set _ZN7rocprim17ROCPRIM_400000_NS6detail17trampoline_kernelINS0_14default_configENS1_25partition_config_selectorILNS1_17partition_subalgoE9EllbEEZZNS1_14partition_implILS5_9ELb0ES3_jPlS8_PNS0_10empty_typeENS0_5tupleIJS8_S9_EEENSB_IJS8_SA_EEENS0_18inequality_wrapperIZN2at6native12_GLOBAL__N_124unique_dim_cuda_templateIsEESt5tupleIJNSF_6TensorESK_SK_EERKSK_lbbbEUlllE0_EEPmJS9_EEE10hipError_tPvRmT3_T4_T5_T6_T7_T9_mT8_P12ihipStream_tbDpT10_ENKUlT_T0_E_clISt17integral_constantIbLb0EES19_IbLb1EEEEDaS15_S16_EUlS15_E_NS1_11comp_targetILNS1_3genE8ELNS1_11target_archE1030ELNS1_3gpuE2ELNS1_3repE0EEENS1_30default_config_static_selectorELNS0_4arch9wavefront6targetE0EEEvT1_.num_vgpr, 0
	.set _ZN7rocprim17ROCPRIM_400000_NS6detail17trampoline_kernelINS0_14default_configENS1_25partition_config_selectorILNS1_17partition_subalgoE9EllbEEZZNS1_14partition_implILS5_9ELb0ES3_jPlS8_PNS0_10empty_typeENS0_5tupleIJS8_S9_EEENSB_IJS8_SA_EEENS0_18inequality_wrapperIZN2at6native12_GLOBAL__N_124unique_dim_cuda_templateIsEESt5tupleIJNSF_6TensorESK_SK_EERKSK_lbbbEUlllE0_EEPmJS9_EEE10hipError_tPvRmT3_T4_T5_T6_T7_T9_mT8_P12ihipStream_tbDpT10_ENKUlT_T0_E_clISt17integral_constantIbLb0EES19_IbLb1EEEEDaS15_S16_EUlS15_E_NS1_11comp_targetILNS1_3genE8ELNS1_11target_archE1030ELNS1_3gpuE2ELNS1_3repE0EEENS1_30default_config_static_selectorELNS0_4arch9wavefront6targetE0EEEvT1_.num_agpr, 0
	.set _ZN7rocprim17ROCPRIM_400000_NS6detail17trampoline_kernelINS0_14default_configENS1_25partition_config_selectorILNS1_17partition_subalgoE9EllbEEZZNS1_14partition_implILS5_9ELb0ES3_jPlS8_PNS0_10empty_typeENS0_5tupleIJS8_S9_EEENSB_IJS8_SA_EEENS0_18inequality_wrapperIZN2at6native12_GLOBAL__N_124unique_dim_cuda_templateIsEESt5tupleIJNSF_6TensorESK_SK_EERKSK_lbbbEUlllE0_EEPmJS9_EEE10hipError_tPvRmT3_T4_T5_T6_T7_T9_mT8_P12ihipStream_tbDpT10_ENKUlT_T0_E_clISt17integral_constantIbLb0EES19_IbLb1EEEEDaS15_S16_EUlS15_E_NS1_11comp_targetILNS1_3genE8ELNS1_11target_archE1030ELNS1_3gpuE2ELNS1_3repE0EEENS1_30default_config_static_selectorELNS0_4arch9wavefront6targetE0EEEvT1_.numbered_sgpr, 0
	.set _ZN7rocprim17ROCPRIM_400000_NS6detail17trampoline_kernelINS0_14default_configENS1_25partition_config_selectorILNS1_17partition_subalgoE9EllbEEZZNS1_14partition_implILS5_9ELb0ES3_jPlS8_PNS0_10empty_typeENS0_5tupleIJS8_S9_EEENSB_IJS8_SA_EEENS0_18inequality_wrapperIZN2at6native12_GLOBAL__N_124unique_dim_cuda_templateIsEESt5tupleIJNSF_6TensorESK_SK_EERKSK_lbbbEUlllE0_EEPmJS9_EEE10hipError_tPvRmT3_T4_T5_T6_T7_T9_mT8_P12ihipStream_tbDpT10_ENKUlT_T0_E_clISt17integral_constantIbLb0EES19_IbLb1EEEEDaS15_S16_EUlS15_E_NS1_11comp_targetILNS1_3genE8ELNS1_11target_archE1030ELNS1_3gpuE2ELNS1_3repE0EEENS1_30default_config_static_selectorELNS0_4arch9wavefront6targetE0EEEvT1_.num_named_barrier, 0
	.set _ZN7rocprim17ROCPRIM_400000_NS6detail17trampoline_kernelINS0_14default_configENS1_25partition_config_selectorILNS1_17partition_subalgoE9EllbEEZZNS1_14partition_implILS5_9ELb0ES3_jPlS8_PNS0_10empty_typeENS0_5tupleIJS8_S9_EEENSB_IJS8_SA_EEENS0_18inequality_wrapperIZN2at6native12_GLOBAL__N_124unique_dim_cuda_templateIsEESt5tupleIJNSF_6TensorESK_SK_EERKSK_lbbbEUlllE0_EEPmJS9_EEE10hipError_tPvRmT3_T4_T5_T6_T7_T9_mT8_P12ihipStream_tbDpT10_ENKUlT_T0_E_clISt17integral_constantIbLb0EES19_IbLb1EEEEDaS15_S16_EUlS15_E_NS1_11comp_targetILNS1_3genE8ELNS1_11target_archE1030ELNS1_3gpuE2ELNS1_3repE0EEENS1_30default_config_static_selectorELNS0_4arch9wavefront6targetE0EEEvT1_.private_seg_size, 0
	.set _ZN7rocprim17ROCPRIM_400000_NS6detail17trampoline_kernelINS0_14default_configENS1_25partition_config_selectorILNS1_17partition_subalgoE9EllbEEZZNS1_14partition_implILS5_9ELb0ES3_jPlS8_PNS0_10empty_typeENS0_5tupleIJS8_S9_EEENSB_IJS8_SA_EEENS0_18inequality_wrapperIZN2at6native12_GLOBAL__N_124unique_dim_cuda_templateIsEESt5tupleIJNSF_6TensorESK_SK_EERKSK_lbbbEUlllE0_EEPmJS9_EEE10hipError_tPvRmT3_T4_T5_T6_T7_T9_mT8_P12ihipStream_tbDpT10_ENKUlT_T0_E_clISt17integral_constantIbLb0EES19_IbLb1EEEEDaS15_S16_EUlS15_E_NS1_11comp_targetILNS1_3genE8ELNS1_11target_archE1030ELNS1_3gpuE2ELNS1_3repE0EEENS1_30default_config_static_selectorELNS0_4arch9wavefront6targetE0EEEvT1_.uses_vcc, 0
	.set _ZN7rocprim17ROCPRIM_400000_NS6detail17trampoline_kernelINS0_14default_configENS1_25partition_config_selectorILNS1_17partition_subalgoE9EllbEEZZNS1_14partition_implILS5_9ELb0ES3_jPlS8_PNS0_10empty_typeENS0_5tupleIJS8_S9_EEENSB_IJS8_SA_EEENS0_18inequality_wrapperIZN2at6native12_GLOBAL__N_124unique_dim_cuda_templateIsEESt5tupleIJNSF_6TensorESK_SK_EERKSK_lbbbEUlllE0_EEPmJS9_EEE10hipError_tPvRmT3_T4_T5_T6_T7_T9_mT8_P12ihipStream_tbDpT10_ENKUlT_T0_E_clISt17integral_constantIbLb0EES19_IbLb1EEEEDaS15_S16_EUlS15_E_NS1_11comp_targetILNS1_3genE8ELNS1_11target_archE1030ELNS1_3gpuE2ELNS1_3repE0EEENS1_30default_config_static_selectorELNS0_4arch9wavefront6targetE0EEEvT1_.uses_flat_scratch, 0
	.set _ZN7rocprim17ROCPRIM_400000_NS6detail17trampoline_kernelINS0_14default_configENS1_25partition_config_selectorILNS1_17partition_subalgoE9EllbEEZZNS1_14partition_implILS5_9ELb0ES3_jPlS8_PNS0_10empty_typeENS0_5tupleIJS8_S9_EEENSB_IJS8_SA_EEENS0_18inequality_wrapperIZN2at6native12_GLOBAL__N_124unique_dim_cuda_templateIsEESt5tupleIJNSF_6TensorESK_SK_EERKSK_lbbbEUlllE0_EEPmJS9_EEE10hipError_tPvRmT3_T4_T5_T6_T7_T9_mT8_P12ihipStream_tbDpT10_ENKUlT_T0_E_clISt17integral_constantIbLb0EES19_IbLb1EEEEDaS15_S16_EUlS15_E_NS1_11comp_targetILNS1_3genE8ELNS1_11target_archE1030ELNS1_3gpuE2ELNS1_3repE0EEENS1_30default_config_static_selectorELNS0_4arch9wavefront6targetE0EEEvT1_.has_dyn_sized_stack, 0
	.set _ZN7rocprim17ROCPRIM_400000_NS6detail17trampoline_kernelINS0_14default_configENS1_25partition_config_selectorILNS1_17partition_subalgoE9EllbEEZZNS1_14partition_implILS5_9ELb0ES3_jPlS8_PNS0_10empty_typeENS0_5tupleIJS8_S9_EEENSB_IJS8_SA_EEENS0_18inequality_wrapperIZN2at6native12_GLOBAL__N_124unique_dim_cuda_templateIsEESt5tupleIJNSF_6TensorESK_SK_EERKSK_lbbbEUlllE0_EEPmJS9_EEE10hipError_tPvRmT3_T4_T5_T6_T7_T9_mT8_P12ihipStream_tbDpT10_ENKUlT_T0_E_clISt17integral_constantIbLb0EES19_IbLb1EEEEDaS15_S16_EUlS15_E_NS1_11comp_targetILNS1_3genE8ELNS1_11target_archE1030ELNS1_3gpuE2ELNS1_3repE0EEENS1_30default_config_static_selectorELNS0_4arch9wavefront6targetE0EEEvT1_.has_recursion, 0
	.set _ZN7rocprim17ROCPRIM_400000_NS6detail17trampoline_kernelINS0_14default_configENS1_25partition_config_selectorILNS1_17partition_subalgoE9EllbEEZZNS1_14partition_implILS5_9ELb0ES3_jPlS8_PNS0_10empty_typeENS0_5tupleIJS8_S9_EEENSB_IJS8_SA_EEENS0_18inequality_wrapperIZN2at6native12_GLOBAL__N_124unique_dim_cuda_templateIsEESt5tupleIJNSF_6TensorESK_SK_EERKSK_lbbbEUlllE0_EEPmJS9_EEE10hipError_tPvRmT3_T4_T5_T6_T7_T9_mT8_P12ihipStream_tbDpT10_ENKUlT_T0_E_clISt17integral_constantIbLb0EES19_IbLb1EEEEDaS15_S16_EUlS15_E_NS1_11comp_targetILNS1_3genE8ELNS1_11target_archE1030ELNS1_3gpuE2ELNS1_3repE0EEENS1_30default_config_static_selectorELNS0_4arch9wavefront6targetE0EEEvT1_.has_indirect_call, 0
	.section	.AMDGPU.csdata,"",@progbits
; Kernel info:
; codeLenInByte = 0
; TotalNumSgprs: 0
; NumVgprs: 0
; ScratchSize: 0
; MemoryBound: 0
; FloatMode: 240
; IeeeMode: 1
; LDSByteSize: 0 bytes/workgroup (compile time only)
; SGPRBlocks: 0
; VGPRBlocks: 0
; NumSGPRsForWavesPerEU: 1
; NumVGPRsForWavesPerEU: 1
; NamedBarCnt: 0
; Occupancy: 16
; WaveLimiterHint : 0
; COMPUTE_PGM_RSRC2:SCRATCH_EN: 0
; COMPUTE_PGM_RSRC2:USER_SGPR: 2
; COMPUTE_PGM_RSRC2:TRAP_HANDLER: 0
; COMPUTE_PGM_RSRC2:TGID_X_EN: 1
; COMPUTE_PGM_RSRC2:TGID_Y_EN: 0
; COMPUTE_PGM_RSRC2:TGID_Z_EN: 0
; COMPUTE_PGM_RSRC2:TIDIG_COMP_CNT: 0
	.section	.text._ZN7rocprim17ROCPRIM_400000_NS6detail17trampoline_kernelINS0_14default_configENS1_37merge_sort_block_sort_config_selectorIlNS0_10empty_typeEEEZNS1_21merge_sort_block_sortIS3_PlS8_PS5_S9_ZN2at6native12_GLOBAL__N_124unique_dim_cuda_templateIdEESt5tupleIJNSA_6TensorESF_SF_EERKSF_lbbbEUlllE_EE10hipError_tT0_T1_T2_T3_mRjT4_P12ihipStream_tbNS1_7vsmem_tEEUlT_E_NS1_11comp_targetILNS1_3genE0ELNS1_11target_archE4294967295ELNS1_3gpuE0ELNS1_3repE0EEENS1_30default_config_static_selectorELNS0_4arch9wavefront6targetE0EEEvSM_,"axG",@progbits,_ZN7rocprim17ROCPRIM_400000_NS6detail17trampoline_kernelINS0_14default_configENS1_37merge_sort_block_sort_config_selectorIlNS0_10empty_typeEEEZNS1_21merge_sort_block_sortIS3_PlS8_PS5_S9_ZN2at6native12_GLOBAL__N_124unique_dim_cuda_templateIdEESt5tupleIJNSA_6TensorESF_SF_EERKSF_lbbbEUlllE_EE10hipError_tT0_T1_T2_T3_mRjT4_P12ihipStream_tbNS1_7vsmem_tEEUlT_E_NS1_11comp_targetILNS1_3genE0ELNS1_11target_archE4294967295ELNS1_3gpuE0ELNS1_3repE0EEENS1_30default_config_static_selectorELNS0_4arch9wavefront6targetE0EEEvSM_,comdat
	.globl	_ZN7rocprim17ROCPRIM_400000_NS6detail17trampoline_kernelINS0_14default_configENS1_37merge_sort_block_sort_config_selectorIlNS0_10empty_typeEEEZNS1_21merge_sort_block_sortIS3_PlS8_PS5_S9_ZN2at6native12_GLOBAL__N_124unique_dim_cuda_templateIdEESt5tupleIJNSA_6TensorESF_SF_EERKSF_lbbbEUlllE_EE10hipError_tT0_T1_T2_T3_mRjT4_P12ihipStream_tbNS1_7vsmem_tEEUlT_E_NS1_11comp_targetILNS1_3genE0ELNS1_11target_archE4294967295ELNS1_3gpuE0ELNS1_3repE0EEENS1_30default_config_static_selectorELNS0_4arch9wavefront6targetE0EEEvSM_ ; -- Begin function _ZN7rocprim17ROCPRIM_400000_NS6detail17trampoline_kernelINS0_14default_configENS1_37merge_sort_block_sort_config_selectorIlNS0_10empty_typeEEEZNS1_21merge_sort_block_sortIS3_PlS8_PS5_S9_ZN2at6native12_GLOBAL__N_124unique_dim_cuda_templateIdEESt5tupleIJNSA_6TensorESF_SF_EERKSF_lbbbEUlllE_EE10hipError_tT0_T1_T2_T3_mRjT4_P12ihipStream_tbNS1_7vsmem_tEEUlT_E_NS1_11comp_targetILNS1_3genE0ELNS1_11target_archE4294967295ELNS1_3gpuE0ELNS1_3repE0EEENS1_30default_config_static_selectorELNS0_4arch9wavefront6targetE0EEEvSM_
	.p2align	8
	.type	_ZN7rocprim17ROCPRIM_400000_NS6detail17trampoline_kernelINS0_14default_configENS1_37merge_sort_block_sort_config_selectorIlNS0_10empty_typeEEEZNS1_21merge_sort_block_sortIS3_PlS8_PS5_S9_ZN2at6native12_GLOBAL__N_124unique_dim_cuda_templateIdEESt5tupleIJNSA_6TensorESF_SF_EERKSF_lbbbEUlllE_EE10hipError_tT0_T1_T2_T3_mRjT4_P12ihipStream_tbNS1_7vsmem_tEEUlT_E_NS1_11comp_targetILNS1_3genE0ELNS1_11target_archE4294967295ELNS1_3gpuE0ELNS1_3repE0EEENS1_30default_config_static_selectorELNS0_4arch9wavefront6targetE0EEEvSM_,@function
_ZN7rocprim17ROCPRIM_400000_NS6detail17trampoline_kernelINS0_14default_configENS1_37merge_sort_block_sort_config_selectorIlNS0_10empty_typeEEEZNS1_21merge_sort_block_sortIS3_PlS8_PS5_S9_ZN2at6native12_GLOBAL__N_124unique_dim_cuda_templateIdEESt5tupleIJNSA_6TensorESF_SF_EERKSF_lbbbEUlllE_EE10hipError_tT0_T1_T2_T3_mRjT4_P12ihipStream_tbNS1_7vsmem_tEEUlT_E_NS1_11comp_targetILNS1_3genE0ELNS1_11target_archE4294967295ELNS1_3gpuE0ELNS1_3repE0EEENS1_30default_config_static_selectorELNS0_4arch9wavefront6targetE0EEEvSM_: ; @_ZN7rocprim17ROCPRIM_400000_NS6detail17trampoline_kernelINS0_14default_configENS1_37merge_sort_block_sort_config_selectorIlNS0_10empty_typeEEEZNS1_21merge_sort_block_sortIS3_PlS8_PS5_S9_ZN2at6native12_GLOBAL__N_124unique_dim_cuda_templateIdEESt5tupleIJNSA_6TensorESF_SF_EERKSF_lbbbEUlllE_EE10hipError_tT0_T1_T2_T3_mRjT4_P12ihipStream_tbNS1_7vsmem_tEEUlT_E_NS1_11comp_targetILNS1_3genE0ELNS1_11target_archE4294967295ELNS1_3gpuE0ELNS1_3repE0EEENS1_30default_config_static_selectorELNS0_4arch9wavefront6targetE0EEEvSM_
; %bb.0:
	s_clause 0x1
	s_load_b32 s4, s[0:1], 0x0
	s_load_b64 s[8:9], s[0:1], 0x48
	s_bfe_u32 s2, ttmp6, 0x40010
	s_and_b32 s3, ttmp7, 0xffff
	s_add_co_i32 s2, s2, 1
	s_bfe_u32 s6, ttmp6, 0x4000c
	s_mul_i32 s2, s3, s2
	s_bfe_u32 s5, ttmp6, 0x40004
	s_add_co_i32 s6, s6, 1
	s_bfe_u32 s7, ttmp6, 0x40014
	s_add_co_i32 s5, s5, s2
	s_and_b32 s2, ttmp6, 15
	s_mul_i32 s6, ttmp9, s6
	s_lshr_b32 s10, ttmp7, 16
	s_add_co_i32 s7, s7, 1
	s_add_co_i32 s2, s2, s6
	s_mul_i32 s6, s10, s7
	s_bfe_u32 s7, ttmp6, 0x40008
	s_getreg_b32 s11, hwreg(HW_REG_IB_STS2, 6, 4)
	s_add_co_i32 s7, s7, s6
	s_cmp_eq_u32 s11, 0
	s_cselect_b32 s6, s10, s7
	s_cselect_b32 s3, s3, s5
	s_wait_kmcnt 0x0
	s_mul_i32 s6, s9, s6
	s_cselect_b32 s9, ttmp9, s2
	s_add_co_i32 s2, s6, s3
	s_mov_b32 s3, 0
	s_mul_i32 s2, s2, s8
	s_delay_alu instid0(SALU_CYCLE_1) | instskip(NEXT) | instid1(SALU_CYCLE_1)
	s_add_co_i32 s2, s2, s9
	s_cmp_ge_u32 s2, s4
	s_cbranch_scc1 .LBB749_1229
; %bb.1:
	s_clause 0x2
	s_load_b64 s[4:5], s[0:1], 0x8
	s_load_b128 s[20:23], s[0:1], 0x18
	s_load_b128 s[12:15], s[0:1], 0x38
	v_and_b32_e32 v18, 0x3ff, v0
	s_add_nc_u64 s[16:17], s[0:1], 0x48
	s_wait_xcnt 0x0
	s_lshl_b64 s[0:1], s[2:3], 14
	s_wait_kmcnt 0x0
	s_lshr_b64 s[6:7], s[4:5], 11
	s_add_nc_u64 s[18:19], s[20:21], s[0:1]
	s_cmp_lg_u64 s[6:7], s[2:3]
	s_add_nc_u64 s[10:11], s[22:23], s[0:1]
	s_cbranch_scc0 .LBB749_8
; %bb.2:
	s_clause 0x7
	global_load_b64 v[2:3], v18, s[18:19] scale_offset
	global_load_b64 v[4:5], v18, s[18:19] offset:2048 scale_offset
	global_load_b64 v[6:7], v18, s[18:19] offset:4096 scale_offset
	;; [unrolled: 1-line block ×7, first 2 shown]
	v_dual_lshrrev_b32 v19, 2, v18 :: v_dual_lshlrev_b32 v1, 3, v18
	v_add_nc_u32_e32 v20, 0x100, v18
	v_add_nc_u32_e32 v21, 0x200, v18
	;; [unrolled: 1-line block ×3, first 2 shown]
	v_or_b32_e32 v23, 0x400, v18
	v_add_nc_u32_e32 v24, 0x500, v18
	v_add_nc_u32_e32 v25, 0x600, v18
	;; [unrolled: 1-line block ×3, first 2 shown]
	v_dual_lshlrev_b32 v27, 1, v18 :: v_dual_lshrrev_b32 v20, 2, v20
	v_and_b32_e32 v19, 0xf8, v19
	v_dual_lshrrev_b32 v21, 2, v21 :: v_dual_lshrrev_b32 v22, 2, v22
	v_dual_lshrrev_b32 v23, 2, v23 :: v_dual_lshrrev_b32 v24, 2, v24
	;; [unrolled: 1-line block ×3, first 2 shown]
	v_and_b32_e32 v27, 0x7f8, v27
	v_add_nc_u32_e32 v36, v19, v1
	v_and_b32_e32 v19, 0x1f8, v20
	v_and_b32_e32 v20, 0x1f8, v21
	;; [unrolled: 1-line block ×7, first 2 shown]
	v_lshl_add_u32 v44, v18, 6, v27
	v_dual_add_nc_u32 v37, v19, v1 :: v_dual_add_nc_u32 v38, v20, v1
	v_add_nc_u32_e32 v39, v21, v1
	s_cmp_lt_u32 s9, s8
	v_dual_add_nc_u32 v40, v22, v1 :: v_dual_add_nc_u32 v41, v23, v1
	v_dual_add_nc_u32 v42, v24, v1 :: v_dual_add_nc_u32 v43, v25, v1
	s_mov_b32 s1, 0
	s_cselect_b32 s0, 12, 18
	v_bfe_u32 v19, v0, 10, 10
	s_add_nc_u64 s[0:1], s[16:17], s[0:1]
	v_bfe_u32 v20, v0, 20, 10
	s_wait_loadcnt 0x7
	ds_store_b64 v36, v[2:3]
	s_wait_loadcnt 0x6
	ds_store_b64 v37, v[4:5] offset:2048
	s_wait_loadcnt 0x5
	ds_store_b64 v38, v[6:7] offset:4096
	;; [unrolled: 2-line block ×7, first 2 shown]
	s_wait_dscnt 0x0
	s_barrier_signal -1
	s_barrier_wait -1
	ds_load_2addr_b64 v[14:17], v44 offset1:1
	ds_load_2addr_b64 v[10:13], v44 offset0:2 offset1:3
	ds_load_2addr_b64 v[6:9], v44 offset0:4 offset1:5
	;; [unrolled: 1-line block ×3, first 2 shown]
	s_wait_dscnt 0x0
	s_barrier_signal -1
	s_barrier_wait -1
	s_clause 0x1
	s_load_u16 s5, s[16:17], 0xe
	s_nop 0
	s_load_u16 s0, s[0:1], 0x0
	s_wait_xcnt 0x0
	s_mov_b32 s1, exec_lo
	s_wait_kmcnt 0x0
	v_mad_u32_u24 v19, v20, s5, v19
	v_cmp_gt_i64_e64 s5, s[12:13], 0
	s_delay_alu instid0(VALU_DEP_2) | instskip(NEXT) | instid1(VALU_DEP_2)
	v_mul_lo_u32 v19, v19, s0
	v_cndmask_b32_e64 v45, 0, 1, s5
	s_delay_alu instid0(VALU_DEP_2) | instskip(SKIP_1) | instid1(VALU_DEP_2)
	v_add_lshl_u32 v24, v19, v18, 3
	v_mov_b32_e32 v19, 0
	v_cmpx_gt_u32_e32 0x800, v24
	s_cbranch_execz .LBB749_190
; %bb.3:
	s_and_not1_b32 vcc_lo, exec_lo, s5
	s_cbranch_vccnz .LBB749_18
; %bb.4:
	v_mul_u64_e32 v[20:21], s[12:13], v[16:17]
	v_mul_u64_e32 v[22:23], s[12:13], v[14:15]
	s_mov_b32 s21, 0
	s_mov_b64 s[6:7], s[12:13]
                                        ; implicit-def: $sgpr20
                                        ; implicit-def: $sgpr22
                                        ; implicit-def: $sgpr24
                                        ; implicit-def: $sgpr23
                                        ; implicit-def: $sgpr25
	s_delay_alu instid0(VALU_DEP_2) | instskip(NEXT) | instid1(VALU_DEP_2)
	v_lshl_add_u64 v[20:21], v[20:21], 3, s[14:15]
	v_lshl_add_u64 v[22:23], v[22:23], 3, s[14:15]
	s_branch .LBB749_6
.LBB749_5:                              ;   in Loop: Header=BB749_6 Depth=1
	s_or_b32 exec_lo, exec_lo, s26
	s_and_b32 s0, s0, s25
	s_delay_alu instid0(SALU_CYCLE_1) | instskip(SKIP_1) | instid1(SALU_CYCLE_1)
	s_or_b32 s0, vcc_lo, s0
	s_and_b32 s26, exec_lo, s24
	s_or_b32 s21, s26, s21
	s_and_not1_b32 s25, s25, exec_lo
	s_and_b32 s0, s0, exec_lo
	s_and_not1_b32 s22, s22, exec_lo
	s_and_b32 s26, s23, exec_lo
	s_and_not1_b32 s20, s20, exec_lo
	s_or_b32 s25, s25, s0
	s_or_b32 s22, s22, s26
	;; [unrolled: 1-line block ×3, first 2 shown]
	s_and_not1_b32 exec_lo, exec_lo, s21
	s_cbranch_execz .LBB749_9
.LBB749_6:                              ; =>This Inner Loop Header: Depth=1
	global_load_b64 v[26:27], v[20:21], off
	global_load_b64 v[28:29], v[22:23], off
	s_or_b32 s23, s23, exec_lo
	s_or_b32 s24, s24, exec_lo
	s_wait_loadcnt 0x0
	v_cmp_lt_f64_e32 vcc_lo, v[26:27], v[28:29]
	v_cmp_ngt_f64_e64 s0, v[26:27], v[28:29]
	s_xor_b32 s27, vcc_lo, s0
	s_delay_alu instid0(SALU_CYCLE_1)
	s_and_saveexec_b32 s26, s27
	s_cbranch_execz .LBB749_5
; %bb.7:                                ;   in Loop: Header=BB749_6 Depth=1
	s_add_nc_u64 s[6:7], s[6:7], -1
	v_add_nc_u64_e32 v[20:21], 8, v[20:21]
	s_cmp_eq_u64 s[6:7], 0
	v_add_nc_u64_e32 v[22:23], 8, v[22:23]
	s_cselect_b32 s27, -1, 0
	s_and_not1_b32 s24, s24, exec_lo
	s_and_b32 s27, s27, exec_lo
	s_and_not1_b32 s23, s23, exec_lo
	s_or_b32 s24, s24, s27
	s_branch .LBB749_5
.LBB749_8:
	s_mov_b32 s20, s3
                                        ; implicit-def: $vgpr2_vgpr3
	s_cbranch_execnz .LBB749_585
	s_branch .LBB749_1227
.LBB749_9:
	s_or_b32 exec_lo, exec_lo, s21
	s_and_saveexec_b32 s0, s22
	s_delay_alu instid0(SALU_CYCLE_1)
	s_xor_b32 s0, exec_lo, s0
; %bb.10:
	v_dual_cndmask_b32 v21, v17, v15, s20 :: v_dual_cndmask_b32 v20, v16, v14, s20
	v_dual_cndmask_b32 v15, v15, v17, s20 :: v_dual_cndmask_b32 v14, v14, v16, s20
	s_delay_alu instid0(VALU_DEP_2)
	v_mov_b64_e32 v[16:17], v[20:21]
; %bb.11:
	s_or_b32 exec_lo, exec_lo, s0
	v_mul_u64_e32 v[20:21], s[12:13], v[12:13]
	v_mul_u64_e32 v[22:23], s[12:13], v[10:11]
	s_mov_b32 s21, 0
	s_mov_b64 s[6:7], s[12:13]
                                        ; implicit-def: $sgpr20
                                        ; implicit-def: $sgpr22
                                        ; implicit-def: $sgpr24
                                        ; implicit-def: $sgpr23
                                        ; implicit-def: $sgpr25
	s_delay_alu instid0(VALU_DEP_2) | instskip(NEXT) | instid1(VALU_DEP_2)
	v_lshl_add_u64 v[20:21], v[20:21], 3, s[14:15]
	v_lshl_add_u64 v[22:23], v[22:23], 3, s[14:15]
	s_branch .LBB749_13
.LBB749_12:                             ;   in Loop: Header=BB749_13 Depth=1
	s_or_b32 exec_lo, exec_lo, s26
	s_and_b32 s0, s0, s25
	s_delay_alu instid0(SALU_CYCLE_1) | instskip(SKIP_1) | instid1(SALU_CYCLE_1)
	s_or_b32 s0, vcc_lo, s0
	s_and_b32 s26, exec_lo, s24
	s_or_b32 s21, s26, s21
	s_and_not1_b32 s25, s25, exec_lo
	s_and_b32 s0, s0, exec_lo
	s_and_not1_b32 s22, s22, exec_lo
	s_and_b32 s26, s23, exec_lo
	s_and_not1_b32 s20, s20, exec_lo
	s_or_b32 s25, s25, s0
	s_or_b32 s22, s22, s26
	;; [unrolled: 1-line block ×3, first 2 shown]
	s_and_not1_b32 exec_lo, exec_lo, s21
	s_cbranch_execz .LBB749_15
.LBB749_13:                             ; =>This Inner Loop Header: Depth=1
	global_load_b64 v[26:27], v[20:21], off
	global_load_b64 v[28:29], v[22:23], off
	s_or_b32 s23, s23, exec_lo
	s_or_b32 s24, s24, exec_lo
	s_wait_loadcnt 0x0
	v_cmp_lt_f64_e32 vcc_lo, v[26:27], v[28:29]
	v_cmp_ngt_f64_e64 s0, v[26:27], v[28:29]
	s_xor_b32 s27, vcc_lo, s0
	s_delay_alu instid0(SALU_CYCLE_1)
	s_and_saveexec_b32 s26, s27
	s_cbranch_execz .LBB749_12
; %bb.14:                               ;   in Loop: Header=BB749_13 Depth=1
	s_add_nc_u64 s[6:7], s[6:7], -1
	v_add_nc_u64_e32 v[20:21], 8, v[20:21]
	s_cmp_eq_u64 s[6:7], 0
	v_add_nc_u64_e32 v[22:23], 8, v[22:23]
	s_cselect_b32 s27, -1, 0
	s_and_not1_b32 s24, s24, exec_lo
	s_and_b32 s27, s27, exec_lo
	s_and_not1_b32 s23, s23, exec_lo
	s_or_b32 s24, s24, s27
	s_branch .LBB749_12
.LBB749_15:
	s_or_b32 exec_lo, exec_lo, s21
	s_and_saveexec_b32 s0, s22
	s_delay_alu instid0(SALU_CYCLE_1)
	s_xor_b32 s0, exec_lo, s0
; %bb.16:
	v_dual_cndmask_b32 v21, v11, v13, s20 :: v_dual_cndmask_b32 v20, v10, v12, s20
	v_dual_cndmask_b32 v13, v13, v11, s20 :: v_dual_cndmask_b32 v12, v12, v10, s20
	s_delay_alu instid0(VALU_DEP_2)
	v_mov_b64_e32 v[10:11], v[20:21]
; %bb.17:
	s_or_b32 exec_lo, exec_lo, s0
.LBB749_18:
	s_delay_alu instid0(SALU_CYCLE_1)
	s_and_not1_b32 vcc_lo, exec_lo, s5
	s_cbranch_vccnz .LBB749_32
; %bb.19:
	v_mul_u64_e32 v[20:21], s[12:13], v[8:9]
	v_mul_u64_e32 v[22:23], s[12:13], v[6:7]
	s_mov_b32 s21, 0
	s_mov_b64 s[6:7], s[12:13]
                                        ; implicit-def: $sgpr20
                                        ; implicit-def: $sgpr22
                                        ; implicit-def: $sgpr24
                                        ; implicit-def: $sgpr23
                                        ; implicit-def: $sgpr25
	s_delay_alu instid0(VALU_DEP_2) | instskip(NEXT) | instid1(VALU_DEP_2)
	v_lshl_add_u64 v[20:21], v[20:21], 3, s[14:15]
	v_lshl_add_u64 v[22:23], v[22:23], 3, s[14:15]
	s_branch .LBB749_21
.LBB749_20:                             ;   in Loop: Header=BB749_21 Depth=1
	s_or_b32 exec_lo, exec_lo, s26
	s_and_b32 s0, s0, s25
	s_delay_alu instid0(SALU_CYCLE_1) | instskip(SKIP_1) | instid1(SALU_CYCLE_1)
	s_or_b32 s0, vcc_lo, s0
	s_and_b32 s26, exec_lo, s24
	s_or_b32 s21, s26, s21
	s_and_not1_b32 s25, s25, exec_lo
	s_and_b32 s0, s0, exec_lo
	s_and_not1_b32 s22, s22, exec_lo
	s_and_b32 s26, s23, exec_lo
	s_and_not1_b32 s20, s20, exec_lo
	s_or_b32 s25, s25, s0
	s_or_b32 s22, s22, s26
	;; [unrolled: 1-line block ×3, first 2 shown]
	s_and_not1_b32 exec_lo, exec_lo, s21
	s_cbranch_execz .LBB749_23
.LBB749_21:                             ; =>This Inner Loop Header: Depth=1
	global_load_b64 v[26:27], v[20:21], off
	global_load_b64 v[28:29], v[22:23], off
	s_or_b32 s23, s23, exec_lo
	s_or_b32 s24, s24, exec_lo
	s_wait_loadcnt 0x0
	v_cmp_lt_f64_e32 vcc_lo, v[26:27], v[28:29]
	v_cmp_ngt_f64_e64 s0, v[26:27], v[28:29]
	s_xor_b32 s27, vcc_lo, s0
	s_delay_alu instid0(SALU_CYCLE_1)
	s_and_saveexec_b32 s26, s27
	s_cbranch_execz .LBB749_20
; %bb.22:                               ;   in Loop: Header=BB749_21 Depth=1
	s_add_nc_u64 s[6:7], s[6:7], -1
	v_add_nc_u64_e32 v[20:21], 8, v[20:21]
	s_cmp_eq_u64 s[6:7], 0
	v_add_nc_u64_e32 v[22:23], 8, v[22:23]
	s_cselect_b32 s27, -1, 0
	s_and_not1_b32 s24, s24, exec_lo
	s_and_b32 s27, s27, exec_lo
	s_and_not1_b32 s23, s23, exec_lo
	s_or_b32 s24, s24, s27
	s_branch .LBB749_20
.LBB749_23:
	s_or_b32 exec_lo, exec_lo, s21
	s_and_saveexec_b32 s0, s22
	s_delay_alu instid0(SALU_CYCLE_1)
	s_xor_b32 s0, exec_lo, s0
; %bb.24:
	v_dual_cndmask_b32 v21, v7, v9, s20 :: v_dual_cndmask_b32 v20, v6, v8, s20
	v_dual_cndmask_b32 v9, v9, v7, s20 :: v_dual_cndmask_b32 v8, v8, v6, s20
	s_delay_alu instid0(VALU_DEP_2)
	v_mov_b64_e32 v[6:7], v[20:21]
; %bb.25:
	s_or_b32 exec_lo, exec_lo, s0
	v_mul_u64_e32 v[20:21], s[12:13], v[4:5]
	v_mul_u64_e32 v[22:23], s[12:13], v[2:3]
	s_mov_b32 s21, 0
	s_mov_b64 s[6:7], s[12:13]
                                        ; implicit-def: $sgpr20
                                        ; implicit-def: $sgpr22
                                        ; implicit-def: $sgpr24
                                        ; implicit-def: $sgpr23
                                        ; implicit-def: $sgpr25
	s_delay_alu instid0(VALU_DEP_2) | instskip(NEXT) | instid1(VALU_DEP_2)
	v_lshl_add_u64 v[20:21], v[20:21], 3, s[14:15]
	v_lshl_add_u64 v[22:23], v[22:23], 3, s[14:15]
	s_branch .LBB749_27
.LBB749_26:                             ;   in Loop: Header=BB749_27 Depth=1
	s_or_b32 exec_lo, exec_lo, s26
	s_and_b32 s0, s0, s25
	s_delay_alu instid0(SALU_CYCLE_1) | instskip(SKIP_1) | instid1(SALU_CYCLE_1)
	s_or_b32 s0, vcc_lo, s0
	s_and_b32 s26, exec_lo, s24
	s_or_b32 s21, s26, s21
	s_and_not1_b32 s25, s25, exec_lo
	s_and_b32 s0, s0, exec_lo
	s_and_not1_b32 s22, s22, exec_lo
	s_and_b32 s26, s23, exec_lo
	s_and_not1_b32 s20, s20, exec_lo
	s_or_b32 s25, s25, s0
	s_or_b32 s22, s22, s26
	;; [unrolled: 1-line block ×3, first 2 shown]
	s_and_not1_b32 exec_lo, exec_lo, s21
	s_cbranch_execz .LBB749_29
.LBB749_27:                             ; =>This Inner Loop Header: Depth=1
	global_load_b64 v[26:27], v[20:21], off
	global_load_b64 v[28:29], v[22:23], off
	s_or_b32 s23, s23, exec_lo
	s_or_b32 s24, s24, exec_lo
	s_wait_loadcnt 0x0
	v_cmp_lt_f64_e32 vcc_lo, v[26:27], v[28:29]
	v_cmp_ngt_f64_e64 s0, v[26:27], v[28:29]
	s_xor_b32 s27, vcc_lo, s0
	s_delay_alu instid0(SALU_CYCLE_1)
	s_and_saveexec_b32 s26, s27
	s_cbranch_execz .LBB749_26
; %bb.28:                               ;   in Loop: Header=BB749_27 Depth=1
	s_add_nc_u64 s[6:7], s[6:7], -1
	v_add_nc_u64_e32 v[20:21], 8, v[20:21]
	s_cmp_eq_u64 s[6:7], 0
	v_add_nc_u64_e32 v[22:23], 8, v[22:23]
	s_cselect_b32 s27, -1, 0
	s_and_not1_b32 s24, s24, exec_lo
	s_and_b32 s27, s27, exec_lo
	s_and_not1_b32 s23, s23, exec_lo
	s_or_b32 s24, s24, s27
	s_branch .LBB749_26
.LBB749_29:
	s_or_b32 exec_lo, exec_lo, s21
	s_and_saveexec_b32 s0, s22
	s_delay_alu instid0(SALU_CYCLE_1)
	s_xor_b32 s0, exec_lo, s0
; %bb.30:
	v_dual_cndmask_b32 v21, v3, v5, s20 :: v_dual_cndmask_b32 v20, v2, v4, s20
	v_dual_cndmask_b32 v5, v5, v3, s20 :: v_dual_cndmask_b32 v4, v4, v2, s20
	s_delay_alu instid0(VALU_DEP_2)
	v_mov_b64_e32 v[2:3], v[20:21]
; %bb.31:
	s_or_b32 exec_lo, exec_lo, s0
.LBB749_32:
	s_delay_alu instid0(SALU_CYCLE_1)
	s_and_b32 vcc_lo, exec_lo, s5
	s_cbranch_vccz .LBB749_46
; %bb.33:
	s_delay_alu instid0(VALU_DEP_1) | instskip(SKIP_3) | instid1(VALU_DEP_2)
	v_mul_u64_e32 v[20:21], s[12:13], v[10:11]
	v_mul_u64_e32 v[22:23], s[12:13], v[16:17]
	s_mov_b32 s20, 0
	s_mov_b64 s[6:7], s[12:13]
                                        ; implicit-def: $sgpr5
                                        ; implicit-def: $sgpr21
                                        ; implicit-def: $sgpr23
                                        ; implicit-def: $sgpr22
                                        ; implicit-def: $sgpr24
	v_lshl_add_u64 v[20:21], v[20:21], 3, s[14:15]
	s_delay_alu instid0(VALU_DEP_2)
	v_lshl_add_u64 v[22:23], v[22:23], 3, s[14:15]
	s_branch .LBB749_35
.LBB749_34:                             ;   in Loop: Header=BB749_35 Depth=1
	s_or_b32 exec_lo, exec_lo, s25
	s_and_b32 s0, s0, s24
	s_delay_alu instid0(SALU_CYCLE_1) | instskip(SKIP_1) | instid1(SALU_CYCLE_1)
	s_or_b32 s0, vcc_lo, s0
	s_and_b32 s25, exec_lo, s23
	s_or_b32 s20, s25, s20
	s_and_not1_b32 s24, s24, exec_lo
	s_and_b32 s0, s0, exec_lo
	s_and_not1_b32 s21, s21, exec_lo
	s_and_b32 s25, s22, exec_lo
	s_and_not1_b32 s5, s5, exec_lo
	s_or_b32 s24, s24, s0
	s_or_b32 s21, s21, s25
	;; [unrolled: 1-line block ×3, first 2 shown]
	s_and_not1_b32 exec_lo, exec_lo, s20
	s_cbranch_execz .LBB749_37
.LBB749_35:                             ; =>This Inner Loop Header: Depth=1
	global_load_b64 v[26:27], v[20:21], off
	global_load_b64 v[28:29], v[22:23], off
	s_or_b32 s22, s22, exec_lo
	s_or_b32 s23, s23, exec_lo
	s_wait_loadcnt 0x0
	v_cmp_lt_f64_e32 vcc_lo, v[26:27], v[28:29]
	v_cmp_ngt_f64_e64 s0, v[26:27], v[28:29]
	s_xor_b32 s26, vcc_lo, s0
	s_delay_alu instid0(SALU_CYCLE_1)
	s_and_saveexec_b32 s25, s26
	s_cbranch_execz .LBB749_34
; %bb.36:                               ;   in Loop: Header=BB749_35 Depth=1
	s_add_nc_u64 s[6:7], s[6:7], -1
	v_add_nc_u64_e32 v[20:21], 8, v[20:21]
	s_cmp_eq_u64 s[6:7], 0
	v_add_nc_u64_e32 v[22:23], 8, v[22:23]
	s_cselect_b32 s26, -1, 0
	s_and_not1_b32 s23, s23, exec_lo
	s_and_b32 s26, s26, exec_lo
	s_and_not1_b32 s22, s22, exec_lo
	s_or_b32 s23, s23, s26
	s_branch .LBB749_34
.LBB749_37:
	s_or_b32 exec_lo, exec_lo, s20
	s_and_saveexec_b32 s0, s21
	s_delay_alu instid0(SALU_CYCLE_1)
	s_xor_b32 s0, exec_lo, s0
; %bb.38:
	v_dual_cndmask_b32 v21, v17, v11, s5 :: v_dual_cndmask_b32 v20, v16, v10, s5
	v_dual_cndmask_b32 v11, v11, v17, s5 :: v_dual_cndmask_b32 v10, v10, v16, s5
	s_delay_alu instid0(VALU_DEP_2)
	v_mov_b64_e32 v[16:17], v[20:21]
; %bb.39:
	s_or_b32 exec_lo, exec_lo, s0
	v_mul_u64_e32 v[20:21], s[12:13], v[6:7]
	v_mul_u64_e32 v[22:23], s[12:13], v[12:13]
	s_mov_b32 s20, 0
	s_mov_b64 s[6:7], s[12:13]
                                        ; implicit-def: $sgpr5
                                        ; implicit-def: $sgpr21
                                        ; implicit-def: $sgpr23
                                        ; implicit-def: $sgpr22
                                        ; implicit-def: $sgpr24
	s_delay_alu instid0(VALU_DEP_2) | instskip(NEXT) | instid1(VALU_DEP_2)
	v_lshl_add_u64 v[20:21], v[20:21], 3, s[14:15]
	v_lshl_add_u64 v[22:23], v[22:23], 3, s[14:15]
	s_branch .LBB749_41
.LBB749_40:                             ;   in Loop: Header=BB749_41 Depth=1
	s_or_b32 exec_lo, exec_lo, s25
	s_and_b32 s0, s0, s24
	s_delay_alu instid0(SALU_CYCLE_1) | instskip(SKIP_1) | instid1(SALU_CYCLE_1)
	s_or_b32 s0, vcc_lo, s0
	s_and_b32 s25, exec_lo, s23
	s_or_b32 s20, s25, s20
	s_and_not1_b32 s24, s24, exec_lo
	s_and_b32 s0, s0, exec_lo
	s_and_not1_b32 s21, s21, exec_lo
	s_and_b32 s25, s22, exec_lo
	s_and_not1_b32 s5, s5, exec_lo
	s_or_b32 s24, s24, s0
	s_or_b32 s21, s21, s25
	;; [unrolled: 1-line block ×3, first 2 shown]
	s_and_not1_b32 exec_lo, exec_lo, s20
	s_cbranch_execz .LBB749_43
.LBB749_41:                             ; =>This Inner Loop Header: Depth=1
	global_load_b64 v[26:27], v[20:21], off
	global_load_b64 v[28:29], v[22:23], off
	s_or_b32 s22, s22, exec_lo
	s_or_b32 s23, s23, exec_lo
	s_wait_loadcnt 0x0
	v_cmp_lt_f64_e32 vcc_lo, v[26:27], v[28:29]
	v_cmp_ngt_f64_e64 s0, v[26:27], v[28:29]
	s_xor_b32 s26, vcc_lo, s0
	s_delay_alu instid0(SALU_CYCLE_1)
	s_and_saveexec_b32 s25, s26
	s_cbranch_execz .LBB749_40
; %bb.42:                               ;   in Loop: Header=BB749_41 Depth=1
	s_add_nc_u64 s[6:7], s[6:7], -1
	v_add_nc_u64_e32 v[20:21], 8, v[20:21]
	s_cmp_eq_u64 s[6:7], 0
	v_add_nc_u64_e32 v[22:23], 8, v[22:23]
	s_cselect_b32 s26, -1, 0
	s_and_not1_b32 s23, s23, exec_lo
	s_and_b32 s26, s26, exec_lo
	s_and_not1_b32 s22, s22, exec_lo
	s_or_b32 s23, s23, s26
	s_branch .LBB749_40
.LBB749_43:
	s_or_b32 exec_lo, exec_lo, s20
	s_and_saveexec_b32 s0, s21
	s_delay_alu instid0(SALU_CYCLE_1)
	s_xor_b32 s0, exec_lo, s0
; %bb.44:
	v_dual_cndmask_b32 v21, v13, v7, s5 :: v_dual_cndmask_b32 v20, v12, v6, s5
	v_dual_cndmask_b32 v7, v7, v13, s5 :: v_dual_cndmask_b32 v6, v6, v12, s5
	s_delay_alu instid0(VALU_DEP_2)
	v_mov_b64_e32 v[12:13], v[20:21]
; %bb.45:
	s_or_b32 exec_lo, exec_lo, s0
.LBB749_46:
	v_cmp_ne_u32_e32 vcc_lo, 1, v45
	s_cbranch_vccnz .LBB749_60
; %bb.47:
	s_delay_alu instid0(VALU_DEP_2) | instskip(SKIP_3) | instid1(VALU_DEP_2)
	v_mul_u64_e32 v[20:21], s[12:13], v[2:3]
	v_mul_u64_e32 v[22:23], s[12:13], v[8:9]
	s_mov_b32 s20, 0
	s_mov_b64 s[6:7], s[12:13]
                                        ; implicit-def: $sgpr5
                                        ; implicit-def: $sgpr21
                                        ; implicit-def: $sgpr23
                                        ; implicit-def: $sgpr22
                                        ; implicit-def: $sgpr24
	v_lshl_add_u64 v[20:21], v[20:21], 3, s[14:15]
	s_delay_alu instid0(VALU_DEP_2)
	v_lshl_add_u64 v[22:23], v[22:23], 3, s[14:15]
	s_branch .LBB749_49
.LBB749_48:                             ;   in Loop: Header=BB749_49 Depth=1
	s_or_b32 exec_lo, exec_lo, s25
	s_and_b32 s0, s0, s24
	s_delay_alu instid0(SALU_CYCLE_1) | instskip(SKIP_1) | instid1(SALU_CYCLE_1)
	s_or_b32 s0, vcc_lo, s0
	s_and_b32 s25, exec_lo, s23
	s_or_b32 s20, s25, s20
	s_and_not1_b32 s24, s24, exec_lo
	s_and_b32 s0, s0, exec_lo
	s_and_not1_b32 s21, s21, exec_lo
	s_and_b32 s25, s22, exec_lo
	s_and_not1_b32 s5, s5, exec_lo
	s_or_b32 s24, s24, s0
	s_or_b32 s21, s21, s25
	;; [unrolled: 1-line block ×3, first 2 shown]
	s_and_not1_b32 exec_lo, exec_lo, s20
	s_cbranch_execz .LBB749_51
.LBB749_49:                             ; =>This Inner Loop Header: Depth=1
	global_load_b64 v[26:27], v[20:21], off
	global_load_b64 v[28:29], v[22:23], off
	s_or_b32 s22, s22, exec_lo
	s_or_b32 s23, s23, exec_lo
	s_wait_loadcnt 0x0
	v_cmp_lt_f64_e32 vcc_lo, v[26:27], v[28:29]
	v_cmp_ngt_f64_e64 s0, v[26:27], v[28:29]
	s_xor_b32 s26, vcc_lo, s0
	s_delay_alu instid0(SALU_CYCLE_1)
	s_and_saveexec_b32 s25, s26
	s_cbranch_execz .LBB749_48
; %bb.50:                               ;   in Loop: Header=BB749_49 Depth=1
	s_add_nc_u64 s[6:7], s[6:7], -1
	v_add_nc_u64_e32 v[20:21], 8, v[20:21]
	s_cmp_eq_u64 s[6:7], 0
	v_add_nc_u64_e32 v[22:23], 8, v[22:23]
	s_cselect_b32 s26, -1, 0
	s_and_not1_b32 s23, s23, exec_lo
	s_and_b32 s26, s26, exec_lo
	s_and_not1_b32 s22, s22, exec_lo
	s_or_b32 s23, s23, s26
	s_branch .LBB749_48
.LBB749_51:
	s_or_b32 exec_lo, exec_lo, s20
	s_and_saveexec_b32 s0, s21
	s_delay_alu instid0(SALU_CYCLE_1)
	s_xor_b32 s0, exec_lo, s0
; %bb.52:
	v_dual_cndmask_b32 v21, v9, v3, s5 :: v_dual_cndmask_b32 v20, v8, v2, s5
	v_dual_cndmask_b32 v3, v3, v9, s5 :: v_dual_cndmask_b32 v2, v2, v8, s5
	s_delay_alu instid0(VALU_DEP_2)
	v_mov_b64_e32 v[8:9], v[20:21]
; %bb.53:
	s_or_b32 exec_lo, exec_lo, s0
	v_mul_u64_e32 v[20:21], s[12:13], v[16:17]
	v_mul_u64_e32 v[22:23], s[12:13], v[14:15]
	s_mov_b32 s20, 0
	s_mov_b64 s[6:7], s[12:13]
                                        ; implicit-def: $sgpr5
                                        ; implicit-def: $sgpr21
                                        ; implicit-def: $sgpr23
                                        ; implicit-def: $sgpr22
                                        ; implicit-def: $sgpr24
	s_delay_alu instid0(VALU_DEP_2) | instskip(NEXT) | instid1(VALU_DEP_2)
	v_lshl_add_u64 v[20:21], v[20:21], 3, s[14:15]
	v_lshl_add_u64 v[22:23], v[22:23], 3, s[14:15]
	s_branch .LBB749_55
.LBB749_54:                             ;   in Loop: Header=BB749_55 Depth=1
	s_or_b32 exec_lo, exec_lo, s25
	s_and_b32 s0, s0, s24
	s_delay_alu instid0(SALU_CYCLE_1) | instskip(SKIP_1) | instid1(SALU_CYCLE_1)
	s_or_b32 s0, vcc_lo, s0
	s_and_b32 s25, exec_lo, s23
	s_or_b32 s20, s25, s20
	s_and_not1_b32 s24, s24, exec_lo
	s_and_b32 s0, s0, exec_lo
	s_and_not1_b32 s21, s21, exec_lo
	s_and_b32 s25, s22, exec_lo
	s_and_not1_b32 s5, s5, exec_lo
	s_or_b32 s24, s24, s0
	s_or_b32 s21, s21, s25
	;; [unrolled: 1-line block ×3, first 2 shown]
	s_and_not1_b32 exec_lo, exec_lo, s20
	s_cbranch_execz .LBB749_57
.LBB749_55:                             ; =>This Inner Loop Header: Depth=1
	global_load_b64 v[26:27], v[20:21], off
	global_load_b64 v[28:29], v[22:23], off
	s_or_b32 s22, s22, exec_lo
	s_or_b32 s23, s23, exec_lo
	s_wait_loadcnt 0x0
	v_cmp_lt_f64_e32 vcc_lo, v[26:27], v[28:29]
	v_cmp_ngt_f64_e64 s0, v[26:27], v[28:29]
	s_xor_b32 s26, vcc_lo, s0
	s_delay_alu instid0(SALU_CYCLE_1)
	s_and_saveexec_b32 s25, s26
	s_cbranch_execz .LBB749_54
; %bb.56:                               ;   in Loop: Header=BB749_55 Depth=1
	s_add_nc_u64 s[6:7], s[6:7], -1
	v_add_nc_u64_e32 v[20:21], 8, v[20:21]
	s_cmp_eq_u64 s[6:7], 0
	v_add_nc_u64_e32 v[22:23], 8, v[22:23]
	s_cselect_b32 s26, -1, 0
	s_and_not1_b32 s23, s23, exec_lo
	s_and_b32 s26, s26, exec_lo
	s_and_not1_b32 s22, s22, exec_lo
	s_or_b32 s23, s23, s26
	s_branch .LBB749_54
.LBB749_57:
	s_or_b32 exec_lo, exec_lo, s20
	s_and_saveexec_b32 s0, s21
	s_delay_alu instid0(SALU_CYCLE_1)
	s_xor_b32 s0, exec_lo, s0
; %bb.58:
	v_dual_cndmask_b32 v21, v17, v15, s5 :: v_dual_cndmask_b32 v20, v16, v14, s5
	v_dual_cndmask_b32 v15, v15, v17, s5 :: v_dual_cndmask_b32 v14, v14, v16, s5
	s_delay_alu instid0(VALU_DEP_2)
	v_mov_b64_e32 v[16:17], v[20:21]
; %bb.59:
	s_or_b32 exec_lo, exec_lo, s0
.LBB749_60:
	v_cmp_ne_u32_e32 vcc_lo, 1, v45
	s_cbranch_vccnz .LBB749_74
; %bb.61:
	s_delay_alu instid0(VALU_DEP_3) | instskip(SKIP_3) | instid1(VALU_DEP_2)
	v_mul_u64_e32 v[20:21], s[12:13], v[12:13]
	v_mul_u64_e32 v[22:23], s[12:13], v[10:11]
	s_mov_b32 s20, 0
	s_mov_b64 s[6:7], s[12:13]
                                        ; implicit-def: $sgpr5
                                        ; implicit-def: $sgpr21
                                        ; implicit-def: $sgpr23
                                        ; implicit-def: $sgpr22
                                        ; implicit-def: $sgpr24
	v_lshl_add_u64 v[20:21], v[20:21], 3, s[14:15]
	s_delay_alu instid0(VALU_DEP_2)
	v_lshl_add_u64 v[22:23], v[22:23], 3, s[14:15]
	s_branch .LBB749_63
.LBB749_62:                             ;   in Loop: Header=BB749_63 Depth=1
	s_or_b32 exec_lo, exec_lo, s25
	s_and_b32 s0, s0, s24
	s_delay_alu instid0(SALU_CYCLE_1) | instskip(SKIP_1) | instid1(SALU_CYCLE_1)
	s_or_b32 s0, vcc_lo, s0
	s_and_b32 s25, exec_lo, s23
	s_or_b32 s20, s25, s20
	s_and_not1_b32 s24, s24, exec_lo
	s_and_b32 s0, s0, exec_lo
	s_and_not1_b32 s21, s21, exec_lo
	s_and_b32 s25, s22, exec_lo
	s_and_not1_b32 s5, s5, exec_lo
	s_or_b32 s24, s24, s0
	s_or_b32 s21, s21, s25
	;; [unrolled: 1-line block ×3, first 2 shown]
	s_and_not1_b32 exec_lo, exec_lo, s20
	s_cbranch_execz .LBB749_65
.LBB749_63:                             ; =>This Inner Loop Header: Depth=1
	global_load_b64 v[26:27], v[20:21], off
	global_load_b64 v[28:29], v[22:23], off
	s_or_b32 s22, s22, exec_lo
	s_or_b32 s23, s23, exec_lo
	s_wait_loadcnt 0x0
	v_cmp_lt_f64_e32 vcc_lo, v[26:27], v[28:29]
	v_cmp_ngt_f64_e64 s0, v[26:27], v[28:29]
	s_xor_b32 s26, vcc_lo, s0
	s_delay_alu instid0(SALU_CYCLE_1)
	s_and_saveexec_b32 s25, s26
	s_cbranch_execz .LBB749_62
; %bb.64:                               ;   in Loop: Header=BB749_63 Depth=1
	s_add_nc_u64 s[6:7], s[6:7], -1
	v_add_nc_u64_e32 v[20:21], 8, v[20:21]
	s_cmp_eq_u64 s[6:7], 0
	v_add_nc_u64_e32 v[22:23], 8, v[22:23]
	s_cselect_b32 s26, -1, 0
	s_and_not1_b32 s23, s23, exec_lo
	s_and_b32 s26, s26, exec_lo
	s_and_not1_b32 s22, s22, exec_lo
	s_or_b32 s23, s23, s26
	s_branch .LBB749_62
.LBB749_65:
	s_or_b32 exec_lo, exec_lo, s20
	s_and_saveexec_b32 s0, s21
	s_delay_alu instid0(SALU_CYCLE_1)
	s_xor_b32 s0, exec_lo, s0
; %bb.66:
	v_dual_cndmask_b32 v21, v11, v13, s5 :: v_dual_cndmask_b32 v20, v10, v12, s5
	v_dual_cndmask_b32 v13, v13, v11, s5 :: v_dual_cndmask_b32 v12, v12, v10, s5
	s_delay_alu instid0(VALU_DEP_2)
	v_mov_b64_e32 v[10:11], v[20:21]
; %bb.67:
	s_or_b32 exec_lo, exec_lo, s0
	v_mul_u64_e32 v[20:21], s[12:13], v[8:9]
	v_mul_u64_e32 v[22:23], s[12:13], v[6:7]
	s_mov_b32 s20, 0
	s_mov_b64 s[6:7], s[12:13]
                                        ; implicit-def: $sgpr5
                                        ; implicit-def: $sgpr21
                                        ; implicit-def: $sgpr23
                                        ; implicit-def: $sgpr22
                                        ; implicit-def: $sgpr24
	s_delay_alu instid0(VALU_DEP_2) | instskip(NEXT) | instid1(VALU_DEP_2)
	v_lshl_add_u64 v[20:21], v[20:21], 3, s[14:15]
	v_lshl_add_u64 v[22:23], v[22:23], 3, s[14:15]
	s_branch .LBB749_69
.LBB749_68:                             ;   in Loop: Header=BB749_69 Depth=1
	s_or_b32 exec_lo, exec_lo, s25
	s_and_b32 s0, s0, s24
	s_delay_alu instid0(SALU_CYCLE_1) | instskip(SKIP_1) | instid1(SALU_CYCLE_1)
	s_or_b32 s0, vcc_lo, s0
	s_and_b32 s25, exec_lo, s23
	s_or_b32 s20, s25, s20
	s_and_not1_b32 s24, s24, exec_lo
	s_and_b32 s0, s0, exec_lo
	s_and_not1_b32 s21, s21, exec_lo
	s_and_b32 s25, s22, exec_lo
	s_and_not1_b32 s5, s5, exec_lo
	s_or_b32 s24, s24, s0
	s_or_b32 s21, s21, s25
	s_or_b32 s5, s5, s0
	s_and_not1_b32 exec_lo, exec_lo, s20
	s_cbranch_execz .LBB749_71
.LBB749_69:                             ; =>This Inner Loop Header: Depth=1
	global_load_b64 v[26:27], v[20:21], off
	global_load_b64 v[28:29], v[22:23], off
	s_or_b32 s22, s22, exec_lo
	s_or_b32 s23, s23, exec_lo
	s_wait_loadcnt 0x0
	v_cmp_lt_f64_e32 vcc_lo, v[26:27], v[28:29]
	v_cmp_ngt_f64_e64 s0, v[26:27], v[28:29]
	s_xor_b32 s26, vcc_lo, s0
	s_delay_alu instid0(SALU_CYCLE_1)
	s_and_saveexec_b32 s25, s26
	s_cbranch_execz .LBB749_68
; %bb.70:                               ;   in Loop: Header=BB749_69 Depth=1
	s_add_nc_u64 s[6:7], s[6:7], -1
	v_add_nc_u64_e32 v[20:21], 8, v[20:21]
	s_cmp_eq_u64 s[6:7], 0
	v_add_nc_u64_e32 v[22:23], 8, v[22:23]
	s_cselect_b32 s26, -1, 0
	s_and_not1_b32 s23, s23, exec_lo
	s_and_b32 s26, s26, exec_lo
	s_and_not1_b32 s22, s22, exec_lo
	s_or_b32 s23, s23, s26
	s_branch .LBB749_68
.LBB749_71:
	s_or_b32 exec_lo, exec_lo, s20
	s_and_saveexec_b32 s0, s21
	s_delay_alu instid0(SALU_CYCLE_1)
	s_xor_b32 s0, exec_lo, s0
; %bb.72:
	v_dual_cndmask_b32 v21, v7, v9, s5 :: v_dual_cndmask_b32 v20, v6, v8, s5
	v_dual_cndmask_b32 v9, v9, v7, s5 :: v_dual_cndmask_b32 v8, v8, v6, s5
	s_delay_alu instid0(VALU_DEP_2)
	v_mov_b64_e32 v[6:7], v[20:21]
; %bb.73:
	s_or_b32 exec_lo, exec_lo, s0
.LBB749_74:
	v_cmp_ne_u32_e32 vcc_lo, 1, v45
	s_cbranch_vccnz .LBB749_88
; %bb.75:
	v_mul_u64_e32 v[20:21], s[12:13], v[4:5]
	v_mul_u64_e32 v[22:23], s[12:13], v[2:3]
	s_mov_b32 s20, 0
	s_mov_b64 s[6:7], s[12:13]
                                        ; implicit-def: $sgpr5
                                        ; implicit-def: $sgpr21
                                        ; implicit-def: $sgpr23
                                        ; implicit-def: $sgpr22
                                        ; implicit-def: $sgpr24
	s_delay_alu instid0(VALU_DEP_2) | instskip(NEXT) | instid1(VALU_DEP_2)
	v_lshl_add_u64 v[20:21], v[20:21], 3, s[14:15]
	v_lshl_add_u64 v[22:23], v[22:23], 3, s[14:15]
	s_branch .LBB749_77
.LBB749_76:                             ;   in Loop: Header=BB749_77 Depth=1
	s_or_b32 exec_lo, exec_lo, s25
	s_and_b32 s0, s0, s24
	s_delay_alu instid0(SALU_CYCLE_1) | instskip(SKIP_1) | instid1(SALU_CYCLE_1)
	s_or_b32 s0, vcc_lo, s0
	s_and_b32 s25, exec_lo, s23
	s_or_b32 s20, s25, s20
	s_and_not1_b32 s24, s24, exec_lo
	s_and_b32 s0, s0, exec_lo
	s_and_not1_b32 s21, s21, exec_lo
	s_and_b32 s25, s22, exec_lo
	s_and_not1_b32 s5, s5, exec_lo
	s_or_b32 s24, s24, s0
	s_or_b32 s21, s21, s25
	;; [unrolled: 1-line block ×3, first 2 shown]
	s_and_not1_b32 exec_lo, exec_lo, s20
	s_cbranch_execz .LBB749_79
.LBB749_77:                             ; =>This Inner Loop Header: Depth=1
	global_load_b64 v[26:27], v[20:21], off
	global_load_b64 v[28:29], v[22:23], off
	s_or_b32 s22, s22, exec_lo
	s_or_b32 s23, s23, exec_lo
	s_wait_loadcnt 0x0
	v_cmp_lt_f64_e32 vcc_lo, v[26:27], v[28:29]
	v_cmp_ngt_f64_e64 s0, v[26:27], v[28:29]
	s_xor_b32 s26, vcc_lo, s0
	s_delay_alu instid0(SALU_CYCLE_1)
	s_and_saveexec_b32 s25, s26
	s_cbranch_execz .LBB749_76
; %bb.78:                               ;   in Loop: Header=BB749_77 Depth=1
	s_add_nc_u64 s[6:7], s[6:7], -1
	v_add_nc_u64_e32 v[20:21], 8, v[20:21]
	s_cmp_eq_u64 s[6:7], 0
	v_add_nc_u64_e32 v[22:23], 8, v[22:23]
	s_cselect_b32 s26, -1, 0
	s_and_not1_b32 s23, s23, exec_lo
	s_and_b32 s26, s26, exec_lo
	s_and_not1_b32 s22, s22, exec_lo
	s_or_b32 s23, s23, s26
	s_branch .LBB749_76
.LBB749_79:
	s_or_b32 exec_lo, exec_lo, s20
	s_and_saveexec_b32 s0, s21
	s_delay_alu instid0(SALU_CYCLE_1)
	s_xor_b32 s0, exec_lo, s0
; %bb.80:
	v_dual_cndmask_b32 v21, v3, v5, s5 :: v_dual_cndmask_b32 v20, v2, v4, s5
	v_dual_cndmask_b32 v5, v5, v3, s5 :: v_dual_cndmask_b32 v4, v4, v2, s5
	s_delay_alu instid0(VALU_DEP_2)
	v_mov_b64_e32 v[2:3], v[20:21]
; %bb.81:
	s_or_b32 exec_lo, exec_lo, s0
	v_mul_u64_e32 v[20:21], s[12:13], v[10:11]
	v_mul_u64_e32 v[22:23], s[12:13], v[16:17]
	s_mov_b32 s20, 0
	s_mov_b64 s[6:7], s[12:13]
                                        ; implicit-def: $sgpr5
                                        ; implicit-def: $sgpr21
                                        ; implicit-def: $sgpr23
                                        ; implicit-def: $sgpr22
                                        ; implicit-def: $sgpr24
	s_delay_alu instid0(VALU_DEP_2) | instskip(NEXT) | instid1(VALU_DEP_2)
	v_lshl_add_u64 v[20:21], v[20:21], 3, s[14:15]
	v_lshl_add_u64 v[22:23], v[22:23], 3, s[14:15]
	s_branch .LBB749_83
.LBB749_82:                             ;   in Loop: Header=BB749_83 Depth=1
	s_or_b32 exec_lo, exec_lo, s25
	s_and_b32 s0, s0, s24
	s_delay_alu instid0(SALU_CYCLE_1) | instskip(SKIP_1) | instid1(SALU_CYCLE_1)
	s_or_b32 s0, vcc_lo, s0
	s_and_b32 s25, exec_lo, s23
	s_or_b32 s20, s25, s20
	s_and_not1_b32 s24, s24, exec_lo
	s_and_b32 s0, s0, exec_lo
	s_and_not1_b32 s21, s21, exec_lo
	s_and_b32 s25, s22, exec_lo
	s_and_not1_b32 s5, s5, exec_lo
	s_or_b32 s24, s24, s0
	s_or_b32 s21, s21, s25
	;; [unrolled: 1-line block ×3, first 2 shown]
	s_and_not1_b32 exec_lo, exec_lo, s20
	s_cbranch_execz .LBB749_85
.LBB749_83:                             ; =>This Inner Loop Header: Depth=1
	global_load_b64 v[26:27], v[20:21], off
	global_load_b64 v[28:29], v[22:23], off
	s_or_b32 s22, s22, exec_lo
	s_or_b32 s23, s23, exec_lo
	s_wait_loadcnt 0x0
	v_cmp_lt_f64_e32 vcc_lo, v[26:27], v[28:29]
	v_cmp_ngt_f64_e64 s0, v[26:27], v[28:29]
	s_xor_b32 s26, vcc_lo, s0
	s_delay_alu instid0(SALU_CYCLE_1)
	s_and_saveexec_b32 s25, s26
	s_cbranch_execz .LBB749_82
; %bb.84:                               ;   in Loop: Header=BB749_83 Depth=1
	s_add_nc_u64 s[6:7], s[6:7], -1
	v_add_nc_u64_e32 v[20:21], 8, v[20:21]
	s_cmp_eq_u64 s[6:7], 0
	v_add_nc_u64_e32 v[22:23], 8, v[22:23]
	s_cselect_b32 s26, -1, 0
	s_and_not1_b32 s23, s23, exec_lo
	s_and_b32 s26, s26, exec_lo
	s_and_not1_b32 s22, s22, exec_lo
	s_or_b32 s23, s23, s26
	s_branch .LBB749_82
.LBB749_85:
	s_or_b32 exec_lo, exec_lo, s20
	s_and_saveexec_b32 s0, s21
	s_delay_alu instid0(SALU_CYCLE_1)
	s_xor_b32 s0, exec_lo, s0
; %bb.86:
	v_dual_cndmask_b32 v21, v17, v11, s5 :: v_dual_cndmask_b32 v20, v16, v10, s5
	v_dual_cndmask_b32 v11, v11, v17, s5 :: v_dual_cndmask_b32 v10, v10, v16, s5
	s_delay_alu instid0(VALU_DEP_2)
	v_mov_b64_e32 v[16:17], v[20:21]
; %bb.87:
	s_or_b32 exec_lo, exec_lo, s0
.LBB749_88:
	v_cmp_ne_u32_e32 vcc_lo, 1, v45
	s_cbranch_vccnz .LBB749_102
; %bb.89:
	s_delay_alu instid0(VALU_DEP_3) | instskip(SKIP_3) | instid1(VALU_DEP_2)
	v_mul_u64_e32 v[20:21], s[12:13], v[6:7]
	v_mul_u64_e32 v[22:23], s[12:13], v[12:13]
	s_mov_b32 s20, 0
	s_mov_b64 s[6:7], s[12:13]
                                        ; implicit-def: $sgpr5
                                        ; implicit-def: $sgpr21
                                        ; implicit-def: $sgpr23
                                        ; implicit-def: $sgpr22
                                        ; implicit-def: $sgpr24
	v_lshl_add_u64 v[20:21], v[20:21], 3, s[14:15]
	s_delay_alu instid0(VALU_DEP_2)
	v_lshl_add_u64 v[22:23], v[22:23], 3, s[14:15]
	s_branch .LBB749_91
.LBB749_90:                             ;   in Loop: Header=BB749_91 Depth=1
	s_or_b32 exec_lo, exec_lo, s25
	s_and_b32 s0, s0, s24
	s_delay_alu instid0(SALU_CYCLE_1) | instskip(SKIP_1) | instid1(SALU_CYCLE_1)
	s_or_b32 s0, vcc_lo, s0
	s_and_b32 s25, exec_lo, s23
	s_or_b32 s20, s25, s20
	s_and_not1_b32 s24, s24, exec_lo
	s_and_b32 s0, s0, exec_lo
	s_and_not1_b32 s21, s21, exec_lo
	s_and_b32 s25, s22, exec_lo
	s_and_not1_b32 s5, s5, exec_lo
	s_or_b32 s24, s24, s0
	s_or_b32 s21, s21, s25
	;; [unrolled: 1-line block ×3, first 2 shown]
	s_and_not1_b32 exec_lo, exec_lo, s20
	s_cbranch_execz .LBB749_93
.LBB749_91:                             ; =>This Inner Loop Header: Depth=1
	global_load_b64 v[26:27], v[20:21], off
	global_load_b64 v[28:29], v[22:23], off
	s_or_b32 s22, s22, exec_lo
	s_or_b32 s23, s23, exec_lo
	s_wait_loadcnt 0x0
	v_cmp_lt_f64_e32 vcc_lo, v[26:27], v[28:29]
	v_cmp_ngt_f64_e64 s0, v[26:27], v[28:29]
	s_xor_b32 s26, vcc_lo, s0
	s_delay_alu instid0(SALU_CYCLE_1)
	s_and_saveexec_b32 s25, s26
	s_cbranch_execz .LBB749_90
; %bb.92:                               ;   in Loop: Header=BB749_91 Depth=1
	s_add_nc_u64 s[6:7], s[6:7], -1
	v_add_nc_u64_e32 v[20:21], 8, v[20:21]
	s_cmp_eq_u64 s[6:7], 0
	v_add_nc_u64_e32 v[22:23], 8, v[22:23]
	s_cselect_b32 s26, -1, 0
	s_and_not1_b32 s23, s23, exec_lo
	s_and_b32 s26, s26, exec_lo
	s_and_not1_b32 s22, s22, exec_lo
	s_or_b32 s23, s23, s26
	s_branch .LBB749_90
.LBB749_93:
	s_or_b32 exec_lo, exec_lo, s20
	s_and_saveexec_b32 s0, s21
	s_delay_alu instid0(SALU_CYCLE_1)
	s_xor_b32 s0, exec_lo, s0
; %bb.94:
	v_dual_cndmask_b32 v21, v13, v7, s5 :: v_dual_cndmask_b32 v20, v12, v6, s5
	v_dual_cndmask_b32 v7, v7, v13, s5 :: v_dual_cndmask_b32 v6, v6, v12, s5
	s_delay_alu instid0(VALU_DEP_2)
	v_mov_b64_e32 v[12:13], v[20:21]
; %bb.95:
	s_or_b32 exec_lo, exec_lo, s0
	v_mul_u64_e32 v[20:21], s[12:13], v[2:3]
	v_mul_u64_e32 v[22:23], s[12:13], v[8:9]
	s_mov_b32 s20, 0
	s_mov_b64 s[6:7], s[12:13]
                                        ; implicit-def: $sgpr5
                                        ; implicit-def: $sgpr21
                                        ; implicit-def: $sgpr23
                                        ; implicit-def: $sgpr22
                                        ; implicit-def: $sgpr24
	s_delay_alu instid0(VALU_DEP_2) | instskip(NEXT) | instid1(VALU_DEP_2)
	v_lshl_add_u64 v[20:21], v[20:21], 3, s[14:15]
	v_lshl_add_u64 v[22:23], v[22:23], 3, s[14:15]
	s_branch .LBB749_97
.LBB749_96:                             ;   in Loop: Header=BB749_97 Depth=1
	s_or_b32 exec_lo, exec_lo, s25
	s_and_b32 s0, s0, s24
	s_delay_alu instid0(SALU_CYCLE_1) | instskip(SKIP_1) | instid1(SALU_CYCLE_1)
	s_or_b32 s0, vcc_lo, s0
	s_and_b32 s25, exec_lo, s23
	s_or_b32 s20, s25, s20
	s_and_not1_b32 s24, s24, exec_lo
	s_and_b32 s0, s0, exec_lo
	s_and_not1_b32 s21, s21, exec_lo
	s_and_b32 s25, s22, exec_lo
	s_and_not1_b32 s5, s5, exec_lo
	s_or_b32 s24, s24, s0
	s_or_b32 s21, s21, s25
	;; [unrolled: 1-line block ×3, first 2 shown]
	s_and_not1_b32 exec_lo, exec_lo, s20
	s_cbranch_execz .LBB749_99
.LBB749_97:                             ; =>This Inner Loop Header: Depth=1
	global_load_b64 v[26:27], v[20:21], off
	global_load_b64 v[28:29], v[22:23], off
	s_or_b32 s22, s22, exec_lo
	s_or_b32 s23, s23, exec_lo
	s_wait_loadcnt 0x0
	v_cmp_lt_f64_e32 vcc_lo, v[26:27], v[28:29]
	v_cmp_ngt_f64_e64 s0, v[26:27], v[28:29]
	s_xor_b32 s26, vcc_lo, s0
	s_delay_alu instid0(SALU_CYCLE_1)
	s_and_saveexec_b32 s25, s26
	s_cbranch_execz .LBB749_96
; %bb.98:                               ;   in Loop: Header=BB749_97 Depth=1
	s_add_nc_u64 s[6:7], s[6:7], -1
	v_add_nc_u64_e32 v[20:21], 8, v[20:21]
	s_cmp_eq_u64 s[6:7], 0
	v_add_nc_u64_e32 v[22:23], 8, v[22:23]
	s_cselect_b32 s26, -1, 0
	s_and_not1_b32 s23, s23, exec_lo
	s_and_b32 s26, s26, exec_lo
	s_and_not1_b32 s22, s22, exec_lo
	s_or_b32 s23, s23, s26
	s_branch .LBB749_96
.LBB749_99:
	s_or_b32 exec_lo, exec_lo, s20
	s_and_saveexec_b32 s0, s21
	s_delay_alu instid0(SALU_CYCLE_1)
	s_xor_b32 s0, exec_lo, s0
; %bb.100:
	v_dual_cndmask_b32 v21, v9, v3, s5 :: v_dual_cndmask_b32 v20, v8, v2, s5
	v_dual_cndmask_b32 v3, v3, v9, s5 :: v_dual_cndmask_b32 v2, v2, v8, s5
	s_delay_alu instid0(VALU_DEP_2)
	v_mov_b64_e32 v[8:9], v[20:21]
; %bb.101:
	s_or_b32 exec_lo, exec_lo, s0
.LBB749_102:
	v_cmp_ne_u32_e32 vcc_lo, 1, v45
	s_cbranch_vccnz .LBB749_116
; %bb.103:
	s_delay_alu instid0(VALU_DEP_3) | instskip(SKIP_3) | instid1(VALU_DEP_2)
	v_mul_u64_e32 v[20:21], s[12:13], v[16:17]
	v_mul_u64_e32 v[22:23], s[12:13], v[14:15]
	s_mov_b32 s20, 0
	s_mov_b64 s[6:7], s[12:13]
                                        ; implicit-def: $sgpr5
                                        ; implicit-def: $sgpr21
                                        ; implicit-def: $sgpr23
                                        ; implicit-def: $sgpr22
                                        ; implicit-def: $sgpr24
	v_lshl_add_u64 v[20:21], v[20:21], 3, s[14:15]
	s_delay_alu instid0(VALU_DEP_2)
	v_lshl_add_u64 v[22:23], v[22:23], 3, s[14:15]
	s_branch .LBB749_105
.LBB749_104:                            ;   in Loop: Header=BB749_105 Depth=1
	s_or_b32 exec_lo, exec_lo, s25
	s_and_b32 s0, s0, s24
	s_delay_alu instid0(SALU_CYCLE_1) | instskip(SKIP_1) | instid1(SALU_CYCLE_1)
	s_or_b32 s0, vcc_lo, s0
	s_and_b32 s25, exec_lo, s23
	s_or_b32 s20, s25, s20
	s_and_not1_b32 s24, s24, exec_lo
	s_and_b32 s0, s0, exec_lo
	s_and_not1_b32 s21, s21, exec_lo
	s_and_b32 s25, s22, exec_lo
	s_and_not1_b32 s5, s5, exec_lo
	s_or_b32 s24, s24, s0
	s_or_b32 s21, s21, s25
	;; [unrolled: 1-line block ×3, first 2 shown]
	s_and_not1_b32 exec_lo, exec_lo, s20
	s_cbranch_execz .LBB749_107
.LBB749_105:                            ; =>This Inner Loop Header: Depth=1
	global_load_b64 v[26:27], v[20:21], off
	global_load_b64 v[28:29], v[22:23], off
	s_or_b32 s22, s22, exec_lo
	s_or_b32 s23, s23, exec_lo
	s_wait_loadcnt 0x0
	v_cmp_lt_f64_e32 vcc_lo, v[26:27], v[28:29]
	v_cmp_ngt_f64_e64 s0, v[26:27], v[28:29]
	s_xor_b32 s26, vcc_lo, s0
	s_delay_alu instid0(SALU_CYCLE_1)
	s_and_saveexec_b32 s25, s26
	s_cbranch_execz .LBB749_104
; %bb.106:                              ;   in Loop: Header=BB749_105 Depth=1
	s_add_nc_u64 s[6:7], s[6:7], -1
	v_add_nc_u64_e32 v[20:21], 8, v[20:21]
	s_cmp_eq_u64 s[6:7], 0
	v_add_nc_u64_e32 v[22:23], 8, v[22:23]
	s_cselect_b32 s26, -1, 0
	s_and_not1_b32 s23, s23, exec_lo
	s_and_b32 s26, s26, exec_lo
	s_and_not1_b32 s22, s22, exec_lo
	s_or_b32 s23, s23, s26
	s_branch .LBB749_104
.LBB749_107:
	s_or_b32 exec_lo, exec_lo, s20
	s_and_saveexec_b32 s0, s21
	s_delay_alu instid0(SALU_CYCLE_1)
	s_xor_b32 s0, exec_lo, s0
; %bb.108:
	v_dual_cndmask_b32 v21, v17, v15, s5 :: v_dual_cndmask_b32 v20, v16, v14, s5
	v_dual_cndmask_b32 v15, v15, v17, s5 :: v_dual_cndmask_b32 v14, v14, v16, s5
	s_delay_alu instid0(VALU_DEP_2)
	v_mov_b64_e32 v[16:17], v[20:21]
; %bb.109:
	s_or_b32 exec_lo, exec_lo, s0
	v_mul_u64_e32 v[20:21], s[12:13], v[12:13]
	v_mul_u64_e32 v[22:23], s[12:13], v[10:11]
	s_mov_b32 s20, 0
	s_mov_b64 s[6:7], s[12:13]
                                        ; implicit-def: $sgpr5
                                        ; implicit-def: $sgpr21
                                        ; implicit-def: $sgpr23
                                        ; implicit-def: $sgpr22
                                        ; implicit-def: $sgpr24
	s_delay_alu instid0(VALU_DEP_2) | instskip(NEXT) | instid1(VALU_DEP_2)
	v_lshl_add_u64 v[20:21], v[20:21], 3, s[14:15]
	v_lshl_add_u64 v[22:23], v[22:23], 3, s[14:15]
	s_branch .LBB749_111
.LBB749_110:                            ;   in Loop: Header=BB749_111 Depth=1
	s_or_b32 exec_lo, exec_lo, s25
	s_and_b32 s0, s0, s24
	s_delay_alu instid0(SALU_CYCLE_1) | instskip(SKIP_1) | instid1(SALU_CYCLE_1)
	s_or_b32 s0, vcc_lo, s0
	s_and_b32 s25, exec_lo, s23
	s_or_b32 s20, s25, s20
	s_and_not1_b32 s24, s24, exec_lo
	s_and_b32 s0, s0, exec_lo
	s_and_not1_b32 s21, s21, exec_lo
	s_and_b32 s25, s22, exec_lo
	s_and_not1_b32 s5, s5, exec_lo
	s_or_b32 s24, s24, s0
	s_or_b32 s21, s21, s25
	;; [unrolled: 1-line block ×3, first 2 shown]
	s_and_not1_b32 exec_lo, exec_lo, s20
	s_cbranch_execz .LBB749_113
.LBB749_111:                            ; =>This Inner Loop Header: Depth=1
	global_load_b64 v[26:27], v[20:21], off
	global_load_b64 v[28:29], v[22:23], off
	s_or_b32 s22, s22, exec_lo
	s_or_b32 s23, s23, exec_lo
	s_wait_loadcnt 0x0
	v_cmp_lt_f64_e32 vcc_lo, v[26:27], v[28:29]
	v_cmp_ngt_f64_e64 s0, v[26:27], v[28:29]
	s_xor_b32 s26, vcc_lo, s0
	s_delay_alu instid0(SALU_CYCLE_1)
	s_and_saveexec_b32 s25, s26
	s_cbranch_execz .LBB749_110
; %bb.112:                              ;   in Loop: Header=BB749_111 Depth=1
	s_add_nc_u64 s[6:7], s[6:7], -1
	v_add_nc_u64_e32 v[20:21], 8, v[20:21]
	s_cmp_eq_u64 s[6:7], 0
	v_add_nc_u64_e32 v[22:23], 8, v[22:23]
	s_cselect_b32 s26, -1, 0
	s_and_not1_b32 s23, s23, exec_lo
	s_and_b32 s26, s26, exec_lo
	s_and_not1_b32 s22, s22, exec_lo
	s_or_b32 s23, s23, s26
	s_branch .LBB749_110
.LBB749_113:
	s_or_b32 exec_lo, exec_lo, s20
	s_and_saveexec_b32 s0, s21
	s_delay_alu instid0(SALU_CYCLE_1)
	s_xor_b32 s0, exec_lo, s0
; %bb.114:
	v_dual_cndmask_b32 v21, v11, v13, s5 :: v_dual_cndmask_b32 v20, v10, v12, s5
	v_dual_cndmask_b32 v13, v13, v11, s5 :: v_dual_cndmask_b32 v12, v12, v10, s5
	s_delay_alu instid0(VALU_DEP_2)
	v_mov_b64_e32 v[10:11], v[20:21]
; %bb.115:
	s_or_b32 exec_lo, exec_lo, s0
.LBB749_116:
	v_cmp_ne_u32_e32 vcc_lo, 1, v45
	s_cbranch_vccnz .LBB749_190
; %bb.117:
	s_delay_alu instid0(VALU_DEP_3) | instskip(SKIP_3) | instid1(VALU_DEP_2)
	v_mul_u64_e32 v[20:21], s[12:13], v[8:9]
	v_mul_u64_e32 v[22:23], s[12:13], v[6:7]
	s_mov_b32 s20, 0
	s_mov_b64 s[6:7], s[12:13]
                                        ; implicit-def: $sgpr5
                                        ; implicit-def: $sgpr21
                                        ; implicit-def: $sgpr23
                                        ; implicit-def: $sgpr22
                                        ; implicit-def: $sgpr24
	v_lshl_add_u64 v[20:21], v[20:21], 3, s[14:15]
	s_delay_alu instid0(VALU_DEP_2)
	v_lshl_add_u64 v[22:23], v[22:23], 3, s[14:15]
	s_branch .LBB749_119
.LBB749_118:                            ;   in Loop: Header=BB749_119 Depth=1
	s_or_b32 exec_lo, exec_lo, s25
	s_and_b32 s0, s0, s24
	s_delay_alu instid0(SALU_CYCLE_1) | instskip(SKIP_1) | instid1(SALU_CYCLE_1)
	s_or_b32 s0, vcc_lo, s0
	s_and_b32 s25, exec_lo, s23
	s_or_b32 s20, s25, s20
	s_and_not1_b32 s24, s24, exec_lo
	s_and_b32 s0, s0, exec_lo
	s_and_not1_b32 s21, s21, exec_lo
	s_and_b32 s25, s22, exec_lo
	s_and_not1_b32 s5, s5, exec_lo
	s_or_b32 s24, s24, s0
	s_or_b32 s21, s21, s25
	;; [unrolled: 1-line block ×3, first 2 shown]
	s_and_not1_b32 exec_lo, exec_lo, s20
	s_cbranch_execz .LBB749_121
.LBB749_119:                            ; =>This Inner Loop Header: Depth=1
	global_load_b64 v[26:27], v[20:21], off
	global_load_b64 v[28:29], v[22:23], off
	s_or_b32 s22, s22, exec_lo
	s_or_b32 s23, s23, exec_lo
	s_wait_loadcnt 0x0
	v_cmp_lt_f64_e32 vcc_lo, v[26:27], v[28:29]
	v_cmp_ngt_f64_e64 s0, v[26:27], v[28:29]
	s_xor_b32 s26, vcc_lo, s0
	s_delay_alu instid0(SALU_CYCLE_1)
	s_and_saveexec_b32 s25, s26
	s_cbranch_execz .LBB749_118
; %bb.120:                              ;   in Loop: Header=BB749_119 Depth=1
	s_add_nc_u64 s[6:7], s[6:7], -1
	v_add_nc_u64_e32 v[20:21], 8, v[20:21]
	s_cmp_eq_u64 s[6:7], 0
	v_add_nc_u64_e32 v[22:23], 8, v[22:23]
	s_cselect_b32 s26, -1, 0
	s_and_not1_b32 s23, s23, exec_lo
	s_and_b32 s26, s26, exec_lo
	s_and_not1_b32 s22, s22, exec_lo
	s_or_b32 s23, s23, s26
	s_branch .LBB749_118
.LBB749_121:
	s_or_b32 exec_lo, exec_lo, s20
	s_and_saveexec_b32 s0, s21
	s_delay_alu instid0(SALU_CYCLE_1)
	s_xor_b32 s0, exec_lo, s0
; %bb.122:
	v_dual_cndmask_b32 v21, v7, v9, s5 :: v_dual_cndmask_b32 v20, v6, v8, s5
	v_dual_cndmask_b32 v9, v9, v7, s5 :: v_dual_cndmask_b32 v8, v8, v6, s5
	s_delay_alu instid0(VALU_DEP_2)
	v_mov_b64_e32 v[6:7], v[20:21]
; %bb.123:
	s_or_b32 exec_lo, exec_lo, s0
	v_mul_u64_e32 v[20:21], s[12:13], v[4:5]
	v_mul_u64_e32 v[22:23], s[12:13], v[2:3]
	s_mov_b32 s20, 0
	s_mov_b64 s[6:7], s[12:13]
                                        ; implicit-def: $sgpr5
                                        ; implicit-def: $sgpr21
                                        ; implicit-def: $sgpr23
                                        ; implicit-def: $sgpr22
                                        ; implicit-def: $sgpr24
	s_delay_alu instid0(VALU_DEP_2) | instskip(NEXT) | instid1(VALU_DEP_2)
	v_lshl_add_u64 v[20:21], v[20:21], 3, s[14:15]
	v_lshl_add_u64 v[22:23], v[22:23], 3, s[14:15]
	s_branch .LBB749_125
.LBB749_124:                            ;   in Loop: Header=BB749_125 Depth=1
	s_or_b32 exec_lo, exec_lo, s25
	s_and_b32 s0, s0, s24
	s_delay_alu instid0(SALU_CYCLE_1) | instskip(SKIP_1) | instid1(SALU_CYCLE_1)
	s_or_b32 s0, vcc_lo, s0
	s_and_b32 s25, exec_lo, s23
	s_or_b32 s20, s25, s20
	s_and_not1_b32 s24, s24, exec_lo
	s_and_b32 s0, s0, exec_lo
	s_and_not1_b32 s21, s21, exec_lo
	s_and_b32 s25, s22, exec_lo
	s_and_not1_b32 s5, s5, exec_lo
	s_or_b32 s24, s24, s0
	s_or_b32 s21, s21, s25
	;; [unrolled: 1-line block ×3, first 2 shown]
	s_and_not1_b32 exec_lo, exec_lo, s20
	s_cbranch_execz .LBB749_127
.LBB749_125:                            ; =>This Inner Loop Header: Depth=1
	global_load_b64 v[26:27], v[20:21], off
	global_load_b64 v[28:29], v[22:23], off
	s_or_b32 s22, s22, exec_lo
	s_or_b32 s23, s23, exec_lo
	s_wait_loadcnt 0x0
	v_cmp_lt_f64_e32 vcc_lo, v[26:27], v[28:29]
	v_cmp_ngt_f64_e64 s0, v[26:27], v[28:29]
	s_xor_b32 s26, vcc_lo, s0
	s_delay_alu instid0(SALU_CYCLE_1)
	s_and_saveexec_b32 s25, s26
	s_cbranch_execz .LBB749_124
; %bb.126:                              ;   in Loop: Header=BB749_125 Depth=1
	s_add_nc_u64 s[6:7], s[6:7], -1
	v_add_nc_u64_e32 v[20:21], 8, v[20:21]
	s_cmp_eq_u64 s[6:7], 0
	v_add_nc_u64_e32 v[22:23], 8, v[22:23]
	s_cselect_b32 s26, -1, 0
	s_and_not1_b32 s23, s23, exec_lo
	s_and_b32 s26, s26, exec_lo
	s_and_not1_b32 s22, s22, exec_lo
	s_or_b32 s23, s23, s26
	s_branch .LBB749_124
.LBB749_127:
	s_or_b32 exec_lo, exec_lo, s20
	s_and_saveexec_b32 s0, s21
	s_delay_alu instid0(SALU_CYCLE_1)
	s_xor_b32 s0, exec_lo, s0
; %bb.128:
	v_dual_cndmask_b32 v21, v3, v5, s5 :: v_dual_cndmask_b32 v20, v2, v4, s5
	v_dual_cndmask_b32 v5, v5, v3, s5 :: v_dual_cndmask_b32 v4, v4, v2, s5
	s_delay_alu instid0(VALU_DEP_2)
	v_mov_b64_e32 v[2:3], v[20:21]
; %bb.129:
	s_or_b32 exec_lo, exec_lo, s0
	v_mul_u64_e32 v[20:21], s[12:13], v[10:11]
	v_mul_u64_e32 v[22:23], s[12:13], v[16:17]
	s_mov_b32 s20, 0
	s_mov_b64 s[6:7], s[12:13]
                                        ; implicit-def: $sgpr5
                                        ; implicit-def: $sgpr21
                                        ; implicit-def: $sgpr23
                                        ; implicit-def: $sgpr22
                                        ; implicit-def: $sgpr24
	s_delay_alu instid0(VALU_DEP_2) | instskip(NEXT) | instid1(VALU_DEP_2)
	v_lshl_add_u64 v[20:21], v[20:21], 3, s[14:15]
	v_lshl_add_u64 v[22:23], v[22:23], 3, s[14:15]
	s_branch .LBB749_131
.LBB749_130:                            ;   in Loop: Header=BB749_131 Depth=1
	s_or_b32 exec_lo, exec_lo, s25
	s_and_b32 s0, s0, s24
	s_delay_alu instid0(SALU_CYCLE_1) | instskip(SKIP_1) | instid1(SALU_CYCLE_1)
	s_or_b32 s0, vcc_lo, s0
	s_and_b32 s25, exec_lo, s23
	s_or_b32 s20, s25, s20
	s_and_not1_b32 s24, s24, exec_lo
	s_and_b32 s0, s0, exec_lo
	s_and_not1_b32 s21, s21, exec_lo
	s_and_b32 s25, s22, exec_lo
	s_and_not1_b32 s5, s5, exec_lo
	s_or_b32 s24, s24, s0
	s_or_b32 s21, s21, s25
	;; [unrolled: 1-line block ×3, first 2 shown]
	s_and_not1_b32 exec_lo, exec_lo, s20
	s_cbranch_execz .LBB749_133
.LBB749_131:                            ; =>This Inner Loop Header: Depth=1
	global_load_b64 v[26:27], v[20:21], off
	global_load_b64 v[28:29], v[22:23], off
	s_or_b32 s22, s22, exec_lo
	s_or_b32 s23, s23, exec_lo
	s_wait_loadcnt 0x0
	v_cmp_lt_f64_e32 vcc_lo, v[26:27], v[28:29]
	v_cmp_ngt_f64_e64 s0, v[26:27], v[28:29]
	s_xor_b32 s26, vcc_lo, s0
	s_delay_alu instid0(SALU_CYCLE_1)
	s_and_saveexec_b32 s25, s26
	s_cbranch_execz .LBB749_130
; %bb.132:                              ;   in Loop: Header=BB749_131 Depth=1
	s_add_nc_u64 s[6:7], s[6:7], -1
	v_add_nc_u64_e32 v[20:21], 8, v[20:21]
	s_cmp_eq_u64 s[6:7], 0
	v_add_nc_u64_e32 v[22:23], 8, v[22:23]
	s_cselect_b32 s26, -1, 0
	s_and_not1_b32 s23, s23, exec_lo
	s_and_b32 s26, s26, exec_lo
	s_and_not1_b32 s22, s22, exec_lo
	s_or_b32 s23, s23, s26
	s_branch .LBB749_130
.LBB749_133:
	s_or_b32 exec_lo, exec_lo, s20
	s_and_saveexec_b32 s0, s21
	s_delay_alu instid0(SALU_CYCLE_1)
	s_xor_b32 s0, exec_lo, s0
; %bb.134:
	v_dual_cndmask_b32 v21, v17, v11, s5 :: v_dual_cndmask_b32 v20, v16, v10, s5
	v_dual_cndmask_b32 v11, v11, v17, s5 :: v_dual_cndmask_b32 v10, v10, v16, s5
	s_delay_alu instid0(VALU_DEP_2)
	v_mov_b64_e32 v[16:17], v[20:21]
; %bb.135:
	s_or_b32 exec_lo, exec_lo, s0
	v_mul_u64_e32 v[20:21], s[12:13], v[6:7]
	v_mul_u64_e32 v[22:23], s[12:13], v[12:13]
	s_mov_b32 s20, 0
	s_mov_b64 s[6:7], s[12:13]
                                        ; implicit-def: $sgpr5
                                        ; implicit-def: $sgpr21
                                        ; implicit-def: $sgpr23
                                        ; implicit-def: $sgpr22
                                        ; implicit-def: $sgpr24
	s_delay_alu instid0(VALU_DEP_2) | instskip(NEXT) | instid1(VALU_DEP_2)
	v_lshl_add_u64 v[20:21], v[20:21], 3, s[14:15]
	v_lshl_add_u64 v[22:23], v[22:23], 3, s[14:15]
	s_branch .LBB749_137
.LBB749_136:                            ;   in Loop: Header=BB749_137 Depth=1
	s_or_b32 exec_lo, exec_lo, s25
	s_and_b32 s0, s0, s24
	s_delay_alu instid0(SALU_CYCLE_1) | instskip(SKIP_1) | instid1(SALU_CYCLE_1)
	s_or_b32 s0, vcc_lo, s0
	s_and_b32 s25, exec_lo, s23
	s_or_b32 s20, s25, s20
	s_and_not1_b32 s24, s24, exec_lo
	s_and_b32 s0, s0, exec_lo
	s_and_not1_b32 s21, s21, exec_lo
	s_and_b32 s25, s22, exec_lo
	s_and_not1_b32 s5, s5, exec_lo
	s_or_b32 s24, s24, s0
	s_or_b32 s21, s21, s25
	;; [unrolled: 1-line block ×3, first 2 shown]
	s_and_not1_b32 exec_lo, exec_lo, s20
	s_cbranch_execz .LBB749_139
.LBB749_137:                            ; =>This Inner Loop Header: Depth=1
	global_load_b64 v[26:27], v[20:21], off
	global_load_b64 v[28:29], v[22:23], off
	s_or_b32 s22, s22, exec_lo
	s_or_b32 s23, s23, exec_lo
	s_wait_loadcnt 0x0
	v_cmp_lt_f64_e32 vcc_lo, v[26:27], v[28:29]
	v_cmp_ngt_f64_e64 s0, v[26:27], v[28:29]
	s_xor_b32 s26, vcc_lo, s0
	s_delay_alu instid0(SALU_CYCLE_1)
	s_and_saveexec_b32 s25, s26
	s_cbranch_execz .LBB749_136
; %bb.138:                              ;   in Loop: Header=BB749_137 Depth=1
	s_add_nc_u64 s[6:7], s[6:7], -1
	v_add_nc_u64_e32 v[20:21], 8, v[20:21]
	s_cmp_eq_u64 s[6:7], 0
	v_add_nc_u64_e32 v[22:23], 8, v[22:23]
	s_cselect_b32 s26, -1, 0
	s_and_not1_b32 s23, s23, exec_lo
	s_and_b32 s26, s26, exec_lo
	s_and_not1_b32 s22, s22, exec_lo
	s_or_b32 s23, s23, s26
	s_branch .LBB749_136
.LBB749_139:
	s_or_b32 exec_lo, exec_lo, s20
	s_and_saveexec_b32 s0, s21
	s_delay_alu instid0(SALU_CYCLE_1)
	s_xor_b32 s0, exec_lo, s0
; %bb.140:
	v_dual_cndmask_b32 v21, v13, v7, s5 :: v_dual_cndmask_b32 v20, v12, v6, s5
	v_dual_cndmask_b32 v7, v7, v13, s5 :: v_dual_cndmask_b32 v6, v6, v12, s5
	s_delay_alu instid0(VALU_DEP_2)
	v_mov_b64_e32 v[12:13], v[20:21]
; %bb.141:
	s_or_b32 exec_lo, exec_lo, s0
	v_mul_u64_e32 v[20:21], s[12:13], v[2:3]
	v_mul_u64_e32 v[22:23], s[12:13], v[8:9]
	s_mov_b32 s20, 0
	s_mov_b64 s[6:7], s[12:13]
                                        ; implicit-def: $sgpr5
                                        ; implicit-def: $sgpr21
                                        ; implicit-def: $sgpr23
                                        ; implicit-def: $sgpr22
                                        ; implicit-def: $sgpr24
	s_delay_alu instid0(VALU_DEP_2) | instskip(NEXT) | instid1(VALU_DEP_2)
	v_lshl_add_u64 v[20:21], v[20:21], 3, s[14:15]
	v_lshl_add_u64 v[22:23], v[22:23], 3, s[14:15]
	s_branch .LBB749_143
.LBB749_142:                            ;   in Loop: Header=BB749_143 Depth=1
	s_or_b32 exec_lo, exec_lo, s25
	s_and_b32 s0, s0, s24
	s_delay_alu instid0(SALU_CYCLE_1) | instskip(SKIP_1) | instid1(SALU_CYCLE_1)
	s_or_b32 s0, vcc_lo, s0
	s_and_b32 s25, exec_lo, s23
	s_or_b32 s20, s25, s20
	s_and_not1_b32 s24, s24, exec_lo
	s_and_b32 s0, s0, exec_lo
	s_and_not1_b32 s21, s21, exec_lo
	s_and_b32 s25, s22, exec_lo
	s_and_not1_b32 s5, s5, exec_lo
	s_or_b32 s24, s24, s0
	s_or_b32 s21, s21, s25
	s_or_b32 s5, s5, s0
	s_and_not1_b32 exec_lo, exec_lo, s20
	s_cbranch_execz .LBB749_145
.LBB749_143:                            ; =>This Inner Loop Header: Depth=1
	global_load_b64 v[26:27], v[20:21], off
	global_load_b64 v[28:29], v[22:23], off
	s_or_b32 s22, s22, exec_lo
	s_or_b32 s23, s23, exec_lo
	s_wait_loadcnt 0x0
	v_cmp_lt_f64_e32 vcc_lo, v[26:27], v[28:29]
	v_cmp_ngt_f64_e64 s0, v[26:27], v[28:29]
	s_xor_b32 s26, vcc_lo, s0
	s_delay_alu instid0(SALU_CYCLE_1)
	s_and_saveexec_b32 s25, s26
	s_cbranch_execz .LBB749_142
; %bb.144:                              ;   in Loop: Header=BB749_143 Depth=1
	s_add_nc_u64 s[6:7], s[6:7], -1
	v_add_nc_u64_e32 v[20:21], 8, v[20:21]
	s_cmp_eq_u64 s[6:7], 0
	v_add_nc_u64_e32 v[22:23], 8, v[22:23]
	s_cselect_b32 s26, -1, 0
	s_and_not1_b32 s23, s23, exec_lo
	s_and_b32 s26, s26, exec_lo
	s_and_not1_b32 s22, s22, exec_lo
	s_or_b32 s23, s23, s26
	s_branch .LBB749_142
.LBB749_145:
	s_or_b32 exec_lo, exec_lo, s20
	s_and_saveexec_b32 s0, s21
	s_delay_alu instid0(SALU_CYCLE_1)
	s_xor_b32 s0, exec_lo, s0
; %bb.146:
	v_dual_cndmask_b32 v21, v9, v3, s5 :: v_dual_cndmask_b32 v20, v8, v2, s5
	v_dual_cndmask_b32 v3, v3, v9, s5 :: v_dual_cndmask_b32 v2, v2, v8, s5
	s_delay_alu instid0(VALU_DEP_2)
	v_mov_b64_e32 v[8:9], v[20:21]
; %bb.147:
	s_or_b32 exec_lo, exec_lo, s0
	v_mul_u64_e32 v[20:21], s[12:13], v[16:17]
	v_mul_u64_e32 v[22:23], s[12:13], v[14:15]
	s_mov_b32 s20, 0
	s_mov_b64 s[6:7], s[12:13]
                                        ; implicit-def: $sgpr5
                                        ; implicit-def: $sgpr21
                                        ; implicit-def: $sgpr23
                                        ; implicit-def: $sgpr22
                                        ; implicit-def: $sgpr24
	s_delay_alu instid0(VALU_DEP_2) | instskip(NEXT) | instid1(VALU_DEP_2)
	v_lshl_add_u64 v[20:21], v[20:21], 3, s[14:15]
	v_lshl_add_u64 v[22:23], v[22:23], 3, s[14:15]
	s_branch .LBB749_149
.LBB749_148:                            ;   in Loop: Header=BB749_149 Depth=1
	s_or_b32 exec_lo, exec_lo, s25
	s_and_b32 s0, s0, s24
	s_delay_alu instid0(SALU_CYCLE_1) | instskip(SKIP_1) | instid1(SALU_CYCLE_1)
	s_or_b32 s0, vcc_lo, s0
	s_and_b32 s25, exec_lo, s23
	s_or_b32 s20, s25, s20
	s_and_not1_b32 s24, s24, exec_lo
	s_and_b32 s0, s0, exec_lo
	s_and_not1_b32 s21, s21, exec_lo
	s_and_b32 s25, s22, exec_lo
	s_and_not1_b32 s5, s5, exec_lo
	s_or_b32 s24, s24, s0
	s_or_b32 s21, s21, s25
	;; [unrolled: 1-line block ×3, first 2 shown]
	s_and_not1_b32 exec_lo, exec_lo, s20
	s_cbranch_execz .LBB749_151
.LBB749_149:                            ; =>This Inner Loop Header: Depth=1
	global_load_b64 v[26:27], v[20:21], off
	global_load_b64 v[28:29], v[22:23], off
	s_or_b32 s22, s22, exec_lo
	s_or_b32 s23, s23, exec_lo
	s_wait_loadcnt 0x0
	v_cmp_lt_f64_e32 vcc_lo, v[26:27], v[28:29]
	v_cmp_ngt_f64_e64 s0, v[26:27], v[28:29]
	s_xor_b32 s26, vcc_lo, s0
	s_delay_alu instid0(SALU_CYCLE_1)
	s_and_saveexec_b32 s25, s26
	s_cbranch_execz .LBB749_148
; %bb.150:                              ;   in Loop: Header=BB749_149 Depth=1
	s_add_nc_u64 s[6:7], s[6:7], -1
	v_add_nc_u64_e32 v[20:21], 8, v[20:21]
	s_cmp_eq_u64 s[6:7], 0
	v_add_nc_u64_e32 v[22:23], 8, v[22:23]
	s_cselect_b32 s26, -1, 0
	s_and_not1_b32 s23, s23, exec_lo
	s_and_b32 s26, s26, exec_lo
	s_and_not1_b32 s22, s22, exec_lo
	s_or_b32 s23, s23, s26
	s_branch .LBB749_148
.LBB749_151:
	s_or_b32 exec_lo, exec_lo, s20
	s_and_saveexec_b32 s0, s21
	s_delay_alu instid0(SALU_CYCLE_1)
	s_xor_b32 s0, exec_lo, s0
; %bb.152:
	v_dual_cndmask_b32 v21, v17, v15, s5 :: v_dual_cndmask_b32 v20, v16, v14, s5
	v_dual_cndmask_b32 v15, v15, v17, s5 :: v_dual_cndmask_b32 v14, v14, v16, s5
	s_delay_alu instid0(VALU_DEP_2)
	v_mov_b64_e32 v[16:17], v[20:21]
; %bb.153:
	s_or_b32 exec_lo, exec_lo, s0
	v_mul_u64_e32 v[20:21], s[12:13], v[12:13]
	v_mul_u64_e32 v[22:23], s[12:13], v[10:11]
	s_mov_b32 s20, 0
	s_mov_b64 s[6:7], s[12:13]
                                        ; implicit-def: $sgpr5
                                        ; implicit-def: $sgpr21
                                        ; implicit-def: $sgpr23
                                        ; implicit-def: $sgpr22
                                        ; implicit-def: $sgpr24
	s_delay_alu instid0(VALU_DEP_2) | instskip(NEXT) | instid1(VALU_DEP_2)
	v_lshl_add_u64 v[20:21], v[20:21], 3, s[14:15]
	v_lshl_add_u64 v[22:23], v[22:23], 3, s[14:15]
	s_branch .LBB749_155
.LBB749_154:                            ;   in Loop: Header=BB749_155 Depth=1
	s_or_b32 exec_lo, exec_lo, s25
	s_and_b32 s0, s0, s24
	s_delay_alu instid0(SALU_CYCLE_1) | instskip(SKIP_1) | instid1(SALU_CYCLE_1)
	s_or_b32 s0, vcc_lo, s0
	s_and_b32 s25, exec_lo, s23
	s_or_b32 s20, s25, s20
	s_and_not1_b32 s24, s24, exec_lo
	s_and_b32 s0, s0, exec_lo
	s_and_not1_b32 s21, s21, exec_lo
	s_and_b32 s25, s22, exec_lo
	s_and_not1_b32 s5, s5, exec_lo
	s_or_b32 s24, s24, s0
	s_or_b32 s21, s21, s25
	;; [unrolled: 1-line block ×3, first 2 shown]
	s_and_not1_b32 exec_lo, exec_lo, s20
	s_cbranch_execz .LBB749_157
.LBB749_155:                            ; =>This Inner Loop Header: Depth=1
	global_load_b64 v[26:27], v[20:21], off
	global_load_b64 v[28:29], v[22:23], off
	s_or_b32 s22, s22, exec_lo
	s_or_b32 s23, s23, exec_lo
	s_wait_loadcnt 0x0
	v_cmp_lt_f64_e32 vcc_lo, v[26:27], v[28:29]
	v_cmp_ngt_f64_e64 s0, v[26:27], v[28:29]
	s_xor_b32 s26, vcc_lo, s0
	s_delay_alu instid0(SALU_CYCLE_1)
	s_and_saveexec_b32 s25, s26
	s_cbranch_execz .LBB749_154
; %bb.156:                              ;   in Loop: Header=BB749_155 Depth=1
	s_add_nc_u64 s[6:7], s[6:7], -1
	v_add_nc_u64_e32 v[20:21], 8, v[20:21]
	s_cmp_eq_u64 s[6:7], 0
	v_add_nc_u64_e32 v[22:23], 8, v[22:23]
	s_cselect_b32 s26, -1, 0
	s_and_not1_b32 s23, s23, exec_lo
	s_and_b32 s26, s26, exec_lo
	s_and_not1_b32 s22, s22, exec_lo
	s_or_b32 s23, s23, s26
	s_branch .LBB749_154
.LBB749_157:
	s_or_b32 exec_lo, exec_lo, s20
	s_and_saveexec_b32 s0, s21
	s_delay_alu instid0(SALU_CYCLE_1)
	s_xor_b32 s0, exec_lo, s0
; %bb.158:
	v_dual_cndmask_b32 v21, v11, v13, s5 :: v_dual_cndmask_b32 v20, v10, v12, s5
	v_dual_cndmask_b32 v13, v13, v11, s5 :: v_dual_cndmask_b32 v12, v12, v10, s5
	s_delay_alu instid0(VALU_DEP_2)
	v_mov_b64_e32 v[10:11], v[20:21]
; %bb.159:
	s_or_b32 exec_lo, exec_lo, s0
	v_mul_u64_e32 v[20:21], s[12:13], v[8:9]
	v_mul_u64_e32 v[22:23], s[12:13], v[6:7]
	s_mov_b32 s20, 0
	s_mov_b64 s[6:7], s[12:13]
                                        ; implicit-def: $sgpr5
                                        ; implicit-def: $sgpr21
                                        ; implicit-def: $sgpr23
                                        ; implicit-def: $sgpr22
                                        ; implicit-def: $sgpr24
	s_delay_alu instid0(VALU_DEP_2) | instskip(NEXT) | instid1(VALU_DEP_2)
	v_lshl_add_u64 v[20:21], v[20:21], 3, s[14:15]
	v_lshl_add_u64 v[22:23], v[22:23], 3, s[14:15]
	s_branch .LBB749_161
.LBB749_160:                            ;   in Loop: Header=BB749_161 Depth=1
	s_or_b32 exec_lo, exec_lo, s25
	s_and_b32 s0, s0, s24
	s_delay_alu instid0(SALU_CYCLE_1) | instskip(SKIP_1) | instid1(SALU_CYCLE_1)
	s_or_b32 s0, vcc_lo, s0
	s_and_b32 s25, exec_lo, s23
	s_or_b32 s20, s25, s20
	s_and_not1_b32 s24, s24, exec_lo
	s_and_b32 s0, s0, exec_lo
	s_and_not1_b32 s21, s21, exec_lo
	s_and_b32 s25, s22, exec_lo
	s_and_not1_b32 s5, s5, exec_lo
	s_or_b32 s24, s24, s0
	s_or_b32 s21, s21, s25
	;; [unrolled: 1-line block ×3, first 2 shown]
	s_and_not1_b32 exec_lo, exec_lo, s20
	s_cbranch_execz .LBB749_163
.LBB749_161:                            ; =>This Inner Loop Header: Depth=1
	global_load_b64 v[26:27], v[20:21], off
	global_load_b64 v[28:29], v[22:23], off
	s_or_b32 s22, s22, exec_lo
	s_or_b32 s23, s23, exec_lo
	s_wait_loadcnt 0x0
	v_cmp_lt_f64_e32 vcc_lo, v[26:27], v[28:29]
	v_cmp_ngt_f64_e64 s0, v[26:27], v[28:29]
	s_xor_b32 s26, vcc_lo, s0
	s_delay_alu instid0(SALU_CYCLE_1)
	s_and_saveexec_b32 s25, s26
	s_cbranch_execz .LBB749_160
; %bb.162:                              ;   in Loop: Header=BB749_161 Depth=1
	s_add_nc_u64 s[6:7], s[6:7], -1
	v_add_nc_u64_e32 v[20:21], 8, v[20:21]
	s_cmp_eq_u64 s[6:7], 0
	v_add_nc_u64_e32 v[22:23], 8, v[22:23]
	s_cselect_b32 s26, -1, 0
	s_and_not1_b32 s23, s23, exec_lo
	s_and_b32 s26, s26, exec_lo
	s_and_not1_b32 s22, s22, exec_lo
	s_or_b32 s23, s23, s26
	s_branch .LBB749_160
.LBB749_163:
	s_or_b32 exec_lo, exec_lo, s20
	s_and_saveexec_b32 s0, s21
	s_delay_alu instid0(SALU_CYCLE_1)
	s_xor_b32 s0, exec_lo, s0
; %bb.164:
	v_dual_cndmask_b32 v21, v7, v9, s5 :: v_dual_cndmask_b32 v20, v6, v8, s5
	v_dual_cndmask_b32 v9, v9, v7, s5 :: v_dual_cndmask_b32 v8, v8, v6, s5
	s_delay_alu instid0(VALU_DEP_2)
	v_mov_b64_e32 v[6:7], v[20:21]
; %bb.165:
	s_or_b32 exec_lo, exec_lo, s0
	v_mul_u64_e32 v[20:21], s[12:13], v[4:5]
	v_mul_u64_e32 v[22:23], s[12:13], v[2:3]
	s_mov_b32 s20, 0
	s_mov_b64 s[6:7], s[12:13]
                                        ; implicit-def: $sgpr5
                                        ; implicit-def: $sgpr21
                                        ; implicit-def: $sgpr23
                                        ; implicit-def: $sgpr22
                                        ; implicit-def: $sgpr24
	s_delay_alu instid0(VALU_DEP_2) | instskip(NEXT) | instid1(VALU_DEP_2)
	v_lshl_add_u64 v[20:21], v[20:21], 3, s[14:15]
	v_lshl_add_u64 v[22:23], v[22:23], 3, s[14:15]
	s_branch .LBB749_167
.LBB749_166:                            ;   in Loop: Header=BB749_167 Depth=1
	s_or_b32 exec_lo, exec_lo, s25
	s_and_b32 s0, s0, s24
	s_delay_alu instid0(SALU_CYCLE_1) | instskip(SKIP_1) | instid1(SALU_CYCLE_1)
	s_or_b32 s0, vcc_lo, s0
	s_and_b32 s25, exec_lo, s23
	s_or_b32 s20, s25, s20
	s_and_not1_b32 s24, s24, exec_lo
	s_and_b32 s0, s0, exec_lo
	s_and_not1_b32 s21, s21, exec_lo
	s_and_b32 s25, s22, exec_lo
	s_and_not1_b32 s5, s5, exec_lo
	s_or_b32 s24, s24, s0
	s_or_b32 s21, s21, s25
	s_or_b32 s5, s5, s0
	s_and_not1_b32 exec_lo, exec_lo, s20
	s_cbranch_execz .LBB749_169
.LBB749_167:                            ; =>This Inner Loop Header: Depth=1
	global_load_b64 v[26:27], v[20:21], off
	global_load_b64 v[28:29], v[22:23], off
	s_or_b32 s22, s22, exec_lo
	s_or_b32 s23, s23, exec_lo
	s_wait_loadcnt 0x0
	v_cmp_lt_f64_e32 vcc_lo, v[26:27], v[28:29]
	v_cmp_ngt_f64_e64 s0, v[26:27], v[28:29]
	s_xor_b32 s26, vcc_lo, s0
	s_delay_alu instid0(SALU_CYCLE_1)
	s_and_saveexec_b32 s25, s26
	s_cbranch_execz .LBB749_166
; %bb.168:                              ;   in Loop: Header=BB749_167 Depth=1
	s_add_nc_u64 s[6:7], s[6:7], -1
	v_add_nc_u64_e32 v[20:21], 8, v[20:21]
	s_cmp_eq_u64 s[6:7], 0
	v_add_nc_u64_e32 v[22:23], 8, v[22:23]
	s_cselect_b32 s26, -1, 0
	s_and_not1_b32 s23, s23, exec_lo
	s_and_b32 s26, s26, exec_lo
	s_and_not1_b32 s22, s22, exec_lo
	s_or_b32 s23, s23, s26
	s_branch .LBB749_166
.LBB749_169:
	s_or_b32 exec_lo, exec_lo, s20
	s_and_saveexec_b32 s0, s21
	s_delay_alu instid0(SALU_CYCLE_1)
	s_xor_b32 s0, exec_lo, s0
; %bb.170:
	v_dual_cndmask_b32 v21, v3, v5, s5 :: v_dual_cndmask_b32 v20, v2, v4, s5
	v_dual_cndmask_b32 v5, v5, v3, s5 :: v_dual_cndmask_b32 v4, v4, v2, s5
	s_delay_alu instid0(VALU_DEP_2)
	v_mov_b64_e32 v[2:3], v[20:21]
; %bb.171:
	s_or_b32 exec_lo, exec_lo, s0
	v_mul_u64_e32 v[20:21], s[12:13], v[10:11]
	v_mul_u64_e32 v[22:23], s[12:13], v[16:17]
	s_mov_b32 s20, 0
	s_mov_b64 s[6:7], s[12:13]
                                        ; implicit-def: $sgpr5
                                        ; implicit-def: $sgpr21
                                        ; implicit-def: $sgpr23
                                        ; implicit-def: $sgpr22
                                        ; implicit-def: $sgpr24
	s_delay_alu instid0(VALU_DEP_2) | instskip(NEXT) | instid1(VALU_DEP_2)
	v_lshl_add_u64 v[20:21], v[20:21], 3, s[14:15]
	v_lshl_add_u64 v[22:23], v[22:23], 3, s[14:15]
	s_branch .LBB749_173
.LBB749_172:                            ;   in Loop: Header=BB749_173 Depth=1
	s_or_b32 exec_lo, exec_lo, s25
	s_and_b32 s0, s0, s24
	s_delay_alu instid0(SALU_CYCLE_1) | instskip(SKIP_1) | instid1(SALU_CYCLE_1)
	s_or_b32 s0, vcc_lo, s0
	s_and_b32 s25, exec_lo, s23
	s_or_b32 s20, s25, s20
	s_and_not1_b32 s24, s24, exec_lo
	s_and_b32 s0, s0, exec_lo
	s_and_not1_b32 s21, s21, exec_lo
	s_and_b32 s25, s22, exec_lo
	s_and_not1_b32 s5, s5, exec_lo
	s_or_b32 s24, s24, s0
	s_or_b32 s21, s21, s25
	;; [unrolled: 1-line block ×3, first 2 shown]
	s_and_not1_b32 exec_lo, exec_lo, s20
	s_cbranch_execz .LBB749_175
.LBB749_173:                            ; =>This Inner Loop Header: Depth=1
	global_load_b64 v[26:27], v[20:21], off
	global_load_b64 v[28:29], v[22:23], off
	s_or_b32 s22, s22, exec_lo
	s_or_b32 s23, s23, exec_lo
	s_wait_loadcnt 0x0
	v_cmp_lt_f64_e32 vcc_lo, v[26:27], v[28:29]
	v_cmp_ngt_f64_e64 s0, v[26:27], v[28:29]
	s_xor_b32 s26, vcc_lo, s0
	s_delay_alu instid0(SALU_CYCLE_1)
	s_and_saveexec_b32 s25, s26
	s_cbranch_execz .LBB749_172
; %bb.174:                              ;   in Loop: Header=BB749_173 Depth=1
	s_add_nc_u64 s[6:7], s[6:7], -1
	v_add_nc_u64_e32 v[20:21], 8, v[20:21]
	s_cmp_eq_u64 s[6:7], 0
	v_add_nc_u64_e32 v[22:23], 8, v[22:23]
	s_cselect_b32 s26, -1, 0
	s_and_not1_b32 s23, s23, exec_lo
	s_and_b32 s26, s26, exec_lo
	s_and_not1_b32 s22, s22, exec_lo
	s_or_b32 s23, s23, s26
	s_branch .LBB749_172
.LBB749_175:
	s_or_b32 exec_lo, exec_lo, s20
	s_and_saveexec_b32 s0, s21
	s_delay_alu instid0(SALU_CYCLE_1)
	s_xor_b32 s0, exec_lo, s0
; %bb.176:
	v_dual_cndmask_b32 v21, v17, v11, s5 :: v_dual_cndmask_b32 v20, v16, v10, s5
	v_dual_cndmask_b32 v11, v11, v17, s5 :: v_dual_cndmask_b32 v10, v10, v16, s5
	s_delay_alu instid0(VALU_DEP_2)
	v_mov_b64_e32 v[16:17], v[20:21]
; %bb.177:
	s_or_b32 exec_lo, exec_lo, s0
	v_mul_u64_e32 v[20:21], s[12:13], v[6:7]
	v_mul_u64_e32 v[22:23], s[12:13], v[12:13]
	s_mov_b32 s20, 0
	s_mov_b64 s[6:7], s[12:13]
                                        ; implicit-def: $sgpr5
                                        ; implicit-def: $sgpr21
                                        ; implicit-def: $sgpr23
                                        ; implicit-def: $sgpr22
                                        ; implicit-def: $sgpr24
	s_delay_alu instid0(VALU_DEP_2) | instskip(NEXT) | instid1(VALU_DEP_2)
	v_lshl_add_u64 v[20:21], v[20:21], 3, s[14:15]
	v_lshl_add_u64 v[22:23], v[22:23], 3, s[14:15]
	s_branch .LBB749_179
.LBB749_178:                            ;   in Loop: Header=BB749_179 Depth=1
	s_or_b32 exec_lo, exec_lo, s25
	s_and_b32 s0, s0, s24
	s_delay_alu instid0(SALU_CYCLE_1) | instskip(SKIP_1) | instid1(SALU_CYCLE_1)
	s_or_b32 s0, vcc_lo, s0
	s_and_b32 s25, exec_lo, s23
	s_or_b32 s20, s25, s20
	s_and_not1_b32 s24, s24, exec_lo
	s_and_b32 s0, s0, exec_lo
	s_and_not1_b32 s21, s21, exec_lo
	s_and_b32 s25, s22, exec_lo
	s_and_not1_b32 s5, s5, exec_lo
	s_or_b32 s24, s24, s0
	s_or_b32 s21, s21, s25
	s_or_b32 s5, s5, s0
	s_and_not1_b32 exec_lo, exec_lo, s20
	s_cbranch_execz .LBB749_181
.LBB749_179:                            ; =>This Inner Loop Header: Depth=1
	global_load_b64 v[26:27], v[20:21], off
	global_load_b64 v[28:29], v[22:23], off
	s_or_b32 s22, s22, exec_lo
	s_or_b32 s23, s23, exec_lo
	s_wait_loadcnt 0x0
	v_cmp_lt_f64_e32 vcc_lo, v[26:27], v[28:29]
	v_cmp_ngt_f64_e64 s0, v[26:27], v[28:29]
	s_xor_b32 s26, vcc_lo, s0
	s_delay_alu instid0(SALU_CYCLE_1)
	s_and_saveexec_b32 s25, s26
	s_cbranch_execz .LBB749_178
; %bb.180:                              ;   in Loop: Header=BB749_179 Depth=1
	s_add_nc_u64 s[6:7], s[6:7], -1
	v_add_nc_u64_e32 v[20:21], 8, v[20:21]
	s_cmp_eq_u64 s[6:7], 0
	v_add_nc_u64_e32 v[22:23], 8, v[22:23]
	s_cselect_b32 s26, -1, 0
	s_and_not1_b32 s23, s23, exec_lo
	s_and_b32 s26, s26, exec_lo
	s_and_not1_b32 s22, s22, exec_lo
	s_or_b32 s23, s23, s26
	s_branch .LBB749_178
.LBB749_181:
	s_or_b32 exec_lo, exec_lo, s20
	s_and_saveexec_b32 s0, s21
	s_delay_alu instid0(SALU_CYCLE_1)
	s_xor_b32 s0, exec_lo, s0
; %bb.182:
	v_dual_cndmask_b32 v21, v13, v7, s5 :: v_dual_cndmask_b32 v20, v12, v6, s5
	v_dual_cndmask_b32 v7, v7, v13, s5 :: v_dual_cndmask_b32 v6, v6, v12, s5
	s_delay_alu instid0(VALU_DEP_2)
	v_mov_b64_e32 v[12:13], v[20:21]
; %bb.183:
	s_or_b32 exec_lo, exec_lo, s0
	v_mul_u64_e32 v[20:21], s[12:13], v[2:3]
	v_mul_u64_e32 v[22:23], s[12:13], v[8:9]
	s_mov_b32 s20, 0
	s_mov_b64 s[6:7], s[12:13]
                                        ; implicit-def: $sgpr5
                                        ; implicit-def: $sgpr21
                                        ; implicit-def: $sgpr23
                                        ; implicit-def: $sgpr22
                                        ; implicit-def: $sgpr24
	s_delay_alu instid0(VALU_DEP_2) | instskip(NEXT) | instid1(VALU_DEP_2)
	v_lshl_add_u64 v[20:21], v[20:21], 3, s[14:15]
	v_lshl_add_u64 v[22:23], v[22:23], 3, s[14:15]
	s_branch .LBB749_185
.LBB749_184:                            ;   in Loop: Header=BB749_185 Depth=1
	s_or_b32 exec_lo, exec_lo, s25
	s_and_b32 s0, s0, s24
	s_delay_alu instid0(SALU_CYCLE_1) | instskip(SKIP_1) | instid1(SALU_CYCLE_1)
	s_or_b32 s0, vcc_lo, s0
	s_and_b32 s25, exec_lo, s23
	s_or_b32 s20, s25, s20
	s_and_not1_b32 s24, s24, exec_lo
	s_and_b32 s0, s0, exec_lo
	s_and_not1_b32 s21, s21, exec_lo
	s_and_b32 s25, s22, exec_lo
	s_and_not1_b32 s5, s5, exec_lo
	s_or_b32 s24, s24, s0
	s_or_b32 s21, s21, s25
	;; [unrolled: 1-line block ×3, first 2 shown]
	s_and_not1_b32 exec_lo, exec_lo, s20
	s_cbranch_execz .LBB749_187
.LBB749_185:                            ; =>This Inner Loop Header: Depth=1
	global_load_b64 v[26:27], v[20:21], off
	global_load_b64 v[28:29], v[22:23], off
	s_or_b32 s22, s22, exec_lo
	s_or_b32 s23, s23, exec_lo
	s_wait_loadcnt 0x0
	v_cmp_lt_f64_e32 vcc_lo, v[26:27], v[28:29]
	v_cmp_ngt_f64_e64 s0, v[26:27], v[28:29]
	s_xor_b32 s26, vcc_lo, s0
	s_delay_alu instid0(SALU_CYCLE_1)
	s_and_saveexec_b32 s25, s26
	s_cbranch_execz .LBB749_184
; %bb.186:                              ;   in Loop: Header=BB749_185 Depth=1
	s_add_nc_u64 s[6:7], s[6:7], -1
	v_add_nc_u64_e32 v[20:21], 8, v[20:21]
	s_cmp_eq_u64 s[6:7], 0
	v_add_nc_u64_e32 v[22:23], 8, v[22:23]
	s_cselect_b32 s26, -1, 0
	s_and_not1_b32 s23, s23, exec_lo
	s_and_b32 s26, s26, exec_lo
	s_and_not1_b32 s22, s22, exec_lo
	s_or_b32 s23, s23, s26
	s_branch .LBB749_184
.LBB749_187:
	s_or_b32 exec_lo, exec_lo, s20
	s_and_saveexec_b32 s0, s21
	s_delay_alu instid0(SALU_CYCLE_1)
	s_xor_b32 s0, exec_lo, s0
; %bb.188:
	v_dual_cndmask_b32 v21, v9, v3, s5 :: v_dual_cndmask_b32 v20, v8, v2, s5
	v_dual_cndmask_b32 v3, v3, v9, s5 :: v_dual_cndmask_b32 v2, v2, v8, s5
	s_delay_alu instid0(VALU_DEP_2)
	v_mov_b64_e32 v[8:9], v[20:21]
; %bb.189:
	s_or_b32 exec_lo, exec_lo, s0
.LBB749_190:
	s_delay_alu instid0(SALU_CYCLE_1) | instskip(SKIP_4) | instid1(VALU_DEP_1)
	s_or_b32 exec_lo, exec_lo, s1
	v_mbcnt_lo_u32_b32 v20, -1, 0
	v_and_b32_e32 v21, 0xffffff00, v24
	s_mov_b32 s1, 0
	s_mov_b32 s5, exec_lo
	v_dual_lshlrev_b32 v48, 3, v20 :: v_dual_lshlrev_b32 v46, 3, v21
	v_sub_nc_u32_e64 v47, 0x800, v21 clamp
	s_delay_alu instid0(VALU_DEP_2) | instskip(SKIP_1) | instid1(VALU_DEP_4)
	v_or_b32_e32 v22, 8, v48
	v_and_b32_e32 v26, 0xf0, v48
	v_lshl_or_b32 v49, v20, 6, v46
	ds_store_b128 v49, v[14:17]
	ds_store_b128 v49, v[10:13] offset:16
	v_min_u32_e32 v50, v47, v22
	v_and_b32_e32 v22, 8, v48
	v_lshl_or_b32 v25, v26, 3, v46
	ds_store_b128 v49, v[6:9] offset:32
	ds_store_b128 v49, v[2:5] offset:48
	v_add_min_u32_e64 v51, v50, 8, v47
	v_min_u32_e32 v27, v47, v22
	v_sub_nc_u32_e32 v22, v50, v26
	; wave barrier
	s_delay_alu instid0(VALU_DEP_3) | instskip(NEXT) | instid1(VALU_DEP_2)
	v_sub_nc_u32_e32 v21, v51, v50
	v_min_u32_e32 v28, v27, v22
	s_delay_alu instid0(VALU_DEP_2) | instskip(NEXT) | instid1(VALU_DEP_1)
	v_sub_nc_u32_e64 v24, v27, v21 clamp
	v_cmpx_lt_u32_e64 v24, v28
	s_cbranch_execz .LBB749_201
; %bb.191:
	v_dual_lshlrev_b32 v20, 3, v50 :: v_dual_lshlrev_b32 v21, 3, v27
	s_lshl_b64 s[6:7], s[12:13], 3
	s_delay_alu instid0(VALU_DEP_1)
	v_add3_u32 v29, v46, v20, v21
	s_branch .LBB749_194
.LBB749_192:                            ;   in Loop: Header=BB749_194 Depth=1
	s_or_b32 exec_lo, exec_lo, s23
.LBB749_193:                            ;   in Loop: Header=BB749_194 Depth=1
	s_delay_alu instid0(VALU_DEP_1) | instskip(NEXT) | instid1(VALU_DEP_1)
	v_dual_add_nc_u32 v20, 1, v30 :: v_dual_cndmask_b32 v28, v28, v30, s22
	v_cndmask_b32_e64 v24, v20, v24, s22
	s_delay_alu instid0(VALU_DEP_1) | instskip(SKIP_1) | instid1(SALU_CYCLE_1)
	v_cmp_ge_u32_e32 vcc_lo, v24, v28
	s_or_b32 s1, vcc_lo, s1
	s_and_not1_b32 exec_lo, exec_lo, s1
	s_cbranch_execz .LBB749_200
.LBB749_194:                            ; =>This Loop Header: Depth=1
                                        ;     Child Loop BB749_197 Depth 2
	v_add_nc_u32_e32 v20, v28, v24
	v_cmp_ne_u32_e32 vcc_lo, 1, v45
	s_delay_alu instid0(VALU_DEP_2)
	v_lshrrev_b32_e32 v30, 1, v20
	s_cbranch_vccnz .LBB749_199
; %bb.195:                              ;   in Loop: Header=BB749_194 Depth=1
	s_delay_alu instid0(VALU_DEP_1) | instskip(SKIP_3) | instid1(VALU_DEP_2)
	v_not_b32_e32 v20, v30
	v_lshl_add_u32 v21, v30, 3, v25
	s_mov_b32 s23, 0
	s_mov_b64 s[20:21], s[12:13]
                                        ; implicit-def: $sgpr22
                                        ; implicit-def: $sgpr24
                                        ; implicit-def: $sgpr25
                                        ; implicit-def: $sgpr26
	v_lshl_add_u32 v20, v20, 3, v29
	ds_load_b64 v[32:33], v20
	ds_load_b64 v[34:35], v21
	s_wait_dscnt 0x1
	v_mad_nc_u64_u32 v[20:21], s6, v32, s[14:15]
	s_wait_dscnt 0x0
	v_mad_nc_u64_u32 v[22:23], s6, v34, s[14:15]
	s_delay_alu instid0(VALU_DEP_2) | instskip(NEXT) | instid1(VALU_DEP_2)
	v_mad_u32 v21, s7, v32, v21
	v_mad_u32 v23, s7, v34, v23
	s_delay_alu instid0(VALU_DEP_2) | instskip(NEXT) | instid1(VALU_DEP_2)
	v_mad_u32 v21, s6, v33, v21
	v_mad_u32 v23, s6, v35, v23
	s_branch .LBB749_197
.LBB749_196:                            ;   in Loop: Header=BB749_197 Depth=2
	s_or_b32 exec_lo, exec_lo, s0
	s_delay_alu instid0(SALU_CYCLE_1) | instskip(NEXT) | instid1(SALU_CYCLE_1)
	s_and_b32 s0, exec_lo, s24
	s_or_b32 s23, s0, s23
	s_and_not1_b32 s0, s26, exec_lo
	s_and_b32 s26, s27, exec_lo
	s_and_not1_b32 s22, s22, exec_lo
	s_and_b32 s27, s25, exec_lo
	s_or_b32 s26, s0, s26
	s_or_b32 s22, s22, s27
	s_and_not1_b32 exec_lo, exec_lo, s23
	s_cbranch_execz .LBB749_192
.LBB749_197:                            ;   Parent Loop BB749_194 Depth=1
                                        ; =>  This Inner Loop Header: Depth=2
	global_load_b64 v[32:33], v[20:21], off
	global_load_b64 v[34:35], v[22:23], off
	s_and_not1_b32 s25, s25, exec_lo
	s_or_b32 s24, s24, exec_lo
	s_wait_loadcnt 0x0
	v_cmp_ngt_f64_e32 vcc_lo, v[32:33], v[34:35]
	v_cmp_lt_f64_e64 s0, v[32:33], v[34:35]
	s_and_b32 s27, vcc_lo, s26
	s_xor_b32 s29, s0, vcc_lo
	s_or_b32 s27, s0, s27
	s_delay_alu instid0(SALU_CYCLE_1) | instskip(NEXT) | instid1(SALU_CYCLE_1)
	s_and_b32 s28, s27, exec_lo
	s_or_b32 s25, s25, s28
	s_and_saveexec_b32 s0, s29
	s_cbranch_execz .LBB749_196
; %bb.198:                              ;   in Loop: Header=BB749_197 Depth=2
	s_add_nc_u64 s[20:21], s[20:21], -1
	v_add_nc_u64_e32 v[20:21], 8, v[20:21]
	s_cmp_eq_u64 s[20:21], 0
	v_add_nc_u64_e32 v[22:23], 8, v[22:23]
	s_cselect_b32 s26, -1, 0
	s_and_not1_b32 s24, s24, exec_lo
	s_and_b32 s26, s26, exec_lo
	s_and_not1_b32 s25, s25, exec_lo
	s_or_b32 s24, s24, s26
                                        ; implicit-def: $sgpr26
	s_branch .LBB749_196
.LBB749_199:                            ;   in Loop: Header=BB749_194 Depth=1
	s_mov_b32 s22, 0
	s_branch .LBB749_193
.LBB749_200:
	s_or_b32 exec_lo, exec_lo, s1
.LBB749_201:
	s_delay_alu instid0(SALU_CYCLE_1) | instskip(SKIP_2) | instid1(VALU_DEP_2)
	s_or_b32 exec_lo, exec_lo, s5
	v_dual_add_nc_u32 v21, v50, v27 :: v_dual_add_nc_u32 v20, v24, v26
	v_cmp_lt_i64_e64 s5, s[12:13], 1
	v_sub_nc_u32_e32 v21, v21, v24
	s_delay_alu instid0(VALU_DEP_3) | instskip(NEXT) | instid1(VALU_DEP_2)
	v_cmp_le_u32_e32 vcc_lo, v20, v50
	v_cmp_le_u32_e64 s0, v21, v51
	s_or_b32 s0, vcc_lo, s0
	s_delay_alu instid0(SALU_CYCLE_1)
	s_and_saveexec_b32 s20, s0
	s_cbranch_execz .LBB749_269
; %bb.202:
	s_mov_b32 s1, exec_lo
	v_cmp_ge_u32_e32 vcc_lo, v20, v50
                                        ; implicit-def: $vgpr2_vgpr3
	v_cmpx_lt_u32_e64 v20, v50
; %bb.203:
	v_lshl_add_u32 v2, v24, 3, v25
	ds_load_b64 v[2:3], v2
; %bb.204:
	s_or_b32 exec_lo, exec_lo, s1
	v_cmp_ge_u32_e64 s0, v21, v51
	s_mov_b32 s6, exec_lo
                                        ; implicit-def: $vgpr4_vgpr5
	v_cmpx_lt_u32_e64 v21, v51
; %bb.205:
	v_lshl_add_u32 v4, v21, 3, v46
	ds_load_b64 v[4:5], v4
; %bb.206:
	s_or_b32 exec_lo, exec_lo, s6
	s_or_b32 s1, vcc_lo, s0
	s_xor_b32 s6, vcc_lo, -1
	s_nor_b32 s7, s1, s5
	s_or_b32 s1, s0, s6
	s_and_saveexec_b32 s21, s7
	s_cbranch_execz .LBB749_212
; %bb.207:
	s_wait_dscnt 0x0
	v_mul_u64_e32 v[6:7], s[12:13], v[4:5]
	v_mul_u64_e32 v[8:9], s[12:13], v[2:3]
	s_mov_b32 s22, 0
	s_mov_b64 s[6:7], s[12:13]
                                        ; implicit-def: $sgpr23
                                        ; implicit-def: $sgpr24
                                        ; implicit-def: $sgpr25
                                        ; implicit-def: $sgpr26
	s_delay_alu instid0(VALU_DEP_2) | instskip(NEXT) | instid1(VALU_DEP_2)
	v_lshl_add_u64 v[6:7], v[6:7], 3, s[14:15]
	v_lshl_add_u64 v[8:9], v[8:9], 3, s[14:15]
	s_branch .LBB749_209
.LBB749_208:                            ;   in Loop: Header=BB749_209 Depth=1
	s_or_b32 exec_lo, exec_lo, s0
	s_delay_alu instid0(SALU_CYCLE_1) | instskip(NEXT) | instid1(SALU_CYCLE_1)
	s_and_b32 s0, exec_lo, s24
	s_or_b32 s22, s0, s22
	s_and_not1_b32 s0, s26, exec_lo
	s_and_b32 s26, s27, exec_lo
	s_and_not1_b32 s23, s23, exec_lo
	s_and_b32 s27, s25, exec_lo
	s_or_b32 s26, s0, s26
	s_or_b32 s23, s23, s27
	s_and_not1_b32 exec_lo, exec_lo, s22
	s_cbranch_execz .LBB749_211
.LBB749_209:                            ; =>This Inner Loop Header: Depth=1
	global_load_b64 v[10:11], v[6:7], off
	global_load_b64 v[12:13], v[8:9], off
	s_and_not1_b32 s25, s25, exec_lo
	s_or_b32 s24, s24, exec_lo
	s_wait_loadcnt 0x0
	v_cmp_ngt_f64_e32 vcc_lo, v[10:11], v[12:13]
	v_cmp_lt_f64_e64 s0, v[10:11], v[12:13]
	s_and_b32 s27, vcc_lo, s26
	s_xor_b32 s29, s0, vcc_lo
	s_or_b32 s27, s0, s27
	s_delay_alu instid0(SALU_CYCLE_1) | instskip(NEXT) | instid1(SALU_CYCLE_1)
	s_and_b32 s28, s27, exec_lo
	s_or_b32 s25, s25, s28
	s_and_saveexec_b32 s0, s29
	s_cbranch_execz .LBB749_208
; %bb.210:                              ;   in Loop: Header=BB749_209 Depth=1
	s_add_nc_u64 s[6:7], s[6:7], -1
	v_add_nc_u64_e32 v[6:7], 8, v[6:7]
	s_cmp_eq_u64 s[6:7], 0
	v_add_nc_u64_e32 v[8:9], 8, v[8:9]
	s_cselect_b32 s26, -1, 0
	s_and_not1_b32 s24, s24, exec_lo
	s_and_b32 s26, s26, exec_lo
	s_and_not1_b32 s25, s25, exec_lo
	s_or_b32 s24, s24, s26
                                        ; implicit-def: $sgpr26
	s_branch .LBB749_208
.LBB749_211:
	s_or_b32 exec_lo, exec_lo, s22
	s_xor_b32 s0, s23, -1
	s_and_not1_b32 s1, s1, exec_lo
	s_and_b32 s0, s0, exec_lo
	s_delay_alu instid0(SALU_CYCLE_1)
	s_or_b32 s1, s1, s0
.LBB749_212:
	s_or_b32 exec_lo, exec_lo, s21
	v_dual_cndmask_b32 v6, v21, v20, s1 :: v_dual_cndmask_b32 v7, v51, v50, s1
	s_mov_b32 s22, -1
	s_mov_b32 s21, -1
	s_mov_b32 s23, exec_lo
	s_delay_alu instid0(VALU_DEP_1) | instskip(NEXT) | instid1(VALU_DEP_1)
	v_add_nc_u32_e32 v8, 1, v6
	v_add_min_u32_e64 v6, v7, -1, v8
	s_delay_alu instid0(VALU_DEP_1)
	v_lshl_add_u32 v6, v6, 3, v46
	ds_load_b64 v[6:7], v6
	s_wait_dscnt 0x0
	v_cndmask_b32_e64 v15, v7, v5, s1
	v_dual_cndmask_b32 v10, v8, v21, s1 :: v_dual_cndmask_b32 v14, v6, v4, s1
	v_dual_cndmask_b32 v11, v20, v8, s1 :: v_dual_cndmask_b32 v17, v3, v7, s1
	v_cndmask_b32_e64 v16, v2, v6, s1
	s_delay_alu instid0(VALU_DEP_3)
	v_cmpx_lt_u32_e64 v10, v51
	s_cbranch_execz .LBB749_220
; %bb.213:
	s_delay_alu instid0(VALU_DEP_3) | instskip(SKIP_1) | instid1(SALU_CYCLE_1)
	v_cmp_lt_u32_e64 s21, v11, v50
	s_xor_b32 s0, s5, -1
	s_and_b32 s0, s21, s0
	s_delay_alu instid0(SALU_CYCLE_1)
	s_and_saveexec_b32 s24, s0
	s_cbranch_execz .LBB749_219
; %bb.214:
	v_mul_u64_e32 v[6:7], s[12:13], v[14:15]
	v_mul_u64_e32 v[8:9], s[12:13], v[16:17]
	s_mov_b32 s25, 0
	s_mov_b64 s[6:7], s[12:13]
                                        ; implicit-def: $sgpr26
                                        ; implicit-def: $sgpr27
                                        ; implicit-def: $sgpr28
                                        ; implicit-def: $sgpr29
	s_delay_alu instid0(VALU_DEP_2) | instskip(NEXT) | instid1(VALU_DEP_2)
	v_lshl_add_u64 v[6:7], v[6:7], 3, s[14:15]
	v_lshl_add_u64 v[8:9], v[8:9], 3, s[14:15]
	s_branch .LBB749_216
.LBB749_215:                            ;   in Loop: Header=BB749_216 Depth=1
	s_or_b32 exec_lo, exec_lo, s0
	s_delay_alu instid0(SALU_CYCLE_1) | instskip(NEXT) | instid1(SALU_CYCLE_1)
	s_and_b32 s0, exec_lo, s27
	s_or_b32 s25, s0, s25
	s_and_not1_b32 s0, s29, exec_lo
	s_and_b32 s29, s30, exec_lo
	s_and_not1_b32 s26, s26, exec_lo
	s_and_b32 s30, s28, exec_lo
	s_or_b32 s29, s0, s29
	s_or_b32 s26, s26, s30
	s_and_not1_b32 exec_lo, exec_lo, s25
	s_cbranch_execz .LBB749_218
.LBB749_216:                            ; =>This Inner Loop Header: Depth=1
	global_load_b64 v[12:13], v[6:7], off
	global_load_b64 v[20:21], v[8:9], off
	s_and_not1_b32 s28, s28, exec_lo
	s_or_b32 s27, s27, exec_lo
	s_wait_loadcnt 0x0
	v_cmp_ngt_f64_e32 vcc_lo, v[12:13], v[20:21]
	v_cmp_lt_f64_e64 s0, v[12:13], v[20:21]
	s_and_b32 s30, vcc_lo, s29
	s_xor_b32 s33, s0, vcc_lo
	s_or_b32 s30, s0, s30
	s_delay_alu instid0(SALU_CYCLE_1) | instskip(NEXT) | instid1(SALU_CYCLE_1)
	s_and_b32 s31, s30, exec_lo
	s_or_b32 s28, s28, s31
	s_and_saveexec_b32 s0, s33
	s_cbranch_execz .LBB749_215
; %bb.217:                              ;   in Loop: Header=BB749_216 Depth=1
	s_add_nc_u64 s[6:7], s[6:7], -1
	v_add_nc_u64_e32 v[6:7], 8, v[6:7]
	s_cmp_eq_u64 s[6:7], 0
	v_add_nc_u64_e32 v[8:9], 8, v[8:9]
	s_cselect_b32 s29, -1, 0
	s_and_not1_b32 s27, s27, exec_lo
	s_and_b32 s29, s29, exec_lo
	s_and_not1_b32 s28, s28, exec_lo
	s_or_b32 s27, s27, s29
                                        ; implicit-def: $sgpr29
	s_branch .LBB749_215
.LBB749_218:
	s_or_b32 exec_lo, exec_lo, s25
	s_xor_b32 s0, s26, -1
	s_and_not1_b32 s6, s21, exec_lo
	s_and_b32 s0, s0, exec_lo
	s_delay_alu instid0(SALU_CYCLE_1)
	s_or_b32 s21, s6, s0
.LBB749_219:
	s_or_b32 exec_lo, exec_lo, s24
	s_delay_alu instid0(SALU_CYCLE_1)
	s_or_not1_b32 s21, s21, exec_lo
.LBB749_220:
	s_or_b32 exec_lo, exec_lo, s23
	v_dual_cndmask_b32 v6, v10, v11, s21 :: v_dual_cndmask_b32 v7, v51, v50, s21
	s_mov_b32 s23, exec_lo
	s_delay_alu instid0(VALU_DEP_1) | instskip(NEXT) | instid1(VALU_DEP_1)
	v_add_nc_u32_e32 v8, 1, v6
	v_add_min_u32_e64 v6, v7, -1, v8
	s_delay_alu instid0(VALU_DEP_1)
	v_lshl_add_u32 v6, v6, 3, v46
	ds_load_b64 v[6:7], v6
	v_cndmask_b32_e64 v13, v11, v8, s21
	s_wait_dscnt 0x0
	v_dual_cndmask_b32 v11, v7, v15, s21 :: v_dual_cndmask_b32 v12, v8, v10, s21
	v_dual_cndmask_b32 v21, v17, v7, s21 :: v_dual_cndmask_b32 v10, v6, v14, s21
	v_cndmask_b32_e64 v20, v16, v6, s21
	s_delay_alu instid0(VALU_DEP_3)
	v_cmpx_lt_u32_e64 v12, v51
	s_cbranch_execz .LBB749_228
; %bb.221:
	v_cmp_lt_u32_e64 s22, v13, v50
	s_xor_b32 s0, s5, -1
	s_delay_alu instid0(SALU_CYCLE_1) | instskip(NEXT) | instid1(SALU_CYCLE_1)
	s_and_b32 s0, s22, s0
	s_and_saveexec_b32 s24, s0
	s_cbranch_execz .LBB749_227
; %bb.222:
	v_mul_u64_e32 v[6:7], s[12:13], v[10:11]
	v_mul_u64_e32 v[8:9], s[12:13], v[20:21]
	s_mov_b32 s25, 0
	s_mov_b64 s[6:7], s[12:13]
                                        ; implicit-def: $sgpr26
                                        ; implicit-def: $sgpr27
                                        ; implicit-def: $sgpr28
                                        ; implicit-def: $sgpr29
	s_delay_alu instid0(VALU_DEP_2) | instskip(NEXT) | instid1(VALU_DEP_2)
	v_lshl_add_u64 v[6:7], v[6:7], 3, s[14:15]
	v_lshl_add_u64 v[8:9], v[8:9], 3, s[14:15]
	s_branch .LBB749_224
.LBB749_223:                            ;   in Loop: Header=BB749_224 Depth=1
	s_or_b32 exec_lo, exec_lo, s0
	s_delay_alu instid0(SALU_CYCLE_1) | instskip(NEXT) | instid1(SALU_CYCLE_1)
	s_and_b32 s0, exec_lo, s27
	s_or_b32 s25, s0, s25
	s_and_not1_b32 s0, s29, exec_lo
	s_and_b32 s29, s30, exec_lo
	s_and_not1_b32 s26, s26, exec_lo
	s_and_b32 s30, s28, exec_lo
	s_or_b32 s29, s0, s29
	s_or_b32 s26, s26, s30
	s_and_not1_b32 exec_lo, exec_lo, s25
	s_cbranch_execz .LBB749_226
.LBB749_224:                            ; =>This Inner Loop Header: Depth=1
	global_load_b64 v[22:23], v[6:7], off
	global_load_b64 v[24:25], v[8:9], off
	s_and_not1_b32 s28, s28, exec_lo
	s_or_b32 s27, s27, exec_lo
	s_wait_loadcnt 0x0
	v_cmp_ngt_f64_e32 vcc_lo, v[22:23], v[24:25]
	v_cmp_lt_f64_e64 s0, v[22:23], v[24:25]
	s_and_b32 s30, vcc_lo, s29
	s_xor_b32 s33, s0, vcc_lo
	s_or_b32 s30, s0, s30
	s_delay_alu instid0(SALU_CYCLE_1) | instskip(NEXT) | instid1(SALU_CYCLE_1)
	s_and_b32 s31, s30, exec_lo
	s_or_b32 s28, s28, s31
	s_and_saveexec_b32 s0, s33
	s_cbranch_execz .LBB749_223
; %bb.225:                              ;   in Loop: Header=BB749_224 Depth=1
	s_add_nc_u64 s[6:7], s[6:7], -1
	v_add_nc_u64_e32 v[6:7], 8, v[6:7]
	s_cmp_eq_u64 s[6:7], 0
	v_add_nc_u64_e32 v[8:9], 8, v[8:9]
	s_cselect_b32 s29, -1, 0
	s_and_not1_b32 s27, s27, exec_lo
	s_and_b32 s29, s29, exec_lo
	s_and_not1_b32 s28, s28, exec_lo
	s_or_b32 s27, s27, s29
                                        ; implicit-def: $sgpr29
	s_branch .LBB749_223
.LBB749_226:
	s_or_b32 exec_lo, exec_lo, s25
	s_xor_b32 s0, s26, -1
	s_and_not1_b32 s6, s22, exec_lo
	s_and_b32 s0, s0, exec_lo
	s_delay_alu instid0(SALU_CYCLE_1)
	s_or_b32 s22, s6, s0
.LBB749_227:
	s_or_b32 exec_lo, exec_lo, s24
	s_delay_alu instid0(SALU_CYCLE_1)
	s_or_not1_b32 s22, s22, exec_lo
.LBB749_228:
	s_or_b32 exec_lo, exec_lo, s23
	v_dual_cndmask_b32 v6, v12, v13, s22 :: v_dual_cndmask_b32 v7, v51, v50, s22
	s_mov_b32 s24, -1
	s_mov_b32 s23, -1
	s_mov_b32 s25, exec_lo
	s_delay_alu instid0(VALU_DEP_1) | instskip(NEXT) | instid1(VALU_DEP_1)
	v_add_nc_u32_e32 v8, 1, v6
	v_add_min_u32_e64 v6, v7, -1, v8
	s_delay_alu instid0(VALU_DEP_1)
	v_lshl_add_u32 v6, v6, 3, v46
	ds_load_b64 v[6:7], v6
	s_wait_dscnt 0x0
	v_dual_cndmask_b32 v25, v13, v8, s22 :: v_dual_cndmask_b32 v22, v20, v6, s22
	v_dual_cndmask_b32 v13, v7, v11, s22 :: v_dual_cndmask_b32 v24, v8, v12, s22
	;; [unrolled: 1-line block ×3, first 2 shown]
	s_delay_alu instid0(VALU_DEP_2)
	v_cmpx_lt_u32_e64 v24, v51
	s_cbranch_execz .LBB749_236
; %bb.229:
	v_cmp_lt_u32_e64 s23, v25, v50
	s_xor_b32 s0, s5, -1
	s_delay_alu instid0(SALU_CYCLE_1) | instskip(NEXT) | instid1(SALU_CYCLE_1)
	s_and_b32 s0, s23, s0
	s_and_saveexec_b32 s26, s0
	s_cbranch_execz .LBB749_235
; %bb.230:
	v_mul_u64_e32 v[6:7], s[12:13], v[12:13]
	v_mul_u64_e32 v[8:9], s[12:13], v[22:23]
	s_mov_b32 s27, 0
	s_mov_b64 s[6:7], s[12:13]
                                        ; implicit-def: $sgpr28
                                        ; implicit-def: $sgpr29
                                        ; implicit-def: $sgpr30
                                        ; implicit-def: $sgpr31
	s_delay_alu instid0(VALU_DEP_2) | instskip(NEXT) | instid1(VALU_DEP_2)
	v_lshl_add_u64 v[6:7], v[6:7], 3, s[14:15]
	v_lshl_add_u64 v[8:9], v[8:9], 3, s[14:15]
	s_branch .LBB749_232
.LBB749_231:                            ;   in Loop: Header=BB749_232 Depth=1
	s_or_b32 exec_lo, exec_lo, s0
	s_delay_alu instid0(SALU_CYCLE_1) | instskip(NEXT) | instid1(SALU_CYCLE_1)
	s_and_b32 s0, exec_lo, s29
	s_or_b32 s27, s0, s27
	s_and_not1_b32 s0, s31, exec_lo
	s_and_b32 s31, s33, exec_lo
	s_and_not1_b32 s28, s28, exec_lo
	s_and_b32 s33, s30, exec_lo
	s_or_b32 s31, s0, s31
	s_or_b32 s28, s28, s33
	s_and_not1_b32 exec_lo, exec_lo, s27
	s_cbranch_execz .LBB749_234
.LBB749_232:                            ; =>This Inner Loop Header: Depth=1
	global_load_b64 v[26:27], v[6:7], off
	global_load_b64 v[28:29], v[8:9], off
	s_and_not1_b32 s30, s30, exec_lo
	s_or_b32 s29, s29, exec_lo
	s_wait_loadcnt 0x0
	v_cmp_ngt_f64_e32 vcc_lo, v[26:27], v[28:29]
	v_cmp_lt_f64_e64 s0, v[26:27], v[28:29]
	s_and_b32 s33, vcc_lo, s31
	s_xor_b32 s35, s0, vcc_lo
	s_or_b32 s33, s0, s33
	s_delay_alu instid0(SALU_CYCLE_1) | instskip(NEXT) | instid1(SALU_CYCLE_1)
	s_and_b32 s34, s33, exec_lo
	s_or_b32 s30, s30, s34
	s_and_saveexec_b32 s0, s35
	s_cbranch_execz .LBB749_231
; %bb.233:                              ;   in Loop: Header=BB749_232 Depth=1
	s_add_nc_u64 s[6:7], s[6:7], -1
	v_add_nc_u64_e32 v[6:7], 8, v[6:7]
	s_cmp_eq_u64 s[6:7], 0
	v_add_nc_u64_e32 v[8:9], 8, v[8:9]
	s_cselect_b32 s31, -1, 0
	s_and_not1_b32 s29, s29, exec_lo
	s_and_b32 s31, s31, exec_lo
	s_and_not1_b32 s30, s30, exec_lo
	s_or_b32 s29, s29, s31
                                        ; implicit-def: $sgpr31
	s_branch .LBB749_231
.LBB749_234:
	s_or_b32 exec_lo, exec_lo, s27
	s_xor_b32 s0, s28, -1
	s_and_not1_b32 s6, s23, exec_lo
	s_and_b32 s0, s0, exec_lo
	s_delay_alu instid0(SALU_CYCLE_1)
	s_or_b32 s23, s6, s0
.LBB749_235:
	s_or_b32 exec_lo, exec_lo, s26
	s_delay_alu instid0(SALU_CYCLE_1)
	s_or_not1_b32 s23, s23, exec_lo
.LBB749_236:
	s_or_b32 exec_lo, exec_lo, s25
	v_dual_cndmask_b32 v6, v24, v25, s23 :: v_dual_cndmask_b32 v7, v51, v50, s23
	s_mov_b32 s25, exec_lo
	s_delay_alu instid0(VALU_DEP_1) | instskip(NEXT) | instid1(VALU_DEP_1)
	v_add_nc_u32_e32 v6, 1, v6
	v_add_min_u32_e64 v7, v7, -1, v6
	s_delay_alu instid0(VALU_DEP_1)
	v_lshl_add_u32 v7, v7, 3, v46
	ds_load_b64 v[8:9], v7
	s_wait_dscnt 0x0
	v_dual_cndmask_b32 v7, v9, v13, s23 :: v_dual_cndmask_b32 v28, v6, v24, s23
	v_dual_cndmask_b32 v29, v25, v6, s23 :: v_dual_cndmask_b32 v6, v8, v12, s23
	;; [unrolled: 1-line block ×3, first 2 shown]
	s_delay_alu instid0(VALU_DEP_3)
	v_cmpx_lt_u32_e64 v28, v51
	s_cbranch_execz .LBB749_244
; %bb.237:
	s_delay_alu instid0(VALU_DEP_3) | instskip(SKIP_1) | instid1(SALU_CYCLE_1)
	v_cmp_lt_u32_e64 s24, v29, v50
	s_xor_b32 s0, s5, -1
	s_and_b32 s0, s24, s0
	s_delay_alu instid0(SALU_CYCLE_1)
	s_and_saveexec_b32 s26, s0
	s_cbranch_execz .LBB749_243
; %bb.238:
	v_mul_u64_e32 v[8:9], s[12:13], v[6:7]
	v_mul_u64_e32 v[26:27], s[12:13], v[24:25]
	s_mov_b32 s27, 0
	s_mov_b64 s[6:7], s[12:13]
                                        ; implicit-def: $sgpr28
                                        ; implicit-def: $sgpr29
                                        ; implicit-def: $sgpr30
                                        ; implicit-def: $sgpr31
	s_delay_alu instid0(VALU_DEP_2) | instskip(NEXT) | instid1(VALU_DEP_2)
	v_lshl_add_u64 v[8:9], v[8:9], 3, s[14:15]
	v_lshl_add_u64 v[26:27], v[26:27], 3, s[14:15]
	s_branch .LBB749_240
.LBB749_239:                            ;   in Loop: Header=BB749_240 Depth=1
	s_or_b32 exec_lo, exec_lo, s0
	s_delay_alu instid0(SALU_CYCLE_1) | instskip(NEXT) | instid1(SALU_CYCLE_1)
	s_and_b32 s0, exec_lo, s29
	s_or_b32 s27, s0, s27
	s_and_not1_b32 s0, s31, exec_lo
	s_and_b32 s31, s33, exec_lo
	s_and_not1_b32 s28, s28, exec_lo
	s_and_b32 s33, s30, exec_lo
	s_or_b32 s31, s0, s31
	s_or_b32 s28, s28, s33
	s_and_not1_b32 exec_lo, exec_lo, s27
	s_cbranch_execz .LBB749_242
.LBB749_240:                            ; =>This Inner Loop Header: Depth=1
	global_load_b64 v[30:31], v[8:9], off
	global_load_b64 v[32:33], v[26:27], off
	s_and_not1_b32 s30, s30, exec_lo
	s_or_b32 s29, s29, exec_lo
	s_wait_loadcnt 0x0
	v_cmp_ngt_f64_e32 vcc_lo, v[30:31], v[32:33]
	v_cmp_lt_f64_e64 s0, v[30:31], v[32:33]
	s_and_b32 s33, vcc_lo, s31
	s_xor_b32 s35, s0, vcc_lo
	s_or_b32 s33, s0, s33
	s_delay_alu instid0(SALU_CYCLE_1) | instskip(NEXT) | instid1(SALU_CYCLE_1)
	s_and_b32 s34, s33, exec_lo
	s_or_b32 s30, s30, s34
	s_and_saveexec_b32 s0, s35
	s_cbranch_execz .LBB749_239
; %bb.241:                              ;   in Loop: Header=BB749_240 Depth=1
	s_add_nc_u64 s[6:7], s[6:7], -1
	v_add_nc_u64_e32 v[8:9], 8, v[8:9]
	s_cmp_eq_u64 s[6:7], 0
	v_add_nc_u64_e32 v[26:27], 8, v[26:27]
	s_cselect_b32 s31, -1, 0
	s_and_not1_b32 s29, s29, exec_lo
	s_and_b32 s31, s31, exec_lo
	s_and_not1_b32 s30, s30, exec_lo
	s_or_b32 s29, s29, s31
                                        ; implicit-def: $sgpr31
	s_branch .LBB749_239
.LBB749_242:
	s_or_b32 exec_lo, exec_lo, s27
	s_xor_b32 s0, s28, -1
	s_and_not1_b32 s6, s24, exec_lo
	s_and_b32 s0, s0, exec_lo
	s_delay_alu instid0(SALU_CYCLE_1)
	s_or_b32 s24, s6, s0
.LBB749_243:
	s_or_b32 exec_lo, exec_lo, s26
	s_delay_alu instid0(SALU_CYCLE_1)
	s_or_not1_b32 s24, s24, exec_lo
.LBB749_244:
	s_or_b32 exec_lo, exec_lo, s25
	v_dual_cndmask_b32 v8, v28, v29, s24 :: v_dual_cndmask_b32 v9, v51, v50, s24
	s_mov_b32 s25, -1
	s_mov_b32 s26, -1
	s_mov_b32 s27, exec_lo
	s_delay_alu instid0(VALU_DEP_1) | instskip(NEXT) | instid1(VALU_DEP_1)
	v_add_nc_u32_e32 v8, 1, v8
	v_add_min_u32_e64 v9, v9, -1, v8
	s_delay_alu instid0(VALU_DEP_1)
	v_lshl_add_u32 v9, v9, 3, v46
	ds_load_b64 v[26:27], v9
	s_wait_dscnt 0x0
	v_dual_cndmask_b32 v9, v27, v7, s24 :: v_dual_cndmask_b32 v32, v8, v28, s24
	v_dual_cndmask_b32 v33, v29, v8, s24 :: v_dual_cndmask_b32 v8, v26, v6, s24
	;; [unrolled: 1-line block ×3, first 2 shown]
	s_delay_alu instid0(VALU_DEP_3)
	v_cmpx_lt_u32_e64 v32, v51
	s_cbranch_execz .LBB749_252
; %bb.245:
	s_delay_alu instid0(VALU_DEP_3) | instskip(SKIP_1) | instid1(SALU_CYCLE_1)
	v_cmp_lt_u32_e64 s26, v33, v50
	s_xor_b32 s0, s5, -1
	s_and_b32 s0, s26, s0
	s_delay_alu instid0(SALU_CYCLE_1)
	s_and_saveexec_b32 s28, s0
	s_cbranch_execz .LBB749_251
; %bb.246:
	v_mul_u64_e32 v[28:29], s[12:13], v[8:9]
	v_mul_u64_e32 v[30:31], s[12:13], v[26:27]
	s_mov_b32 s29, 0
	s_mov_b64 s[6:7], s[12:13]
                                        ; implicit-def: $sgpr30
                                        ; implicit-def: $sgpr31
                                        ; implicit-def: $sgpr33
                                        ; implicit-def: $sgpr34
	s_delay_alu instid0(VALU_DEP_2) | instskip(NEXT) | instid1(VALU_DEP_2)
	v_lshl_add_u64 v[28:29], v[28:29], 3, s[14:15]
	v_lshl_add_u64 v[30:31], v[30:31], 3, s[14:15]
	s_branch .LBB749_248
.LBB749_247:                            ;   in Loop: Header=BB749_248 Depth=1
	s_or_b32 exec_lo, exec_lo, s0
	s_delay_alu instid0(SALU_CYCLE_1) | instskip(NEXT) | instid1(SALU_CYCLE_1)
	s_and_b32 s0, exec_lo, s31
	s_or_b32 s29, s0, s29
	s_and_not1_b32 s0, s34, exec_lo
	s_and_b32 s34, s35, exec_lo
	s_and_not1_b32 s30, s30, exec_lo
	s_and_b32 s35, s33, exec_lo
	s_or_b32 s34, s0, s34
	s_or_b32 s30, s30, s35
	s_and_not1_b32 exec_lo, exec_lo, s29
	s_cbranch_execz .LBB749_250
.LBB749_248:                            ; =>This Inner Loop Header: Depth=1
	global_load_b64 v[34:35], v[28:29], off
	global_load_b64 v[52:53], v[30:31], off
	s_and_not1_b32 s33, s33, exec_lo
	s_or_b32 s31, s31, exec_lo
	s_wait_loadcnt 0x0
	v_cmp_ngt_f64_e32 vcc_lo, v[34:35], v[52:53]
	v_cmp_lt_f64_e64 s0, v[34:35], v[52:53]
	s_and_b32 s35, vcc_lo, s34
	s_xor_b32 s37, s0, vcc_lo
	s_or_b32 s35, s0, s35
	s_delay_alu instid0(SALU_CYCLE_1) | instskip(NEXT) | instid1(SALU_CYCLE_1)
	s_and_b32 s36, s35, exec_lo
	s_or_b32 s33, s33, s36
	s_and_saveexec_b32 s0, s37
	s_cbranch_execz .LBB749_247
; %bb.249:                              ;   in Loop: Header=BB749_248 Depth=1
	s_add_nc_u64 s[6:7], s[6:7], -1
	v_add_nc_u64_e32 v[28:29], 8, v[28:29]
	s_cmp_eq_u64 s[6:7], 0
	v_add_nc_u64_e32 v[30:31], 8, v[30:31]
	s_cselect_b32 s34, -1, 0
	s_and_not1_b32 s31, s31, exec_lo
	s_and_b32 s34, s34, exec_lo
	s_and_not1_b32 s33, s33, exec_lo
	s_or_b32 s31, s31, s34
                                        ; implicit-def: $sgpr34
	s_branch .LBB749_247
.LBB749_250:
	s_or_b32 exec_lo, exec_lo, s29
	s_xor_b32 s0, s30, -1
	s_and_not1_b32 s6, s26, exec_lo
	s_and_b32 s0, s0, exec_lo
	s_delay_alu instid0(SALU_CYCLE_1)
	s_or_b32 s26, s6, s0
.LBB749_251:
	s_or_b32 exec_lo, exec_lo, s28
	s_delay_alu instid0(SALU_CYCLE_1)
	s_or_not1_b32 s26, s26, exec_lo
.LBB749_252:
	s_or_b32 exec_lo, exec_lo, s27
	v_dual_cndmask_b32 v28, v32, v33, s26 :: v_dual_cndmask_b32 v29, v51, v50, s26
	s_mov_b32 s27, exec_lo
	s_delay_alu instid0(VALU_DEP_1) | instskip(NEXT) | instid1(VALU_DEP_1)
	v_add_nc_u32_e32 v28, 1, v28
	v_add_min_u32_e64 v29, v29, -1, v28
	s_delay_alu instid0(VALU_DEP_1)
	v_lshl_add_u32 v29, v29, 3, v46
	ds_load_b64 v[30:31], v29
	s_wait_dscnt 0x0
	v_dual_cndmask_b32 v29, v31, v9, s26 :: v_dual_cndmask_b32 v53, v28, v32, s26
	v_dual_cndmask_b32 v31, v27, v31, s26 :: v_dual_cndmask_b32 v52, v33, v28, s26
	v_cndmask_b32_e64 v28, v30, v8, s26
	v_cndmask_b32_e64 v30, v26, v30, s26
	s_delay_alu instid0(VALU_DEP_4)
	v_cmpx_lt_u32_e64 v53, v51
	s_cbranch_execz .LBB749_260
; %bb.253:
	v_cmp_lt_u32_e64 s25, v52, v50
	s_xor_b32 s0, s5, -1
	s_delay_alu instid0(SALU_CYCLE_1) | instskip(NEXT) | instid1(SALU_CYCLE_1)
	s_and_b32 s0, s25, s0
	s_and_saveexec_b32 s28, s0
	s_cbranch_execz .LBB749_259
; %bb.254:
	v_mul_u64_e32 v[32:33], s[12:13], v[28:29]
	v_mul_u64_e32 v[34:35], s[12:13], v[30:31]
	s_mov_b32 s29, 0
	s_mov_b64 s[6:7], s[12:13]
                                        ; implicit-def: $sgpr30
                                        ; implicit-def: $sgpr31
                                        ; implicit-def: $sgpr33
                                        ; implicit-def: $sgpr34
	s_delay_alu instid0(VALU_DEP_2) | instskip(NEXT) | instid1(VALU_DEP_2)
	v_lshl_add_u64 v[32:33], v[32:33], 3, s[14:15]
	v_lshl_add_u64 v[34:35], v[34:35], 3, s[14:15]
	s_branch .LBB749_256
.LBB749_255:                            ;   in Loop: Header=BB749_256 Depth=1
	s_or_b32 exec_lo, exec_lo, s0
	s_delay_alu instid0(SALU_CYCLE_1) | instskip(NEXT) | instid1(SALU_CYCLE_1)
	s_and_b32 s0, exec_lo, s31
	s_or_b32 s29, s0, s29
	s_and_not1_b32 s0, s34, exec_lo
	s_and_b32 s34, s35, exec_lo
	s_and_not1_b32 s30, s30, exec_lo
	s_and_b32 s35, s33, exec_lo
	s_or_b32 s34, s0, s34
	s_or_b32 s30, s30, s35
	s_and_not1_b32 exec_lo, exec_lo, s29
	s_cbranch_execz .LBB749_258
.LBB749_256:                            ; =>This Inner Loop Header: Depth=1
	global_load_b64 v[54:55], v[32:33], off
	global_load_b64 v[56:57], v[34:35], off
	s_and_not1_b32 s33, s33, exec_lo
	s_or_b32 s31, s31, exec_lo
	s_wait_loadcnt 0x0
	v_cmp_ngt_f64_e32 vcc_lo, v[54:55], v[56:57]
	v_cmp_lt_f64_e64 s0, v[54:55], v[56:57]
	s_and_b32 s35, vcc_lo, s34
	s_xor_b32 s37, s0, vcc_lo
	s_or_b32 s35, s0, s35
	s_delay_alu instid0(SALU_CYCLE_1) | instskip(NEXT) | instid1(SALU_CYCLE_1)
	s_and_b32 s36, s35, exec_lo
	s_or_b32 s33, s33, s36
	s_and_saveexec_b32 s0, s37
	s_cbranch_execz .LBB749_255
; %bb.257:                              ;   in Loop: Header=BB749_256 Depth=1
	s_add_nc_u64 s[6:7], s[6:7], -1
	v_add_nc_u64_e32 v[32:33], 8, v[32:33]
	s_cmp_eq_u64 s[6:7], 0
	v_add_nc_u64_e32 v[34:35], 8, v[34:35]
	s_cselect_b32 s34, -1, 0
	s_and_not1_b32 s31, s31, exec_lo
	s_and_b32 s34, s34, exec_lo
	s_and_not1_b32 s33, s33, exec_lo
	s_or_b32 s31, s31, s34
                                        ; implicit-def: $sgpr34
	s_branch .LBB749_255
.LBB749_258:
	s_or_b32 exec_lo, exec_lo, s29
	s_xor_b32 s0, s30, -1
	s_and_not1_b32 s6, s25, exec_lo
	s_and_b32 s0, s0, exec_lo
	s_delay_alu instid0(SALU_CYCLE_1)
	s_or_b32 s25, s6, s0
.LBB749_259:
	s_or_b32 exec_lo, exec_lo, s28
	s_delay_alu instid0(SALU_CYCLE_1)
	s_or_not1_b32 s25, s25, exec_lo
.LBB749_260:
	s_or_b32 exec_lo, exec_lo, s27
	v_dual_cndmask_b32 v32, v53, v52, s25 :: v_dual_cndmask_b32 v33, v51, v50, s25
	v_dual_cndmask_b32 v8, v8, v26, s26 :: v_dual_cndmask_b32 v7, v7, v25, s24
	;; [unrolled: 1-line block ×3, first 2 shown]
	s_delay_alu instid0(VALU_DEP_3) | instskip(SKIP_2) | instid1(VALU_DEP_3)
	v_dual_add_nc_u32 v34, 1, v32 :: v_dual_cndmask_b32 v9, v9, v27, s26
	v_dual_cndmask_b32 v12, v12, v22, s23 :: v_dual_cndmask_b32 v11, v11, v21, s22
	v_dual_cndmask_b32 v10, v10, v20, s22 :: v_dual_cndmask_b32 v17, v15, v17, s21
	v_add_min_u32_e64 v32, v33, -1, v34
	v_dual_cndmask_b32 v16, v14, v16, s21 :: v_dual_cndmask_b32 v15, v5, v3, s1
	v_dual_cndmask_b32 v14, v4, v2, s1 :: v_dual_cndmask_b32 v20, v34, v53, s25
	s_delay_alu instid0(VALU_DEP_3)
	v_lshl_add_u32 v32, v32, 3, v46
	v_dual_cndmask_b32 v3, v29, v31, s25 :: v_dual_cndmask_b32 v2, v28, v30, s25
	s_mov_b32 s1, exec_lo
	ds_load_b64 v[32:33], v32
	s_wait_dscnt 0x0
	v_dual_cndmask_b32 v5, v31, v33, s25 :: v_dual_cndmask_b32 v4, v30, v32, s25
	v_cmpx_lt_u32_e64 v20, v51
	s_cbranch_execz .LBB749_268
; %bb.261:
	v_dual_cndmask_b32 v22, v52, v34, s25 :: v_dual_cndmask_b32 v21, v33, v29, s25
	s_delay_alu instid0(VALU_DEP_1) | instskip(NEXT) | instid1(VALU_DEP_2)
	v_cmp_ge_u32_e32 vcc_lo, v22, v50
	v_dual_cndmask_b32 v20, v32, v28, s25 :: v_dual_cndmask_b32 v23, v5, v21, vcc_lo
	s_delay_alu instid0(VALU_DEP_1) | instskip(SKIP_1) | instid1(SALU_CYCLE_1)
	v_cndmask_b32_e32 v22, v4, v20, vcc_lo
	s_nor_b32 s0, vcc_lo, s5
	s_and_saveexec_b32 s21, s0
	s_cbranch_execz .LBB749_267
; %bb.262:
	v_mul_u64_e32 v[22:23], s[12:13], v[20:21]
	v_mul_u64_e32 v[24:25], s[12:13], v[4:5]
	s_mov_b32 s22, 0
	s_mov_b64 s[6:7], s[12:13]
                                        ; implicit-def: $sgpr23
                                        ; implicit-def: $sgpr24
                                        ; implicit-def: $sgpr25
                                        ; implicit-def: $sgpr26
	s_delay_alu instid0(VALU_DEP_2) | instskip(NEXT) | instid1(VALU_DEP_2)
	v_lshl_add_u64 v[22:23], v[22:23], 3, s[14:15]
	v_lshl_add_u64 v[24:25], v[24:25], 3, s[14:15]
	s_branch .LBB749_264
.LBB749_263:                            ;   in Loop: Header=BB749_264 Depth=1
	s_or_b32 exec_lo, exec_lo, s0
	s_delay_alu instid0(SALU_CYCLE_1) | instskip(NEXT) | instid1(SALU_CYCLE_1)
	s_and_b32 s0, exec_lo, s24
	s_or_b32 s22, s0, s22
	s_and_not1_b32 s0, s26, exec_lo
	s_and_b32 s26, s27, exec_lo
	s_and_not1_b32 s23, s23, exec_lo
	s_and_b32 s27, s25, exec_lo
	s_or_b32 s26, s0, s26
	s_or_b32 s23, s23, s27
	s_and_not1_b32 exec_lo, exec_lo, s22
	s_cbranch_execz .LBB749_266
.LBB749_264:                            ; =>This Inner Loop Header: Depth=1
	global_load_b64 v[26:27], v[22:23], off
	global_load_b64 v[28:29], v[24:25], off
	s_and_not1_b32 s25, s25, exec_lo
	s_or_b32 s24, s24, exec_lo
	s_wait_loadcnt 0x0
	v_cmp_ngt_f64_e32 vcc_lo, v[26:27], v[28:29]
	v_cmp_lt_f64_e64 s0, v[26:27], v[28:29]
	s_and_b32 s27, vcc_lo, s26
	s_xor_b32 s29, s0, vcc_lo
	s_or_b32 s27, s0, s27
	s_delay_alu instid0(SALU_CYCLE_1) | instskip(NEXT) | instid1(SALU_CYCLE_1)
	s_and_b32 s28, s27, exec_lo
	s_or_b32 s25, s25, s28
	s_and_saveexec_b32 s0, s29
	s_cbranch_execz .LBB749_263
; %bb.265:                              ;   in Loop: Header=BB749_264 Depth=1
	s_add_nc_u64 s[6:7], s[6:7], -1
	v_add_nc_u64_e32 v[22:23], 8, v[22:23]
	s_cmp_eq_u64 s[6:7], 0
	v_add_nc_u64_e32 v[24:25], 8, v[24:25]
	s_cselect_b32 s26, -1, 0
	s_and_not1_b32 s24, s24, exec_lo
	s_and_b32 s26, s26, exec_lo
	s_and_not1_b32 s25, s25, exec_lo
	s_or_b32 s24, s24, s26
                                        ; implicit-def: $sgpr26
	s_branch .LBB749_263
.LBB749_266:
	s_or_b32 exec_lo, exec_lo, s22
	v_dual_cndmask_b32 v23, v5, v21, s23 :: v_dual_cndmask_b32 v22, v4, v20, s23
.LBB749_267:
	s_or_b32 exec_lo, exec_lo, s21
	s_delay_alu instid0(VALU_DEP_1)
	v_mov_b64_e32 v[4:5], v[22:23]
.LBB749_268:
	s_or_b32 exec_lo, exec_lo, s1
.LBB749_269:
	s_delay_alu instid0(SALU_CYCLE_1)
	s_or_b32 exec_lo, exec_lo, s20
	v_and_b32_e32 v26, 0xe0, v48
	s_mov_b32 s1, exec_lo
	; wave barrier
	ds_store_b128 v49, v[14:17]
	ds_store_b128 v49, v[10:13] offset:16
	v_or_b32_e32 v20, 16, v26
	v_lshl_add_u32 v25, v26, 3, v46
	ds_store_b128 v49, v[6:9] offset:32
	ds_store_b128 v49, v[2:5] offset:48
	; wave barrier
	v_min_u32_e32 v50, v47, v20
	v_and_b32_e32 v20, 24, v48
	s_delay_alu instid0(VALU_DEP_2) | instskip(NEXT) | instid1(VALU_DEP_2)
	v_add_min_u32_e64 v51, v50, 16, v47
	v_min_u32_e32 v27, v47, v20
	v_sub_nc_u32_e32 v21, v50, v26
	s_delay_alu instid0(VALU_DEP_3) | instskip(NEXT) | instid1(VALU_DEP_2)
	v_sub_nc_u32_e32 v20, v51, v50
	v_min_u32_e32 v28, v27, v21
	s_delay_alu instid0(VALU_DEP_2) | instskip(NEXT) | instid1(VALU_DEP_1)
	v_sub_nc_u32_e64 v24, v27, v20 clamp
	v_cmpx_lt_u32_e64 v24, v28
	s_cbranch_execz .LBB749_279
; %bb.270:
	v_dual_lshlrev_b32 v20, 3, v50 :: v_dual_lshlrev_b32 v21, 3, v27
	s_lshl_b64 s[6:7], s[12:13], 3
	s_mov_b32 s22, 0
	s_delay_alu instid0(VALU_DEP_1)
	v_add3_u32 v29, v46, v20, v21
	s_branch .LBB749_273
.LBB749_271:                            ;   in Loop: Header=BB749_273 Depth=1
	s_or_b32 exec_lo, exec_lo, s24
.LBB749_272:                            ;   in Loop: Header=BB749_273 Depth=1
	s_delay_alu instid0(VALU_DEP_1) | instskip(NEXT) | instid1(VALU_DEP_1)
	v_dual_add_nc_u32 v20, 1, v30 :: v_dual_cndmask_b32 v28, v28, v30, s23
	v_cndmask_b32_e64 v24, v20, v24, s23
	s_delay_alu instid0(VALU_DEP_1) | instskip(SKIP_1) | instid1(SALU_CYCLE_1)
	v_cmp_ge_u32_e32 vcc_lo, v24, v28
	s_or_b32 s22, vcc_lo, s22
	s_and_not1_b32 exec_lo, exec_lo, s22
	s_cbranch_execz .LBB749_278
.LBB749_273:                            ; =>This Loop Header: Depth=1
                                        ;     Child Loop BB749_276 Depth 2
	v_add_nc_u32_e32 v20, v28, v24
	v_cmp_ne_u32_e32 vcc_lo, 1, v45
	s_mov_b32 s23, 0
	s_delay_alu instid0(VALU_DEP_2)
	v_lshrrev_b32_e32 v30, 1, v20
	s_cbranch_vccnz .LBB749_272
; %bb.274:                              ;   in Loop: Header=BB749_273 Depth=1
	s_delay_alu instid0(VALU_DEP_1) | instskip(SKIP_3) | instid1(VALU_DEP_2)
	v_not_b32_e32 v20, v30
	v_lshl_add_u32 v21, v30, 3, v25
	s_mov_b32 s24, 0
	s_mov_b64 s[20:21], s[12:13]
                                        ; implicit-def: $sgpr23
                                        ; implicit-def: $sgpr25
                                        ; implicit-def: $sgpr26
                                        ; implicit-def: $sgpr27
	v_lshl_add_u32 v20, v20, 3, v29
	ds_load_b64 v[32:33], v20
	ds_load_b64 v[34:35], v21
	s_wait_dscnt 0x1
	v_mad_nc_u64_u32 v[20:21], s6, v32, s[14:15]
	s_wait_dscnt 0x0
	v_mad_nc_u64_u32 v[22:23], s6, v34, s[14:15]
	s_delay_alu instid0(VALU_DEP_2) | instskip(NEXT) | instid1(VALU_DEP_2)
	v_mad_u32 v21, s7, v32, v21
	v_mad_u32 v23, s7, v34, v23
	s_delay_alu instid0(VALU_DEP_2) | instskip(NEXT) | instid1(VALU_DEP_2)
	v_mad_u32 v21, s6, v33, v21
	v_mad_u32 v23, s6, v35, v23
	s_branch .LBB749_276
.LBB749_275:                            ;   in Loop: Header=BB749_276 Depth=2
	s_or_b32 exec_lo, exec_lo, s0
	s_delay_alu instid0(SALU_CYCLE_1) | instskip(NEXT) | instid1(SALU_CYCLE_1)
	s_and_b32 s0, exec_lo, s25
	s_or_b32 s24, s0, s24
	s_and_not1_b32 s0, s27, exec_lo
	s_and_b32 s27, s28, exec_lo
	s_and_not1_b32 s23, s23, exec_lo
	s_and_b32 s28, s26, exec_lo
	s_or_b32 s27, s0, s27
	s_or_b32 s23, s23, s28
	s_and_not1_b32 exec_lo, exec_lo, s24
	s_cbranch_execz .LBB749_271
.LBB749_276:                            ;   Parent Loop BB749_273 Depth=1
                                        ; =>  This Inner Loop Header: Depth=2
	global_load_b64 v[32:33], v[20:21], off
	global_load_b64 v[34:35], v[22:23], off
	s_and_not1_b32 s26, s26, exec_lo
	s_or_b32 s25, s25, exec_lo
	s_wait_loadcnt 0x0
	v_cmp_ngt_f64_e32 vcc_lo, v[32:33], v[34:35]
	v_cmp_lt_f64_e64 s0, v[32:33], v[34:35]
	s_and_b32 s28, vcc_lo, s27
	s_xor_b32 s30, s0, vcc_lo
	s_or_b32 s28, s0, s28
	s_delay_alu instid0(SALU_CYCLE_1) | instskip(NEXT) | instid1(SALU_CYCLE_1)
	s_and_b32 s29, s28, exec_lo
	s_or_b32 s26, s26, s29
	s_and_saveexec_b32 s0, s30
	s_cbranch_execz .LBB749_275
; %bb.277:                              ;   in Loop: Header=BB749_276 Depth=2
	s_add_nc_u64 s[20:21], s[20:21], -1
	v_add_nc_u64_e32 v[20:21], 8, v[20:21]
	s_cmp_eq_u64 s[20:21], 0
	v_add_nc_u64_e32 v[22:23], 8, v[22:23]
	s_cselect_b32 s27, -1, 0
	s_and_not1_b32 s25, s25, exec_lo
	s_and_b32 s27, s27, exec_lo
	s_and_not1_b32 s26, s26, exec_lo
	s_or_b32 s25, s25, s27
                                        ; implicit-def: $sgpr27
	s_branch .LBB749_275
.LBB749_278:
	s_or_b32 exec_lo, exec_lo, s22
.LBB749_279:
	s_delay_alu instid0(SALU_CYCLE_1) | instskip(SKIP_1) | instid1(VALU_DEP_1)
	s_or_b32 exec_lo, exec_lo, s1
	v_dual_add_nc_u32 v21, v50, v27 :: v_dual_add_nc_u32 v20, v24, v26
	v_sub_nc_u32_e32 v21, v21, v24
	s_delay_alu instid0(VALU_DEP_2) | instskip(NEXT) | instid1(VALU_DEP_2)
	v_cmp_le_u32_e32 vcc_lo, v20, v50
	v_cmp_le_u32_e64 s0, v21, v51
	s_or_b32 s0, vcc_lo, s0
	s_delay_alu instid0(SALU_CYCLE_1)
	s_and_saveexec_b32 s20, s0
	s_cbranch_execz .LBB749_347
; %bb.280:
	s_mov_b32 s1, exec_lo
	v_cmp_ge_u32_e32 vcc_lo, v20, v50
                                        ; implicit-def: $vgpr2_vgpr3
	v_cmpx_lt_u32_e64 v20, v50
; %bb.281:
	v_lshl_add_u32 v2, v24, 3, v25
	ds_load_b64 v[2:3], v2
; %bb.282:
	s_or_b32 exec_lo, exec_lo, s1
	v_cmp_ge_u32_e64 s0, v21, v51
	s_mov_b32 s6, exec_lo
                                        ; implicit-def: $vgpr4_vgpr5
	v_cmpx_lt_u32_e64 v21, v51
; %bb.283:
	v_lshl_add_u32 v4, v21, 3, v46
	ds_load_b64 v[4:5], v4
; %bb.284:
	s_or_b32 exec_lo, exec_lo, s6
	s_or_b32 s1, vcc_lo, s0
	s_xor_b32 s6, vcc_lo, -1
	s_nor_b32 s7, s1, s5
	s_or_b32 s1, s0, s6
	s_and_saveexec_b32 s21, s7
	s_cbranch_execz .LBB749_290
; %bb.285:
	s_wait_dscnt 0x0
	v_mul_u64_e32 v[6:7], s[12:13], v[4:5]
	v_mul_u64_e32 v[8:9], s[12:13], v[2:3]
	s_mov_b32 s22, 0
	s_mov_b64 s[6:7], s[12:13]
                                        ; implicit-def: $sgpr23
                                        ; implicit-def: $sgpr24
                                        ; implicit-def: $sgpr25
                                        ; implicit-def: $sgpr26
	s_delay_alu instid0(VALU_DEP_2) | instskip(NEXT) | instid1(VALU_DEP_2)
	v_lshl_add_u64 v[6:7], v[6:7], 3, s[14:15]
	v_lshl_add_u64 v[8:9], v[8:9], 3, s[14:15]
	s_branch .LBB749_287
.LBB749_286:                            ;   in Loop: Header=BB749_287 Depth=1
	s_or_b32 exec_lo, exec_lo, s0
	s_delay_alu instid0(SALU_CYCLE_1) | instskip(NEXT) | instid1(SALU_CYCLE_1)
	s_and_b32 s0, exec_lo, s24
	s_or_b32 s22, s0, s22
	s_and_not1_b32 s0, s26, exec_lo
	s_and_b32 s26, s27, exec_lo
	s_and_not1_b32 s23, s23, exec_lo
	s_and_b32 s27, s25, exec_lo
	s_or_b32 s26, s0, s26
	s_or_b32 s23, s23, s27
	s_and_not1_b32 exec_lo, exec_lo, s22
	s_cbranch_execz .LBB749_289
.LBB749_287:                            ; =>This Inner Loop Header: Depth=1
	global_load_b64 v[10:11], v[6:7], off
	global_load_b64 v[12:13], v[8:9], off
	s_and_not1_b32 s25, s25, exec_lo
	s_or_b32 s24, s24, exec_lo
	s_wait_loadcnt 0x0
	v_cmp_ngt_f64_e32 vcc_lo, v[10:11], v[12:13]
	v_cmp_lt_f64_e64 s0, v[10:11], v[12:13]
	s_and_b32 s27, vcc_lo, s26
	s_xor_b32 s29, s0, vcc_lo
	s_or_b32 s27, s0, s27
	s_delay_alu instid0(SALU_CYCLE_1) | instskip(NEXT) | instid1(SALU_CYCLE_1)
	s_and_b32 s28, s27, exec_lo
	s_or_b32 s25, s25, s28
	s_and_saveexec_b32 s0, s29
	s_cbranch_execz .LBB749_286
; %bb.288:                              ;   in Loop: Header=BB749_287 Depth=1
	s_add_nc_u64 s[6:7], s[6:7], -1
	v_add_nc_u64_e32 v[6:7], 8, v[6:7]
	s_cmp_eq_u64 s[6:7], 0
	v_add_nc_u64_e32 v[8:9], 8, v[8:9]
	s_cselect_b32 s26, -1, 0
	s_and_not1_b32 s24, s24, exec_lo
	s_and_b32 s26, s26, exec_lo
	s_and_not1_b32 s25, s25, exec_lo
	s_or_b32 s24, s24, s26
                                        ; implicit-def: $sgpr26
	s_branch .LBB749_286
.LBB749_289:
	s_or_b32 exec_lo, exec_lo, s22
	s_xor_b32 s0, s23, -1
	s_and_not1_b32 s1, s1, exec_lo
	s_and_b32 s0, s0, exec_lo
	s_delay_alu instid0(SALU_CYCLE_1)
	s_or_b32 s1, s1, s0
.LBB749_290:
	s_or_b32 exec_lo, exec_lo, s21
	v_dual_cndmask_b32 v6, v21, v20, s1 :: v_dual_cndmask_b32 v7, v51, v50, s1
	s_mov_b32 s22, -1
	s_mov_b32 s21, -1
	s_mov_b32 s23, exec_lo
	s_delay_alu instid0(VALU_DEP_1) | instskip(NEXT) | instid1(VALU_DEP_1)
	v_add_nc_u32_e32 v8, 1, v6
	v_add_min_u32_e64 v6, v7, -1, v8
	s_delay_alu instid0(VALU_DEP_1)
	v_lshl_add_u32 v6, v6, 3, v46
	ds_load_b64 v[6:7], v6
	s_wait_dscnt 0x0
	v_cndmask_b32_e64 v15, v7, v5, s1
	v_dual_cndmask_b32 v10, v8, v21, s1 :: v_dual_cndmask_b32 v14, v6, v4, s1
	v_dual_cndmask_b32 v11, v20, v8, s1 :: v_dual_cndmask_b32 v17, v3, v7, s1
	v_cndmask_b32_e64 v16, v2, v6, s1
	s_delay_alu instid0(VALU_DEP_3)
	v_cmpx_lt_u32_e64 v10, v51
	s_cbranch_execz .LBB749_298
; %bb.291:
	s_delay_alu instid0(VALU_DEP_3) | instskip(SKIP_1) | instid1(SALU_CYCLE_1)
	v_cmp_lt_u32_e64 s21, v11, v50
	s_xor_b32 s0, s5, -1
	s_and_b32 s0, s21, s0
	s_delay_alu instid0(SALU_CYCLE_1)
	s_and_saveexec_b32 s24, s0
	s_cbranch_execz .LBB749_297
; %bb.292:
	v_mul_u64_e32 v[6:7], s[12:13], v[14:15]
	v_mul_u64_e32 v[8:9], s[12:13], v[16:17]
	s_mov_b32 s25, 0
	s_mov_b64 s[6:7], s[12:13]
                                        ; implicit-def: $sgpr26
                                        ; implicit-def: $sgpr27
                                        ; implicit-def: $sgpr28
                                        ; implicit-def: $sgpr29
	s_delay_alu instid0(VALU_DEP_2) | instskip(NEXT) | instid1(VALU_DEP_2)
	v_lshl_add_u64 v[6:7], v[6:7], 3, s[14:15]
	v_lshl_add_u64 v[8:9], v[8:9], 3, s[14:15]
	s_branch .LBB749_294
.LBB749_293:                            ;   in Loop: Header=BB749_294 Depth=1
	s_or_b32 exec_lo, exec_lo, s0
	s_delay_alu instid0(SALU_CYCLE_1) | instskip(NEXT) | instid1(SALU_CYCLE_1)
	s_and_b32 s0, exec_lo, s27
	s_or_b32 s25, s0, s25
	s_and_not1_b32 s0, s29, exec_lo
	s_and_b32 s29, s30, exec_lo
	s_and_not1_b32 s26, s26, exec_lo
	s_and_b32 s30, s28, exec_lo
	s_or_b32 s29, s0, s29
	s_or_b32 s26, s26, s30
	s_and_not1_b32 exec_lo, exec_lo, s25
	s_cbranch_execz .LBB749_296
.LBB749_294:                            ; =>This Inner Loop Header: Depth=1
	global_load_b64 v[12:13], v[6:7], off
	global_load_b64 v[20:21], v[8:9], off
	s_and_not1_b32 s28, s28, exec_lo
	s_or_b32 s27, s27, exec_lo
	s_wait_loadcnt 0x0
	v_cmp_ngt_f64_e32 vcc_lo, v[12:13], v[20:21]
	v_cmp_lt_f64_e64 s0, v[12:13], v[20:21]
	s_and_b32 s30, vcc_lo, s29
	s_xor_b32 s33, s0, vcc_lo
	s_or_b32 s30, s0, s30
	s_delay_alu instid0(SALU_CYCLE_1) | instskip(NEXT) | instid1(SALU_CYCLE_1)
	s_and_b32 s31, s30, exec_lo
	s_or_b32 s28, s28, s31
	s_and_saveexec_b32 s0, s33
	s_cbranch_execz .LBB749_293
; %bb.295:                              ;   in Loop: Header=BB749_294 Depth=1
	s_add_nc_u64 s[6:7], s[6:7], -1
	v_add_nc_u64_e32 v[6:7], 8, v[6:7]
	s_cmp_eq_u64 s[6:7], 0
	v_add_nc_u64_e32 v[8:9], 8, v[8:9]
	s_cselect_b32 s29, -1, 0
	s_and_not1_b32 s27, s27, exec_lo
	s_and_b32 s29, s29, exec_lo
	s_and_not1_b32 s28, s28, exec_lo
	s_or_b32 s27, s27, s29
                                        ; implicit-def: $sgpr29
	s_branch .LBB749_293
.LBB749_296:
	s_or_b32 exec_lo, exec_lo, s25
	s_xor_b32 s0, s26, -1
	s_and_not1_b32 s6, s21, exec_lo
	s_and_b32 s0, s0, exec_lo
	s_delay_alu instid0(SALU_CYCLE_1)
	s_or_b32 s21, s6, s0
.LBB749_297:
	s_or_b32 exec_lo, exec_lo, s24
	s_delay_alu instid0(SALU_CYCLE_1)
	s_or_not1_b32 s21, s21, exec_lo
.LBB749_298:
	s_or_b32 exec_lo, exec_lo, s23
	v_dual_cndmask_b32 v6, v10, v11, s21 :: v_dual_cndmask_b32 v7, v51, v50, s21
	s_mov_b32 s23, exec_lo
	s_delay_alu instid0(VALU_DEP_1) | instskip(NEXT) | instid1(VALU_DEP_1)
	v_add_nc_u32_e32 v8, 1, v6
	v_add_min_u32_e64 v6, v7, -1, v8
	s_delay_alu instid0(VALU_DEP_1)
	v_lshl_add_u32 v6, v6, 3, v46
	ds_load_b64 v[6:7], v6
	v_cndmask_b32_e64 v13, v11, v8, s21
	s_wait_dscnt 0x0
	v_dual_cndmask_b32 v11, v7, v15, s21 :: v_dual_cndmask_b32 v12, v8, v10, s21
	v_dual_cndmask_b32 v21, v17, v7, s21 :: v_dual_cndmask_b32 v10, v6, v14, s21
	v_cndmask_b32_e64 v20, v16, v6, s21
	s_delay_alu instid0(VALU_DEP_3)
	v_cmpx_lt_u32_e64 v12, v51
	s_cbranch_execz .LBB749_306
; %bb.299:
	v_cmp_lt_u32_e64 s22, v13, v50
	s_xor_b32 s0, s5, -1
	s_delay_alu instid0(SALU_CYCLE_1) | instskip(NEXT) | instid1(SALU_CYCLE_1)
	s_and_b32 s0, s22, s0
	s_and_saveexec_b32 s24, s0
	s_cbranch_execz .LBB749_305
; %bb.300:
	v_mul_u64_e32 v[6:7], s[12:13], v[10:11]
	v_mul_u64_e32 v[8:9], s[12:13], v[20:21]
	s_mov_b32 s25, 0
	s_mov_b64 s[6:7], s[12:13]
                                        ; implicit-def: $sgpr26
                                        ; implicit-def: $sgpr27
                                        ; implicit-def: $sgpr28
                                        ; implicit-def: $sgpr29
	s_delay_alu instid0(VALU_DEP_2) | instskip(NEXT) | instid1(VALU_DEP_2)
	v_lshl_add_u64 v[6:7], v[6:7], 3, s[14:15]
	v_lshl_add_u64 v[8:9], v[8:9], 3, s[14:15]
	s_branch .LBB749_302
.LBB749_301:                            ;   in Loop: Header=BB749_302 Depth=1
	s_or_b32 exec_lo, exec_lo, s0
	s_delay_alu instid0(SALU_CYCLE_1) | instskip(NEXT) | instid1(SALU_CYCLE_1)
	s_and_b32 s0, exec_lo, s27
	s_or_b32 s25, s0, s25
	s_and_not1_b32 s0, s29, exec_lo
	s_and_b32 s29, s30, exec_lo
	s_and_not1_b32 s26, s26, exec_lo
	s_and_b32 s30, s28, exec_lo
	s_or_b32 s29, s0, s29
	s_or_b32 s26, s26, s30
	s_and_not1_b32 exec_lo, exec_lo, s25
	s_cbranch_execz .LBB749_304
.LBB749_302:                            ; =>This Inner Loop Header: Depth=1
	global_load_b64 v[22:23], v[6:7], off
	global_load_b64 v[24:25], v[8:9], off
	s_and_not1_b32 s28, s28, exec_lo
	s_or_b32 s27, s27, exec_lo
	s_wait_loadcnt 0x0
	v_cmp_ngt_f64_e32 vcc_lo, v[22:23], v[24:25]
	v_cmp_lt_f64_e64 s0, v[22:23], v[24:25]
	s_and_b32 s30, vcc_lo, s29
	s_xor_b32 s33, s0, vcc_lo
	s_or_b32 s30, s0, s30
	s_delay_alu instid0(SALU_CYCLE_1) | instskip(NEXT) | instid1(SALU_CYCLE_1)
	s_and_b32 s31, s30, exec_lo
	s_or_b32 s28, s28, s31
	s_and_saveexec_b32 s0, s33
	s_cbranch_execz .LBB749_301
; %bb.303:                              ;   in Loop: Header=BB749_302 Depth=1
	s_add_nc_u64 s[6:7], s[6:7], -1
	v_add_nc_u64_e32 v[6:7], 8, v[6:7]
	s_cmp_eq_u64 s[6:7], 0
	v_add_nc_u64_e32 v[8:9], 8, v[8:9]
	s_cselect_b32 s29, -1, 0
	s_and_not1_b32 s27, s27, exec_lo
	s_and_b32 s29, s29, exec_lo
	s_and_not1_b32 s28, s28, exec_lo
	s_or_b32 s27, s27, s29
                                        ; implicit-def: $sgpr29
	s_branch .LBB749_301
.LBB749_304:
	s_or_b32 exec_lo, exec_lo, s25
	s_xor_b32 s0, s26, -1
	s_and_not1_b32 s6, s22, exec_lo
	s_and_b32 s0, s0, exec_lo
	s_delay_alu instid0(SALU_CYCLE_1)
	s_or_b32 s22, s6, s0
.LBB749_305:
	s_or_b32 exec_lo, exec_lo, s24
	s_delay_alu instid0(SALU_CYCLE_1)
	s_or_not1_b32 s22, s22, exec_lo
.LBB749_306:
	s_or_b32 exec_lo, exec_lo, s23
	v_dual_cndmask_b32 v6, v12, v13, s22 :: v_dual_cndmask_b32 v7, v51, v50, s22
	s_mov_b32 s24, -1
	s_mov_b32 s23, -1
	s_mov_b32 s25, exec_lo
	s_delay_alu instid0(VALU_DEP_1) | instskip(NEXT) | instid1(VALU_DEP_1)
	v_add_nc_u32_e32 v8, 1, v6
	v_add_min_u32_e64 v6, v7, -1, v8
	s_delay_alu instid0(VALU_DEP_1)
	v_lshl_add_u32 v6, v6, 3, v46
	ds_load_b64 v[6:7], v6
	s_wait_dscnt 0x0
	v_dual_cndmask_b32 v25, v13, v8, s22 :: v_dual_cndmask_b32 v22, v20, v6, s22
	v_dual_cndmask_b32 v13, v7, v11, s22 :: v_dual_cndmask_b32 v24, v8, v12, s22
	;; [unrolled: 1-line block ×3, first 2 shown]
	s_delay_alu instid0(VALU_DEP_2)
	v_cmpx_lt_u32_e64 v24, v51
	s_cbranch_execz .LBB749_314
; %bb.307:
	v_cmp_lt_u32_e64 s23, v25, v50
	s_xor_b32 s0, s5, -1
	s_delay_alu instid0(SALU_CYCLE_1) | instskip(NEXT) | instid1(SALU_CYCLE_1)
	s_and_b32 s0, s23, s0
	s_and_saveexec_b32 s26, s0
	s_cbranch_execz .LBB749_313
; %bb.308:
	v_mul_u64_e32 v[6:7], s[12:13], v[12:13]
	v_mul_u64_e32 v[8:9], s[12:13], v[22:23]
	s_mov_b32 s27, 0
	s_mov_b64 s[6:7], s[12:13]
                                        ; implicit-def: $sgpr28
                                        ; implicit-def: $sgpr29
                                        ; implicit-def: $sgpr30
                                        ; implicit-def: $sgpr31
	s_delay_alu instid0(VALU_DEP_2) | instskip(NEXT) | instid1(VALU_DEP_2)
	v_lshl_add_u64 v[6:7], v[6:7], 3, s[14:15]
	v_lshl_add_u64 v[8:9], v[8:9], 3, s[14:15]
	s_branch .LBB749_310
.LBB749_309:                            ;   in Loop: Header=BB749_310 Depth=1
	s_or_b32 exec_lo, exec_lo, s0
	s_delay_alu instid0(SALU_CYCLE_1) | instskip(NEXT) | instid1(SALU_CYCLE_1)
	s_and_b32 s0, exec_lo, s29
	s_or_b32 s27, s0, s27
	s_and_not1_b32 s0, s31, exec_lo
	s_and_b32 s31, s33, exec_lo
	s_and_not1_b32 s28, s28, exec_lo
	s_and_b32 s33, s30, exec_lo
	s_or_b32 s31, s0, s31
	s_or_b32 s28, s28, s33
	s_and_not1_b32 exec_lo, exec_lo, s27
	s_cbranch_execz .LBB749_312
.LBB749_310:                            ; =>This Inner Loop Header: Depth=1
	global_load_b64 v[26:27], v[6:7], off
	global_load_b64 v[28:29], v[8:9], off
	s_and_not1_b32 s30, s30, exec_lo
	s_or_b32 s29, s29, exec_lo
	s_wait_loadcnt 0x0
	v_cmp_ngt_f64_e32 vcc_lo, v[26:27], v[28:29]
	v_cmp_lt_f64_e64 s0, v[26:27], v[28:29]
	s_and_b32 s33, vcc_lo, s31
	s_xor_b32 s35, s0, vcc_lo
	s_or_b32 s33, s0, s33
	s_delay_alu instid0(SALU_CYCLE_1) | instskip(NEXT) | instid1(SALU_CYCLE_1)
	s_and_b32 s34, s33, exec_lo
	s_or_b32 s30, s30, s34
	s_and_saveexec_b32 s0, s35
	s_cbranch_execz .LBB749_309
; %bb.311:                              ;   in Loop: Header=BB749_310 Depth=1
	s_add_nc_u64 s[6:7], s[6:7], -1
	v_add_nc_u64_e32 v[6:7], 8, v[6:7]
	s_cmp_eq_u64 s[6:7], 0
	v_add_nc_u64_e32 v[8:9], 8, v[8:9]
	s_cselect_b32 s31, -1, 0
	s_and_not1_b32 s29, s29, exec_lo
	s_and_b32 s31, s31, exec_lo
	s_and_not1_b32 s30, s30, exec_lo
	s_or_b32 s29, s29, s31
                                        ; implicit-def: $sgpr31
	s_branch .LBB749_309
.LBB749_312:
	s_or_b32 exec_lo, exec_lo, s27
	s_xor_b32 s0, s28, -1
	s_and_not1_b32 s6, s23, exec_lo
	s_and_b32 s0, s0, exec_lo
	s_delay_alu instid0(SALU_CYCLE_1)
	s_or_b32 s23, s6, s0
.LBB749_313:
	s_or_b32 exec_lo, exec_lo, s26
	s_delay_alu instid0(SALU_CYCLE_1)
	s_or_not1_b32 s23, s23, exec_lo
.LBB749_314:
	s_or_b32 exec_lo, exec_lo, s25
	v_dual_cndmask_b32 v6, v24, v25, s23 :: v_dual_cndmask_b32 v7, v51, v50, s23
	s_mov_b32 s25, exec_lo
	s_delay_alu instid0(VALU_DEP_1) | instskip(NEXT) | instid1(VALU_DEP_1)
	v_add_nc_u32_e32 v6, 1, v6
	v_add_min_u32_e64 v7, v7, -1, v6
	s_delay_alu instid0(VALU_DEP_1)
	v_lshl_add_u32 v7, v7, 3, v46
	ds_load_b64 v[8:9], v7
	s_wait_dscnt 0x0
	v_dual_cndmask_b32 v7, v9, v13, s23 :: v_dual_cndmask_b32 v28, v6, v24, s23
	v_dual_cndmask_b32 v29, v25, v6, s23 :: v_dual_cndmask_b32 v6, v8, v12, s23
	;; [unrolled: 1-line block ×3, first 2 shown]
	s_delay_alu instid0(VALU_DEP_3)
	v_cmpx_lt_u32_e64 v28, v51
	s_cbranch_execz .LBB749_322
; %bb.315:
	s_delay_alu instid0(VALU_DEP_3) | instskip(SKIP_1) | instid1(SALU_CYCLE_1)
	v_cmp_lt_u32_e64 s24, v29, v50
	s_xor_b32 s0, s5, -1
	s_and_b32 s0, s24, s0
	s_delay_alu instid0(SALU_CYCLE_1)
	s_and_saveexec_b32 s26, s0
	s_cbranch_execz .LBB749_321
; %bb.316:
	v_mul_u64_e32 v[8:9], s[12:13], v[6:7]
	v_mul_u64_e32 v[26:27], s[12:13], v[24:25]
	s_mov_b32 s27, 0
	s_mov_b64 s[6:7], s[12:13]
                                        ; implicit-def: $sgpr28
                                        ; implicit-def: $sgpr29
                                        ; implicit-def: $sgpr30
                                        ; implicit-def: $sgpr31
	s_delay_alu instid0(VALU_DEP_2) | instskip(NEXT) | instid1(VALU_DEP_2)
	v_lshl_add_u64 v[8:9], v[8:9], 3, s[14:15]
	v_lshl_add_u64 v[26:27], v[26:27], 3, s[14:15]
	s_branch .LBB749_318
.LBB749_317:                            ;   in Loop: Header=BB749_318 Depth=1
	s_or_b32 exec_lo, exec_lo, s0
	s_delay_alu instid0(SALU_CYCLE_1) | instskip(NEXT) | instid1(SALU_CYCLE_1)
	s_and_b32 s0, exec_lo, s29
	s_or_b32 s27, s0, s27
	s_and_not1_b32 s0, s31, exec_lo
	s_and_b32 s31, s33, exec_lo
	s_and_not1_b32 s28, s28, exec_lo
	s_and_b32 s33, s30, exec_lo
	s_or_b32 s31, s0, s31
	s_or_b32 s28, s28, s33
	s_and_not1_b32 exec_lo, exec_lo, s27
	s_cbranch_execz .LBB749_320
.LBB749_318:                            ; =>This Inner Loop Header: Depth=1
	global_load_b64 v[30:31], v[8:9], off
	global_load_b64 v[32:33], v[26:27], off
	s_and_not1_b32 s30, s30, exec_lo
	s_or_b32 s29, s29, exec_lo
	s_wait_loadcnt 0x0
	v_cmp_ngt_f64_e32 vcc_lo, v[30:31], v[32:33]
	v_cmp_lt_f64_e64 s0, v[30:31], v[32:33]
	s_and_b32 s33, vcc_lo, s31
	s_xor_b32 s35, s0, vcc_lo
	s_or_b32 s33, s0, s33
	s_delay_alu instid0(SALU_CYCLE_1) | instskip(NEXT) | instid1(SALU_CYCLE_1)
	s_and_b32 s34, s33, exec_lo
	s_or_b32 s30, s30, s34
	s_and_saveexec_b32 s0, s35
	s_cbranch_execz .LBB749_317
; %bb.319:                              ;   in Loop: Header=BB749_318 Depth=1
	s_add_nc_u64 s[6:7], s[6:7], -1
	v_add_nc_u64_e32 v[8:9], 8, v[8:9]
	s_cmp_eq_u64 s[6:7], 0
	v_add_nc_u64_e32 v[26:27], 8, v[26:27]
	s_cselect_b32 s31, -1, 0
	s_and_not1_b32 s29, s29, exec_lo
	s_and_b32 s31, s31, exec_lo
	s_and_not1_b32 s30, s30, exec_lo
	s_or_b32 s29, s29, s31
                                        ; implicit-def: $sgpr31
	s_branch .LBB749_317
.LBB749_320:
	s_or_b32 exec_lo, exec_lo, s27
	s_xor_b32 s0, s28, -1
	s_and_not1_b32 s6, s24, exec_lo
	s_and_b32 s0, s0, exec_lo
	s_delay_alu instid0(SALU_CYCLE_1)
	s_or_b32 s24, s6, s0
.LBB749_321:
	s_or_b32 exec_lo, exec_lo, s26
	s_delay_alu instid0(SALU_CYCLE_1)
	s_or_not1_b32 s24, s24, exec_lo
.LBB749_322:
	s_or_b32 exec_lo, exec_lo, s25
	v_dual_cndmask_b32 v8, v28, v29, s24 :: v_dual_cndmask_b32 v9, v51, v50, s24
	s_mov_b32 s25, -1
	s_mov_b32 s26, -1
	s_mov_b32 s27, exec_lo
	s_delay_alu instid0(VALU_DEP_1) | instskip(NEXT) | instid1(VALU_DEP_1)
	v_add_nc_u32_e32 v8, 1, v8
	v_add_min_u32_e64 v9, v9, -1, v8
	s_delay_alu instid0(VALU_DEP_1)
	v_lshl_add_u32 v9, v9, 3, v46
	ds_load_b64 v[26:27], v9
	s_wait_dscnt 0x0
	v_dual_cndmask_b32 v9, v27, v7, s24 :: v_dual_cndmask_b32 v32, v8, v28, s24
	v_dual_cndmask_b32 v33, v29, v8, s24 :: v_dual_cndmask_b32 v8, v26, v6, s24
	;; [unrolled: 1-line block ×3, first 2 shown]
	s_delay_alu instid0(VALU_DEP_3)
	v_cmpx_lt_u32_e64 v32, v51
	s_cbranch_execz .LBB749_330
; %bb.323:
	s_delay_alu instid0(VALU_DEP_3) | instskip(SKIP_1) | instid1(SALU_CYCLE_1)
	v_cmp_lt_u32_e64 s26, v33, v50
	s_xor_b32 s0, s5, -1
	s_and_b32 s0, s26, s0
	s_delay_alu instid0(SALU_CYCLE_1)
	s_and_saveexec_b32 s28, s0
	s_cbranch_execz .LBB749_329
; %bb.324:
	v_mul_u64_e32 v[28:29], s[12:13], v[8:9]
	v_mul_u64_e32 v[30:31], s[12:13], v[26:27]
	s_mov_b32 s29, 0
	s_mov_b64 s[6:7], s[12:13]
                                        ; implicit-def: $sgpr30
                                        ; implicit-def: $sgpr31
                                        ; implicit-def: $sgpr33
                                        ; implicit-def: $sgpr34
	s_delay_alu instid0(VALU_DEP_2) | instskip(NEXT) | instid1(VALU_DEP_2)
	v_lshl_add_u64 v[28:29], v[28:29], 3, s[14:15]
	v_lshl_add_u64 v[30:31], v[30:31], 3, s[14:15]
	s_branch .LBB749_326
.LBB749_325:                            ;   in Loop: Header=BB749_326 Depth=1
	s_or_b32 exec_lo, exec_lo, s0
	s_delay_alu instid0(SALU_CYCLE_1) | instskip(NEXT) | instid1(SALU_CYCLE_1)
	s_and_b32 s0, exec_lo, s31
	s_or_b32 s29, s0, s29
	s_and_not1_b32 s0, s34, exec_lo
	s_and_b32 s34, s35, exec_lo
	s_and_not1_b32 s30, s30, exec_lo
	s_and_b32 s35, s33, exec_lo
	s_or_b32 s34, s0, s34
	s_or_b32 s30, s30, s35
	s_and_not1_b32 exec_lo, exec_lo, s29
	s_cbranch_execz .LBB749_328
.LBB749_326:                            ; =>This Inner Loop Header: Depth=1
	global_load_b64 v[34:35], v[28:29], off
	global_load_b64 v[52:53], v[30:31], off
	s_and_not1_b32 s33, s33, exec_lo
	s_or_b32 s31, s31, exec_lo
	s_wait_loadcnt 0x0
	v_cmp_ngt_f64_e32 vcc_lo, v[34:35], v[52:53]
	v_cmp_lt_f64_e64 s0, v[34:35], v[52:53]
	s_and_b32 s35, vcc_lo, s34
	s_xor_b32 s37, s0, vcc_lo
	s_or_b32 s35, s0, s35
	s_delay_alu instid0(SALU_CYCLE_1) | instskip(NEXT) | instid1(SALU_CYCLE_1)
	s_and_b32 s36, s35, exec_lo
	s_or_b32 s33, s33, s36
	s_and_saveexec_b32 s0, s37
	s_cbranch_execz .LBB749_325
; %bb.327:                              ;   in Loop: Header=BB749_326 Depth=1
	s_add_nc_u64 s[6:7], s[6:7], -1
	v_add_nc_u64_e32 v[28:29], 8, v[28:29]
	s_cmp_eq_u64 s[6:7], 0
	v_add_nc_u64_e32 v[30:31], 8, v[30:31]
	s_cselect_b32 s34, -1, 0
	s_and_not1_b32 s31, s31, exec_lo
	s_and_b32 s34, s34, exec_lo
	s_and_not1_b32 s33, s33, exec_lo
	s_or_b32 s31, s31, s34
                                        ; implicit-def: $sgpr34
	s_branch .LBB749_325
.LBB749_328:
	s_or_b32 exec_lo, exec_lo, s29
	s_xor_b32 s0, s30, -1
	s_and_not1_b32 s6, s26, exec_lo
	s_and_b32 s0, s0, exec_lo
	s_delay_alu instid0(SALU_CYCLE_1)
	s_or_b32 s26, s6, s0
.LBB749_329:
	s_or_b32 exec_lo, exec_lo, s28
	s_delay_alu instid0(SALU_CYCLE_1)
	s_or_not1_b32 s26, s26, exec_lo
.LBB749_330:
	s_or_b32 exec_lo, exec_lo, s27
	v_dual_cndmask_b32 v28, v32, v33, s26 :: v_dual_cndmask_b32 v29, v51, v50, s26
	s_mov_b32 s27, exec_lo
	s_delay_alu instid0(VALU_DEP_1) | instskip(NEXT) | instid1(VALU_DEP_1)
	v_add_nc_u32_e32 v28, 1, v28
	v_add_min_u32_e64 v29, v29, -1, v28
	s_delay_alu instid0(VALU_DEP_1)
	v_lshl_add_u32 v29, v29, 3, v46
	ds_load_b64 v[30:31], v29
	s_wait_dscnt 0x0
	v_dual_cndmask_b32 v29, v31, v9, s26 :: v_dual_cndmask_b32 v53, v28, v32, s26
	v_dual_cndmask_b32 v31, v27, v31, s26 :: v_dual_cndmask_b32 v52, v33, v28, s26
	v_cndmask_b32_e64 v28, v30, v8, s26
	v_cndmask_b32_e64 v30, v26, v30, s26
	s_delay_alu instid0(VALU_DEP_4)
	v_cmpx_lt_u32_e64 v53, v51
	s_cbranch_execz .LBB749_338
; %bb.331:
	v_cmp_lt_u32_e64 s25, v52, v50
	s_xor_b32 s0, s5, -1
	s_delay_alu instid0(SALU_CYCLE_1) | instskip(NEXT) | instid1(SALU_CYCLE_1)
	s_and_b32 s0, s25, s0
	s_and_saveexec_b32 s28, s0
	s_cbranch_execz .LBB749_337
; %bb.332:
	v_mul_u64_e32 v[32:33], s[12:13], v[28:29]
	v_mul_u64_e32 v[34:35], s[12:13], v[30:31]
	s_mov_b32 s29, 0
	s_mov_b64 s[6:7], s[12:13]
                                        ; implicit-def: $sgpr30
                                        ; implicit-def: $sgpr31
                                        ; implicit-def: $sgpr33
                                        ; implicit-def: $sgpr34
	s_delay_alu instid0(VALU_DEP_2) | instskip(NEXT) | instid1(VALU_DEP_2)
	v_lshl_add_u64 v[32:33], v[32:33], 3, s[14:15]
	v_lshl_add_u64 v[34:35], v[34:35], 3, s[14:15]
	s_branch .LBB749_334
.LBB749_333:                            ;   in Loop: Header=BB749_334 Depth=1
	s_or_b32 exec_lo, exec_lo, s0
	s_delay_alu instid0(SALU_CYCLE_1) | instskip(NEXT) | instid1(SALU_CYCLE_1)
	s_and_b32 s0, exec_lo, s31
	s_or_b32 s29, s0, s29
	s_and_not1_b32 s0, s34, exec_lo
	s_and_b32 s34, s35, exec_lo
	s_and_not1_b32 s30, s30, exec_lo
	s_and_b32 s35, s33, exec_lo
	s_or_b32 s34, s0, s34
	s_or_b32 s30, s30, s35
	s_and_not1_b32 exec_lo, exec_lo, s29
	s_cbranch_execz .LBB749_336
.LBB749_334:                            ; =>This Inner Loop Header: Depth=1
	global_load_b64 v[54:55], v[32:33], off
	global_load_b64 v[56:57], v[34:35], off
	s_and_not1_b32 s33, s33, exec_lo
	s_or_b32 s31, s31, exec_lo
	s_wait_loadcnt 0x0
	v_cmp_ngt_f64_e32 vcc_lo, v[54:55], v[56:57]
	v_cmp_lt_f64_e64 s0, v[54:55], v[56:57]
	s_and_b32 s35, vcc_lo, s34
	s_xor_b32 s37, s0, vcc_lo
	s_or_b32 s35, s0, s35
	s_delay_alu instid0(SALU_CYCLE_1) | instskip(NEXT) | instid1(SALU_CYCLE_1)
	s_and_b32 s36, s35, exec_lo
	s_or_b32 s33, s33, s36
	s_and_saveexec_b32 s0, s37
	s_cbranch_execz .LBB749_333
; %bb.335:                              ;   in Loop: Header=BB749_334 Depth=1
	s_add_nc_u64 s[6:7], s[6:7], -1
	v_add_nc_u64_e32 v[32:33], 8, v[32:33]
	s_cmp_eq_u64 s[6:7], 0
	v_add_nc_u64_e32 v[34:35], 8, v[34:35]
	s_cselect_b32 s34, -1, 0
	s_and_not1_b32 s31, s31, exec_lo
	s_and_b32 s34, s34, exec_lo
	s_and_not1_b32 s33, s33, exec_lo
	s_or_b32 s31, s31, s34
                                        ; implicit-def: $sgpr34
	s_branch .LBB749_333
.LBB749_336:
	s_or_b32 exec_lo, exec_lo, s29
	s_xor_b32 s0, s30, -1
	s_and_not1_b32 s6, s25, exec_lo
	s_and_b32 s0, s0, exec_lo
	s_delay_alu instid0(SALU_CYCLE_1)
	s_or_b32 s25, s6, s0
.LBB749_337:
	s_or_b32 exec_lo, exec_lo, s28
	s_delay_alu instid0(SALU_CYCLE_1)
	s_or_not1_b32 s25, s25, exec_lo
.LBB749_338:
	s_or_b32 exec_lo, exec_lo, s27
	v_dual_cndmask_b32 v32, v53, v52, s25 :: v_dual_cndmask_b32 v33, v51, v50, s25
	v_dual_cndmask_b32 v8, v8, v26, s26 :: v_dual_cndmask_b32 v7, v7, v25, s24
	;; [unrolled: 1-line block ×3, first 2 shown]
	s_delay_alu instid0(VALU_DEP_3) | instskip(SKIP_2) | instid1(VALU_DEP_3)
	v_dual_add_nc_u32 v34, 1, v32 :: v_dual_cndmask_b32 v9, v9, v27, s26
	v_dual_cndmask_b32 v12, v12, v22, s23 :: v_dual_cndmask_b32 v11, v11, v21, s22
	v_dual_cndmask_b32 v10, v10, v20, s22 :: v_dual_cndmask_b32 v17, v15, v17, s21
	v_add_min_u32_e64 v32, v33, -1, v34
	v_dual_cndmask_b32 v16, v14, v16, s21 :: v_dual_cndmask_b32 v15, v5, v3, s1
	v_dual_cndmask_b32 v14, v4, v2, s1 :: v_dual_cndmask_b32 v20, v34, v53, s25
	s_delay_alu instid0(VALU_DEP_3)
	v_lshl_add_u32 v32, v32, 3, v46
	v_dual_cndmask_b32 v3, v29, v31, s25 :: v_dual_cndmask_b32 v2, v28, v30, s25
	s_mov_b32 s1, exec_lo
	ds_load_b64 v[32:33], v32
	s_wait_dscnt 0x0
	v_dual_cndmask_b32 v5, v31, v33, s25 :: v_dual_cndmask_b32 v4, v30, v32, s25
	v_cmpx_lt_u32_e64 v20, v51
	s_cbranch_execz .LBB749_346
; %bb.339:
	v_dual_cndmask_b32 v22, v52, v34, s25 :: v_dual_cndmask_b32 v21, v33, v29, s25
	s_delay_alu instid0(VALU_DEP_1) | instskip(NEXT) | instid1(VALU_DEP_2)
	v_cmp_ge_u32_e32 vcc_lo, v22, v50
	v_dual_cndmask_b32 v20, v32, v28, s25 :: v_dual_cndmask_b32 v23, v5, v21, vcc_lo
	s_delay_alu instid0(VALU_DEP_1) | instskip(SKIP_1) | instid1(SALU_CYCLE_1)
	v_cndmask_b32_e32 v22, v4, v20, vcc_lo
	s_nor_b32 s0, vcc_lo, s5
	s_and_saveexec_b32 s21, s0
	s_cbranch_execz .LBB749_345
; %bb.340:
	v_mul_u64_e32 v[22:23], s[12:13], v[20:21]
	v_mul_u64_e32 v[24:25], s[12:13], v[4:5]
	s_mov_b32 s22, 0
	s_mov_b64 s[6:7], s[12:13]
                                        ; implicit-def: $sgpr23
                                        ; implicit-def: $sgpr24
                                        ; implicit-def: $sgpr25
                                        ; implicit-def: $sgpr26
	s_delay_alu instid0(VALU_DEP_2) | instskip(NEXT) | instid1(VALU_DEP_2)
	v_lshl_add_u64 v[22:23], v[22:23], 3, s[14:15]
	v_lshl_add_u64 v[24:25], v[24:25], 3, s[14:15]
	s_branch .LBB749_342
.LBB749_341:                            ;   in Loop: Header=BB749_342 Depth=1
	s_or_b32 exec_lo, exec_lo, s0
	s_delay_alu instid0(SALU_CYCLE_1) | instskip(NEXT) | instid1(SALU_CYCLE_1)
	s_and_b32 s0, exec_lo, s24
	s_or_b32 s22, s0, s22
	s_and_not1_b32 s0, s26, exec_lo
	s_and_b32 s26, s27, exec_lo
	s_and_not1_b32 s23, s23, exec_lo
	s_and_b32 s27, s25, exec_lo
	s_or_b32 s26, s0, s26
	s_or_b32 s23, s23, s27
	s_and_not1_b32 exec_lo, exec_lo, s22
	s_cbranch_execz .LBB749_344
.LBB749_342:                            ; =>This Inner Loop Header: Depth=1
	global_load_b64 v[26:27], v[22:23], off
	global_load_b64 v[28:29], v[24:25], off
	s_and_not1_b32 s25, s25, exec_lo
	s_or_b32 s24, s24, exec_lo
	s_wait_loadcnt 0x0
	v_cmp_ngt_f64_e32 vcc_lo, v[26:27], v[28:29]
	v_cmp_lt_f64_e64 s0, v[26:27], v[28:29]
	s_and_b32 s27, vcc_lo, s26
	s_xor_b32 s29, s0, vcc_lo
	s_or_b32 s27, s0, s27
	s_delay_alu instid0(SALU_CYCLE_1) | instskip(NEXT) | instid1(SALU_CYCLE_1)
	s_and_b32 s28, s27, exec_lo
	s_or_b32 s25, s25, s28
	s_and_saveexec_b32 s0, s29
	s_cbranch_execz .LBB749_341
; %bb.343:                              ;   in Loop: Header=BB749_342 Depth=1
	s_add_nc_u64 s[6:7], s[6:7], -1
	v_add_nc_u64_e32 v[22:23], 8, v[22:23]
	s_cmp_eq_u64 s[6:7], 0
	v_add_nc_u64_e32 v[24:25], 8, v[24:25]
	s_cselect_b32 s26, -1, 0
	s_and_not1_b32 s24, s24, exec_lo
	s_and_b32 s26, s26, exec_lo
	s_and_not1_b32 s25, s25, exec_lo
	s_or_b32 s24, s24, s26
                                        ; implicit-def: $sgpr26
	s_branch .LBB749_341
.LBB749_344:
	s_or_b32 exec_lo, exec_lo, s22
	v_dual_cndmask_b32 v23, v5, v21, s23 :: v_dual_cndmask_b32 v22, v4, v20, s23
.LBB749_345:
	s_or_b32 exec_lo, exec_lo, s21
	s_delay_alu instid0(VALU_DEP_1)
	v_mov_b64_e32 v[4:5], v[22:23]
.LBB749_346:
	s_or_b32 exec_lo, exec_lo, s1
.LBB749_347:
	s_delay_alu instid0(SALU_CYCLE_1)
	s_or_b32 exec_lo, exec_lo, s20
	v_and_b32_e32 v26, 0xc0, v48
	s_mov_b32 s1, exec_lo
	; wave barrier
	ds_store_b128 v49, v[14:17]
	ds_store_b128 v49, v[10:13] offset:16
	v_or_b32_e32 v20, 32, v26
	v_lshl_add_u32 v25, v26, 3, v46
	ds_store_b128 v49, v[6:9] offset:32
	ds_store_b128 v49, v[2:5] offset:48
	; wave barrier
	v_min_u32_e32 v50, v47, v20
	v_and_b32_e32 v20, 56, v48
	s_delay_alu instid0(VALU_DEP_2) | instskip(NEXT) | instid1(VALU_DEP_2)
	v_add_min_u32_e64 v51, v50, 32, v47
	v_min_u32_e32 v27, v47, v20
	v_sub_nc_u32_e32 v21, v50, v26
	s_delay_alu instid0(VALU_DEP_3) | instskip(NEXT) | instid1(VALU_DEP_2)
	v_sub_nc_u32_e32 v20, v51, v50
	v_min_u32_e32 v28, v27, v21
	s_delay_alu instid0(VALU_DEP_2) | instskip(NEXT) | instid1(VALU_DEP_1)
	v_sub_nc_u32_e64 v24, v27, v20 clamp
	v_cmpx_lt_u32_e64 v24, v28
	s_cbranch_execz .LBB749_357
; %bb.348:
	v_dual_lshlrev_b32 v20, 3, v50 :: v_dual_lshlrev_b32 v21, 3, v27
	s_lshl_b64 s[6:7], s[12:13], 3
	s_mov_b32 s22, 0
	s_delay_alu instid0(VALU_DEP_1)
	v_add3_u32 v29, v46, v20, v21
	s_branch .LBB749_351
.LBB749_349:                            ;   in Loop: Header=BB749_351 Depth=1
	s_or_b32 exec_lo, exec_lo, s24
.LBB749_350:                            ;   in Loop: Header=BB749_351 Depth=1
	s_delay_alu instid0(VALU_DEP_1) | instskip(NEXT) | instid1(VALU_DEP_1)
	v_dual_add_nc_u32 v20, 1, v30 :: v_dual_cndmask_b32 v28, v28, v30, s23
	v_cndmask_b32_e64 v24, v20, v24, s23
	s_delay_alu instid0(VALU_DEP_1) | instskip(SKIP_1) | instid1(SALU_CYCLE_1)
	v_cmp_ge_u32_e32 vcc_lo, v24, v28
	s_or_b32 s22, vcc_lo, s22
	s_and_not1_b32 exec_lo, exec_lo, s22
	s_cbranch_execz .LBB749_356
.LBB749_351:                            ; =>This Loop Header: Depth=1
                                        ;     Child Loop BB749_354 Depth 2
	v_add_nc_u32_e32 v20, v28, v24
	v_cmp_ne_u32_e32 vcc_lo, 1, v45
	s_mov_b32 s23, 0
	s_delay_alu instid0(VALU_DEP_2)
	v_lshrrev_b32_e32 v30, 1, v20
	s_cbranch_vccnz .LBB749_350
; %bb.352:                              ;   in Loop: Header=BB749_351 Depth=1
	s_delay_alu instid0(VALU_DEP_1) | instskip(SKIP_3) | instid1(VALU_DEP_2)
	v_not_b32_e32 v20, v30
	v_lshl_add_u32 v21, v30, 3, v25
	s_mov_b32 s24, 0
	s_mov_b64 s[20:21], s[12:13]
                                        ; implicit-def: $sgpr23
                                        ; implicit-def: $sgpr25
                                        ; implicit-def: $sgpr26
                                        ; implicit-def: $sgpr27
	v_lshl_add_u32 v20, v20, 3, v29
	ds_load_b64 v[32:33], v20
	ds_load_b64 v[34:35], v21
	s_wait_dscnt 0x1
	v_mad_nc_u64_u32 v[20:21], s6, v32, s[14:15]
	s_wait_dscnt 0x0
	v_mad_nc_u64_u32 v[22:23], s6, v34, s[14:15]
	s_delay_alu instid0(VALU_DEP_2) | instskip(NEXT) | instid1(VALU_DEP_2)
	v_mad_u32 v21, s7, v32, v21
	v_mad_u32 v23, s7, v34, v23
	s_delay_alu instid0(VALU_DEP_2) | instskip(NEXT) | instid1(VALU_DEP_2)
	v_mad_u32 v21, s6, v33, v21
	v_mad_u32 v23, s6, v35, v23
	s_branch .LBB749_354
.LBB749_353:                            ;   in Loop: Header=BB749_354 Depth=2
	s_or_b32 exec_lo, exec_lo, s0
	s_delay_alu instid0(SALU_CYCLE_1) | instskip(NEXT) | instid1(SALU_CYCLE_1)
	s_and_b32 s0, exec_lo, s25
	s_or_b32 s24, s0, s24
	s_and_not1_b32 s0, s27, exec_lo
	s_and_b32 s27, s28, exec_lo
	s_and_not1_b32 s23, s23, exec_lo
	s_and_b32 s28, s26, exec_lo
	s_or_b32 s27, s0, s27
	s_or_b32 s23, s23, s28
	s_and_not1_b32 exec_lo, exec_lo, s24
	s_cbranch_execz .LBB749_349
.LBB749_354:                            ;   Parent Loop BB749_351 Depth=1
                                        ; =>  This Inner Loop Header: Depth=2
	global_load_b64 v[32:33], v[20:21], off
	global_load_b64 v[34:35], v[22:23], off
	s_and_not1_b32 s26, s26, exec_lo
	s_or_b32 s25, s25, exec_lo
	s_wait_loadcnt 0x0
	v_cmp_ngt_f64_e32 vcc_lo, v[32:33], v[34:35]
	v_cmp_lt_f64_e64 s0, v[32:33], v[34:35]
	s_and_b32 s28, vcc_lo, s27
	s_xor_b32 s30, s0, vcc_lo
	s_or_b32 s28, s0, s28
	s_delay_alu instid0(SALU_CYCLE_1) | instskip(NEXT) | instid1(SALU_CYCLE_1)
	s_and_b32 s29, s28, exec_lo
	s_or_b32 s26, s26, s29
	s_and_saveexec_b32 s0, s30
	s_cbranch_execz .LBB749_353
; %bb.355:                              ;   in Loop: Header=BB749_354 Depth=2
	s_add_nc_u64 s[20:21], s[20:21], -1
	v_add_nc_u64_e32 v[20:21], 8, v[20:21]
	s_cmp_eq_u64 s[20:21], 0
	v_add_nc_u64_e32 v[22:23], 8, v[22:23]
	s_cselect_b32 s27, -1, 0
	s_and_not1_b32 s25, s25, exec_lo
	s_and_b32 s27, s27, exec_lo
	s_and_not1_b32 s26, s26, exec_lo
	s_or_b32 s25, s25, s27
                                        ; implicit-def: $sgpr27
	s_branch .LBB749_353
.LBB749_356:
	s_or_b32 exec_lo, exec_lo, s22
.LBB749_357:
	s_delay_alu instid0(SALU_CYCLE_1) | instskip(SKIP_1) | instid1(VALU_DEP_1)
	s_or_b32 exec_lo, exec_lo, s1
	v_dual_add_nc_u32 v21, v50, v27 :: v_dual_add_nc_u32 v20, v24, v26
	v_sub_nc_u32_e32 v21, v21, v24
	s_delay_alu instid0(VALU_DEP_2) | instskip(NEXT) | instid1(VALU_DEP_2)
	v_cmp_le_u32_e32 vcc_lo, v20, v50
	v_cmp_le_u32_e64 s0, v21, v51
	s_or_b32 s0, vcc_lo, s0
	s_delay_alu instid0(SALU_CYCLE_1)
	s_and_saveexec_b32 s20, s0
	s_cbranch_execz .LBB749_425
; %bb.358:
	s_mov_b32 s1, exec_lo
	v_cmp_ge_u32_e32 vcc_lo, v20, v50
                                        ; implicit-def: $vgpr2_vgpr3
	v_cmpx_lt_u32_e64 v20, v50
; %bb.359:
	v_lshl_add_u32 v2, v24, 3, v25
	ds_load_b64 v[2:3], v2
; %bb.360:
	s_or_b32 exec_lo, exec_lo, s1
	v_cmp_ge_u32_e64 s0, v21, v51
	s_mov_b32 s6, exec_lo
                                        ; implicit-def: $vgpr4_vgpr5
	v_cmpx_lt_u32_e64 v21, v51
; %bb.361:
	v_lshl_add_u32 v4, v21, 3, v46
	ds_load_b64 v[4:5], v4
; %bb.362:
	s_or_b32 exec_lo, exec_lo, s6
	s_or_b32 s1, vcc_lo, s0
	s_xor_b32 s6, vcc_lo, -1
	s_nor_b32 s7, s1, s5
	s_or_b32 s1, s0, s6
	s_and_saveexec_b32 s21, s7
	s_cbranch_execz .LBB749_368
; %bb.363:
	s_wait_dscnt 0x0
	v_mul_u64_e32 v[6:7], s[12:13], v[4:5]
	v_mul_u64_e32 v[8:9], s[12:13], v[2:3]
	s_mov_b32 s22, 0
	s_mov_b64 s[6:7], s[12:13]
                                        ; implicit-def: $sgpr23
                                        ; implicit-def: $sgpr24
                                        ; implicit-def: $sgpr25
                                        ; implicit-def: $sgpr26
	s_delay_alu instid0(VALU_DEP_2) | instskip(NEXT) | instid1(VALU_DEP_2)
	v_lshl_add_u64 v[6:7], v[6:7], 3, s[14:15]
	v_lshl_add_u64 v[8:9], v[8:9], 3, s[14:15]
	s_branch .LBB749_365
.LBB749_364:                            ;   in Loop: Header=BB749_365 Depth=1
	s_or_b32 exec_lo, exec_lo, s0
	s_delay_alu instid0(SALU_CYCLE_1) | instskip(NEXT) | instid1(SALU_CYCLE_1)
	s_and_b32 s0, exec_lo, s24
	s_or_b32 s22, s0, s22
	s_and_not1_b32 s0, s26, exec_lo
	s_and_b32 s26, s27, exec_lo
	s_and_not1_b32 s23, s23, exec_lo
	s_and_b32 s27, s25, exec_lo
	s_or_b32 s26, s0, s26
	s_or_b32 s23, s23, s27
	s_and_not1_b32 exec_lo, exec_lo, s22
	s_cbranch_execz .LBB749_367
.LBB749_365:                            ; =>This Inner Loop Header: Depth=1
	global_load_b64 v[10:11], v[6:7], off
	global_load_b64 v[12:13], v[8:9], off
	s_and_not1_b32 s25, s25, exec_lo
	s_or_b32 s24, s24, exec_lo
	s_wait_loadcnt 0x0
	v_cmp_ngt_f64_e32 vcc_lo, v[10:11], v[12:13]
	v_cmp_lt_f64_e64 s0, v[10:11], v[12:13]
	s_and_b32 s27, vcc_lo, s26
	s_xor_b32 s29, s0, vcc_lo
	s_or_b32 s27, s0, s27
	s_delay_alu instid0(SALU_CYCLE_1) | instskip(NEXT) | instid1(SALU_CYCLE_1)
	s_and_b32 s28, s27, exec_lo
	s_or_b32 s25, s25, s28
	s_and_saveexec_b32 s0, s29
	s_cbranch_execz .LBB749_364
; %bb.366:                              ;   in Loop: Header=BB749_365 Depth=1
	s_add_nc_u64 s[6:7], s[6:7], -1
	v_add_nc_u64_e32 v[6:7], 8, v[6:7]
	s_cmp_eq_u64 s[6:7], 0
	v_add_nc_u64_e32 v[8:9], 8, v[8:9]
	s_cselect_b32 s26, -1, 0
	s_and_not1_b32 s24, s24, exec_lo
	s_and_b32 s26, s26, exec_lo
	s_and_not1_b32 s25, s25, exec_lo
	s_or_b32 s24, s24, s26
                                        ; implicit-def: $sgpr26
	s_branch .LBB749_364
.LBB749_367:
	s_or_b32 exec_lo, exec_lo, s22
	s_xor_b32 s0, s23, -1
	s_and_not1_b32 s1, s1, exec_lo
	s_and_b32 s0, s0, exec_lo
	s_delay_alu instid0(SALU_CYCLE_1)
	s_or_b32 s1, s1, s0
.LBB749_368:
	s_or_b32 exec_lo, exec_lo, s21
	v_dual_cndmask_b32 v6, v21, v20, s1 :: v_dual_cndmask_b32 v7, v51, v50, s1
	s_mov_b32 s22, -1
	s_mov_b32 s21, -1
	s_mov_b32 s23, exec_lo
	s_delay_alu instid0(VALU_DEP_1) | instskip(NEXT) | instid1(VALU_DEP_1)
	v_add_nc_u32_e32 v8, 1, v6
	v_add_min_u32_e64 v6, v7, -1, v8
	s_delay_alu instid0(VALU_DEP_1)
	v_lshl_add_u32 v6, v6, 3, v46
	ds_load_b64 v[6:7], v6
	s_wait_dscnt 0x0
	v_cndmask_b32_e64 v15, v7, v5, s1
	v_dual_cndmask_b32 v10, v8, v21, s1 :: v_dual_cndmask_b32 v14, v6, v4, s1
	v_dual_cndmask_b32 v11, v20, v8, s1 :: v_dual_cndmask_b32 v17, v3, v7, s1
	v_cndmask_b32_e64 v16, v2, v6, s1
	s_delay_alu instid0(VALU_DEP_3)
	v_cmpx_lt_u32_e64 v10, v51
	s_cbranch_execz .LBB749_376
; %bb.369:
	s_delay_alu instid0(VALU_DEP_3) | instskip(SKIP_1) | instid1(SALU_CYCLE_1)
	v_cmp_lt_u32_e64 s21, v11, v50
	s_xor_b32 s0, s5, -1
	s_and_b32 s0, s21, s0
	s_delay_alu instid0(SALU_CYCLE_1)
	s_and_saveexec_b32 s24, s0
	s_cbranch_execz .LBB749_375
; %bb.370:
	v_mul_u64_e32 v[6:7], s[12:13], v[14:15]
	v_mul_u64_e32 v[8:9], s[12:13], v[16:17]
	s_mov_b32 s25, 0
	s_mov_b64 s[6:7], s[12:13]
                                        ; implicit-def: $sgpr26
                                        ; implicit-def: $sgpr27
                                        ; implicit-def: $sgpr28
                                        ; implicit-def: $sgpr29
	s_delay_alu instid0(VALU_DEP_2) | instskip(NEXT) | instid1(VALU_DEP_2)
	v_lshl_add_u64 v[6:7], v[6:7], 3, s[14:15]
	v_lshl_add_u64 v[8:9], v[8:9], 3, s[14:15]
	s_branch .LBB749_372
.LBB749_371:                            ;   in Loop: Header=BB749_372 Depth=1
	s_or_b32 exec_lo, exec_lo, s0
	s_delay_alu instid0(SALU_CYCLE_1) | instskip(NEXT) | instid1(SALU_CYCLE_1)
	s_and_b32 s0, exec_lo, s27
	s_or_b32 s25, s0, s25
	s_and_not1_b32 s0, s29, exec_lo
	s_and_b32 s29, s30, exec_lo
	s_and_not1_b32 s26, s26, exec_lo
	s_and_b32 s30, s28, exec_lo
	s_or_b32 s29, s0, s29
	s_or_b32 s26, s26, s30
	s_and_not1_b32 exec_lo, exec_lo, s25
	s_cbranch_execz .LBB749_374
.LBB749_372:                            ; =>This Inner Loop Header: Depth=1
	global_load_b64 v[12:13], v[6:7], off
	global_load_b64 v[20:21], v[8:9], off
	s_and_not1_b32 s28, s28, exec_lo
	s_or_b32 s27, s27, exec_lo
	s_wait_loadcnt 0x0
	v_cmp_ngt_f64_e32 vcc_lo, v[12:13], v[20:21]
	v_cmp_lt_f64_e64 s0, v[12:13], v[20:21]
	s_and_b32 s30, vcc_lo, s29
	s_xor_b32 s33, s0, vcc_lo
	s_or_b32 s30, s0, s30
	s_delay_alu instid0(SALU_CYCLE_1) | instskip(NEXT) | instid1(SALU_CYCLE_1)
	s_and_b32 s31, s30, exec_lo
	s_or_b32 s28, s28, s31
	s_and_saveexec_b32 s0, s33
	s_cbranch_execz .LBB749_371
; %bb.373:                              ;   in Loop: Header=BB749_372 Depth=1
	s_add_nc_u64 s[6:7], s[6:7], -1
	v_add_nc_u64_e32 v[6:7], 8, v[6:7]
	s_cmp_eq_u64 s[6:7], 0
	v_add_nc_u64_e32 v[8:9], 8, v[8:9]
	s_cselect_b32 s29, -1, 0
	s_and_not1_b32 s27, s27, exec_lo
	s_and_b32 s29, s29, exec_lo
	s_and_not1_b32 s28, s28, exec_lo
	s_or_b32 s27, s27, s29
                                        ; implicit-def: $sgpr29
	s_branch .LBB749_371
.LBB749_374:
	s_or_b32 exec_lo, exec_lo, s25
	s_xor_b32 s0, s26, -1
	s_and_not1_b32 s6, s21, exec_lo
	s_and_b32 s0, s0, exec_lo
	s_delay_alu instid0(SALU_CYCLE_1)
	s_or_b32 s21, s6, s0
.LBB749_375:
	s_or_b32 exec_lo, exec_lo, s24
	s_delay_alu instid0(SALU_CYCLE_1)
	s_or_not1_b32 s21, s21, exec_lo
.LBB749_376:
	s_or_b32 exec_lo, exec_lo, s23
	v_dual_cndmask_b32 v6, v10, v11, s21 :: v_dual_cndmask_b32 v7, v51, v50, s21
	s_mov_b32 s23, exec_lo
	s_delay_alu instid0(VALU_DEP_1) | instskip(NEXT) | instid1(VALU_DEP_1)
	v_add_nc_u32_e32 v8, 1, v6
	v_add_min_u32_e64 v6, v7, -1, v8
	s_delay_alu instid0(VALU_DEP_1)
	v_lshl_add_u32 v6, v6, 3, v46
	ds_load_b64 v[6:7], v6
	v_cndmask_b32_e64 v13, v11, v8, s21
	s_wait_dscnt 0x0
	v_dual_cndmask_b32 v11, v7, v15, s21 :: v_dual_cndmask_b32 v12, v8, v10, s21
	v_dual_cndmask_b32 v21, v17, v7, s21 :: v_dual_cndmask_b32 v10, v6, v14, s21
	v_cndmask_b32_e64 v20, v16, v6, s21
	s_delay_alu instid0(VALU_DEP_3)
	v_cmpx_lt_u32_e64 v12, v51
	s_cbranch_execz .LBB749_384
; %bb.377:
	v_cmp_lt_u32_e64 s22, v13, v50
	s_xor_b32 s0, s5, -1
	s_delay_alu instid0(SALU_CYCLE_1) | instskip(NEXT) | instid1(SALU_CYCLE_1)
	s_and_b32 s0, s22, s0
	s_and_saveexec_b32 s24, s0
	s_cbranch_execz .LBB749_383
; %bb.378:
	v_mul_u64_e32 v[6:7], s[12:13], v[10:11]
	v_mul_u64_e32 v[8:9], s[12:13], v[20:21]
	s_mov_b32 s25, 0
	s_mov_b64 s[6:7], s[12:13]
                                        ; implicit-def: $sgpr26
                                        ; implicit-def: $sgpr27
                                        ; implicit-def: $sgpr28
                                        ; implicit-def: $sgpr29
	s_delay_alu instid0(VALU_DEP_2) | instskip(NEXT) | instid1(VALU_DEP_2)
	v_lshl_add_u64 v[6:7], v[6:7], 3, s[14:15]
	v_lshl_add_u64 v[8:9], v[8:9], 3, s[14:15]
	s_branch .LBB749_380
.LBB749_379:                            ;   in Loop: Header=BB749_380 Depth=1
	s_or_b32 exec_lo, exec_lo, s0
	s_delay_alu instid0(SALU_CYCLE_1) | instskip(NEXT) | instid1(SALU_CYCLE_1)
	s_and_b32 s0, exec_lo, s27
	s_or_b32 s25, s0, s25
	s_and_not1_b32 s0, s29, exec_lo
	s_and_b32 s29, s30, exec_lo
	s_and_not1_b32 s26, s26, exec_lo
	s_and_b32 s30, s28, exec_lo
	s_or_b32 s29, s0, s29
	s_or_b32 s26, s26, s30
	s_and_not1_b32 exec_lo, exec_lo, s25
	s_cbranch_execz .LBB749_382
.LBB749_380:                            ; =>This Inner Loop Header: Depth=1
	global_load_b64 v[22:23], v[6:7], off
	global_load_b64 v[24:25], v[8:9], off
	s_and_not1_b32 s28, s28, exec_lo
	s_or_b32 s27, s27, exec_lo
	s_wait_loadcnt 0x0
	v_cmp_ngt_f64_e32 vcc_lo, v[22:23], v[24:25]
	v_cmp_lt_f64_e64 s0, v[22:23], v[24:25]
	s_and_b32 s30, vcc_lo, s29
	s_xor_b32 s33, s0, vcc_lo
	s_or_b32 s30, s0, s30
	s_delay_alu instid0(SALU_CYCLE_1) | instskip(NEXT) | instid1(SALU_CYCLE_1)
	s_and_b32 s31, s30, exec_lo
	s_or_b32 s28, s28, s31
	s_and_saveexec_b32 s0, s33
	s_cbranch_execz .LBB749_379
; %bb.381:                              ;   in Loop: Header=BB749_380 Depth=1
	s_add_nc_u64 s[6:7], s[6:7], -1
	v_add_nc_u64_e32 v[6:7], 8, v[6:7]
	s_cmp_eq_u64 s[6:7], 0
	v_add_nc_u64_e32 v[8:9], 8, v[8:9]
	s_cselect_b32 s29, -1, 0
	s_and_not1_b32 s27, s27, exec_lo
	s_and_b32 s29, s29, exec_lo
	s_and_not1_b32 s28, s28, exec_lo
	s_or_b32 s27, s27, s29
                                        ; implicit-def: $sgpr29
	s_branch .LBB749_379
.LBB749_382:
	s_or_b32 exec_lo, exec_lo, s25
	s_xor_b32 s0, s26, -1
	s_and_not1_b32 s6, s22, exec_lo
	s_and_b32 s0, s0, exec_lo
	s_delay_alu instid0(SALU_CYCLE_1)
	s_or_b32 s22, s6, s0
.LBB749_383:
	s_or_b32 exec_lo, exec_lo, s24
	s_delay_alu instid0(SALU_CYCLE_1)
	s_or_not1_b32 s22, s22, exec_lo
.LBB749_384:
	s_or_b32 exec_lo, exec_lo, s23
	v_dual_cndmask_b32 v6, v12, v13, s22 :: v_dual_cndmask_b32 v7, v51, v50, s22
	s_mov_b32 s24, -1
	s_mov_b32 s23, -1
	s_mov_b32 s25, exec_lo
	s_delay_alu instid0(VALU_DEP_1) | instskip(NEXT) | instid1(VALU_DEP_1)
	v_add_nc_u32_e32 v8, 1, v6
	v_add_min_u32_e64 v6, v7, -1, v8
	s_delay_alu instid0(VALU_DEP_1)
	v_lshl_add_u32 v6, v6, 3, v46
	ds_load_b64 v[6:7], v6
	s_wait_dscnt 0x0
	v_dual_cndmask_b32 v25, v13, v8, s22 :: v_dual_cndmask_b32 v22, v20, v6, s22
	v_dual_cndmask_b32 v13, v7, v11, s22 :: v_dual_cndmask_b32 v24, v8, v12, s22
	;; [unrolled: 1-line block ×3, first 2 shown]
	s_delay_alu instid0(VALU_DEP_2)
	v_cmpx_lt_u32_e64 v24, v51
	s_cbranch_execz .LBB749_392
; %bb.385:
	v_cmp_lt_u32_e64 s23, v25, v50
	s_xor_b32 s0, s5, -1
	s_delay_alu instid0(SALU_CYCLE_1) | instskip(NEXT) | instid1(SALU_CYCLE_1)
	s_and_b32 s0, s23, s0
	s_and_saveexec_b32 s26, s0
	s_cbranch_execz .LBB749_391
; %bb.386:
	v_mul_u64_e32 v[6:7], s[12:13], v[12:13]
	v_mul_u64_e32 v[8:9], s[12:13], v[22:23]
	s_mov_b32 s27, 0
	s_mov_b64 s[6:7], s[12:13]
                                        ; implicit-def: $sgpr28
                                        ; implicit-def: $sgpr29
                                        ; implicit-def: $sgpr30
                                        ; implicit-def: $sgpr31
	s_delay_alu instid0(VALU_DEP_2) | instskip(NEXT) | instid1(VALU_DEP_2)
	v_lshl_add_u64 v[6:7], v[6:7], 3, s[14:15]
	v_lshl_add_u64 v[8:9], v[8:9], 3, s[14:15]
	s_branch .LBB749_388
.LBB749_387:                            ;   in Loop: Header=BB749_388 Depth=1
	s_or_b32 exec_lo, exec_lo, s0
	s_delay_alu instid0(SALU_CYCLE_1) | instskip(NEXT) | instid1(SALU_CYCLE_1)
	s_and_b32 s0, exec_lo, s29
	s_or_b32 s27, s0, s27
	s_and_not1_b32 s0, s31, exec_lo
	s_and_b32 s31, s33, exec_lo
	s_and_not1_b32 s28, s28, exec_lo
	s_and_b32 s33, s30, exec_lo
	s_or_b32 s31, s0, s31
	s_or_b32 s28, s28, s33
	s_and_not1_b32 exec_lo, exec_lo, s27
	s_cbranch_execz .LBB749_390
.LBB749_388:                            ; =>This Inner Loop Header: Depth=1
	global_load_b64 v[26:27], v[6:7], off
	global_load_b64 v[28:29], v[8:9], off
	s_and_not1_b32 s30, s30, exec_lo
	s_or_b32 s29, s29, exec_lo
	s_wait_loadcnt 0x0
	v_cmp_ngt_f64_e32 vcc_lo, v[26:27], v[28:29]
	v_cmp_lt_f64_e64 s0, v[26:27], v[28:29]
	s_and_b32 s33, vcc_lo, s31
	s_xor_b32 s35, s0, vcc_lo
	s_or_b32 s33, s0, s33
	s_delay_alu instid0(SALU_CYCLE_1) | instskip(NEXT) | instid1(SALU_CYCLE_1)
	s_and_b32 s34, s33, exec_lo
	s_or_b32 s30, s30, s34
	s_and_saveexec_b32 s0, s35
	s_cbranch_execz .LBB749_387
; %bb.389:                              ;   in Loop: Header=BB749_388 Depth=1
	s_add_nc_u64 s[6:7], s[6:7], -1
	v_add_nc_u64_e32 v[6:7], 8, v[6:7]
	s_cmp_eq_u64 s[6:7], 0
	v_add_nc_u64_e32 v[8:9], 8, v[8:9]
	s_cselect_b32 s31, -1, 0
	s_and_not1_b32 s29, s29, exec_lo
	s_and_b32 s31, s31, exec_lo
	s_and_not1_b32 s30, s30, exec_lo
	s_or_b32 s29, s29, s31
                                        ; implicit-def: $sgpr31
	s_branch .LBB749_387
.LBB749_390:
	s_or_b32 exec_lo, exec_lo, s27
	s_xor_b32 s0, s28, -1
	s_and_not1_b32 s6, s23, exec_lo
	s_and_b32 s0, s0, exec_lo
	s_delay_alu instid0(SALU_CYCLE_1)
	s_or_b32 s23, s6, s0
.LBB749_391:
	s_or_b32 exec_lo, exec_lo, s26
	s_delay_alu instid0(SALU_CYCLE_1)
	s_or_not1_b32 s23, s23, exec_lo
.LBB749_392:
	s_or_b32 exec_lo, exec_lo, s25
	v_dual_cndmask_b32 v6, v24, v25, s23 :: v_dual_cndmask_b32 v7, v51, v50, s23
	s_mov_b32 s25, exec_lo
	s_delay_alu instid0(VALU_DEP_1) | instskip(NEXT) | instid1(VALU_DEP_1)
	v_add_nc_u32_e32 v6, 1, v6
	v_add_min_u32_e64 v7, v7, -1, v6
	s_delay_alu instid0(VALU_DEP_1)
	v_lshl_add_u32 v7, v7, 3, v46
	ds_load_b64 v[8:9], v7
	s_wait_dscnt 0x0
	v_dual_cndmask_b32 v7, v9, v13, s23 :: v_dual_cndmask_b32 v28, v6, v24, s23
	v_dual_cndmask_b32 v29, v25, v6, s23 :: v_dual_cndmask_b32 v6, v8, v12, s23
	;; [unrolled: 1-line block ×3, first 2 shown]
	s_delay_alu instid0(VALU_DEP_3)
	v_cmpx_lt_u32_e64 v28, v51
	s_cbranch_execz .LBB749_400
; %bb.393:
	s_delay_alu instid0(VALU_DEP_3) | instskip(SKIP_1) | instid1(SALU_CYCLE_1)
	v_cmp_lt_u32_e64 s24, v29, v50
	s_xor_b32 s0, s5, -1
	s_and_b32 s0, s24, s0
	s_delay_alu instid0(SALU_CYCLE_1)
	s_and_saveexec_b32 s26, s0
	s_cbranch_execz .LBB749_399
; %bb.394:
	v_mul_u64_e32 v[8:9], s[12:13], v[6:7]
	v_mul_u64_e32 v[26:27], s[12:13], v[24:25]
	s_mov_b32 s27, 0
	s_mov_b64 s[6:7], s[12:13]
                                        ; implicit-def: $sgpr28
                                        ; implicit-def: $sgpr29
                                        ; implicit-def: $sgpr30
                                        ; implicit-def: $sgpr31
	s_delay_alu instid0(VALU_DEP_2) | instskip(NEXT) | instid1(VALU_DEP_2)
	v_lshl_add_u64 v[8:9], v[8:9], 3, s[14:15]
	v_lshl_add_u64 v[26:27], v[26:27], 3, s[14:15]
	s_branch .LBB749_396
.LBB749_395:                            ;   in Loop: Header=BB749_396 Depth=1
	s_or_b32 exec_lo, exec_lo, s0
	s_delay_alu instid0(SALU_CYCLE_1) | instskip(NEXT) | instid1(SALU_CYCLE_1)
	s_and_b32 s0, exec_lo, s29
	s_or_b32 s27, s0, s27
	s_and_not1_b32 s0, s31, exec_lo
	s_and_b32 s31, s33, exec_lo
	s_and_not1_b32 s28, s28, exec_lo
	s_and_b32 s33, s30, exec_lo
	s_or_b32 s31, s0, s31
	s_or_b32 s28, s28, s33
	s_and_not1_b32 exec_lo, exec_lo, s27
	s_cbranch_execz .LBB749_398
.LBB749_396:                            ; =>This Inner Loop Header: Depth=1
	global_load_b64 v[30:31], v[8:9], off
	global_load_b64 v[32:33], v[26:27], off
	s_and_not1_b32 s30, s30, exec_lo
	s_or_b32 s29, s29, exec_lo
	s_wait_loadcnt 0x0
	v_cmp_ngt_f64_e32 vcc_lo, v[30:31], v[32:33]
	v_cmp_lt_f64_e64 s0, v[30:31], v[32:33]
	s_and_b32 s33, vcc_lo, s31
	s_xor_b32 s35, s0, vcc_lo
	s_or_b32 s33, s0, s33
	s_delay_alu instid0(SALU_CYCLE_1) | instskip(NEXT) | instid1(SALU_CYCLE_1)
	s_and_b32 s34, s33, exec_lo
	s_or_b32 s30, s30, s34
	s_and_saveexec_b32 s0, s35
	s_cbranch_execz .LBB749_395
; %bb.397:                              ;   in Loop: Header=BB749_396 Depth=1
	s_add_nc_u64 s[6:7], s[6:7], -1
	v_add_nc_u64_e32 v[8:9], 8, v[8:9]
	s_cmp_eq_u64 s[6:7], 0
	v_add_nc_u64_e32 v[26:27], 8, v[26:27]
	s_cselect_b32 s31, -1, 0
	s_and_not1_b32 s29, s29, exec_lo
	s_and_b32 s31, s31, exec_lo
	s_and_not1_b32 s30, s30, exec_lo
	s_or_b32 s29, s29, s31
                                        ; implicit-def: $sgpr31
	s_branch .LBB749_395
.LBB749_398:
	s_or_b32 exec_lo, exec_lo, s27
	s_xor_b32 s0, s28, -1
	s_and_not1_b32 s6, s24, exec_lo
	s_and_b32 s0, s0, exec_lo
	s_delay_alu instid0(SALU_CYCLE_1)
	s_or_b32 s24, s6, s0
.LBB749_399:
	s_or_b32 exec_lo, exec_lo, s26
	s_delay_alu instid0(SALU_CYCLE_1)
	s_or_not1_b32 s24, s24, exec_lo
.LBB749_400:
	s_or_b32 exec_lo, exec_lo, s25
	v_dual_cndmask_b32 v8, v28, v29, s24 :: v_dual_cndmask_b32 v9, v51, v50, s24
	s_mov_b32 s25, -1
	s_mov_b32 s26, -1
	s_mov_b32 s27, exec_lo
	s_delay_alu instid0(VALU_DEP_1) | instskip(NEXT) | instid1(VALU_DEP_1)
	v_add_nc_u32_e32 v8, 1, v8
	v_add_min_u32_e64 v9, v9, -1, v8
	s_delay_alu instid0(VALU_DEP_1)
	v_lshl_add_u32 v9, v9, 3, v46
	ds_load_b64 v[26:27], v9
	s_wait_dscnt 0x0
	v_dual_cndmask_b32 v9, v27, v7, s24 :: v_dual_cndmask_b32 v32, v8, v28, s24
	v_dual_cndmask_b32 v33, v29, v8, s24 :: v_dual_cndmask_b32 v8, v26, v6, s24
	;; [unrolled: 1-line block ×3, first 2 shown]
	s_delay_alu instid0(VALU_DEP_3)
	v_cmpx_lt_u32_e64 v32, v51
	s_cbranch_execz .LBB749_408
; %bb.401:
	s_delay_alu instid0(VALU_DEP_3) | instskip(SKIP_1) | instid1(SALU_CYCLE_1)
	v_cmp_lt_u32_e64 s26, v33, v50
	s_xor_b32 s0, s5, -1
	s_and_b32 s0, s26, s0
	s_delay_alu instid0(SALU_CYCLE_1)
	s_and_saveexec_b32 s28, s0
	s_cbranch_execz .LBB749_407
; %bb.402:
	v_mul_u64_e32 v[28:29], s[12:13], v[8:9]
	v_mul_u64_e32 v[30:31], s[12:13], v[26:27]
	s_mov_b32 s29, 0
	s_mov_b64 s[6:7], s[12:13]
                                        ; implicit-def: $sgpr30
                                        ; implicit-def: $sgpr31
                                        ; implicit-def: $sgpr33
                                        ; implicit-def: $sgpr34
	s_delay_alu instid0(VALU_DEP_2) | instskip(NEXT) | instid1(VALU_DEP_2)
	v_lshl_add_u64 v[28:29], v[28:29], 3, s[14:15]
	v_lshl_add_u64 v[30:31], v[30:31], 3, s[14:15]
	s_branch .LBB749_404
.LBB749_403:                            ;   in Loop: Header=BB749_404 Depth=1
	s_or_b32 exec_lo, exec_lo, s0
	s_delay_alu instid0(SALU_CYCLE_1) | instskip(NEXT) | instid1(SALU_CYCLE_1)
	s_and_b32 s0, exec_lo, s31
	s_or_b32 s29, s0, s29
	s_and_not1_b32 s0, s34, exec_lo
	s_and_b32 s34, s35, exec_lo
	s_and_not1_b32 s30, s30, exec_lo
	s_and_b32 s35, s33, exec_lo
	s_or_b32 s34, s0, s34
	s_or_b32 s30, s30, s35
	s_and_not1_b32 exec_lo, exec_lo, s29
	s_cbranch_execz .LBB749_406
.LBB749_404:                            ; =>This Inner Loop Header: Depth=1
	global_load_b64 v[34:35], v[28:29], off
	global_load_b64 v[52:53], v[30:31], off
	s_and_not1_b32 s33, s33, exec_lo
	s_or_b32 s31, s31, exec_lo
	s_wait_loadcnt 0x0
	v_cmp_ngt_f64_e32 vcc_lo, v[34:35], v[52:53]
	v_cmp_lt_f64_e64 s0, v[34:35], v[52:53]
	s_and_b32 s35, vcc_lo, s34
	s_xor_b32 s37, s0, vcc_lo
	s_or_b32 s35, s0, s35
	s_delay_alu instid0(SALU_CYCLE_1) | instskip(NEXT) | instid1(SALU_CYCLE_1)
	s_and_b32 s36, s35, exec_lo
	s_or_b32 s33, s33, s36
	s_and_saveexec_b32 s0, s37
	s_cbranch_execz .LBB749_403
; %bb.405:                              ;   in Loop: Header=BB749_404 Depth=1
	s_add_nc_u64 s[6:7], s[6:7], -1
	v_add_nc_u64_e32 v[28:29], 8, v[28:29]
	s_cmp_eq_u64 s[6:7], 0
	v_add_nc_u64_e32 v[30:31], 8, v[30:31]
	s_cselect_b32 s34, -1, 0
	s_and_not1_b32 s31, s31, exec_lo
	s_and_b32 s34, s34, exec_lo
	s_and_not1_b32 s33, s33, exec_lo
	s_or_b32 s31, s31, s34
                                        ; implicit-def: $sgpr34
	s_branch .LBB749_403
.LBB749_406:
	s_or_b32 exec_lo, exec_lo, s29
	s_xor_b32 s0, s30, -1
	s_and_not1_b32 s6, s26, exec_lo
	s_and_b32 s0, s0, exec_lo
	s_delay_alu instid0(SALU_CYCLE_1)
	s_or_b32 s26, s6, s0
.LBB749_407:
	s_or_b32 exec_lo, exec_lo, s28
	s_delay_alu instid0(SALU_CYCLE_1)
	s_or_not1_b32 s26, s26, exec_lo
.LBB749_408:
	s_or_b32 exec_lo, exec_lo, s27
	v_dual_cndmask_b32 v28, v32, v33, s26 :: v_dual_cndmask_b32 v29, v51, v50, s26
	s_mov_b32 s27, exec_lo
	s_delay_alu instid0(VALU_DEP_1) | instskip(NEXT) | instid1(VALU_DEP_1)
	v_add_nc_u32_e32 v28, 1, v28
	v_add_min_u32_e64 v29, v29, -1, v28
	s_delay_alu instid0(VALU_DEP_1)
	v_lshl_add_u32 v29, v29, 3, v46
	ds_load_b64 v[30:31], v29
	s_wait_dscnt 0x0
	v_dual_cndmask_b32 v29, v31, v9, s26 :: v_dual_cndmask_b32 v53, v28, v32, s26
	v_dual_cndmask_b32 v31, v27, v31, s26 :: v_dual_cndmask_b32 v52, v33, v28, s26
	v_cndmask_b32_e64 v28, v30, v8, s26
	v_cndmask_b32_e64 v30, v26, v30, s26
	s_delay_alu instid0(VALU_DEP_4)
	v_cmpx_lt_u32_e64 v53, v51
	s_cbranch_execz .LBB749_416
; %bb.409:
	v_cmp_lt_u32_e64 s25, v52, v50
	s_xor_b32 s0, s5, -1
	s_delay_alu instid0(SALU_CYCLE_1) | instskip(NEXT) | instid1(SALU_CYCLE_1)
	s_and_b32 s0, s25, s0
	s_and_saveexec_b32 s28, s0
	s_cbranch_execz .LBB749_415
; %bb.410:
	v_mul_u64_e32 v[32:33], s[12:13], v[28:29]
	v_mul_u64_e32 v[34:35], s[12:13], v[30:31]
	s_mov_b32 s29, 0
	s_mov_b64 s[6:7], s[12:13]
                                        ; implicit-def: $sgpr30
                                        ; implicit-def: $sgpr31
                                        ; implicit-def: $sgpr33
                                        ; implicit-def: $sgpr34
	s_delay_alu instid0(VALU_DEP_2) | instskip(NEXT) | instid1(VALU_DEP_2)
	v_lshl_add_u64 v[32:33], v[32:33], 3, s[14:15]
	v_lshl_add_u64 v[34:35], v[34:35], 3, s[14:15]
	s_branch .LBB749_412
.LBB749_411:                            ;   in Loop: Header=BB749_412 Depth=1
	s_or_b32 exec_lo, exec_lo, s0
	s_delay_alu instid0(SALU_CYCLE_1) | instskip(NEXT) | instid1(SALU_CYCLE_1)
	s_and_b32 s0, exec_lo, s31
	s_or_b32 s29, s0, s29
	s_and_not1_b32 s0, s34, exec_lo
	s_and_b32 s34, s35, exec_lo
	s_and_not1_b32 s30, s30, exec_lo
	s_and_b32 s35, s33, exec_lo
	s_or_b32 s34, s0, s34
	s_or_b32 s30, s30, s35
	s_and_not1_b32 exec_lo, exec_lo, s29
	s_cbranch_execz .LBB749_414
.LBB749_412:                            ; =>This Inner Loop Header: Depth=1
	global_load_b64 v[54:55], v[32:33], off
	global_load_b64 v[56:57], v[34:35], off
	s_and_not1_b32 s33, s33, exec_lo
	s_or_b32 s31, s31, exec_lo
	s_wait_loadcnt 0x0
	v_cmp_ngt_f64_e32 vcc_lo, v[54:55], v[56:57]
	v_cmp_lt_f64_e64 s0, v[54:55], v[56:57]
	s_and_b32 s35, vcc_lo, s34
	s_xor_b32 s37, s0, vcc_lo
	s_or_b32 s35, s0, s35
	s_delay_alu instid0(SALU_CYCLE_1) | instskip(NEXT) | instid1(SALU_CYCLE_1)
	s_and_b32 s36, s35, exec_lo
	s_or_b32 s33, s33, s36
	s_and_saveexec_b32 s0, s37
	s_cbranch_execz .LBB749_411
; %bb.413:                              ;   in Loop: Header=BB749_412 Depth=1
	s_add_nc_u64 s[6:7], s[6:7], -1
	v_add_nc_u64_e32 v[32:33], 8, v[32:33]
	s_cmp_eq_u64 s[6:7], 0
	v_add_nc_u64_e32 v[34:35], 8, v[34:35]
	s_cselect_b32 s34, -1, 0
	s_and_not1_b32 s31, s31, exec_lo
	s_and_b32 s34, s34, exec_lo
	s_and_not1_b32 s33, s33, exec_lo
	s_or_b32 s31, s31, s34
                                        ; implicit-def: $sgpr34
	s_branch .LBB749_411
.LBB749_414:
	s_or_b32 exec_lo, exec_lo, s29
	s_xor_b32 s0, s30, -1
	s_and_not1_b32 s6, s25, exec_lo
	s_and_b32 s0, s0, exec_lo
	s_delay_alu instid0(SALU_CYCLE_1)
	s_or_b32 s25, s6, s0
.LBB749_415:
	s_or_b32 exec_lo, exec_lo, s28
	s_delay_alu instid0(SALU_CYCLE_1)
	s_or_not1_b32 s25, s25, exec_lo
.LBB749_416:
	s_or_b32 exec_lo, exec_lo, s27
	v_dual_cndmask_b32 v32, v53, v52, s25 :: v_dual_cndmask_b32 v33, v51, v50, s25
	v_dual_cndmask_b32 v8, v8, v26, s26 :: v_dual_cndmask_b32 v7, v7, v25, s24
	;; [unrolled: 1-line block ×3, first 2 shown]
	s_delay_alu instid0(VALU_DEP_3) | instskip(SKIP_2) | instid1(VALU_DEP_3)
	v_dual_add_nc_u32 v34, 1, v32 :: v_dual_cndmask_b32 v9, v9, v27, s26
	v_dual_cndmask_b32 v12, v12, v22, s23 :: v_dual_cndmask_b32 v11, v11, v21, s22
	v_dual_cndmask_b32 v10, v10, v20, s22 :: v_dual_cndmask_b32 v17, v15, v17, s21
	v_add_min_u32_e64 v32, v33, -1, v34
	v_dual_cndmask_b32 v16, v14, v16, s21 :: v_dual_cndmask_b32 v15, v5, v3, s1
	v_dual_cndmask_b32 v14, v4, v2, s1 :: v_dual_cndmask_b32 v20, v34, v53, s25
	s_delay_alu instid0(VALU_DEP_3)
	v_lshl_add_u32 v32, v32, 3, v46
	v_dual_cndmask_b32 v3, v29, v31, s25 :: v_dual_cndmask_b32 v2, v28, v30, s25
	s_mov_b32 s1, exec_lo
	ds_load_b64 v[32:33], v32
	s_wait_dscnt 0x0
	v_dual_cndmask_b32 v5, v31, v33, s25 :: v_dual_cndmask_b32 v4, v30, v32, s25
	v_cmpx_lt_u32_e64 v20, v51
	s_cbranch_execz .LBB749_424
; %bb.417:
	v_dual_cndmask_b32 v22, v52, v34, s25 :: v_dual_cndmask_b32 v21, v33, v29, s25
	s_delay_alu instid0(VALU_DEP_1) | instskip(NEXT) | instid1(VALU_DEP_2)
	v_cmp_ge_u32_e32 vcc_lo, v22, v50
	v_dual_cndmask_b32 v20, v32, v28, s25 :: v_dual_cndmask_b32 v23, v5, v21, vcc_lo
	s_delay_alu instid0(VALU_DEP_1) | instskip(SKIP_1) | instid1(SALU_CYCLE_1)
	v_cndmask_b32_e32 v22, v4, v20, vcc_lo
	s_nor_b32 s0, vcc_lo, s5
	s_and_saveexec_b32 s21, s0
	s_cbranch_execz .LBB749_423
; %bb.418:
	v_mul_u64_e32 v[22:23], s[12:13], v[20:21]
	v_mul_u64_e32 v[24:25], s[12:13], v[4:5]
	s_mov_b32 s22, 0
	s_mov_b64 s[6:7], s[12:13]
                                        ; implicit-def: $sgpr23
                                        ; implicit-def: $sgpr24
                                        ; implicit-def: $sgpr25
                                        ; implicit-def: $sgpr26
	s_delay_alu instid0(VALU_DEP_2) | instskip(NEXT) | instid1(VALU_DEP_2)
	v_lshl_add_u64 v[22:23], v[22:23], 3, s[14:15]
	v_lshl_add_u64 v[24:25], v[24:25], 3, s[14:15]
	s_branch .LBB749_420
.LBB749_419:                            ;   in Loop: Header=BB749_420 Depth=1
	s_or_b32 exec_lo, exec_lo, s0
	s_delay_alu instid0(SALU_CYCLE_1) | instskip(NEXT) | instid1(SALU_CYCLE_1)
	s_and_b32 s0, exec_lo, s24
	s_or_b32 s22, s0, s22
	s_and_not1_b32 s0, s26, exec_lo
	s_and_b32 s26, s27, exec_lo
	s_and_not1_b32 s23, s23, exec_lo
	s_and_b32 s27, s25, exec_lo
	s_or_b32 s26, s0, s26
	s_or_b32 s23, s23, s27
	s_and_not1_b32 exec_lo, exec_lo, s22
	s_cbranch_execz .LBB749_422
.LBB749_420:                            ; =>This Inner Loop Header: Depth=1
	global_load_b64 v[26:27], v[22:23], off
	global_load_b64 v[28:29], v[24:25], off
	s_and_not1_b32 s25, s25, exec_lo
	s_or_b32 s24, s24, exec_lo
	s_wait_loadcnt 0x0
	v_cmp_ngt_f64_e32 vcc_lo, v[26:27], v[28:29]
	v_cmp_lt_f64_e64 s0, v[26:27], v[28:29]
	s_and_b32 s27, vcc_lo, s26
	s_xor_b32 s29, s0, vcc_lo
	s_or_b32 s27, s0, s27
	s_delay_alu instid0(SALU_CYCLE_1) | instskip(NEXT) | instid1(SALU_CYCLE_1)
	s_and_b32 s28, s27, exec_lo
	s_or_b32 s25, s25, s28
	s_and_saveexec_b32 s0, s29
	s_cbranch_execz .LBB749_419
; %bb.421:                              ;   in Loop: Header=BB749_420 Depth=1
	s_add_nc_u64 s[6:7], s[6:7], -1
	v_add_nc_u64_e32 v[22:23], 8, v[22:23]
	s_cmp_eq_u64 s[6:7], 0
	v_add_nc_u64_e32 v[24:25], 8, v[24:25]
	s_cselect_b32 s26, -1, 0
	s_and_not1_b32 s24, s24, exec_lo
	s_and_b32 s26, s26, exec_lo
	s_and_not1_b32 s25, s25, exec_lo
	s_or_b32 s24, s24, s26
                                        ; implicit-def: $sgpr26
	s_branch .LBB749_419
.LBB749_422:
	s_or_b32 exec_lo, exec_lo, s22
	v_dual_cndmask_b32 v23, v5, v21, s23 :: v_dual_cndmask_b32 v22, v4, v20, s23
.LBB749_423:
	s_or_b32 exec_lo, exec_lo, s21
	s_delay_alu instid0(VALU_DEP_1)
	v_mov_b64_e32 v[4:5], v[22:23]
.LBB749_424:
	s_or_b32 exec_lo, exec_lo, s1
.LBB749_425:
	s_delay_alu instid0(SALU_CYCLE_1)
	s_or_b32 exec_lo, exec_lo, s20
	v_and_b32_e32 v26, 0x80, v48
	s_mov_b32 s1, exec_lo
	; wave barrier
	ds_store_b128 v49, v[14:17]
	ds_store_b128 v49, v[10:13] offset:16
	v_or_b32_e32 v20, 64, v26
	v_lshl_add_u32 v25, v26, 3, v46
	ds_store_b128 v49, v[6:9] offset:32
	ds_store_b128 v49, v[2:5] offset:48
	; wave barrier
	v_min_u32_e32 v50, v47, v20
	v_and_b32_e32 v20, 0x78, v48
	s_delay_alu instid0(VALU_DEP_2) | instskip(NEXT) | instid1(VALU_DEP_2)
	v_add_min_u32_e64 v48, v50, 64, v47
	v_min_u32_e32 v27, v47, v20
	v_sub_nc_u32_e32 v21, v50, v26
	s_delay_alu instid0(VALU_DEP_3) | instskip(NEXT) | instid1(VALU_DEP_2)
	v_sub_nc_u32_e32 v20, v48, v50
	v_min_u32_e32 v28, v27, v21
	s_delay_alu instid0(VALU_DEP_2) | instskip(NEXT) | instid1(VALU_DEP_1)
	v_sub_nc_u32_e64 v24, v27, v20 clamp
	v_cmpx_lt_u32_e64 v24, v28
	s_cbranch_execz .LBB749_435
; %bb.426:
	v_dual_lshlrev_b32 v20, 3, v50 :: v_dual_lshlrev_b32 v21, 3, v27
	s_lshl_b64 s[6:7], s[12:13], 3
	s_mov_b32 s22, 0
	s_delay_alu instid0(VALU_DEP_1)
	v_add3_u32 v29, v46, v20, v21
	s_branch .LBB749_429
.LBB749_427:                            ;   in Loop: Header=BB749_429 Depth=1
	s_or_b32 exec_lo, exec_lo, s24
.LBB749_428:                            ;   in Loop: Header=BB749_429 Depth=1
	s_delay_alu instid0(VALU_DEP_1) | instskip(NEXT) | instid1(VALU_DEP_1)
	v_dual_add_nc_u32 v20, 1, v30 :: v_dual_cndmask_b32 v28, v28, v30, s23
	v_cndmask_b32_e64 v24, v20, v24, s23
	s_delay_alu instid0(VALU_DEP_1) | instskip(SKIP_1) | instid1(SALU_CYCLE_1)
	v_cmp_ge_u32_e32 vcc_lo, v24, v28
	s_or_b32 s22, vcc_lo, s22
	s_and_not1_b32 exec_lo, exec_lo, s22
	s_cbranch_execz .LBB749_434
.LBB749_429:                            ; =>This Loop Header: Depth=1
                                        ;     Child Loop BB749_432 Depth 2
	v_add_nc_u32_e32 v20, v28, v24
	v_cmp_ne_u32_e32 vcc_lo, 1, v45
	s_mov_b32 s23, 0
	s_delay_alu instid0(VALU_DEP_2)
	v_lshrrev_b32_e32 v30, 1, v20
	s_cbranch_vccnz .LBB749_428
; %bb.430:                              ;   in Loop: Header=BB749_429 Depth=1
	s_delay_alu instid0(VALU_DEP_1) | instskip(SKIP_3) | instid1(VALU_DEP_2)
	v_not_b32_e32 v20, v30
	v_lshl_add_u32 v21, v30, 3, v25
	s_mov_b32 s24, 0
	s_mov_b64 s[20:21], s[12:13]
                                        ; implicit-def: $sgpr23
                                        ; implicit-def: $sgpr25
                                        ; implicit-def: $sgpr26
                                        ; implicit-def: $sgpr27
	v_lshl_add_u32 v20, v20, 3, v29
	ds_load_b64 v[32:33], v20
	ds_load_b64 v[34:35], v21
	s_wait_dscnt 0x1
	v_mad_nc_u64_u32 v[20:21], s6, v32, s[14:15]
	s_wait_dscnt 0x0
	v_mad_nc_u64_u32 v[22:23], s6, v34, s[14:15]
	s_delay_alu instid0(VALU_DEP_2) | instskip(NEXT) | instid1(VALU_DEP_2)
	v_mad_u32 v21, s7, v32, v21
	v_mad_u32 v23, s7, v34, v23
	s_delay_alu instid0(VALU_DEP_2) | instskip(NEXT) | instid1(VALU_DEP_2)
	v_mad_u32 v21, s6, v33, v21
	v_mad_u32 v23, s6, v35, v23
	s_branch .LBB749_432
.LBB749_431:                            ;   in Loop: Header=BB749_432 Depth=2
	s_or_b32 exec_lo, exec_lo, s0
	s_delay_alu instid0(SALU_CYCLE_1) | instskip(NEXT) | instid1(SALU_CYCLE_1)
	s_and_b32 s0, exec_lo, s25
	s_or_b32 s24, s0, s24
	s_and_not1_b32 s0, s27, exec_lo
	s_and_b32 s27, s28, exec_lo
	s_and_not1_b32 s23, s23, exec_lo
	s_and_b32 s28, s26, exec_lo
	s_or_b32 s27, s0, s27
	s_or_b32 s23, s23, s28
	s_and_not1_b32 exec_lo, exec_lo, s24
	s_cbranch_execz .LBB749_427
.LBB749_432:                            ;   Parent Loop BB749_429 Depth=1
                                        ; =>  This Inner Loop Header: Depth=2
	global_load_b64 v[32:33], v[20:21], off
	global_load_b64 v[34:35], v[22:23], off
	s_and_not1_b32 s26, s26, exec_lo
	s_or_b32 s25, s25, exec_lo
	s_wait_loadcnt 0x0
	v_cmp_ngt_f64_e32 vcc_lo, v[32:33], v[34:35]
	v_cmp_lt_f64_e64 s0, v[32:33], v[34:35]
	s_and_b32 s28, vcc_lo, s27
	s_xor_b32 s30, s0, vcc_lo
	s_or_b32 s28, s0, s28
	s_delay_alu instid0(SALU_CYCLE_1) | instskip(NEXT) | instid1(SALU_CYCLE_1)
	s_and_b32 s29, s28, exec_lo
	s_or_b32 s26, s26, s29
	s_and_saveexec_b32 s0, s30
	s_cbranch_execz .LBB749_431
; %bb.433:                              ;   in Loop: Header=BB749_432 Depth=2
	s_add_nc_u64 s[20:21], s[20:21], -1
	v_add_nc_u64_e32 v[20:21], 8, v[20:21]
	s_cmp_eq_u64 s[20:21], 0
	v_add_nc_u64_e32 v[22:23], 8, v[22:23]
	s_cselect_b32 s27, -1, 0
	s_and_not1_b32 s25, s25, exec_lo
	s_and_b32 s27, s27, exec_lo
	s_and_not1_b32 s26, s26, exec_lo
	s_or_b32 s25, s25, s27
                                        ; implicit-def: $sgpr27
	s_branch .LBB749_431
.LBB749_434:
	s_or_b32 exec_lo, exec_lo, s22
.LBB749_435:
	s_delay_alu instid0(SALU_CYCLE_1) | instskip(SKIP_1) | instid1(VALU_DEP_1)
	s_or_b32 exec_lo, exec_lo, s1
	v_dual_add_nc_u32 v21, v50, v27 :: v_dual_add_nc_u32 v20, v24, v26
	v_sub_nc_u32_e32 v21, v21, v24
	s_delay_alu instid0(VALU_DEP_2) | instskip(NEXT) | instid1(VALU_DEP_2)
	v_cmp_le_u32_e32 vcc_lo, v20, v50
	v_cmp_le_u32_e64 s0, v21, v48
	s_or_b32 s0, vcc_lo, s0
	s_delay_alu instid0(SALU_CYCLE_1)
	s_and_saveexec_b32 s20, s0
	s_cbranch_execz .LBB749_503
; %bb.436:
	s_mov_b32 s1, exec_lo
	v_cmp_ge_u32_e32 vcc_lo, v20, v50
                                        ; implicit-def: $vgpr2_vgpr3
	v_cmpx_lt_u32_e64 v20, v50
; %bb.437:
	v_lshl_add_u32 v2, v24, 3, v25
	ds_load_b64 v[2:3], v2
; %bb.438:
	s_or_b32 exec_lo, exec_lo, s1
	v_cmp_ge_u32_e64 s0, v21, v48
	s_mov_b32 s6, exec_lo
                                        ; implicit-def: $vgpr4_vgpr5
	v_cmpx_lt_u32_e64 v21, v48
; %bb.439:
	v_lshl_add_u32 v4, v21, 3, v46
	ds_load_b64 v[4:5], v4
; %bb.440:
	s_or_b32 exec_lo, exec_lo, s6
	s_or_b32 s1, vcc_lo, s0
	s_xor_b32 s6, vcc_lo, -1
	s_nor_b32 s7, s1, s5
	s_or_b32 s1, s0, s6
	s_and_saveexec_b32 s21, s7
	s_cbranch_execz .LBB749_446
; %bb.441:
	s_wait_dscnt 0x0
	v_mul_u64_e32 v[6:7], s[12:13], v[4:5]
	v_mul_u64_e32 v[8:9], s[12:13], v[2:3]
	s_mov_b32 s22, 0
	s_mov_b64 s[6:7], s[12:13]
                                        ; implicit-def: $sgpr23
                                        ; implicit-def: $sgpr24
                                        ; implicit-def: $sgpr25
                                        ; implicit-def: $sgpr26
	s_delay_alu instid0(VALU_DEP_2) | instskip(NEXT) | instid1(VALU_DEP_2)
	v_lshl_add_u64 v[6:7], v[6:7], 3, s[14:15]
	v_lshl_add_u64 v[8:9], v[8:9], 3, s[14:15]
	s_branch .LBB749_443
.LBB749_442:                            ;   in Loop: Header=BB749_443 Depth=1
	s_or_b32 exec_lo, exec_lo, s0
	s_delay_alu instid0(SALU_CYCLE_1) | instskip(NEXT) | instid1(SALU_CYCLE_1)
	s_and_b32 s0, exec_lo, s24
	s_or_b32 s22, s0, s22
	s_and_not1_b32 s0, s26, exec_lo
	s_and_b32 s26, s27, exec_lo
	s_and_not1_b32 s23, s23, exec_lo
	s_and_b32 s27, s25, exec_lo
	s_or_b32 s26, s0, s26
	s_or_b32 s23, s23, s27
	s_and_not1_b32 exec_lo, exec_lo, s22
	s_cbranch_execz .LBB749_445
.LBB749_443:                            ; =>This Inner Loop Header: Depth=1
	global_load_b64 v[10:11], v[6:7], off
	global_load_b64 v[12:13], v[8:9], off
	s_and_not1_b32 s25, s25, exec_lo
	s_or_b32 s24, s24, exec_lo
	s_wait_loadcnt 0x0
	v_cmp_ngt_f64_e32 vcc_lo, v[10:11], v[12:13]
	v_cmp_lt_f64_e64 s0, v[10:11], v[12:13]
	s_and_b32 s27, vcc_lo, s26
	s_xor_b32 s29, s0, vcc_lo
	s_or_b32 s27, s0, s27
	s_delay_alu instid0(SALU_CYCLE_1) | instskip(NEXT) | instid1(SALU_CYCLE_1)
	s_and_b32 s28, s27, exec_lo
	s_or_b32 s25, s25, s28
	s_and_saveexec_b32 s0, s29
	s_cbranch_execz .LBB749_442
; %bb.444:                              ;   in Loop: Header=BB749_443 Depth=1
	s_add_nc_u64 s[6:7], s[6:7], -1
	v_add_nc_u64_e32 v[6:7], 8, v[6:7]
	s_cmp_eq_u64 s[6:7], 0
	v_add_nc_u64_e32 v[8:9], 8, v[8:9]
	s_cselect_b32 s26, -1, 0
	s_and_not1_b32 s24, s24, exec_lo
	s_and_b32 s26, s26, exec_lo
	s_and_not1_b32 s25, s25, exec_lo
	s_or_b32 s24, s24, s26
                                        ; implicit-def: $sgpr26
	s_branch .LBB749_442
.LBB749_445:
	s_or_b32 exec_lo, exec_lo, s22
	s_xor_b32 s0, s23, -1
	s_and_not1_b32 s1, s1, exec_lo
	s_and_b32 s0, s0, exec_lo
	s_delay_alu instid0(SALU_CYCLE_1)
	s_or_b32 s1, s1, s0
.LBB749_446:
	s_or_b32 exec_lo, exec_lo, s21
	v_dual_cndmask_b32 v6, v21, v20, s1 :: v_dual_cndmask_b32 v7, v48, v50, s1
	s_mov_b32 s22, -1
	s_mov_b32 s21, -1
	s_mov_b32 s23, exec_lo
	s_delay_alu instid0(VALU_DEP_1) | instskip(NEXT) | instid1(VALU_DEP_1)
	v_add_nc_u32_e32 v8, 1, v6
	v_add_min_u32_e64 v6, v7, -1, v8
	s_delay_alu instid0(VALU_DEP_1)
	v_lshl_add_u32 v6, v6, 3, v46
	ds_load_b64 v[6:7], v6
	s_wait_dscnt 0x0
	v_cndmask_b32_e64 v15, v7, v5, s1
	v_dual_cndmask_b32 v10, v8, v21, s1 :: v_dual_cndmask_b32 v14, v6, v4, s1
	v_dual_cndmask_b32 v11, v20, v8, s1 :: v_dual_cndmask_b32 v17, v3, v7, s1
	v_cndmask_b32_e64 v16, v2, v6, s1
	s_delay_alu instid0(VALU_DEP_3)
	v_cmpx_lt_u32_e64 v10, v48
	s_cbranch_execz .LBB749_454
; %bb.447:
	s_delay_alu instid0(VALU_DEP_3) | instskip(SKIP_1) | instid1(SALU_CYCLE_1)
	v_cmp_lt_u32_e64 s21, v11, v50
	s_xor_b32 s0, s5, -1
	s_and_b32 s0, s21, s0
	s_delay_alu instid0(SALU_CYCLE_1)
	s_and_saveexec_b32 s24, s0
	s_cbranch_execz .LBB749_453
; %bb.448:
	v_mul_u64_e32 v[6:7], s[12:13], v[14:15]
	v_mul_u64_e32 v[8:9], s[12:13], v[16:17]
	s_mov_b32 s25, 0
	s_mov_b64 s[6:7], s[12:13]
                                        ; implicit-def: $sgpr26
                                        ; implicit-def: $sgpr27
                                        ; implicit-def: $sgpr28
                                        ; implicit-def: $sgpr29
	s_delay_alu instid0(VALU_DEP_2) | instskip(NEXT) | instid1(VALU_DEP_2)
	v_lshl_add_u64 v[6:7], v[6:7], 3, s[14:15]
	v_lshl_add_u64 v[8:9], v[8:9], 3, s[14:15]
	s_branch .LBB749_450
.LBB749_449:                            ;   in Loop: Header=BB749_450 Depth=1
	s_or_b32 exec_lo, exec_lo, s0
	s_delay_alu instid0(SALU_CYCLE_1) | instskip(NEXT) | instid1(SALU_CYCLE_1)
	s_and_b32 s0, exec_lo, s27
	s_or_b32 s25, s0, s25
	s_and_not1_b32 s0, s29, exec_lo
	s_and_b32 s29, s30, exec_lo
	s_and_not1_b32 s26, s26, exec_lo
	s_and_b32 s30, s28, exec_lo
	s_or_b32 s29, s0, s29
	s_or_b32 s26, s26, s30
	s_and_not1_b32 exec_lo, exec_lo, s25
	s_cbranch_execz .LBB749_452
.LBB749_450:                            ; =>This Inner Loop Header: Depth=1
	global_load_b64 v[12:13], v[6:7], off
	global_load_b64 v[20:21], v[8:9], off
	s_and_not1_b32 s28, s28, exec_lo
	s_or_b32 s27, s27, exec_lo
	s_wait_loadcnt 0x0
	v_cmp_ngt_f64_e32 vcc_lo, v[12:13], v[20:21]
	v_cmp_lt_f64_e64 s0, v[12:13], v[20:21]
	s_and_b32 s30, vcc_lo, s29
	s_xor_b32 s33, s0, vcc_lo
	s_or_b32 s30, s0, s30
	s_delay_alu instid0(SALU_CYCLE_1) | instskip(NEXT) | instid1(SALU_CYCLE_1)
	s_and_b32 s31, s30, exec_lo
	s_or_b32 s28, s28, s31
	s_and_saveexec_b32 s0, s33
	s_cbranch_execz .LBB749_449
; %bb.451:                              ;   in Loop: Header=BB749_450 Depth=1
	s_add_nc_u64 s[6:7], s[6:7], -1
	v_add_nc_u64_e32 v[6:7], 8, v[6:7]
	s_cmp_eq_u64 s[6:7], 0
	v_add_nc_u64_e32 v[8:9], 8, v[8:9]
	s_cselect_b32 s29, -1, 0
	s_and_not1_b32 s27, s27, exec_lo
	s_and_b32 s29, s29, exec_lo
	s_and_not1_b32 s28, s28, exec_lo
	s_or_b32 s27, s27, s29
                                        ; implicit-def: $sgpr29
	s_branch .LBB749_449
.LBB749_452:
	s_or_b32 exec_lo, exec_lo, s25
	s_xor_b32 s0, s26, -1
	s_and_not1_b32 s6, s21, exec_lo
	s_and_b32 s0, s0, exec_lo
	s_delay_alu instid0(SALU_CYCLE_1)
	s_or_b32 s21, s6, s0
.LBB749_453:
	s_or_b32 exec_lo, exec_lo, s24
	s_delay_alu instid0(SALU_CYCLE_1)
	s_or_not1_b32 s21, s21, exec_lo
.LBB749_454:
	s_or_b32 exec_lo, exec_lo, s23
	v_dual_cndmask_b32 v6, v10, v11, s21 :: v_dual_cndmask_b32 v7, v48, v50, s21
	s_mov_b32 s23, exec_lo
	s_delay_alu instid0(VALU_DEP_1) | instskip(NEXT) | instid1(VALU_DEP_1)
	v_add_nc_u32_e32 v8, 1, v6
	v_add_min_u32_e64 v6, v7, -1, v8
	s_delay_alu instid0(VALU_DEP_1)
	v_lshl_add_u32 v6, v6, 3, v46
	ds_load_b64 v[6:7], v6
	v_cndmask_b32_e64 v13, v11, v8, s21
	s_wait_dscnt 0x0
	v_dual_cndmask_b32 v11, v7, v15, s21 :: v_dual_cndmask_b32 v12, v8, v10, s21
	v_dual_cndmask_b32 v21, v17, v7, s21 :: v_dual_cndmask_b32 v10, v6, v14, s21
	v_cndmask_b32_e64 v20, v16, v6, s21
	s_delay_alu instid0(VALU_DEP_3)
	v_cmpx_lt_u32_e64 v12, v48
	s_cbranch_execz .LBB749_462
; %bb.455:
	v_cmp_lt_u32_e64 s22, v13, v50
	s_xor_b32 s0, s5, -1
	s_delay_alu instid0(SALU_CYCLE_1) | instskip(NEXT) | instid1(SALU_CYCLE_1)
	s_and_b32 s0, s22, s0
	s_and_saveexec_b32 s24, s0
	s_cbranch_execz .LBB749_461
; %bb.456:
	v_mul_u64_e32 v[6:7], s[12:13], v[10:11]
	v_mul_u64_e32 v[8:9], s[12:13], v[20:21]
	s_mov_b32 s25, 0
	s_mov_b64 s[6:7], s[12:13]
                                        ; implicit-def: $sgpr26
                                        ; implicit-def: $sgpr27
                                        ; implicit-def: $sgpr28
                                        ; implicit-def: $sgpr29
	s_delay_alu instid0(VALU_DEP_2) | instskip(NEXT) | instid1(VALU_DEP_2)
	v_lshl_add_u64 v[6:7], v[6:7], 3, s[14:15]
	v_lshl_add_u64 v[8:9], v[8:9], 3, s[14:15]
	s_branch .LBB749_458
.LBB749_457:                            ;   in Loop: Header=BB749_458 Depth=1
	s_or_b32 exec_lo, exec_lo, s0
	s_delay_alu instid0(SALU_CYCLE_1) | instskip(NEXT) | instid1(SALU_CYCLE_1)
	s_and_b32 s0, exec_lo, s27
	s_or_b32 s25, s0, s25
	s_and_not1_b32 s0, s29, exec_lo
	s_and_b32 s29, s30, exec_lo
	s_and_not1_b32 s26, s26, exec_lo
	s_and_b32 s30, s28, exec_lo
	s_or_b32 s29, s0, s29
	s_or_b32 s26, s26, s30
	s_and_not1_b32 exec_lo, exec_lo, s25
	s_cbranch_execz .LBB749_460
.LBB749_458:                            ; =>This Inner Loop Header: Depth=1
	global_load_b64 v[22:23], v[6:7], off
	global_load_b64 v[24:25], v[8:9], off
	s_and_not1_b32 s28, s28, exec_lo
	s_or_b32 s27, s27, exec_lo
	s_wait_loadcnt 0x0
	v_cmp_ngt_f64_e32 vcc_lo, v[22:23], v[24:25]
	v_cmp_lt_f64_e64 s0, v[22:23], v[24:25]
	s_and_b32 s30, vcc_lo, s29
	s_xor_b32 s33, s0, vcc_lo
	s_or_b32 s30, s0, s30
	s_delay_alu instid0(SALU_CYCLE_1) | instskip(NEXT) | instid1(SALU_CYCLE_1)
	s_and_b32 s31, s30, exec_lo
	s_or_b32 s28, s28, s31
	s_and_saveexec_b32 s0, s33
	s_cbranch_execz .LBB749_457
; %bb.459:                              ;   in Loop: Header=BB749_458 Depth=1
	s_add_nc_u64 s[6:7], s[6:7], -1
	v_add_nc_u64_e32 v[6:7], 8, v[6:7]
	s_cmp_eq_u64 s[6:7], 0
	v_add_nc_u64_e32 v[8:9], 8, v[8:9]
	s_cselect_b32 s29, -1, 0
	s_and_not1_b32 s27, s27, exec_lo
	s_and_b32 s29, s29, exec_lo
	s_and_not1_b32 s28, s28, exec_lo
	s_or_b32 s27, s27, s29
                                        ; implicit-def: $sgpr29
	s_branch .LBB749_457
.LBB749_460:
	s_or_b32 exec_lo, exec_lo, s25
	s_xor_b32 s0, s26, -1
	s_and_not1_b32 s6, s22, exec_lo
	s_and_b32 s0, s0, exec_lo
	s_delay_alu instid0(SALU_CYCLE_1)
	s_or_b32 s22, s6, s0
.LBB749_461:
	s_or_b32 exec_lo, exec_lo, s24
	s_delay_alu instid0(SALU_CYCLE_1)
	s_or_not1_b32 s22, s22, exec_lo
.LBB749_462:
	s_or_b32 exec_lo, exec_lo, s23
	v_cndmask_b32_e64 v6, v12, v13, s22
	v_cndmask_b32_e64 v7, v48, v50, s22
	s_mov_b32 s24, -1
	s_mov_b32 s23, -1
	s_mov_b32 s25, exec_lo
	v_add_nc_u32_e32 v8, 1, v6
	s_delay_alu instid0(VALU_DEP_1) | instskip(SKIP_1) | instid1(VALU_DEP_2)
	v_add_min_u32_e64 v6, v7, -1, v8
	v_cndmask_b32_e64 v25, v13, v8, s22
	v_lshl_add_u32 v6, v6, 3, v46
	ds_load_b64 v[6:7], v6
	s_wait_dscnt 0x0
	v_dual_cndmask_b32 v13, v7, v11, s22 :: v_dual_cndmask_b32 v24, v8, v12, s22
	v_dual_cndmask_b32 v12, v6, v10, s22 :: v_dual_cndmask_b32 v23, v21, v7, s22
	v_cndmask_b32_e64 v22, v20, v6, s22
	s_delay_alu instid0(VALU_DEP_3)
	v_cmpx_lt_u32_e64 v24, v48
	s_cbranch_execz .LBB749_470
; %bb.463:
	v_cmp_lt_u32_e64 s23, v25, v50
	s_xor_b32 s0, s5, -1
	s_delay_alu instid0(SALU_CYCLE_1) | instskip(NEXT) | instid1(SALU_CYCLE_1)
	s_and_b32 s0, s23, s0
	s_and_saveexec_b32 s26, s0
	s_cbranch_execz .LBB749_469
; %bb.464:
	v_mul_u64_e32 v[6:7], s[12:13], v[12:13]
	v_mul_u64_e32 v[8:9], s[12:13], v[22:23]
	s_mov_b32 s27, 0
	s_mov_b64 s[6:7], s[12:13]
                                        ; implicit-def: $sgpr28
                                        ; implicit-def: $sgpr29
                                        ; implicit-def: $sgpr30
                                        ; implicit-def: $sgpr31
	s_delay_alu instid0(VALU_DEP_2) | instskip(NEXT) | instid1(VALU_DEP_2)
	v_lshl_add_u64 v[6:7], v[6:7], 3, s[14:15]
	v_lshl_add_u64 v[8:9], v[8:9], 3, s[14:15]
	s_branch .LBB749_466
.LBB749_465:                            ;   in Loop: Header=BB749_466 Depth=1
	s_or_b32 exec_lo, exec_lo, s0
	s_delay_alu instid0(SALU_CYCLE_1) | instskip(NEXT) | instid1(SALU_CYCLE_1)
	s_and_b32 s0, exec_lo, s29
	s_or_b32 s27, s0, s27
	s_and_not1_b32 s0, s31, exec_lo
	s_and_b32 s31, s33, exec_lo
	s_and_not1_b32 s28, s28, exec_lo
	s_and_b32 s33, s30, exec_lo
	s_or_b32 s31, s0, s31
	s_or_b32 s28, s28, s33
	s_and_not1_b32 exec_lo, exec_lo, s27
	s_cbranch_execz .LBB749_468
.LBB749_466:                            ; =>This Inner Loop Header: Depth=1
	global_load_b64 v[26:27], v[6:7], off
	global_load_b64 v[28:29], v[8:9], off
	s_and_not1_b32 s30, s30, exec_lo
	s_or_b32 s29, s29, exec_lo
	s_wait_loadcnt 0x0
	v_cmp_ngt_f64_e32 vcc_lo, v[26:27], v[28:29]
	v_cmp_lt_f64_e64 s0, v[26:27], v[28:29]
	s_and_b32 s33, vcc_lo, s31
	s_xor_b32 s35, s0, vcc_lo
	s_or_b32 s33, s0, s33
	s_delay_alu instid0(SALU_CYCLE_1) | instskip(NEXT) | instid1(SALU_CYCLE_1)
	s_and_b32 s34, s33, exec_lo
	s_or_b32 s30, s30, s34
	s_and_saveexec_b32 s0, s35
	s_cbranch_execz .LBB749_465
; %bb.467:                              ;   in Loop: Header=BB749_466 Depth=1
	s_add_nc_u64 s[6:7], s[6:7], -1
	v_add_nc_u64_e32 v[6:7], 8, v[6:7]
	s_cmp_eq_u64 s[6:7], 0
	v_add_nc_u64_e32 v[8:9], 8, v[8:9]
	s_cselect_b32 s31, -1, 0
	s_and_not1_b32 s29, s29, exec_lo
	s_and_b32 s31, s31, exec_lo
	s_and_not1_b32 s30, s30, exec_lo
	s_or_b32 s29, s29, s31
                                        ; implicit-def: $sgpr31
	s_branch .LBB749_465
.LBB749_468:
	s_or_b32 exec_lo, exec_lo, s27
	s_xor_b32 s0, s28, -1
	s_and_not1_b32 s6, s23, exec_lo
	s_and_b32 s0, s0, exec_lo
	s_delay_alu instid0(SALU_CYCLE_1)
	s_or_b32 s23, s6, s0
.LBB749_469:
	s_or_b32 exec_lo, exec_lo, s26
	s_delay_alu instid0(SALU_CYCLE_1)
	s_or_not1_b32 s23, s23, exec_lo
.LBB749_470:
	s_or_b32 exec_lo, exec_lo, s25
	v_cndmask_b32_e64 v6, v24, v25, s23
	s_mov_b32 s25, exec_lo
	s_delay_alu instid0(VALU_DEP_1) | instskip(NEXT) | instid1(VALU_DEP_1)
	v_add_nc_u32_e32 v6, 1, v6
	v_dual_cndmask_b32 v7, v48, v50, s23 :: v_dual_cndmask_b32 v28, v6, v24, s23
	s_delay_alu instid0(VALU_DEP_1) | instskip(NEXT) | instid1(VALU_DEP_1)
	v_add_min_u32_e64 v7, v7, -1, v6
	v_lshl_add_u32 v7, v7, 3, v46
	ds_load_b64 v[8:9], v7
	s_wait_dscnt 0x0
	v_cndmask_b32_e64 v7, v9, v13, s23
	v_dual_cndmask_b32 v29, v25, v6, s23 :: v_dual_cndmask_b32 v6, v8, v12, s23
	v_dual_cndmask_b32 v25, v23, v9, s23 :: v_dual_cndmask_b32 v24, v22, v8, s23
	v_cmpx_lt_u32_e64 v28, v48
	s_cbranch_execz .LBB749_478
; %bb.471:
	s_delay_alu instid0(VALU_DEP_3) | instskip(SKIP_1) | instid1(SALU_CYCLE_1)
	v_cmp_lt_u32_e64 s24, v29, v50
	s_xor_b32 s0, s5, -1
	s_and_b32 s0, s24, s0
	s_delay_alu instid0(SALU_CYCLE_1)
	s_and_saveexec_b32 s26, s0
	s_cbranch_execz .LBB749_477
; %bb.472:
	v_mul_u64_e32 v[8:9], s[12:13], v[6:7]
	v_mul_u64_e32 v[26:27], s[12:13], v[24:25]
	s_mov_b32 s27, 0
	s_mov_b64 s[6:7], s[12:13]
                                        ; implicit-def: $sgpr28
                                        ; implicit-def: $sgpr29
                                        ; implicit-def: $sgpr30
                                        ; implicit-def: $sgpr31
	s_delay_alu instid0(VALU_DEP_2) | instskip(NEXT) | instid1(VALU_DEP_2)
	v_lshl_add_u64 v[8:9], v[8:9], 3, s[14:15]
	v_lshl_add_u64 v[26:27], v[26:27], 3, s[14:15]
	s_branch .LBB749_474
.LBB749_473:                            ;   in Loop: Header=BB749_474 Depth=1
	s_or_b32 exec_lo, exec_lo, s0
	s_delay_alu instid0(SALU_CYCLE_1) | instskip(NEXT) | instid1(SALU_CYCLE_1)
	s_and_b32 s0, exec_lo, s29
	s_or_b32 s27, s0, s27
	s_and_not1_b32 s0, s31, exec_lo
	s_and_b32 s31, s33, exec_lo
	s_and_not1_b32 s28, s28, exec_lo
	s_and_b32 s33, s30, exec_lo
	s_or_b32 s31, s0, s31
	s_or_b32 s28, s28, s33
	s_and_not1_b32 exec_lo, exec_lo, s27
	s_cbranch_execz .LBB749_476
.LBB749_474:                            ; =>This Inner Loop Header: Depth=1
	global_load_b64 v[30:31], v[8:9], off
	global_load_b64 v[32:33], v[26:27], off
	s_and_not1_b32 s30, s30, exec_lo
	s_or_b32 s29, s29, exec_lo
	s_wait_loadcnt 0x0
	v_cmp_ngt_f64_e32 vcc_lo, v[30:31], v[32:33]
	v_cmp_lt_f64_e64 s0, v[30:31], v[32:33]
	s_and_b32 s33, vcc_lo, s31
	s_xor_b32 s35, s0, vcc_lo
	s_or_b32 s33, s0, s33
	s_delay_alu instid0(SALU_CYCLE_1) | instskip(NEXT) | instid1(SALU_CYCLE_1)
	s_and_b32 s34, s33, exec_lo
	s_or_b32 s30, s30, s34
	s_and_saveexec_b32 s0, s35
	s_cbranch_execz .LBB749_473
; %bb.475:                              ;   in Loop: Header=BB749_474 Depth=1
	s_add_nc_u64 s[6:7], s[6:7], -1
	v_add_nc_u64_e32 v[8:9], 8, v[8:9]
	s_cmp_eq_u64 s[6:7], 0
	v_add_nc_u64_e32 v[26:27], 8, v[26:27]
	s_cselect_b32 s31, -1, 0
	s_and_not1_b32 s29, s29, exec_lo
	s_and_b32 s31, s31, exec_lo
	s_and_not1_b32 s30, s30, exec_lo
	s_or_b32 s29, s29, s31
                                        ; implicit-def: $sgpr31
	s_branch .LBB749_473
.LBB749_476:
	s_or_b32 exec_lo, exec_lo, s27
	s_xor_b32 s0, s28, -1
	s_and_not1_b32 s6, s24, exec_lo
	s_and_b32 s0, s0, exec_lo
	s_delay_alu instid0(SALU_CYCLE_1)
	s_or_b32 s24, s6, s0
.LBB749_477:
	s_or_b32 exec_lo, exec_lo, s26
	s_delay_alu instid0(SALU_CYCLE_1)
	s_or_not1_b32 s24, s24, exec_lo
.LBB749_478:
	s_or_b32 exec_lo, exec_lo, s25
	v_cndmask_b32_e64 v8, v28, v29, s24
	v_cndmask_b32_e64 v9, v48, v50, s24
	s_mov_b32 s25, -1
	s_mov_b32 s26, -1
	s_mov_b32 s27, exec_lo
	v_add_nc_u32_e32 v8, 1, v8
	s_delay_alu instid0(VALU_DEP_1) | instskip(NEXT) | instid1(VALU_DEP_1)
	v_add_min_u32_e64 v9, v9, -1, v8
	v_lshl_add_u32 v9, v9, 3, v46
	ds_load_b64 v[26:27], v9
	v_cndmask_b32_e64 v32, v8, v28, s24
	s_wait_dscnt 0x0
	v_dual_cndmask_b32 v33, v29, v8, s24 :: v_dual_cndmask_b32 v9, v27, v7, s24
	v_dual_cndmask_b32 v8, v26, v6, s24 :: v_dual_cndmask_b32 v27, v25, v27, s24
	v_cndmask_b32_e64 v26, v24, v26, s24
	v_cmpx_lt_u32_e64 v32, v48
	s_cbranch_execz .LBB749_486
; %bb.479:
	v_cmp_lt_u32_e64 s26, v33, v50
	s_xor_b32 s0, s5, -1
	s_delay_alu instid0(SALU_CYCLE_1) | instskip(NEXT) | instid1(SALU_CYCLE_1)
	s_and_b32 s0, s26, s0
	s_and_saveexec_b32 s28, s0
	s_cbranch_execz .LBB749_485
; %bb.480:
	v_mul_u64_e32 v[28:29], s[12:13], v[8:9]
	v_mul_u64_e32 v[30:31], s[12:13], v[26:27]
	s_mov_b32 s29, 0
	s_mov_b64 s[6:7], s[12:13]
                                        ; implicit-def: $sgpr30
                                        ; implicit-def: $sgpr31
                                        ; implicit-def: $sgpr33
                                        ; implicit-def: $sgpr34
	s_delay_alu instid0(VALU_DEP_2) | instskip(NEXT) | instid1(VALU_DEP_2)
	v_lshl_add_u64 v[28:29], v[28:29], 3, s[14:15]
	v_lshl_add_u64 v[30:31], v[30:31], 3, s[14:15]
	s_branch .LBB749_482
.LBB749_481:                            ;   in Loop: Header=BB749_482 Depth=1
	s_or_b32 exec_lo, exec_lo, s0
	s_delay_alu instid0(SALU_CYCLE_1) | instskip(NEXT) | instid1(SALU_CYCLE_1)
	s_and_b32 s0, exec_lo, s31
	s_or_b32 s29, s0, s29
	s_and_not1_b32 s0, s34, exec_lo
	s_and_b32 s34, s35, exec_lo
	s_and_not1_b32 s30, s30, exec_lo
	s_and_b32 s35, s33, exec_lo
	s_or_b32 s34, s0, s34
	s_or_b32 s30, s30, s35
	s_and_not1_b32 exec_lo, exec_lo, s29
	s_cbranch_execz .LBB749_484
.LBB749_482:                            ; =>This Inner Loop Header: Depth=1
	global_load_b64 v[34:35], v[28:29], off
	global_load_b64 v[52:53], v[30:31], off
	s_and_not1_b32 s33, s33, exec_lo
	s_or_b32 s31, s31, exec_lo
	s_wait_loadcnt 0x0
	v_cmp_ngt_f64_e32 vcc_lo, v[34:35], v[52:53]
	v_cmp_lt_f64_e64 s0, v[34:35], v[52:53]
	s_and_b32 s35, vcc_lo, s34
	s_xor_b32 s37, s0, vcc_lo
	s_or_b32 s35, s0, s35
	s_delay_alu instid0(SALU_CYCLE_1) | instskip(NEXT) | instid1(SALU_CYCLE_1)
	s_and_b32 s36, s35, exec_lo
	s_or_b32 s33, s33, s36
	s_and_saveexec_b32 s0, s37
	s_cbranch_execz .LBB749_481
; %bb.483:                              ;   in Loop: Header=BB749_482 Depth=1
	s_add_nc_u64 s[6:7], s[6:7], -1
	v_add_nc_u64_e32 v[28:29], 8, v[28:29]
	s_cmp_eq_u64 s[6:7], 0
	v_add_nc_u64_e32 v[30:31], 8, v[30:31]
	s_cselect_b32 s34, -1, 0
	s_and_not1_b32 s31, s31, exec_lo
	s_and_b32 s34, s34, exec_lo
	s_and_not1_b32 s33, s33, exec_lo
	s_or_b32 s31, s31, s34
                                        ; implicit-def: $sgpr34
	s_branch .LBB749_481
.LBB749_484:
	s_or_b32 exec_lo, exec_lo, s29
	s_xor_b32 s0, s30, -1
	s_and_not1_b32 s6, s26, exec_lo
	s_and_b32 s0, s0, exec_lo
	s_delay_alu instid0(SALU_CYCLE_1)
	s_or_b32 s26, s6, s0
.LBB749_485:
	s_or_b32 exec_lo, exec_lo, s28
	s_delay_alu instid0(SALU_CYCLE_1)
	s_or_not1_b32 s26, s26, exec_lo
.LBB749_486:
	s_or_b32 exec_lo, exec_lo, s27
	v_cndmask_b32_e64 v28, v32, v33, s26
	v_cndmask_b32_e64 v29, v48, v50, s26
	s_mov_b32 s27, exec_lo
	s_delay_alu instid0(VALU_DEP_2) | instskip(NEXT) | instid1(VALU_DEP_1)
	v_add_nc_u32_e32 v28, 1, v28
	v_add_min_u32_e64 v29, v29, -1, v28
	s_delay_alu instid0(VALU_DEP_1)
	v_lshl_add_u32 v29, v29, 3, v46
	ds_load_b64 v[30:31], v29
	v_cndmask_b32_e64 v49, v28, v32, s26
	s_wait_dscnt 0x0
	v_dual_cndmask_b32 v47, v33, v28, s26 :: v_dual_cndmask_b32 v29, v31, v9, s26
	v_dual_cndmask_b32 v28, v30, v8, s26 :: v_dual_cndmask_b32 v31, v27, v31, s26
	v_cndmask_b32_e64 v30, v26, v30, s26
	v_cmpx_lt_u32_e64 v49, v48
	s_cbranch_execz .LBB749_494
; %bb.487:
	v_cmp_lt_u32_e64 s25, v47, v50
	s_xor_b32 s0, s5, -1
	s_delay_alu instid0(SALU_CYCLE_1) | instskip(NEXT) | instid1(SALU_CYCLE_1)
	s_and_b32 s0, s25, s0
	s_and_saveexec_b32 s28, s0
	s_cbranch_execz .LBB749_493
; %bb.488:
	v_mul_u64_e32 v[32:33], s[12:13], v[28:29]
	v_mul_u64_e32 v[34:35], s[12:13], v[30:31]
	s_mov_b32 s29, 0
	s_mov_b64 s[6:7], s[12:13]
                                        ; implicit-def: $sgpr30
                                        ; implicit-def: $sgpr31
                                        ; implicit-def: $sgpr33
                                        ; implicit-def: $sgpr34
	s_delay_alu instid0(VALU_DEP_2) | instskip(NEXT) | instid1(VALU_DEP_2)
	v_lshl_add_u64 v[32:33], v[32:33], 3, s[14:15]
	v_lshl_add_u64 v[34:35], v[34:35], 3, s[14:15]
	s_branch .LBB749_490
.LBB749_489:                            ;   in Loop: Header=BB749_490 Depth=1
	s_or_b32 exec_lo, exec_lo, s0
	s_delay_alu instid0(SALU_CYCLE_1) | instskip(NEXT) | instid1(SALU_CYCLE_1)
	s_and_b32 s0, exec_lo, s31
	s_or_b32 s29, s0, s29
	s_and_not1_b32 s0, s34, exec_lo
	s_and_b32 s34, s35, exec_lo
	s_and_not1_b32 s30, s30, exec_lo
	s_and_b32 s35, s33, exec_lo
	s_or_b32 s34, s0, s34
	s_or_b32 s30, s30, s35
	s_and_not1_b32 exec_lo, exec_lo, s29
	s_cbranch_execz .LBB749_492
.LBB749_490:                            ; =>This Inner Loop Header: Depth=1
	global_load_b64 v[52:53], v[32:33], off
	global_load_b64 v[54:55], v[34:35], off
	s_and_not1_b32 s33, s33, exec_lo
	s_or_b32 s31, s31, exec_lo
	s_wait_loadcnt 0x0
	v_cmp_ngt_f64_e32 vcc_lo, v[52:53], v[54:55]
	v_cmp_lt_f64_e64 s0, v[52:53], v[54:55]
	s_and_b32 s35, vcc_lo, s34
	s_xor_b32 s37, s0, vcc_lo
	s_or_b32 s35, s0, s35
	s_delay_alu instid0(SALU_CYCLE_1) | instskip(NEXT) | instid1(SALU_CYCLE_1)
	s_and_b32 s36, s35, exec_lo
	s_or_b32 s33, s33, s36
	s_and_saveexec_b32 s0, s37
	s_cbranch_execz .LBB749_489
; %bb.491:                              ;   in Loop: Header=BB749_490 Depth=1
	s_add_nc_u64 s[6:7], s[6:7], -1
	v_add_nc_u64_e32 v[32:33], 8, v[32:33]
	s_cmp_eq_u64 s[6:7], 0
	v_add_nc_u64_e32 v[34:35], 8, v[34:35]
	s_cselect_b32 s34, -1, 0
	s_and_not1_b32 s31, s31, exec_lo
	s_and_b32 s34, s34, exec_lo
	s_and_not1_b32 s33, s33, exec_lo
	s_or_b32 s31, s31, s34
                                        ; implicit-def: $sgpr34
	s_branch .LBB749_489
.LBB749_492:
	s_or_b32 exec_lo, exec_lo, s29
	s_xor_b32 s0, s30, -1
	s_and_not1_b32 s6, s25, exec_lo
	s_and_b32 s0, s0, exec_lo
	s_delay_alu instid0(SALU_CYCLE_1)
	s_or_b32 s25, s6, s0
.LBB749_493:
	s_or_b32 exec_lo, exec_lo, s28
	s_delay_alu instid0(SALU_CYCLE_1)
	s_or_not1_b32 s25, s25, exec_lo
.LBB749_494:
	s_or_b32 exec_lo, exec_lo, s27
	v_dual_cndmask_b32 v32, v49, v47, s25 :: v_dual_cndmask_b32 v33, v48, v50, s25
	v_dual_cndmask_b32 v8, v8, v26, s26 :: v_dual_cndmask_b32 v7, v7, v25, s24
	;; [unrolled: 1-line block ×3, first 2 shown]
	s_delay_alu instid0(VALU_DEP_3) | instskip(SKIP_2) | instid1(VALU_DEP_3)
	v_dual_add_nc_u32 v34, 1, v32 :: v_dual_cndmask_b32 v9, v9, v27, s26
	v_dual_cndmask_b32 v12, v12, v22, s23 :: v_dual_cndmask_b32 v11, v11, v21, s22
	v_dual_cndmask_b32 v10, v10, v20, s22 :: v_dual_cndmask_b32 v17, v15, v17, s21
	v_add_min_u32_e64 v32, v33, -1, v34
	v_dual_cndmask_b32 v16, v14, v16, s21 :: v_dual_cndmask_b32 v15, v5, v3, s1
	v_dual_cndmask_b32 v14, v4, v2, s1 :: v_dual_cndmask_b32 v20, v34, v49, s25
	s_delay_alu instid0(VALU_DEP_3)
	v_lshl_add_u32 v32, v32, 3, v46
	v_dual_cndmask_b32 v3, v29, v31, s25 :: v_dual_cndmask_b32 v2, v28, v30, s25
	s_mov_b32 s1, exec_lo
	ds_load_b64 v[32:33], v32
	s_wait_dscnt 0x0
	v_dual_cndmask_b32 v5, v31, v33, s25 :: v_dual_cndmask_b32 v4, v30, v32, s25
	v_cmpx_lt_u32_e64 v20, v48
	s_cbranch_execz .LBB749_502
; %bb.495:
	v_dual_cndmask_b32 v22, v47, v34, s25 :: v_dual_cndmask_b32 v21, v33, v29, s25
	s_delay_alu instid0(VALU_DEP_1) | instskip(NEXT) | instid1(VALU_DEP_2)
	v_cmp_ge_u32_e32 vcc_lo, v22, v50
	v_dual_cndmask_b32 v20, v32, v28, s25 :: v_dual_cndmask_b32 v23, v5, v21, vcc_lo
	s_delay_alu instid0(VALU_DEP_1) | instskip(SKIP_1) | instid1(SALU_CYCLE_1)
	v_cndmask_b32_e32 v22, v4, v20, vcc_lo
	s_nor_b32 s0, vcc_lo, s5
	s_and_saveexec_b32 s21, s0
	s_cbranch_execz .LBB749_501
; %bb.496:
	v_mul_u64_e32 v[22:23], s[12:13], v[20:21]
	v_mul_u64_e32 v[24:25], s[12:13], v[4:5]
	s_mov_b32 s22, 0
	s_mov_b64 s[6:7], s[12:13]
                                        ; implicit-def: $sgpr23
                                        ; implicit-def: $sgpr24
                                        ; implicit-def: $sgpr25
                                        ; implicit-def: $sgpr26
	s_delay_alu instid0(VALU_DEP_2) | instskip(NEXT) | instid1(VALU_DEP_2)
	v_lshl_add_u64 v[22:23], v[22:23], 3, s[14:15]
	v_lshl_add_u64 v[24:25], v[24:25], 3, s[14:15]
	s_branch .LBB749_498
.LBB749_497:                            ;   in Loop: Header=BB749_498 Depth=1
	s_or_b32 exec_lo, exec_lo, s0
	s_delay_alu instid0(SALU_CYCLE_1) | instskip(NEXT) | instid1(SALU_CYCLE_1)
	s_and_b32 s0, exec_lo, s24
	s_or_b32 s22, s0, s22
	s_and_not1_b32 s0, s26, exec_lo
	s_and_b32 s26, s27, exec_lo
	s_and_not1_b32 s23, s23, exec_lo
	s_and_b32 s27, s25, exec_lo
	s_or_b32 s26, s0, s26
	s_or_b32 s23, s23, s27
	s_and_not1_b32 exec_lo, exec_lo, s22
	s_cbranch_execz .LBB749_500
.LBB749_498:                            ; =>This Inner Loop Header: Depth=1
	global_load_b64 v[26:27], v[22:23], off
	global_load_b64 v[28:29], v[24:25], off
	s_and_not1_b32 s25, s25, exec_lo
	s_or_b32 s24, s24, exec_lo
	s_wait_loadcnt 0x0
	v_cmp_ngt_f64_e32 vcc_lo, v[26:27], v[28:29]
	v_cmp_lt_f64_e64 s0, v[26:27], v[28:29]
	s_and_b32 s27, vcc_lo, s26
	s_xor_b32 s29, s0, vcc_lo
	s_or_b32 s27, s0, s27
	s_delay_alu instid0(SALU_CYCLE_1) | instskip(NEXT) | instid1(SALU_CYCLE_1)
	s_and_b32 s28, s27, exec_lo
	s_or_b32 s25, s25, s28
	s_and_saveexec_b32 s0, s29
	s_cbranch_execz .LBB749_497
; %bb.499:                              ;   in Loop: Header=BB749_498 Depth=1
	s_add_nc_u64 s[6:7], s[6:7], -1
	v_add_nc_u64_e32 v[22:23], 8, v[22:23]
	s_cmp_eq_u64 s[6:7], 0
	v_add_nc_u64_e32 v[24:25], 8, v[24:25]
	s_cselect_b32 s26, -1, 0
	s_and_not1_b32 s24, s24, exec_lo
	s_and_b32 s26, s26, exec_lo
	s_and_not1_b32 s25, s25, exec_lo
	s_or_b32 s24, s24, s26
                                        ; implicit-def: $sgpr26
	s_branch .LBB749_497
.LBB749_500:
	s_or_b32 exec_lo, exec_lo, s22
	v_dual_cndmask_b32 v23, v5, v21, s23 :: v_dual_cndmask_b32 v22, v4, v20, s23
.LBB749_501:
	s_or_b32 exec_lo, exec_lo, s21
	s_delay_alu instid0(VALU_DEP_1)
	v_mov_b64_e32 v[4:5], v[22:23]
.LBB749_502:
	s_or_b32 exec_lo, exec_lo, s1
.LBB749_503:
	s_delay_alu instid0(SALU_CYCLE_1)
	s_or_b32 exec_lo, exec_lo, s20
	v_lshlrev_b32_e32 v24, 3, v1
	s_lshl_b64 s[6:7], s[12:13], 3
	s_movk_i32 s23, 0x80
	s_xor_b32 s22, s5, -1
	; wave barrier
	s_wait_dscnt 0x0
	s_barrier_signal -1
	s_barrier_wait -1
.LBB749_504:                            ; =>This Loop Header: Depth=1
                                        ;     Child Loop BB749_508 Depth 2
                                        ;       Child Loop BB749_511 Depth 3
                                        ;     Child Loop BB749_522 Depth 2
                                        ;     Child Loop BB749_529 Depth 2
	;; [unrolled: 1-line block ×8, first 2 shown]
	s_lshl_b32 s24, s23, 1
	s_mov_b32 s1, exec_lo
	s_sub_co_i32 s0, 0, s24
	ds_store_b128 v24, v[14:17]
	ds_store_b128 v24, v[10:13] offset:16
	ds_store_b128 v24, v[6:9] offset:32
	;; [unrolled: 1-line block ×3, first 2 shown]
	v_and_b32_e32 v29, s0, v1
	s_add_co_i32 s0, s24, -1
	s_wait_dscnt 0x0
	v_and_b32_e32 v20, s0, v1
	s_barrier_signal -1
	v_add_min_u32_e64 v25, v29, s23, 0x800
	s_barrier_wait -1
	s_delay_alu instid0(VALU_DEP_2) | instskip(NEXT) | instid1(VALU_DEP_2)
	v_min_u32_e32 v30, 0x800, v20
	v_dual_lshlrev_b32 v28, 3, v29 :: v_dual_sub_nc_u32 v20, v25, v29
	v_add_min_u32_e64 v26, v25, s23, 0x800
	s_delay_alu instid0(VALU_DEP_2) | instskip(NEXT) | instid1(VALU_DEP_2)
	v_min_u32_e32 v31, v30, v20
	v_sub_nc_u32_e32 v21, v26, v25
	s_delay_alu instid0(VALU_DEP_1) | instskip(NEXT) | instid1(VALU_DEP_1)
	v_sub_nc_u32_e64 v27, v30, v21 clamp
	v_cmpx_lt_u32_e64 v27, v31
	s_cbranch_execz .LBB749_514
; %bb.505:                              ;   in Loop: Header=BB749_504 Depth=1
	v_lshlrev_b32_e32 v20, 3, v30
	s_mov_b32 s25, 0
	s_delay_alu instid0(VALU_DEP_1)
	v_lshl_add_u32 v32, v25, 3, v20
	s_branch .LBB749_508
.LBB749_506:                            ;   in Loop: Header=BB749_508 Depth=2
	s_or_b32 exec_lo, exec_lo, s27
.LBB749_507:                            ;   in Loop: Header=BB749_508 Depth=2
	s_delay_alu instid0(VALU_DEP_1) | instskip(NEXT) | instid1(VALU_DEP_1)
	v_dual_add_nc_u32 v20, 1, v33 :: v_dual_cndmask_b32 v31, v31, v33, s26
	v_cndmask_b32_e64 v27, v20, v27, s26
	s_delay_alu instid0(VALU_DEP_1) | instskip(SKIP_1) | instid1(SALU_CYCLE_1)
	v_cmp_ge_u32_e32 vcc_lo, v27, v31
	s_or_b32 s25, vcc_lo, s25
	s_and_not1_b32 exec_lo, exec_lo, s25
	s_cbranch_execz .LBB749_513
.LBB749_508:                            ;   Parent Loop BB749_504 Depth=1
                                        ; =>  This Loop Header: Depth=2
                                        ;       Child Loop BB749_511 Depth 3
	v_add_nc_u32_e32 v20, v31, v27
	v_cmp_ne_u32_e32 vcc_lo, 1, v45
	s_mov_b32 s26, 0
	s_delay_alu instid0(VALU_DEP_2)
	v_lshrrev_b32_e32 v33, 1, v20
	s_cbranch_vccnz .LBB749_507
; %bb.509:                              ;   in Loop: Header=BB749_508 Depth=2
	s_delay_alu instid0(VALU_DEP_1) | instskip(SKIP_3) | instid1(VALU_DEP_2)
	v_not_b32_e32 v20, v33
	v_lshl_add_u32 v21, v33, 3, v28
	s_mov_b32 s27, 0
	s_mov_b64 s[20:21], s[12:13]
                                        ; implicit-def: $sgpr26
                                        ; implicit-def: $sgpr28
                                        ; implicit-def: $sgpr29
                                        ; implicit-def: $sgpr30
	v_lshl_add_u32 v20, v20, 3, v32
	ds_load_b64 v[34:35], v20
	ds_load_b64 v[46:47], v21
	s_wait_dscnt 0x1
	v_mad_nc_u64_u32 v[20:21], s6, v34, s[14:15]
	s_wait_dscnt 0x0
	v_mad_nc_u64_u32 v[22:23], s6, v46, s[14:15]
	s_delay_alu instid0(VALU_DEP_2) | instskip(NEXT) | instid1(VALU_DEP_2)
	v_mad_u32 v21, s7, v34, v21
	v_mad_u32 v23, s7, v46, v23
	s_delay_alu instid0(VALU_DEP_2) | instskip(NEXT) | instid1(VALU_DEP_2)
	v_mad_u32 v21, s6, v35, v21
	v_mad_u32 v23, s6, v47, v23
	s_branch .LBB749_511
.LBB749_510:                            ;   in Loop: Header=BB749_511 Depth=3
	s_or_b32 exec_lo, exec_lo, s0
	s_delay_alu instid0(SALU_CYCLE_1) | instskip(NEXT) | instid1(SALU_CYCLE_1)
	s_and_b32 s0, exec_lo, s28
	s_or_b32 s27, s0, s27
	s_and_not1_b32 s0, s30, exec_lo
	s_and_b32 s30, s31, exec_lo
	s_and_not1_b32 s26, s26, exec_lo
	s_and_b32 s31, s29, exec_lo
	s_or_b32 s30, s0, s30
	s_or_b32 s26, s26, s31
	s_and_not1_b32 exec_lo, exec_lo, s27
	s_cbranch_execz .LBB749_506
.LBB749_511:                            ;   Parent Loop BB749_504 Depth=1
                                        ;     Parent Loop BB749_508 Depth=2
                                        ; =>    This Inner Loop Header: Depth=3
	global_load_b64 v[34:35], v[20:21], off
	global_load_b64 v[46:47], v[22:23], off
	s_and_not1_b32 s29, s29, exec_lo
	s_or_b32 s28, s28, exec_lo
	s_wait_loadcnt 0x0
	v_cmp_ngt_f64_e32 vcc_lo, v[34:35], v[46:47]
	v_cmp_lt_f64_e64 s0, v[34:35], v[46:47]
	s_and_b32 s31, vcc_lo, s30
	s_xor_b32 s34, s0, vcc_lo
	s_or_b32 s31, s0, s31
	s_delay_alu instid0(SALU_CYCLE_1) | instskip(NEXT) | instid1(SALU_CYCLE_1)
	s_and_b32 s33, s31, exec_lo
	s_or_b32 s29, s29, s33
	s_and_saveexec_b32 s0, s34
	s_cbranch_execz .LBB749_510
; %bb.512:                              ;   in Loop: Header=BB749_511 Depth=3
	s_add_nc_u64 s[20:21], s[20:21], -1
	v_add_nc_u64_e32 v[20:21], 8, v[20:21]
	s_cmp_eq_u64 s[20:21], 0
	v_add_nc_u64_e32 v[22:23], 8, v[22:23]
	s_cselect_b32 s30, -1, 0
	s_and_not1_b32 s28, s28, exec_lo
	s_and_b32 s30, s30, exec_lo
	s_and_not1_b32 s29, s29, exec_lo
	s_or_b32 s28, s28, s30
                                        ; implicit-def: $sgpr30
	s_branch .LBB749_510
.LBB749_513:                            ;   in Loop: Header=BB749_504 Depth=1
	s_or_b32 exec_lo, exec_lo, s25
.LBB749_514:                            ;   in Loop: Header=BB749_504 Depth=1
	s_delay_alu instid0(SALU_CYCLE_1) | instskip(SKIP_1) | instid1(VALU_DEP_1)
	s_or_b32 exec_lo, exec_lo, s1
	v_dual_sub_nc_u32 v21, v30, v27 :: v_dual_add_nc_u32 v20, v27, v29
	v_add_nc_u32_e32 v21, v21, v25
	s_delay_alu instid0(VALU_DEP_2) | instskip(NEXT) | instid1(VALU_DEP_2)
	v_cmp_le_u32_e32 vcc_lo, v20, v25
	v_cmp_le_u32_e64 s0, v21, v26
	s_or_b32 s0, vcc_lo, s0
	s_delay_alu instid0(SALU_CYCLE_1)
	s_and_saveexec_b32 s25, s0
	s_cbranch_execz .LBB749_582
; %bb.515:                              ;   in Loop: Header=BB749_504 Depth=1
	s_mov_b32 s1, exec_lo
	v_cmp_ge_u32_e32 vcc_lo, v20, v25
                                        ; implicit-def: $vgpr2_vgpr3
	v_cmpx_lt_u32_e64 v20, v25
; %bb.516:                              ;   in Loop: Header=BB749_504 Depth=1
	v_lshl_add_u32 v2, v27, 3, v28
	ds_load_b64 v[2:3], v2
; %bb.517:                              ;   in Loop: Header=BB749_504 Depth=1
	s_or_b32 exec_lo, exec_lo, s1
	v_cmp_ge_u32_e64 s0, v21, v26
	s_mov_b32 s20, exec_lo
                                        ; implicit-def: $vgpr14_vgpr15
	v_cmpx_lt_u32_e64 v21, v26
; %bb.518:                              ;   in Loop: Header=BB749_504 Depth=1
	v_lshlrev_b32_e32 v4, 3, v21
	ds_load_b64 v[14:15], v4
; %bb.519:                              ;   in Loop: Header=BB749_504 Depth=1
	s_or_b32 exec_lo, exec_lo, s20
	s_or_b32 s1, vcc_lo, s0
	s_xor_b32 s20, vcc_lo, -1
	s_nor_b32 s21, s1, s5
	s_or_b32 s1, s0, s20
	s_and_saveexec_b32 s26, s21
	s_cbranch_execz .LBB749_525
; %bb.520:                              ;   in Loop: Header=BB749_504 Depth=1
	s_wait_dscnt 0x0
	v_mad_nc_u64_u32 v[4:5], s6, v14, s[14:15]
	v_mad_nc_u64_u32 v[6:7], s6, v2, s[14:15]
	s_mov_b32 s27, 0
	s_mov_b64 s[20:21], s[12:13]
                                        ; implicit-def: $sgpr28
                                        ; implicit-def: $sgpr29
                                        ; implicit-def: $sgpr30
                                        ; implicit-def: $sgpr31
	s_delay_alu instid0(VALU_DEP_2) | instskip(NEXT) | instid1(VALU_DEP_2)
	v_mad_u32 v5, s7, v14, v5
	v_mad_u32 v7, s7, v2, v7
	s_delay_alu instid0(VALU_DEP_2) | instskip(NEXT) | instid1(VALU_DEP_2)
	v_mad_u32 v5, s6, v15, v5
	v_mad_u32 v7, s6, v3, v7
	s_branch .LBB749_522
.LBB749_521:                            ;   in Loop: Header=BB749_522 Depth=2
	s_or_b32 exec_lo, exec_lo, s0
	s_delay_alu instid0(SALU_CYCLE_1) | instskip(NEXT) | instid1(SALU_CYCLE_1)
	s_and_b32 s0, exec_lo, s29
	s_or_b32 s27, s0, s27
	s_and_not1_b32 s0, s31, exec_lo
	s_and_b32 s31, s33, exec_lo
	s_and_not1_b32 s28, s28, exec_lo
	s_and_b32 s33, s30, exec_lo
	s_or_b32 s31, s0, s31
	s_or_b32 s28, s28, s33
	s_and_not1_b32 exec_lo, exec_lo, s27
	s_cbranch_execz .LBB749_524
.LBB749_522:                            ;   Parent Loop BB749_504 Depth=1
                                        ; =>  This Inner Loop Header: Depth=2
	global_load_b64 v[8:9], v[4:5], off
	global_load_b64 v[10:11], v[6:7], off
	s_and_not1_b32 s30, s30, exec_lo
	s_or_b32 s29, s29, exec_lo
	s_wait_loadcnt 0x0
	v_cmp_ngt_f64_e32 vcc_lo, v[8:9], v[10:11]
	v_cmp_lt_f64_e64 s0, v[8:9], v[10:11]
	s_and_b32 s33, vcc_lo, s31
	s_xor_b32 s35, s0, vcc_lo
	s_or_b32 s33, s0, s33
	s_delay_alu instid0(SALU_CYCLE_1) | instskip(NEXT) | instid1(SALU_CYCLE_1)
	s_and_b32 s34, s33, exec_lo
	s_or_b32 s30, s30, s34
	s_and_saveexec_b32 s0, s35
	s_cbranch_execz .LBB749_521
; %bb.523:                              ;   in Loop: Header=BB749_522 Depth=2
	s_add_nc_u64 s[20:21], s[20:21], -1
	v_add_nc_u64_e32 v[4:5], 8, v[4:5]
	s_cmp_eq_u64 s[20:21], 0
	v_add_nc_u64_e32 v[6:7], 8, v[6:7]
	s_cselect_b32 s31, -1, 0
	s_and_not1_b32 s29, s29, exec_lo
	s_and_b32 s31, s31, exec_lo
	s_and_not1_b32 s30, s30, exec_lo
	s_or_b32 s29, s29, s31
                                        ; implicit-def: $sgpr31
	s_branch .LBB749_521
.LBB749_524:                            ;   in Loop: Header=BB749_504 Depth=1
	s_or_b32 exec_lo, exec_lo, s27
	s_xor_b32 s0, s28, -1
	s_and_not1_b32 s1, s1, exec_lo
	s_and_b32 s0, s0, exec_lo
	s_delay_alu instid0(SALU_CYCLE_1)
	s_or_b32 s1, s1, s0
.LBB749_525:                            ;   in Loop: Header=BB749_504 Depth=1
	s_or_b32 exec_lo, exec_lo, s26
	v_dual_cndmask_b32 v4, v21, v20, s1 :: v_dual_cndmask_b32 v5, v26, v25, s1
	s_mov_b32 s27, -1
	s_mov_b32 s26, -1
	s_mov_b32 s28, exec_lo
	s_delay_alu instid0(VALU_DEP_1) | instskip(NEXT) | instid1(VALU_DEP_1)
	v_add_nc_u32_e32 v6, 1, v4
	v_add_min_u32_e64 v4, v5, -1, v6
	s_delay_alu instid0(VALU_DEP_1)
	v_dual_lshlrev_b32 v4, 3, v4 :: v_dual_cndmask_b32 v8, v6, v21, s1
	v_cndmask_b32_e64 v9, v20, v6, s1
	ds_load_b64 v[4:5], v4
	s_wait_dscnt 0x0
	v_dual_cndmask_b32 v16, v5, v15, s1 :: v_dual_cndmask_b32 v20, v4, v14, s1
	v_dual_cndmask_b32 v17, v3, v5, s1 :: v_dual_cndmask_b32 v21, v2, v4, s1
	v_cmpx_lt_u32_e64 v8, v26
	s_cbranch_execz .LBB749_533
; %bb.526:                              ;   in Loop: Header=BB749_504 Depth=1
	v_cmp_lt_u32_e64 s26, v9, v25
	s_and_b32 s0, s26, s22
	s_delay_alu instid0(SALU_CYCLE_1)
	s_and_saveexec_b32 s29, s0
	s_cbranch_execz .LBB749_532
; %bb.527:                              ;   in Loop: Header=BB749_504 Depth=1
	v_mad_nc_u64_u32 v[4:5], s6, v20, s[14:15]
	v_mad_nc_u64_u32 v[6:7], s6, v21, s[14:15]
	s_mov_b32 s30, 0
	s_mov_b64 s[20:21], s[12:13]
                                        ; implicit-def: $sgpr31
                                        ; implicit-def: $sgpr33
                                        ; implicit-def: $sgpr34
                                        ; implicit-def: $sgpr35
	s_delay_alu instid0(VALU_DEP_2) | instskip(NEXT) | instid1(VALU_DEP_2)
	v_mad_u32 v5, s7, v20, v5
	v_mad_u32 v7, s7, v21, v7
	s_delay_alu instid0(VALU_DEP_2) | instskip(NEXT) | instid1(VALU_DEP_2)
	v_mad_u32 v5, s6, v16, v5
	v_mad_u32 v7, s6, v17, v7
	s_branch .LBB749_529
.LBB749_528:                            ;   in Loop: Header=BB749_529 Depth=2
	s_or_b32 exec_lo, exec_lo, s0
	s_delay_alu instid0(SALU_CYCLE_1) | instskip(NEXT) | instid1(SALU_CYCLE_1)
	s_and_b32 s0, exec_lo, s33
	s_or_b32 s30, s0, s30
	s_and_not1_b32 s0, s35, exec_lo
	s_and_b32 s35, s36, exec_lo
	s_and_not1_b32 s31, s31, exec_lo
	s_and_b32 s36, s34, exec_lo
	s_or_b32 s35, s0, s35
	s_or_b32 s31, s31, s36
	s_and_not1_b32 exec_lo, exec_lo, s30
	s_cbranch_execz .LBB749_531
.LBB749_529:                            ;   Parent Loop BB749_504 Depth=1
                                        ; =>  This Inner Loop Header: Depth=2
	global_load_b64 v[10:11], v[4:5], off
	global_load_b64 v[12:13], v[6:7], off
	s_and_not1_b32 s34, s34, exec_lo
	s_or_b32 s33, s33, exec_lo
	s_wait_loadcnt 0x0
	v_cmp_ngt_f64_e32 vcc_lo, v[10:11], v[12:13]
	v_cmp_lt_f64_e64 s0, v[10:11], v[12:13]
	s_and_b32 s36, vcc_lo, s35
	s_xor_b32 s38, s0, vcc_lo
	s_or_b32 s36, s0, s36
	s_delay_alu instid0(SALU_CYCLE_1) | instskip(NEXT) | instid1(SALU_CYCLE_1)
	s_and_b32 s37, s36, exec_lo
	s_or_b32 s34, s34, s37
	s_and_saveexec_b32 s0, s38
	s_cbranch_execz .LBB749_528
; %bb.530:                              ;   in Loop: Header=BB749_529 Depth=2
	s_add_nc_u64 s[20:21], s[20:21], -1
	v_add_nc_u64_e32 v[4:5], 8, v[4:5]
	s_cmp_eq_u64 s[20:21], 0
	v_add_nc_u64_e32 v[6:7], 8, v[6:7]
	s_cselect_b32 s35, -1, 0
	s_and_not1_b32 s33, s33, exec_lo
	s_and_b32 s35, s35, exec_lo
	s_and_not1_b32 s34, s34, exec_lo
	s_or_b32 s33, s33, s35
                                        ; implicit-def: $sgpr35
	s_branch .LBB749_528
.LBB749_531:                            ;   in Loop: Header=BB749_504 Depth=1
	s_or_b32 exec_lo, exec_lo, s30
	s_xor_b32 s0, s31, -1
	s_and_not1_b32 s20, s26, exec_lo
	s_and_b32 s0, s0, exec_lo
	s_delay_alu instid0(SALU_CYCLE_1)
	s_or_b32 s26, s20, s0
.LBB749_532:                            ;   in Loop: Header=BB749_504 Depth=1
	s_or_b32 exec_lo, exec_lo, s29
	s_delay_alu instid0(SALU_CYCLE_1)
	s_or_not1_b32 s26, s26, exec_lo
.LBB749_533:                            ;   in Loop: Header=BB749_504 Depth=1
	s_or_b32 exec_lo, exec_lo, s28
	v_cndmask_b32_e64 v4, v8, v9, s26
	v_cndmask_b32_e64 v5, v26, v25, s26
	s_mov_b32 s28, exec_lo
	s_delay_alu instid0(VALU_DEP_2) | instskip(NEXT) | instid1(VALU_DEP_1)
	v_add_nc_u32_e32 v6, 1, v4
	v_add_min_u32_e64 v4, v5, -1, v6
	v_dual_cndmask_b32 v8, v6, v8, s26 :: v_dual_cndmask_b32 v9, v9, v6, s26
	s_delay_alu instid0(VALU_DEP_2)
	v_lshlrev_b32_e32 v4, 3, v4
	ds_load_b64 v[4:5], v4
	s_wait_dscnt 0x0
	v_cndmask_b32_e64 v10, v5, v16, s26
	v_dual_cndmask_b32 v22, v4, v20, s26 :: v_dual_cndmask_b32 v11, v17, v5, s26
	v_cndmask_b32_e64 v23, v21, v4, s26
	v_cmpx_lt_u32_e64 v8, v26
	s_cbranch_execz .LBB749_541
; %bb.534:                              ;   in Loop: Header=BB749_504 Depth=1
	v_cmp_lt_u32_e64 s27, v9, v25
	s_and_b32 s0, s27, s22
	s_delay_alu instid0(SALU_CYCLE_1)
	s_and_saveexec_b32 s29, s0
	s_cbranch_execz .LBB749_540
; %bb.535:                              ;   in Loop: Header=BB749_504 Depth=1
	v_mad_nc_u64_u32 v[4:5], s6, v22, s[14:15]
	v_mad_nc_u64_u32 v[6:7], s6, v23, s[14:15]
	s_mov_b32 s30, 0
	s_mov_b64 s[20:21], s[12:13]
                                        ; implicit-def: $sgpr31
                                        ; implicit-def: $sgpr33
                                        ; implicit-def: $sgpr34
                                        ; implicit-def: $sgpr35
	s_delay_alu instid0(VALU_DEP_2) | instskip(NEXT) | instid1(VALU_DEP_2)
	v_mad_u32 v5, s7, v22, v5
	v_mad_u32 v7, s7, v23, v7
	s_delay_alu instid0(VALU_DEP_2) | instskip(NEXT) | instid1(VALU_DEP_2)
	v_mad_u32 v5, s6, v10, v5
	v_mad_u32 v7, s6, v11, v7
	s_branch .LBB749_537
.LBB749_536:                            ;   in Loop: Header=BB749_537 Depth=2
	s_or_b32 exec_lo, exec_lo, s0
	s_delay_alu instid0(SALU_CYCLE_1) | instskip(NEXT) | instid1(SALU_CYCLE_1)
	s_and_b32 s0, exec_lo, s33
	s_or_b32 s30, s0, s30
	s_and_not1_b32 s0, s35, exec_lo
	s_and_b32 s35, s36, exec_lo
	s_and_not1_b32 s31, s31, exec_lo
	s_and_b32 s36, s34, exec_lo
	s_or_b32 s35, s0, s35
	s_or_b32 s31, s31, s36
	s_and_not1_b32 exec_lo, exec_lo, s30
	s_cbranch_execz .LBB749_539
.LBB749_537:                            ;   Parent Loop BB749_504 Depth=1
                                        ; =>  This Inner Loop Header: Depth=2
	global_load_b64 v[12:13], v[4:5], off
	global_load_b64 v[28:29], v[6:7], off
	s_and_not1_b32 s34, s34, exec_lo
	s_or_b32 s33, s33, exec_lo
	s_wait_loadcnt 0x0
	v_cmp_ngt_f64_e32 vcc_lo, v[12:13], v[28:29]
	v_cmp_lt_f64_e64 s0, v[12:13], v[28:29]
	s_and_b32 s36, vcc_lo, s35
	s_xor_b32 s38, s0, vcc_lo
	s_or_b32 s36, s0, s36
	s_delay_alu instid0(SALU_CYCLE_1) | instskip(NEXT) | instid1(SALU_CYCLE_1)
	s_and_b32 s37, s36, exec_lo
	s_or_b32 s34, s34, s37
	s_and_saveexec_b32 s0, s38
	s_cbranch_execz .LBB749_536
; %bb.538:                              ;   in Loop: Header=BB749_537 Depth=2
	s_add_nc_u64 s[20:21], s[20:21], -1
	v_add_nc_u64_e32 v[4:5], 8, v[4:5]
	s_cmp_eq_u64 s[20:21], 0
	v_add_nc_u64_e32 v[6:7], 8, v[6:7]
	s_cselect_b32 s35, -1, 0
	s_and_not1_b32 s33, s33, exec_lo
	s_and_b32 s35, s35, exec_lo
	s_and_not1_b32 s34, s34, exec_lo
	s_or_b32 s33, s33, s35
                                        ; implicit-def: $sgpr35
	s_branch .LBB749_536
.LBB749_539:                            ;   in Loop: Header=BB749_504 Depth=1
	s_or_b32 exec_lo, exec_lo, s30
	s_xor_b32 s0, s31, -1
	s_and_not1_b32 s20, s27, exec_lo
	s_and_b32 s0, s0, exec_lo
	s_delay_alu instid0(SALU_CYCLE_1)
	s_or_b32 s27, s20, s0
.LBB749_540:                            ;   in Loop: Header=BB749_504 Depth=1
	s_or_b32 exec_lo, exec_lo, s29
	s_delay_alu instid0(SALU_CYCLE_1)
	s_or_not1_b32 s27, s27, exec_lo
.LBB749_541:                            ;   in Loop: Header=BB749_504 Depth=1
	s_or_b32 exec_lo, exec_lo, s28
	v_cndmask_b32_e64 v4, v8, v9, s27
	v_cndmask_b32_e64 v5, v26, v25, s27
	s_mov_b32 s29, -1
	s_mov_b32 s28, -1
	s_mov_b32 s30, exec_lo
	v_add_nc_u32_e32 v6, 1, v4
	s_delay_alu instid0(VALU_DEP_1) | instskip(SKIP_1) | instid1(VALU_DEP_2)
	v_add_min_u32_e64 v4, v5, -1, v6
	v_dual_cndmask_b32 v8, v6, v8, s27 :: v_dual_cndmask_b32 v9, v9, v6, s27
	v_lshlrev_b32_e32 v4, 3, v4
	ds_load_b64 v[4:5], v4
	s_wait_dscnt 0x0
	v_dual_cndmask_b32 v12, v5, v10, s27 :: v_dual_cndmask_b32 v13, v11, v5, s27
	v_dual_cndmask_b32 v27, v4, v22, s27 :: v_dual_cndmask_b32 v28, v23, v4, s27
	v_cmpx_lt_u32_e64 v8, v26
	s_cbranch_execz .LBB749_549
; %bb.542:                              ;   in Loop: Header=BB749_504 Depth=1
	v_cmp_lt_u32_e64 s28, v9, v25
	s_and_b32 s0, s28, s22
	s_delay_alu instid0(SALU_CYCLE_1)
	s_and_saveexec_b32 s31, s0
	s_cbranch_execz .LBB749_548
; %bb.543:                              ;   in Loop: Header=BB749_504 Depth=1
	v_mad_nc_u64_u32 v[4:5], s6, v27, s[14:15]
	v_mad_nc_u64_u32 v[6:7], s6, v28, s[14:15]
	s_mov_b32 s33, 0
	s_mov_b64 s[20:21], s[12:13]
                                        ; implicit-def: $sgpr34
                                        ; implicit-def: $sgpr35
                                        ; implicit-def: $sgpr36
                                        ; implicit-def: $sgpr37
	s_delay_alu instid0(VALU_DEP_2) | instskip(NEXT) | instid1(VALU_DEP_2)
	v_mad_u32 v5, s7, v27, v5
	v_mad_u32 v7, s7, v28, v7
	s_delay_alu instid0(VALU_DEP_2) | instskip(NEXT) | instid1(VALU_DEP_2)
	v_mad_u32 v5, s6, v12, v5
	v_mad_u32 v7, s6, v13, v7
	s_branch .LBB749_545
.LBB749_544:                            ;   in Loop: Header=BB749_545 Depth=2
	s_or_b32 exec_lo, exec_lo, s0
	s_delay_alu instid0(SALU_CYCLE_1) | instskip(NEXT) | instid1(SALU_CYCLE_1)
	s_and_b32 s0, exec_lo, s35
	s_or_b32 s33, s0, s33
	s_and_not1_b32 s0, s37, exec_lo
	s_and_b32 s37, s38, exec_lo
	s_and_not1_b32 s34, s34, exec_lo
	s_and_b32 s38, s36, exec_lo
	s_or_b32 s37, s0, s37
	s_or_b32 s34, s34, s38
	s_and_not1_b32 exec_lo, exec_lo, s33
	s_cbranch_execz .LBB749_547
.LBB749_545:                            ;   Parent Loop BB749_504 Depth=1
                                        ; =>  This Inner Loop Header: Depth=2
	global_load_b64 v[30:31], v[4:5], off
	global_load_b64 v[32:33], v[6:7], off
	s_and_not1_b32 s36, s36, exec_lo
	s_or_b32 s35, s35, exec_lo
	s_wait_loadcnt 0x0
	v_cmp_ngt_f64_e32 vcc_lo, v[30:31], v[32:33]
	v_cmp_lt_f64_e64 s0, v[30:31], v[32:33]
	s_and_b32 s38, vcc_lo, s37
	s_xor_b32 s40, s0, vcc_lo
	s_or_b32 s38, s0, s38
	s_delay_alu instid0(SALU_CYCLE_1) | instskip(NEXT) | instid1(SALU_CYCLE_1)
	s_and_b32 s39, s38, exec_lo
	s_or_b32 s36, s36, s39
	s_and_saveexec_b32 s0, s40
	s_cbranch_execz .LBB749_544
; %bb.546:                              ;   in Loop: Header=BB749_545 Depth=2
	s_add_nc_u64 s[20:21], s[20:21], -1
	v_add_nc_u64_e32 v[4:5], 8, v[4:5]
	s_cmp_eq_u64 s[20:21], 0
	v_add_nc_u64_e32 v[6:7], 8, v[6:7]
	s_cselect_b32 s37, -1, 0
	s_and_not1_b32 s35, s35, exec_lo
	s_and_b32 s37, s37, exec_lo
	s_and_not1_b32 s36, s36, exec_lo
	s_or_b32 s35, s35, s37
                                        ; implicit-def: $sgpr37
	s_branch .LBB749_544
.LBB749_547:                            ;   in Loop: Header=BB749_504 Depth=1
	s_or_b32 exec_lo, exec_lo, s33
	s_xor_b32 s0, s34, -1
	s_and_not1_b32 s20, s28, exec_lo
	s_and_b32 s0, s0, exec_lo
	s_delay_alu instid0(SALU_CYCLE_1)
	s_or_b32 s28, s20, s0
.LBB749_548:                            ;   in Loop: Header=BB749_504 Depth=1
	s_or_b32 exec_lo, exec_lo, s31
	s_delay_alu instid0(SALU_CYCLE_1)
	s_or_not1_b32 s28, s28, exec_lo
.LBB749_549:                            ;   in Loop: Header=BB749_504 Depth=1
	s_or_b32 exec_lo, exec_lo, s30
	v_cndmask_b32_e64 v4, v8, v9, s28
	v_cndmask_b32_e64 v5, v26, v25, s28
	s_mov_b32 s30, exec_lo
	s_delay_alu instid0(VALU_DEP_2) | instskip(NEXT) | instid1(VALU_DEP_1)
	v_add_nc_u32_e32 v6, 1, v4
	v_add_min_u32_e64 v4, v5, -1, v6
	v_dual_cndmask_b32 v8, v6, v8, s28 :: v_dual_cndmask_b32 v9, v9, v6, s28
	s_delay_alu instid0(VALU_DEP_2)
	v_lshlrev_b32_e32 v4, 3, v4
	ds_load_b64 v[4:5], v4
	s_wait_dscnt 0x0
	v_dual_cndmask_b32 v29, v5, v12, s28 :: v_dual_cndmask_b32 v30, v4, v27, s28
	v_dual_cndmask_b32 v31, v13, v5, s28 :: v_dual_cndmask_b32 v32, v28, v4, s28
	v_cmpx_lt_u32_e64 v8, v26
	s_cbranch_execz .LBB749_557
; %bb.550:                              ;   in Loop: Header=BB749_504 Depth=1
	v_cmp_lt_u32_e64 s29, v9, v25
	s_and_b32 s0, s29, s22
	s_delay_alu instid0(SALU_CYCLE_1)
	s_and_saveexec_b32 s31, s0
	s_cbranch_execz .LBB749_556
; %bb.551:                              ;   in Loop: Header=BB749_504 Depth=1
	v_mad_nc_u64_u32 v[4:5], s6, v30, s[14:15]
	v_mad_nc_u64_u32 v[6:7], s6, v32, s[14:15]
	s_mov_b32 s33, 0
	s_mov_b64 s[20:21], s[12:13]
                                        ; implicit-def: $sgpr34
                                        ; implicit-def: $sgpr35
                                        ; implicit-def: $sgpr36
                                        ; implicit-def: $sgpr37
	s_delay_alu instid0(VALU_DEP_2) | instskip(NEXT) | instid1(VALU_DEP_2)
	v_mad_u32 v5, s7, v30, v5
	v_mad_u32 v7, s7, v32, v7
	s_delay_alu instid0(VALU_DEP_2) | instskip(NEXT) | instid1(VALU_DEP_2)
	v_mad_u32 v5, s6, v29, v5
	v_mad_u32 v7, s6, v31, v7
	s_branch .LBB749_553
.LBB749_552:                            ;   in Loop: Header=BB749_553 Depth=2
	s_or_b32 exec_lo, exec_lo, s0
	s_delay_alu instid0(SALU_CYCLE_1) | instskip(NEXT) | instid1(SALU_CYCLE_1)
	s_and_b32 s0, exec_lo, s35
	s_or_b32 s33, s0, s33
	s_and_not1_b32 s0, s37, exec_lo
	s_and_b32 s37, s38, exec_lo
	s_and_not1_b32 s34, s34, exec_lo
	s_and_b32 s38, s36, exec_lo
	s_or_b32 s37, s0, s37
	s_or_b32 s34, s34, s38
	s_and_not1_b32 exec_lo, exec_lo, s33
	s_cbranch_execz .LBB749_555
.LBB749_553:                            ;   Parent Loop BB749_504 Depth=1
                                        ; =>  This Inner Loop Header: Depth=2
	global_load_b64 v[34:35], v[4:5], off
	global_load_b64 v[46:47], v[6:7], off
	s_and_not1_b32 s36, s36, exec_lo
	s_or_b32 s35, s35, exec_lo
	s_wait_loadcnt 0x0
	v_cmp_ngt_f64_e32 vcc_lo, v[34:35], v[46:47]
	v_cmp_lt_f64_e64 s0, v[34:35], v[46:47]
	s_and_b32 s38, vcc_lo, s37
	s_xor_b32 s40, s0, vcc_lo
	s_or_b32 s38, s0, s38
	s_delay_alu instid0(SALU_CYCLE_1) | instskip(NEXT) | instid1(SALU_CYCLE_1)
	s_and_b32 s39, s38, exec_lo
	s_or_b32 s36, s36, s39
	s_and_saveexec_b32 s0, s40
	s_cbranch_execz .LBB749_552
; %bb.554:                              ;   in Loop: Header=BB749_553 Depth=2
	s_add_nc_u64 s[20:21], s[20:21], -1
	v_add_nc_u64_e32 v[4:5], 8, v[4:5]
	s_cmp_eq_u64 s[20:21], 0
	v_add_nc_u64_e32 v[6:7], 8, v[6:7]
	s_cselect_b32 s37, -1, 0
	s_and_not1_b32 s35, s35, exec_lo
	s_and_b32 s37, s37, exec_lo
	s_and_not1_b32 s36, s36, exec_lo
	s_or_b32 s35, s35, s37
                                        ; implicit-def: $sgpr37
	s_branch .LBB749_552
.LBB749_555:                            ;   in Loop: Header=BB749_504 Depth=1
	s_or_b32 exec_lo, exec_lo, s33
	s_xor_b32 s0, s34, -1
	s_and_not1_b32 s20, s29, exec_lo
	s_and_b32 s0, s0, exec_lo
	s_delay_alu instid0(SALU_CYCLE_1)
	s_or_b32 s29, s20, s0
.LBB749_556:                            ;   in Loop: Header=BB749_504 Depth=1
	s_or_b32 exec_lo, exec_lo, s31
	s_delay_alu instid0(SALU_CYCLE_1)
	s_or_not1_b32 s29, s29, exec_lo
.LBB749_557:                            ;   in Loop: Header=BB749_504 Depth=1
	s_or_b32 exec_lo, exec_lo, s30
	v_cndmask_b32_e64 v4, v8, v9, s29
	v_cndmask_b32_e64 v5, v26, v25, s29
	s_mov_b32 s30, -1
	s_mov_b32 s31, -1
	s_mov_b32 s33, exec_lo
	v_add_nc_u32_e32 v6, 1, v4
	s_delay_alu instid0(VALU_DEP_1) | instskip(SKIP_1) | instid1(VALU_DEP_2)
	v_add_min_u32_e64 v4, v5, -1, v6
	v_dual_cndmask_b32 v8, v6, v8, s29 :: v_dual_cndmask_b32 v9, v9, v6, s29
	v_lshlrev_b32_e32 v4, 3, v4
	ds_load_b64 v[4:5], v4
	s_wait_dscnt 0x0
	v_dual_cndmask_b32 v33, v5, v29, s29 :: v_dual_cndmask_b32 v34, v4, v30, s29
	v_dual_cndmask_b32 v35, v31, v5, s29 :: v_dual_cndmask_b32 v46, v32, v4, s29
	v_cmpx_lt_u32_e64 v8, v26
	s_cbranch_execz .LBB749_565
; %bb.558:                              ;   in Loop: Header=BB749_504 Depth=1
	v_cmp_lt_u32_e64 s31, v9, v25
	s_and_b32 s0, s31, s22
	s_delay_alu instid0(SALU_CYCLE_1)
	s_and_saveexec_b32 s34, s0
	s_cbranch_execz .LBB749_564
; %bb.559:                              ;   in Loop: Header=BB749_504 Depth=1
	v_mad_nc_u64_u32 v[4:5], s6, v34, s[14:15]
	v_mad_nc_u64_u32 v[6:7], s6, v46, s[14:15]
	s_mov_b32 s35, 0
	s_mov_b64 s[20:21], s[12:13]
                                        ; implicit-def: $sgpr36
                                        ; implicit-def: $sgpr37
                                        ; implicit-def: $sgpr38
                                        ; implicit-def: $sgpr39
	s_delay_alu instid0(VALU_DEP_2) | instskip(NEXT) | instid1(VALU_DEP_2)
	v_mad_u32 v5, s7, v34, v5
	v_mad_u32 v7, s7, v46, v7
	s_delay_alu instid0(VALU_DEP_2) | instskip(NEXT) | instid1(VALU_DEP_2)
	v_mad_u32 v5, s6, v33, v5
	v_mad_u32 v7, s6, v35, v7
	s_branch .LBB749_561
.LBB749_560:                            ;   in Loop: Header=BB749_561 Depth=2
	s_or_b32 exec_lo, exec_lo, s0
	s_delay_alu instid0(SALU_CYCLE_1) | instskip(NEXT) | instid1(SALU_CYCLE_1)
	s_and_b32 s0, exec_lo, s37
	s_or_b32 s35, s0, s35
	s_and_not1_b32 s0, s39, exec_lo
	s_and_b32 s39, s40, exec_lo
	s_and_not1_b32 s36, s36, exec_lo
	s_and_b32 s40, s38, exec_lo
	s_or_b32 s39, s0, s39
	s_or_b32 s36, s36, s40
	s_and_not1_b32 exec_lo, exec_lo, s35
	s_cbranch_execz .LBB749_563
.LBB749_561:                            ;   Parent Loop BB749_504 Depth=1
                                        ; =>  This Inner Loop Header: Depth=2
	global_load_b64 v[48:49], v[4:5], off
	global_load_b64 v[50:51], v[6:7], off
	s_and_not1_b32 s38, s38, exec_lo
	s_or_b32 s37, s37, exec_lo
	s_wait_loadcnt 0x0
	v_cmp_ngt_f64_e32 vcc_lo, v[48:49], v[50:51]
	v_cmp_lt_f64_e64 s0, v[48:49], v[50:51]
	s_and_b32 s40, vcc_lo, s39
	s_xor_b32 s42, s0, vcc_lo
	s_or_b32 s40, s0, s40
	s_delay_alu instid0(SALU_CYCLE_1) | instskip(NEXT) | instid1(SALU_CYCLE_1)
	s_and_b32 s41, s40, exec_lo
	s_or_b32 s38, s38, s41
	s_and_saveexec_b32 s0, s42
	s_cbranch_execz .LBB749_560
; %bb.562:                              ;   in Loop: Header=BB749_561 Depth=2
	s_add_nc_u64 s[20:21], s[20:21], -1
	v_add_nc_u64_e32 v[4:5], 8, v[4:5]
	s_cmp_eq_u64 s[20:21], 0
	v_add_nc_u64_e32 v[6:7], 8, v[6:7]
	s_cselect_b32 s39, -1, 0
	s_and_not1_b32 s37, s37, exec_lo
	s_and_b32 s39, s39, exec_lo
	s_and_not1_b32 s38, s38, exec_lo
	s_or_b32 s37, s37, s39
                                        ; implicit-def: $sgpr39
	s_branch .LBB749_560
.LBB749_563:                            ;   in Loop: Header=BB749_504 Depth=1
	s_or_b32 exec_lo, exec_lo, s35
	s_xor_b32 s0, s36, -1
	s_and_not1_b32 s20, s31, exec_lo
	s_and_b32 s0, s0, exec_lo
	s_delay_alu instid0(SALU_CYCLE_1)
	s_or_b32 s31, s20, s0
.LBB749_564:                            ;   in Loop: Header=BB749_504 Depth=1
	s_or_b32 exec_lo, exec_lo, s34
	s_delay_alu instid0(SALU_CYCLE_1)
	s_or_not1_b32 s31, s31, exec_lo
.LBB749_565:                            ;   in Loop: Header=BB749_504 Depth=1
	s_or_b32 exec_lo, exec_lo, s33
	v_cndmask_b32_e64 v4, v8, v9, s31
	v_cndmask_b32_e64 v5, v26, v25, s31
	s_mov_b32 s33, exec_lo
	s_delay_alu instid0(VALU_DEP_2) | instskip(NEXT) | instid1(VALU_DEP_1)
	v_add_nc_u32_e32 v6, 1, v4
	v_add_min_u32_e64 v4, v5, -1, v6
	v_dual_cndmask_b32 v51, v6, v8, s31 :: v_dual_cndmask_b32 v8, v9, v6, s31
	s_delay_alu instid0(VALU_DEP_2)
	v_lshlrev_b32_e32 v4, 3, v4
	ds_load_b64 v[4:5], v4
	s_wait_dscnt 0x0
	v_dual_cndmask_b32 v47, v5, v33, s31 :: v_dual_cndmask_b32 v48, v4, v34, s31
	v_dual_cndmask_b32 v49, v35, v5, s31 :: v_dual_cndmask_b32 v50, v46, v4, s31
	v_cmpx_lt_u32_e64 v51, v26
	s_cbranch_execz .LBB749_573
; %bb.566:                              ;   in Loop: Header=BB749_504 Depth=1
	v_cmp_lt_u32_e64 s30, v8, v25
	s_and_b32 s0, s30, s22
	s_delay_alu instid0(SALU_CYCLE_1)
	s_and_saveexec_b32 s34, s0
	s_cbranch_execz .LBB749_572
; %bb.567:                              ;   in Loop: Header=BB749_504 Depth=1
	v_mad_nc_u64_u32 v[4:5], s6, v48, s[14:15]
	v_mad_nc_u64_u32 v[6:7], s6, v50, s[14:15]
	s_mov_b32 s35, 0
	s_mov_b64 s[20:21], s[12:13]
                                        ; implicit-def: $sgpr36
                                        ; implicit-def: $sgpr37
                                        ; implicit-def: $sgpr38
                                        ; implicit-def: $sgpr39
	s_delay_alu instid0(VALU_DEP_2) | instskip(NEXT) | instid1(VALU_DEP_2)
	v_mad_u32 v5, s7, v48, v5
	v_mad_u32 v7, s7, v50, v7
	s_delay_alu instid0(VALU_DEP_2) | instskip(NEXT) | instid1(VALU_DEP_2)
	v_mad_u32 v5, s6, v47, v5
	v_mad_u32 v7, s6, v49, v7
	s_branch .LBB749_569
.LBB749_568:                            ;   in Loop: Header=BB749_569 Depth=2
	s_or_b32 exec_lo, exec_lo, s0
	s_delay_alu instid0(SALU_CYCLE_1) | instskip(NEXT) | instid1(SALU_CYCLE_1)
	s_and_b32 s0, exec_lo, s37
	s_or_b32 s35, s0, s35
	s_and_not1_b32 s0, s39, exec_lo
	s_and_b32 s39, s40, exec_lo
	s_and_not1_b32 s36, s36, exec_lo
	s_and_b32 s40, s38, exec_lo
	s_or_b32 s39, s0, s39
	s_or_b32 s36, s36, s40
	s_and_not1_b32 exec_lo, exec_lo, s35
	s_cbranch_execz .LBB749_571
.LBB749_569:                            ;   Parent Loop BB749_504 Depth=1
                                        ; =>  This Inner Loop Header: Depth=2
	global_load_b64 v[52:53], v[4:5], off
	global_load_b64 v[54:55], v[6:7], off
	s_and_not1_b32 s38, s38, exec_lo
	s_or_b32 s37, s37, exec_lo
	s_wait_loadcnt 0x0
	v_cmp_ngt_f64_e32 vcc_lo, v[52:53], v[54:55]
	v_cmp_lt_f64_e64 s0, v[52:53], v[54:55]
	s_and_b32 s40, vcc_lo, s39
	s_xor_b32 s42, s0, vcc_lo
	s_or_b32 s40, s0, s40
	s_delay_alu instid0(SALU_CYCLE_1) | instskip(NEXT) | instid1(SALU_CYCLE_1)
	s_and_b32 s41, s40, exec_lo
	s_or_b32 s38, s38, s41
	s_and_saveexec_b32 s0, s42
	s_cbranch_execz .LBB749_568
; %bb.570:                              ;   in Loop: Header=BB749_569 Depth=2
	s_add_nc_u64 s[20:21], s[20:21], -1
	v_add_nc_u64_e32 v[4:5], 8, v[4:5]
	s_cmp_eq_u64 s[20:21], 0
	v_add_nc_u64_e32 v[6:7], 8, v[6:7]
	s_cselect_b32 s39, -1, 0
	s_and_not1_b32 s37, s37, exec_lo
	s_and_b32 s39, s39, exec_lo
	s_and_not1_b32 s38, s38, exec_lo
	s_or_b32 s37, s37, s39
                                        ; implicit-def: $sgpr39
	s_branch .LBB749_568
.LBB749_571:                            ;   in Loop: Header=BB749_504 Depth=1
	s_or_b32 exec_lo, exec_lo, s35
	s_xor_b32 s0, s36, -1
	s_and_not1_b32 s20, s30, exec_lo
	s_and_b32 s0, s0, exec_lo
	s_delay_alu instid0(SALU_CYCLE_1)
	s_or_b32 s30, s20, s0
.LBB749_572:                            ;   in Loop: Header=BB749_504 Depth=1
	s_or_b32 exec_lo, exec_lo, s34
	s_delay_alu instid0(SALU_CYCLE_1)
	s_or_not1_b32 s30, s30, exec_lo
.LBB749_573:                            ;   in Loop: Header=BB749_504 Depth=1
	s_or_b32 exec_lo, exec_lo, s33
	v_dual_cndmask_b32 v4, v51, v8, s30 :: v_dual_cndmask_b32 v5, v26, v25, s30
	s_mov_b32 s33, exec_lo
	s_delay_alu instid0(VALU_DEP_1) | instskip(NEXT) | instid1(VALU_DEP_1)
	v_add_nc_u32_e32 v9, 1, v4
	v_add_min_u32_e64 v4, v5, -1, v9
	s_delay_alu instid0(VALU_DEP_1) | instskip(SKIP_4) | instid1(VALU_DEP_2)
	v_lshlrev_b32_e32 v4, 3, v4
	ds_load_b64 v[6:7], v4
	s_wait_dscnt 0x0
	v_dual_cndmask_b32 v51, v9, v51, s30 :: v_dual_cndmask_b32 v4, v50, v6, s30
	v_cndmask_b32_e64 v5, v49, v7, s30
	v_cmpx_lt_u32_e64 v51, v26
	s_cbranch_execz .LBB749_581
; %bb.574:                              ;   in Loop: Header=BB749_504 Depth=1
	v_dual_cndmask_b32 v8, v8, v9, s30 :: v_dual_cndmask_b32 v26, v7, v47, s30
	s_delay_alu instid0(VALU_DEP_1) | instskip(NEXT) | instid1(VALU_DEP_2)
	v_cmp_ge_u32_e32 vcc_lo, v8, v25
	v_dual_cndmask_b32 v51, v6, v48, s30 :: v_dual_cndmask_b32 v7, v5, v26, vcc_lo
	s_delay_alu instid0(VALU_DEP_1) | instskip(SKIP_1) | instid1(SALU_CYCLE_1)
	v_cndmask_b32_e32 v6, v4, v51, vcc_lo
	s_nor_b32 s0, vcc_lo, s5
	s_and_saveexec_b32 s34, s0
	s_cbranch_execz .LBB749_580
; %bb.575:                              ;   in Loop: Header=BB749_504 Depth=1
	v_mad_nc_u64_u32 v[6:7], s6, v51, s[14:15]
	v_mad_nc_u64_u32 v[8:9], s6, v4, s[14:15]
	s_mov_b32 s35, 0
	s_mov_b64 s[20:21], s[12:13]
                                        ; implicit-def: $sgpr36
                                        ; implicit-def: $sgpr37
                                        ; implicit-def: $sgpr38
                                        ; implicit-def: $sgpr39
	s_delay_alu instid0(VALU_DEP_2) | instskip(NEXT) | instid1(VALU_DEP_2)
	v_mad_u32 v7, s7, v51, v7
	v_mad_u32 v9, s7, v4, v9
	s_delay_alu instid0(VALU_DEP_2) | instskip(NEXT) | instid1(VALU_DEP_2)
	v_mad_u32 v7, s6, v26, v7
	v_mad_u32 v9, s6, v5, v9
	s_branch .LBB749_577
.LBB749_576:                            ;   in Loop: Header=BB749_577 Depth=2
	s_or_b32 exec_lo, exec_lo, s0
	s_delay_alu instid0(SALU_CYCLE_1) | instskip(NEXT) | instid1(SALU_CYCLE_1)
	s_and_b32 s0, exec_lo, s37
	s_or_b32 s35, s0, s35
	s_and_not1_b32 s0, s39, exec_lo
	s_and_b32 s39, s40, exec_lo
	s_and_not1_b32 s36, s36, exec_lo
	s_and_b32 s40, s38, exec_lo
	s_or_b32 s39, s0, s39
	s_or_b32 s36, s36, s40
	s_and_not1_b32 exec_lo, exec_lo, s35
	s_cbranch_execz .LBB749_579
.LBB749_577:                            ;   Parent Loop BB749_504 Depth=1
                                        ; =>  This Inner Loop Header: Depth=2
	global_load_b64 v[52:53], v[6:7], off
	global_load_b64 v[54:55], v[8:9], off
	s_and_not1_b32 s38, s38, exec_lo
	s_or_b32 s37, s37, exec_lo
	s_wait_loadcnt 0x0
	v_cmp_ngt_f64_e32 vcc_lo, v[52:53], v[54:55]
	v_cmp_lt_f64_e64 s0, v[52:53], v[54:55]
	s_and_b32 s40, vcc_lo, s39
	s_xor_b32 s42, s0, vcc_lo
	s_or_b32 s40, s0, s40
	s_delay_alu instid0(SALU_CYCLE_1) | instskip(NEXT) | instid1(SALU_CYCLE_1)
	s_and_b32 s41, s40, exec_lo
	s_or_b32 s38, s38, s41
	s_and_saveexec_b32 s0, s42
	s_cbranch_execz .LBB749_576
; %bb.578:                              ;   in Loop: Header=BB749_577 Depth=2
	s_add_nc_u64 s[20:21], s[20:21], -1
	v_add_nc_u64_e32 v[6:7], 8, v[6:7]
	s_cmp_eq_u64 s[20:21], 0
	v_add_nc_u64_e32 v[8:9], 8, v[8:9]
	s_cselect_b32 s39, -1, 0
	s_and_not1_b32 s37, s37, exec_lo
	s_and_b32 s39, s39, exec_lo
	s_and_not1_b32 s38, s38, exec_lo
	s_or_b32 s37, s37, s39
                                        ; implicit-def: $sgpr39
	s_branch .LBB749_576
.LBB749_579:                            ;   in Loop: Header=BB749_504 Depth=1
	s_or_b32 exec_lo, exec_lo, s35
	v_dual_cndmask_b32 v7, v5, v26, s36 :: v_dual_cndmask_b32 v6, v4, v51, s36
.LBB749_580:                            ;   in Loop: Header=BB749_504 Depth=1
	s_or_b32 exec_lo, exec_lo, s34
	s_delay_alu instid0(VALU_DEP_1)
	v_mov_b64_e32 v[4:5], v[6:7]
.LBB749_581:                            ;   in Loop: Header=BB749_504 Depth=1
	s_or_b32 exec_lo, exec_lo, s33
	v_dual_cndmask_b32 v9, v33, v35, s31 :: v_dual_cndmask_b32 v8, v34, v46, s31
	v_dual_cndmask_b32 v7, v29, v31, s29 :: v_dual_cndmask_b32 v6, v30, v32, s29
	;; [unrolled: 1-line block ×7, first 2 shown]
.LBB749_582:                            ;   in Loop: Header=BB749_504 Depth=1
	s_or_b32 exec_lo, exec_lo, s25
	s_cmp_lt_u32 s23, 0x400
	s_barrier_signal -1
	s_barrier_wait -1
	s_cbranch_scc0 .LBB749_584
; %bb.583:                              ;   in Loop: Header=BB749_504 Depth=1
	s_mov_b32 s23, s24
	s_branch .LBB749_504
.LBB749_584:
	s_barrier_signal -1
	s_barrier_wait -1
	ds_store_2addr_b64 v44, v[14:15], v[16:17] offset1:1
	ds_store_2addr_b64 v44, v[10:11], v[12:13] offset0:2 offset1:3
	ds_store_2addr_b64 v44, v[6:7], v[8:9] offset0:4 offset1:5
	;; [unrolled: 1-line block ×3, first 2 shown]
	s_wait_dscnt 0x0
	s_barrier_signal -1
	s_barrier_wait -1
	ds_load_b64 v[4:5], v36
	ds_load_b64 v[6:7], v37 offset:2048
	ds_load_b64 v[8:9], v38 offset:4096
	;; [unrolled: 1-line block ×7, first 2 shown]
	s_mov_b32 s20, -1
	s_wait_dscnt 0x7
	global_store_b64 v18, v[4:5], s[10:11] scale_offset
	s_wait_dscnt 0x6
	global_store_b64 v18, v[6:7], s[10:11] offset:2048 scale_offset
	s_wait_dscnt 0x5
	global_store_b64 v18, v[8:9], s[10:11] offset:4096 scale_offset
	s_wait_dscnt 0x4
	global_store_b64 v18, v[10:11], s[10:11] offset:6144 scale_offset
	s_wait_dscnt 0x3
	global_store_b64 v18, v[12:13], s[10:11] offset:8192 scale_offset
	s_wait_dscnt 0x2
	global_store_b64 v18, v[14:15], s[10:11] offset:10240 scale_offset
	s_wait_dscnt 0x1
	global_store_b64 v18, v[16:17], s[10:11] offset:12288 scale_offset
	s_branch .LBB749_1227
.LBB749_585:
	s_lshl_b64 s[0:1], s[2:3], 11
                                        ; implicit-def: $vgpr2_vgpr3
	s_delay_alu instid0(SALU_CYCLE_1) | instskip(NEXT) | instid1(SALU_CYCLE_1)
	s_sub_co_i32 s21, s4, s0
	v_cmp_gt_u32_e64 s0, s21, v18
	s_wait_xcnt 0x0
	s_and_saveexec_b32 s1, s0
	s_cbranch_execz .LBB749_587
; %bb.586:
	s_wait_dscnt 0x0
	global_load_b64 v[2:3], v18, s[18:19] scale_offset
.LBB749_587:
	s_wait_xcnt 0x0
	s_or_b32 exec_lo, exec_lo, s1
	v_add_nc_u32_e32 v1, 0x100, v18
                                        ; implicit-def: $vgpr4_vgpr5
	s_delay_alu instid0(VALU_DEP_1)
	v_cmp_gt_u32_e64 s1, s21, v1
	s_and_saveexec_b32 s2, s1
	s_cbranch_execz .LBB749_589
; %bb.588:
	global_load_b64 v[4:5], v18, s[18:19] offset:2048 scale_offset
.LBB749_589:
	s_wait_xcnt 0x0
	s_or_b32 exec_lo, exec_lo, s2
	v_add_nc_u32_e32 v19, 0x200, v18
                                        ; implicit-def: $vgpr6_vgpr7
	s_delay_alu instid0(VALU_DEP_1)
	v_cmp_gt_u32_e64 s2, s21, v19
	s_and_saveexec_b32 s3, s2
	s_cbranch_execz .LBB749_591
; %bb.590:
	global_load_b64 v[6:7], v18, s[18:19] offset:4096 scale_offset
.LBB749_591:
	s_wait_xcnt 0x0
	s_or_b32 exec_lo, exec_lo, s3
	v_add_nc_u32_e32 v20, 0x300, v18
                                        ; implicit-def: $vgpr10_vgpr11
	s_delay_alu instid0(VALU_DEP_1)
	v_cmp_gt_u32_e64 s3, s21, v20
	s_and_saveexec_b32 s4, s3
	s_cbranch_execz .LBB749_593
; %bb.592:
	global_load_b64 v[10:11], v18, s[18:19] offset:6144 scale_offset
.LBB749_593:
	s_wait_xcnt 0x0
	s_or_b32 exec_lo, exec_lo, s4
	v_or_b32_e32 v22, 0x400, v18
                                        ; implicit-def: $vgpr8_vgpr9
	s_delay_alu instid0(VALU_DEP_1)
	v_cmp_gt_u32_e64 s4, s21, v22
	s_and_saveexec_b32 s5, s4
	s_cbranch_execz .LBB749_595
; %bb.594:
	global_load_b64 v[8:9], v18, s[18:19] offset:8192 scale_offset
.LBB749_595:
	s_wait_xcnt 0x0
	s_or_b32 exec_lo, exec_lo, s5
	v_add_nc_u32_e32 v23, 0x500, v18
                                        ; implicit-def: $vgpr12_vgpr13
	s_delay_alu instid0(VALU_DEP_1)
	v_cmp_gt_u32_e64 s5, s21, v23
	s_and_saveexec_b32 s6, s5
	s_cbranch_execz .LBB749_597
; %bb.596:
	global_load_b64 v[12:13], v18, s[18:19] offset:10240 scale_offset
.LBB749_597:
	s_wait_xcnt 0x0
	s_or_b32 exec_lo, exec_lo, s6
	v_add_nc_u32_e32 v24, 0x600, v18
                                        ; implicit-def: $vgpr14_vgpr15
	s_delay_alu instid0(VALU_DEP_1)
	v_cmp_gt_u32_e64 s6, s21, v24
	s_and_saveexec_b32 s7, s6
	s_cbranch_execz .LBB749_599
; %bb.598:
	global_load_b64 v[14:15], v18, s[18:19] offset:12288 scale_offset
.LBB749_599:
	s_wait_xcnt 0x0
	s_or_b32 exec_lo, exec_lo, s7
	v_add_nc_u32_e32 v25, 0x700, v18
                                        ; implicit-def: $vgpr16_vgpr17
	s_delay_alu instid0(VALU_DEP_1)
	v_cmp_gt_u32_e64 s20, s21, v25
	s_and_saveexec_b32 s7, s20
	s_cbranch_execz .LBB749_601
; %bb.600:
	global_load_b64 v[16:17], v18, s[18:19] offset:14336 scale_offset
.LBB749_601:
	s_wait_xcnt 0x0
	s_or_b32 exec_lo, exec_lo, s7
	v_dual_lshrrev_b32 v21, 2, v18 :: v_dual_lshrrev_b32 v1, 2, v1
	v_dual_lshrrev_b32 v19, 2, v19 :: v_dual_lshrrev_b32 v26, 2, v20
	v_lshlrev_b32_e32 v20, 3, v18
	s_delay_alu instid0(VALU_DEP_3) | instskip(NEXT) | instid1(VALU_DEP_4)
	v_and_b32_e32 v21, 0xf8, v21
	v_and_b32_e32 v1, 0x1f8, v1
	s_delay_alu instid0(VALU_DEP_4)
	v_and_b32_e32 v27, 0x1f8, v19
	v_and_b32_e32 v26, 0x1f8, v26
	s_cmp_lt_u32 s9, s8
	v_add_nc_u32_e32 v19, v21, v20
	v_dual_add_nc_u32 v21, v1, v20 :: v_dual_lshrrev_b32 v1, 2, v22
	v_dual_lshrrev_b32 v22, 2, v23 :: v_dual_add_nc_u32 v36, v27, v20
	v_add_nc_u32_e32 v37, v26, v20
	v_dual_lshrrev_b32 v23, 2, v24 :: v_dual_lshrrev_b32 v24, 2, v25
	s_wait_loadcnt_dscnt 0x0
	ds_store_b64 v19, v[2:3]
	ds_store_b64 v21, v[4:5] offset:2048
	ds_store_b64 v36, v[6:7] offset:4096
	;; [unrolled: 1-line block ×3, first 2 shown]
	v_and_b32_e32 v1, 0x1f8, v1
	v_lshlrev_b32_e32 v5, 1, v18
	v_and_b32_e32 v2, 0x3f8, v22
	v_and_b32_e32 v3, 0x3f8, v23
	;; [unrolled: 1-line block ×3, first 2 shown]
	v_add_nc_u32_e32 v38, v1, v20
	v_and_b32_e32 v1, 0x7f8, v5
	s_delay_alu instid0(VALU_DEP_4) | instskip(NEXT) | instid1(VALU_DEP_4)
	v_dual_add_nc_u32 v39, v2, v20 :: v_dual_add_nc_u32 v40, v3, v20
	v_add_nc_u32_e32 v41, v4, v20
	ds_store_b64 v38, v[8:9] offset:8192
	ds_store_b64 v39, v[12:13] offset:10240
	;; [unrolled: 1-line block ×4, first 2 shown]
	v_lshl_add_u32 v42, v18, 6, v1
	s_wait_storecnt_dscnt 0x0
	s_barrier_signal -1
	s_barrier_wait -1
	ds_load_2addr_b64 v[14:17], v42 offset1:1
	ds_load_2addr_b64 v[10:13], v42 offset0:2 offset1:3
	ds_load_2addr_b64 v[6:9], v42 offset0:4 offset1:5
	;; [unrolled: 1-line block ×3, first 2 shown]
	s_wait_dscnt 0x0
	s_barrier_signal -1
	s_barrier_wait -1
	s_load_u16 s7, s[16:17], 0xe
	s_cselect_b32 s8, 12, 18
	s_mov_b32 s9, 0
	v_bfe_u32 v1, v0, 10, 10
	s_wait_xcnt 0x0
	s_add_nc_u64 s[16:17], s[16:17], s[8:9]
	v_bfe_u32 v0, v0, 20, 10
	s_load_u16 s8, s[16:17], 0x0
	v_cmp_gt_i64_e64 s18, s[12:13], 0
	v_cmp_lt_i64_e64 s19, s[12:13], 1
	s_wait_kmcnt 0x0
	v_mad_u32_u24 v0, v0, s7, v1
	s_delay_alu instid0(VALU_DEP_1) | instskip(NEXT) | instid1(VALU_DEP_1)
	v_mul_lo_u32 v0, v0, s8
	v_add_lshl_u32 v24, v0, v18, 3
	s_delay_alu instid0(VALU_DEP_1) | instskip(NEXT) | instid1(VALU_DEP_1)
	v_sub_nc_u32_e64 v25, s21, v24 clamp
	v_cmp_lt_u32_e32 vcc_lo, 1, v25
	s_and_b32 s23, vcc_lo, s18
	s_delay_alu instid0(SALU_CYCLE_1)
	s_and_saveexec_b32 s8, s23
	s_cbranch_execz .LBB749_609
; %bb.602:
	v_mul_u64_e32 v[0:1], s[12:13], v[16:17]
	v_mul_u64_e32 v[22:23], s[12:13], v[14:15]
	s_mov_b64 s[16:17], s[12:13]
                                        ; implicit-def: $sgpr22
                                        ; implicit-def: $sgpr24
                                        ; implicit-def: $sgpr26
                                        ; implicit-def: $sgpr25
                                        ; implicit-def: $sgpr27
	s_delay_alu instid0(VALU_DEP_2) | instskip(NEXT) | instid1(VALU_DEP_2)
	v_lshl_add_u64 v[0:1], v[0:1], 3, s[14:15]
	v_lshl_add_u64 v[22:23], v[22:23], 3, s[14:15]
	s_branch .LBB749_604
.LBB749_603:                            ;   in Loop: Header=BB749_604 Depth=1
	s_or_b32 exec_lo, exec_lo, s28
	s_and_b32 s7, s7, s27
	s_delay_alu instid0(SALU_CYCLE_1) | instskip(SKIP_1) | instid1(SALU_CYCLE_1)
	s_or_b32 s7, vcc_lo, s7
	s_and_b32 s28, exec_lo, s26
	s_or_b32 s9, s28, s9
	s_and_not1_b32 s27, s27, exec_lo
	s_and_b32 s7, s7, exec_lo
	s_and_not1_b32 s24, s24, exec_lo
	s_and_b32 s28, s25, exec_lo
	s_and_not1_b32 s22, s22, exec_lo
	s_or_b32 s27, s27, s7
	s_or_b32 s24, s24, s28
	;; [unrolled: 1-line block ×3, first 2 shown]
	s_and_not1_b32 exec_lo, exec_lo, s9
	s_cbranch_execz .LBB749_606
.LBB749_604:                            ; =>This Inner Loop Header: Depth=1
	global_load_b64 v[26:27], v[0:1], off
	global_load_b64 v[28:29], v[22:23], off
	s_or_b32 s25, s25, exec_lo
	s_or_b32 s26, s26, exec_lo
	s_wait_loadcnt 0x0
	v_cmp_lt_f64_e32 vcc_lo, v[26:27], v[28:29]
	v_cmp_ngt_f64_e64 s7, v[26:27], v[28:29]
	s_xor_b32 s29, vcc_lo, s7
	s_delay_alu instid0(SALU_CYCLE_1)
	s_and_saveexec_b32 s28, s29
	s_cbranch_execz .LBB749_603
; %bb.605:                              ;   in Loop: Header=BB749_604 Depth=1
	s_add_nc_u64 s[16:17], s[16:17], -1
	v_add_nc_u64_e32 v[0:1], 8, v[0:1]
	s_cmp_eq_u64 s[16:17], 0
	v_add_nc_u64_e32 v[22:23], 8, v[22:23]
	s_cselect_b32 s29, -1, 0
	s_and_not1_b32 s26, s26, exec_lo
	s_and_b32 s29, s29, exec_lo
	s_and_not1_b32 s25, s25, exec_lo
	s_or_b32 s26, s26, s29
	s_branch .LBB749_603
.LBB749_606:
	s_or_b32 exec_lo, exec_lo, s9
	s_and_saveexec_b32 s7, s24
	s_delay_alu instid0(SALU_CYCLE_1)
	s_xor_b32 s7, exec_lo, s7
; %bb.607:
	v_dual_cndmask_b32 v1, v17, v15, s22 :: v_dual_cndmask_b32 v0, v16, v14, s22
	v_dual_cndmask_b32 v15, v15, v17, s22 :: v_dual_cndmask_b32 v14, v14, v16, s22
	s_delay_alu instid0(VALU_DEP_2)
	v_mov_b64_e32 v[16:17], v[0:1]
; %bb.608:
	s_or_b32 exec_lo, exec_lo, s7
.LBB749_609:
	s_delay_alu instid0(SALU_CYCLE_1) | instskip(SKIP_2) | instid1(SALU_CYCLE_1)
	s_or_b32 exec_lo, exec_lo, s8
	v_cmp_lt_u32_e32 vcc_lo, 3, v25
	s_xor_b32 s22, s19, -1
	s_and_b32 s16, vcc_lo, s22
	s_delay_alu instid0(SALU_CYCLE_1)
	s_and_saveexec_b32 s17, s16
	s_cbranch_execz .LBB749_617
; %bb.610:
	v_mul_u64_e32 v[0:1], s[12:13], v[12:13]
	v_mul_u64_e32 v[22:23], s[12:13], v[10:11]
	s_mov_b32 s25, 0
	s_mov_b64 s[8:9], s[12:13]
                                        ; implicit-def: $sgpr24
                                        ; implicit-def: $sgpr26
                                        ; implicit-def: $sgpr28
                                        ; implicit-def: $sgpr27
                                        ; implicit-def: $sgpr29
	s_delay_alu instid0(VALU_DEP_2) | instskip(NEXT) | instid1(VALU_DEP_2)
	v_lshl_add_u64 v[0:1], v[0:1], 3, s[14:15]
	v_lshl_add_u64 v[22:23], v[22:23], 3, s[14:15]
	s_branch .LBB749_612
.LBB749_611:                            ;   in Loop: Header=BB749_612 Depth=1
	s_or_b32 exec_lo, exec_lo, s30
	s_and_b32 s7, s7, s29
	s_delay_alu instid0(SALU_CYCLE_1) | instskip(SKIP_1) | instid1(SALU_CYCLE_1)
	s_or_b32 s7, vcc_lo, s7
	s_and_b32 s30, exec_lo, s28
	s_or_b32 s25, s30, s25
	s_and_not1_b32 s29, s29, exec_lo
	s_and_b32 s7, s7, exec_lo
	s_and_not1_b32 s26, s26, exec_lo
	s_and_b32 s30, s27, exec_lo
	s_and_not1_b32 s24, s24, exec_lo
	s_or_b32 s29, s29, s7
	s_or_b32 s26, s26, s30
	;; [unrolled: 1-line block ×3, first 2 shown]
	s_and_not1_b32 exec_lo, exec_lo, s25
	s_cbranch_execz .LBB749_614
.LBB749_612:                            ; =>This Inner Loop Header: Depth=1
	global_load_b64 v[26:27], v[0:1], off
	global_load_b64 v[28:29], v[22:23], off
	s_or_b32 s27, s27, exec_lo
	s_or_b32 s28, s28, exec_lo
	s_wait_loadcnt 0x0
	v_cmp_lt_f64_e32 vcc_lo, v[26:27], v[28:29]
	v_cmp_ngt_f64_e64 s7, v[26:27], v[28:29]
	s_xor_b32 s31, vcc_lo, s7
	s_delay_alu instid0(SALU_CYCLE_1)
	s_and_saveexec_b32 s30, s31
	s_cbranch_execz .LBB749_611
; %bb.613:                              ;   in Loop: Header=BB749_612 Depth=1
	s_add_nc_u64 s[8:9], s[8:9], -1
	v_add_nc_u64_e32 v[0:1], 8, v[0:1]
	s_cmp_eq_u64 s[8:9], 0
	v_add_nc_u64_e32 v[22:23], 8, v[22:23]
	s_cselect_b32 s31, -1, 0
	s_and_not1_b32 s28, s28, exec_lo
	s_and_b32 s31, s31, exec_lo
	s_and_not1_b32 s27, s27, exec_lo
	s_or_b32 s28, s28, s31
	s_branch .LBB749_611
.LBB749_614:
	s_or_b32 exec_lo, exec_lo, s25
	s_and_saveexec_b32 s7, s26
	s_delay_alu instid0(SALU_CYCLE_1)
	s_xor_b32 s7, exec_lo, s7
; %bb.615:
	v_dual_cndmask_b32 v1, v11, v13, s24 :: v_dual_cndmask_b32 v0, v10, v12, s24
	v_dual_cndmask_b32 v13, v13, v11, s24 :: v_dual_cndmask_b32 v12, v12, v10, s24
	s_delay_alu instid0(VALU_DEP_2)
	v_mov_b64_e32 v[10:11], v[0:1]
; %bb.616:
	s_or_b32 exec_lo, exec_lo, s7
.LBB749_617:
	s_delay_alu instid0(SALU_CYCLE_1) | instskip(SKIP_2) | instid1(SALU_CYCLE_1)
	s_or_b32 exec_lo, exec_lo, s17
	v_cmp_lt_u32_e32 vcc_lo, 5, v25
	s_and_b32 s17, vcc_lo, s22
	s_and_saveexec_b32 s24, s17
	s_cbranch_execz .LBB749_625
; %bb.618:
	v_mul_u64_e32 v[0:1], s[12:13], v[8:9]
	v_mul_u64_e32 v[22:23], s[12:13], v[6:7]
	s_mov_b32 s26, 0
	s_mov_b64 s[8:9], s[12:13]
                                        ; implicit-def: $sgpr25
                                        ; implicit-def: $sgpr27
                                        ; implicit-def: $sgpr29
                                        ; implicit-def: $sgpr28
                                        ; implicit-def: $sgpr30
	s_delay_alu instid0(VALU_DEP_2) | instskip(NEXT) | instid1(VALU_DEP_2)
	v_lshl_add_u64 v[0:1], v[0:1], 3, s[14:15]
	v_lshl_add_u64 v[22:23], v[22:23], 3, s[14:15]
	s_branch .LBB749_620
.LBB749_619:                            ;   in Loop: Header=BB749_620 Depth=1
	s_or_b32 exec_lo, exec_lo, s31
	s_and_b32 s7, s7, s30
	s_delay_alu instid0(SALU_CYCLE_1) | instskip(SKIP_1) | instid1(SALU_CYCLE_1)
	s_or_b32 s7, vcc_lo, s7
	s_and_b32 s31, exec_lo, s29
	s_or_b32 s26, s31, s26
	s_and_not1_b32 s30, s30, exec_lo
	s_and_b32 s7, s7, exec_lo
	s_and_not1_b32 s27, s27, exec_lo
	s_and_b32 s31, s28, exec_lo
	s_and_not1_b32 s25, s25, exec_lo
	s_or_b32 s30, s30, s7
	s_or_b32 s27, s27, s31
	;; [unrolled: 1-line block ×3, first 2 shown]
	s_and_not1_b32 exec_lo, exec_lo, s26
	s_cbranch_execz .LBB749_622
.LBB749_620:                            ; =>This Inner Loop Header: Depth=1
	global_load_b64 v[26:27], v[0:1], off
	global_load_b64 v[28:29], v[22:23], off
	s_or_b32 s28, s28, exec_lo
	s_or_b32 s29, s29, exec_lo
	s_wait_loadcnt 0x0
	v_cmp_lt_f64_e32 vcc_lo, v[26:27], v[28:29]
	v_cmp_ngt_f64_e64 s7, v[26:27], v[28:29]
	s_xor_b32 s33, vcc_lo, s7
	s_delay_alu instid0(SALU_CYCLE_1)
	s_and_saveexec_b32 s31, s33
	s_cbranch_execz .LBB749_619
; %bb.621:                              ;   in Loop: Header=BB749_620 Depth=1
	s_add_nc_u64 s[8:9], s[8:9], -1
	v_add_nc_u64_e32 v[0:1], 8, v[0:1]
	s_cmp_eq_u64 s[8:9], 0
	v_add_nc_u64_e32 v[22:23], 8, v[22:23]
	s_cselect_b32 s33, -1, 0
	s_and_not1_b32 s29, s29, exec_lo
	s_and_b32 s33, s33, exec_lo
	s_and_not1_b32 s28, s28, exec_lo
	s_or_b32 s29, s29, s33
	s_branch .LBB749_619
.LBB749_622:
	s_or_b32 exec_lo, exec_lo, s26
	s_and_saveexec_b32 s7, s27
	s_delay_alu instid0(SALU_CYCLE_1)
	s_xor_b32 s7, exec_lo, s7
; %bb.623:
	v_dual_cndmask_b32 v1, v7, v9, s25 :: v_dual_cndmask_b32 v0, v6, v8, s25
	v_dual_cndmask_b32 v9, v9, v7, s25 :: v_dual_cndmask_b32 v8, v8, v6, s25
	s_delay_alu instid0(VALU_DEP_2)
	v_mov_b64_e32 v[6:7], v[0:1]
; %bb.624:
	s_or_b32 exec_lo, exec_lo, s7
.LBB749_625:
	s_delay_alu instid0(SALU_CYCLE_1) | instskip(SKIP_2) | instid1(SALU_CYCLE_1)
	s_or_b32 exec_lo, exec_lo, s24
	v_cmp_lt_u32_e32 vcc_lo, 7, v25
	s_and_b32 s24, vcc_lo, s22
	s_and_saveexec_b32 s25, s24
	s_cbranch_execz .LBB749_633
; %bb.626:
	v_mul_u64_e32 v[0:1], s[12:13], v[4:5]
	v_mul_u64_e32 v[22:23], s[12:13], v[2:3]
	s_mov_b32 s27, 0
	s_mov_b64 s[8:9], s[12:13]
                                        ; implicit-def: $sgpr26
                                        ; implicit-def: $sgpr28
                                        ; implicit-def: $sgpr30
                                        ; implicit-def: $sgpr29
                                        ; implicit-def: $sgpr31
	s_delay_alu instid0(VALU_DEP_2) | instskip(NEXT) | instid1(VALU_DEP_2)
	v_lshl_add_u64 v[0:1], v[0:1], 3, s[14:15]
	v_lshl_add_u64 v[22:23], v[22:23], 3, s[14:15]
	s_branch .LBB749_628
.LBB749_627:                            ;   in Loop: Header=BB749_628 Depth=1
	s_or_b32 exec_lo, exec_lo, s33
	s_and_b32 s7, s7, s31
	s_delay_alu instid0(SALU_CYCLE_1) | instskip(SKIP_1) | instid1(SALU_CYCLE_1)
	s_or_b32 s7, vcc_lo, s7
	s_and_b32 s33, exec_lo, s30
	s_or_b32 s27, s33, s27
	s_and_not1_b32 s31, s31, exec_lo
	s_and_b32 s7, s7, exec_lo
	s_and_not1_b32 s28, s28, exec_lo
	s_and_b32 s33, s29, exec_lo
	s_and_not1_b32 s26, s26, exec_lo
	s_or_b32 s31, s31, s7
	s_or_b32 s28, s28, s33
	;; [unrolled: 1-line block ×3, first 2 shown]
	s_and_not1_b32 exec_lo, exec_lo, s27
	s_cbranch_execz .LBB749_630
.LBB749_628:                            ; =>This Inner Loop Header: Depth=1
	global_load_b64 v[26:27], v[0:1], off
	global_load_b64 v[28:29], v[22:23], off
	s_or_b32 s29, s29, exec_lo
	s_or_b32 s30, s30, exec_lo
	s_wait_loadcnt 0x0
	v_cmp_lt_f64_e32 vcc_lo, v[26:27], v[28:29]
	v_cmp_ngt_f64_e64 s7, v[26:27], v[28:29]
	s_xor_b32 s34, vcc_lo, s7
	s_delay_alu instid0(SALU_CYCLE_1)
	s_and_saveexec_b32 s33, s34
	s_cbranch_execz .LBB749_627
; %bb.629:                              ;   in Loop: Header=BB749_628 Depth=1
	s_add_nc_u64 s[8:9], s[8:9], -1
	v_add_nc_u64_e32 v[0:1], 8, v[0:1]
	s_cmp_eq_u64 s[8:9], 0
	v_add_nc_u64_e32 v[22:23], 8, v[22:23]
	s_cselect_b32 s34, -1, 0
	s_and_not1_b32 s30, s30, exec_lo
	s_and_b32 s34, s34, exec_lo
	s_and_not1_b32 s29, s29, exec_lo
	s_or_b32 s30, s30, s34
	s_branch .LBB749_627
.LBB749_630:
	s_or_b32 exec_lo, exec_lo, s27
	s_and_saveexec_b32 s7, s28
	s_delay_alu instid0(SALU_CYCLE_1)
	s_xor_b32 s7, exec_lo, s7
; %bb.631:
	v_dual_cndmask_b32 v1, v3, v5, s26 :: v_dual_cndmask_b32 v0, v2, v4, s26
	v_dual_cndmask_b32 v5, v5, v3, s26 :: v_dual_cndmask_b32 v4, v4, v2, s26
	s_delay_alu instid0(VALU_DEP_2)
	v_mov_b64_e32 v[2:3], v[0:1]
; %bb.632:
	s_or_b32 exec_lo, exec_lo, s7
.LBB749_633:
	s_delay_alu instid0(SALU_CYCLE_1) | instskip(SKIP_2) | instid1(SALU_CYCLE_1)
	s_or_b32 exec_lo, exec_lo, s25
	v_cmp_lt_u32_e32 vcc_lo, 2, v25
	s_and_b32 s25, vcc_lo, s22
	s_and_saveexec_b32 s7, s25
	s_delay_alu instid0(SALU_CYCLE_1)
	s_xor_b32 s26, exec_lo, s7
	s_cbranch_execz .LBB749_641
; %bb.634:
	v_mul_u64_e32 v[0:1], s[12:13], v[10:11]
	v_mul_u64_e32 v[22:23], s[12:13], v[16:17]
	s_mov_b32 s28, 0
	s_mov_b64 s[8:9], s[12:13]
                                        ; implicit-def: $sgpr27
                                        ; implicit-def: $sgpr29
                                        ; implicit-def: $sgpr31
                                        ; implicit-def: $sgpr30
                                        ; implicit-def: $sgpr33
	s_delay_alu instid0(VALU_DEP_2) | instskip(NEXT) | instid1(VALU_DEP_2)
	v_lshl_add_u64 v[0:1], v[0:1], 3, s[14:15]
	v_lshl_add_u64 v[22:23], v[22:23], 3, s[14:15]
	s_branch .LBB749_636
.LBB749_635:                            ;   in Loop: Header=BB749_636 Depth=1
	s_or_b32 exec_lo, exec_lo, s34
	s_and_b32 s7, s7, s33
	s_delay_alu instid0(SALU_CYCLE_1) | instskip(SKIP_1) | instid1(SALU_CYCLE_1)
	s_or_b32 s7, vcc_lo, s7
	s_and_b32 s34, exec_lo, s31
	s_or_b32 s28, s34, s28
	s_and_not1_b32 s33, s33, exec_lo
	s_and_b32 s7, s7, exec_lo
	s_and_not1_b32 s29, s29, exec_lo
	s_and_b32 s34, s30, exec_lo
	s_and_not1_b32 s27, s27, exec_lo
	s_or_b32 s33, s33, s7
	s_or_b32 s29, s29, s34
	;; [unrolled: 1-line block ×3, first 2 shown]
	s_and_not1_b32 exec_lo, exec_lo, s28
	s_cbranch_execz .LBB749_638
.LBB749_636:                            ; =>This Inner Loop Header: Depth=1
	global_load_b64 v[26:27], v[0:1], off
	global_load_b64 v[28:29], v[22:23], off
	s_or_b32 s30, s30, exec_lo
	s_or_b32 s31, s31, exec_lo
	s_wait_loadcnt 0x0
	v_cmp_lt_f64_e32 vcc_lo, v[26:27], v[28:29]
	v_cmp_ngt_f64_e64 s7, v[26:27], v[28:29]
	s_xor_b32 s35, vcc_lo, s7
	s_delay_alu instid0(SALU_CYCLE_1)
	s_and_saveexec_b32 s34, s35
	s_cbranch_execz .LBB749_635
; %bb.637:                              ;   in Loop: Header=BB749_636 Depth=1
	s_add_nc_u64 s[8:9], s[8:9], -1
	v_add_nc_u64_e32 v[0:1], 8, v[0:1]
	s_cmp_eq_u64 s[8:9], 0
	v_add_nc_u64_e32 v[22:23], 8, v[22:23]
	s_cselect_b32 s35, -1, 0
	s_and_not1_b32 s31, s31, exec_lo
	s_and_b32 s35, s35, exec_lo
	s_and_not1_b32 s30, s30, exec_lo
	s_or_b32 s31, s31, s35
	s_branch .LBB749_635
.LBB749_638:
	s_or_b32 exec_lo, exec_lo, s28
	s_and_saveexec_b32 s7, s29
	s_delay_alu instid0(SALU_CYCLE_1)
	s_xor_b32 s7, exec_lo, s7
; %bb.639:
	v_dual_cndmask_b32 v1, v17, v11, s27 :: v_dual_cndmask_b32 v0, v16, v10, s27
	v_dual_cndmask_b32 v11, v11, v17, s27 :: v_dual_cndmask_b32 v10, v10, v16, s27
	s_delay_alu instid0(VALU_DEP_2)
	v_mov_b64_e32 v[16:17], v[0:1]
; %bb.640:
	s_or_b32 exec_lo, exec_lo, s7
.LBB749_641:
	s_delay_alu instid0(SALU_CYCLE_1) | instskip(SKIP_2) | instid1(SALU_CYCLE_1)
	s_or_b32 exec_lo, exec_lo, s26
	v_cmp_lt_u32_e32 vcc_lo, 4, v25
	s_and_b32 s26, vcc_lo, s22
	s_and_saveexec_b32 s27, s26
	s_cbranch_execz .LBB749_649
; %bb.642:
	v_mul_u64_e32 v[0:1], s[12:13], v[6:7]
	v_mul_u64_e32 v[22:23], s[12:13], v[12:13]
	s_mov_b32 s29, 0
	s_mov_b64 s[8:9], s[12:13]
                                        ; implicit-def: $sgpr28
                                        ; implicit-def: $sgpr30
                                        ; implicit-def: $sgpr33
                                        ; implicit-def: $sgpr31
                                        ; implicit-def: $sgpr34
	s_delay_alu instid0(VALU_DEP_2) | instskip(NEXT) | instid1(VALU_DEP_2)
	v_lshl_add_u64 v[0:1], v[0:1], 3, s[14:15]
	v_lshl_add_u64 v[22:23], v[22:23], 3, s[14:15]
	s_branch .LBB749_644
.LBB749_643:                            ;   in Loop: Header=BB749_644 Depth=1
	s_or_b32 exec_lo, exec_lo, s35
	s_and_b32 s7, s7, s34
	s_delay_alu instid0(SALU_CYCLE_1) | instskip(SKIP_1) | instid1(SALU_CYCLE_1)
	s_or_b32 s7, vcc_lo, s7
	s_and_b32 s35, exec_lo, s33
	s_or_b32 s29, s35, s29
	s_and_not1_b32 s34, s34, exec_lo
	s_and_b32 s7, s7, exec_lo
	s_and_not1_b32 s30, s30, exec_lo
	s_and_b32 s35, s31, exec_lo
	s_and_not1_b32 s28, s28, exec_lo
	s_or_b32 s34, s34, s7
	s_or_b32 s30, s30, s35
	;; [unrolled: 1-line block ×3, first 2 shown]
	s_and_not1_b32 exec_lo, exec_lo, s29
	s_cbranch_execz .LBB749_646
.LBB749_644:                            ; =>This Inner Loop Header: Depth=1
	global_load_b64 v[26:27], v[0:1], off
	global_load_b64 v[28:29], v[22:23], off
	s_or_b32 s31, s31, exec_lo
	s_or_b32 s33, s33, exec_lo
	s_wait_loadcnt 0x0
	v_cmp_lt_f64_e32 vcc_lo, v[26:27], v[28:29]
	v_cmp_ngt_f64_e64 s7, v[26:27], v[28:29]
	s_xor_b32 s36, vcc_lo, s7
	s_delay_alu instid0(SALU_CYCLE_1)
	s_and_saveexec_b32 s35, s36
	s_cbranch_execz .LBB749_643
; %bb.645:                              ;   in Loop: Header=BB749_644 Depth=1
	s_add_nc_u64 s[8:9], s[8:9], -1
	v_add_nc_u64_e32 v[0:1], 8, v[0:1]
	s_cmp_eq_u64 s[8:9], 0
	v_add_nc_u64_e32 v[22:23], 8, v[22:23]
	s_cselect_b32 s36, -1, 0
	s_and_not1_b32 s33, s33, exec_lo
	s_and_b32 s36, s36, exec_lo
	s_and_not1_b32 s31, s31, exec_lo
	s_or_b32 s33, s33, s36
	s_branch .LBB749_643
.LBB749_646:
	s_or_b32 exec_lo, exec_lo, s29
	s_and_saveexec_b32 s7, s30
	s_delay_alu instid0(SALU_CYCLE_1)
	s_xor_b32 s7, exec_lo, s7
; %bb.647:
	v_dual_cndmask_b32 v1, v13, v7, s28 :: v_dual_cndmask_b32 v0, v12, v6, s28
	v_dual_cndmask_b32 v7, v7, v13, s28 :: v_dual_cndmask_b32 v6, v6, v12, s28
	s_delay_alu instid0(VALU_DEP_2)
	v_mov_b64_e32 v[12:13], v[0:1]
; %bb.648:
	s_or_b32 exec_lo, exec_lo, s7
.LBB749_649:
	s_delay_alu instid0(SALU_CYCLE_1) | instskip(SKIP_2) | instid1(SALU_CYCLE_1)
	s_or_b32 exec_lo, exec_lo, s27
	v_cmp_lt_u32_e32 vcc_lo, 6, v25
	s_and_b32 s27, vcc_lo, s22
	s_and_saveexec_b32 s28, s27
	s_cbranch_execnz .LBB749_671
; %bb.650:
	s_or_b32 exec_lo, exec_lo, s28
	s_and_saveexec_b32 s28, s23
	s_cbranch_execnz .LBB749_678
.LBB749_651:
	s_or_b32 exec_lo, exec_lo, s28
	s_and_saveexec_b32 s28, s16
	s_cbranch_execnz .LBB749_685
.LBB749_652:
	s_or_b32 exec_lo, exec_lo, s28
	s_and_saveexec_b32 s28, s17
	s_cbranch_execnz .LBB749_692
.LBB749_653:
	s_or_b32 exec_lo, exec_lo, s28
	s_and_saveexec_b32 s28, s24
	s_cbranch_execnz .LBB749_699
.LBB749_654:
	s_or_b32 exec_lo, exec_lo, s28
	s_and_saveexec_b32 s28, s25
	s_cbranch_execnz .LBB749_706
.LBB749_655:
	s_or_b32 exec_lo, exec_lo, s28
	s_and_saveexec_b32 s28, s26
	s_cbranch_execnz .LBB749_713
.LBB749_656:
	s_or_b32 exec_lo, exec_lo, s28
	s_and_saveexec_b32 s28, s27
	s_cbranch_execnz .LBB749_720
.LBB749_657:
	s_or_b32 exec_lo, exec_lo, s28
	s_and_saveexec_b32 s28, s23
	s_cbranch_execnz .LBB749_727
.LBB749_658:
	s_or_b32 exec_lo, exec_lo, s28
	s_and_saveexec_b32 s28, s16
	s_cbranch_execnz .LBB749_734
.LBB749_659:
	s_or_b32 exec_lo, exec_lo, s28
	s_and_saveexec_b32 s28, s17
	s_cbranch_execnz .LBB749_741
.LBB749_660:
	s_or_b32 exec_lo, exec_lo, s28
	s_and_saveexec_b32 s28, s24
	s_cbranch_execnz .LBB749_748
.LBB749_661:
	s_or_b32 exec_lo, exec_lo, s28
	s_and_saveexec_b32 s28, s25
	s_cbranch_execnz .LBB749_755
.LBB749_662:
	s_or_b32 exec_lo, exec_lo, s28
	s_and_saveexec_b32 s28, s26
	s_cbranch_execnz .LBB749_762
.LBB749_663:
	s_or_b32 exec_lo, exec_lo, s28
	s_and_saveexec_b32 s28, s27
	s_cbranch_execnz .LBB749_769
.LBB749_664:
	s_or_b32 exec_lo, exec_lo, s28
	s_and_saveexec_b32 s28, s23
	s_cbranch_execnz .LBB749_776
.LBB749_665:
	s_or_b32 exec_lo, exec_lo, s28
	s_and_saveexec_b32 s23, s16
	s_cbranch_execnz .LBB749_783
.LBB749_666:
	s_or_b32 exec_lo, exec_lo, s23
	s_and_saveexec_b32 s16, s17
	s_cbranch_execnz .LBB749_790
.LBB749_667:
	s_or_b32 exec_lo, exec_lo, s16
	s_and_saveexec_b32 s16, s24
	s_cbranch_execnz .LBB749_797
.LBB749_668:
	s_or_b32 exec_lo, exec_lo, s16
	s_and_saveexec_b32 s16, s25
	s_cbranch_execnz .LBB749_804
.LBB749_669:
	s_or_b32 exec_lo, exec_lo, s16
	s_and_saveexec_b32 s16, s26
	s_cbranch_execnz .LBB749_811
.LBB749_670:
	s_or_b32 exec_lo, exec_lo, s16
	s_and_saveexec_b32 s16, s27
	s_cbranch_execnz .LBB749_818
	s_branch .LBB749_825
.LBB749_671:
	v_mul_u64_e32 v[0:1], s[12:13], v[2:3]
	v_mul_u64_e32 v[22:23], s[12:13], v[8:9]
	s_mov_b32 s30, 0
	s_mov_b64 s[8:9], s[12:13]
                                        ; implicit-def: $sgpr29
                                        ; implicit-def: $sgpr31
                                        ; implicit-def: $sgpr34
                                        ; implicit-def: $sgpr33
                                        ; implicit-def: $sgpr35
	s_delay_alu instid0(VALU_DEP_2) | instskip(NEXT) | instid1(VALU_DEP_2)
	v_lshl_add_u64 v[0:1], v[0:1], 3, s[14:15]
	v_lshl_add_u64 v[22:23], v[22:23], 3, s[14:15]
	s_branch .LBB749_673
.LBB749_672:                            ;   in Loop: Header=BB749_673 Depth=1
	s_or_b32 exec_lo, exec_lo, s36
	s_and_b32 s7, s7, s35
	s_delay_alu instid0(SALU_CYCLE_1) | instskip(SKIP_1) | instid1(SALU_CYCLE_1)
	s_or_b32 s7, vcc_lo, s7
	s_and_b32 s36, exec_lo, s34
	s_or_b32 s30, s36, s30
	s_and_not1_b32 s35, s35, exec_lo
	s_and_b32 s7, s7, exec_lo
	s_and_not1_b32 s31, s31, exec_lo
	s_and_b32 s36, s33, exec_lo
	s_and_not1_b32 s29, s29, exec_lo
	s_or_b32 s35, s35, s7
	s_or_b32 s31, s31, s36
	;; [unrolled: 1-line block ×3, first 2 shown]
	s_and_not1_b32 exec_lo, exec_lo, s30
	s_cbranch_execz .LBB749_675
.LBB749_673:                            ; =>This Inner Loop Header: Depth=1
	global_load_b64 v[26:27], v[0:1], off
	global_load_b64 v[28:29], v[22:23], off
	s_or_b32 s33, s33, exec_lo
	s_or_b32 s34, s34, exec_lo
	s_wait_loadcnt 0x0
	v_cmp_lt_f64_e32 vcc_lo, v[26:27], v[28:29]
	v_cmp_ngt_f64_e64 s7, v[26:27], v[28:29]
	s_xor_b32 s37, vcc_lo, s7
	s_delay_alu instid0(SALU_CYCLE_1)
	s_and_saveexec_b32 s36, s37
	s_cbranch_execz .LBB749_672
; %bb.674:                              ;   in Loop: Header=BB749_673 Depth=1
	s_add_nc_u64 s[8:9], s[8:9], -1
	v_add_nc_u64_e32 v[0:1], 8, v[0:1]
	s_cmp_eq_u64 s[8:9], 0
	v_add_nc_u64_e32 v[22:23], 8, v[22:23]
	s_cselect_b32 s37, -1, 0
	s_and_not1_b32 s34, s34, exec_lo
	s_and_b32 s37, s37, exec_lo
	s_and_not1_b32 s33, s33, exec_lo
	s_or_b32 s34, s34, s37
	s_branch .LBB749_672
.LBB749_675:
	s_or_b32 exec_lo, exec_lo, s30
	s_and_saveexec_b32 s7, s31
	s_delay_alu instid0(SALU_CYCLE_1)
	s_xor_b32 s7, exec_lo, s7
; %bb.676:
	v_dual_cndmask_b32 v1, v9, v3, s29 :: v_dual_cndmask_b32 v0, v8, v2, s29
	v_dual_cndmask_b32 v3, v3, v9, s29 :: v_dual_cndmask_b32 v2, v2, v8, s29
	s_delay_alu instid0(VALU_DEP_2)
	v_mov_b64_e32 v[8:9], v[0:1]
; %bb.677:
	s_or_b32 exec_lo, exec_lo, s7
	s_delay_alu instid0(SALU_CYCLE_1)
	s_or_b32 exec_lo, exec_lo, s28
	s_and_saveexec_b32 s28, s23
	s_cbranch_execz .LBB749_651
.LBB749_678:
	v_mul_u64_e32 v[0:1], s[12:13], v[16:17]
	v_mul_u64_e32 v[22:23], s[12:13], v[14:15]
	s_mov_b32 s30, 0
	s_mov_b64 s[8:9], s[12:13]
                                        ; implicit-def: $sgpr29
                                        ; implicit-def: $sgpr31
                                        ; implicit-def: $sgpr34
                                        ; implicit-def: $sgpr33
                                        ; implicit-def: $sgpr35
	s_delay_alu instid0(VALU_DEP_2) | instskip(NEXT) | instid1(VALU_DEP_2)
	v_lshl_add_u64 v[0:1], v[0:1], 3, s[14:15]
	v_lshl_add_u64 v[22:23], v[22:23], 3, s[14:15]
	s_branch .LBB749_680
.LBB749_679:                            ;   in Loop: Header=BB749_680 Depth=1
	s_or_b32 exec_lo, exec_lo, s36
	s_and_b32 s7, s7, s35
	s_delay_alu instid0(SALU_CYCLE_1) | instskip(SKIP_1) | instid1(SALU_CYCLE_1)
	s_or_b32 s7, vcc_lo, s7
	s_and_b32 s36, exec_lo, s34
	s_or_b32 s30, s36, s30
	s_and_not1_b32 s35, s35, exec_lo
	s_and_b32 s7, s7, exec_lo
	s_and_not1_b32 s31, s31, exec_lo
	s_and_b32 s36, s33, exec_lo
	s_and_not1_b32 s29, s29, exec_lo
	s_or_b32 s35, s35, s7
	s_or_b32 s31, s31, s36
	;; [unrolled: 1-line block ×3, first 2 shown]
	s_and_not1_b32 exec_lo, exec_lo, s30
	s_cbranch_execz .LBB749_682
.LBB749_680:                            ; =>This Inner Loop Header: Depth=1
	global_load_b64 v[26:27], v[0:1], off
	global_load_b64 v[28:29], v[22:23], off
	s_or_b32 s33, s33, exec_lo
	s_or_b32 s34, s34, exec_lo
	s_wait_loadcnt 0x0
	v_cmp_lt_f64_e32 vcc_lo, v[26:27], v[28:29]
	v_cmp_ngt_f64_e64 s7, v[26:27], v[28:29]
	s_xor_b32 s37, vcc_lo, s7
	s_delay_alu instid0(SALU_CYCLE_1)
	s_and_saveexec_b32 s36, s37
	s_cbranch_execz .LBB749_679
; %bb.681:                              ;   in Loop: Header=BB749_680 Depth=1
	s_add_nc_u64 s[8:9], s[8:9], -1
	v_add_nc_u64_e32 v[0:1], 8, v[0:1]
	s_cmp_eq_u64 s[8:9], 0
	v_add_nc_u64_e32 v[22:23], 8, v[22:23]
	s_cselect_b32 s37, -1, 0
	s_and_not1_b32 s34, s34, exec_lo
	s_and_b32 s37, s37, exec_lo
	s_and_not1_b32 s33, s33, exec_lo
	s_or_b32 s34, s34, s37
	s_branch .LBB749_679
.LBB749_682:
	s_or_b32 exec_lo, exec_lo, s30
	s_and_saveexec_b32 s7, s31
	s_delay_alu instid0(SALU_CYCLE_1)
	s_xor_b32 s7, exec_lo, s7
; %bb.683:
	v_dual_cndmask_b32 v1, v17, v15, s29 :: v_dual_cndmask_b32 v0, v16, v14, s29
	v_dual_cndmask_b32 v15, v15, v17, s29 :: v_dual_cndmask_b32 v14, v14, v16, s29
	s_delay_alu instid0(VALU_DEP_2)
	v_mov_b64_e32 v[16:17], v[0:1]
; %bb.684:
	s_or_b32 exec_lo, exec_lo, s7
	s_delay_alu instid0(SALU_CYCLE_1)
	s_or_b32 exec_lo, exec_lo, s28
	s_and_saveexec_b32 s28, s16
	s_cbranch_execz .LBB749_652
.LBB749_685:
	v_mul_u64_e32 v[0:1], s[12:13], v[12:13]
	v_mul_u64_e32 v[22:23], s[12:13], v[10:11]
	s_mov_b32 s30, 0
	s_mov_b64 s[8:9], s[12:13]
                                        ; implicit-def: $sgpr29
                                        ; implicit-def: $sgpr31
                                        ; implicit-def: $sgpr34
                                        ; implicit-def: $sgpr33
                                        ; implicit-def: $sgpr35
	s_delay_alu instid0(VALU_DEP_2) | instskip(NEXT) | instid1(VALU_DEP_2)
	v_lshl_add_u64 v[0:1], v[0:1], 3, s[14:15]
	v_lshl_add_u64 v[22:23], v[22:23], 3, s[14:15]
	s_branch .LBB749_687
.LBB749_686:                            ;   in Loop: Header=BB749_687 Depth=1
	s_or_b32 exec_lo, exec_lo, s36
	s_and_b32 s7, s7, s35
	s_delay_alu instid0(SALU_CYCLE_1) | instskip(SKIP_1) | instid1(SALU_CYCLE_1)
	s_or_b32 s7, vcc_lo, s7
	s_and_b32 s36, exec_lo, s34
	s_or_b32 s30, s36, s30
	s_and_not1_b32 s35, s35, exec_lo
	s_and_b32 s7, s7, exec_lo
	s_and_not1_b32 s31, s31, exec_lo
	s_and_b32 s36, s33, exec_lo
	s_and_not1_b32 s29, s29, exec_lo
	s_or_b32 s35, s35, s7
	s_or_b32 s31, s31, s36
	;; [unrolled: 1-line block ×3, first 2 shown]
	s_and_not1_b32 exec_lo, exec_lo, s30
	s_cbranch_execz .LBB749_689
.LBB749_687:                            ; =>This Inner Loop Header: Depth=1
	global_load_b64 v[26:27], v[0:1], off
	global_load_b64 v[28:29], v[22:23], off
	s_or_b32 s33, s33, exec_lo
	s_or_b32 s34, s34, exec_lo
	s_wait_loadcnt 0x0
	v_cmp_lt_f64_e32 vcc_lo, v[26:27], v[28:29]
	v_cmp_ngt_f64_e64 s7, v[26:27], v[28:29]
	s_xor_b32 s37, vcc_lo, s7
	s_delay_alu instid0(SALU_CYCLE_1)
	s_and_saveexec_b32 s36, s37
	s_cbranch_execz .LBB749_686
; %bb.688:                              ;   in Loop: Header=BB749_687 Depth=1
	s_add_nc_u64 s[8:9], s[8:9], -1
	v_add_nc_u64_e32 v[0:1], 8, v[0:1]
	s_cmp_eq_u64 s[8:9], 0
	v_add_nc_u64_e32 v[22:23], 8, v[22:23]
	s_cselect_b32 s37, -1, 0
	s_and_not1_b32 s34, s34, exec_lo
	s_and_b32 s37, s37, exec_lo
	s_and_not1_b32 s33, s33, exec_lo
	s_or_b32 s34, s34, s37
	s_branch .LBB749_686
.LBB749_689:
	s_or_b32 exec_lo, exec_lo, s30
	s_and_saveexec_b32 s7, s31
	s_delay_alu instid0(SALU_CYCLE_1)
	s_xor_b32 s7, exec_lo, s7
; %bb.690:
	v_dual_cndmask_b32 v1, v11, v13, s29 :: v_dual_cndmask_b32 v0, v10, v12, s29
	v_dual_cndmask_b32 v13, v13, v11, s29 :: v_dual_cndmask_b32 v12, v12, v10, s29
	s_delay_alu instid0(VALU_DEP_2)
	v_mov_b64_e32 v[10:11], v[0:1]
; %bb.691:
	s_or_b32 exec_lo, exec_lo, s7
	s_delay_alu instid0(SALU_CYCLE_1)
	s_or_b32 exec_lo, exec_lo, s28
	s_and_saveexec_b32 s28, s17
	s_cbranch_execz .LBB749_653
.LBB749_692:
	v_mul_u64_e32 v[0:1], s[12:13], v[8:9]
	v_mul_u64_e32 v[22:23], s[12:13], v[6:7]
	s_mov_b32 s30, 0
	s_mov_b64 s[8:9], s[12:13]
                                        ; implicit-def: $sgpr29
                                        ; implicit-def: $sgpr31
                                        ; implicit-def: $sgpr34
                                        ; implicit-def: $sgpr33
                                        ; implicit-def: $sgpr35
	s_delay_alu instid0(VALU_DEP_2) | instskip(NEXT) | instid1(VALU_DEP_2)
	v_lshl_add_u64 v[0:1], v[0:1], 3, s[14:15]
	v_lshl_add_u64 v[22:23], v[22:23], 3, s[14:15]
	s_branch .LBB749_694
.LBB749_693:                            ;   in Loop: Header=BB749_694 Depth=1
	s_or_b32 exec_lo, exec_lo, s36
	s_and_b32 s7, s7, s35
	s_delay_alu instid0(SALU_CYCLE_1) | instskip(SKIP_1) | instid1(SALU_CYCLE_1)
	s_or_b32 s7, vcc_lo, s7
	s_and_b32 s36, exec_lo, s34
	s_or_b32 s30, s36, s30
	s_and_not1_b32 s35, s35, exec_lo
	s_and_b32 s7, s7, exec_lo
	s_and_not1_b32 s31, s31, exec_lo
	s_and_b32 s36, s33, exec_lo
	s_and_not1_b32 s29, s29, exec_lo
	s_or_b32 s35, s35, s7
	s_or_b32 s31, s31, s36
	;; [unrolled: 1-line block ×3, first 2 shown]
	s_and_not1_b32 exec_lo, exec_lo, s30
	s_cbranch_execz .LBB749_696
.LBB749_694:                            ; =>This Inner Loop Header: Depth=1
	global_load_b64 v[26:27], v[0:1], off
	global_load_b64 v[28:29], v[22:23], off
	s_or_b32 s33, s33, exec_lo
	s_or_b32 s34, s34, exec_lo
	s_wait_loadcnt 0x0
	v_cmp_lt_f64_e32 vcc_lo, v[26:27], v[28:29]
	v_cmp_ngt_f64_e64 s7, v[26:27], v[28:29]
	s_xor_b32 s37, vcc_lo, s7
	s_delay_alu instid0(SALU_CYCLE_1)
	s_and_saveexec_b32 s36, s37
	s_cbranch_execz .LBB749_693
; %bb.695:                              ;   in Loop: Header=BB749_694 Depth=1
	s_add_nc_u64 s[8:9], s[8:9], -1
	v_add_nc_u64_e32 v[0:1], 8, v[0:1]
	s_cmp_eq_u64 s[8:9], 0
	v_add_nc_u64_e32 v[22:23], 8, v[22:23]
	s_cselect_b32 s37, -1, 0
	s_and_not1_b32 s34, s34, exec_lo
	s_and_b32 s37, s37, exec_lo
	s_and_not1_b32 s33, s33, exec_lo
	s_or_b32 s34, s34, s37
	s_branch .LBB749_693
.LBB749_696:
	s_or_b32 exec_lo, exec_lo, s30
	s_and_saveexec_b32 s7, s31
	s_delay_alu instid0(SALU_CYCLE_1)
	s_xor_b32 s7, exec_lo, s7
; %bb.697:
	v_dual_cndmask_b32 v1, v7, v9, s29 :: v_dual_cndmask_b32 v0, v6, v8, s29
	v_dual_cndmask_b32 v9, v9, v7, s29 :: v_dual_cndmask_b32 v8, v8, v6, s29
	s_delay_alu instid0(VALU_DEP_2)
	v_mov_b64_e32 v[6:7], v[0:1]
; %bb.698:
	s_or_b32 exec_lo, exec_lo, s7
	s_delay_alu instid0(SALU_CYCLE_1)
	s_or_b32 exec_lo, exec_lo, s28
	s_and_saveexec_b32 s28, s24
	s_cbranch_execz .LBB749_654
.LBB749_699:
	v_mul_u64_e32 v[0:1], s[12:13], v[4:5]
	v_mul_u64_e32 v[22:23], s[12:13], v[2:3]
	s_mov_b32 s30, 0
	s_mov_b64 s[8:9], s[12:13]
                                        ; implicit-def: $sgpr29
                                        ; implicit-def: $sgpr31
                                        ; implicit-def: $sgpr34
                                        ; implicit-def: $sgpr33
                                        ; implicit-def: $sgpr35
	s_delay_alu instid0(VALU_DEP_2) | instskip(NEXT) | instid1(VALU_DEP_2)
	v_lshl_add_u64 v[0:1], v[0:1], 3, s[14:15]
	v_lshl_add_u64 v[22:23], v[22:23], 3, s[14:15]
	s_branch .LBB749_701
.LBB749_700:                            ;   in Loop: Header=BB749_701 Depth=1
	s_or_b32 exec_lo, exec_lo, s36
	s_and_b32 s7, s7, s35
	s_delay_alu instid0(SALU_CYCLE_1) | instskip(SKIP_1) | instid1(SALU_CYCLE_1)
	s_or_b32 s7, vcc_lo, s7
	s_and_b32 s36, exec_lo, s34
	s_or_b32 s30, s36, s30
	s_and_not1_b32 s35, s35, exec_lo
	s_and_b32 s7, s7, exec_lo
	s_and_not1_b32 s31, s31, exec_lo
	s_and_b32 s36, s33, exec_lo
	s_and_not1_b32 s29, s29, exec_lo
	s_or_b32 s35, s35, s7
	s_or_b32 s31, s31, s36
	;; [unrolled: 1-line block ×3, first 2 shown]
	s_and_not1_b32 exec_lo, exec_lo, s30
	s_cbranch_execz .LBB749_703
.LBB749_701:                            ; =>This Inner Loop Header: Depth=1
	global_load_b64 v[26:27], v[0:1], off
	global_load_b64 v[28:29], v[22:23], off
	s_or_b32 s33, s33, exec_lo
	s_or_b32 s34, s34, exec_lo
	s_wait_loadcnt 0x0
	v_cmp_lt_f64_e32 vcc_lo, v[26:27], v[28:29]
	v_cmp_ngt_f64_e64 s7, v[26:27], v[28:29]
	s_xor_b32 s37, vcc_lo, s7
	s_delay_alu instid0(SALU_CYCLE_1)
	s_and_saveexec_b32 s36, s37
	s_cbranch_execz .LBB749_700
; %bb.702:                              ;   in Loop: Header=BB749_701 Depth=1
	s_add_nc_u64 s[8:9], s[8:9], -1
	v_add_nc_u64_e32 v[0:1], 8, v[0:1]
	s_cmp_eq_u64 s[8:9], 0
	v_add_nc_u64_e32 v[22:23], 8, v[22:23]
	s_cselect_b32 s37, -1, 0
	s_and_not1_b32 s34, s34, exec_lo
	s_and_b32 s37, s37, exec_lo
	s_and_not1_b32 s33, s33, exec_lo
	s_or_b32 s34, s34, s37
	s_branch .LBB749_700
.LBB749_703:
	s_or_b32 exec_lo, exec_lo, s30
	s_and_saveexec_b32 s7, s31
	s_delay_alu instid0(SALU_CYCLE_1)
	s_xor_b32 s7, exec_lo, s7
; %bb.704:
	v_dual_cndmask_b32 v1, v3, v5, s29 :: v_dual_cndmask_b32 v0, v2, v4, s29
	v_dual_cndmask_b32 v5, v5, v3, s29 :: v_dual_cndmask_b32 v4, v4, v2, s29
	s_delay_alu instid0(VALU_DEP_2)
	v_mov_b64_e32 v[2:3], v[0:1]
; %bb.705:
	s_or_b32 exec_lo, exec_lo, s7
	s_delay_alu instid0(SALU_CYCLE_1)
	s_or_b32 exec_lo, exec_lo, s28
	s_and_saveexec_b32 s28, s25
	s_cbranch_execz .LBB749_655
.LBB749_706:
	v_mul_u64_e32 v[0:1], s[12:13], v[10:11]
	v_mul_u64_e32 v[22:23], s[12:13], v[16:17]
	s_mov_b32 s30, 0
	s_mov_b64 s[8:9], s[12:13]
                                        ; implicit-def: $sgpr29
                                        ; implicit-def: $sgpr31
                                        ; implicit-def: $sgpr34
                                        ; implicit-def: $sgpr33
                                        ; implicit-def: $sgpr35
	s_delay_alu instid0(VALU_DEP_2) | instskip(NEXT) | instid1(VALU_DEP_2)
	v_lshl_add_u64 v[0:1], v[0:1], 3, s[14:15]
	v_lshl_add_u64 v[22:23], v[22:23], 3, s[14:15]
	s_branch .LBB749_708
.LBB749_707:                            ;   in Loop: Header=BB749_708 Depth=1
	s_or_b32 exec_lo, exec_lo, s36
	s_and_b32 s7, s7, s35
	s_delay_alu instid0(SALU_CYCLE_1) | instskip(SKIP_1) | instid1(SALU_CYCLE_1)
	s_or_b32 s7, vcc_lo, s7
	s_and_b32 s36, exec_lo, s34
	s_or_b32 s30, s36, s30
	s_and_not1_b32 s35, s35, exec_lo
	s_and_b32 s7, s7, exec_lo
	s_and_not1_b32 s31, s31, exec_lo
	s_and_b32 s36, s33, exec_lo
	s_and_not1_b32 s29, s29, exec_lo
	s_or_b32 s35, s35, s7
	s_or_b32 s31, s31, s36
	;; [unrolled: 1-line block ×3, first 2 shown]
	s_and_not1_b32 exec_lo, exec_lo, s30
	s_cbranch_execz .LBB749_710
.LBB749_708:                            ; =>This Inner Loop Header: Depth=1
	global_load_b64 v[26:27], v[0:1], off
	global_load_b64 v[28:29], v[22:23], off
	s_or_b32 s33, s33, exec_lo
	s_or_b32 s34, s34, exec_lo
	s_wait_loadcnt 0x0
	v_cmp_lt_f64_e32 vcc_lo, v[26:27], v[28:29]
	v_cmp_ngt_f64_e64 s7, v[26:27], v[28:29]
	s_xor_b32 s37, vcc_lo, s7
	s_delay_alu instid0(SALU_CYCLE_1)
	s_and_saveexec_b32 s36, s37
	s_cbranch_execz .LBB749_707
; %bb.709:                              ;   in Loop: Header=BB749_708 Depth=1
	s_add_nc_u64 s[8:9], s[8:9], -1
	v_add_nc_u64_e32 v[0:1], 8, v[0:1]
	s_cmp_eq_u64 s[8:9], 0
	v_add_nc_u64_e32 v[22:23], 8, v[22:23]
	s_cselect_b32 s37, -1, 0
	s_and_not1_b32 s34, s34, exec_lo
	s_and_b32 s37, s37, exec_lo
	s_and_not1_b32 s33, s33, exec_lo
	s_or_b32 s34, s34, s37
	s_branch .LBB749_707
.LBB749_710:
	s_or_b32 exec_lo, exec_lo, s30
	s_and_saveexec_b32 s7, s31
	s_delay_alu instid0(SALU_CYCLE_1)
	s_xor_b32 s7, exec_lo, s7
; %bb.711:
	v_dual_cndmask_b32 v1, v17, v11, s29 :: v_dual_cndmask_b32 v0, v16, v10, s29
	v_dual_cndmask_b32 v11, v11, v17, s29 :: v_dual_cndmask_b32 v10, v10, v16, s29
	s_delay_alu instid0(VALU_DEP_2)
	v_mov_b64_e32 v[16:17], v[0:1]
; %bb.712:
	s_or_b32 exec_lo, exec_lo, s7
	s_delay_alu instid0(SALU_CYCLE_1)
	s_or_b32 exec_lo, exec_lo, s28
	s_and_saveexec_b32 s28, s26
	s_cbranch_execz .LBB749_656
.LBB749_713:
	v_mul_u64_e32 v[0:1], s[12:13], v[6:7]
	v_mul_u64_e32 v[22:23], s[12:13], v[12:13]
	s_mov_b32 s30, 0
	s_mov_b64 s[8:9], s[12:13]
                                        ; implicit-def: $sgpr29
                                        ; implicit-def: $sgpr31
                                        ; implicit-def: $sgpr34
                                        ; implicit-def: $sgpr33
                                        ; implicit-def: $sgpr35
	s_delay_alu instid0(VALU_DEP_2) | instskip(NEXT) | instid1(VALU_DEP_2)
	v_lshl_add_u64 v[0:1], v[0:1], 3, s[14:15]
	v_lshl_add_u64 v[22:23], v[22:23], 3, s[14:15]
	s_branch .LBB749_715
.LBB749_714:                            ;   in Loop: Header=BB749_715 Depth=1
	s_or_b32 exec_lo, exec_lo, s36
	s_and_b32 s7, s7, s35
	s_delay_alu instid0(SALU_CYCLE_1) | instskip(SKIP_1) | instid1(SALU_CYCLE_1)
	s_or_b32 s7, vcc_lo, s7
	s_and_b32 s36, exec_lo, s34
	s_or_b32 s30, s36, s30
	s_and_not1_b32 s35, s35, exec_lo
	s_and_b32 s7, s7, exec_lo
	s_and_not1_b32 s31, s31, exec_lo
	s_and_b32 s36, s33, exec_lo
	s_and_not1_b32 s29, s29, exec_lo
	s_or_b32 s35, s35, s7
	s_or_b32 s31, s31, s36
	;; [unrolled: 1-line block ×3, first 2 shown]
	s_and_not1_b32 exec_lo, exec_lo, s30
	s_cbranch_execz .LBB749_717
.LBB749_715:                            ; =>This Inner Loop Header: Depth=1
	global_load_b64 v[26:27], v[0:1], off
	global_load_b64 v[28:29], v[22:23], off
	s_or_b32 s33, s33, exec_lo
	s_or_b32 s34, s34, exec_lo
	s_wait_loadcnt 0x0
	v_cmp_lt_f64_e32 vcc_lo, v[26:27], v[28:29]
	v_cmp_ngt_f64_e64 s7, v[26:27], v[28:29]
	s_xor_b32 s37, vcc_lo, s7
	s_delay_alu instid0(SALU_CYCLE_1)
	s_and_saveexec_b32 s36, s37
	s_cbranch_execz .LBB749_714
; %bb.716:                              ;   in Loop: Header=BB749_715 Depth=1
	s_add_nc_u64 s[8:9], s[8:9], -1
	v_add_nc_u64_e32 v[0:1], 8, v[0:1]
	s_cmp_eq_u64 s[8:9], 0
	v_add_nc_u64_e32 v[22:23], 8, v[22:23]
	s_cselect_b32 s37, -1, 0
	s_and_not1_b32 s34, s34, exec_lo
	s_and_b32 s37, s37, exec_lo
	s_and_not1_b32 s33, s33, exec_lo
	s_or_b32 s34, s34, s37
	s_branch .LBB749_714
.LBB749_717:
	s_or_b32 exec_lo, exec_lo, s30
	s_and_saveexec_b32 s7, s31
	s_delay_alu instid0(SALU_CYCLE_1)
	s_xor_b32 s7, exec_lo, s7
; %bb.718:
	v_dual_cndmask_b32 v1, v13, v7, s29 :: v_dual_cndmask_b32 v0, v12, v6, s29
	v_dual_cndmask_b32 v7, v7, v13, s29 :: v_dual_cndmask_b32 v6, v6, v12, s29
	s_delay_alu instid0(VALU_DEP_2)
	v_mov_b64_e32 v[12:13], v[0:1]
; %bb.719:
	s_or_b32 exec_lo, exec_lo, s7
	s_delay_alu instid0(SALU_CYCLE_1)
	s_or_b32 exec_lo, exec_lo, s28
	s_and_saveexec_b32 s28, s27
	s_cbranch_execz .LBB749_657
.LBB749_720:
	v_mul_u64_e32 v[0:1], s[12:13], v[2:3]
	v_mul_u64_e32 v[22:23], s[12:13], v[8:9]
	s_mov_b32 s30, 0
	s_mov_b64 s[8:9], s[12:13]
                                        ; implicit-def: $sgpr29
                                        ; implicit-def: $sgpr31
                                        ; implicit-def: $sgpr34
                                        ; implicit-def: $sgpr33
                                        ; implicit-def: $sgpr35
	s_delay_alu instid0(VALU_DEP_2) | instskip(NEXT) | instid1(VALU_DEP_2)
	v_lshl_add_u64 v[0:1], v[0:1], 3, s[14:15]
	v_lshl_add_u64 v[22:23], v[22:23], 3, s[14:15]
	s_branch .LBB749_722
.LBB749_721:                            ;   in Loop: Header=BB749_722 Depth=1
	s_or_b32 exec_lo, exec_lo, s36
	s_and_b32 s7, s7, s35
	s_delay_alu instid0(SALU_CYCLE_1) | instskip(SKIP_1) | instid1(SALU_CYCLE_1)
	s_or_b32 s7, vcc_lo, s7
	s_and_b32 s36, exec_lo, s34
	s_or_b32 s30, s36, s30
	s_and_not1_b32 s35, s35, exec_lo
	s_and_b32 s7, s7, exec_lo
	s_and_not1_b32 s31, s31, exec_lo
	s_and_b32 s36, s33, exec_lo
	s_and_not1_b32 s29, s29, exec_lo
	s_or_b32 s35, s35, s7
	s_or_b32 s31, s31, s36
	;; [unrolled: 1-line block ×3, first 2 shown]
	s_and_not1_b32 exec_lo, exec_lo, s30
	s_cbranch_execz .LBB749_724
.LBB749_722:                            ; =>This Inner Loop Header: Depth=1
	global_load_b64 v[26:27], v[0:1], off
	global_load_b64 v[28:29], v[22:23], off
	s_or_b32 s33, s33, exec_lo
	s_or_b32 s34, s34, exec_lo
	s_wait_loadcnt 0x0
	v_cmp_lt_f64_e32 vcc_lo, v[26:27], v[28:29]
	v_cmp_ngt_f64_e64 s7, v[26:27], v[28:29]
	s_xor_b32 s37, vcc_lo, s7
	s_delay_alu instid0(SALU_CYCLE_1)
	s_and_saveexec_b32 s36, s37
	s_cbranch_execz .LBB749_721
; %bb.723:                              ;   in Loop: Header=BB749_722 Depth=1
	s_add_nc_u64 s[8:9], s[8:9], -1
	v_add_nc_u64_e32 v[0:1], 8, v[0:1]
	s_cmp_eq_u64 s[8:9], 0
	v_add_nc_u64_e32 v[22:23], 8, v[22:23]
	s_cselect_b32 s37, -1, 0
	s_and_not1_b32 s34, s34, exec_lo
	s_and_b32 s37, s37, exec_lo
	s_and_not1_b32 s33, s33, exec_lo
	s_or_b32 s34, s34, s37
	s_branch .LBB749_721
.LBB749_724:
	s_or_b32 exec_lo, exec_lo, s30
	s_and_saveexec_b32 s7, s31
	s_delay_alu instid0(SALU_CYCLE_1)
	s_xor_b32 s7, exec_lo, s7
; %bb.725:
	v_dual_cndmask_b32 v1, v9, v3, s29 :: v_dual_cndmask_b32 v0, v8, v2, s29
	v_dual_cndmask_b32 v3, v3, v9, s29 :: v_dual_cndmask_b32 v2, v2, v8, s29
	s_delay_alu instid0(VALU_DEP_2)
	v_mov_b64_e32 v[8:9], v[0:1]
; %bb.726:
	s_or_b32 exec_lo, exec_lo, s7
	s_delay_alu instid0(SALU_CYCLE_1)
	s_or_b32 exec_lo, exec_lo, s28
	s_and_saveexec_b32 s28, s23
	s_cbranch_execz .LBB749_658
.LBB749_727:
	v_mul_u64_e32 v[0:1], s[12:13], v[16:17]
	v_mul_u64_e32 v[22:23], s[12:13], v[14:15]
	s_mov_b32 s30, 0
	s_mov_b64 s[8:9], s[12:13]
                                        ; implicit-def: $sgpr29
                                        ; implicit-def: $sgpr31
                                        ; implicit-def: $sgpr34
                                        ; implicit-def: $sgpr33
                                        ; implicit-def: $sgpr35
	s_delay_alu instid0(VALU_DEP_2) | instskip(NEXT) | instid1(VALU_DEP_2)
	v_lshl_add_u64 v[0:1], v[0:1], 3, s[14:15]
	v_lshl_add_u64 v[22:23], v[22:23], 3, s[14:15]
	s_branch .LBB749_729
.LBB749_728:                            ;   in Loop: Header=BB749_729 Depth=1
	s_or_b32 exec_lo, exec_lo, s36
	s_and_b32 s7, s7, s35
	s_delay_alu instid0(SALU_CYCLE_1) | instskip(SKIP_1) | instid1(SALU_CYCLE_1)
	s_or_b32 s7, vcc_lo, s7
	s_and_b32 s36, exec_lo, s34
	s_or_b32 s30, s36, s30
	s_and_not1_b32 s35, s35, exec_lo
	s_and_b32 s7, s7, exec_lo
	s_and_not1_b32 s31, s31, exec_lo
	s_and_b32 s36, s33, exec_lo
	s_and_not1_b32 s29, s29, exec_lo
	s_or_b32 s35, s35, s7
	s_or_b32 s31, s31, s36
	;; [unrolled: 1-line block ×3, first 2 shown]
	s_and_not1_b32 exec_lo, exec_lo, s30
	s_cbranch_execz .LBB749_731
.LBB749_729:                            ; =>This Inner Loop Header: Depth=1
	global_load_b64 v[26:27], v[0:1], off
	global_load_b64 v[28:29], v[22:23], off
	s_or_b32 s33, s33, exec_lo
	s_or_b32 s34, s34, exec_lo
	s_wait_loadcnt 0x0
	v_cmp_lt_f64_e32 vcc_lo, v[26:27], v[28:29]
	v_cmp_ngt_f64_e64 s7, v[26:27], v[28:29]
	s_xor_b32 s37, vcc_lo, s7
	s_delay_alu instid0(SALU_CYCLE_1)
	s_and_saveexec_b32 s36, s37
	s_cbranch_execz .LBB749_728
; %bb.730:                              ;   in Loop: Header=BB749_729 Depth=1
	s_add_nc_u64 s[8:9], s[8:9], -1
	v_add_nc_u64_e32 v[0:1], 8, v[0:1]
	s_cmp_eq_u64 s[8:9], 0
	v_add_nc_u64_e32 v[22:23], 8, v[22:23]
	s_cselect_b32 s37, -1, 0
	s_and_not1_b32 s34, s34, exec_lo
	s_and_b32 s37, s37, exec_lo
	s_and_not1_b32 s33, s33, exec_lo
	s_or_b32 s34, s34, s37
	s_branch .LBB749_728
.LBB749_731:
	s_or_b32 exec_lo, exec_lo, s30
	s_and_saveexec_b32 s7, s31
	s_delay_alu instid0(SALU_CYCLE_1)
	s_xor_b32 s7, exec_lo, s7
; %bb.732:
	v_dual_cndmask_b32 v1, v17, v15, s29 :: v_dual_cndmask_b32 v0, v16, v14, s29
	v_dual_cndmask_b32 v15, v15, v17, s29 :: v_dual_cndmask_b32 v14, v14, v16, s29
	s_delay_alu instid0(VALU_DEP_2)
	v_mov_b64_e32 v[16:17], v[0:1]
; %bb.733:
	s_or_b32 exec_lo, exec_lo, s7
	s_delay_alu instid0(SALU_CYCLE_1)
	s_or_b32 exec_lo, exec_lo, s28
	s_and_saveexec_b32 s28, s16
	s_cbranch_execz .LBB749_659
.LBB749_734:
	v_mul_u64_e32 v[0:1], s[12:13], v[12:13]
	v_mul_u64_e32 v[22:23], s[12:13], v[10:11]
	s_mov_b32 s30, 0
	s_mov_b64 s[8:9], s[12:13]
                                        ; implicit-def: $sgpr29
                                        ; implicit-def: $sgpr31
                                        ; implicit-def: $sgpr34
                                        ; implicit-def: $sgpr33
                                        ; implicit-def: $sgpr35
	s_delay_alu instid0(VALU_DEP_2) | instskip(NEXT) | instid1(VALU_DEP_2)
	v_lshl_add_u64 v[0:1], v[0:1], 3, s[14:15]
	v_lshl_add_u64 v[22:23], v[22:23], 3, s[14:15]
	s_branch .LBB749_736
.LBB749_735:                            ;   in Loop: Header=BB749_736 Depth=1
	s_or_b32 exec_lo, exec_lo, s36
	s_and_b32 s7, s7, s35
	s_delay_alu instid0(SALU_CYCLE_1) | instskip(SKIP_1) | instid1(SALU_CYCLE_1)
	s_or_b32 s7, vcc_lo, s7
	s_and_b32 s36, exec_lo, s34
	s_or_b32 s30, s36, s30
	s_and_not1_b32 s35, s35, exec_lo
	s_and_b32 s7, s7, exec_lo
	s_and_not1_b32 s31, s31, exec_lo
	s_and_b32 s36, s33, exec_lo
	s_and_not1_b32 s29, s29, exec_lo
	s_or_b32 s35, s35, s7
	s_or_b32 s31, s31, s36
	;; [unrolled: 1-line block ×3, first 2 shown]
	s_and_not1_b32 exec_lo, exec_lo, s30
	s_cbranch_execz .LBB749_738
.LBB749_736:                            ; =>This Inner Loop Header: Depth=1
	global_load_b64 v[26:27], v[0:1], off
	global_load_b64 v[28:29], v[22:23], off
	s_or_b32 s33, s33, exec_lo
	s_or_b32 s34, s34, exec_lo
	s_wait_loadcnt 0x0
	v_cmp_lt_f64_e32 vcc_lo, v[26:27], v[28:29]
	v_cmp_ngt_f64_e64 s7, v[26:27], v[28:29]
	s_xor_b32 s37, vcc_lo, s7
	s_delay_alu instid0(SALU_CYCLE_1)
	s_and_saveexec_b32 s36, s37
	s_cbranch_execz .LBB749_735
; %bb.737:                              ;   in Loop: Header=BB749_736 Depth=1
	s_add_nc_u64 s[8:9], s[8:9], -1
	v_add_nc_u64_e32 v[0:1], 8, v[0:1]
	s_cmp_eq_u64 s[8:9], 0
	v_add_nc_u64_e32 v[22:23], 8, v[22:23]
	s_cselect_b32 s37, -1, 0
	s_and_not1_b32 s34, s34, exec_lo
	s_and_b32 s37, s37, exec_lo
	s_and_not1_b32 s33, s33, exec_lo
	s_or_b32 s34, s34, s37
	s_branch .LBB749_735
.LBB749_738:
	s_or_b32 exec_lo, exec_lo, s30
	s_and_saveexec_b32 s7, s31
	s_delay_alu instid0(SALU_CYCLE_1)
	s_xor_b32 s7, exec_lo, s7
; %bb.739:
	v_dual_cndmask_b32 v1, v11, v13, s29 :: v_dual_cndmask_b32 v0, v10, v12, s29
	v_dual_cndmask_b32 v13, v13, v11, s29 :: v_dual_cndmask_b32 v12, v12, v10, s29
	s_delay_alu instid0(VALU_DEP_2)
	v_mov_b64_e32 v[10:11], v[0:1]
; %bb.740:
	s_or_b32 exec_lo, exec_lo, s7
	s_delay_alu instid0(SALU_CYCLE_1)
	s_or_b32 exec_lo, exec_lo, s28
	s_and_saveexec_b32 s28, s17
	s_cbranch_execz .LBB749_660
.LBB749_741:
	v_mul_u64_e32 v[0:1], s[12:13], v[8:9]
	v_mul_u64_e32 v[22:23], s[12:13], v[6:7]
	s_mov_b32 s30, 0
	s_mov_b64 s[8:9], s[12:13]
                                        ; implicit-def: $sgpr29
                                        ; implicit-def: $sgpr31
                                        ; implicit-def: $sgpr34
                                        ; implicit-def: $sgpr33
                                        ; implicit-def: $sgpr35
	s_delay_alu instid0(VALU_DEP_2) | instskip(NEXT) | instid1(VALU_DEP_2)
	v_lshl_add_u64 v[0:1], v[0:1], 3, s[14:15]
	v_lshl_add_u64 v[22:23], v[22:23], 3, s[14:15]
	s_branch .LBB749_743
.LBB749_742:                            ;   in Loop: Header=BB749_743 Depth=1
	s_or_b32 exec_lo, exec_lo, s36
	s_and_b32 s7, s7, s35
	s_delay_alu instid0(SALU_CYCLE_1) | instskip(SKIP_1) | instid1(SALU_CYCLE_1)
	s_or_b32 s7, vcc_lo, s7
	s_and_b32 s36, exec_lo, s34
	s_or_b32 s30, s36, s30
	s_and_not1_b32 s35, s35, exec_lo
	s_and_b32 s7, s7, exec_lo
	s_and_not1_b32 s31, s31, exec_lo
	s_and_b32 s36, s33, exec_lo
	s_and_not1_b32 s29, s29, exec_lo
	s_or_b32 s35, s35, s7
	s_or_b32 s31, s31, s36
	;; [unrolled: 1-line block ×3, first 2 shown]
	s_and_not1_b32 exec_lo, exec_lo, s30
	s_cbranch_execz .LBB749_745
.LBB749_743:                            ; =>This Inner Loop Header: Depth=1
	global_load_b64 v[26:27], v[0:1], off
	global_load_b64 v[28:29], v[22:23], off
	s_or_b32 s33, s33, exec_lo
	s_or_b32 s34, s34, exec_lo
	s_wait_loadcnt 0x0
	v_cmp_lt_f64_e32 vcc_lo, v[26:27], v[28:29]
	v_cmp_ngt_f64_e64 s7, v[26:27], v[28:29]
	s_xor_b32 s37, vcc_lo, s7
	s_delay_alu instid0(SALU_CYCLE_1)
	s_and_saveexec_b32 s36, s37
	s_cbranch_execz .LBB749_742
; %bb.744:                              ;   in Loop: Header=BB749_743 Depth=1
	s_add_nc_u64 s[8:9], s[8:9], -1
	v_add_nc_u64_e32 v[0:1], 8, v[0:1]
	s_cmp_eq_u64 s[8:9], 0
	v_add_nc_u64_e32 v[22:23], 8, v[22:23]
	s_cselect_b32 s37, -1, 0
	s_and_not1_b32 s34, s34, exec_lo
	s_and_b32 s37, s37, exec_lo
	s_and_not1_b32 s33, s33, exec_lo
	s_or_b32 s34, s34, s37
	s_branch .LBB749_742
.LBB749_745:
	s_or_b32 exec_lo, exec_lo, s30
	s_and_saveexec_b32 s7, s31
	s_delay_alu instid0(SALU_CYCLE_1)
	s_xor_b32 s7, exec_lo, s7
; %bb.746:
	v_dual_cndmask_b32 v1, v7, v9, s29 :: v_dual_cndmask_b32 v0, v6, v8, s29
	v_dual_cndmask_b32 v9, v9, v7, s29 :: v_dual_cndmask_b32 v8, v8, v6, s29
	s_delay_alu instid0(VALU_DEP_2)
	v_mov_b64_e32 v[6:7], v[0:1]
; %bb.747:
	s_or_b32 exec_lo, exec_lo, s7
	s_delay_alu instid0(SALU_CYCLE_1)
	s_or_b32 exec_lo, exec_lo, s28
	s_and_saveexec_b32 s28, s24
	s_cbranch_execz .LBB749_661
.LBB749_748:
	v_mul_u64_e32 v[0:1], s[12:13], v[4:5]
	v_mul_u64_e32 v[22:23], s[12:13], v[2:3]
	s_mov_b32 s30, 0
	s_mov_b64 s[8:9], s[12:13]
                                        ; implicit-def: $sgpr29
                                        ; implicit-def: $sgpr31
                                        ; implicit-def: $sgpr34
                                        ; implicit-def: $sgpr33
                                        ; implicit-def: $sgpr35
	s_delay_alu instid0(VALU_DEP_2) | instskip(NEXT) | instid1(VALU_DEP_2)
	v_lshl_add_u64 v[0:1], v[0:1], 3, s[14:15]
	v_lshl_add_u64 v[22:23], v[22:23], 3, s[14:15]
	s_branch .LBB749_750
.LBB749_749:                            ;   in Loop: Header=BB749_750 Depth=1
	s_or_b32 exec_lo, exec_lo, s36
	s_and_b32 s7, s7, s35
	s_delay_alu instid0(SALU_CYCLE_1) | instskip(SKIP_1) | instid1(SALU_CYCLE_1)
	s_or_b32 s7, vcc_lo, s7
	s_and_b32 s36, exec_lo, s34
	s_or_b32 s30, s36, s30
	s_and_not1_b32 s35, s35, exec_lo
	s_and_b32 s7, s7, exec_lo
	s_and_not1_b32 s31, s31, exec_lo
	s_and_b32 s36, s33, exec_lo
	s_and_not1_b32 s29, s29, exec_lo
	s_or_b32 s35, s35, s7
	s_or_b32 s31, s31, s36
	;; [unrolled: 1-line block ×3, first 2 shown]
	s_and_not1_b32 exec_lo, exec_lo, s30
	s_cbranch_execz .LBB749_752
.LBB749_750:                            ; =>This Inner Loop Header: Depth=1
	global_load_b64 v[26:27], v[0:1], off
	global_load_b64 v[28:29], v[22:23], off
	s_or_b32 s33, s33, exec_lo
	s_or_b32 s34, s34, exec_lo
	s_wait_loadcnt 0x0
	v_cmp_lt_f64_e32 vcc_lo, v[26:27], v[28:29]
	v_cmp_ngt_f64_e64 s7, v[26:27], v[28:29]
	s_xor_b32 s37, vcc_lo, s7
	s_delay_alu instid0(SALU_CYCLE_1)
	s_and_saveexec_b32 s36, s37
	s_cbranch_execz .LBB749_749
; %bb.751:                              ;   in Loop: Header=BB749_750 Depth=1
	s_add_nc_u64 s[8:9], s[8:9], -1
	v_add_nc_u64_e32 v[0:1], 8, v[0:1]
	s_cmp_eq_u64 s[8:9], 0
	v_add_nc_u64_e32 v[22:23], 8, v[22:23]
	s_cselect_b32 s37, -1, 0
	s_and_not1_b32 s34, s34, exec_lo
	s_and_b32 s37, s37, exec_lo
	s_and_not1_b32 s33, s33, exec_lo
	s_or_b32 s34, s34, s37
	s_branch .LBB749_749
.LBB749_752:
	s_or_b32 exec_lo, exec_lo, s30
	s_and_saveexec_b32 s7, s31
	s_delay_alu instid0(SALU_CYCLE_1)
	s_xor_b32 s7, exec_lo, s7
; %bb.753:
	v_dual_cndmask_b32 v1, v3, v5, s29 :: v_dual_cndmask_b32 v0, v2, v4, s29
	v_dual_cndmask_b32 v5, v5, v3, s29 :: v_dual_cndmask_b32 v4, v4, v2, s29
	s_delay_alu instid0(VALU_DEP_2)
	v_mov_b64_e32 v[2:3], v[0:1]
; %bb.754:
	s_or_b32 exec_lo, exec_lo, s7
	s_delay_alu instid0(SALU_CYCLE_1)
	s_or_b32 exec_lo, exec_lo, s28
	s_and_saveexec_b32 s28, s25
	s_cbranch_execz .LBB749_662
.LBB749_755:
	v_mul_u64_e32 v[0:1], s[12:13], v[10:11]
	v_mul_u64_e32 v[22:23], s[12:13], v[16:17]
	s_mov_b32 s30, 0
	s_mov_b64 s[8:9], s[12:13]
                                        ; implicit-def: $sgpr29
                                        ; implicit-def: $sgpr31
                                        ; implicit-def: $sgpr34
                                        ; implicit-def: $sgpr33
                                        ; implicit-def: $sgpr35
	s_delay_alu instid0(VALU_DEP_2) | instskip(NEXT) | instid1(VALU_DEP_2)
	v_lshl_add_u64 v[0:1], v[0:1], 3, s[14:15]
	v_lshl_add_u64 v[22:23], v[22:23], 3, s[14:15]
	s_branch .LBB749_757
.LBB749_756:                            ;   in Loop: Header=BB749_757 Depth=1
	s_or_b32 exec_lo, exec_lo, s36
	s_and_b32 s7, s7, s35
	s_delay_alu instid0(SALU_CYCLE_1) | instskip(SKIP_1) | instid1(SALU_CYCLE_1)
	s_or_b32 s7, vcc_lo, s7
	s_and_b32 s36, exec_lo, s34
	s_or_b32 s30, s36, s30
	s_and_not1_b32 s35, s35, exec_lo
	s_and_b32 s7, s7, exec_lo
	s_and_not1_b32 s31, s31, exec_lo
	s_and_b32 s36, s33, exec_lo
	s_and_not1_b32 s29, s29, exec_lo
	s_or_b32 s35, s35, s7
	s_or_b32 s31, s31, s36
	;; [unrolled: 1-line block ×3, first 2 shown]
	s_and_not1_b32 exec_lo, exec_lo, s30
	s_cbranch_execz .LBB749_759
.LBB749_757:                            ; =>This Inner Loop Header: Depth=1
	global_load_b64 v[26:27], v[0:1], off
	global_load_b64 v[28:29], v[22:23], off
	s_or_b32 s33, s33, exec_lo
	s_or_b32 s34, s34, exec_lo
	s_wait_loadcnt 0x0
	v_cmp_lt_f64_e32 vcc_lo, v[26:27], v[28:29]
	v_cmp_ngt_f64_e64 s7, v[26:27], v[28:29]
	s_xor_b32 s37, vcc_lo, s7
	s_delay_alu instid0(SALU_CYCLE_1)
	s_and_saveexec_b32 s36, s37
	s_cbranch_execz .LBB749_756
; %bb.758:                              ;   in Loop: Header=BB749_757 Depth=1
	s_add_nc_u64 s[8:9], s[8:9], -1
	v_add_nc_u64_e32 v[0:1], 8, v[0:1]
	s_cmp_eq_u64 s[8:9], 0
	v_add_nc_u64_e32 v[22:23], 8, v[22:23]
	s_cselect_b32 s37, -1, 0
	s_and_not1_b32 s34, s34, exec_lo
	s_and_b32 s37, s37, exec_lo
	s_and_not1_b32 s33, s33, exec_lo
	s_or_b32 s34, s34, s37
	s_branch .LBB749_756
.LBB749_759:
	s_or_b32 exec_lo, exec_lo, s30
	s_and_saveexec_b32 s7, s31
	s_delay_alu instid0(SALU_CYCLE_1)
	s_xor_b32 s7, exec_lo, s7
; %bb.760:
	v_dual_cndmask_b32 v1, v17, v11, s29 :: v_dual_cndmask_b32 v0, v16, v10, s29
	v_dual_cndmask_b32 v11, v11, v17, s29 :: v_dual_cndmask_b32 v10, v10, v16, s29
	s_delay_alu instid0(VALU_DEP_2)
	v_mov_b64_e32 v[16:17], v[0:1]
; %bb.761:
	s_or_b32 exec_lo, exec_lo, s7
	s_delay_alu instid0(SALU_CYCLE_1)
	s_or_b32 exec_lo, exec_lo, s28
	s_and_saveexec_b32 s28, s26
	s_cbranch_execz .LBB749_663
.LBB749_762:
	v_mul_u64_e32 v[0:1], s[12:13], v[6:7]
	v_mul_u64_e32 v[22:23], s[12:13], v[12:13]
	s_mov_b32 s30, 0
	s_mov_b64 s[8:9], s[12:13]
                                        ; implicit-def: $sgpr29
                                        ; implicit-def: $sgpr31
                                        ; implicit-def: $sgpr34
                                        ; implicit-def: $sgpr33
                                        ; implicit-def: $sgpr35
	s_delay_alu instid0(VALU_DEP_2) | instskip(NEXT) | instid1(VALU_DEP_2)
	v_lshl_add_u64 v[0:1], v[0:1], 3, s[14:15]
	v_lshl_add_u64 v[22:23], v[22:23], 3, s[14:15]
	s_branch .LBB749_764
.LBB749_763:                            ;   in Loop: Header=BB749_764 Depth=1
	s_or_b32 exec_lo, exec_lo, s36
	s_and_b32 s7, s7, s35
	s_delay_alu instid0(SALU_CYCLE_1) | instskip(SKIP_1) | instid1(SALU_CYCLE_1)
	s_or_b32 s7, vcc_lo, s7
	s_and_b32 s36, exec_lo, s34
	s_or_b32 s30, s36, s30
	s_and_not1_b32 s35, s35, exec_lo
	s_and_b32 s7, s7, exec_lo
	s_and_not1_b32 s31, s31, exec_lo
	s_and_b32 s36, s33, exec_lo
	s_and_not1_b32 s29, s29, exec_lo
	s_or_b32 s35, s35, s7
	s_or_b32 s31, s31, s36
	;; [unrolled: 1-line block ×3, first 2 shown]
	s_and_not1_b32 exec_lo, exec_lo, s30
	s_cbranch_execz .LBB749_766
.LBB749_764:                            ; =>This Inner Loop Header: Depth=1
	global_load_b64 v[26:27], v[0:1], off
	global_load_b64 v[28:29], v[22:23], off
	s_or_b32 s33, s33, exec_lo
	s_or_b32 s34, s34, exec_lo
	s_wait_loadcnt 0x0
	v_cmp_lt_f64_e32 vcc_lo, v[26:27], v[28:29]
	v_cmp_ngt_f64_e64 s7, v[26:27], v[28:29]
	s_xor_b32 s37, vcc_lo, s7
	s_delay_alu instid0(SALU_CYCLE_1)
	s_and_saveexec_b32 s36, s37
	s_cbranch_execz .LBB749_763
; %bb.765:                              ;   in Loop: Header=BB749_764 Depth=1
	s_add_nc_u64 s[8:9], s[8:9], -1
	v_add_nc_u64_e32 v[0:1], 8, v[0:1]
	s_cmp_eq_u64 s[8:9], 0
	v_add_nc_u64_e32 v[22:23], 8, v[22:23]
	s_cselect_b32 s37, -1, 0
	s_and_not1_b32 s34, s34, exec_lo
	s_and_b32 s37, s37, exec_lo
	s_and_not1_b32 s33, s33, exec_lo
	s_or_b32 s34, s34, s37
	s_branch .LBB749_763
.LBB749_766:
	s_or_b32 exec_lo, exec_lo, s30
	s_and_saveexec_b32 s7, s31
	s_delay_alu instid0(SALU_CYCLE_1)
	s_xor_b32 s7, exec_lo, s7
; %bb.767:
	v_dual_cndmask_b32 v1, v13, v7, s29 :: v_dual_cndmask_b32 v0, v12, v6, s29
	v_dual_cndmask_b32 v7, v7, v13, s29 :: v_dual_cndmask_b32 v6, v6, v12, s29
	s_delay_alu instid0(VALU_DEP_2)
	v_mov_b64_e32 v[12:13], v[0:1]
; %bb.768:
	s_or_b32 exec_lo, exec_lo, s7
	s_delay_alu instid0(SALU_CYCLE_1)
	s_or_b32 exec_lo, exec_lo, s28
	s_and_saveexec_b32 s28, s27
	s_cbranch_execz .LBB749_664
.LBB749_769:
	v_mul_u64_e32 v[0:1], s[12:13], v[2:3]
	v_mul_u64_e32 v[22:23], s[12:13], v[8:9]
	s_mov_b32 s30, 0
	s_mov_b64 s[8:9], s[12:13]
                                        ; implicit-def: $sgpr29
                                        ; implicit-def: $sgpr31
                                        ; implicit-def: $sgpr34
                                        ; implicit-def: $sgpr33
                                        ; implicit-def: $sgpr35
	s_delay_alu instid0(VALU_DEP_2) | instskip(NEXT) | instid1(VALU_DEP_2)
	v_lshl_add_u64 v[0:1], v[0:1], 3, s[14:15]
	v_lshl_add_u64 v[22:23], v[22:23], 3, s[14:15]
	s_branch .LBB749_771
.LBB749_770:                            ;   in Loop: Header=BB749_771 Depth=1
	s_or_b32 exec_lo, exec_lo, s36
	s_and_b32 s7, s7, s35
	s_delay_alu instid0(SALU_CYCLE_1) | instskip(SKIP_1) | instid1(SALU_CYCLE_1)
	s_or_b32 s7, vcc_lo, s7
	s_and_b32 s36, exec_lo, s34
	s_or_b32 s30, s36, s30
	s_and_not1_b32 s35, s35, exec_lo
	s_and_b32 s7, s7, exec_lo
	s_and_not1_b32 s31, s31, exec_lo
	s_and_b32 s36, s33, exec_lo
	s_and_not1_b32 s29, s29, exec_lo
	s_or_b32 s35, s35, s7
	s_or_b32 s31, s31, s36
	;; [unrolled: 1-line block ×3, first 2 shown]
	s_and_not1_b32 exec_lo, exec_lo, s30
	s_cbranch_execz .LBB749_773
.LBB749_771:                            ; =>This Inner Loop Header: Depth=1
	global_load_b64 v[26:27], v[0:1], off
	global_load_b64 v[28:29], v[22:23], off
	s_or_b32 s33, s33, exec_lo
	s_or_b32 s34, s34, exec_lo
	s_wait_loadcnt 0x0
	v_cmp_lt_f64_e32 vcc_lo, v[26:27], v[28:29]
	v_cmp_ngt_f64_e64 s7, v[26:27], v[28:29]
	s_xor_b32 s37, vcc_lo, s7
	s_delay_alu instid0(SALU_CYCLE_1)
	s_and_saveexec_b32 s36, s37
	s_cbranch_execz .LBB749_770
; %bb.772:                              ;   in Loop: Header=BB749_771 Depth=1
	s_add_nc_u64 s[8:9], s[8:9], -1
	v_add_nc_u64_e32 v[0:1], 8, v[0:1]
	s_cmp_eq_u64 s[8:9], 0
	v_add_nc_u64_e32 v[22:23], 8, v[22:23]
	s_cselect_b32 s37, -1, 0
	s_and_not1_b32 s34, s34, exec_lo
	s_and_b32 s37, s37, exec_lo
	s_and_not1_b32 s33, s33, exec_lo
	s_or_b32 s34, s34, s37
	s_branch .LBB749_770
.LBB749_773:
	s_or_b32 exec_lo, exec_lo, s30
	s_and_saveexec_b32 s7, s31
	s_delay_alu instid0(SALU_CYCLE_1)
	s_xor_b32 s7, exec_lo, s7
; %bb.774:
	v_dual_cndmask_b32 v1, v9, v3, s29 :: v_dual_cndmask_b32 v0, v8, v2, s29
	v_dual_cndmask_b32 v3, v3, v9, s29 :: v_dual_cndmask_b32 v2, v2, v8, s29
	s_delay_alu instid0(VALU_DEP_2)
	v_mov_b64_e32 v[8:9], v[0:1]
; %bb.775:
	s_or_b32 exec_lo, exec_lo, s7
	s_delay_alu instid0(SALU_CYCLE_1)
	s_or_b32 exec_lo, exec_lo, s28
	s_and_saveexec_b32 s28, s23
	s_cbranch_execz .LBB749_665
.LBB749_776:
	v_mul_u64_e32 v[0:1], s[12:13], v[16:17]
	v_mul_u64_e32 v[22:23], s[12:13], v[14:15]
	s_mov_b32 s29, 0
	s_mov_b64 s[8:9], s[12:13]
                                        ; implicit-def: $sgpr23
                                        ; implicit-def: $sgpr30
                                        ; implicit-def: $sgpr33
                                        ; implicit-def: $sgpr31
                                        ; implicit-def: $sgpr34
	s_delay_alu instid0(VALU_DEP_2) | instskip(NEXT) | instid1(VALU_DEP_2)
	v_lshl_add_u64 v[0:1], v[0:1], 3, s[14:15]
	v_lshl_add_u64 v[22:23], v[22:23], 3, s[14:15]
	s_branch .LBB749_778
.LBB749_777:                            ;   in Loop: Header=BB749_778 Depth=1
	s_or_b32 exec_lo, exec_lo, s35
	s_and_b32 s7, s7, s34
	s_delay_alu instid0(SALU_CYCLE_1) | instskip(SKIP_1) | instid1(SALU_CYCLE_1)
	s_or_b32 s7, vcc_lo, s7
	s_and_b32 s35, exec_lo, s33
	s_or_b32 s29, s35, s29
	s_and_not1_b32 s34, s34, exec_lo
	s_and_b32 s7, s7, exec_lo
	s_and_not1_b32 s30, s30, exec_lo
	s_and_b32 s35, s31, exec_lo
	s_and_not1_b32 s23, s23, exec_lo
	s_or_b32 s34, s34, s7
	s_or_b32 s30, s30, s35
	;; [unrolled: 1-line block ×3, first 2 shown]
	s_and_not1_b32 exec_lo, exec_lo, s29
	s_cbranch_execz .LBB749_780
.LBB749_778:                            ; =>This Inner Loop Header: Depth=1
	global_load_b64 v[26:27], v[0:1], off
	global_load_b64 v[28:29], v[22:23], off
	s_or_b32 s31, s31, exec_lo
	s_or_b32 s33, s33, exec_lo
	s_wait_loadcnt 0x0
	v_cmp_lt_f64_e32 vcc_lo, v[26:27], v[28:29]
	v_cmp_ngt_f64_e64 s7, v[26:27], v[28:29]
	s_xor_b32 s36, vcc_lo, s7
	s_delay_alu instid0(SALU_CYCLE_1)
	s_and_saveexec_b32 s35, s36
	s_cbranch_execz .LBB749_777
; %bb.779:                              ;   in Loop: Header=BB749_778 Depth=1
	s_add_nc_u64 s[8:9], s[8:9], -1
	v_add_nc_u64_e32 v[0:1], 8, v[0:1]
	s_cmp_eq_u64 s[8:9], 0
	v_add_nc_u64_e32 v[22:23], 8, v[22:23]
	s_cselect_b32 s36, -1, 0
	s_and_not1_b32 s33, s33, exec_lo
	s_and_b32 s36, s36, exec_lo
	s_and_not1_b32 s31, s31, exec_lo
	s_or_b32 s33, s33, s36
	s_branch .LBB749_777
.LBB749_780:
	s_or_b32 exec_lo, exec_lo, s29
	s_and_saveexec_b32 s7, s30
	s_delay_alu instid0(SALU_CYCLE_1)
	s_xor_b32 s7, exec_lo, s7
; %bb.781:
	v_dual_cndmask_b32 v1, v17, v15, s23 :: v_dual_cndmask_b32 v0, v16, v14, s23
	v_dual_cndmask_b32 v15, v15, v17, s23 :: v_dual_cndmask_b32 v14, v14, v16, s23
	s_delay_alu instid0(VALU_DEP_2)
	v_mov_b64_e32 v[16:17], v[0:1]
; %bb.782:
	s_or_b32 exec_lo, exec_lo, s7
	s_delay_alu instid0(SALU_CYCLE_1)
	s_or_b32 exec_lo, exec_lo, s28
	s_and_saveexec_b32 s23, s16
	s_cbranch_execz .LBB749_666
.LBB749_783:
	v_mul_u64_e32 v[0:1], s[12:13], v[12:13]
	v_mul_u64_e32 v[22:23], s[12:13], v[10:11]
	s_mov_b32 s28, 0
	s_mov_b64 s[8:9], s[12:13]
                                        ; implicit-def: $sgpr16
                                        ; implicit-def: $sgpr29
                                        ; implicit-def: $sgpr31
                                        ; implicit-def: $sgpr30
                                        ; implicit-def: $sgpr33
	s_delay_alu instid0(VALU_DEP_2) | instskip(NEXT) | instid1(VALU_DEP_2)
	v_lshl_add_u64 v[0:1], v[0:1], 3, s[14:15]
	v_lshl_add_u64 v[22:23], v[22:23], 3, s[14:15]
	s_branch .LBB749_785
.LBB749_784:                            ;   in Loop: Header=BB749_785 Depth=1
	s_or_b32 exec_lo, exec_lo, s34
	s_and_b32 s7, s7, s33
	s_delay_alu instid0(SALU_CYCLE_1) | instskip(SKIP_1) | instid1(SALU_CYCLE_1)
	s_or_b32 s7, vcc_lo, s7
	s_and_b32 s34, exec_lo, s31
	s_or_b32 s28, s34, s28
	s_and_not1_b32 s33, s33, exec_lo
	s_and_b32 s7, s7, exec_lo
	s_and_not1_b32 s29, s29, exec_lo
	s_and_b32 s34, s30, exec_lo
	s_and_not1_b32 s16, s16, exec_lo
	s_or_b32 s33, s33, s7
	s_or_b32 s29, s29, s34
	;; [unrolled: 1-line block ×3, first 2 shown]
	s_and_not1_b32 exec_lo, exec_lo, s28
	s_cbranch_execz .LBB749_787
.LBB749_785:                            ; =>This Inner Loop Header: Depth=1
	global_load_b64 v[26:27], v[0:1], off
	global_load_b64 v[28:29], v[22:23], off
	s_or_b32 s30, s30, exec_lo
	s_or_b32 s31, s31, exec_lo
	s_wait_loadcnt 0x0
	v_cmp_lt_f64_e32 vcc_lo, v[26:27], v[28:29]
	v_cmp_ngt_f64_e64 s7, v[26:27], v[28:29]
	s_xor_b32 s35, vcc_lo, s7
	s_delay_alu instid0(SALU_CYCLE_1)
	s_and_saveexec_b32 s34, s35
	s_cbranch_execz .LBB749_784
; %bb.786:                              ;   in Loop: Header=BB749_785 Depth=1
	s_add_nc_u64 s[8:9], s[8:9], -1
	v_add_nc_u64_e32 v[0:1], 8, v[0:1]
	s_cmp_eq_u64 s[8:9], 0
	v_add_nc_u64_e32 v[22:23], 8, v[22:23]
	s_cselect_b32 s35, -1, 0
	s_and_not1_b32 s31, s31, exec_lo
	s_and_b32 s35, s35, exec_lo
	s_and_not1_b32 s30, s30, exec_lo
	s_or_b32 s31, s31, s35
	s_branch .LBB749_784
.LBB749_787:
	s_or_b32 exec_lo, exec_lo, s28
	s_and_saveexec_b32 s7, s29
	s_delay_alu instid0(SALU_CYCLE_1)
	s_xor_b32 s7, exec_lo, s7
; %bb.788:
	v_dual_cndmask_b32 v1, v11, v13, s16 :: v_dual_cndmask_b32 v0, v10, v12, s16
	v_dual_cndmask_b32 v13, v13, v11, s16 :: v_dual_cndmask_b32 v12, v12, v10, s16
	s_delay_alu instid0(VALU_DEP_2)
	v_mov_b64_e32 v[10:11], v[0:1]
; %bb.789:
	s_or_b32 exec_lo, exec_lo, s7
	s_delay_alu instid0(SALU_CYCLE_1)
	s_or_b32 exec_lo, exec_lo, s23
	s_and_saveexec_b32 s16, s17
	s_cbranch_execz .LBB749_667
.LBB749_790:
	v_mul_u64_e32 v[0:1], s[12:13], v[8:9]
	v_mul_u64_e32 v[22:23], s[12:13], v[6:7]
	s_mov_b32 s23, 0
	s_mov_b64 s[8:9], s[12:13]
                                        ; implicit-def: $sgpr17
                                        ; implicit-def: $sgpr28
                                        ; implicit-def: $sgpr30
                                        ; implicit-def: $sgpr29
                                        ; implicit-def: $sgpr31
	s_delay_alu instid0(VALU_DEP_2) | instskip(NEXT) | instid1(VALU_DEP_2)
	v_lshl_add_u64 v[0:1], v[0:1], 3, s[14:15]
	v_lshl_add_u64 v[22:23], v[22:23], 3, s[14:15]
	s_branch .LBB749_792
.LBB749_791:                            ;   in Loop: Header=BB749_792 Depth=1
	s_or_b32 exec_lo, exec_lo, s33
	s_and_b32 s7, s7, s31
	s_delay_alu instid0(SALU_CYCLE_1) | instskip(SKIP_1) | instid1(SALU_CYCLE_1)
	s_or_b32 s7, vcc_lo, s7
	s_and_b32 s33, exec_lo, s30
	s_or_b32 s23, s33, s23
	s_and_not1_b32 s31, s31, exec_lo
	s_and_b32 s7, s7, exec_lo
	s_and_not1_b32 s28, s28, exec_lo
	s_and_b32 s33, s29, exec_lo
	s_and_not1_b32 s17, s17, exec_lo
	s_or_b32 s31, s31, s7
	s_or_b32 s28, s28, s33
	;; [unrolled: 1-line block ×3, first 2 shown]
	s_and_not1_b32 exec_lo, exec_lo, s23
	s_cbranch_execz .LBB749_794
.LBB749_792:                            ; =>This Inner Loop Header: Depth=1
	global_load_b64 v[26:27], v[0:1], off
	global_load_b64 v[28:29], v[22:23], off
	s_or_b32 s29, s29, exec_lo
	s_or_b32 s30, s30, exec_lo
	s_wait_loadcnt 0x0
	v_cmp_lt_f64_e32 vcc_lo, v[26:27], v[28:29]
	v_cmp_ngt_f64_e64 s7, v[26:27], v[28:29]
	s_xor_b32 s34, vcc_lo, s7
	s_delay_alu instid0(SALU_CYCLE_1)
	s_and_saveexec_b32 s33, s34
	s_cbranch_execz .LBB749_791
; %bb.793:                              ;   in Loop: Header=BB749_792 Depth=1
	s_add_nc_u64 s[8:9], s[8:9], -1
	v_add_nc_u64_e32 v[0:1], 8, v[0:1]
	s_cmp_eq_u64 s[8:9], 0
	v_add_nc_u64_e32 v[22:23], 8, v[22:23]
	s_cselect_b32 s34, -1, 0
	s_and_not1_b32 s30, s30, exec_lo
	s_and_b32 s34, s34, exec_lo
	s_and_not1_b32 s29, s29, exec_lo
	s_or_b32 s30, s30, s34
	s_branch .LBB749_791
.LBB749_794:
	s_or_b32 exec_lo, exec_lo, s23
	s_and_saveexec_b32 s7, s28
	s_delay_alu instid0(SALU_CYCLE_1)
	s_xor_b32 s7, exec_lo, s7
; %bb.795:
	v_dual_cndmask_b32 v1, v7, v9, s17 :: v_dual_cndmask_b32 v0, v6, v8, s17
	v_dual_cndmask_b32 v9, v9, v7, s17 :: v_dual_cndmask_b32 v8, v8, v6, s17
	s_delay_alu instid0(VALU_DEP_2)
	v_mov_b64_e32 v[6:7], v[0:1]
; %bb.796:
	s_or_b32 exec_lo, exec_lo, s7
	s_delay_alu instid0(SALU_CYCLE_1)
	s_or_b32 exec_lo, exec_lo, s16
	s_and_saveexec_b32 s16, s24
	s_cbranch_execz .LBB749_668
.LBB749_797:
	v_mul_u64_e32 v[0:1], s[12:13], v[4:5]
	v_mul_u64_e32 v[22:23], s[12:13], v[2:3]
	s_mov_b32 s23, 0
	s_mov_b64 s[8:9], s[12:13]
                                        ; implicit-def: $sgpr17
                                        ; implicit-def: $sgpr24
                                        ; implicit-def: $sgpr29
                                        ; implicit-def: $sgpr28
                                        ; implicit-def: $sgpr30
	s_delay_alu instid0(VALU_DEP_2) | instskip(NEXT) | instid1(VALU_DEP_2)
	v_lshl_add_u64 v[0:1], v[0:1], 3, s[14:15]
	v_lshl_add_u64 v[22:23], v[22:23], 3, s[14:15]
	s_branch .LBB749_799
.LBB749_798:                            ;   in Loop: Header=BB749_799 Depth=1
	s_or_b32 exec_lo, exec_lo, s31
	s_and_b32 s7, s7, s30
	s_delay_alu instid0(SALU_CYCLE_1) | instskip(SKIP_1) | instid1(SALU_CYCLE_1)
	s_or_b32 s7, vcc_lo, s7
	s_and_b32 s31, exec_lo, s29
	s_or_b32 s23, s31, s23
	s_and_not1_b32 s30, s30, exec_lo
	s_and_b32 s7, s7, exec_lo
	s_and_not1_b32 s24, s24, exec_lo
	s_and_b32 s31, s28, exec_lo
	s_and_not1_b32 s17, s17, exec_lo
	s_or_b32 s30, s30, s7
	s_or_b32 s24, s24, s31
	s_or_b32 s17, s17, s7
	s_and_not1_b32 exec_lo, exec_lo, s23
	s_cbranch_execz .LBB749_801
.LBB749_799:                            ; =>This Inner Loop Header: Depth=1
	global_load_b64 v[26:27], v[0:1], off
	global_load_b64 v[28:29], v[22:23], off
	s_or_b32 s28, s28, exec_lo
	s_or_b32 s29, s29, exec_lo
	s_wait_loadcnt 0x0
	v_cmp_lt_f64_e32 vcc_lo, v[26:27], v[28:29]
	v_cmp_ngt_f64_e64 s7, v[26:27], v[28:29]
	s_xor_b32 s33, vcc_lo, s7
	s_delay_alu instid0(SALU_CYCLE_1)
	s_and_saveexec_b32 s31, s33
	s_cbranch_execz .LBB749_798
; %bb.800:                              ;   in Loop: Header=BB749_799 Depth=1
	s_add_nc_u64 s[8:9], s[8:9], -1
	v_add_nc_u64_e32 v[0:1], 8, v[0:1]
	s_cmp_eq_u64 s[8:9], 0
	v_add_nc_u64_e32 v[22:23], 8, v[22:23]
	s_cselect_b32 s33, -1, 0
	s_and_not1_b32 s29, s29, exec_lo
	s_and_b32 s33, s33, exec_lo
	s_and_not1_b32 s28, s28, exec_lo
	s_or_b32 s29, s29, s33
	s_branch .LBB749_798
.LBB749_801:
	s_or_b32 exec_lo, exec_lo, s23
	s_and_saveexec_b32 s7, s24
	s_delay_alu instid0(SALU_CYCLE_1)
	s_xor_b32 s7, exec_lo, s7
; %bb.802:
	v_dual_cndmask_b32 v1, v3, v5, s17 :: v_dual_cndmask_b32 v0, v2, v4, s17
	v_dual_cndmask_b32 v5, v5, v3, s17 :: v_dual_cndmask_b32 v4, v4, v2, s17
	s_delay_alu instid0(VALU_DEP_2)
	v_mov_b64_e32 v[2:3], v[0:1]
; %bb.803:
	s_or_b32 exec_lo, exec_lo, s7
	s_delay_alu instid0(SALU_CYCLE_1)
	s_or_b32 exec_lo, exec_lo, s16
	s_and_saveexec_b32 s16, s25
	s_cbranch_execz .LBB749_669
.LBB749_804:
	v_mul_u64_e32 v[0:1], s[12:13], v[10:11]
	v_mul_u64_e32 v[22:23], s[12:13], v[16:17]
	s_mov_b32 s23, 0
	s_mov_b64 s[8:9], s[12:13]
                                        ; implicit-def: $sgpr17
                                        ; implicit-def: $sgpr24
                                        ; implicit-def: $sgpr28
                                        ; implicit-def: $sgpr25
                                        ; implicit-def: $sgpr29
	s_delay_alu instid0(VALU_DEP_2) | instskip(NEXT) | instid1(VALU_DEP_2)
	v_lshl_add_u64 v[0:1], v[0:1], 3, s[14:15]
	v_lshl_add_u64 v[22:23], v[22:23], 3, s[14:15]
	s_branch .LBB749_806
.LBB749_805:                            ;   in Loop: Header=BB749_806 Depth=1
	s_or_b32 exec_lo, exec_lo, s30
	s_and_b32 s7, s7, s29
	s_delay_alu instid0(SALU_CYCLE_1) | instskip(SKIP_1) | instid1(SALU_CYCLE_1)
	s_or_b32 s7, vcc_lo, s7
	s_and_b32 s30, exec_lo, s28
	s_or_b32 s23, s30, s23
	s_and_not1_b32 s29, s29, exec_lo
	s_and_b32 s7, s7, exec_lo
	s_and_not1_b32 s24, s24, exec_lo
	s_and_b32 s30, s25, exec_lo
	s_and_not1_b32 s17, s17, exec_lo
	s_or_b32 s29, s29, s7
	s_or_b32 s24, s24, s30
	s_or_b32 s17, s17, s7
	s_and_not1_b32 exec_lo, exec_lo, s23
	s_cbranch_execz .LBB749_808
.LBB749_806:                            ; =>This Inner Loop Header: Depth=1
	global_load_b64 v[26:27], v[0:1], off
	global_load_b64 v[28:29], v[22:23], off
	s_or_b32 s25, s25, exec_lo
	s_or_b32 s28, s28, exec_lo
	s_wait_loadcnt 0x0
	v_cmp_lt_f64_e32 vcc_lo, v[26:27], v[28:29]
	v_cmp_ngt_f64_e64 s7, v[26:27], v[28:29]
	s_xor_b32 s31, vcc_lo, s7
	s_delay_alu instid0(SALU_CYCLE_1)
	s_and_saveexec_b32 s30, s31
	s_cbranch_execz .LBB749_805
; %bb.807:                              ;   in Loop: Header=BB749_806 Depth=1
	s_add_nc_u64 s[8:9], s[8:9], -1
	v_add_nc_u64_e32 v[0:1], 8, v[0:1]
	s_cmp_eq_u64 s[8:9], 0
	v_add_nc_u64_e32 v[22:23], 8, v[22:23]
	s_cselect_b32 s31, -1, 0
	s_and_not1_b32 s28, s28, exec_lo
	s_and_b32 s31, s31, exec_lo
	s_and_not1_b32 s25, s25, exec_lo
	s_or_b32 s28, s28, s31
	s_branch .LBB749_805
.LBB749_808:
	s_or_b32 exec_lo, exec_lo, s23
	s_and_saveexec_b32 s7, s24
	s_delay_alu instid0(SALU_CYCLE_1)
	s_xor_b32 s7, exec_lo, s7
; %bb.809:
	v_dual_cndmask_b32 v1, v17, v11, s17 :: v_dual_cndmask_b32 v0, v16, v10, s17
	v_dual_cndmask_b32 v11, v11, v17, s17 :: v_dual_cndmask_b32 v10, v10, v16, s17
	s_delay_alu instid0(VALU_DEP_2)
	v_mov_b64_e32 v[16:17], v[0:1]
; %bb.810:
	s_or_b32 exec_lo, exec_lo, s7
	s_delay_alu instid0(SALU_CYCLE_1)
	s_or_b32 exec_lo, exec_lo, s16
	s_and_saveexec_b32 s16, s26
	s_cbranch_execz .LBB749_670
.LBB749_811:
	v_mul_u64_e32 v[0:1], s[12:13], v[6:7]
	v_mul_u64_e32 v[22:23], s[12:13], v[12:13]
	s_mov_b32 s23, 0
	s_mov_b64 s[8:9], s[12:13]
                                        ; implicit-def: $sgpr17
                                        ; implicit-def: $sgpr24
                                        ; implicit-def: $sgpr26
                                        ; implicit-def: $sgpr25
                                        ; implicit-def: $sgpr28
	s_delay_alu instid0(VALU_DEP_2) | instskip(NEXT) | instid1(VALU_DEP_2)
	v_lshl_add_u64 v[0:1], v[0:1], 3, s[14:15]
	v_lshl_add_u64 v[22:23], v[22:23], 3, s[14:15]
	s_branch .LBB749_813
.LBB749_812:                            ;   in Loop: Header=BB749_813 Depth=1
	s_or_b32 exec_lo, exec_lo, s29
	s_and_b32 s7, s7, s28
	s_delay_alu instid0(SALU_CYCLE_1) | instskip(SKIP_1) | instid1(SALU_CYCLE_1)
	s_or_b32 s7, vcc_lo, s7
	s_and_b32 s29, exec_lo, s26
	s_or_b32 s23, s29, s23
	s_and_not1_b32 s28, s28, exec_lo
	s_and_b32 s7, s7, exec_lo
	s_and_not1_b32 s24, s24, exec_lo
	s_and_b32 s29, s25, exec_lo
	s_and_not1_b32 s17, s17, exec_lo
	s_or_b32 s28, s28, s7
	s_or_b32 s24, s24, s29
	;; [unrolled: 1-line block ×3, first 2 shown]
	s_and_not1_b32 exec_lo, exec_lo, s23
	s_cbranch_execz .LBB749_815
.LBB749_813:                            ; =>This Inner Loop Header: Depth=1
	global_load_b64 v[26:27], v[0:1], off
	global_load_b64 v[28:29], v[22:23], off
	s_or_b32 s25, s25, exec_lo
	s_or_b32 s26, s26, exec_lo
	s_wait_loadcnt 0x0
	v_cmp_lt_f64_e32 vcc_lo, v[26:27], v[28:29]
	v_cmp_ngt_f64_e64 s7, v[26:27], v[28:29]
	s_xor_b32 s30, vcc_lo, s7
	s_delay_alu instid0(SALU_CYCLE_1)
	s_and_saveexec_b32 s29, s30
	s_cbranch_execz .LBB749_812
; %bb.814:                              ;   in Loop: Header=BB749_813 Depth=1
	s_add_nc_u64 s[8:9], s[8:9], -1
	v_add_nc_u64_e32 v[0:1], 8, v[0:1]
	s_cmp_eq_u64 s[8:9], 0
	v_add_nc_u64_e32 v[22:23], 8, v[22:23]
	s_cselect_b32 s30, -1, 0
	s_and_not1_b32 s26, s26, exec_lo
	s_and_b32 s30, s30, exec_lo
	s_and_not1_b32 s25, s25, exec_lo
	s_or_b32 s26, s26, s30
	s_branch .LBB749_812
.LBB749_815:
	s_or_b32 exec_lo, exec_lo, s23
	s_and_saveexec_b32 s7, s24
	s_delay_alu instid0(SALU_CYCLE_1)
	s_xor_b32 s7, exec_lo, s7
; %bb.816:
	v_dual_cndmask_b32 v1, v13, v7, s17 :: v_dual_cndmask_b32 v0, v12, v6, s17
	v_dual_cndmask_b32 v7, v7, v13, s17 :: v_dual_cndmask_b32 v6, v6, v12, s17
	s_delay_alu instid0(VALU_DEP_2)
	v_mov_b64_e32 v[12:13], v[0:1]
; %bb.817:
	s_or_b32 exec_lo, exec_lo, s7
	s_delay_alu instid0(SALU_CYCLE_1)
	s_or_b32 exec_lo, exec_lo, s16
	s_and_saveexec_b32 s16, s27
	s_cbranch_execz .LBB749_825
.LBB749_818:
	v_mul_u64_e32 v[0:1], s[12:13], v[2:3]
	v_mul_u64_e32 v[22:23], s[12:13], v[8:9]
	s_mov_b32 s23, 0
	s_mov_b64 s[8:9], s[12:13]
                                        ; implicit-def: $sgpr17
                                        ; implicit-def: $sgpr24
                                        ; implicit-def: $sgpr26
                                        ; implicit-def: $sgpr25
                                        ; implicit-def: $sgpr27
	s_delay_alu instid0(VALU_DEP_2) | instskip(NEXT) | instid1(VALU_DEP_2)
	v_lshl_add_u64 v[0:1], v[0:1], 3, s[14:15]
	v_lshl_add_u64 v[22:23], v[22:23], 3, s[14:15]
	s_branch .LBB749_820
.LBB749_819:                            ;   in Loop: Header=BB749_820 Depth=1
	s_or_b32 exec_lo, exec_lo, s28
	s_and_b32 s7, s7, s27
	s_delay_alu instid0(SALU_CYCLE_1) | instskip(SKIP_1) | instid1(SALU_CYCLE_1)
	s_or_b32 s7, vcc_lo, s7
	s_and_b32 s28, exec_lo, s26
	s_or_b32 s23, s28, s23
	s_and_not1_b32 s27, s27, exec_lo
	s_and_b32 s7, s7, exec_lo
	s_and_not1_b32 s24, s24, exec_lo
	s_and_b32 s28, s25, exec_lo
	s_and_not1_b32 s17, s17, exec_lo
	s_or_b32 s27, s27, s7
	s_or_b32 s24, s24, s28
	;; [unrolled: 1-line block ×3, first 2 shown]
	s_and_not1_b32 exec_lo, exec_lo, s23
	s_cbranch_execz .LBB749_822
.LBB749_820:                            ; =>This Inner Loop Header: Depth=1
	global_load_b64 v[26:27], v[0:1], off
	global_load_b64 v[28:29], v[22:23], off
	s_or_b32 s25, s25, exec_lo
	s_or_b32 s26, s26, exec_lo
	s_wait_loadcnt 0x0
	v_cmp_lt_f64_e32 vcc_lo, v[26:27], v[28:29]
	v_cmp_ngt_f64_e64 s7, v[26:27], v[28:29]
	s_xor_b32 s29, vcc_lo, s7
	s_delay_alu instid0(SALU_CYCLE_1)
	s_and_saveexec_b32 s28, s29
	s_cbranch_execz .LBB749_819
; %bb.821:                              ;   in Loop: Header=BB749_820 Depth=1
	s_add_nc_u64 s[8:9], s[8:9], -1
	v_add_nc_u64_e32 v[0:1], 8, v[0:1]
	s_cmp_eq_u64 s[8:9], 0
	v_add_nc_u64_e32 v[22:23], 8, v[22:23]
	s_cselect_b32 s29, -1, 0
	s_and_not1_b32 s26, s26, exec_lo
	s_and_b32 s29, s29, exec_lo
	s_and_not1_b32 s25, s25, exec_lo
	s_or_b32 s26, s26, s29
	s_branch .LBB749_819
.LBB749_822:
	s_or_b32 exec_lo, exec_lo, s23
	s_and_saveexec_b32 s7, s24
	s_delay_alu instid0(SALU_CYCLE_1)
	s_xor_b32 s7, exec_lo, s7
; %bb.823:
	v_dual_cndmask_b32 v1, v9, v3, s17 :: v_dual_cndmask_b32 v0, v8, v2, s17
	v_dual_cndmask_b32 v3, v3, v9, s17 :: v_dual_cndmask_b32 v2, v2, v8, s17
	s_delay_alu instid0(VALU_DEP_2)
	v_mov_b64_e32 v[8:9], v[0:1]
; %bb.824:
	s_or_b32 exec_lo, exec_lo, s7
.LBB749_825:
	s_delay_alu instid0(SALU_CYCLE_1) | instskip(SKIP_4) | instid1(VALU_DEP_1)
	s_or_b32 exec_lo, exec_lo, s16
	v_mbcnt_lo_u32_b32 v0, -1, 0
	v_and_b32_e32 v1, 0xffffff00, v24
	s_mov_b32 s23, 0
	s_mov_b32 s24, exec_lo
	v_dual_lshlrev_b32 v45, 3, v0 :: v_dual_lshlrev_b32 v43, 3, v1
	v_sub_nc_u32_e64 v44, s21, v1 clamp
	s_delay_alu instid0(VALU_DEP_2) | instskip(SKIP_1) | instid1(VALU_DEP_4)
	v_or_b32_e32 v22, 8, v45
	v_and_b32_e32 v26, 0xf0, v45
	v_lshl_or_b32 v46, v0, 6, v43
	ds_store_b128 v46, v[14:17]
	ds_store_b128 v46, v[10:13] offset:16
	v_min_u32_e32 v47, v44, v22
	v_and_b32_e32 v22, 8, v45
	v_lshl_or_b32 v25, v26, 3, v43
	ds_store_b128 v46, v[6:9] offset:32
	ds_store_b128 v46, v[2:5] offset:48
	v_add_min_u32_e64 v48, v47, 8, v44
	v_min_u32_e32 v27, v44, v22
	v_sub_nc_u32_e32 v22, v47, v26
	; wave barrier
	s_delay_alu instid0(VALU_DEP_3) | instskip(NEXT) | instid1(VALU_DEP_2)
	v_sub_nc_u32_e32 v1, v48, v47
	v_min_u32_e32 v28, v27, v22
	s_delay_alu instid0(VALU_DEP_2) | instskip(NEXT) | instid1(VALU_DEP_1)
	v_sub_nc_u32_e64 v24, v27, v1 clamp
	v_cmpx_lt_u32_e64 v24, v28
	s_cbranch_execz .LBB749_835
; %bb.826:
	v_lshlrev_b32_e32 v0, 3, v47
	v_lshlrev_b32_e32 v1, 3, v27
	s_lshl_b64 s[8:9], s[12:13], 3
	s_delay_alu instid0(VALU_DEP_1)
	v_add3_u32 v29, v43, v0, v1
	s_branch .LBB749_829
.LBB749_827:                            ;   in Loop: Header=BB749_829 Depth=1
	s_or_b32 exec_lo, exec_lo, s26
.LBB749_828:                            ;   in Loop: Header=BB749_829 Depth=1
	s_delay_alu instid0(VALU_DEP_1) | instskip(NEXT) | instid1(VALU_DEP_1)
	v_dual_add_nc_u32 v0, 1, v30 :: v_dual_cndmask_b32 v28, v28, v30, s25
	v_cndmask_b32_e64 v24, v0, v24, s25
	s_delay_alu instid0(VALU_DEP_1) | instskip(SKIP_1) | instid1(SALU_CYCLE_1)
	v_cmp_ge_u32_e32 vcc_lo, v24, v28
	s_or_b32 s23, vcc_lo, s23
	s_and_not1_b32 exec_lo, exec_lo, s23
	s_cbranch_execz .LBB749_834
.LBB749_829:                            ; =>This Loop Header: Depth=1
                                        ;     Child Loop BB749_832 Depth 2
	v_add_nc_u32_e32 v0, v28, v24
	s_and_not1_b32 vcc_lo, exec_lo, s18
	s_mov_b32 s25, 0
	s_delay_alu instid0(VALU_DEP_1)
	v_lshrrev_b32_e32 v30, 1, v0
	s_cbranch_vccnz .LBB749_828
; %bb.830:                              ;   in Loop: Header=BB749_829 Depth=1
	s_delay_alu instid0(VALU_DEP_1) | instskip(SKIP_3) | instid1(VALU_DEP_2)
	v_not_b32_e32 v0, v30
	v_lshl_add_u32 v1, v30, 3, v25
	s_mov_b32 s26, 0
	s_mov_b64 s[16:17], s[12:13]
                                        ; implicit-def: $sgpr25
                                        ; implicit-def: $sgpr27
                                        ; implicit-def: $sgpr28
                                        ; implicit-def: $sgpr29
	v_lshl_add_u32 v0, v0, 3, v29
	ds_load_b64 v[32:33], v0
	ds_load_b64 v[34:35], v1
	s_wait_dscnt 0x1
	v_mad_nc_u64_u32 v[0:1], s8, v32, s[14:15]
	s_wait_dscnt 0x0
	v_mad_nc_u64_u32 v[22:23], s8, v34, s[14:15]
	s_delay_alu instid0(VALU_DEP_2) | instskip(NEXT) | instid1(VALU_DEP_2)
	v_mad_u32 v1, s9, v32, v1
	v_mad_u32 v23, s9, v34, v23
	s_delay_alu instid0(VALU_DEP_2) | instskip(NEXT) | instid1(VALU_DEP_2)
	v_mad_u32 v1, s8, v33, v1
	v_mad_u32 v23, s8, v35, v23
	s_branch .LBB749_832
.LBB749_831:                            ;   in Loop: Header=BB749_832 Depth=2
	s_or_b32 exec_lo, exec_lo, s7
	s_delay_alu instid0(SALU_CYCLE_1) | instskip(NEXT) | instid1(SALU_CYCLE_1)
	s_and_b32 s7, exec_lo, s27
	s_or_b32 s26, s7, s26
	s_and_not1_b32 s7, s29, exec_lo
	s_and_b32 s29, s30, exec_lo
	s_and_not1_b32 s25, s25, exec_lo
	s_and_b32 s30, s28, exec_lo
	s_or_b32 s29, s7, s29
	s_or_b32 s25, s25, s30
	s_and_not1_b32 exec_lo, exec_lo, s26
	s_cbranch_execz .LBB749_827
.LBB749_832:                            ;   Parent Loop BB749_829 Depth=1
                                        ; =>  This Inner Loop Header: Depth=2
	global_load_b64 v[32:33], v[0:1], off
	global_load_b64 v[34:35], v[22:23], off
	s_and_not1_b32 s28, s28, exec_lo
	s_or_b32 s27, s27, exec_lo
	s_wait_loadcnt 0x0
	v_cmp_ngt_f64_e32 vcc_lo, v[32:33], v[34:35]
	v_cmp_lt_f64_e64 s7, v[32:33], v[34:35]
	s_and_b32 s30, vcc_lo, s29
	s_xor_b32 s33, s7, vcc_lo
	s_or_b32 s30, s7, s30
	s_delay_alu instid0(SALU_CYCLE_1) | instskip(NEXT) | instid1(SALU_CYCLE_1)
	s_and_b32 s31, s30, exec_lo
	s_or_b32 s28, s28, s31
	s_and_saveexec_b32 s7, s33
	s_cbranch_execz .LBB749_831
; %bb.833:                              ;   in Loop: Header=BB749_832 Depth=2
	s_add_nc_u64 s[16:17], s[16:17], -1
	v_add_nc_u64_e32 v[0:1], 8, v[0:1]
	s_cmp_eq_u64 s[16:17], 0
	v_add_nc_u64_e32 v[22:23], 8, v[22:23]
	s_cselect_b32 s29, -1, 0
	s_and_not1_b32 s27, s27, exec_lo
	s_and_b32 s29, s29, exec_lo
	s_and_not1_b32 s28, s28, exec_lo
	s_or_b32 s27, s27, s29
                                        ; implicit-def: $sgpr29
	s_branch .LBB749_831
.LBB749_834:
	s_or_b32 exec_lo, exec_lo, s23
.LBB749_835:
	s_delay_alu instid0(SALU_CYCLE_1) | instskip(SKIP_1) | instid1(VALU_DEP_1)
	s_or_b32 exec_lo, exec_lo, s24
	v_dual_add_nc_u32 v0, v47, v27 :: v_dual_add_nc_u32 v22, v24, v26
	v_sub_nc_u32_e32 v23, v0, v24
	s_delay_alu instid0(VALU_DEP_2) | instskip(NEXT) | instid1(VALU_DEP_2)
	v_cmp_le_u32_e32 vcc_lo, v22, v47
	v_cmp_le_u32_e64 s7, v23, v48
	s_or_b32 s7, vcc_lo, s7
	s_delay_alu instid0(SALU_CYCLE_1)
	s_and_saveexec_b32 s16, s7
	s_cbranch_execz .LBB749_903
; %bb.836:
	s_mov_b32 s8, exec_lo
	v_cmp_ge_u32_e32 vcc_lo, v22, v47
                                        ; implicit-def: $vgpr0_vgpr1
	v_cmpx_lt_u32_e64 v22, v47
; %bb.837:
	v_lshl_add_u32 v0, v24, 3, v25
	ds_load_b64 v[0:1], v0
; %bb.838:
	s_or_b32 exec_lo, exec_lo, s8
	v_cmp_ge_u32_e64 s7, v23, v48
	s_mov_b32 s9, exec_lo
                                        ; implicit-def: $vgpr2_vgpr3
	v_cmpx_lt_u32_e64 v23, v48
; %bb.839:
	v_lshl_add_u32 v2, v23, 3, v43
	ds_load_b64 v[2:3], v2
; %bb.840:
	s_or_b32 exec_lo, exec_lo, s9
	s_or_b32 s8, vcc_lo, s7
	s_xor_b32 s9, vcc_lo, -1
	s_nor_b32 s8, s8, s19
	s_or_b32 s17, s7, s9
	s_and_saveexec_b32 s23, s8
	s_cbranch_execz .LBB749_846
; %bb.841:
	s_wait_dscnt 0x0
	v_mul_u64_e32 v[4:5], s[12:13], v[2:3]
	v_mul_u64_e32 v[6:7], s[12:13], v[0:1]
	s_mov_b32 s24, 0
	s_mov_b64 s[8:9], s[12:13]
                                        ; implicit-def: $sgpr25
                                        ; implicit-def: $sgpr26
                                        ; implicit-def: $sgpr27
                                        ; implicit-def: $sgpr28
	s_delay_alu instid0(VALU_DEP_2) | instskip(NEXT) | instid1(VALU_DEP_2)
	v_lshl_add_u64 v[4:5], v[4:5], 3, s[14:15]
	v_lshl_add_u64 v[6:7], v[6:7], 3, s[14:15]
	s_branch .LBB749_843
.LBB749_842:                            ;   in Loop: Header=BB749_843 Depth=1
	s_or_b32 exec_lo, exec_lo, s7
	s_delay_alu instid0(SALU_CYCLE_1) | instskip(NEXT) | instid1(SALU_CYCLE_1)
	s_and_b32 s7, exec_lo, s26
	s_or_b32 s24, s7, s24
	s_and_not1_b32 s7, s28, exec_lo
	s_and_b32 s28, s29, exec_lo
	s_and_not1_b32 s25, s25, exec_lo
	s_and_b32 s29, s27, exec_lo
	s_or_b32 s28, s7, s28
	s_or_b32 s25, s25, s29
	s_and_not1_b32 exec_lo, exec_lo, s24
	s_cbranch_execz .LBB749_845
.LBB749_843:                            ; =>This Inner Loop Header: Depth=1
	global_load_b64 v[8:9], v[4:5], off
	global_load_b64 v[10:11], v[6:7], off
	s_and_not1_b32 s27, s27, exec_lo
	s_or_b32 s26, s26, exec_lo
	s_wait_loadcnt 0x0
	v_cmp_ngt_f64_e32 vcc_lo, v[8:9], v[10:11]
	v_cmp_lt_f64_e64 s7, v[8:9], v[10:11]
	s_and_b32 s29, vcc_lo, s28
	s_xor_b32 s31, s7, vcc_lo
	s_or_b32 s29, s7, s29
	s_delay_alu instid0(SALU_CYCLE_1) | instskip(NEXT) | instid1(SALU_CYCLE_1)
	s_and_b32 s30, s29, exec_lo
	s_or_b32 s27, s27, s30
	s_and_saveexec_b32 s7, s31
	s_cbranch_execz .LBB749_842
; %bb.844:                              ;   in Loop: Header=BB749_843 Depth=1
	s_add_nc_u64 s[8:9], s[8:9], -1
	v_add_nc_u64_e32 v[4:5], 8, v[4:5]
	s_cmp_eq_u64 s[8:9], 0
	v_add_nc_u64_e32 v[6:7], 8, v[6:7]
	s_cselect_b32 s28, -1, 0
	s_and_not1_b32 s26, s26, exec_lo
	s_and_b32 s28, s28, exec_lo
	s_and_not1_b32 s27, s27, exec_lo
	s_or_b32 s26, s26, s28
                                        ; implicit-def: $sgpr28
	s_branch .LBB749_842
.LBB749_845:
	s_or_b32 exec_lo, exec_lo, s24
	s_xor_b32 s7, s25, -1
	s_and_not1_b32 s8, s17, exec_lo
	s_and_b32 s7, s7, exec_lo
	s_delay_alu instid0(SALU_CYCLE_1)
	s_or_b32 s17, s8, s7
.LBB749_846:
	s_or_b32 exec_lo, exec_lo, s23
	v_dual_cndmask_b32 v4, v23, v22, s17 :: v_dual_cndmask_b32 v5, v48, v47, s17
	s_mov_b32 s24, -1
	s_mov_b32 s23, -1
	s_mov_b32 s25, exec_lo
	s_delay_alu instid0(VALU_DEP_1) | instskip(NEXT) | instid1(VALU_DEP_1)
	v_add_nc_u32_e32 v4, 1, v4
	v_add_min_u32_e64 v5, v5, -1, v4
	s_delay_alu instid0(VALU_DEP_1)
	v_lshl_add_u32 v5, v5, 3, v43
	ds_load_b64 v[6:7], v5
	s_wait_dscnt 0x0
	v_cndmask_b32_e64 v5, v7, v3, s17
	v_dual_cndmask_b32 v10, v4, v23, s17 :: v_dual_cndmask_b32 v11, v22, v4, s17
	v_dual_cndmask_b32 v4, v6, v2, s17 :: v_dual_cndmask_b32 v15, v1, v7, s17
	v_cndmask_b32_e64 v14, v0, v6, s17
	s_delay_alu instid0(VALU_DEP_3)
	v_cmpx_lt_u32_e64 v10, v48
	s_cbranch_execz .LBB749_854
; %bb.847:
	v_cmp_lt_u32_e64 s23, v11, v47
	s_and_b32 s7, s23, s22
	s_delay_alu instid0(SALU_CYCLE_1)
	s_and_saveexec_b32 s26, s7
	s_cbranch_execz .LBB749_853
; %bb.848:
	v_mul_u64_e32 v[6:7], s[12:13], v[4:5]
	v_mul_u64_e32 v[8:9], s[12:13], v[14:15]
	s_mov_b32 s27, 0
	s_mov_b64 s[8:9], s[12:13]
                                        ; implicit-def: $sgpr28
                                        ; implicit-def: $sgpr29
                                        ; implicit-def: $sgpr30
                                        ; implicit-def: $sgpr31
	s_delay_alu instid0(VALU_DEP_2) | instskip(NEXT) | instid1(VALU_DEP_2)
	v_lshl_add_u64 v[6:7], v[6:7], 3, s[14:15]
	v_lshl_add_u64 v[8:9], v[8:9], 3, s[14:15]
	s_branch .LBB749_850
.LBB749_849:                            ;   in Loop: Header=BB749_850 Depth=1
	s_or_b32 exec_lo, exec_lo, s7
	s_delay_alu instid0(SALU_CYCLE_1) | instskip(NEXT) | instid1(SALU_CYCLE_1)
	s_and_b32 s7, exec_lo, s29
	s_or_b32 s27, s7, s27
	s_and_not1_b32 s7, s31, exec_lo
	s_and_b32 s31, s33, exec_lo
	s_and_not1_b32 s28, s28, exec_lo
	s_and_b32 s33, s30, exec_lo
	s_or_b32 s31, s7, s31
	s_or_b32 s28, s28, s33
	s_and_not1_b32 exec_lo, exec_lo, s27
	s_cbranch_execz .LBB749_852
.LBB749_850:                            ; =>This Inner Loop Header: Depth=1
	global_load_b64 v[12:13], v[6:7], off
	global_load_b64 v[16:17], v[8:9], off
	s_and_not1_b32 s30, s30, exec_lo
	s_or_b32 s29, s29, exec_lo
	s_wait_loadcnt 0x0
	v_cmp_ngt_f64_e32 vcc_lo, v[12:13], v[16:17]
	v_cmp_lt_f64_e64 s7, v[12:13], v[16:17]
	s_and_b32 s33, vcc_lo, s31
	s_xor_b32 s35, s7, vcc_lo
	s_or_b32 s33, s7, s33
	s_delay_alu instid0(SALU_CYCLE_1) | instskip(NEXT) | instid1(SALU_CYCLE_1)
	s_and_b32 s34, s33, exec_lo
	s_or_b32 s30, s30, s34
	s_and_saveexec_b32 s7, s35
	s_cbranch_execz .LBB749_849
; %bb.851:                              ;   in Loop: Header=BB749_850 Depth=1
	s_add_nc_u64 s[8:9], s[8:9], -1
	v_add_nc_u64_e32 v[6:7], 8, v[6:7]
	s_cmp_eq_u64 s[8:9], 0
	v_add_nc_u64_e32 v[8:9], 8, v[8:9]
	s_cselect_b32 s31, -1, 0
	s_and_not1_b32 s29, s29, exec_lo
	s_and_b32 s31, s31, exec_lo
	s_and_not1_b32 s30, s30, exec_lo
	s_or_b32 s29, s29, s31
                                        ; implicit-def: $sgpr31
	s_branch .LBB749_849
.LBB749_852:
	s_or_b32 exec_lo, exec_lo, s27
	s_xor_b32 s7, s28, -1
	s_and_not1_b32 s8, s23, exec_lo
	s_and_b32 s7, s7, exec_lo
	s_delay_alu instid0(SALU_CYCLE_1)
	s_or_b32 s23, s8, s7
.LBB749_853:
	s_or_b32 exec_lo, exec_lo, s26
	s_delay_alu instid0(SALU_CYCLE_1)
	s_or_not1_b32 s23, s23, exec_lo
.LBB749_854:
	s_or_b32 exec_lo, exec_lo, s25
	v_cndmask_b32_e64 v6, v10, v11, s23
	v_cndmask_b32_e64 v7, v48, v47, s23
	s_mov_b32 s25, exec_lo
	s_delay_alu instid0(VALU_DEP_2) | instskip(NEXT) | instid1(VALU_DEP_1)
	v_add_nc_u32_e32 v8, 1, v6
	v_add_min_u32_e64 v6, v7, -1, v8
	v_cndmask_b32_e64 v12, v8, v10, s23
	s_delay_alu instid0(VALU_DEP_2)
	v_lshl_add_u32 v6, v6, 3, v43
	ds_load_b64 v[6:7], v6
	s_wait_dscnt 0x0
	v_dual_cndmask_b32 v13, v11, v8, s23 :: v_dual_cndmask_b32 v16, v14, v6, s23
	v_dual_cndmask_b32 v11, v7, v5, s23 :: v_dual_cndmask_b32 v10, v6, v4, s23
	v_cndmask_b32_e64 v17, v15, v7, s23
	v_cmpx_lt_u32_e64 v12, v48
	s_cbranch_execz .LBB749_862
; %bb.855:
	v_cmp_lt_u32_e64 s24, v13, v47
	s_and_b32 s7, s24, s22
	s_delay_alu instid0(SALU_CYCLE_1)
	s_and_saveexec_b32 s26, s7
	s_cbranch_execz .LBB749_861
; %bb.856:
	v_mul_u64_e32 v[6:7], s[12:13], v[10:11]
	v_mul_u64_e32 v[8:9], s[12:13], v[16:17]
	s_mov_b32 s27, 0
	s_mov_b64 s[8:9], s[12:13]
                                        ; implicit-def: $sgpr28
                                        ; implicit-def: $sgpr29
                                        ; implicit-def: $sgpr30
                                        ; implicit-def: $sgpr31
	s_delay_alu instid0(VALU_DEP_2) | instskip(NEXT) | instid1(VALU_DEP_2)
	v_lshl_add_u64 v[6:7], v[6:7], 3, s[14:15]
	v_lshl_add_u64 v[8:9], v[8:9], 3, s[14:15]
	s_branch .LBB749_858
.LBB749_857:                            ;   in Loop: Header=BB749_858 Depth=1
	s_or_b32 exec_lo, exec_lo, s7
	s_delay_alu instid0(SALU_CYCLE_1) | instskip(NEXT) | instid1(SALU_CYCLE_1)
	s_and_b32 s7, exec_lo, s29
	s_or_b32 s27, s7, s27
	s_and_not1_b32 s7, s31, exec_lo
	s_and_b32 s31, s33, exec_lo
	s_and_not1_b32 s28, s28, exec_lo
	s_and_b32 s33, s30, exec_lo
	s_or_b32 s31, s7, s31
	s_or_b32 s28, s28, s33
	s_and_not1_b32 exec_lo, exec_lo, s27
	s_cbranch_execz .LBB749_860
.LBB749_858:                            ; =>This Inner Loop Header: Depth=1
	global_load_b64 v[22:23], v[6:7], off
	global_load_b64 v[24:25], v[8:9], off
	s_and_not1_b32 s30, s30, exec_lo
	s_or_b32 s29, s29, exec_lo
	s_wait_loadcnt 0x0
	v_cmp_ngt_f64_e32 vcc_lo, v[22:23], v[24:25]
	v_cmp_lt_f64_e64 s7, v[22:23], v[24:25]
	s_and_b32 s33, vcc_lo, s31
	s_xor_b32 s35, s7, vcc_lo
	s_or_b32 s33, s7, s33
	s_delay_alu instid0(SALU_CYCLE_1) | instskip(NEXT) | instid1(SALU_CYCLE_1)
	s_and_b32 s34, s33, exec_lo
	s_or_b32 s30, s30, s34
	s_and_saveexec_b32 s7, s35
	s_cbranch_execz .LBB749_857
; %bb.859:                              ;   in Loop: Header=BB749_858 Depth=1
	s_add_nc_u64 s[8:9], s[8:9], -1
	v_add_nc_u64_e32 v[6:7], 8, v[6:7]
	s_cmp_eq_u64 s[8:9], 0
	v_add_nc_u64_e32 v[8:9], 8, v[8:9]
	s_cselect_b32 s31, -1, 0
	s_and_not1_b32 s29, s29, exec_lo
	s_and_b32 s31, s31, exec_lo
	s_and_not1_b32 s30, s30, exec_lo
	s_or_b32 s29, s29, s31
                                        ; implicit-def: $sgpr31
	s_branch .LBB749_857
.LBB749_860:
	s_or_b32 exec_lo, exec_lo, s27
	s_xor_b32 s7, s28, -1
	s_and_not1_b32 s8, s24, exec_lo
	s_and_b32 s7, s7, exec_lo
	s_delay_alu instid0(SALU_CYCLE_1)
	s_or_b32 s24, s8, s7
.LBB749_861:
	s_or_b32 exec_lo, exec_lo, s26
	s_delay_alu instid0(SALU_CYCLE_1)
	s_or_not1_b32 s24, s24, exec_lo
.LBB749_862:
	s_or_b32 exec_lo, exec_lo, s25
	v_cndmask_b32_e64 v6, v12, v13, s24
	v_cndmask_b32_e64 v7, v48, v47, s24
	s_mov_b32 s26, -1
	s_mov_b32 s25, -1
	s_mov_b32 s27, exec_lo
	v_add_nc_u32_e32 v8, 1, v6
	s_delay_alu instid0(VALU_DEP_1) | instskip(SKIP_1) | instid1(VALU_DEP_2)
	v_add_min_u32_e64 v6, v7, -1, v8
	v_cndmask_b32_e64 v25, v13, v8, s24
	v_lshl_add_u32 v6, v6, 3, v43
	ds_load_b64 v[6:7], v6
	s_wait_dscnt 0x0
	v_dual_cndmask_b32 v24, v8, v12, s24 :: v_dual_cndmask_b32 v13, v7, v11, s24
	v_dual_cndmask_b32 v12, v6, v10, s24 :: v_dual_cndmask_b32 v23, v17, v7, s24
	v_cndmask_b32_e64 v22, v16, v6, s24
	s_delay_alu instid0(VALU_DEP_3)
	v_cmpx_lt_u32_e64 v24, v48
	s_cbranch_execz .LBB749_870
; %bb.863:
	v_cmp_lt_u32_e64 s25, v25, v47
	s_and_b32 s7, s25, s22
	s_delay_alu instid0(SALU_CYCLE_1)
	s_and_saveexec_b32 s28, s7
	s_cbranch_execz .LBB749_869
; %bb.864:
	v_mul_u64_e32 v[6:7], s[12:13], v[12:13]
	v_mul_u64_e32 v[8:9], s[12:13], v[22:23]
	s_mov_b32 s29, 0
	s_mov_b64 s[8:9], s[12:13]
                                        ; implicit-def: $sgpr30
                                        ; implicit-def: $sgpr31
                                        ; implicit-def: $sgpr33
                                        ; implicit-def: $sgpr34
	s_delay_alu instid0(VALU_DEP_2) | instskip(NEXT) | instid1(VALU_DEP_2)
	v_lshl_add_u64 v[6:7], v[6:7], 3, s[14:15]
	v_lshl_add_u64 v[8:9], v[8:9], 3, s[14:15]
	s_branch .LBB749_866
.LBB749_865:                            ;   in Loop: Header=BB749_866 Depth=1
	s_or_b32 exec_lo, exec_lo, s7
	s_delay_alu instid0(SALU_CYCLE_1) | instskip(NEXT) | instid1(SALU_CYCLE_1)
	s_and_b32 s7, exec_lo, s31
	s_or_b32 s29, s7, s29
	s_and_not1_b32 s7, s34, exec_lo
	s_and_b32 s34, s35, exec_lo
	s_and_not1_b32 s30, s30, exec_lo
	s_and_b32 s35, s33, exec_lo
	s_or_b32 s34, s7, s34
	s_or_b32 s30, s30, s35
	s_and_not1_b32 exec_lo, exec_lo, s29
	s_cbranch_execz .LBB749_868
.LBB749_866:                            ; =>This Inner Loop Header: Depth=1
	global_load_b64 v[26:27], v[6:7], off
	global_load_b64 v[28:29], v[8:9], off
	s_and_not1_b32 s33, s33, exec_lo
	s_or_b32 s31, s31, exec_lo
	s_wait_loadcnt 0x0
	v_cmp_ngt_f64_e32 vcc_lo, v[26:27], v[28:29]
	v_cmp_lt_f64_e64 s7, v[26:27], v[28:29]
	s_and_b32 s35, vcc_lo, s34
	s_xor_b32 s37, s7, vcc_lo
	s_or_b32 s35, s7, s35
	s_delay_alu instid0(SALU_CYCLE_1) | instskip(NEXT) | instid1(SALU_CYCLE_1)
	s_and_b32 s36, s35, exec_lo
	s_or_b32 s33, s33, s36
	s_and_saveexec_b32 s7, s37
	s_cbranch_execz .LBB749_865
; %bb.867:                              ;   in Loop: Header=BB749_866 Depth=1
	s_add_nc_u64 s[8:9], s[8:9], -1
	v_add_nc_u64_e32 v[6:7], 8, v[6:7]
	s_cmp_eq_u64 s[8:9], 0
	v_add_nc_u64_e32 v[8:9], 8, v[8:9]
	s_cselect_b32 s34, -1, 0
	s_and_not1_b32 s31, s31, exec_lo
	s_and_b32 s34, s34, exec_lo
	s_and_not1_b32 s33, s33, exec_lo
	s_or_b32 s31, s31, s34
                                        ; implicit-def: $sgpr34
	s_branch .LBB749_865
.LBB749_868:
	s_or_b32 exec_lo, exec_lo, s29
	s_xor_b32 s7, s30, -1
	s_and_not1_b32 s8, s25, exec_lo
	s_and_b32 s7, s7, exec_lo
	s_delay_alu instid0(SALU_CYCLE_1)
	s_or_b32 s25, s8, s7
.LBB749_869:
	s_or_b32 exec_lo, exec_lo, s28
	s_delay_alu instid0(SALU_CYCLE_1)
	s_or_not1_b32 s25, s25, exec_lo
.LBB749_870:
	s_or_b32 exec_lo, exec_lo, s27
	v_cndmask_b32_e64 v6, v24, v25, s25
	v_cndmask_b32_e64 v7, v48, v47, s25
	s_mov_b32 s27, exec_lo
	s_delay_alu instid0(VALU_DEP_2) | instskip(NEXT) | instid1(VALU_DEP_1)
	v_add_nc_u32_e32 v6, 1, v6
	v_add_min_u32_e64 v7, v7, -1, v6
	v_dual_cndmask_b32 v28, v6, v24, s25 :: v_dual_cndmask_b32 v29, v25, v6, s25
	s_delay_alu instid0(VALU_DEP_2)
	v_lshl_add_u32 v7, v7, 3, v43
	ds_load_b64 v[8:9], v7
	s_wait_dscnt 0x0
	v_dual_cndmask_b32 v7, v9, v13, s25 :: v_dual_cndmask_b32 v6, v8, v12, s25
	v_dual_cndmask_b32 v25, v23, v9, s25 :: v_dual_cndmask_b32 v24, v22, v8, s25
	v_cmpx_lt_u32_e64 v28, v48
	s_cbranch_execz .LBB749_878
; %bb.871:
	v_cmp_lt_u32_e64 s26, v29, v47
	s_and_b32 s7, s26, s22
	s_delay_alu instid0(SALU_CYCLE_1)
	s_and_saveexec_b32 s28, s7
	s_cbranch_execz .LBB749_877
; %bb.872:
	v_mul_u64_e32 v[8:9], s[12:13], v[6:7]
	v_mul_u64_e32 v[26:27], s[12:13], v[24:25]
	s_mov_b32 s29, 0
	s_mov_b64 s[8:9], s[12:13]
                                        ; implicit-def: $sgpr30
                                        ; implicit-def: $sgpr31
                                        ; implicit-def: $sgpr33
                                        ; implicit-def: $sgpr34
	s_delay_alu instid0(VALU_DEP_2) | instskip(NEXT) | instid1(VALU_DEP_2)
	v_lshl_add_u64 v[8:9], v[8:9], 3, s[14:15]
	v_lshl_add_u64 v[26:27], v[26:27], 3, s[14:15]
	s_branch .LBB749_874
.LBB749_873:                            ;   in Loop: Header=BB749_874 Depth=1
	s_or_b32 exec_lo, exec_lo, s7
	s_delay_alu instid0(SALU_CYCLE_1) | instskip(NEXT) | instid1(SALU_CYCLE_1)
	s_and_b32 s7, exec_lo, s31
	s_or_b32 s29, s7, s29
	s_and_not1_b32 s7, s34, exec_lo
	s_and_b32 s34, s35, exec_lo
	s_and_not1_b32 s30, s30, exec_lo
	s_and_b32 s35, s33, exec_lo
	s_or_b32 s34, s7, s34
	s_or_b32 s30, s30, s35
	s_and_not1_b32 exec_lo, exec_lo, s29
	s_cbranch_execz .LBB749_876
.LBB749_874:                            ; =>This Inner Loop Header: Depth=1
	global_load_b64 v[30:31], v[8:9], off
	global_load_b64 v[32:33], v[26:27], off
	s_and_not1_b32 s33, s33, exec_lo
	s_or_b32 s31, s31, exec_lo
	s_wait_loadcnt 0x0
	v_cmp_ngt_f64_e32 vcc_lo, v[30:31], v[32:33]
	v_cmp_lt_f64_e64 s7, v[30:31], v[32:33]
	s_and_b32 s35, vcc_lo, s34
	s_xor_b32 s37, s7, vcc_lo
	s_or_b32 s35, s7, s35
	s_delay_alu instid0(SALU_CYCLE_1) | instskip(NEXT) | instid1(SALU_CYCLE_1)
	s_and_b32 s36, s35, exec_lo
	s_or_b32 s33, s33, s36
	s_and_saveexec_b32 s7, s37
	s_cbranch_execz .LBB749_873
; %bb.875:                              ;   in Loop: Header=BB749_874 Depth=1
	s_add_nc_u64 s[8:9], s[8:9], -1
	v_add_nc_u64_e32 v[8:9], 8, v[8:9]
	s_cmp_eq_u64 s[8:9], 0
	v_add_nc_u64_e32 v[26:27], 8, v[26:27]
	s_cselect_b32 s34, -1, 0
	s_and_not1_b32 s31, s31, exec_lo
	s_and_b32 s34, s34, exec_lo
	s_and_not1_b32 s33, s33, exec_lo
	s_or_b32 s31, s31, s34
                                        ; implicit-def: $sgpr34
	s_branch .LBB749_873
.LBB749_876:
	s_or_b32 exec_lo, exec_lo, s29
	s_xor_b32 s7, s30, -1
	s_and_not1_b32 s8, s26, exec_lo
	s_and_b32 s7, s7, exec_lo
	s_delay_alu instid0(SALU_CYCLE_1)
	s_or_b32 s26, s8, s7
.LBB749_877:
	s_or_b32 exec_lo, exec_lo, s28
	s_delay_alu instid0(SALU_CYCLE_1)
	s_or_not1_b32 s26, s26, exec_lo
.LBB749_878:
	s_or_b32 exec_lo, exec_lo, s27
	v_cndmask_b32_e64 v8, v28, v29, s26
	v_cndmask_b32_e64 v9, v48, v47, s26
	s_mov_b32 s27, -1
	s_mov_b32 s28, -1
	s_mov_b32 s29, exec_lo
	v_add_nc_u32_e32 v8, 1, v8
	s_delay_alu instid0(VALU_DEP_1) | instskip(NEXT) | instid1(VALU_DEP_1)
	v_add_min_u32_e64 v9, v9, -1, v8
	v_lshl_add_u32 v9, v9, 3, v43
	ds_load_b64 v[26:27], v9
	v_cndmask_b32_e64 v32, v8, v28, s26
	s_wait_dscnt 0x0
	v_dual_cndmask_b32 v33, v29, v8, s26 :: v_dual_cndmask_b32 v9, v27, v7, s26
	v_dual_cndmask_b32 v8, v26, v6, s26 :: v_dual_cndmask_b32 v27, v25, v27, s26
	v_cndmask_b32_e64 v26, v24, v26, s26
	v_cmpx_lt_u32_e64 v32, v48
	s_cbranch_execz .LBB749_886
; %bb.879:
	v_cmp_lt_u32_e64 s28, v33, v47
	s_and_b32 s7, s28, s22
	s_delay_alu instid0(SALU_CYCLE_1)
	s_and_saveexec_b32 s30, s7
	s_cbranch_execz .LBB749_885
; %bb.880:
	v_mul_u64_e32 v[28:29], s[12:13], v[8:9]
	v_mul_u64_e32 v[30:31], s[12:13], v[26:27]
	s_mov_b32 s31, 0
	s_mov_b64 s[8:9], s[12:13]
                                        ; implicit-def: $sgpr33
                                        ; implicit-def: $sgpr34
                                        ; implicit-def: $sgpr35
                                        ; implicit-def: $sgpr36
	s_delay_alu instid0(VALU_DEP_2) | instskip(NEXT) | instid1(VALU_DEP_2)
	v_lshl_add_u64 v[28:29], v[28:29], 3, s[14:15]
	v_lshl_add_u64 v[30:31], v[30:31], 3, s[14:15]
	s_branch .LBB749_882
.LBB749_881:                            ;   in Loop: Header=BB749_882 Depth=1
	s_or_b32 exec_lo, exec_lo, s7
	s_delay_alu instid0(SALU_CYCLE_1) | instskip(NEXT) | instid1(SALU_CYCLE_1)
	s_and_b32 s7, exec_lo, s34
	s_or_b32 s31, s7, s31
	s_and_not1_b32 s7, s36, exec_lo
	s_and_b32 s36, s37, exec_lo
	s_and_not1_b32 s33, s33, exec_lo
	s_and_b32 s37, s35, exec_lo
	s_or_b32 s36, s7, s36
	s_or_b32 s33, s33, s37
	s_and_not1_b32 exec_lo, exec_lo, s31
	s_cbranch_execz .LBB749_884
.LBB749_882:                            ; =>This Inner Loop Header: Depth=1
	global_load_b64 v[34:35], v[28:29], off
	global_load_b64 v[50:51], v[30:31], off
	s_and_not1_b32 s35, s35, exec_lo
	s_or_b32 s34, s34, exec_lo
	s_wait_loadcnt 0x0
	v_cmp_ngt_f64_e32 vcc_lo, v[34:35], v[50:51]
	v_cmp_lt_f64_e64 s7, v[34:35], v[50:51]
	s_and_b32 s37, vcc_lo, s36
	s_xor_b32 s39, s7, vcc_lo
	s_or_b32 s37, s7, s37
	s_delay_alu instid0(SALU_CYCLE_1) | instskip(NEXT) | instid1(SALU_CYCLE_1)
	s_and_b32 s38, s37, exec_lo
	s_or_b32 s35, s35, s38
	s_and_saveexec_b32 s7, s39
	s_cbranch_execz .LBB749_881
; %bb.883:                              ;   in Loop: Header=BB749_882 Depth=1
	s_add_nc_u64 s[8:9], s[8:9], -1
	v_add_nc_u64_e32 v[28:29], 8, v[28:29]
	s_cmp_eq_u64 s[8:9], 0
	v_add_nc_u64_e32 v[30:31], 8, v[30:31]
	s_cselect_b32 s36, -1, 0
	s_and_not1_b32 s34, s34, exec_lo
	s_and_b32 s36, s36, exec_lo
	s_and_not1_b32 s35, s35, exec_lo
	s_or_b32 s34, s34, s36
                                        ; implicit-def: $sgpr36
	s_branch .LBB749_881
.LBB749_884:
	s_or_b32 exec_lo, exec_lo, s31
	s_xor_b32 s7, s33, -1
	s_and_not1_b32 s8, s28, exec_lo
	s_and_b32 s7, s7, exec_lo
	s_delay_alu instid0(SALU_CYCLE_1)
	s_or_b32 s28, s8, s7
.LBB749_885:
	s_or_b32 exec_lo, exec_lo, s30
	s_delay_alu instid0(SALU_CYCLE_1)
	s_or_not1_b32 s28, s28, exec_lo
.LBB749_886:
	s_or_b32 exec_lo, exec_lo, s29
	v_cndmask_b32_e64 v28, v32, v33, s28
	v_cndmask_b32_e64 v29, v48, v47, s28
	s_mov_b32 s29, exec_lo
	s_delay_alu instid0(VALU_DEP_2) | instskip(NEXT) | instid1(VALU_DEP_1)
	v_add_nc_u32_e32 v28, 1, v28
	v_add_min_u32_e64 v29, v29, -1, v28
	s_delay_alu instid0(VALU_DEP_1)
	v_lshl_add_u32 v29, v29, 3, v43
	ds_load_b64 v[30:31], v29
	v_cndmask_b32_e64 v50, v28, v32, s28
	s_wait_dscnt 0x0
	v_dual_cndmask_b32 v49, v33, v28, s28 :: v_dual_cndmask_b32 v29, v31, v9, s28
	v_dual_cndmask_b32 v28, v30, v8, s28 :: v_dual_cndmask_b32 v31, v27, v31, s28
	v_cndmask_b32_e64 v30, v26, v30, s28
	v_cmpx_lt_u32_e64 v50, v48
	s_cbranch_execz .LBB749_894
; %bb.887:
	v_cmp_lt_u32_e64 s27, v49, v47
	s_and_b32 s7, s27, s22
	s_delay_alu instid0(SALU_CYCLE_1)
	s_and_saveexec_b32 s30, s7
	s_cbranch_execz .LBB749_893
; %bb.888:
	v_mul_u64_e32 v[32:33], s[12:13], v[28:29]
	v_mul_u64_e32 v[34:35], s[12:13], v[30:31]
	s_mov_b32 s31, 0
	s_mov_b64 s[8:9], s[12:13]
                                        ; implicit-def: $sgpr33
                                        ; implicit-def: $sgpr34
                                        ; implicit-def: $sgpr35
                                        ; implicit-def: $sgpr36
	s_delay_alu instid0(VALU_DEP_2) | instskip(NEXT) | instid1(VALU_DEP_2)
	v_lshl_add_u64 v[32:33], v[32:33], 3, s[14:15]
	v_lshl_add_u64 v[34:35], v[34:35], 3, s[14:15]
	s_branch .LBB749_890
.LBB749_889:                            ;   in Loop: Header=BB749_890 Depth=1
	s_or_b32 exec_lo, exec_lo, s7
	s_delay_alu instid0(SALU_CYCLE_1) | instskip(NEXT) | instid1(SALU_CYCLE_1)
	s_and_b32 s7, exec_lo, s34
	s_or_b32 s31, s7, s31
	s_and_not1_b32 s7, s36, exec_lo
	s_and_b32 s36, s37, exec_lo
	s_and_not1_b32 s33, s33, exec_lo
	s_and_b32 s37, s35, exec_lo
	s_or_b32 s36, s7, s36
	s_or_b32 s33, s33, s37
	s_and_not1_b32 exec_lo, exec_lo, s31
	s_cbranch_execz .LBB749_892
.LBB749_890:                            ; =>This Inner Loop Header: Depth=1
	global_load_b64 v[52:53], v[32:33], off
	global_load_b64 v[54:55], v[34:35], off
	s_and_not1_b32 s35, s35, exec_lo
	s_or_b32 s34, s34, exec_lo
	s_wait_loadcnt 0x0
	v_cmp_ngt_f64_e32 vcc_lo, v[52:53], v[54:55]
	v_cmp_lt_f64_e64 s7, v[52:53], v[54:55]
	s_and_b32 s37, vcc_lo, s36
	s_xor_b32 s39, s7, vcc_lo
	s_or_b32 s37, s7, s37
	s_delay_alu instid0(SALU_CYCLE_1) | instskip(NEXT) | instid1(SALU_CYCLE_1)
	s_and_b32 s38, s37, exec_lo
	s_or_b32 s35, s35, s38
	s_and_saveexec_b32 s7, s39
	s_cbranch_execz .LBB749_889
; %bb.891:                              ;   in Loop: Header=BB749_890 Depth=1
	s_add_nc_u64 s[8:9], s[8:9], -1
	v_add_nc_u64_e32 v[32:33], 8, v[32:33]
	s_cmp_eq_u64 s[8:9], 0
	v_add_nc_u64_e32 v[34:35], 8, v[34:35]
	s_cselect_b32 s36, -1, 0
	s_and_not1_b32 s34, s34, exec_lo
	s_and_b32 s36, s36, exec_lo
	s_and_not1_b32 s35, s35, exec_lo
	s_or_b32 s34, s34, s36
                                        ; implicit-def: $sgpr36
	s_branch .LBB749_889
.LBB749_892:
	s_or_b32 exec_lo, exec_lo, s31
	s_xor_b32 s7, s33, -1
	s_and_not1_b32 s8, s27, exec_lo
	s_and_b32 s7, s7, exec_lo
	s_delay_alu instid0(SALU_CYCLE_1)
	s_or_b32 s27, s8, s7
.LBB749_893:
	s_or_b32 exec_lo, exec_lo, s30
	s_delay_alu instid0(SALU_CYCLE_1)
	s_or_not1_b32 s27, s27, exec_lo
.LBB749_894:
	s_or_b32 exec_lo, exec_lo, s29
	v_dual_cndmask_b32 v32, v50, v49, s27 :: v_dual_cndmask_b32 v33, v48, v47, s27
	v_dual_cndmask_b32 v8, v8, v26, s28 :: v_dual_cndmask_b32 v7, v7, v25, s26
	;; [unrolled: 1-line block ×3, first 2 shown]
	s_delay_alu instid0(VALU_DEP_3) | instskip(SKIP_2) | instid1(VALU_DEP_3)
	v_dual_add_nc_u32 v34, 1, v32 :: v_dual_cndmask_b32 v9, v9, v27, s28
	v_dual_cndmask_b32 v12, v12, v22, s25 :: v_dual_cndmask_b32 v11, v11, v17, s24
	v_dual_cndmask_b32 v10, v10, v16, s24 :: v_dual_cndmask_b32 v17, v5, v15, s23
	v_add_min_u32_e64 v32, v33, -1, v34
	v_dual_cndmask_b32 v16, v4, v14, s23 :: v_dual_cndmask_b32 v15, v3, v1, s17
	v_dual_cndmask_b32 v14, v2, v0, s17 :: v_dual_cndmask_b32 v3, v29, v31, s27
	s_delay_alu instid0(VALU_DEP_3)
	v_lshl_add_u32 v32, v32, 3, v43
	s_mov_b32 s17, exec_lo
	ds_load_b64 v[32:33], v32
	v_cndmask_b32_e64 v0, v34, v50, s27
	s_wait_dscnt 0x0
	v_dual_cndmask_b32 v2, v28, v30, s27 :: v_dual_cndmask_b32 v4, v30, v32, s27
	v_cndmask_b32_e64 v5, v31, v33, s27
	s_delay_alu instid0(VALU_DEP_3)
	v_cmpx_lt_u32_e64 v0, v48
	s_cbranch_execz .LBB749_902
; %bb.895:
	v_dual_cndmask_b32 v22, v49, v34, s27 :: v_dual_cndmask_b32 v0, v32, v28, s27
	s_delay_alu instid0(VALU_DEP_1) | instskip(NEXT) | instid1(VALU_DEP_2)
	v_cmp_ge_u32_e32 vcc_lo, v22, v47
	v_dual_cndmask_b32 v1, v33, v29, s27 :: v_dual_cndmask_b32 v22, v4, v0, vcc_lo
	s_delay_alu instid0(VALU_DEP_1) | instskip(SKIP_1) | instid1(SALU_CYCLE_1)
	v_cndmask_b32_e32 v23, v5, v1, vcc_lo
	s_nor_b32 s7, vcc_lo, s19
	s_and_saveexec_b32 s23, s7
	s_cbranch_execz .LBB749_901
; %bb.896:
	v_mul_u64_e32 v[22:23], s[12:13], v[0:1]
	v_mul_u64_e32 v[24:25], s[12:13], v[4:5]
	s_mov_b32 s24, 0
	s_mov_b64 s[8:9], s[12:13]
                                        ; implicit-def: $sgpr25
                                        ; implicit-def: $sgpr26
                                        ; implicit-def: $sgpr27
                                        ; implicit-def: $sgpr28
	s_delay_alu instid0(VALU_DEP_2) | instskip(NEXT) | instid1(VALU_DEP_2)
	v_lshl_add_u64 v[22:23], v[22:23], 3, s[14:15]
	v_lshl_add_u64 v[24:25], v[24:25], 3, s[14:15]
	s_branch .LBB749_898
.LBB749_897:                            ;   in Loop: Header=BB749_898 Depth=1
	s_or_b32 exec_lo, exec_lo, s7
	s_delay_alu instid0(SALU_CYCLE_1) | instskip(NEXT) | instid1(SALU_CYCLE_1)
	s_and_b32 s7, exec_lo, s26
	s_or_b32 s24, s7, s24
	s_and_not1_b32 s7, s28, exec_lo
	s_and_b32 s28, s29, exec_lo
	s_and_not1_b32 s25, s25, exec_lo
	s_and_b32 s29, s27, exec_lo
	s_or_b32 s28, s7, s28
	s_or_b32 s25, s25, s29
	s_and_not1_b32 exec_lo, exec_lo, s24
	s_cbranch_execz .LBB749_900
.LBB749_898:                            ; =>This Inner Loop Header: Depth=1
	global_load_b64 v[26:27], v[22:23], off
	global_load_b64 v[28:29], v[24:25], off
	s_and_not1_b32 s27, s27, exec_lo
	s_or_b32 s26, s26, exec_lo
	s_wait_loadcnt 0x0
	v_cmp_ngt_f64_e32 vcc_lo, v[26:27], v[28:29]
	v_cmp_lt_f64_e64 s7, v[26:27], v[28:29]
	s_and_b32 s29, vcc_lo, s28
	s_xor_b32 s31, s7, vcc_lo
	s_or_b32 s29, s7, s29
	s_delay_alu instid0(SALU_CYCLE_1) | instskip(NEXT) | instid1(SALU_CYCLE_1)
	s_and_b32 s30, s29, exec_lo
	s_or_b32 s27, s27, s30
	s_and_saveexec_b32 s7, s31
	s_cbranch_execz .LBB749_897
; %bb.899:                              ;   in Loop: Header=BB749_898 Depth=1
	s_add_nc_u64 s[8:9], s[8:9], -1
	v_add_nc_u64_e32 v[22:23], 8, v[22:23]
	s_cmp_eq_u64 s[8:9], 0
	v_add_nc_u64_e32 v[24:25], 8, v[24:25]
	s_cselect_b32 s28, -1, 0
	s_and_not1_b32 s26, s26, exec_lo
	s_and_b32 s28, s28, exec_lo
	s_and_not1_b32 s27, s27, exec_lo
	s_or_b32 s26, s26, s28
                                        ; implicit-def: $sgpr28
	s_branch .LBB749_897
.LBB749_900:
	s_or_b32 exec_lo, exec_lo, s24
	v_dual_cndmask_b32 v23, v5, v1, s25 :: v_dual_cndmask_b32 v22, v4, v0, s25
.LBB749_901:
	s_or_b32 exec_lo, exec_lo, s23
	s_delay_alu instid0(VALU_DEP_1)
	v_mov_b64_e32 v[4:5], v[22:23]
.LBB749_902:
	s_or_b32 exec_lo, exec_lo, s17
.LBB749_903:
	s_delay_alu instid0(SALU_CYCLE_1)
	s_or_b32 exec_lo, exec_lo, s16
	v_and_b32_e32 v26, 0xe0, v45
	s_mov_b32 s23, exec_lo
	; wave barrier
	ds_store_b128 v46, v[14:17]
	ds_store_b128 v46, v[10:13] offset:16
	v_or_b32_e32 v0, 16, v26
	v_lshl_add_u32 v25, v26, 3, v43
	ds_store_b128 v46, v[6:9] offset:32
	ds_store_b128 v46, v[2:5] offset:48
	; wave barrier
	v_min_u32_e32 v47, v44, v0
	v_and_b32_e32 v0, 24, v45
	s_delay_alu instid0(VALU_DEP_2) | instskip(NEXT) | instid1(VALU_DEP_2)
	v_add_min_u32_e64 v48, v47, 16, v44
	v_min_u32_e32 v27, v44, v0
	s_delay_alu instid0(VALU_DEP_2) | instskip(NEXT) | instid1(VALU_DEP_1)
	v_dual_sub_nc_u32 v1, v47, v26 :: v_dual_sub_nc_u32 v0, v48, v47
	v_min_u32_e32 v28, v27, v1
	s_delay_alu instid0(VALU_DEP_2) | instskip(NEXT) | instid1(VALU_DEP_1)
	v_sub_nc_u32_e64 v24, v27, v0 clamp
	v_cmpx_lt_u32_e64 v24, v28
	s_cbranch_execz .LBB749_913
; %bb.904:
	v_lshlrev_b32_e32 v0, 3, v47
	v_lshlrev_b32_e32 v1, 3, v27
	s_lshl_b64 s[8:9], s[12:13], 3
	s_mov_b32 s24, 0
	s_delay_alu instid0(VALU_DEP_1)
	v_add3_u32 v29, v43, v0, v1
	s_branch .LBB749_907
.LBB749_905:                            ;   in Loop: Header=BB749_907 Depth=1
	s_or_b32 exec_lo, exec_lo, s26
.LBB749_906:                            ;   in Loop: Header=BB749_907 Depth=1
	s_delay_alu instid0(VALU_DEP_1) | instskip(NEXT) | instid1(VALU_DEP_1)
	v_dual_add_nc_u32 v0, 1, v30 :: v_dual_cndmask_b32 v28, v28, v30, s25
	v_cndmask_b32_e64 v24, v0, v24, s25
	s_delay_alu instid0(VALU_DEP_1) | instskip(SKIP_1) | instid1(SALU_CYCLE_1)
	v_cmp_ge_u32_e32 vcc_lo, v24, v28
	s_or_b32 s24, vcc_lo, s24
	s_and_not1_b32 exec_lo, exec_lo, s24
	s_cbranch_execz .LBB749_912
.LBB749_907:                            ; =>This Loop Header: Depth=1
                                        ;     Child Loop BB749_910 Depth 2
	v_add_nc_u32_e32 v0, v28, v24
	s_and_not1_b32 vcc_lo, exec_lo, s18
	s_mov_b32 s25, 0
	s_delay_alu instid0(VALU_DEP_1)
	v_lshrrev_b32_e32 v30, 1, v0
	s_cbranch_vccnz .LBB749_906
; %bb.908:                              ;   in Loop: Header=BB749_907 Depth=1
	s_delay_alu instid0(VALU_DEP_1) | instskip(SKIP_3) | instid1(VALU_DEP_2)
	v_not_b32_e32 v0, v30
	v_lshl_add_u32 v1, v30, 3, v25
	s_mov_b32 s26, 0
	s_mov_b64 s[16:17], s[12:13]
                                        ; implicit-def: $sgpr25
                                        ; implicit-def: $sgpr27
                                        ; implicit-def: $sgpr28
                                        ; implicit-def: $sgpr29
	v_lshl_add_u32 v0, v0, 3, v29
	ds_load_b64 v[32:33], v0
	ds_load_b64 v[34:35], v1
	s_wait_dscnt 0x1
	v_mad_nc_u64_u32 v[0:1], s8, v32, s[14:15]
	s_wait_dscnt 0x0
	v_mad_nc_u64_u32 v[22:23], s8, v34, s[14:15]
	s_delay_alu instid0(VALU_DEP_2) | instskip(NEXT) | instid1(VALU_DEP_2)
	v_mad_u32 v1, s9, v32, v1
	v_mad_u32 v23, s9, v34, v23
	s_delay_alu instid0(VALU_DEP_2) | instskip(NEXT) | instid1(VALU_DEP_2)
	v_mad_u32 v1, s8, v33, v1
	v_mad_u32 v23, s8, v35, v23
	s_branch .LBB749_910
.LBB749_909:                            ;   in Loop: Header=BB749_910 Depth=2
	s_or_b32 exec_lo, exec_lo, s7
	s_delay_alu instid0(SALU_CYCLE_1) | instskip(NEXT) | instid1(SALU_CYCLE_1)
	s_and_b32 s7, exec_lo, s27
	s_or_b32 s26, s7, s26
	s_and_not1_b32 s7, s29, exec_lo
	s_and_b32 s29, s30, exec_lo
	s_and_not1_b32 s25, s25, exec_lo
	s_and_b32 s30, s28, exec_lo
	s_or_b32 s29, s7, s29
	s_or_b32 s25, s25, s30
	s_and_not1_b32 exec_lo, exec_lo, s26
	s_cbranch_execz .LBB749_905
.LBB749_910:                            ;   Parent Loop BB749_907 Depth=1
                                        ; =>  This Inner Loop Header: Depth=2
	global_load_b64 v[32:33], v[0:1], off
	global_load_b64 v[34:35], v[22:23], off
	s_and_not1_b32 s28, s28, exec_lo
	s_or_b32 s27, s27, exec_lo
	s_wait_loadcnt 0x0
	v_cmp_ngt_f64_e32 vcc_lo, v[32:33], v[34:35]
	v_cmp_lt_f64_e64 s7, v[32:33], v[34:35]
	s_and_b32 s30, vcc_lo, s29
	s_xor_b32 s33, s7, vcc_lo
	s_or_b32 s30, s7, s30
	s_delay_alu instid0(SALU_CYCLE_1) | instskip(NEXT) | instid1(SALU_CYCLE_1)
	s_and_b32 s31, s30, exec_lo
	s_or_b32 s28, s28, s31
	s_and_saveexec_b32 s7, s33
	s_cbranch_execz .LBB749_909
; %bb.911:                              ;   in Loop: Header=BB749_910 Depth=2
	s_add_nc_u64 s[16:17], s[16:17], -1
	v_add_nc_u64_e32 v[0:1], 8, v[0:1]
	s_cmp_eq_u64 s[16:17], 0
	v_add_nc_u64_e32 v[22:23], 8, v[22:23]
	s_cselect_b32 s29, -1, 0
	s_and_not1_b32 s27, s27, exec_lo
	s_and_b32 s29, s29, exec_lo
	s_and_not1_b32 s28, s28, exec_lo
	s_or_b32 s27, s27, s29
                                        ; implicit-def: $sgpr29
	s_branch .LBB749_909
.LBB749_912:
	s_or_b32 exec_lo, exec_lo, s24
.LBB749_913:
	s_delay_alu instid0(SALU_CYCLE_1) | instskip(SKIP_1) | instid1(VALU_DEP_1)
	s_or_b32 exec_lo, exec_lo, s23
	v_dual_add_nc_u32 v0, v47, v27 :: v_dual_add_nc_u32 v22, v24, v26
	v_sub_nc_u32_e32 v23, v0, v24
	s_delay_alu instid0(VALU_DEP_2) | instskip(NEXT) | instid1(VALU_DEP_2)
	v_cmp_le_u32_e32 vcc_lo, v22, v47
	v_cmp_le_u32_e64 s7, v23, v48
	s_or_b32 s7, vcc_lo, s7
	s_delay_alu instid0(SALU_CYCLE_1)
	s_and_saveexec_b32 s16, s7
	s_cbranch_execz .LBB749_981
; %bb.914:
	s_mov_b32 s8, exec_lo
	v_cmp_ge_u32_e32 vcc_lo, v22, v47
                                        ; implicit-def: $vgpr0_vgpr1
	v_cmpx_lt_u32_e64 v22, v47
; %bb.915:
	v_lshl_add_u32 v0, v24, 3, v25
	ds_load_b64 v[0:1], v0
; %bb.916:
	s_or_b32 exec_lo, exec_lo, s8
	v_cmp_ge_u32_e64 s7, v23, v48
	s_mov_b32 s9, exec_lo
                                        ; implicit-def: $vgpr2_vgpr3
	v_cmpx_lt_u32_e64 v23, v48
; %bb.917:
	v_lshl_add_u32 v2, v23, 3, v43
	ds_load_b64 v[2:3], v2
; %bb.918:
	s_or_b32 exec_lo, exec_lo, s9
	s_or_b32 s8, vcc_lo, s7
	s_xor_b32 s9, vcc_lo, -1
	s_nor_b32 s8, s8, s19
	s_or_b32 s17, s7, s9
	s_and_saveexec_b32 s23, s8
	s_cbranch_execz .LBB749_924
; %bb.919:
	s_wait_dscnt 0x0
	v_mul_u64_e32 v[4:5], s[12:13], v[2:3]
	v_mul_u64_e32 v[6:7], s[12:13], v[0:1]
	s_mov_b32 s24, 0
	s_mov_b64 s[8:9], s[12:13]
                                        ; implicit-def: $sgpr25
                                        ; implicit-def: $sgpr26
                                        ; implicit-def: $sgpr27
                                        ; implicit-def: $sgpr28
	s_delay_alu instid0(VALU_DEP_2) | instskip(NEXT) | instid1(VALU_DEP_2)
	v_lshl_add_u64 v[4:5], v[4:5], 3, s[14:15]
	v_lshl_add_u64 v[6:7], v[6:7], 3, s[14:15]
	s_branch .LBB749_921
.LBB749_920:                            ;   in Loop: Header=BB749_921 Depth=1
	s_or_b32 exec_lo, exec_lo, s7
	s_delay_alu instid0(SALU_CYCLE_1) | instskip(NEXT) | instid1(SALU_CYCLE_1)
	s_and_b32 s7, exec_lo, s26
	s_or_b32 s24, s7, s24
	s_and_not1_b32 s7, s28, exec_lo
	s_and_b32 s28, s29, exec_lo
	s_and_not1_b32 s25, s25, exec_lo
	s_and_b32 s29, s27, exec_lo
	s_or_b32 s28, s7, s28
	s_or_b32 s25, s25, s29
	s_and_not1_b32 exec_lo, exec_lo, s24
	s_cbranch_execz .LBB749_923
.LBB749_921:                            ; =>This Inner Loop Header: Depth=1
	global_load_b64 v[8:9], v[4:5], off
	global_load_b64 v[10:11], v[6:7], off
	s_and_not1_b32 s27, s27, exec_lo
	s_or_b32 s26, s26, exec_lo
	s_wait_loadcnt 0x0
	v_cmp_ngt_f64_e32 vcc_lo, v[8:9], v[10:11]
	v_cmp_lt_f64_e64 s7, v[8:9], v[10:11]
	s_and_b32 s29, vcc_lo, s28
	s_xor_b32 s31, s7, vcc_lo
	s_or_b32 s29, s7, s29
	s_delay_alu instid0(SALU_CYCLE_1) | instskip(NEXT) | instid1(SALU_CYCLE_1)
	s_and_b32 s30, s29, exec_lo
	s_or_b32 s27, s27, s30
	s_and_saveexec_b32 s7, s31
	s_cbranch_execz .LBB749_920
; %bb.922:                              ;   in Loop: Header=BB749_921 Depth=1
	s_add_nc_u64 s[8:9], s[8:9], -1
	v_add_nc_u64_e32 v[4:5], 8, v[4:5]
	s_cmp_eq_u64 s[8:9], 0
	v_add_nc_u64_e32 v[6:7], 8, v[6:7]
	s_cselect_b32 s28, -1, 0
	s_and_not1_b32 s26, s26, exec_lo
	s_and_b32 s28, s28, exec_lo
	s_and_not1_b32 s27, s27, exec_lo
	s_or_b32 s26, s26, s28
                                        ; implicit-def: $sgpr28
	s_branch .LBB749_920
.LBB749_923:
	s_or_b32 exec_lo, exec_lo, s24
	s_xor_b32 s7, s25, -1
	s_and_not1_b32 s8, s17, exec_lo
	s_and_b32 s7, s7, exec_lo
	s_delay_alu instid0(SALU_CYCLE_1)
	s_or_b32 s17, s8, s7
.LBB749_924:
	s_or_b32 exec_lo, exec_lo, s23
	v_dual_cndmask_b32 v4, v23, v22, s17 :: v_dual_cndmask_b32 v5, v48, v47, s17
	s_mov_b32 s24, -1
	s_mov_b32 s23, -1
	s_mov_b32 s25, exec_lo
	s_delay_alu instid0(VALU_DEP_1) | instskip(NEXT) | instid1(VALU_DEP_1)
	v_add_nc_u32_e32 v4, 1, v4
	v_add_min_u32_e64 v5, v5, -1, v4
	s_delay_alu instid0(VALU_DEP_1)
	v_lshl_add_u32 v5, v5, 3, v43
	ds_load_b64 v[6:7], v5
	s_wait_dscnt 0x0
	v_cndmask_b32_e64 v5, v7, v3, s17
	v_dual_cndmask_b32 v10, v4, v23, s17 :: v_dual_cndmask_b32 v11, v22, v4, s17
	v_dual_cndmask_b32 v4, v6, v2, s17 :: v_dual_cndmask_b32 v15, v1, v7, s17
	v_cndmask_b32_e64 v14, v0, v6, s17
	s_delay_alu instid0(VALU_DEP_3)
	v_cmpx_lt_u32_e64 v10, v48
	s_cbranch_execz .LBB749_932
; %bb.925:
	v_cmp_lt_u32_e64 s23, v11, v47
	s_and_b32 s7, s23, s22
	s_delay_alu instid0(SALU_CYCLE_1)
	s_and_saveexec_b32 s26, s7
	s_cbranch_execz .LBB749_931
; %bb.926:
	v_mul_u64_e32 v[6:7], s[12:13], v[4:5]
	v_mul_u64_e32 v[8:9], s[12:13], v[14:15]
	s_mov_b32 s27, 0
	s_mov_b64 s[8:9], s[12:13]
                                        ; implicit-def: $sgpr28
                                        ; implicit-def: $sgpr29
                                        ; implicit-def: $sgpr30
                                        ; implicit-def: $sgpr31
	s_delay_alu instid0(VALU_DEP_2) | instskip(NEXT) | instid1(VALU_DEP_2)
	v_lshl_add_u64 v[6:7], v[6:7], 3, s[14:15]
	v_lshl_add_u64 v[8:9], v[8:9], 3, s[14:15]
	s_branch .LBB749_928
.LBB749_927:                            ;   in Loop: Header=BB749_928 Depth=1
	s_or_b32 exec_lo, exec_lo, s7
	s_delay_alu instid0(SALU_CYCLE_1) | instskip(NEXT) | instid1(SALU_CYCLE_1)
	s_and_b32 s7, exec_lo, s29
	s_or_b32 s27, s7, s27
	s_and_not1_b32 s7, s31, exec_lo
	s_and_b32 s31, s33, exec_lo
	s_and_not1_b32 s28, s28, exec_lo
	s_and_b32 s33, s30, exec_lo
	s_or_b32 s31, s7, s31
	s_or_b32 s28, s28, s33
	s_and_not1_b32 exec_lo, exec_lo, s27
	s_cbranch_execz .LBB749_930
.LBB749_928:                            ; =>This Inner Loop Header: Depth=1
	global_load_b64 v[12:13], v[6:7], off
	global_load_b64 v[16:17], v[8:9], off
	s_and_not1_b32 s30, s30, exec_lo
	s_or_b32 s29, s29, exec_lo
	s_wait_loadcnt 0x0
	v_cmp_ngt_f64_e32 vcc_lo, v[12:13], v[16:17]
	v_cmp_lt_f64_e64 s7, v[12:13], v[16:17]
	s_and_b32 s33, vcc_lo, s31
	s_xor_b32 s35, s7, vcc_lo
	s_or_b32 s33, s7, s33
	s_delay_alu instid0(SALU_CYCLE_1) | instskip(NEXT) | instid1(SALU_CYCLE_1)
	s_and_b32 s34, s33, exec_lo
	s_or_b32 s30, s30, s34
	s_and_saveexec_b32 s7, s35
	s_cbranch_execz .LBB749_927
; %bb.929:                              ;   in Loop: Header=BB749_928 Depth=1
	s_add_nc_u64 s[8:9], s[8:9], -1
	v_add_nc_u64_e32 v[6:7], 8, v[6:7]
	s_cmp_eq_u64 s[8:9], 0
	v_add_nc_u64_e32 v[8:9], 8, v[8:9]
	s_cselect_b32 s31, -1, 0
	s_and_not1_b32 s29, s29, exec_lo
	s_and_b32 s31, s31, exec_lo
	s_and_not1_b32 s30, s30, exec_lo
	s_or_b32 s29, s29, s31
                                        ; implicit-def: $sgpr31
	s_branch .LBB749_927
.LBB749_930:
	s_or_b32 exec_lo, exec_lo, s27
	s_xor_b32 s7, s28, -1
	s_and_not1_b32 s8, s23, exec_lo
	s_and_b32 s7, s7, exec_lo
	s_delay_alu instid0(SALU_CYCLE_1)
	s_or_b32 s23, s8, s7
.LBB749_931:
	s_or_b32 exec_lo, exec_lo, s26
	s_delay_alu instid0(SALU_CYCLE_1)
	s_or_not1_b32 s23, s23, exec_lo
.LBB749_932:
	s_or_b32 exec_lo, exec_lo, s25
	v_cndmask_b32_e64 v6, v10, v11, s23
	v_cndmask_b32_e64 v7, v48, v47, s23
	s_mov_b32 s25, exec_lo
	s_delay_alu instid0(VALU_DEP_2) | instskip(NEXT) | instid1(VALU_DEP_1)
	v_add_nc_u32_e32 v8, 1, v6
	v_add_min_u32_e64 v6, v7, -1, v8
	v_cndmask_b32_e64 v12, v8, v10, s23
	s_delay_alu instid0(VALU_DEP_2)
	v_lshl_add_u32 v6, v6, 3, v43
	ds_load_b64 v[6:7], v6
	s_wait_dscnt 0x0
	v_dual_cndmask_b32 v13, v11, v8, s23 :: v_dual_cndmask_b32 v16, v14, v6, s23
	v_dual_cndmask_b32 v11, v7, v5, s23 :: v_dual_cndmask_b32 v10, v6, v4, s23
	v_cndmask_b32_e64 v17, v15, v7, s23
	v_cmpx_lt_u32_e64 v12, v48
	s_cbranch_execz .LBB749_940
; %bb.933:
	v_cmp_lt_u32_e64 s24, v13, v47
	s_and_b32 s7, s24, s22
	s_delay_alu instid0(SALU_CYCLE_1)
	s_and_saveexec_b32 s26, s7
	s_cbranch_execz .LBB749_939
; %bb.934:
	v_mul_u64_e32 v[6:7], s[12:13], v[10:11]
	v_mul_u64_e32 v[8:9], s[12:13], v[16:17]
	s_mov_b32 s27, 0
	s_mov_b64 s[8:9], s[12:13]
                                        ; implicit-def: $sgpr28
                                        ; implicit-def: $sgpr29
                                        ; implicit-def: $sgpr30
                                        ; implicit-def: $sgpr31
	s_delay_alu instid0(VALU_DEP_2) | instskip(NEXT) | instid1(VALU_DEP_2)
	v_lshl_add_u64 v[6:7], v[6:7], 3, s[14:15]
	v_lshl_add_u64 v[8:9], v[8:9], 3, s[14:15]
	s_branch .LBB749_936
.LBB749_935:                            ;   in Loop: Header=BB749_936 Depth=1
	s_or_b32 exec_lo, exec_lo, s7
	s_delay_alu instid0(SALU_CYCLE_1) | instskip(NEXT) | instid1(SALU_CYCLE_1)
	s_and_b32 s7, exec_lo, s29
	s_or_b32 s27, s7, s27
	s_and_not1_b32 s7, s31, exec_lo
	s_and_b32 s31, s33, exec_lo
	s_and_not1_b32 s28, s28, exec_lo
	s_and_b32 s33, s30, exec_lo
	s_or_b32 s31, s7, s31
	s_or_b32 s28, s28, s33
	s_and_not1_b32 exec_lo, exec_lo, s27
	s_cbranch_execz .LBB749_938
.LBB749_936:                            ; =>This Inner Loop Header: Depth=1
	global_load_b64 v[22:23], v[6:7], off
	global_load_b64 v[24:25], v[8:9], off
	s_and_not1_b32 s30, s30, exec_lo
	s_or_b32 s29, s29, exec_lo
	s_wait_loadcnt 0x0
	v_cmp_ngt_f64_e32 vcc_lo, v[22:23], v[24:25]
	v_cmp_lt_f64_e64 s7, v[22:23], v[24:25]
	s_and_b32 s33, vcc_lo, s31
	s_xor_b32 s35, s7, vcc_lo
	s_or_b32 s33, s7, s33
	s_delay_alu instid0(SALU_CYCLE_1) | instskip(NEXT) | instid1(SALU_CYCLE_1)
	s_and_b32 s34, s33, exec_lo
	s_or_b32 s30, s30, s34
	s_and_saveexec_b32 s7, s35
	s_cbranch_execz .LBB749_935
; %bb.937:                              ;   in Loop: Header=BB749_936 Depth=1
	s_add_nc_u64 s[8:9], s[8:9], -1
	v_add_nc_u64_e32 v[6:7], 8, v[6:7]
	s_cmp_eq_u64 s[8:9], 0
	v_add_nc_u64_e32 v[8:9], 8, v[8:9]
	s_cselect_b32 s31, -1, 0
	s_and_not1_b32 s29, s29, exec_lo
	s_and_b32 s31, s31, exec_lo
	s_and_not1_b32 s30, s30, exec_lo
	s_or_b32 s29, s29, s31
                                        ; implicit-def: $sgpr31
	s_branch .LBB749_935
.LBB749_938:
	s_or_b32 exec_lo, exec_lo, s27
	s_xor_b32 s7, s28, -1
	s_and_not1_b32 s8, s24, exec_lo
	s_and_b32 s7, s7, exec_lo
	s_delay_alu instid0(SALU_CYCLE_1)
	s_or_b32 s24, s8, s7
.LBB749_939:
	s_or_b32 exec_lo, exec_lo, s26
	s_delay_alu instid0(SALU_CYCLE_1)
	s_or_not1_b32 s24, s24, exec_lo
.LBB749_940:
	s_or_b32 exec_lo, exec_lo, s25
	v_cndmask_b32_e64 v6, v12, v13, s24
	v_cndmask_b32_e64 v7, v48, v47, s24
	s_mov_b32 s26, -1
	s_mov_b32 s25, -1
	s_mov_b32 s27, exec_lo
	v_add_nc_u32_e32 v8, 1, v6
	s_delay_alu instid0(VALU_DEP_1) | instskip(SKIP_1) | instid1(VALU_DEP_2)
	v_add_min_u32_e64 v6, v7, -1, v8
	v_cndmask_b32_e64 v25, v13, v8, s24
	v_lshl_add_u32 v6, v6, 3, v43
	ds_load_b64 v[6:7], v6
	s_wait_dscnt 0x0
	v_dual_cndmask_b32 v24, v8, v12, s24 :: v_dual_cndmask_b32 v13, v7, v11, s24
	v_dual_cndmask_b32 v12, v6, v10, s24 :: v_dual_cndmask_b32 v23, v17, v7, s24
	v_cndmask_b32_e64 v22, v16, v6, s24
	s_delay_alu instid0(VALU_DEP_3)
	v_cmpx_lt_u32_e64 v24, v48
	s_cbranch_execz .LBB749_948
; %bb.941:
	v_cmp_lt_u32_e64 s25, v25, v47
	s_and_b32 s7, s25, s22
	s_delay_alu instid0(SALU_CYCLE_1)
	s_and_saveexec_b32 s28, s7
	s_cbranch_execz .LBB749_947
; %bb.942:
	v_mul_u64_e32 v[6:7], s[12:13], v[12:13]
	v_mul_u64_e32 v[8:9], s[12:13], v[22:23]
	s_mov_b32 s29, 0
	s_mov_b64 s[8:9], s[12:13]
                                        ; implicit-def: $sgpr30
                                        ; implicit-def: $sgpr31
                                        ; implicit-def: $sgpr33
                                        ; implicit-def: $sgpr34
	s_delay_alu instid0(VALU_DEP_2) | instskip(NEXT) | instid1(VALU_DEP_2)
	v_lshl_add_u64 v[6:7], v[6:7], 3, s[14:15]
	v_lshl_add_u64 v[8:9], v[8:9], 3, s[14:15]
	s_branch .LBB749_944
.LBB749_943:                            ;   in Loop: Header=BB749_944 Depth=1
	s_or_b32 exec_lo, exec_lo, s7
	s_delay_alu instid0(SALU_CYCLE_1) | instskip(NEXT) | instid1(SALU_CYCLE_1)
	s_and_b32 s7, exec_lo, s31
	s_or_b32 s29, s7, s29
	s_and_not1_b32 s7, s34, exec_lo
	s_and_b32 s34, s35, exec_lo
	s_and_not1_b32 s30, s30, exec_lo
	s_and_b32 s35, s33, exec_lo
	s_or_b32 s34, s7, s34
	s_or_b32 s30, s30, s35
	s_and_not1_b32 exec_lo, exec_lo, s29
	s_cbranch_execz .LBB749_946
.LBB749_944:                            ; =>This Inner Loop Header: Depth=1
	global_load_b64 v[26:27], v[6:7], off
	global_load_b64 v[28:29], v[8:9], off
	s_and_not1_b32 s33, s33, exec_lo
	s_or_b32 s31, s31, exec_lo
	s_wait_loadcnt 0x0
	v_cmp_ngt_f64_e32 vcc_lo, v[26:27], v[28:29]
	v_cmp_lt_f64_e64 s7, v[26:27], v[28:29]
	s_and_b32 s35, vcc_lo, s34
	s_xor_b32 s37, s7, vcc_lo
	s_or_b32 s35, s7, s35
	s_delay_alu instid0(SALU_CYCLE_1) | instskip(NEXT) | instid1(SALU_CYCLE_1)
	s_and_b32 s36, s35, exec_lo
	s_or_b32 s33, s33, s36
	s_and_saveexec_b32 s7, s37
	s_cbranch_execz .LBB749_943
; %bb.945:                              ;   in Loop: Header=BB749_944 Depth=1
	s_add_nc_u64 s[8:9], s[8:9], -1
	v_add_nc_u64_e32 v[6:7], 8, v[6:7]
	s_cmp_eq_u64 s[8:9], 0
	v_add_nc_u64_e32 v[8:9], 8, v[8:9]
	s_cselect_b32 s34, -1, 0
	s_and_not1_b32 s31, s31, exec_lo
	s_and_b32 s34, s34, exec_lo
	s_and_not1_b32 s33, s33, exec_lo
	s_or_b32 s31, s31, s34
                                        ; implicit-def: $sgpr34
	s_branch .LBB749_943
.LBB749_946:
	s_or_b32 exec_lo, exec_lo, s29
	s_xor_b32 s7, s30, -1
	s_and_not1_b32 s8, s25, exec_lo
	s_and_b32 s7, s7, exec_lo
	s_delay_alu instid0(SALU_CYCLE_1)
	s_or_b32 s25, s8, s7
.LBB749_947:
	s_or_b32 exec_lo, exec_lo, s28
	s_delay_alu instid0(SALU_CYCLE_1)
	s_or_not1_b32 s25, s25, exec_lo
.LBB749_948:
	s_or_b32 exec_lo, exec_lo, s27
	v_cndmask_b32_e64 v6, v24, v25, s25
	v_cndmask_b32_e64 v7, v48, v47, s25
	s_mov_b32 s27, exec_lo
	s_delay_alu instid0(VALU_DEP_2) | instskip(NEXT) | instid1(VALU_DEP_1)
	v_add_nc_u32_e32 v6, 1, v6
	v_add_min_u32_e64 v7, v7, -1, v6
	v_dual_cndmask_b32 v28, v6, v24, s25 :: v_dual_cndmask_b32 v29, v25, v6, s25
	s_delay_alu instid0(VALU_DEP_2)
	v_lshl_add_u32 v7, v7, 3, v43
	ds_load_b64 v[8:9], v7
	s_wait_dscnt 0x0
	v_dual_cndmask_b32 v7, v9, v13, s25 :: v_dual_cndmask_b32 v6, v8, v12, s25
	v_dual_cndmask_b32 v25, v23, v9, s25 :: v_dual_cndmask_b32 v24, v22, v8, s25
	v_cmpx_lt_u32_e64 v28, v48
	s_cbranch_execz .LBB749_956
; %bb.949:
	v_cmp_lt_u32_e64 s26, v29, v47
	s_and_b32 s7, s26, s22
	s_delay_alu instid0(SALU_CYCLE_1)
	s_and_saveexec_b32 s28, s7
	s_cbranch_execz .LBB749_955
; %bb.950:
	v_mul_u64_e32 v[8:9], s[12:13], v[6:7]
	v_mul_u64_e32 v[26:27], s[12:13], v[24:25]
	s_mov_b32 s29, 0
	s_mov_b64 s[8:9], s[12:13]
                                        ; implicit-def: $sgpr30
                                        ; implicit-def: $sgpr31
                                        ; implicit-def: $sgpr33
                                        ; implicit-def: $sgpr34
	s_delay_alu instid0(VALU_DEP_2) | instskip(NEXT) | instid1(VALU_DEP_2)
	v_lshl_add_u64 v[8:9], v[8:9], 3, s[14:15]
	v_lshl_add_u64 v[26:27], v[26:27], 3, s[14:15]
	s_branch .LBB749_952
.LBB749_951:                            ;   in Loop: Header=BB749_952 Depth=1
	s_or_b32 exec_lo, exec_lo, s7
	s_delay_alu instid0(SALU_CYCLE_1) | instskip(NEXT) | instid1(SALU_CYCLE_1)
	s_and_b32 s7, exec_lo, s31
	s_or_b32 s29, s7, s29
	s_and_not1_b32 s7, s34, exec_lo
	s_and_b32 s34, s35, exec_lo
	s_and_not1_b32 s30, s30, exec_lo
	s_and_b32 s35, s33, exec_lo
	s_or_b32 s34, s7, s34
	s_or_b32 s30, s30, s35
	s_and_not1_b32 exec_lo, exec_lo, s29
	s_cbranch_execz .LBB749_954
.LBB749_952:                            ; =>This Inner Loop Header: Depth=1
	global_load_b64 v[30:31], v[8:9], off
	global_load_b64 v[32:33], v[26:27], off
	s_and_not1_b32 s33, s33, exec_lo
	s_or_b32 s31, s31, exec_lo
	s_wait_loadcnt 0x0
	v_cmp_ngt_f64_e32 vcc_lo, v[30:31], v[32:33]
	v_cmp_lt_f64_e64 s7, v[30:31], v[32:33]
	s_and_b32 s35, vcc_lo, s34
	s_xor_b32 s37, s7, vcc_lo
	s_or_b32 s35, s7, s35
	s_delay_alu instid0(SALU_CYCLE_1) | instskip(NEXT) | instid1(SALU_CYCLE_1)
	s_and_b32 s36, s35, exec_lo
	s_or_b32 s33, s33, s36
	s_and_saveexec_b32 s7, s37
	s_cbranch_execz .LBB749_951
; %bb.953:                              ;   in Loop: Header=BB749_952 Depth=1
	s_add_nc_u64 s[8:9], s[8:9], -1
	v_add_nc_u64_e32 v[8:9], 8, v[8:9]
	s_cmp_eq_u64 s[8:9], 0
	v_add_nc_u64_e32 v[26:27], 8, v[26:27]
	s_cselect_b32 s34, -1, 0
	s_and_not1_b32 s31, s31, exec_lo
	s_and_b32 s34, s34, exec_lo
	s_and_not1_b32 s33, s33, exec_lo
	s_or_b32 s31, s31, s34
                                        ; implicit-def: $sgpr34
	s_branch .LBB749_951
.LBB749_954:
	s_or_b32 exec_lo, exec_lo, s29
	s_xor_b32 s7, s30, -1
	s_and_not1_b32 s8, s26, exec_lo
	s_and_b32 s7, s7, exec_lo
	s_delay_alu instid0(SALU_CYCLE_1)
	s_or_b32 s26, s8, s7
.LBB749_955:
	s_or_b32 exec_lo, exec_lo, s28
	s_delay_alu instid0(SALU_CYCLE_1)
	s_or_not1_b32 s26, s26, exec_lo
.LBB749_956:
	s_or_b32 exec_lo, exec_lo, s27
	v_cndmask_b32_e64 v8, v28, v29, s26
	v_cndmask_b32_e64 v9, v48, v47, s26
	s_mov_b32 s27, -1
	s_mov_b32 s28, -1
	s_mov_b32 s29, exec_lo
	v_add_nc_u32_e32 v8, 1, v8
	s_delay_alu instid0(VALU_DEP_1) | instskip(NEXT) | instid1(VALU_DEP_1)
	v_add_min_u32_e64 v9, v9, -1, v8
	v_lshl_add_u32 v9, v9, 3, v43
	ds_load_b64 v[26:27], v9
	v_cndmask_b32_e64 v32, v8, v28, s26
	s_wait_dscnt 0x0
	v_dual_cndmask_b32 v33, v29, v8, s26 :: v_dual_cndmask_b32 v9, v27, v7, s26
	v_dual_cndmask_b32 v8, v26, v6, s26 :: v_dual_cndmask_b32 v27, v25, v27, s26
	v_cndmask_b32_e64 v26, v24, v26, s26
	v_cmpx_lt_u32_e64 v32, v48
	s_cbranch_execz .LBB749_964
; %bb.957:
	v_cmp_lt_u32_e64 s28, v33, v47
	s_and_b32 s7, s28, s22
	s_delay_alu instid0(SALU_CYCLE_1)
	s_and_saveexec_b32 s30, s7
	s_cbranch_execz .LBB749_963
; %bb.958:
	v_mul_u64_e32 v[28:29], s[12:13], v[8:9]
	v_mul_u64_e32 v[30:31], s[12:13], v[26:27]
	s_mov_b32 s31, 0
	s_mov_b64 s[8:9], s[12:13]
                                        ; implicit-def: $sgpr33
                                        ; implicit-def: $sgpr34
                                        ; implicit-def: $sgpr35
                                        ; implicit-def: $sgpr36
	s_delay_alu instid0(VALU_DEP_2) | instskip(NEXT) | instid1(VALU_DEP_2)
	v_lshl_add_u64 v[28:29], v[28:29], 3, s[14:15]
	v_lshl_add_u64 v[30:31], v[30:31], 3, s[14:15]
	s_branch .LBB749_960
.LBB749_959:                            ;   in Loop: Header=BB749_960 Depth=1
	s_or_b32 exec_lo, exec_lo, s7
	s_delay_alu instid0(SALU_CYCLE_1) | instskip(NEXT) | instid1(SALU_CYCLE_1)
	s_and_b32 s7, exec_lo, s34
	s_or_b32 s31, s7, s31
	s_and_not1_b32 s7, s36, exec_lo
	s_and_b32 s36, s37, exec_lo
	s_and_not1_b32 s33, s33, exec_lo
	s_and_b32 s37, s35, exec_lo
	s_or_b32 s36, s7, s36
	s_or_b32 s33, s33, s37
	s_and_not1_b32 exec_lo, exec_lo, s31
	s_cbranch_execz .LBB749_962
.LBB749_960:                            ; =>This Inner Loop Header: Depth=1
	global_load_b64 v[34:35], v[28:29], off
	global_load_b64 v[50:51], v[30:31], off
	s_and_not1_b32 s35, s35, exec_lo
	s_or_b32 s34, s34, exec_lo
	s_wait_loadcnt 0x0
	v_cmp_ngt_f64_e32 vcc_lo, v[34:35], v[50:51]
	v_cmp_lt_f64_e64 s7, v[34:35], v[50:51]
	s_and_b32 s37, vcc_lo, s36
	s_xor_b32 s39, s7, vcc_lo
	s_or_b32 s37, s7, s37
	s_delay_alu instid0(SALU_CYCLE_1) | instskip(NEXT) | instid1(SALU_CYCLE_1)
	s_and_b32 s38, s37, exec_lo
	s_or_b32 s35, s35, s38
	s_and_saveexec_b32 s7, s39
	s_cbranch_execz .LBB749_959
; %bb.961:                              ;   in Loop: Header=BB749_960 Depth=1
	s_add_nc_u64 s[8:9], s[8:9], -1
	v_add_nc_u64_e32 v[28:29], 8, v[28:29]
	s_cmp_eq_u64 s[8:9], 0
	v_add_nc_u64_e32 v[30:31], 8, v[30:31]
	s_cselect_b32 s36, -1, 0
	s_and_not1_b32 s34, s34, exec_lo
	s_and_b32 s36, s36, exec_lo
	s_and_not1_b32 s35, s35, exec_lo
	s_or_b32 s34, s34, s36
                                        ; implicit-def: $sgpr36
	s_branch .LBB749_959
.LBB749_962:
	s_or_b32 exec_lo, exec_lo, s31
	s_xor_b32 s7, s33, -1
	s_and_not1_b32 s8, s28, exec_lo
	s_and_b32 s7, s7, exec_lo
	s_delay_alu instid0(SALU_CYCLE_1)
	s_or_b32 s28, s8, s7
.LBB749_963:
	s_or_b32 exec_lo, exec_lo, s30
	s_delay_alu instid0(SALU_CYCLE_1)
	s_or_not1_b32 s28, s28, exec_lo
.LBB749_964:
	s_or_b32 exec_lo, exec_lo, s29
	v_cndmask_b32_e64 v28, v32, v33, s28
	v_cndmask_b32_e64 v29, v48, v47, s28
	s_mov_b32 s29, exec_lo
	s_delay_alu instid0(VALU_DEP_2) | instskip(NEXT) | instid1(VALU_DEP_1)
	v_add_nc_u32_e32 v28, 1, v28
	v_add_min_u32_e64 v29, v29, -1, v28
	s_delay_alu instid0(VALU_DEP_1)
	v_lshl_add_u32 v29, v29, 3, v43
	ds_load_b64 v[30:31], v29
	v_cndmask_b32_e64 v50, v28, v32, s28
	s_wait_dscnt 0x0
	v_dual_cndmask_b32 v49, v33, v28, s28 :: v_dual_cndmask_b32 v29, v31, v9, s28
	v_dual_cndmask_b32 v28, v30, v8, s28 :: v_dual_cndmask_b32 v31, v27, v31, s28
	v_cndmask_b32_e64 v30, v26, v30, s28
	v_cmpx_lt_u32_e64 v50, v48
	s_cbranch_execz .LBB749_972
; %bb.965:
	v_cmp_lt_u32_e64 s27, v49, v47
	s_and_b32 s7, s27, s22
	s_delay_alu instid0(SALU_CYCLE_1)
	s_and_saveexec_b32 s30, s7
	s_cbranch_execz .LBB749_971
; %bb.966:
	v_mul_u64_e32 v[32:33], s[12:13], v[28:29]
	v_mul_u64_e32 v[34:35], s[12:13], v[30:31]
	s_mov_b32 s31, 0
	s_mov_b64 s[8:9], s[12:13]
                                        ; implicit-def: $sgpr33
                                        ; implicit-def: $sgpr34
                                        ; implicit-def: $sgpr35
                                        ; implicit-def: $sgpr36
	s_delay_alu instid0(VALU_DEP_2) | instskip(NEXT) | instid1(VALU_DEP_2)
	v_lshl_add_u64 v[32:33], v[32:33], 3, s[14:15]
	v_lshl_add_u64 v[34:35], v[34:35], 3, s[14:15]
	s_branch .LBB749_968
.LBB749_967:                            ;   in Loop: Header=BB749_968 Depth=1
	s_or_b32 exec_lo, exec_lo, s7
	s_delay_alu instid0(SALU_CYCLE_1) | instskip(NEXT) | instid1(SALU_CYCLE_1)
	s_and_b32 s7, exec_lo, s34
	s_or_b32 s31, s7, s31
	s_and_not1_b32 s7, s36, exec_lo
	s_and_b32 s36, s37, exec_lo
	s_and_not1_b32 s33, s33, exec_lo
	s_and_b32 s37, s35, exec_lo
	s_or_b32 s36, s7, s36
	s_or_b32 s33, s33, s37
	s_and_not1_b32 exec_lo, exec_lo, s31
	s_cbranch_execz .LBB749_970
.LBB749_968:                            ; =>This Inner Loop Header: Depth=1
	global_load_b64 v[52:53], v[32:33], off
	global_load_b64 v[54:55], v[34:35], off
	s_and_not1_b32 s35, s35, exec_lo
	s_or_b32 s34, s34, exec_lo
	s_wait_loadcnt 0x0
	v_cmp_ngt_f64_e32 vcc_lo, v[52:53], v[54:55]
	v_cmp_lt_f64_e64 s7, v[52:53], v[54:55]
	s_and_b32 s37, vcc_lo, s36
	s_xor_b32 s39, s7, vcc_lo
	s_or_b32 s37, s7, s37
	s_delay_alu instid0(SALU_CYCLE_1) | instskip(NEXT) | instid1(SALU_CYCLE_1)
	s_and_b32 s38, s37, exec_lo
	s_or_b32 s35, s35, s38
	s_and_saveexec_b32 s7, s39
	s_cbranch_execz .LBB749_967
; %bb.969:                              ;   in Loop: Header=BB749_968 Depth=1
	s_add_nc_u64 s[8:9], s[8:9], -1
	v_add_nc_u64_e32 v[32:33], 8, v[32:33]
	s_cmp_eq_u64 s[8:9], 0
	v_add_nc_u64_e32 v[34:35], 8, v[34:35]
	s_cselect_b32 s36, -1, 0
	s_and_not1_b32 s34, s34, exec_lo
	s_and_b32 s36, s36, exec_lo
	s_and_not1_b32 s35, s35, exec_lo
	s_or_b32 s34, s34, s36
                                        ; implicit-def: $sgpr36
	s_branch .LBB749_967
.LBB749_970:
	s_or_b32 exec_lo, exec_lo, s31
	s_xor_b32 s7, s33, -1
	s_and_not1_b32 s8, s27, exec_lo
	s_and_b32 s7, s7, exec_lo
	s_delay_alu instid0(SALU_CYCLE_1)
	s_or_b32 s27, s8, s7
.LBB749_971:
	s_or_b32 exec_lo, exec_lo, s30
	s_delay_alu instid0(SALU_CYCLE_1)
	s_or_not1_b32 s27, s27, exec_lo
.LBB749_972:
	s_or_b32 exec_lo, exec_lo, s29
	v_dual_cndmask_b32 v32, v50, v49, s27 :: v_dual_cndmask_b32 v33, v48, v47, s27
	v_dual_cndmask_b32 v8, v8, v26, s28 :: v_dual_cndmask_b32 v7, v7, v25, s26
	;; [unrolled: 1-line block ×3, first 2 shown]
	s_delay_alu instid0(VALU_DEP_3) | instskip(SKIP_2) | instid1(VALU_DEP_3)
	v_dual_add_nc_u32 v34, 1, v32 :: v_dual_cndmask_b32 v9, v9, v27, s28
	v_dual_cndmask_b32 v12, v12, v22, s25 :: v_dual_cndmask_b32 v11, v11, v17, s24
	v_dual_cndmask_b32 v10, v10, v16, s24 :: v_dual_cndmask_b32 v17, v5, v15, s23
	v_add_min_u32_e64 v32, v33, -1, v34
	v_dual_cndmask_b32 v16, v4, v14, s23 :: v_dual_cndmask_b32 v15, v3, v1, s17
	v_dual_cndmask_b32 v14, v2, v0, s17 :: v_dual_cndmask_b32 v3, v29, v31, s27
	s_delay_alu instid0(VALU_DEP_3)
	v_lshl_add_u32 v32, v32, 3, v43
	s_mov_b32 s17, exec_lo
	ds_load_b64 v[32:33], v32
	v_cndmask_b32_e64 v0, v34, v50, s27
	s_wait_dscnt 0x0
	v_dual_cndmask_b32 v2, v28, v30, s27 :: v_dual_cndmask_b32 v4, v30, v32, s27
	v_cndmask_b32_e64 v5, v31, v33, s27
	s_delay_alu instid0(VALU_DEP_3)
	v_cmpx_lt_u32_e64 v0, v48
	s_cbranch_execz .LBB749_980
; %bb.973:
	v_dual_cndmask_b32 v22, v49, v34, s27 :: v_dual_cndmask_b32 v0, v32, v28, s27
	s_delay_alu instid0(VALU_DEP_1) | instskip(NEXT) | instid1(VALU_DEP_2)
	v_cmp_ge_u32_e32 vcc_lo, v22, v47
	v_dual_cndmask_b32 v1, v33, v29, s27 :: v_dual_cndmask_b32 v22, v4, v0, vcc_lo
	s_delay_alu instid0(VALU_DEP_1) | instskip(SKIP_1) | instid1(SALU_CYCLE_1)
	v_cndmask_b32_e32 v23, v5, v1, vcc_lo
	s_nor_b32 s7, vcc_lo, s19
	s_and_saveexec_b32 s23, s7
	s_cbranch_execz .LBB749_979
; %bb.974:
	v_mul_u64_e32 v[22:23], s[12:13], v[0:1]
	v_mul_u64_e32 v[24:25], s[12:13], v[4:5]
	s_mov_b32 s24, 0
	s_mov_b64 s[8:9], s[12:13]
                                        ; implicit-def: $sgpr25
                                        ; implicit-def: $sgpr26
                                        ; implicit-def: $sgpr27
                                        ; implicit-def: $sgpr28
	s_delay_alu instid0(VALU_DEP_2) | instskip(NEXT) | instid1(VALU_DEP_2)
	v_lshl_add_u64 v[22:23], v[22:23], 3, s[14:15]
	v_lshl_add_u64 v[24:25], v[24:25], 3, s[14:15]
	s_branch .LBB749_976
.LBB749_975:                            ;   in Loop: Header=BB749_976 Depth=1
	s_or_b32 exec_lo, exec_lo, s7
	s_delay_alu instid0(SALU_CYCLE_1) | instskip(NEXT) | instid1(SALU_CYCLE_1)
	s_and_b32 s7, exec_lo, s26
	s_or_b32 s24, s7, s24
	s_and_not1_b32 s7, s28, exec_lo
	s_and_b32 s28, s29, exec_lo
	s_and_not1_b32 s25, s25, exec_lo
	s_and_b32 s29, s27, exec_lo
	s_or_b32 s28, s7, s28
	s_or_b32 s25, s25, s29
	s_and_not1_b32 exec_lo, exec_lo, s24
	s_cbranch_execz .LBB749_978
.LBB749_976:                            ; =>This Inner Loop Header: Depth=1
	global_load_b64 v[26:27], v[22:23], off
	global_load_b64 v[28:29], v[24:25], off
	s_and_not1_b32 s27, s27, exec_lo
	s_or_b32 s26, s26, exec_lo
	s_wait_loadcnt 0x0
	v_cmp_ngt_f64_e32 vcc_lo, v[26:27], v[28:29]
	v_cmp_lt_f64_e64 s7, v[26:27], v[28:29]
	s_and_b32 s29, vcc_lo, s28
	s_xor_b32 s31, s7, vcc_lo
	s_or_b32 s29, s7, s29
	s_delay_alu instid0(SALU_CYCLE_1) | instskip(NEXT) | instid1(SALU_CYCLE_1)
	s_and_b32 s30, s29, exec_lo
	s_or_b32 s27, s27, s30
	s_and_saveexec_b32 s7, s31
	s_cbranch_execz .LBB749_975
; %bb.977:                              ;   in Loop: Header=BB749_976 Depth=1
	s_add_nc_u64 s[8:9], s[8:9], -1
	v_add_nc_u64_e32 v[22:23], 8, v[22:23]
	s_cmp_eq_u64 s[8:9], 0
	v_add_nc_u64_e32 v[24:25], 8, v[24:25]
	s_cselect_b32 s28, -1, 0
	s_and_not1_b32 s26, s26, exec_lo
	s_and_b32 s28, s28, exec_lo
	s_and_not1_b32 s27, s27, exec_lo
	s_or_b32 s26, s26, s28
                                        ; implicit-def: $sgpr28
	s_branch .LBB749_975
.LBB749_978:
	s_or_b32 exec_lo, exec_lo, s24
	v_dual_cndmask_b32 v23, v5, v1, s25 :: v_dual_cndmask_b32 v22, v4, v0, s25
.LBB749_979:
	s_or_b32 exec_lo, exec_lo, s23
	s_delay_alu instid0(VALU_DEP_1)
	v_mov_b64_e32 v[4:5], v[22:23]
.LBB749_980:
	s_or_b32 exec_lo, exec_lo, s17
.LBB749_981:
	s_delay_alu instid0(SALU_CYCLE_1)
	s_or_b32 exec_lo, exec_lo, s16
	v_and_b32_e32 v26, 0xc0, v45
	s_mov_b32 s23, exec_lo
	; wave barrier
	ds_store_b128 v46, v[14:17]
	ds_store_b128 v46, v[10:13] offset:16
	v_or_b32_e32 v0, 32, v26
	v_lshl_add_u32 v25, v26, 3, v43
	ds_store_b128 v46, v[6:9] offset:32
	ds_store_b128 v46, v[2:5] offset:48
	; wave barrier
	v_min_u32_e32 v47, v44, v0
	v_and_b32_e32 v0, 56, v45
	s_delay_alu instid0(VALU_DEP_2) | instskip(NEXT) | instid1(VALU_DEP_2)
	v_add_min_u32_e64 v48, v47, 32, v44
	v_min_u32_e32 v27, v44, v0
	s_delay_alu instid0(VALU_DEP_2) | instskip(NEXT) | instid1(VALU_DEP_1)
	v_dual_sub_nc_u32 v1, v47, v26 :: v_dual_sub_nc_u32 v0, v48, v47
	v_min_u32_e32 v28, v27, v1
	s_delay_alu instid0(VALU_DEP_2) | instskip(NEXT) | instid1(VALU_DEP_1)
	v_sub_nc_u32_e64 v24, v27, v0 clamp
	v_cmpx_lt_u32_e64 v24, v28
	s_cbranch_execz .LBB749_991
; %bb.982:
	v_lshlrev_b32_e32 v0, 3, v47
	v_lshlrev_b32_e32 v1, 3, v27
	s_lshl_b64 s[8:9], s[12:13], 3
	s_mov_b32 s24, 0
	s_delay_alu instid0(VALU_DEP_1)
	v_add3_u32 v29, v43, v0, v1
	s_branch .LBB749_985
.LBB749_983:                            ;   in Loop: Header=BB749_985 Depth=1
	s_or_b32 exec_lo, exec_lo, s26
.LBB749_984:                            ;   in Loop: Header=BB749_985 Depth=1
	s_delay_alu instid0(VALU_DEP_1) | instskip(NEXT) | instid1(VALU_DEP_1)
	v_dual_add_nc_u32 v0, 1, v30 :: v_dual_cndmask_b32 v28, v28, v30, s25
	v_cndmask_b32_e64 v24, v0, v24, s25
	s_delay_alu instid0(VALU_DEP_1) | instskip(SKIP_1) | instid1(SALU_CYCLE_1)
	v_cmp_ge_u32_e32 vcc_lo, v24, v28
	s_or_b32 s24, vcc_lo, s24
	s_and_not1_b32 exec_lo, exec_lo, s24
	s_cbranch_execz .LBB749_990
.LBB749_985:                            ; =>This Loop Header: Depth=1
                                        ;     Child Loop BB749_988 Depth 2
	v_add_nc_u32_e32 v0, v28, v24
	s_and_not1_b32 vcc_lo, exec_lo, s18
	s_mov_b32 s25, 0
	s_delay_alu instid0(VALU_DEP_1)
	v_lshrrev_b32_e32 v30, 1, v0
	s_cbranch_vccnz .LBB749_984
; %bb.986:                              ;   in Loop: Header=BB749_985 Depth=1
	s_delay_alu instid0(VALU_DEP_1) | instskip(SKIP_3) | instid1(VALU_DEP_2)
	v_not_b32_e32 v0, v30
	v_lshl_add_u32 v1, v30, 3, v25
	s_mov_b32 s26, 0
	s_mov_b64 s[16:17], s[12:13]
                                        ; implicit-def: $sgpr25
                                        ; implicit-def: $sgpr27
                                        ; implicit-def: $sgpr28
                                        ; implicit-def: $sgpr29
	v_lshl_add_u32 v0, v0, 3, v29
	ds_load_b64 v[32:33], v0
	ds_load_b64 v[34:35], v1
	s_wait_dscnt 0x1
	v_mad_nc_u64_u32 v[0:1], s8, v32, s[14:15]
	s_wait_dscnt 0x0
	v_mad_nc_u64_u32 v[22:23], s8, v34, s[14:15]
	s_delay_alu instid0(VALU_DEP_2) | instskip(NEXT) | instid1(VALU_DEP_2)
	v_mad_u32 v1, s9, v32, v1
	v_mad_u32 v23, s9, v34, v23
	s_delay_alu instid0(VALU_DEP_2) | instskip(NEXT) | instid1(VALU_DEP_2)
	v_mad_u32 v1, s8, v33, v1
	v_mad_u32 v23, s8, v35, v23
	s_branch .LBB749_988
.LBB749_987:                            ;   in Loop: Header=BB749_988 Depth=2
	s_or_b32 exec_lo, exec_lo, s7
	s_delay_alu instid0(SALU_CYCLE_1) | instskip(NEXT) | instid1(SALU_CYCLE_1)
	s_and_b32 s7, exec_lo, s27
	s_or_b32 s26, s7, s26
	s_and_not1_b32 s7, s29, exec_lo
	s_and_b32 s29, s30, exec_lo
	s_and_not1_b32 s25, s25, exec_lo
	s_and_b32 s30, s28, exec_lo
	s_or_b32 s29, s7, s29
	s_or_b32 s25, s25, s30
	s_and_not1_b32 exec_lo, exec_lo, s26
	s_cbranch_execz .LBB749_983
.LBB749_988:                            ;   Parent Loop BB749_985 Depth=1
                                        ; =>  This Inner Loop Header: Depth=2
	global_load_b64 v[32:33], v[0:1], off
	global_load_b64 v[34:35], v[22:23], off
	s_and_not1_b32 s28, s28, exec_lo
	s_or_b32 s27, s27, exec_lo
	s_wait_loadcnt 0x0
	v_cmp_ngt_f64_e32 vcc_lo, v[32:33], v[34:35]
	v_cmp_lt_f64_e64 s7, v[32:33], v[34:35]
	s_and_b32 s30, vcc_lo, s29
	s_xor_b32 s33, s7, vcc_lo
	s_or_b32 s30, s7, s30
	s_delay_alu instid0(SALU_CYCLE_1) | instskip(NEXT) | instid1(SALU_CYCLE_1)
	s_and_b32 s31, s30, exec_lo
	s_or_b32 s28, s28, s31
	s_and_saveexec_b32 s7, s33
	s_cbranch_execz .LBB749_987
; %bb.989:                              ;   in Loop: Header=BB749_988 Depth=2
	s_add_nc_u64 s[16:17], s[16:17], -1
	v_add_nc_u64_e32 v[0:1], 8, v[0:1]
	s_cmp_eq_u64 s[16:17], 0
	v_add_nc_u64_e32 v[22:23], 8, v[22:23]
	s_cselect_b32 s29, -1, 0
	s_and_not1_b32 s27, s27, exec_lo
	s_and_b32 s29, s29, exec_lo
	s_and_not1_b32 s28, s28, exec_lo
	s_or_b32 s27, s27, s29
                                        ; implicit-def: $sgpr29
	s_branch .LBB749_987
.LBB749_990:
	s_or_b32 exec_lo, exec_lo, s24
.LBB749_991:
	s_delay_alu instid0(SALU_CYCLE_1) | instskip(SKIP_1) | instid1(VALU_DEP_1)
	s_or_b32 exec_lo, exec_lo, s23
	v_dual_add_nc_u32 v0, v47, v27 :: v_dual_add_nc_u32 v22, v24, v26
	v_sub_nc_u32_e32 v23, v0, v24
	s_delay_alu instid0(VALU_DEP_2) | instskip(NEXT) | instid1(VALU_DEP_2)
	v_cmp_le_u32_e32 vcc_lo, v22, v47
	v_cmp_le_u32_e64 s7, v23, v48
	s_or_b32 s7, vcc_lo, s7
	s_delay_alu instid0(SALU_CYCLE_1)
	s_and_saveexec_b32 s16, s7
	s_cbranch_execz .LBB749_1059
; %bb.992:
	s_mov_b32 s8, exec_lo
	v_cmp_ge_u32_e32 vcc_lo, v22, v47
                                        ; implicit-def: $vgpr0_vgpr1
	v_cmpx_lt_u32_e64 v22, v47
; %bb.993:
	v_lshl_add_u32 v0, v24, 3, v25
	ds_load_b64 v[0:1], v0
; %bb.994:
	s_or_b32 exec_lo, exec_lo, s8
	v_cmp_ge_u32_e64 s7, v23, v48
	s_mov_b32 s9, exec_lo
                                        ; implicit-def: $vgpr2_vgpr3
	v_cmpx_lt_u32_e64 v23, v48
; %bb.995:
	v_lshl_add_u32 v2, v23, 3, v43
	ds_load_b64 v[2:3], v2
; %bb.996:
	s_or_b32 exec_lo, exec_lo, s9
	s_or_b32 s8, vcc_lo, s7
	s_xor_b32 s9, vcc_lo, -1
	s_nor_b32 s8, s8, s19
	s_or_b32 s17, s7, s9
	s_and_saveexec_b32 s23, s8
	s_cbranch_execz .LBB749_1002
; %bb.997:
	s_wait_dscnt 0x0
	v_mul_u64_e32 v[4:5], s[12:13], v[2:3]
	v_mul_u64_e32 v[6:7], s[12:13], v[0:1]
	s_mov_b32 s24, 0
	s_mov_b64 s[8:9], s[12:13]
                                        ; implicit-def: $sgpr25
                                        ; implicit-def: $sgpr26
                                        ; implicit-def: $sgpr27
                                        ; implicit-def: $sgpr28
	s_delay_alu instid0(VALU_DEP_2) | instskip(NEXT) | instid1(VALU_DEP_2)
	v_lshl_add_u64 v[4:5], v[4:5], 3, s[14:15]
	v_lshl_add_u64 v[6:7], v[6:7], 3, s[14:15]
	s_branch .LBB749_999
.LBB749_998:                            ;   in Loop: Header=BB749_999 Depth=1
	s_or_b32 exec_lo, exec_lo, s7
	s_delay_alu instid0(SALU_CYCLE_1) | instskip(NEXT) | instid1(SALU_CYCLE_1)
	s_and_b32 s7, exec_lo, s26
	s_or_b32 s24, s7, s24
	s_and_not1_b32 s7, s28, exec_lo
	s_and_b32 s28, s29, exec_lo
	s_and_not1_b32 s25, s25, exec_lo
	s_and_b32 s29, s27, exec_lo
	s_or_b32 s28, s7, s28
	s_or_b32 s25, s25, s29
	s_and_not1_b32 exec_lo, exec_lo, s24
	s_cbranch_execz .LBB749_1001
.LBB749_999:                            ; =>This Inner Loop Header: Depth=1
	global_load_b64 v[8:9], v[4:5], off
	global_load_b64 v[10:11], v[6:7], off
	s_and_not1_b32 s27, s27, exec_lo
	s_or_b32 s26, s26, exec_lo
	s_wait_loadcnt 0x0
	v_cmp_ngt_f64_e32 vcc_lo, v[8:9], v[10:11]
	v_cmp_lt_f64_e64 s7, v[8:9], v[10:11]
	s_and_b32 s29, vcc_lo, s28
	s_xor_b32 s31, s7, vcc_lo
	s_or_b32 s29, s7, s29
	s_delay_alu instid0(SALU_CYCLE_1) | instskip(NEXT) | instid1(SALU_CYCLE_1)
	s_and_b32 s30, s29, exec_lo
	s_or_b32 s27, s27, s30
	s_and_saveexec_b32 s7, s31
	s_cbranch_execz .LBB749_998
; %bb.1000:                             ;   in Loop: Header=BB749_999 Depth=1
	s_add_nc_u64 s[8:9], s[8:9], -1
	v_add_nc_u64_e32 v[4:5], 8, v[4:5]
	s_cmp_eq_u64 s[8:9], 0
	v_add_nc_u64_e32 v[6:7], 8, v[6:7]
	s_cselect_b32 s28, -1, 0
	s_and_not1_b32 s26, s26, exec_lo
	s_and_b32 s28, s28, exec_lo
	s_and_not1_b32 s27, s27, exec_lo
	s_or_b32 s26, s26, s28
                                        ; implicit-def: $sgpr28
	s_branch .LBB749_998
.LBB749_1001:
	s_or_b32 exec_lo, exec_lo, s24
	s_xor_b32 s7, s25, -1
	s_and_not1_b32 s8, s17, exec_lo
	s_and_b32 s7, s7, exec_lo
	s_delay_alu instid0(SALU_CYCLE_1)
	s_or_b32 s17, s8, s7
.LBB749_1002:
	s_or_b32 exec_lo, exec_lo, s23
	v_dual_cndmask_b32 v4, v23, v22, s17 :: v_dual_cndmask_b32 v5, v48, v47, s17
	s_mov_b32 s24, -1
	s_mov_b32 s23, -1
	s_mov_b32 s25, exec_lo
	s_delay_alu instid0(VALU_DEP_1) | instskip(NEXT) | instid1(VALU_DEP_1)
	v_add_nc_u32_e32 v4, 1, v4
	v_add_min_u32_e64 v5, v5, -1, v4
	s_delay_alu instid0(VALU_DEP_1)
	v_lshl_add_u32 v5, v5, 3, v43
	ds_load_b64 v[6:7], v5
	s_wait_dscnt 0x0
	v_cndmask_b32_e64 v5, v7, v3, s17
	v_dual_cndmask_b32 v10, v4, v23, s17 :: v_dual_cndmask_b32 v11, v22, v4, s17
	v_dual_cndmask_b32 v4, v6, v2, s17 :: v_dual_cndmask_b32 v15, v1, v7, s17
	v_cndmask_b32_e64 v14, v0, v6, s17
	s_delay_alu instid0(VALU_DEP_3)
	v_cmpx_lt_u32_e64 v10, v48
	s_cbranch_execz .LBB749_1010
; %bb.1003:
	v_cmp_lt_u32_e64 s23, v11, v47
	s_and_b32 s7, s23, s22
	s_delay_alu instid0(SALU_CYCLE_1)
	s_and_saveexec_b32 s26, s7
	s_cbranch_execz .LBB749_1009
; %bb.1004:
	v_mul_u64_e32 v[6:7], s[12:13], v[4:5]
	v_mul_u64_e32 v[8:9], s[12:13], v[14:15]
	s_mov_b32 s27, 0
	s_mov_b64 s[8:9], s[12:13]
                                        ; implicit-def: $sgpr28
                                        ; implicit-def: $sgpr29
                                        ; implicit-def: $sgpr30
                                        ; implicit-def: $sgpr31
	s_delay_alu instid0(VALU_DEP_2) | instskip(NEXT) | instid1(VALU_DEP_2)
	v_lshl_add_u64 v[6:7], v[6:7], 3, s[14:15]
	v_lshl_add_u64 v[8:9], v[8:9], 3, s[14:15]
	s_branch .LBB749_1006
.LBB749_1005:                           ;   in Loop: Header=BB749_1006 Depth=1
	s_or_b32 exec_lo, exec_lo, s7
	s_delay_alu instid0(SALU_CYCLE_1) | instskip(NEXT) | instid1(SALU_CYCLE_1)
	s_and_b32 s7, exec_lo, s29
	s_or_b32 s27, s7, s27
	s_and_not1_b32 s7, s31, exec_lo
	s_and_b32 s31, s33, exec_lo
	s_and_not1_b32 s28, s28, exec_lo
	s_and_b32 s33, s30, exec_lo
	s_or_b32 s31, s7, s31
	s_or_b32 s28, s28, s33
	s_and_not1_b32 exec_lo, exec_lo, s27
	s_cbranch_execz .LBB749_1008
.LBB749_1006:                           ; =>This Inner Loop Header: Depth=1
	global_load_b64 v[12:13], v[6:7], off
	global_load_b64 v[16:17], v[8:9], off
	s_and_not1_b32 s30, s30, exec_lo
	s_or_b32 s29, s29, exec_lo
	s_wait_loadcnt 0x0
	v_cmp_ngt_f64_e32 vcc_lo, v[12:13], v[16:17]
	v_cmp_lt_f64_e64 s7, v[12:13], v[16:17]
	s_and_b32 s33, vcc_lo, s31
	s_xor_b32 s35, s7, vcc_lo
	s_or_b32 s33, s7, s33
	s_delay_alu instid0(SALU_CYCLE_1) | instskip(NEXT) | instid1(SALU_CYCLE_1)
	s_and_b32 s34, s33, exec_lo
	s_or_b32 s30, s30, s34
	s_and_saveexec_b32 s7, s35
	s_cbranch_execz .LBB749_1005
; %bb.1007:                             ;   in Loop: Header=BB749_1006 Depth=1
	s_add_nc_u64 s[8:9], s[8:9], -1
	v_add_nc_u64_e32 v[6:7], 8, v[6:7]
	s_cmp_eq_u64 s[8:9], 0
	v_add_nc_u64_e32 v[8:9], 8, v[8:9]
	s_cselect_b32 s31, -1, 0
	s_and_not1_b32 s29, s29, exec_lo
	s_and_b32 s31, s31, exec_lo
	s_and_not1_b32 s30, s30, exec_lo
	s_or_b32 s29, s29, s31
                                        ; implicit-def: $sgpr31
	s_branch .LBB749_1005
.LBB749_1008:
	s_or_b32 exec_lo, exec_lo, s27
	s_xor_b32 s7, s28, -1
	s_and_not1_b32 s8, s23, exec_lo
	s_and_b32 s7, s7, exec_lo
	s_delay_alu instid0(SALU_CYCLE_1)
	s_or_b32 s23, s8, s7
.LBB749_1009:
	s_or_b32 exec_lo, exec_lo, s26
	s_delay_alu instid0(SALU_CYCLE_1)
	s_or_not1_b32 s23, s23, exec_lo
.LBB749_1010:
	s_or_b32 exec_lo, exec_lo, s25
	v_cndmask_b32_e64 v6, v10, v11, s23
	v_cndmask_b32_e64 v7, v48, v47, s23
	s_mov_b32 s25, exec_lo
	s_delay_alu instid0(VALU_DEP_2) | instskip(NEXT) | instid1(VALU_DEP_1)
	v_add_nc_u32_e32 v8, 1, v6
	v_add_min_u32_e64 v6, v7, -1, v8
	v_cndmask_b32_e64 v12, v8, v10, s23
	s_delay_alu instid0(VALU_DEP_2)
	v_lshl_add_u32 v6, v6, 3, v43
	ds_load_b64 v[6:7], v6
	s_wait_dscnt 0x0
	v_dual_cndmask_b32 v13, v11, v8, s23 :: v_dual_cndmask_b32 v16, v14, v6, s23
	v_dual_cndmask_b32 v11, v7, v5, s23 :: v_dual_cndmask_b32 v10, v6, v4, s23
	v_cndmask_b32_e64 v17, v15, v7, s23
	v_cmpx_lt_u32_e64 v12, v48
	s_cbranch_execz .LBB749_1018
; %bb.1011:
	v_cmp_lt_u32_e64 s24, v13, v47
	s_and_b32 s7, s24, s22
	s_delay_alu instid0(SALU_CYCLE_1)
	s_and_saveexec_b32 s26, s7
	s_cbranch_execz .LBB749_1017
; %bb.1012:
	v_mul_u64_e32 v[6:7], s[12:13], v[10:11]
	v_mul_u64_e32 v[8:9], s[12:13], v[16:17]
	s_mov_b32 s27, 0
	s_mov_b64 s[8:9], s[12:13]
                                        ; implicit-def: $sgpr28
                                        ; implicit-def: $sgpr29
                                        ; implicit-def: $sgpr30
                                        ; implicit-def: $sgpr31
	s_delay_alu instid0(VALU_DEP_2) | instskip(NEXT) | instid1(VALU_DEP_2)
	v_lshl_add_u64 v[6:7], v[6:7], 3, s[14:15]
	v_lshl_add_u64 v[8:9], v[8:9], 3, s[14:15]
	s_branch .LBB749_1014
.LBB749_1013:                           ;   in Loop: Header=BB749_1014 Depth=1
	s_or_b32 exec_lo, exec_lo, s7
	s_delay_alu instid0(SALU_CYCLE_1) | instskip(NEXT) | instid1(SALU_CYCLE_1)
	s_and_b32 s7, exec_lo, s29
	s_or_b32 s27, s7, s27
	s_and_not1_b32 s7, s31, exec_lo
	s_and_b32 s31, s33, exec_lo
	s_and_not1_b32 s28, s28, exec_lo
	s_and_b32 s33, s30, exec_lo
	s_or_b32 s31, s7, s31
	s_or_b32 s28, s28, s33
	s_and_not1_b32 exec_lo, exec_lo, s27
	s_cbranch_execz .LBB749_1016
.LBB749_1014:                           ; =>This Inner Loop Header: Depth=1
	global_load_b64 v[22:23], v[6:7], off
	global_load_b64 v[24:25], v[8:9], off
	s_and_not1_b32 s30, s30, exec_lo
	s_or_b32 s29, s29, exec_lo
	s_wait_loadcnt 0x0
	v_cmp_ngt_f64_e32 vcc_lo, v[22:23], v[24:25]
	v_cmp_lt_f64_e64 s7, v[22:23], v[24:25]
	s_and_b32 s33, vcc_lo, s31
	s_xor_b32 s35, s7, vcc_lo
	s_or_b32 s33, s7, s33
	s_delay_alu instid0(SALU_CYCLE_1) | instskip(NEXT) | instid1(SALU_CYCLE_1)
	s_and_b32 s34, s33, exec_lo
	s_or_b32 s30, s30, s34
	s_and_saveexec_b32 s7, s35
	s_cbranch_execz .LBB749_1013
; %bb.1015:                             ;   in Loop: Header=BB749_1014 Depth=1
	s_add_nc_u64 s[8:9], s[8:9], -1
	v_add_nc_u64_e32 v[6:7], 8, v[6:7]
	s_cmp_eq_u64 s[8:9], 0
	v_add_nc_u64_e32 v[8:9], 8, v[8:9]
	s_cselect_b32 s31, -1, 0
	s_and_not1_b32 s29, s29, exec_lo
	s_and_b32 s31, s31, exec_lo
	s_and_not1_b32 s30, s30, exec_lo
	s_or_b32 s29, s29, s31
                                        ; implicit-def: $sgpr31
	s_branch .LBB749_1013
.LBB749_1016:
	s_or_b32 exec_lo, exec_lo, s27
	s_xor_b32 s7, s28, -1
	s_and_not1_b32 s8, s24, exec_lo
	s_and_b32 s7, s7, exec_lo
	s_delay_alu instid0(SALU_CYCLE_1)
	s_or_b32 s24, s8, s7
.LBB749_1017:
	s_or_b32 exec_lo, exec_lo, s26
	s_delay_alu instid0(SALU_CYCLE_1)
	s_or_not1_b32 s24, s24, exec_lo
.LBB749_1018:
	s_or_b32 exec_lo, exec_lo, s25
	v_cndmask_b32_e64 v6, v12, v13, s24
	v_cndmask_b32_e64 v7, v48, v47, s24
	s_mov_b32 s26, -1
	s_mov_b32 s25, -1
	s_mov_b32 s27, exec_lo
	v_add_nc_u32_e32 v8, 1, v6
	s_delay_alu instid0(VALU_DEP_1) | instskip(SKIP_1) | instid1(VALU_DEP_2)
	v_add_min_u32_e64 v6, v7, -1, v8
	v_cndmask_b32_e64 v25, v13, v8, s24
	v_lshl_add_u32 v6, v6, 3, v43
	ds_load_b64 v[6:7], v6
	s_wait_dscnt 0x0
	v_dual_cndmask_b32 v24, v8, v12, s24 :: v_dual_cndmask_b32 v13, v7, v11, s24
	v_dual_cndmask_b32 v12, v6, v10, s24 :: v_dual_cndmask_b32 v23, v17, v7, s24
	v_cndmask_b32_e64 v22, v16, v6, s24
	s_delay_alu instid0(VALU_DEP_3)
	v_cmpx_lt_u32_e64 v24, v48
	s_cbranch_execz .LBB749_1026
; %bb.1019:
	v_cmp_lt_u32_e64 s25, v25, v47
	s_and_b32 s7, s25, s22
	s_delay_alu instid0(SALU_CYCLE_1)
	s_and_saveexec_b32 s28, s7
	s_cbranch_execz .LBB749_1025
; %bb.1020:
	v_mul_u64_e32 v[6:7], s[12:13], v[12:13]
	v_mul_u64_e32 v[8:9], s[12:13], v[22:23]
	s_mov_b32 s29, 0
	s_mov_b64 s[8:9], s[12:13]
                                        ; implicit-def: $sgpr30
                                        ; implicit-def: $sgpr31
                                        ; implicit-def: $sgpr33
                                        ; implicit-def: $sgpr34
	s_delay_alu instid0(VALU_DEP_2) | instskip(NEXT) | instid1(VALU_DEP_2)
	v_lshl_add_u64 v[6:7], v[6:7], 3, s[14:15]
	v_lshl_add_u64 v[8:9], v[8:9], 3, s[14:15]
	s_branch .LBB749_1022
.LBB749_1021:                           ;   in Loop: Header=BB749_1022 Depth=1
	s_or_b32 exec_lo, exec_lo, s7
	s_delay_alu instid0(SALU_CYCLE_1) | instskip(NEXT) | instid1(SALU_CYCLE_1)
	s_and_b32 s7, exec_lo, s31
	s_or_b32 s29, s7, s29
	s_and_not1_b32 s7, s34, exec_lo
	s_and_b32 s34, s35, exec_lo
	s_and_not1_b32 s30, s30, exec_lo
	s_and_b32 s35, s33, exec_lo
	s_or_b32 s34, s7, s34
	s_or_b32 s30, s30, s35
	s_and_not1_b32 exec_lo, exec_lo, s29
	s_cbranch_execz .LBB749_1024
.LBB749_1022:                           ; =>This Inner Loop Header: Depth=1
	global_load_b64 v[26:27], v[6:7], off
	global_load_b64 v[28:29], v[8:9], off
	s_and_not1_b32 s33, s33, exec_lo
	s_or_b32 s31, s31, exec_lo
	s_wait_loadcnt 0x0
	v_cmp_ngt_f64_e32 vcc_lo, v[26:27], v[28:29]
	v_cmp_lt_f64_e64 s7, v[26:27], v[28:29]
	s_and_b32 s35, vcc_lo, s34
	s_xor_b32 s37, s7, vcc_lo
	s_or_b32 s35, s7, s35
	s_delay_alu instid0(SALU_CYCLE_1) | instskip(NEXT) | instid1(SALU_CYCLE_1)
	s_and_b32 s36, s35, exec_lo
	s_or_b32 s33, s33, s36
	s_and_saveexec_b32 s7, s37
	s_cbranch_execz .LBB749_1021
; %bb.1023:                             ;   in Loop: Header=BB749_1022 Depth=1
	s_add_nc_u64 s[8:9], s[8:9], -1
	v_add_nc_u64_e32 v[6:7], 8, v[6:7]
	s_cmp_eq_u64 s[8:9], 0
	v_add_nc_u64_e32 v[8:9], 8, v[8:9]
	s_cselect_b32 s34, -1, 0
	s_and_not1_b32 s31, s31, exec_lo
	s_and_b32 s34, s34, exec_lo
	s_and_not1_b32 s33, s33, exec_lo
	s_or_b32 s31, s31, s34
                                        ; implicit-def: $sgpr34
	s_branch .LBB749_1021
.LBB749_1024:
	s_or_b32 exec_lo, exec_lo, s29
	s_xor_b32 s7, s30, -1
	s_and_not1_b32 s8, s25, exec_lo
	s_and_b32 s7, s7, exec_lo
	s_delay_alu instid0(SALU_CYCLE_1)
	s_or_b32 s25, s8, s7
.LBB749_1025:
	s_or_b32 exec_lo, exec_lo, s28
	s_delay_alu instid0(SALU_CYCLE_1)
	s_or_not1_b32 s25, s25, exec_lo
.LBB749_1026:
	s_or_b32 exec_lo, exec_lo, s27
	v_cndmask_b32_e64 v6, v24, v25, s25
	v_cndmask_b32_e64 v7, v48, v47, s25
	s_mov_b32 s27, exec_lo
	s_delay_alu instid0(VALU_DEP_2) | instskip(NEXT) | instid1(VALU_DEP_1)
	v_add_nc_u32_e32 v6, 1, v6
	v_add_min_u32_e64 v7, v7, -1, v6
	v_dual_cndmask_b32 v28, v6, v24, s25 :: v_dual_cndmask_b32 v29, v25, v6, s25
	s_delay_alu instid0(VALU_DEP_2)
	v_lshl_add_u32 v7, v7, 3, v43
	ds_load_b64 v[8:9], v7
	s_wait_dscnt 0x0
	v_dual_cndmask_b32 v7, v9, v13, s25 :: v_dual_cndmask_b32 v6, v8, v12, s25
	v_dual_cndmask_b32 v25, v23, v9, s25 :: v_dual_cndmask_b32 v24, v22, v8, s25
	v_cmpx_lt_u32_e64 v28, v48
	s_cbranch_execz .LBB749_1034
; %bb.1027:
	v_cmp_lt_u32_e64 s26, v29, v47
	s_and_b32 s7, s26, s22
	s_delay_alu instid0(SALU_CYCLE_1)
	s_and_saveexec_b32 s28, s7
	s_cbranch_execz .LBB749_1033
; %bb.1028:
	v_mul_u64_e32 v[8:9], s[12:13], v[6:7]
	v_mul_u64_e32 v[26:27], s[12:13], v[24:25]
	s_mov_b32 s29, 0
	s_mov_b64 s[8:9], s[12:13]
                                        ; implicit-def: $sgpr30
                                        ; implicit-def: $sgpr31
                                        ; implicit-def: $sgpr33
                                        ; implicit-def: $sgpr34
	s_delay_alu instid0(VALU_DEP_2) | instskip(NEXT) | instid1(VALU_DEP_2)
	v_lshl_add_u64 v[8:9], v[8:9], 3, s[14:15]
	v_lshl_add_u64 v[26:27], v[26:27], 3, s[14:15]
	s_branch .LBB749_1030
.LBB749_1029:                           ;   in Loop: Header=BB749_1030 Depth=1
	s_or_b32 exec_lo, exec_lo, s7
	s_delay_alu instid0(SALU_CYCLE_1) | instskip(NEXT) | instid1(SALU_CYCLE_1)
	s_and_b32 s7, exec_lo, s31
	s_or_b32 s29, s7, s29
	s_and_not1_b32 s7, s34, exec_lo
	s_and_b32 s34, s35, exec_lo
	s_and_not1_b32 s30, s30, exec_lo
	s_and_b32 s35, s33, exec_lo
	s_or_b32 s34, s7, s34
	s_or_b32 s30, s30, s35
	s_and_not1_b32 exec_lo, exec_lo, s29
	s_cbranch_execz .LBB749_1032
.LBB749_1030:                           ; =>This Inner Loop Header: Depth=1
	global_load_b64 v[30:31], v[8:9], off
	global_load_b64 v[32:33], v[26:27], off
	s_and_not1_b32 s33, s33, exec_lo
	s_or_b32 s31, s31, exec_lo
	s_wait_loadcnt 0x0
	v_cmp_ngt_f64_e32 vcc_lo, v[30:31], v[32:33]
	v_cmp_lt_f64_e64 s7, v[30:31], v[32:33]
	s_and_b32 s35, vcc_lo, s34
	s_xor_b32 s37, s7, vcc_lo
	s_or_b32 s35, s7, s35
	s_delay_alu instid0(SALU_CYCLE_1) | instskip(NEXT) | instid1(SALU_CYCLE_1)
	s_and_b32 s36, s35, exec_lo
	s_or_b32 s33, s33, s36
	s_and_saveexec_b32 s7, s37
	s_cbranch_execz .LBB749_1029
; %bb.1031:                             ;   in Loop: Header=BB749_1030 Depth=1
	s_add_nc_u64 s[8:9], s[8:9], -1
	v_add_nc_u64_e32 v[8:9], 8, v[8:9]
	s_cmp_eq_u64 s[8:9], 0
	v_add_nc_u64_e32 v[26:27], 8, v[26:27]
	s_cselect_b32 s34, -1, 0
	s_and_not1_b32 s31, s31, exec_lo
	s_and_b32 s34, s34, exec_lo
	s_and_not1_b32 s33, s33, exec_lo
	s_or_b32 s31, s31, s34
                                        ; implicit-def: $sgpr34
	s_branch .LBB749_1029
.LBB749_1032:
	s_or_b32 exec_lo, exec_lo, s29
	s_xor_b32 s7, s30, -1
	s_and_not1_b32 s8, s26, exec_lo
	s_and_b32 s7, s7, exec_lo
	s_delay_alu instid0(SALU_CYCLE_1)
	s_or_b32 s26, s8, s7
.LBB749_1033:
	s_or_b32 exec_lo, exec_lo, s28
	s_delay_alu instid0(SALU_CYCLE_1)
	s_or_not1_b32 s26, s26, exec_lo
.LBB749_1034:
	s_or_b32 exec_lo, exec_lo, s27
	v_cndmask_b32_e64 v8, v28, v29, s26
	v_cndmask_b32_e64 v9, v48, v47, s26
	s_mov_b32 s27, -1
	s_mov_b32 s28, -1
	s_mov_b32 s29, exec_lo
	v_add_nc_u32_e32 v8, 1, v8
	s_delay_alu instid0(VALU_DEP_1) | instskip(NEXT) | instid1(VALU_DEP_1)
	v_add_min_u32_e64 v9, v9, -1, v8
	v_lshl_add_u32 v9, v9, 3, v43
	ds_load_b64 v[26:27], v9
	v_cndmask_b32_e64 v32, v8, v28, s26
	s_wait_dscnt 0x0
	v_dual_cndmask_b32 v33, v29, v8, s26 :: v_dual_cndmask_b32 v9, v27, v7, s26
	v_dual_cndmask_b32 v8, v26, v6, s26 :: v_dual_cndmask_b32 v27, v25, v27, s26
	v_cndmask_b32_e64 v26, v24, v26, s26
	v_cmpx_lt_u32_e64 v32, v48
	s_cbranch_execz .LBB749_1042
; %bb.1035:
	v_cmp_lt_u32_e64 s28, v33, v47
	s_and_b32 s7, s28, s22
	s_delay_alu instid0(SALU_CYCLE_1)
	s_and_saveexec_b32 s30, s7
	s_cbranch_execz .LBB749_1041
; %bb.1036:
	v_mul_u64_e32 v[28:29], s[12:13], v[8:9]
	v_mul_u64_e32 v[30:31], s[12:13], v[26:27]
	s_mov_b32 s31, 0
	s_mov_b64 s[8:9], s[12:13]
                                        ; implicit-def: $sgpr33
                                        ; implicit-def: $sgpr34
                                        ; implicit-def: $sgpr35
                                        ; implicit-def: $sgpr36
	s_delay_alu instid0(VALU_DEP_2) | instskip(NEXT) | instid1(VALU_DEP_2)
	v_lshl_add_u64 v[28:29], v[28:29], 3, s[14:15]
	v_lshl_add_u64 v[30:31], v[30:31], 3, s[14:15]
	s_branch .LBB749_1038
.LBB749_1037:                           ;   in Loop: Header=BB749_1038 Depth=1
	s_or_b32 exec_lo, exec_lo, s7
	s_delay_alu instid0(SALU_CYCLE_1) | instskip(NEXT) | instid1(SALU_CYCLE_1)
	s_and_b32 s7, exec_lo, s34
	s_or_b32 s31, s7, s31
	s_and_not1_b32 s7, s36, exec_lo
	s_and_b32 s36, s37, exec_lo
	s_and_not1_b32 s33, s33, exec_lo
	s_and_b32 s37, s35, exec_lo
	s_or_b32 s36, s7, s36
	s_or_b32 s33, s33, s37
	s_and_not1_b32 exec_lo, exec_lo, s31
	s_cbranch_execz .LBB749_1040
.LBB749_1038:                           ; =>This Inner Loop Header: Depth=1
	global_load_b64 v[34:35], v[28:29], off
	global_load_b64 v[50:51], v[30:31], off
	s_and_not1_b32 s35, s35, exec_lo
	s_or_b32 s34, s34, exec_lo
	s_wait_loadcnt 0x0
	v_cmp_ngt_f64_e32 vcc_lo, v[34:35], v[50:51]
	v_cmp_lt_f64_e64 s7, v[34:35], v[50:51]
	s_and_b32 s37, vcc_lo, s36
	s_xor_b32 s39, s7, vcc_lo
	s_or_b32 s37, s7, s37
	s_delay_alu instid0(SALU_CYCLE_1) | instskip(NEXT) | instid1(SALU_CYCLE_1)
	s_and_b32 s38, s37, exec_lo
	s_or_b32 s35, s35, s38
	s_and_saveexec_b32 s7, s39
	s_cbranch_execz .LBB749_1037
; %bb.1039:                             ;   in Loop: Header=BB749_1038 Depth=1
	s_add_nc_u64 s[8:9], s[8:9], -1
	v_add_nc_u64_e32 v[28:29], 8, v[28:29]
	s_cmp_eq_u64 s[8:9], 0
	v_add_nc_u64_e32 v[30:31], 8, v[30:31]
	s_cselect_b32 s36, -1, 0
	s_and_not1_b32 s34, s34, exec_lo
	s_and_b32 s36, s36, exec_lo
	s_and_not1_b32 s35, s35, exec_lo
	s_or_b32 s34, s34, s36
                                        ; implicit-def: $sgpr36
	s_branch .LBB749_1037
.LBB749_1040:
	s_or_b32 exec_lo, exec_lo, s31
	s_xor_b32 s7, s33, -1
	s_and_not1_b32 s8, s28, exec_lo
	s_and_b32 s7, s7, exec_lo
	s_delay_alu instid0(SALU_CYCLE_1)
	s_or_b32 s28, s8, s7
.LBB749_1041:
	s_or_b32 exec_lo, exec_lo, s30
	s_delay_alu instid0(SALU_CYCLE_1)
	s_or_not1_b32 s28, s28, exec_lo
.LBB749_1042:
	s_or_b32 exec_lo, exec_lo, s29
	v_cndmask_b32_e64 v28, v32, v33, s28
	v_cndmask_b32_e64 v29, v48, v47, s28
	s_mov_b32 s29, exec_lo
	s_delay_alu instid0(VALU_DEP_2) | instskip(NEXT) | instid1(VALU_DEP_1)
	v_add_nc_u32_e32 v28, 1, v28
	v_add_min_u32_e64 v29, v29, -1, v28
	s_delay_alu instid0(VALU_DEP_1)
	v_lshl_add_u32 v29, v29, 3, v43
	ds_load_b64 v[30:31], v29
	v_cndmask_b32_e64 v50, v28, v32, s28
	s_wait_dscnt 0x0
	v_dual_cndmask_b32 v49, v33, v28, s28 :: v_dual_cndmask_b32 v29, v31, v9, s28
	v_dual_cndmask_b32 v28, v30, v8, s28 :: v_dual_cndmask_b32 v31, v27, v31, s28
	v_cndmask_b32_e64 v30, v26, v30, s28
	v_cmpx_lt_u32_e64 v50, v48
	s_cbranch_execz .LBB749_1050
; %bb.1043:
	v_cmp_lt_u32_e64 s27, v49, v47
	s_and_b32 s7, s27, s22
	s_delay_alu instid0(SALU_CYCLE_1)
	s_and_saveexec_b32 s30, s7
	s_cbranch_execz .LBB749_1049
; %bb.1044:
	v_mul_u64_e32 v[32:33], s[12:13], v[28:29]
	v_mul_u64_e32 v[34:35], s[12:13], v[30:31]
	s_mov_b32 s31, 0
	s_mov_b64 s[8:9], s[12:13]
                                        ; implicit-def: $sgpr33
                                        ; implicit-def: $sgpr34
                                        ; implicit-def: $sgpr35
                                        ; implicit-def: $sgpr36
	s_delay_alu instid0(VALU_DEP_2) | instskip(NEXT) | instid1(VALU_DEP_2)
	v_lshl_add_u64 v[32:33], v[32:33], 3, s[14:15]
	v_lshl_add_u64 v[34:35], v[34:35], 3, s[14:15]
	s_branch .LBB749_1046
.LBB749_1045:                           ;   in Loop: Header=BB749_1046 Depth=1
	s_or_b32 exec_lo, exec_lo, s7
	s_delay_alu instid0(SALU_CYCLE_1) | instskip(NEXT) | instid1(SALU_CYCLE_1)
	s_and_b32 s7, exec_lo, s34
	s_or_b32 s31, s7, s31
	s_and_not1_b32 s7, s36, exec_lo
	s_and_b32 s36, s37, exec_lo
	s_and_not1_b32 s33, s33, exec_lo
	s_and_b32 s37, s35, exec_lo
	s_or_b32 s36, s7, s36
	s_or_b32 s33, s33, s37
	s_and_not1_b32 exec_lo, exec_lo, s31
	s_cbranch_execz .LBB749_1048
.LBB749_1046:                           ; =>This Inner Loop Header: Depth=1
	global_load_b64 v[52:53], v[32:33], off
	global_load_b64 v[54:55], v[34:35], off
	s_and_not1_b32 s35, s35, exec_lo
	s_or_b32 s34, s34, exec_lo
	s_wait_loadcnt 0x0
	v_cmp_ngt_f64_e32 vcc_lo, v[52:53], v[54:55]
	v_cmp_lt_f64_e64 s7, v[52:53], v[54:55]
	s_and_b32 s37, vcc_lo, s36
	s_xor_b32 s39, s7, vcc_lo
	s_or_b32 s37, s7, s37
	s_delay_alu instid0(SALU_CYCLE_1) | instskip(NEXT) | instid1(SALU_CYCLE_1)
	s_and_b32 s38, s37, exec_lo
	s_or_b32 s35, s35, s38
	s_and_saveexec_b32 s7, s39
	s_cbranch_execz .LBB749_1045
; %bb.1047:                             ;   in Loop: Header=BB749_1046 Depth=1
	s_add_nc_u64 s[8:9], s[8:9], -1
	v_add_nc_u64_e32 v[32:33], 8, v[32:33]
	s_cmp_eq_u64 s[8:9], 0
	v_add_nc_u64_e32 v[34:35], 8, v[34:35]
	s_cselect_b32 s36, -1, 0
	s_and_not1_b32 s34, s34, exec_lo
	s_and_b32 s36, s36, exec_lo
	s_and_not1_b32 s35, s35, exec_lo
	s_or_b32 s34, s34, s36
                                        ; implicit-def: $sgpr36
	s_branch .LBB749_1045
.LBB749_1048:
	s_or_b32 exec_lo, exec_lo, s31
	s_xor_b32 s7, s33, -1
	s_and_not1_b32 s8, s27, exec_lo
	s_and_b32 s7, s7, exec_lo
	s_delay_alu instid0(SALU_CYCLE_1)
	s_or_b32 s27, s8, s7
.LBB749_1049:
	s_or_b32 exec_lo, exec_lo, s30
	s_delay_alu instid0(SALU_CYCLE_1)
	s_or_not1_b32 s27, s27, exec_lo
.LBB749_1050:
	s_or_b32 exec_lo, exec_lo, s29
	v_dual_cndmask_b32 v32, v50, v49, s27 :: v_dual_cndmask_b32 v33, v48, v47, s27
	v_dual_cndmask_b32 v8, v8, v26, s28 :: v_dual_cndmask_b32 v7, v7, v25, s26
	;; [unrolled: 1-line block ×3, first 2 shown]
	s_delay_alu instid0(VALU_DEP_3) | instskip(SKIP_2) | instid1(VALU_DEP_3)
	v_dual_add_nc_u32 v34, 1, v32 :: v_dual_cndmask_b32 v9, v9, v27, s28
	v_dual_cndmask_b32 v12, v12, v22, s25 :: v_dual_cndmask_b32 v11, v11, v17, s24
	v_dual_cndmask_b32 v10, v10, v16, s24 :: v_dual_cndmask_b32 v17, v5, v15, s23
	v_add_min_u32_e64 v32, v33, -1, v34
	v_dual_cndmask_b32 v16, v4, v14, s23 :: v_dual_cndmask_b32 v15, v3, v1, s17
	v_dual_cndmask_b32 v14, v2, v0, s17 :: v_dual_cndmask_b32 v3, v29, v31, s27
	s_delay_alu instid0(VALU_DEP_3)
	v_lshl_add_u32 v32, v32, 3, v43
	s_mov_b32 s17, exec_lo
	ds_load_b64 v[32:33], v32
	v_cndmask_b32_e64 v0, v34, v50, s27
	s_wait_dscnt 0x0
	v_dual_cndmask_b32 v2, v28, v30, s27 :: v_dual_cndmask_b32 v4, v30, v32, s27
	v_cndmask_b32_e64 v5, v31, v33, s27
	s_delay_alu instid0(VALU_DEP_3)
	v_cmpx_lt_u32_e64 v0, v48
	s_cbranch_execz .LBB749_1058
; %bb.1051:
	v_dual_cndmask_b32 v22, v49, v34, s27 :: v_dual_cndmask_b32 v0, v32, v28, s27
	s_delay_alu instid0(VALU_DEP_1) | instskip(NEXT) | instid1(VALU_DEP_2)
	v_cmp_ge_u32_e32 vcc_lo, v22, v47
	v_dual_cndmask_b32 v1, v33, v29, s27 :: v_dual_cndmask_b32 v22, v4, v0, vcc_lo
	s_delay_alu instid0(VALU_DEP_1) | instskip(SKIP_1) | instid1(SALU_CYCLE_1)
	v_cndmask_b32_e32 v23, v5, v1, vcc_lo
	s_nor_b32 s7, vcc_lo, s19
	s_and_saveexec_b32 s23, s7
	s_cbranch_execz .LBB749_1057
; %bb.1052:
	v_mul_u64_e32 v[22:23], s[12:13], v[0:1]
	v_mul_u64_e32 v[24:25], s[12:13], v[4:5]
	s_mov_b32 s24, 0
	s_mov_b64 s[8:9], s[12:13]
                                        ; implicit-def: $sgpr25
                                        ; implicit-def: $sgpr26
                                        ; implicit-def: $sgpr27
                                        ; implicit-def: $sgpr28
	s_delay_alu instid0(VALU_DEP_2) | instskip(NEXT) | instid1(VALU_DEP_2)
	v_lshl_add_u64 v[22:23], v[22:23], 3, s[14:15]
	v_lshl_add_u64 v[24:25], v[24:25], 3, s[14:15]
	s_branch .LBB749_1054
.LBB749_1053:                           ;   in Loop: Header=BB749_1054 Depth=1
	s_or_b32 exec_lo, exec_lo, s7
	s_delay_alu instid0(SALU_CYCLE_1) | instskip(NEXT) | instid1(SALU_CYCLE_1)
	s_and_b32 s7, exec_lo, s26
	s_or_b32 s24, s7, s24
	s_and_not1_b32 s7, s28, exec_lo
	s_and_b32 s28, s29, exec_lo
	s_and_not1_b32 s25, s25, exec_lo
	s_and_b32 s29, s27, exec_lo
	s_or_b32 s28, s7, s28
	s_or_b32 s25, s25, s29
	s_and_not1_b32 exec_lo, exec_lo, s24
	s_cbranch_execz .LBB749_1056
.LBB749_1054:                           ; =>This Inner Loop Header: Depth=1
	global_load_b64 v[26:27], v[22:23], off
	global_load_b64 v[28:29], v[24:25], off
	s_and_not1_b32 s27, s27, exec_lo
	s_or_b32 s26, s26, exec_lo
	s_wait_loadcnt 0x0
	v_cmp_ngt_f64_e32 vcc_lo, v[26:27], v[28:29]
	v_cmp_lt_f64_e64 s7, v[26:27], v[28:29]
	s_and_b32 s29, vcc_lo, s28
	s_xor_b32 s31, s7, vcc_lo
	s_or_b32 s29, s7, s29
	s_delay_alu instid0(SALU_CYCLE_1) | instskip(NEXT) | instid1(SALU_CYCLE_1)
	s_and_b32 s30, s29, exec_lo
	s_or_b32 s27, s27, s30
	s_and_saveexec_b32 s7, s31
	s_cbranch_execz .LBB749_1053
; %bb.1055:                             ;   in Loop: Header=BB749_1054 Depth=1
	s_add_nc_u64 s[8:9], s[8:9], -1
	v_add_nc_u64_e32 v[22:23], 8, v[22:23]
	s_cmp_eq_u64 s[8:9], 0
	v_add_nc_u64_e32 v[24:25], 8, v[24:25]
	s_cselect_b32 s28, -1, 0
	s_and_not1_b32 s26, s26, exec_lo
	s_and_b32 s28, s28, exec_lo
	s_and_not1_b32 s27, s27, exec_lo
	s_or_b32 s26, s26, s28
                                        ; implicit-def: $sgpr28
	s_branch .LBB749_1053
.LBB749_1056:
	s_or_b32 exec_lo, exec_lo, s24
	v_dual_cndmask_b32 v23, v5, v1, s25 :: v_dual_cndmask_b32 v22, v4, v0, s25
.LBB749_1057:
	s_or_b32 exec_lo, exec_lo, s23
	s_delay_alu instid0(VALU_DEP_1)
	v_mov_b64_e32 v[4:5], v[22:23]
.LBB749_1058:
	s_or_b32 exec_lo, exec_lo, s17
.LBB749_1059:
	s_delay_alu instid0(SALU_CYCLE_1)
	s_or_b32 exec_lo, exec_lo, s16
	v_and_b32_e32 v26, 0x80, v45
	s_mov_b32 s23, exec_lo
	; wave barrier
	ds_store_b128 v46, v[14:17]
	ds_store_b128 v46, v[10:13] offset:16
	v_or_b32_e32 v0, 64, v26
	v_lshl_add_u32 v25, v26, 3, v43
	ds_store_b128 v46, v[6:9] offset:32
	ds_store_b128 v46, v[2:5] offset:48
	; wave barrier
	v_min_u32_e32 v47, v44, v0
	v_and_b32_e32 v0, 0x78, v45
	s_delay_alu instid0(VALU_DEP_2) | instskip(NEXT) | instid1(VALU_DEP_2)
	v_add_min_u32_e64 v45, v47, 64, v44
	v_min_u32_e32 v27, v44, v0
	s_delay_alu instid0(VALU_DEP_2) | instskip(NEXT) | instid1(VALU_DEP_1)
	v_dual_sub_nc_u32 v1, v47, v26 :: v_dual_sub_nc_u32 v0, v45, v47
	v_min_u32_e32 v28, v27, v1
	s_delay_alu instid0(VALU_DEP_2) | instskip(NEXT) | instid1(VALU_DEP_1)
	v_sub_nc_u32_e64 v24, v27, v0 clamp
	v_cmpx_lt_u32_e64 v24, v28
	s_cbranch_execz .LBB749_1069
; %bb.1060:
	v_lshlrev_b32_e32 v0, 3, v47
	v_lshlrev_b32_e32 v1, 3, v27
	s_lshl_b64 s[8:9], s[12:13], 3
	s_mov_b32 s24, 0
	s_delay_alu instid0(VALU_DEP_1)
	v_add3_u32 v29, v43, v0, v1
	s_branch .LBB749_1063
.LBB749_1061:                           ;   in Loop: Header=BB749_1063 Depth=1
	s_or_b32 exec_lo, exec_lo, s26
.LBB749_1062:                           ;   in Loop: Header=BB749_1063 Depth=1
	s_delay_alu instid0(VALU_DEP_1) | instskip(NEXT) | instid1(VALU_DEP_1)
	v_dual_add_nc_u32 v0, 1, v30 :: v_dual_cndmask_b32 v28, v28, v30, s25
	v_cndmask_b32_e64 v24, v0, v24, s25
	s_delay_alu instid0(VALU_DEP_1) | instskip(SKIP_1) | instid1(SALU_CYCLE_1)
	v_cmp_ge_u32_e32 vcc_lo, v24, v28
	s_or_b32 s24, vcc_lo, s24
	s_and_not1_b32 exec_lo, exec_lo, s24
	s_cbranch_execz .LBB749_1068
.LBB749_1063:                           ; =>This Loop Header: Depth=1
                                        ;     Child Loop BB749_1066 Depth 2
	v_add_nc_u32_e32 v0, v28, v24
	s_and_not1_b32 vcc_lo, exec_lo, s18
	s_mov_b32 s25, 0
	s_delay_alu instid0(VALU_DEP_1)
	v_lshrrev_b32_e32 v30, 1, v0
	s_cbranch_vccnz .LBB749_1062
; %bb.1064:                             ;   in Loop: Header=BB749_1063 Depth=1
	s_delay_alu instid0(VALU_DEP_1) | instskip(SKIP_3) | instid1(VALU_DEP_2)
	v_not_b32_e32 v0, v30
	v_lshl_add_u32 v1, v30, 3, v25
	s_mov_b32 s26, 0
	s_mov_b64 s[16:17], s[12:13]
                                        ; implicit-def: $sgpr25
                                        ; implicit-def: $sgpr27
                                        ; implicit-def: $sgpr28
                                        ; implicit-def: $sgpr29
	v_lshl_add_u32 v0, v0, 3, v29
	ds_load_b64 v[32:33], v0
	ds_load_b64 v[34:35], v1
	s_wait_dscnt 0x1
	v_mad_nc_u64_u32 v[0:1], s8, v32, s[14:15]
	s_wait_dscnt 0x0
	v_mad_nc_u64_u32 v[22:23], s8, v34, s[14:15]
	s_delay_alu instid0(VALU_DEP_2) | instskip(NEXT) | instid1(VALU_DEP_2)
	v_mad_u32 v1, s9, v32, v1
	v_mad_u32 v23, s9, v34, v23
	s_delay_alu instid0(VALU_DEP_2) | instskip(NEXT) | instid1(VALU_DEP_2)
	v_mad_u32 v1, s8, v33, v1
	v_mad_u32 v23, s8, v35, v23
	s_branch .LBB749_1066
.LBB749_1065:                           ;   in Loop: Header=BB749_1066 Depth=2
	s_or_b32 exec_lo, exec_lo, s7
	s_delay_alu instid0(SALU_CYCLE_1) | instskip(NEXT) | instid1(SALU_CYCLE_1)
	s_and_b32 s7, exec_lo, s27
	s_or_b32 s26, s7, s26
	s_and_not1_b32 s7, s29, exec_lo
	s_and_b32 s29, s30, exec_lo
	s_and_not1_b32 s25, s25, exec_lo
	s_and_b32 s30, s28, exec_lo
	s_or_b32 s29, s7, s29
	s_or_b32 s25, s25, s30
	s_and_not1_b32 exec_lo, exec_lo, s26
	s_cbranch_execz .LBB749_1061
.LBB749_1066:                           ;   Parent Loop BB749_1063 Depth=1
                                        ; =>  This Inner Loop Header: Depth=2
	global_load_b64 v[32:33], v[0:1], off
	global_load_b64 v[34:35], v[22:23], off
	s_and_not1_b32 s28, s28, exec_lo
	s_or_b32 s27, s27, exec_lo
	s_wait_loadcnt 0x0
	v_cmp_ngt_f64_e32 vcc_lo, v[32:33], v[34:35]
	v_cmp_lt_f64_e64 s7, v[32:33], v[34:35]
	s_and_b32 s30, vcc_lo, s29
	s_xor_b32 s33, s7, vcc_lo
	s_or_b32 s30, s7, s30
	s_delay_alu instid0(SALU_CYCLE_1) | instskip(NEXT) | instid1(SALU_CYCLE_1)
	s_and_b32 s31, s30, exec_lo
	s_or_b32 s28, s28, s31
	s_and_saveexec_b32 s7, s33
	s_cbranch_execz .LBB749_1065
; %bb.1067:                             ;   in Loop: Header=BB749_1066 Depth=2
	s_add_nc_u64 s[16:17], s[16:17], -1
	v_add_nc_u64_e32 v[0:1], 8, v[0:1]
	s_cmp_eq_u64 s[16:17], 0
	v_add_nc_u64_e32 v[22:23], 8, v[22:23]
	s_cselect_b32 s29, -1, 0
	s_and_not1_b32 s27, s27, exec_lo
	s_and_b32 s29, s29, exec_lo
	s_and_not1_b32 s28, s28, exec_lo
	s_or_b32 s27, s27, s29
                                        ; implicit-def: $sgpr29
	s_branch .LBB749_1065
.LBB749_1068:
	s_or_b32 exec_lo, exec_lo, s24
.LBB749_1069:
	s_delay_alu instid0(SALU_CYCLE_1) | instskip(SKIP_1) | instid1(VALU_DEP_1)
	s_or_b32 exec_lo, exec_lo, s23
	v_dual_add_nc_u32 v0, v47, v27 :: v_dual_add_nc_u32 v22, v24, v26
	v_sub_nc_u32_e32 v23, v0, v24
	s_delay_alu instid0(VALU_DEP_2) | instskip(NEXT) | instid1(VALU_DEP_2)
	v_cmp_le_u32_e32 vcc_lo, v22, v47
	v_cmp_le_u32_e64 s7, v23, v45
	s_or_b32 s7, vcc_lo, s7
	s_delay_alu instid0(SALU_CYCLE_1)
	s_and_saveexec_b32 s16, s7
	s_cbranch_execz .LBB749_1137
; %bb.1070:
	s_mov_b32 s8, exec_lo
	v_cmp_ge_u32_e32 vcc_lo, v22, v47
                                        ; implicit-def: $vgpr0_vgpr1
	v_cmpx_lt_u32_e64 v22, v47
; %bb.1071:
	v_lshl_add_u32 v0, v24, 3, v25
	ds_load_b64 v[0:1], v0
; %bb.1072:
	s_or_b32 exec_lo, exec_lo, s8
	v_cmp_ge_u32_e64 s7, v23, v45
	s_mov_b32 s9, exec_lo
                                        ; implicit-def: $vgpr2_vgpr3
	v_cmpx_lt_u32_e64 v23, v45
; %bb.1073:
	v_lshl_add_u32 v2, v23, 3, v43
	ds_load_b64 v[2:3], v2
; %bb.1074:
	s_or_b32 exec_lo, exec_lo, s9
	s_or_b32 s8, vcc_lo, s7
	s_xor_b32 s9, vcc_lo, -1
	s_nor_b32 s8, s8, s19
	s_or_b32 s17, s7, s9
	s_and_saveexec_b32 s23, s8
	s_cbranch_execz .LBB749_1080
; %bb.1075:
	s_wait_dscnt 0x0
	v_mul_u64_e32 v[4:5], s[12:13], v[2:3]
	v_mul_u64_e32 v[6:7], s[12:13], v[0:1]
	s_mov_b32 s24, 0
	s_mov_b64 s[8:9], s[12:13]
                                        ; implicit-def: $sgpr25
                                        ; implicit-def: $sgpr26
                                        ; implicit-def: $sgpr27
                                        ; implicit-def: $sgpr28
	s_delay_alu instid0(VALU_DEP_2) | instskip(NEXT) | instid1(VALU_DEP_2)
	v_lshl_add_u64 v[4:5], v[4:5], 3, s[14:15]
	v_lshl_add_u64 v[6:7], v[6:7], 3, s[14:15]
	s_branch .LBB749_1077
.LBB749_1076:                           ;   in Loop: Header=BB749_1077 Depth=1
	s_or_b32 exec_lo, exec_lo, s7
	s_delay_alu instid0(SALU_CYCLE_1) | instskip(NEXT) | instid1(SALU_CYCLE_1)
	s_and_b32 s7, exec_lo, s26
	s_or_b32 s24, s7, s24
	s_and_not1_b32 s7, s28, exec_lo
	s_and_b32 s28, s29, exec_lo
	s_and_not1_b32 s25, s25, exec_lo
	s_and_b32 s29, s27, exec_lo
	s_or_b32 s28, s7, s28
	s_or_b32 s25, s25, s29
	s_and_not1_b32 exec_lo, exec_lo, s24
	s_cbranch_execz .LBB749_1079
.LBB749_1077:                           ; =>This Inner Loop Header: Depth=1
	global_load_b64 v[8:9], v[4:5], off
	global_load_b64 v[10:11], v[6:7], off
	s_and_not1_b32 s27, s27, exec_lo
	s_or_b32 s26, s26, exec_lo
	s_wait_loadcnt 0x0
	v_cmp_ngt_f64_e32 vcc_lo, v[8:9], v[10:11]
	v_cmp_lt_f64_e64 s7, v[8:9], v[10:11]
	s_and_b32 s29, vcc_lo, s28
	s_xor_b32 s31, s7, vcc_lo
	s_or_b32 s29, s7, s29
	s_delay_alu instid0(SALU_CYCLE_1) | instskip(NEXT) | instid1(SALU_CYCLE_1)
	s_and_b32 s30, s29, exec_lo
	s_or_b32 s27, s27, s30
	s_and_saveexec_b32 s7, s31
	s_cbranch_execz .LBB749_1076
; %bb.1078:                             ;   in Loop: Header=BB749_1077 Depth=1
	s_add_nc_u64 s[8:9], s[8:9], -1
	v_add_nc_u64_e32 v[4:5], 8, v[4:5]
	s_cmp_eq_u64 s[8:9], 0
	v_add_nc_u64_e32 v[6:7], 8, v[6:7]
	s_cselect_b32 s28, -1, 0
	s_and_not1_b32 s26, s26, exec_lo
	s_and_b32 s28, s28, exec_lo
	s_and_not1_b32 s27, s27, exec_lo
	s_or_b32 s26, s26, s28
                                        ; implicit-def: $sgpr28
	s_branch .LBB749_1076
.LBB749_1079:
	s_or_b32 exec_lo, exec_lo, s24
	s_xor_b32 s7, s25, -1
	s_and_not1_b32 s8, s17, exec_lo
	s_and_b32 s7, s7, exec_lo
	s_delay_alu instid0(SALU_CYCLE_1)
	s_or_b32 s17, s8, s7
.LBB749_1080:
	s_or_b32 exec_lo, exec_lo, s23
	v_dual_cndmask_b32 v4, v23, v22, s17 :: v_dual_cndmask_b32 v5, v45, v47, s17
	s_mov_b32 s24, -1
	s_mov_b32 s23, -1
	s_mov_b32 s25, exec_lo
	s_delay_alu instid0(VALU_DEP_1) | instskip(NEXT) | instid1(VALU_DEP_1)
	v_add_nc_u32_e32 v4, 1, v4
	v_add_min_u32_e64 v5, v5, -1, v4
	s_delay_alu instid0(VALU_DEP_1)
	v_lshl_add_u32 v5, v5, 3, v43
	ds_load_b64 v[6:7], v5
	s_wait_dscnt 0x0
	v_cndmask_b32_e64 v5, v7, v3, s17
	v_dual_cndmask_b32 v10, v4, v23, s17 :: v_dual_cndmask_b32 v11, v22, v4, s17
	v_dual_cndmask_b32 v4, v6, v2, s17 :: v_dual_cndmask_b32 v15, v1, v7, s17
	v_cndmask_b32_e64 v14, v0, v6, s17
	s_delay_alu instid0(VALU_DEP_3)
	v_cmpx_lt_u32_e64 v10, v45
	s_cbranch_execz .LBB749_1088
; %bb.1081:
	v_cmp_lt_u32_e64 s23, v11, v47
	s_and_b32 s7, s23, s22
	s_delay_alu instid0(SALU_CYCLE_1)
	s_and_saveexec_b32 s26, s7
	s_cbranch_execz .LBB749_1087
; %bb.1082:
	v_mul_u64_e32 v[6:7], s[12:13], v[4:5]
	v_mul_u64_e32 v[8:9], s[12:13], v[14:15]
	s_mov_b32 s27, 0
	s_mov_b64 s[8:9], s[12:13]
                                        ; implicit-def: $sgpr28
                                        ; implicit-def: $sgpr29
                                        ; implicit-def: $sgpr30
                                        ; implicit-def: $sgpr31
	s_delay_alu instid0(VALU_DEP_2) | instskip(NEXT) | instid1(VALU_DEP_2)
	v_lshl_add_u64 v[6:7], v[6:7], 3, s[14:15]
	v_lshl_add_u64 v[8:9], v[8:9], 3, s[14:15]
	s_branch .LBB749_1084
.LBB749_1083:                           ;   in Loop: Header=BB749_1084 Depth=1
	s_or_b32 exec_lo, exec_lo, s7
	s_delay_alu instid0(SALU_CYCLE_1) | instskip(NEXT) | instid1(SALU_CYCLE_1)
	s_and_b32 s7, exec_lo, s29
	s_or_b32 s27, s7, s27
	s_and_not1_b32 s7, s31, exec_lo
	s_and_b32 s31, s33, exec_lo
	s_and_not1_b32 s28, s28, exec_lo
	s_and_b32 s33, s30, exec_lo
	s_or_b32 s31, s7, s31
	s_or_b32 s28, s28, s33
	s_and_not1_b32 exec_lo, exec_lo, s27
	s_cbranch_execz .LBB749_1086
.LBB749_1084:                           ; =>This Inner Loop Header: Depth=1
	global_load_b64 v[12:13], v[6:7], off
	global_load_b64 v[16:17], v[8:9], off
	s_and_not1_b32 s30, s30, exec_lo
	s_or_b32 s29, s29, exec_lo
	s_wait_loadcnt 0x0
	v_cmp_ngt_f64_e32 vcc_lo, v[12:13], v[16:17]
	v_cmp_lt_f64_e64 s7, v[12:13], v[16:17]
	s_and_b32 s33, vcc_lo, s31
	s_xor_b32 s35, s7, vcc_lo
	s_or_b32 s33, s7, s33
	s_delay_alu instid0(SALU_CYCLE_1) | instskip(NEXT) | instid1(SALU_CYCLE_1)
	s_and_b32 s34, s33, exec_lo
	s_or_b32 s30, s30, s34
	s_and_saveexec_b32 s7, s35
	s_cbranch_execz .LBB749_1083
; %bb.1085:                             ;   in Loop: Header=BB749_1084 Depth=1
	s_add_nc_u64 s[8:9], s[8:9], -1
	v_add_nc_u64_e32 v[6:7], 8, v[6:7]
	s_cmp_eq_u64 s[8:9], 0
	v_add_nc_u64_e32 v[8:9], 8, v[8:9]
	s_cselect_b32 s31, -1, 0
	s_and_not1_b32 s29, s29, exec_lo
	s_and_b32 s31, s31, exec_lo
	s_and_not1_b32 s30, s30, exec_lo
	s_or_b32 s29, s29, s31
                                        ; implicit-def: $sgpr31
	s_branch .LBB749_1083
.LBB749_1086:
	s_or_b32 exec_lo, exec_lo, s27
	s_xor_b32 s7, s28, -1
	s_and_not1_b32 s8, s23, exec_lo
	s_and_b32 s7, s7, exec_lo
	s_delay_alu instid0(SALU_CYCLE_1)
	s_or_b32 s23, s8, s7
.LBB749_1087:
	s_or_b32 exec_lo, exec_lo, s26
	s_delay_alu instid0(SALU_CYCLE_1)
	s_or_not1_b32 s23, s23, exec_lo
.LBB749_1088:
	s_or_b32 exec_lo, exec_lo, s25
	v_cndmask_b32_e64 v6, v10, v11, s23
	v_cndmask_b32_e64 v7, v45, v47, s23
	s_mov_b32 s25, exec_lo
	s_delay_alu instid0(VALU_DEP_2) | instskip(NEXT) | instid1(VALU_DEP_1)
	v_add_nc_u32_e32 v8, 1, v6
	v_add_min_u32_e64 v6, v7, -1, v8
	v_cndmask_b32_e64 v12, v8, v10, s23
	s_delay_alu instid0(VALU_DEP_2)
	v_lshl_add_u32 v6, v6, 3, v43
	ds_load_b64 v[6:7], v6
	s_wait_dscnt 0x0
	v_dual_cndmask_b32 v13, v11, v8, s23 :: v_dual_cndmask_b32 v16, v14, v6, s23
	v_dual_cndmask_b32 v11, v7, v5, s23 :: v_dual_cndmask_b32 v10, v6, v4, s23
	v_cndmask_b32_e64 v17, v15, v7, s23
	v_cmpx_lt_u32_e64 v12, v45
	s_cbranch_execz .LBB749_1096
; %bb.1089:
	v_cmp_lt_u32_e64 s24, v13, v47
	s_and_b32 s7, s24, s22
	s_delay_alu instid0(SALU_CYCLE_1)
	s_and_saveexec_b32 s26, s7
	s_cbranch_execz .LBB749_1095
; %bb.1090:
	v_mul_u64_e32 v[6:7], s[12:13], v[10:11]
	v_mul_u64_e32 v[8:9], s[12:13], v[16:17]
	s_mov_b32 s27, 0
	s_mov_b64 s[8:9], s[12:13]
                                        ; implicit-def: $sgpr28
                                        ; implicit-def: $sgpr29
                                        ; implicit-def: $sgpr30
                                        ; implicit-def: $sgpr31
	s_delay_alu instid0(VALU_DEP_2) | instskip(NEXT) | instid1(VALU_DEP_2)
	v_lshl_add_u64 v[6:7], v[6:7], 3, s[14:15]
	v_lshl_add_u64 v[8:9], v[8:9], 3, s[14:15]
	s_branch .LBB749_1092
.LBB749_1091:                           ;   in Loop: Header=BB749_1092 Depth=1
	s_or_b32 exec_lo, exec_lo, s7
	s_delay_alu instid0(SALU_CYCLE_1) | instskip(NEXT) | instid1(SALU_CYCLE_1)
	s_and_b32 s7, exec_lo, s29
	s_or_b32 s27, s7, s27
	s_and_not1_b32 s7, s31, exec_lo
	s_and_b32 s31, s33, exec_lo
	s_and_not1_b32 s28, s28, exec_lo
	s_and_b32 s33, s30, exec_lo
	s_or_b32 s31, s7, s31
	s_or_b32 s28, s28, s33
	s_and_not1_b32 exec_lo, exec_lo, s27
	s_cbranch_execz .LBB749_1094
.LBB749_1092:                           ; =>This Inner Loop Header: Depth=1
	global_load_b64 v[22:23], v[6:7], off
	global_load_b64 v[24:25], v[8:9], off
	s_and_not1_b32 s30, s30, exec_lo
	s_or_b32 s29, s29, exec_lo
	s_wait_loadcnt 0x0
	v_cmp_ngt_f64_e32 vcc_lo, v[22:23], v[24:25]
	v_cmp_lt_f64_e64 s7, v[22:23], v[24:25]
	s_and_b32 s33, vcc_lo, s31
	s_xor_b32 s35, s7, vcc_lo
	s_or_b32 s33, s7, s33
	s_delay_alu instid0(SALU_CYCLE_1) | instskip(NEXT) | instid1(SALU_CYCLE_1)
	s_and_b32 s34, s33, exec_lo
	s_or_b32 s30, s30, s34
	s_and_saveexec_b32 s7, s35
	s_cbranch_execz .LBB749_1091
; %bb.1093:                             ;   in Loop: Header=BB749_1092 Depth=1
	s_add_nc_u64 s[8:9], s[8:9], -1
	v_add_nc_u64_e32 v[6:7], 8, v[6:7]
	s_cmp_eq_u64 s[8:9], 0
	v_add_nc_u64_e32 v[8:9], 8, v[8:9]
	s_cselect_b32 s31, -1, 0
	s_and_not1_b32 s29, s29, exec_lo
	s_and_b32 s31, s31, exec_lo
	s_and_not1_b32 s30, s30, exec_lo
	s_or_b32 s29, s29, s31
                                        ; implicit-def: $sgpr31
	s_branch .LBB749_1091
.LBB749_1094:
	s_or_b32 exec_lo, exec_lo, s27
	s_xor_b32 s7, s28, -1
	s_and_not1_b32 s8, s24, exec_lo
	s_and_b32 s7, s7, exec_lo
	s_delay_alu instid0(SALU_CYCLE_1)
	s_or_b32 s24, s8, s7
.LBB749_1095:
	s_or_b32 exec_lo, exec_lo, s26
	s_delay_alu instid0(SALU_CYCLE_1)
	s_or_not1_b32 s24, s24, exec_lo
.LBB749_1096:
	s_or_b32 exec_lo, exec_lo, s25
	v_dual_cndmask_b32 v6, v12, v13, s24 :: v_dual_cndmask_b32 v7, v45, v47, s24
	s_mov_b32 s26, -1
	s_mov_b32 s25, -1
	s_mov_b32 s27, exec_lo
	s_delay_alu instid0(VALU_DEP_1) | instskip(NEXT) | instid1(VALU_DEP_1)
	v_add_nc_u32_e32 v8, 1, v6
	v_add_min_u32_e64 v6, v7, -1, v8
	s_delay_alu instid0(VALU_DEP_1)
	v_lshl_add_u32 v6, v6, 3, v43
	ds_load_b64 v[6:7], v6
	s_wait_dscnt 0x0
	v_dual_cndmask_b32 v25, v13, v8, s24 :: v_dual_cndmask_b32 v22, v16, v6, s24
	v_dual_cndmask_b32 v13, v7, v11, s24 :: v_dual_cndmask_b32 v24, v8, v12, s24
	;; [unrolled: 1-line block ×3, first 2 shown]
	s_delay_alu instid0(VALU_DEP_2)
	v_cmpx_lt_u32_e64 v24, v45
	s_cbranch_execz .LBB749_1104
; %bb.1097:
	v_cmp_lt_u32_e64 s25, v25, v47
	s_and_b32 s7, s25, s22
	s_delay_alu instid0(SALU_CYCLE_1)
	s_and_saveexec_b32 s28, s7
	s_cbranch_execz .LBB749_1103
; %bb.1098:
	v_mul_u64_e32 v[6:7], s[12:13], v[12:13]
	v_mul_u64_e32 v[8:9], s[12:13], v[22:23]
	s_mov_b32 s29, 0
	s_mov_b64 s[8:9], s[12:13]
                                        ; implicit-def: $sgpr30
                                        ; implicit-def: $sgpr31
                                        ; implicit-def: $sgpr33
                                        ; implicit-def: $sgpr34
	s_delay_alu instid0(VALU_DEP_2) | instskip(NEXT) | instid1(VALU_DEP_2)
	v_lshl_add_u64 v[6:7], v[6:7], 3, s[14:15]
	v_lshl_add_u64 v[8:9], v[8:9], 3, s[14:15]
	s_branch .LBB749_1100
.LBB749_1099:                           ;   in Loop: Header=BB749_1100 Depth=1
	s_or_b32 exec_lo, exec_lo, s7
	s_delay_alu instid0(SALU_CYCLE_1) | instskip(NEXT) | instid1(SALU_CYCLE_1)
	s_and_b32 s7, exec_lo, s31
	s_or_b32 s29, s7, s29
	s_and_not1_b32 s7, s34, exec_lo
	s_and_b32 s34, s35, exec_lo
	s_and_not1_b32 s30, s30, exec_lo
	s_and_b32 s35, s33, exec_lo
	s_or_b32 s34, s7, s34
	s_or_b32 s30, s30, s35
	s_and_not1_b32 exec_lo, exec_lo, s29
	s_cbranch_execz .LBB749_1102
.LBB749_1100:                           ; =>This Inner Loop Header: Depth=1
	global_load_b64 v[26:27], v[6:7], off
	global_load_b64 v[28:29], v[8:9], off
	s_and_not1_b32 s33, s33, exec_lo
	s_or_b32 s31, s31, exec_lo
	s_wait_loadcnt 0x0
	v_cmp_ngt_f64_e32 vcc_lo, v[26:27], v[28:29]
	v_cmp_lt_f64_e64 s7, v[26:27], v[28:29]
	s_and_b32 s35, vcc_lo, s34
	s_xor_b32 s37, s7, vcc_lo
	s_or_b32 s35, s7, s35
	s_delay_alu instid0(SALU_CYCLE_1) | instskip(NEXT) | instid1(SALU_CYCLE_1)
	s_and_b32 s36, s35, exec_lo
	s_or_b32 s33, s33, s36
	s_and_saveexec_b32 s7, s37
	s_cbranch_execz .LBB749_1099
; %bb.1101:                             ;   in Loop: Header=BB749_1100 Depth=1
	s_add_nc_u64 s[8:9], s[8:9], -1
	v_add_nc_u64_e32 v[6:7], 8, v[6:7]
	s_cmp_eq_u64 s[8:9], 0
	v_add_nc_u64_e32 v[8:9], 8, v[8:9]
	s_cselect_b32 s34, -1, 0
	s_and_not1_b32 s31, s31, exec_lo
	s_and_b32 s34, s34, exec_lo
	s_and_not1_b32 s33, s33, exec_lo
	s_or_b32 s31, s31, s34
                                        ; implicit-def: $sgpr34
	s_branch .LBB749_1099
.LBB749_1102:
	s_or_b32 exec_lo, exec_lo, s29
	s_xor_b32 s7, s30, -1
	s_and_not1_b32 s8, s25, exec_lo
	s_and_b32 s7, s7, exec_lo
	s_delay_alu instid0(SALU_CYCLE_1)
	s_or_b32 s25, s8, s7
.LBB749_1103:
	s_or_b32 exec_lo, exec_lo, s28
	s_delay_alu instid0(SALU_CYCLE_1)
	s_or_not1_b32 s25, s25, exec_lo
.LBB749_1104:
	s_or_b32 exec_lo, exec_lo, s27
	v_dual_cndmask_b32 v6, v24, v25, s25 :: v_dual_cndmask_b32 v7, v45, v47, s25
	s_mov_b32 s27, exec_lo
	s_delay_alu instid0(VALU_DEP_1) | instskip(NEXT) | instid1(VALU_DEP_1)
	v_add_nc_u32_e32 v6, 1, v6
	v_add_min_u32_e64 v7, v7, -1, v6
	s_delay_alu instid0(VALU_DEP_1)
	v_lshl_add_u32 v7, v7, 3, v43
	ds_load_b64 v[8:9], v7
	s_wait_dscnt 0x0
	v_dual_cndmask_b32 v7, v9, v13, s25 :: v_dual_cndmask_b32 v28, v6, v24, s25
	v_dual_cndmask_b32 v29, v25, v6, s25 :: v_dual_cndmask_b32 v6, v8, v12, s25
	;; [unrolled: 1-line block ×3, first 2 shown]
	s_delay_alu instid0(VALU_DEP_3)
	v_cmpx_lt_u32_e64 v28, v45
	s_cbranch_execz .LBB749_1112
; %bb.1105:
	s_delay_alu instid0(VALU_DEP_3) | instskip(SKIP_1) | instid1(SALU_CYCLE_1)
	v_cmp_lt_u32_e64 s26, v29, v47
	s_and_b32 s7, s26, s22
	s_and_saveexec_b32 s28, s7
	s_cbranch_execz .LBB749_1111
; %bb.1106:
	v_mul_u64_e32 v[8:9], s[12:13], v[6:7]
	v_mul_u64_e32 v[26:27], s[12:13], v[24:25]
	s_mov_b32 s29, 0
	s_mov_b64 s[8:9], s[12:13]
                                        ; implicit-def: $sgpr30
                                        ; implicit-def: $sgpr31
                                        ; implicit-def: $sgpr33
                                        ; implicit-def: $sgpr34
	s_delay_alu instid0(VALU_DEP_2) | instskip(NEXT) | instid1(VALU_DEP_2)
	v_lshl_add_u64 v[8:9], v[8:9], 3, s[14:15]
	v_lshl_add_u64 v[26:27], v[26:27], 3, s[14:15]
	s_branch .LBB749_1108
.LBB749_1107:                           ;   in Loop: Header=BB749_1108 Depth=1
	s_or_b32 exec_lo, exec_lo, s7
	s_delay_alu instid0(SALU_CYCLE_1) | instskip(NEXT) | instid1(SALU_CYCLE_1)
	s_and_b32 s7, exec_lo, s31
	s_or_b32 s29, s7, s29
	s_and_not1_b32 s7, s34, exec_lo
	s_and_b32 s34, s35, exec_lo
	s_and_not1_b32 s30, s30, exec_lo
	s_and_b32 s35, s33, exec_lo
	s_or_b32 s34, s7, s34
	s_or_b32 s30, s30, s35
	s_and_not1_b32 exec_lo, exec_lo, s29
	s_cbranch_execz .LBB749_1110
.LBB749_1108:                           ; =>This Inner Loop Header: Depth=1
	global_load_b64 v[30:31], v[8:9], off
	global_load_b64 v[32:33], v[26:27], off
	s_and_not1_b32 s33, s33, exec_lo
	s_or_b32 s31, s31, exec_lo
	s_wait_loadcnt 0x0
	v_cmp_ngt_f64_e32 vcc_lo, v[30:31], v[32:33]
	v_cmp_lt_f64_e64 s7, v[30:31], v[32:33]
	s_and_b32 s35, vcc_lo, s34
	s_xor_b32 s37, s7, vcc_lo
	s_or_b32 s35, s7, s35
	s_delay_alu instid0(SALU_CYCLE_1) | instskip(NEXT) | instid1(SALU_CYCLE_1)
	s_and_b32 s36, s35, exec_lo
	s_or_b32 s33, s33, s36
	s_and_saveexec_b32 s7, s37
	s_cbranch_execz .LBB749_1107
; %bb.1109:                             ;   in Loop: Header=BB749_1108 Depth=1
	s_add_nc_u64 s[8:9], s[8:9], -1
	v_add_nc_u64_e32 v[8:9], 8, v[8:9]
	s_cmp_eq_u64 s[8:9], 0
	v_add_nc_u64_e32 v[26:27], 8, v[26:27]
	s_cselect_b32 s34, -1, 0
	s_and_not1_b32 s31, s31, exec_lo
	s_and_b32 s34, s34, exec_lo
	s_and_not1_b32 s33, s33, exec_lo
	s_or_b32 s31, s31, s34
                                        ; implicit-def: $sgpr34
	s_branch .LBB749_1107
.LBB749_1110:
	s_or_b32 exec_lo, exec_lo, s29
	s_xor_b32 s7, s30, -1
	s_and_not1_b32 s8, s26, exec_lo
	s_and_b32 s7, s7, exec_lo
	s_delay_alu instid0(SALU_CYCLE_1)
	s_or_b32 s26, s8, s7
.LBB749_1111:
	s_or_b32 exec_lo, exec_lo, s28
	s_delay_alu instid0(SALU_CYCLE_1)
	s_or_not1_b32 s26, s26, exec_lo
.LBB749_1112:
	s_or_b32 exec_lo, exec_lo, s27
	v_dual_cndmask_b32 v8, v28, v29, s26 :: v_dual_cndmask_b32 v9, v45, v47, s26
	s_mov_b32 s27, -1
	s_mov_b32 s28, -1
	s_mov_b32 s29, exec_lo
	s_delay_alu instid0(VALU_DEP_1) | instskip(NEXT) | instid1(VALU_DEP_1)
	v_add_nc_u32_e32 v8, 1, v8
	v_add_min_u32_e64 v9, v9, -1, v8
	s_delay_alu instid0(VALU_DEP_1)
	v_lshl_add_u32 v9, v9, 3, v43
	ds_load_b64 v[26:27], v9
	s_wait_dscnt 0x0
	v_dual_cndmask_b32 v9, v27, v7, s26 :: v_dual_cndmask_b32 v32, v8, v28, s26
	v_dual_cndmask_b32 v33, v29, v8, s26 :: v_dual_cndmask_b32 v8, v26, v6, s26
	;; [unrolled: 1-line block ×3, first 2 shown]
	s_delay_alu instid0(VALU_DEP_3)
	v_cmpx_lt_u32_e64 v32, v45
	s_cbranch_execz .LBB749_1120
; %bb.1113:
	s_delay_alu instid0(VALU_DEP_3) | instskip(SKIP_1) | instid1(SALU_CYCLE_1)
	v_cmp_lt_u32_e64 s28, v33, v47
	s_and_b32 s7, s28, s22
	s_and_saveexec_b32 s30, s7
	s_cbranch_execz .LBB749_1119
; %bb.1114:
	v_mul_u64_e32 v[28:29], s[12:13], v[8:9]
	v_mul_u64_e32 v[30:31], s[12:13], v[26:27]
	s_mov_b32 s31, 0
	s_mov_b64 s[8:9], s[12:13]
                                        ; implicit-def: $sgpr33
                                        ; implicit-def: $sgpr34
                                        ; implicit-def: $sgpr35
                                        ; implicit-def: $sgpr36
	s_delay_alu instid0(VALU_DEP_2) | instskip(NEXT) | instid1(VALU_DEP_2)
	v_lshl_add_u64 v[28:29], v[28:29], 3, s[14:15]
	v_lshl_add_u64 v[30:31], v[30:31], 3, s[14:15]
	s_branch .LBB749_1116
.LBB749_1115:                           ;   in Loop: Header=BB749_1116 Depth=1
	s_or_b32 exec_lo, exec_lo, s7
	s_delay_alu instid0(SALU_CYCLE_1) | instskip(NEXT) | instid1(SALU_CYCLE_1)
	s_and_b32 s7, exec_lo, s34
	s_or_b32 s31, s7, s31
	s_and_not1_b32 s7, s36, exec_lo
	s_and_b32 s36, s37, exec_lo
	s_and_not1_b32 s33, s33, exec_lo
	s_and_b32 s37, s35, exec_lo
	s_or_b32 s36, s7, s36
	s_or_b32 s33, s33, s37
	s_and_not1_b32 exec_lo, exec_lo, s31
	s_cbranch_execz .LBB749_1118
.LBB749_1116:                           ; =>This Inner Loop Header: Depth=1
	global_load_b64 v[34:35], v[28:29], off
	global_load_b64 v[48:49], v[30:31], off
	s_and_not1_b32 s35, s35, exec_lo
	s_or_b32 s34, s34, exec_lo
	s_wait_loadcnt 0x0
	v_cmp_ngt_f64_e32 vcc_lo, v[34:35], v[48:49]
	v_cmp_lt_f64_e64 s7, v[34:35], v[48:49]
	s_and_b32 s37, vcc_lo, s36
	s_xor_b32 s39, s7, vcc_lo
	s_or_b32 s37, s7, s37
	s_delay_alu instid0(SALU_CYCLE_1) | instskip(NEXT) | instid1(SALU_CYCLE_1)
	s_and_b32 s38, s37, exec_lo
	s_or_b32 s35, s35, s38
	s_and_saveexec_b32 s7, s39
	s_cbranch_execz .LBB749_1115
; %bb.1117:                             ;   in Loop: Header=BB749_1116 Depth=1
	s_add_nc_u64 s[8:9], s[8:9], -1
	v_add_nc_u64_e32 v[28:29], 8, v[28:29]
	s_cmp_eq_u64 s[8:9], 0
	v_add_nc_u64_e32 v[30:31], 8, v[30:31]
	s_cselect_b32 s36, -1, 0
	s_and_not1_b32 s34, s34, exec_lo
	s_and_b32 s36, s36, exec_lo
	s_and_not1_b32 s35, s35, exec_lo
	s_or_b32 s34, s34, s36
                                        ; implicit-def: $sgpr36
	s_branch .LBB749_1115
.LBB749_1118:
	s_or_b32 exec_lo, exec_lo, s31
	s_xor_b32 s7, s33, -1
	s_and_not1_b32 s8, s28, exec_lo
	s_and_b32 s7, s7, exec_lo
	s_delay_alu instid0(SALU_CYCLE_1)
	s_or_b32 s28, s8, s7
.LBB749_1119:
	s_or_b32 exec_lo, exec_lo, s30
	s_delay_alu instid0(SALU_CYCLE_1)
	s_or_not1_b32 s28, s28, exec_lo
.LBB749_1120:
	s_or_b32 exec_lo, exec_lo, s29
	v_dual_cndmask_b32 v28, v32, v33, s28 :: v_dual_cndmask_b32 v29, v45, v47, s28
	s_mov_b32 s29, exec_lo
	s_delay_alu instid0(VALU_DEP_1) | instskip(NEXT) | instid1(VALU_DEP_1)
	v_add_nc_u32_e32 v28, 1, v28
	v_add_min_u32_e64 v29, v29, -1, v28
	s_delay_alu instid0(VALU_DEP_1)
	v_lshl_add_u32 v29, v29, 3, v43
	ds_load_b64 v[30:31], v29
	s_wait_dscnt 0x0
	v_dual_cndmask_b32 v29, v31, v9, s28 :: v_dual_cndmask_b32 v46, v28, v32, s28
	v_dual_cndmask_b32 v31, v27, v31, s28 :: v_dual_cndmask_b32 v44, v33, v28, s28
	v_cndmask_b32_e64 v28, v30, v8, s28
	v_cndmask_b32_e64 v30, v26, v30, s28
	s_delay_alu instid0(VALU_DEP_4)
	v_cmpx_lt_u32_e64 v46, v45
	s_cbranch_execz .LBB749_1128
; %bb.1121:
	v_cmp_lt_u32_e64 s27, v44, v47
	s_and_b32 s7, s27, s22
	s_delay_alu instid0(SALU_CYCLE_1)
	s_and_saveexec_b32 s30, s7
	s_cbranch_execz .LBB749_1127
; %bb.1122:
	v_mul_u64_e32 v[32:33], s[12:13], v[28:29]
	v_mul_u64_e32 v[34:35], s[12:13], v[30:31]
	s_mov_b32 s31, 0
	s_mov_b64 s[8:9], s[12:13]
                                        ; implicit-def: $sgpr33
                                        ; implicit-def: $sgpr34
                                        ; implicit-def: $sgpr35
                                        ; implicit-def: $sgpr36
	s_delay_alu instid0(VALU_DEP_2) | instskip(NEXT) | instid1(VALU_DEP_2)
	v_lshl_add_u64 v[32:33], v[32:33], 3, s[14:15]
	v_lshl_add_u64 v[34:35], v[34:35], 3, s[14:15]
	s_branch .LBB749_1124
.LBB749_1123:                           ;   in Loop: Header=BB749_1124 Depth=1
	s_or_b32 exec_lo, exec_lo, s7
	s_delay_alu instid0(SALU_CYCLE_1) | instskip(NEXT) | instid1(SALU_CYCLE_1)
	s_and_b32 s7, exec_lo, s34
	s_or_b32 s31, s7, s31
	s_and_not1_b32 s7, s36, exec_lo
	s_and_b32 s36, s37, exec_lo
	s_and_not1_b32 s33, s33, exec_lo
	s_and_b32 s37, s35, exec_lo
	s_or_b32 s36, s7, s36
	s_or_b32 s33, s33, s37
	s_and_not1_b32 exec_lo, exec_lo, s31
	s_cbranch_execz .LBB749_1126
.LBB749_1124:                           ; =>This Inner Loop Header: Depth=1
	global_load_b64 v[48:49], v[32:33], off
	global_load_b64 v[50:51], v[34:35], off
	s_and_not1_b32 s35, s35, exec_lo
	s_or_b32 s34, s34, exec_lo
	s_wait_loadcnt 0x0
	v_cmp_ngt_f64_e32 vcc_lo, v[48:49], v[50:51]
	v_cmp_lt_f64_e64 s7, v[48:49], v[50:51]
	s_and_b32 s37, vcc_lo, s36
	s_xor_b32 s39, s7, vcc_lo
	s_or_b32 s37, s7, s37
	s_delay_alu instid0(SALU_CYCLE_1) | instskip(NEXT) | instid1(SALU_CYCLE_1)
	s_and_b32 s38, s37, exec_lo
	s_or_b32 s35, s35, s38
	s_and_saveexec_b32 s7, s39
	s_cbranch_execz .LBB749_1123
; %bb.1125:                             ;   in Loop: Header=BB749_1124 Depth=1
	s_add_nc_u64 s[8:9], s[8:9], -1
	v_add_nc_u64_e32 v[32:33], 8, v[32:33]
	s_cmp_eq_u64 s[8:9], 0
	v_add_nc_u64_e32 v[34:35], 8, v[34:35]
	s_cselect_b32 s36, -1, 0
	s_and_not1_b32 s34, s34, exec_lo
	s_and_b32 s36, s36, exec_lo
	s_and_not1_b32 s35, s35, exec_lo
	s_or_b32 s34, s34, s36
                                        ; implicit-def: $sgpr36
	s_branch .LBB749_1123
.LBB749_1126:
	s_or_b32 exec_lo, exec_lo, s31
	s_xor_b32 s7, s33, -1
	s_and_not1_b32 s8, s27, exec_lo
	s_and_b32 s7, s7, exec_lo
	s_delay_alu instid0(SALU_CYCLE_1)
	s_or_b32 s27, s8, s7
.LBB749_1127:
	s_or_b32 exec_lo, exec_lo, s30
	s_delay_alu instid0(SALU_CYCLE_1)
	s_or_not1_b32 s27, s27, exec_lo
.LBB749_1128:
	s_or_b32 exec_lo, exec_lo, s29
	v_dual_cndmask_b32 v32, v46, v44, s27 :: v_dual_cndmask_b32 v33, v45, v47, s27
	v_dual_cndmask_b32 v8, v8, v26, s28 :: v_dual_cndmask_b32 v7, v7, v25, s26
	v_dual_cndmask_b32 v6, v6, v24, s26 :: v_dual_cndmask_b32 v13, v13, v23, s25
	s_delay_alu instid0(VALU_DEP_3) | instskip(SKIP_2) | instid1(VALU_DEP_3)
	v_dual_add_nc_u32 v34, 1, v32 :: v_dual_cndmask_b32 v9, v9, v27, s28
	v_dual_cndmask_b32 v12, v12, v22, s25 :: v_dual_cndmask_b32 v11, v11, v17, s24
	v_dual_cndmask_b32 v10, v10, v16, s24 :: v_dual_cndmask_b32 v17, v5, v15, s23
	v_add_min_u32_e64 v32, v33, -1, v34
	v_dual_cndmask_b32 v16, v4, v14, s23 :: v_dual_cndmask_b32 v15, v3, v1, s17
	v_dual_cndmask_b32 v14, v2, v0, s17 :: v_dual_cndmask_b32 v3, v29, v31, s27
	s_delay_alu instid0(VALU_DEP_3)
	v_lshl_add_u32 v32, v32, 3, v43
	s_mov_b32 s17, exec_lo
	ds_load_b64 v[32:33], v32
	v_cndmask_b32_e64 v0, v34, v46, s27
	s_wait_dscnt 0x0
	v_dual_cndmask_b32 v2, v28, v30, s27 :: v_dual_cndmask_b32 v4, v30, v32, s27
	v_cndmask_b32_e64 v5, v31, v33, s27
	s_delay_alu instid0(VALU_DEP_3)
	v_cmpx_lt_u32_e64 v0, v45
	s_cbranch_execz .LBB749_1136
; %bb.1129:
	v_dual_cndmask_b32 v22, v44, v34, s27 :: v_dual_cndmask_b32 v1, v33, v29, s27
	s_delay_alu instid0(VALU_DEP_1) | instskip(NEXT) | instid1(VALU_DEP_2)
	v_cmp_ge_u32_e32 vcc_lo, v22, v47
	v_dual_cndmask_b32 v0, v32, v28, s27 :: v_dual_cndmask_b32 v23, v5, v1, vcc_lo
	s_delay_alu instid0(VALU_DEP_1) | instskip(SKIP_1) | instid1(SALU_CYCLE_1)
	v_cndmask_b32_e32 v22, v4, v0, vcc_lo
	s_nor_b32 s7, vcc_lo, s19
	s_and_saveexec_b32 s23, s7
	s_cbranch_execz .LBB749_1135
; %bb.1130:
	v_mul_u64_e32 v[22:23], s[12:13], v[0:1]
	v_mul_u64_e32 v[24:25], s[12:13], v[4:5]
	s_mov_b32 s24, 0
	s_mov_b64 s[8:9], s[12:13]
                                        ; implicit-def: $sgpr25
                                        ; implicit-def: $sgpr26
                                        ; implicit-def: $sgpr27
                                        ; implicit-def: $sgpr28
	s_delay_alu instid0(VALU_DEP_2) | instskip(NEXT) | instid1(VALU_DEP_2)
	v_lshl_add_u64 v[22:23], v[22:23], 3, s[14:15]
	v_lshl_add_u64 v[24:25], v[24:25], 3, s[14:15]
	s_branch .LBB749_1132
.LBB749_1131:                           ;   in Loop: Header=BB749_1132 Depth=1
	s_or_b32 exec_lo, exec_lo, s7
	s_delay_alu instid0(SALU_CYCLE_1) | instskip(NEXT) | instid1(SALU_CYCLE_1)
	s_and_b32 s7, exec_lo, s26
	s_or_b32 s24, s7, s24
	s_and_not1_b32 s7, s28, exec_lo
	s_and_b32 s28, s29, exec_lo
	s_and_not1_b32 s25, s25, exec_lo
	s_and_b32 s29, s27, exec_lo
	s_or_b32 s28, s7, s28
	s_or_b32 s25, s25, s29
	s_and_not1_b32 exec_lo, exec_lo, s24
	s_cbranch_execz .LBB749_1134
.LBB749_1132:                           ; =>This Inner Loop Header: Depth=1
	global_load_b64 v[26:27], v[22:23], off
	global_load_b64 v[28:29], v[24:25], off
	s_and_not1_b32 s27, s27, exec_lo
	s_or_b32 s26, s26, exec_lo
	s_wait_loadcnt 0x0
	v_cmp_ngt_f64_e32 vcc_lo, v[26:27], v[28:29]
	v_cmp_lt_f64_e64 s7, v[26:27], v[28:29]
	s_and_b32 s29, vcc_lo, s28
	s_xor_b32 s31, s7, vcc_lo
	s_or_b32 s29, s7, s29
	s_delay_alu instid0(SALU_CYCLE_1) | instskip(NEXT) | instid1(SALU_CYCLE_1)
	s_and_b32 s30, s29, exec_lo
	s_or_b32 s27, s27, s30
	s_and_saveexec_b32 s7, s31
	s_cbranch_execz .LBB749_1131
; %bb.1133:                             ;   in Loop: Header=BB749_1132 Depth=1
	s_add_nc_u64 s[8:9], s[8:9], -1
	v_add_nc_u64_e32 v[22:23], 8, v[22:23]
	s_cmp_eq_u64 s[8:9], 0
	v_add_nc_u64_e32 v[24:25], 8, v[24:25]
	s_cselect_b32 s28, -1, 0
	s_and_not1_b32 s26, s26, exec_lo
	s_and_b32 s28, s28, exec_lo
	s_and_not1_b32 s27, s27, exec_lo
	s_or_b32 s26, s26, s28
                                        ; implicit-def: $sgpr28
	s_branch .LBB749_1131
.LBB749_1134:
	s_or_b32 exec_lo, exec_lo, s24
	v_dual_cndmask_b32 v23, v5, v1, s25 :: v_dual_cndmask_b32 v22, v4, v0, s25
.LBB749_1135:
	s_or_b32 exec_lo, exec_lo, s23
	s_delay_alu instid0(VALU_DEP_1)
	v_mov_b64_e32 v[4:5], v[22:23]
.LBB749_1136:
	s_or_b32 exec_lo, exec_lo, s17
.LBB749_1137:
	s_delay_alu instid0(SALU_CYCLE_1)
	s_or_b32 exec_lo, exec_lo, s16
	s_cmp_lt_u32 s21, 0x81
	; wave barrier
	s_wait_dscnt 0x0
	s_barrier_signal -1
	s_barrier_wait -1
	s_cbranch_scc1 .LBB749_1218
; %bb.1138:
	v_lshlrev_b32_e32 v24, 3, v20
	s_lshl_b64 s[16:17], s[12:13], 3
	s_movk_i32 s23, 0x80
	s_branch .LBB749_1143
.LBB749_1139:                           ;   in Loop: Header=BB749_1143 Depth=1
	s_or_b32 exec_lo, exec_lo, s35
	v_dual_cndmask_b32 v7, v5, v26, s36 :: v_dual_cndmask_b32 v6, v4, v48, s36
.LBB749_1140:                           ;   in Loop: Header=BB749_1143 Depth=1
	s_or_b32 exec_lo, exec_lo, s34
	s_delay_alu instid0(VALU_DEP_1)
	v_mov_b64_e32 v[4:5], v[6:7]
.LBB749_1141:                           ;   in Loop: Header=BB749_1143 Depth=1
	s_or_b32 exec_lo, exec_lo, s33
	v_dual_cndmask_b32 v9, v33, v35, s31 :: v_dual_cndmask_b32 v6, v30, v32, s29
	v_dual_cndmask_b32 v8, v34, v43, s31 :: v_dual_cndmask_b32 v13, v12, v13, s28
	;; [unrolled: 1-line block ×3, first 2 shown]
	v_cndmask_b32_e64 v11, v10, v11, s27
	v_dual_cndmask_b32 v10, v17, v23, s27 :: v_dual_cndmask_b32 v17, v14, v16, s26
	v_cndmask_b32_e64 v16, v15, v22, s26
	v_dual_cndmask_b32 v15, v3, v1, s25 :: v_dual_cndmask_b32 v14, v2, v0, s25
	v_dual_cndmask_b32 v3, v44, v46, s30 :: v_dual_cndmask_b32 v2, v45, v47, s30
.LBB749_1142:                           ;   in Loop: Header=BB749_1143 Depth=1
	s_or_b32 exec_lo, exec_lo, s24
	s_cmp_lt_u32 s23, s21
	s_barrier_signal -1
	s_barrier_wait -1
	s_cbranch_scc0 .LBB749_1218
.LBB749_1143:                           ; =>This Loop Header: Depth=1
                                        ;     Child Loop BB749_1147 Depth 2
                                        ;       Child Loop BB749_1150 Depth 3
                                        ;     Child Loop BB749_1161 Depth 2
                                        ;     Child Loop BB749_1168 Depth 2
	;; [unrolled: 1-line block ×8, first 2 shown]
	s_mov_b32 s7, s23
	s_lshl_b32 s23, s23, 1
	s_mov_b32 s24, exec_lo
	s_sub_co_i32 s8, 0, s23
	ds_store_b128 v24, v[14:17]
	ds_store_b128 v24, v[10:13] offset:16
	ds_store_b128 v24, v[6:9] offset:32
	;; [unrolled: 1-line block ×3, first 2 shown]
	v_and_b32_e32 v29, s8, v20
	s_add_co_i32 s8, s23, -1
	s_wait_dscnt 0x0
	s_barrier_signal -1
	s_barrier_wait -1
	v_add_min_u32_e64 v25, v29, s7, s21
	s_delay_alu instid0(VALU_DEP_1) | instskip(NEXT) | instid1(VALU_DEP_1)
	v_add_min_u32_e64 v26, v25, s7, s21
	v_dual_sub_nc_u32 v1, v26, v25 :: v_dual_bitop2_b32 v0, s8, v20 bitop3:0x40
	v_lshlrev_b32_e32 v28, 3, v29
	s_delay_alu instid0(VALU_DEP_2) | instskip(SKIP_1) | instid1(VALU_DEP_2)
	v_min_u32_e32 v30, s21, v0
	v_sub_nc_u32_e32 v0, v25, v29
	v_sub_nc_u32_e64 v27, v30, v1 clamp
	s_delay_alu instid0(VALU_DEP_2) | instskip(NEXT) | instid1(VALU_DEP_1)
	v_min_u32_e32 v31, v30, v0
	v_cmpx_lt_u32_e64 v27, v31
	s_cbranch_execz .LBB749_1153
; %bb.1144:                             ;   in Loop: Header=BB749_1143 Depth=1
	v_lshlrev_b32_e32 v0, 3, v30
	s_mov_b32 s25, 0
	s_delay_alu instid0(VALU_DEP_1)
	v_lshl_add_u32 v32, v25, 3, v0
	s_branch .LBB749_1147
.LBB749_1145:                           ;   in Loop: Header=BB749_1147 Depth=2
	s_or_b32 exec_lo, exec_lo, s27
.LBB749_1146:                           ;   in Loop: Header=BB749_1147 Depth=2
	s_delay_alu instid0(VALU_DEP_1) | instskip(NEXT) | instid1(VALU_DEP_1)
	v_dual_add_nc_u32 v0, 1, v33 :: v_dual_cndmask_b32 v31, v31, v33, s26
	v_cndmask_b32_e64 v27, v0, v27, s26
	s_delay_alu instid0(VALU_DEP_1) | instskip(SKIP_1) | instid1(SALU_CYCLE_1)
	v_cmp_ge_u32_e32 vcc_lo, v27, v31
	s_or_b32 s25, vcc_lo, s25
	s_and_not1_b32 exec_lo, exec_lo, s25
	s_cbranch_execz .LBB749_1152
.LBB749_1147:                           ;   Parent Loop BB749_1143 Depth=1
                                        ; =>  This Loop Header: Depth=2
                                        ;       Child Loop BB749_1150 Depth 3
	v_add_nc_u32_e32 v0, v31, v27
	s_and_not1_b32 vcc_lo, exec_lo, s18
	s_mov_b32 s26, 0
	s_delay_alu instid0(VALU_DEP_1)
	v_lshrrev_b32_e32 v33, 1, v0
	s_cbranch_vccnz .LBB749_1146
; %bb.1148:                             ;   in Loop: Header=BB749_1147 Depth=2
	s_delay_alu instid0(VALU_DEP_1) | instskip(SKIP_3) | instid1(VALU_DEP_2)
	v_not_b32_e32 v0, v33
	v_lshl_add_u32 v1, v33, 3, v28
	s_mov_b32 s27, 0
	s_mov_b64 s[8:9], s[12:13]
                                        ; implicit-def: $sgpr26
                                        ; implicit-def: $sgpr28
                                        ; implicit-def: $sgpr29
                                        ; implicit-def: $sgpr30
	v_lshl_add_u32 v0, v0, 3, v32
	ds_load_b64 v[34:35], v0
	ds_load_b64 v[44:45], v1
	s_wait_dscnt 0x1
	v_mad_nc_u64_u32 v[0:1], s16, v34, s[14:15]
	s_wait_dscnt 0x0
	v_mad_nc_u64_u32 v[22:23], s16, v44, s[14:15]
	s_delay_alu instid0(VALU_DEP_2) | instskip(NEXT) | instid1(VALU_DEP_2)
	v_mad_u32 v1, s17, v34, v1
	v_mad_u32 v23, s17, v44, v23
	s_delay_alu instid0(VALU_DEP_2) | instskip(NEXT) | instid1(VALU_DEP_2)
	v_mad_u32 v1, s16, v35, v1
	v_mad_u32 v23, s16, v45, v23
	s_branch .LBB749_1150
.LBB749_1149:                           ;   in Loop: Header=BB749_1150 Depth=3
	s_or_b32 exec_lo, exec_lo, s7
	s_delay_alu instid0(SALU_CYCLE_1) | instskip(NEXT) | instid1(SALU_CYCLE_1)
	s_and_b32 s7, exec_lo, s28
	s_or_b32 s27, s7, s27
	s_and_not1_b32 s7, s30, exec_lo
	s_and_b32 s30, s31, exec_lo
	s_and_not1_b32 s26, s26, exec_lo
	s_and_b32 s31, s29, exec_lo
	s_or_b32 s30, s7, s30
	s_or_b32 s26, s26, s31
	s_and_not1_b32 exec_lo, exec_lo, s27
	s_cbranch_execz .LBB749_1145
.LBB749_1150:                           ;   Parent Loop BB749_1143 Depth=1
                                        ;     Parent Loop BB749_1147 Depth=2
                                        ; =>    This Inner Loop Header: Depth=3
	global_load_b64 v[34:35], v[0:1], off
	global_load_b64 v[44:45], v[22:23], off
	s_and_not1_b32 s29, s29, exec_lo
	s_or_b32 s28, s28, exec_lo
	s_wait_loadcnt 0x0
	v_cmp_ngt_f64_e32 vcc_lo, v[34:35], v[44:45]
	v_cmp_lt_f64_e64 s7, v[34:35], v[44:45]
	s_and_b32 s31, vcc_lo, s30
	s_xor_b32 s34, s7, vcc_lo
	s_or_b32 s31, s7, s31
	s_delay_alu instid0(SALU_CYCLE_1) | instskip(NEXT) | instid1(SALU_CYCLE_1)
	s_and_b32 s33, s31, exec_lo
	s_or_b32 s29, s29, s33
	s_and_saveexec_b32 s7, s34
	s_cbranch_execz .LBB749_1149
; %bb.1151:                             ;   in Loop: Header=BB749_1150 Depth=3
	s_add_nc_u64 s[8:9], s[8:9], -1
	v_add_nc_u64_e32 v[0:1], 8, v[0:1]
	s_cmp_eq_u64 s[8:9], 0
	v_add_nc_u64_e32 v[22:23], 8, v[22:23]
	s_cselect_b32 s30, -1, 0
	s_and_not1_b32 s28, s28, exec_lo
	s_and_b32 s30, s30, exec_lo
	s_and_not1_b32 s29, s29, exec_lo
	s_or_b32 s28, s28, s30
                                        ; implicit-def: $sgpr30
	s_branch .LBB749_1149
.LBB749_1152:                           ;   in Loop: Header=BB749_1143 Depth=1
	s_or_b32 exec_lo, exec_lo, s25
.LBB749_1153:                           ;   in Loop: Header=BB749_1143 Depth=1
	s_delay_alu instid0(SALU_CYCLE_1) | instskip(SKIP_1) | instid1(VALU_DEP_1)
	s_or_b32 exec_lo, exec_lo, s24
	v_dual_sub_nc_u32 v0, v30, v27 :: v_dual_add_nc_u32 v22, v27, v29
	v_add_nc_u32_e32 v23, v0, v25
	s_delay_alu instid0(VALU_DEP_2) | instskip(NEXT) | instid1(VALU_DEP_2)
	v_cmp_le_u32_e32 vcc_lo, v22, v25
	v_cmp_le_u32_e64 s7, v23, v26
	s_or_b32 s7, vcc_lo, s7
	s_delay_alu instid0(SALU_CYCLE_1)
	s_and_saveexec_b32 s24, s7
	s_cbranch_execz .LBB749_1142
; %bb.1154:                             ;   in Loop: Header=BB749_1143 Depth=1
	s_mov_b32 s8, exec_lo
	v_cmp_ge_u32_e32 vcc_lo, v22, v25
                                        ; implicit-def: $vgpr0_vgpr1
	v_cmpx_lt_u32_e64 v22, v25
; %bb.1155:                             ;   in Loop: Header=BB749_1143 Depth=1
	v_lshl_add_u32 v0, v27, 3, v28
	ds_load_b64 v[0:1], v0
; %bb.1156:                             ;   in Loop: Header=BB749_1143 Depth=1
	s_or_b32 exec_lo, exec_lo, s8
	v_cmp_ge_u32_e64 s7, v23, v26
	s_mov_b32 s9, exec_lo
                                        ; implicit-def: $vgpr2_vgpr3
	v_cmpx_lt_u32_e64 v23, v26
; %bb.1157:                             ;   in Loop: Header=BB749_1143 Depth=1
	v_lshlrev_b32_e32 v2, 3, v23
	ds_load_b64 v[2:3], v2
; %bb.1158:                             ;   in Loop: Header=BB749_1143 Depth=1
	s_or_b32 exec_lo, exec_lo, s9
	s_or_b32 s8, vcc_lo, s7
	s_xor_b32 s9, vcc_lo, -1
	s_nor_b32 s8, s8, s19
	s_or_b32 s25, s7, s9
	s_and_saveexec_b32 s26, s8
	s_cbranch_execz .LBB749_1164
; %bb.1159:                             ;   in Loop: Header=BB749_1143 Depth=1
	s_wait_dscnt 0x0
	v_mad_nc_u64_u32 v[4:5], s16, v2, s[14:15]
	v_mad_nc_u64_u32 v[6:7], s16, v0, s[14:15]
	s_mov_b32 s27, 0
	s_mov_b64 s[8:9], s[12:13]
                                        ; implicit-def: $sgpr28
                                        ; implicit-def: $sgpr29
                                        ; implicit-def: $sgpr30
                                        ; implicit-def: $sgpr31
	s_delay_alu instid0(VALU_DEP_2) | instskip(NEXT) | instid1(VALU_DEP_2)
	v_mad_u32 v5, s17, v2, v5
	v_mad_u32 v7, s17, v0, v7
	s_delay_alu instid0(VALU_DEP_2) | instskip(NEXT) | instid1(VALU_DEP_2)
	v_mad_u32 v5, s16, v3, v5
	v_mad_u32 v7, s16, v1, v7
	s_branch .LBB749_1161
.LBB749_1160:                           ;   in Loop: Header=BB749_1161 Depth=2
	s_or_b32 exec_lo, exec_lo, s7
	s_delay_alu instid0(SALU_CYCLE_1) | instskip(NEXT) | instid1(SALU_CYCLE_1)
	s_and_b32 s7, exec_lo, s29
	s_or_b32 s27, s7, s27
	s_and_not1_b32 s7, s31, exec_lo
	s_and_b32 s31, s33, exec_lo
	s_and_not1_b32 s28, s28, exec_lo
	s_and_b32 s33, s30, exec_lo
	s_or_b32 s31, s7, s31
	s_or_b32 s28, s28, s33
	s_and_not1_b32 exec_lo, exec_lo, s27
	s_cbranch_execz .LBB749_1163
.LBB749_1161:                           ;   Parent Loop BB749_1143 Depth=1
                                        ; =>  This Inner Loop Header: Depth=2
	global_load_b64 v[8:9], v[4:5], off
	global_load_b64 v[10:11], v[6:7], off
	s_and_not1_b32 s30, s30, exec_lo
	s_or_b32 s29, s29, exec_lo
	s_wait_loadcnt 0x0
	v_cmp_ngt_f64_e32 vcc_lo, v[8:9], v[10:11]
	v_cmp_lt_f64_e64 s7, v[8:9], v[10:11]
	s_and_b32 s33, vcc_lo, s31
	s_xor_b32 s35, s7, vcc_lo
	s_or_b32 s33, s7, s33
	s_delay_alu instid0(SALU_CYCLE_1) | instskip(NEXT) | instid1(SALU_CYCLE_1)
	s_and_b32 s34, s33, exec_lo
	s_or_b32 s30, s30, s34
	s_and_saveexec_b32 s7, s35
	s_cbranch_execz .LBB749_1160
; %bb.1162:                             ;   in Loop: Header=BB749_1161 Depth=2
	s_add_nc_u64 s[8:9], s[8:9], -1
	v_add_nc_u64_e32 v[4:5], 8, v[4:5]
	s_cmp_eq_u64 s[8:9], 0
	v_add_nc_u64_e32 v[6:7], 8, v[6:7]
	s_cselect_b32 s31, -1, 0
	s_and_not1_b32 s29, s29, exec_lo
	s_and_b32 s31, s31, exec_lo
	s_and_not1_b32 s30, s30, exec_lo
	s_or_b32 s29, s29, s31
                                        ; implicit-def: $sgpr31
	s_branch .LBB749_1160
.LBB749_1163:                           ;   in Loop: Header=BB749_1143 Depth=1
	s_or_b32 exec_lo, exec_lo, s27
	s_xor_b32 s7, s28, -1
	s_and_not1_b32 s8, s25, exec_lo
	s_and_b32 s7, s7, exec_lo
	s_delay_alu instid0(SALU_CYCLE_1)
	s_or_b32 s25, s8, s7
.LBB749_1164:                           ;   in Loop: Header=BB749_1143 Depth=1
	s_or_b32 exec_lo, exec_lo, s26
	v_dual_cndmask_b32 v4, v23, v22, s25 :: v_dual_cndmask_b32 v5, v26, v25, s25
	s_mov_b32 s27, -1
	s_mov_b32 s26, -1
	s_mov_b32 s28, exec_lo
	s_delay_alu instid0(VALU_DEP_1) | instskip(NEXT) | instid1(VALU_DEP_1)
	v_add_nc_u32_e32 v6, 1, v4
	v_add_min_u32_e64 v4, v5, -1, v6
	s_delay_alu instid0(VALU_DEP_1)
	v_lshlrev_b32_e32 v4, 3, v4
	ds_load_b64 v[4:5], v4
	v_cndmask_b32_e64 v8, v6, v23, s25
	s_wait_dscnt 0x0
	v_dual_cndmask_b32 v9, v22, v6, s25 :: v_dual_cndmask_b32 v14, v5, v3, s25
	v_dual_cndmask_b32 v15, v4, v2, s25 :: v_dual_cndmask_b32 v16, v1, v5, s25
	v_cndmask_b32_e64 v22, v0, v4, s25
	v_cmpx_lt_u32_e64 v8, v26
	s_cbranch_execz .LBB749_1172
; %bb.1165:                             ;   in Loop: Header=BB749_1143 Depth=1
	v_cmp_lt_u32_e64 s26, v9, v25
	s_and_b32 s7, s26, s22
	s_delay_alu instid0(SALU_CYCLE_1)
	s_and_saveexec_b32 s29, s7
	s_cbranch_execz .LBB749_1171
; %bb.1166:                             ;   in Loop: Header=BB749_1143 Depth=1
	v_mad_nc_u64_u32 v[4:5], s16, v15, s[14:15]
	v_mad_nc_u64_u32 v[6:7], s16, v22, s[14:15]
	s_mov_b32 s30, 0
	s_mov_b64 s[8:9], s[12:13]
                                        ; implicit-def: $sgpr31
                                        ; implicit-def: $sgpr33
                                        ; implicit-def: $sgpr34
                                        ; implicit-def: $sgpr35
	s_delay_alu instid0(VALU_DEP_2) | instskip(NEXT) | instid1(VALU_DEP_2)
	v_mad_u32 v5, s17, v15, v5
	v_mad_u32 v7, s17, v22, v7
	s_delay_alu instid0(VALU_DEP_2) | instskip(NEXT) | instid1(VALU_DEP_2)
	v_mad_u32 v5, s16, v14, v5
	v_mad_u32 v7, s16, v16, v7
	s_branch .LBB749_1168
.LBB749_1167:                           ;   in Loop: Header=BB749_1168 Depth=2
	s_or_b32 exec_lo, exec_lo, s7
	s_delay_alu instid0(SALU_CYCLE_1) | instskip(NEXT) | instid1(SALU_CYCLE_1)
	s_and_b32 s7, exec_lo, s33
	s_or_b32 s30, s7, s30
	s_and_not1_b32 s7, s35, exec_lo
	s_and_b32 s35, s36, exec_lo
	s_and_not1_b32 s31, s31, exec_lo
	s_and_b32 s36, s34, exec_lo
	s_or_b32 s35, s7, s35
	s_or_b32 s31, s31, s36
	s_and_not1_b32 exec_lo, exec_lo, s30
	s_cbranch_execz .LBB749_1170
.LBB749_1168:                           ;   Parent Loop BB749_1143 Depth=1
                                        ; =>  This Inner Loop Header: Depth=2
	global_load_b64 v[10:11], v[4:5], off
	global_load_b64 v[12:13], v[6:7], off
	s_and_not1_b32 s34, s34, exec_lo
	s_or_b32 s33, s33, exec_lo
	s_wait_loadcnt 0x0
	v_cmp_ngt_f64_e32 vcc_lo, v[10:11], v[12:13]
	v_cmp_lt_f64_e64 s7, v[10:11], v[12:13]
	s_and_b32 s36, vcc_lo, s35
	s_xor_b32 s38, s7, vcc_lo
	s_or_b32 s36, s7, s36
	s_delay_alu instid0(SALU_CYCLE_1) | instskip(NEXT) | instid1(SALU_CYCLE_1)
	s_and_b32 s37, s36, exec_lo
	s_or_b32 s34, s34, s37
	s_and_saveexec_b32 s7, s38
	s_cbranch_execz .LBB749_1167
; %bb.1169:                             ;   in Loop: Header=BB749_1168 Depth=2
	s_add_nc_u64 s[8:9], s[8:9], -1
	v_add_nc_u64_e32 v[4:5], 8, v[4:5]
	s_cmp_eq_u64 s[8:9], 0
	v_add_nc_u64_e32 v[6:7], 8, v[6:7]
	s_cselect_b32 s35, -1, 0
	s_and_not1_b32 s33, s33, exec_lo
	s_and_b32 s35, s35, exec_lo
	s_and_not1_b32 s34, s34, exec_lo
	s_or_b32 s33, s33, s35
                                        ; implicit-def: $sgpr35
	s_branch .LBB749_1167
.LBB749_1170:                           ;   in Loop: Header=BB749_1143 Depth=1
	s_or_b32 exec_lo, exec_lo, s30
	s_xor_b32 s7, s31, -1
	s_and_not1_b32 s8, s26, exec_lo
	s_and_b32 s7, s7, exec_lo
	s_delay_alu instid0(SALU_CYCLE_1)
	s_or_b32 s26, s8, s7
.LBB749_1171:                           ;   in Loop: Header=BB749_1143 Depth=1
	s_or_b32 exec_lo, exec_lo, s29
	s_delay_alu instid0(SALU_CYCLE_1)
	s_or_not1_b32 s26, s26, exec_lo
.LBB749_1172:                           ;   in Loop: Header=BB749_1143 Depth=1
	s_or_b32 exec_lo, exec_lo, s28
	v_cndmask_b32_e64 v4, v8, v9, s26
	v_cndmask_b32_e64 v5, v26, v25, s26
	s_mov_b32 s28, exec_lo
	s_delay_alu instid0(VALU_DEP_2) | instskip(NEXT) | instid1(VALU_DEP_1)
	v_add_nc_u32_e32 v6, 1, v4
	v_add_min_u32_e64 v4, v5, -1, v6
	v_dual_cndmask_b32 v8, v6, v8, s26 :: v_dual_cndmask_b32 v9, v9, v6, s26
	s_delay_alu instid0(VALU_DEP_2)
	v_lshlrev_b32_e32 v4, 3, v4
	ds_load_b64 v[4:5], v4
	s_wait_dscnt 0x0
	v_dual_cndmask_b32 v10, v5, v14, s26 :: v_dual_cndmask_b32 v17, v4, v15, s26
	v_dual_cndmask_b32 v11, v16, v5, s26 :: v_dual_cndmask_b32 v23, v22, v4, s26
	v_cmpx_lt_u32_e64 v8, v26
	s_cbranch_execz .LBB749_1180
; %bb.1173:                             ;   in Loop: Header=BB749_1143 Depth=1
	v_cmp_lt_u32_e64 s27, v9, v25
	s_and_b32 s7, s27, s22
	s_delay_alu instid0(SALU_CYCLE_1)
	s_and_saveexec_b32 s29, s7
	s_cbranch_execz .LBB749_1179
; %bb.1174:                             ;   in Loop: Header=BB749_1143 Depth=1
	v_mad_nc_u64_u32 v[4:5], s16, v17, s[14:15]
	v_mad_nc_u64_u32 v[6:7], s16, v23, s[14:15]
	s_mov_b32 s30, 0
	s_mov_b64 s[8:9], s[12:13]
                                        ; implicit-def: $sgpr31
                                        ; implicit-def: $sgpr33
                                        ; implicit-def: $sgpr34
                                        ; implicit-def: $sgpr35
	s_delay_alu instid0(VALU_DEP_2) | instskip(NEXT) | instid1(VALU_DEP_2)
	v_mad_u32 v5, s17, v17, v5
	v_mad_u32 v7, s17, v23, v7
	s_delay_alu instid0(VALU_DEP_2) | instskip(NEXT) | instid1(VALU_DEP_2)
	v_mad_u32 v5, s16, v10, v5
	v_mad_u32 v7, s16, v11, v7
	s_branch .LBB749_1176
.LBB749_1175:                           ;   in Loop: Header=BB749_1176 Depth=2
	s_or_b32 exec_lo, exec_lo, s7
	s_delay_alu instid0(SALU_CYCLE_1) | instskip(NEXT) | instid1(SALU_CYCLE_1)
	s_and_b32 s7, exec_lo, s33
	s_or_b32 s30, s7, s30
	s_and_not1_b32 s7, s35, exec_lo
	s_and_b32 s35, s36, exec_lo
	s_and_not1_b32 s31, s31, exec_lo
	s_and_b32 s36, s34, exec_lo
	s_or_b32 s35, s7, s35
	s_or_b32 s31, s31, s36
	s_and_not1_b32 exec_lo, exec_lo, s30
	s_cbranch_execz .LBB749_1178
.LBB749_1176:                           ;   Parent Loop BB749_1143 Depth=1
                                        ; =>  This Inner Loop Header: Depth=2
	global_load_b64 v[12:13], v[4:5], off
	global_load_b64 v[28:29], v[6:7], off
	s_and_not1_b32 s34, s34, exec_lo
	s_or_b32 s33, s33, exec_lo
	s_wait_loadcnt 0x0
	v_cmp_ngt_f64_e32 vcc_lo, v[12:13], v[28:29]
	v_cmp_lt_f64_e64 s7, v[12:13], v[28:29]
	s_and_b32 s36, vcc_lo, s35
	s_xor_b32 s38, s7, vcc_lo
	s_or_b32 s36, s7, s36
	s_delay_alu instid0(SALU_CYCLE_1) | instskip(NEXT) | instid1(SALU_CYCLE_1)
	s_and_b32 s37, s36, exec_lo
	s_or_b32 s34, s34, s37
	s_and_saveexec_b32 s7, s38
	s_cbranch_execz .LBB749_1175
; %bb.1177:                             ;   in Loop: Header=BB749_1176 Depth=2
	s_add_nc_u64 s[8:9], s[8:9], -1
	v_add_nc_u64_e32 v[4:5], 8, v[4:5]
	s_cmp_eq_u64 s[8:9], 0
	v_add_nc_u64_e32 v[6:7], 8, v[6:7]
	s_cselect_b32 s35, -1, 0
	s_and_not1_b32 s33, s33, exec_lo
	s_and_b32 s35, s35, exec_lo
	s_and_not1_b32 s34, s34, exec_lo
	s_or_b32 s33, s33, s35
                                        ; implicit-def: $sgpr35
	s_branch .LBB749_1175
.LBB749_1178:                           ;   in Loop: Header=BB749_1143 Depth=1
	s_or_b32 exec_lo, exec_lo, s30
	s_xor_b32 s7, s31, -1
	s_and_not1_b32 s8, s27, exec_lo
	s_and_b32 s7, s7, exec_lo
	s_delay_alu instid0(SALU_CYCLE_1)
	s_or_b32 s27, s8, s7
.LBB749_1179:                           ;   in Loop: Header=BB749_1143 Depth=1
	s_or_b32 exec_lo, exec_lo, s29
	s_delay_alu instid0(SALU_CYCLE_1)
	s_or_not1_b32 s27, s27, exec_lo
.LBB749_1180:                           ;   in Loop: Header=BB749_1143 Depth=1
	s_or_b32 exec_lo, exec_lo, s28
	v_cndmask_b32_e64 v4, v8, v9, s27
	v_cndmask_b32_e64 v5, v26, v25, s27
	s_mov_b32 s29, -1
	s_mov_b32 s28, -1
	s_mov_b32 s30, exec_lo
	v_add_nc_u32_e32 v6, 1, v4
	s_delay_alu instid0(VALU_DEP_1) | instskip(SKIP_1) | instid1(VALU_DEP_2)
	v_add_min_u32_e64 v4, v5, -1, v6
	v_dual_cndmask_b32 v8, v6, v8, s27 :: v_dual_cndmask_b32 v9, v9, v6, s27
	v_lshlrev_b32_e32 v4, 3, v4
	ds_load_b64 v[4:5], v4
	s_wait_dscnt 0x0
	v_dual_cndmask_b32 v12, v5, v10, s27 :: v_dual_cndmask_b32 v27, v4, v17, s27
	v_cndmask_b32_e64 v13, v11, v5, s27
	v_cndmask_b32_e64 v28, v23, v4, s27
	v_cmpx_lt_u32_e64 v8, v26
	s_cbranch_execz .LBB749_1188
; %bb.1181:                             ;   in Loop: Header=BB749_1143 Depth=1
	v_cmp_lt_u32_e64 s28, v9, v25
	s_and_b32 s7, s28, s22
	s_delay_alu instid0(SALU_CYCLE_1)
	s_and_saveexec_b32 s31, s7
	s_cbranch_execz .LBB749_1187
; %bb.1182:                             ;   in Loop: Header=BB749_1143 Depth=1
	v_mad_nc_u64_u32 v[4:5], s16, v27, s[14:15]
	v_mad_nc_u64_u32 v[6:7], s16, v28, s[14:15]
	s_mov_b32 s33, 0
	s_mov_b64 s[8:9], s[12:13]
                                        ; implicit-def: $sgpr34
                                        ; implicit-def: $sgpr35
                                        ; implicit-def: $sgpr36
                                        ; implicit-def: $sgpr37
	s_delay_alu instid0(VALU_DEP_2) | instskip(NEXT) | instid1(VALU_DEP_2)
	v_mad_u32 v5, s17, v27, v5
	v_mad_u32 v7, s17, v28, v7
	s_delay_alu instid0(VALU_DEP_2) | instskip(NEXT) | instid1(VALU_DEP_2)
	v_mad_u32 v5, s16, v12, v5
	v_mad_u32 v7, s16, v13, v7
	s_branch .LBB749_1184
.LBB749_1183:                           ;   in Loop: Header=BB749_1184 Depth=2
	s_or_b32 exec_lo, exec_lo, s7
	s_delay_alu instid0(SALU_CYCLE_1) | instskip(NEXT) | instid1(SALU_CYCLE_1)
	s_and_b32 s7, exec_lo, s35
	s_or_b32 s33, s7, s33
	s_and_not1_b32 s7, s37, exec_lo
	s_and_b32 s37, s38, exec_lo
	s_and_not1_b32 s34, s34, exec_lo
	s_and_b32 s38, s36, exec_lo
	s_or_b32 s37, s7, s37
	s_or_b32 s34, s34, s38
	s_and_not1_b32 exec_lo, exec_lo, s33
	s_cbranch_execz .LBB749_1186
.LBB749_1184:                           ;   Parent Loop BB749_1143 Depth=1
                                        ; =>  This Inner Loop Header: Depth=2
	global_load_b64 v[30:31], v[4:5], off
	global_load_b64 v[32:33], v[6:7], off
	s_and_not1_b32 s36, s36, exec_lo
	s_or_b32 s35, s35, exec_lo
	s_wait_loadcnt 0x0
	v_cmp_ngt_f64_e32 vcc_lo, v[30:31], v[32:33]
	v_cmp_lt_f64_e64 s7, v[30:31], v[32:33]
	s_and_b32 s38, vcc_lo, s37
	s_xor_b32 s40, s7, vcc_lo
	s_or_b32 s38, s7, s38
	s_delay_alu instid0(SALU_CYCLE_1) | instskip(NEXT) | instid1(SALU_CYCLE_1)
	s_and_b32 s39, s38, exec_lo
	s_or_b32 s36, s36, s39
	s_and_saveexec_b32 s7, s40
	s_cbranch_execz .LBB749_1183
; %bb.1185:                             ;   in Loop: Header=BB749_1184 Depth=2
	s_add_nc_u64 s[8:9], s[8:9], -1
	v_add_nc_u64_e32 v[4:5], 8, v[4:5]
	s_cmp_eq_u64 s[8:9], 0
	v_add_nc_u64_e32 v[6:7], 8, v[6:7]
	s_cselect_b32 s37, -1, 0
	s_and_not1_b32 s35, s35, exec_lo
	s_and_b32 s37, s37, exec_lo
	s_and_not1_b32 s36, s36, exec_lo
	s_or_b32 s35, s35, s37
                                        ; implicit-def: $sgpr37
	s_branch .LBB749_1183
.LBB749_1186:                           ;   in Loop: Header=BB749_1143 Depth=1
	s_or_b32 exec_lo, exec_lo, s33
	s_xor_b32 s7, s34, -1
	s_and_not1_b32 s8, s28, exec_lo
	s_and_b32 s7, s7, exec_lo
	s_delay_alu instid0(SALU_CYCLE_1)
	s_or_b32 s28, s8, s7
.LBB749_1187:                           ;   in Loop: Header=BB749_1143 Depth=1
	s_or_b32 exec_lo, exec_lo, s31
	s_delay_alu instid0(SALU_CYCLE_1)
	s_or_not1_b32 s28, s28, exec_lo
.LBB749_1188:                           ;   in Loop: Header=BB749_1143 Depth=1
	s_or_b32 exec_lo, exec_lo, s30
	v_cndmask_b32_e64 v4, v8, v9, s28
	v_cndmask_b32_e64 v5, v26, v25, s28
	s_mov_b32 s30, exec_lo
	s_delay_alu instid0(VALU_DEP_2) | instskip(NEXT) | instid1(VALU_DEP_1)
	v_add_nc_u32_e32 v6, 1, v4
	v_add_min_u32_e64 v4, v5, -1, v6
	v_dual_cndmask_b32 v8, v6, v8, s28 :: v_dual_cndmask_b32 v9, v9, v6, s28
	s_delay_alu instid0(VALU_DEP_2)
	v_lshlrev_b32_e32 v4, 3, v4
	ds_load_b64 v[4:5], v4
	s_wait_dscnt 0x0
	v_dual_cndmask_b32 v29, v5, v12, s28 :: v_dual_cndmask_b32 v30, v4, v27, s28
	v_dual_cndmask_b32 v31, v13, v5, s28 :: v_dual_cndmask_b32 v32, v28, v4, s28
	v_cmpx_lt_u32_e64 v8, v26
	s_cbranch_execz .LBB749_1196
; %bb.1189:                             ;   in Loop: Header=BB749_1143 Depth=1
	v_cmp_lt_u32_e64 s29, v9, v25
	s_and_b32 s7, s29, s22
	s_delay_alu instid0(SALU_CYCLE_1)
	s_and_saveexec_b32 s31, s7
	s_cbranch_execz .LBB749_1195
; %bb.1190:                             ;   in Loop: Header=BB749_1143 Depth=1
	v_mad_nc_u64_u32 v[4:5], s16, v30, s[14:15]
	v_mad_nc_u64_u32 v[6:7], s16, v32, s[14:15]
	s_mov_b32 s33, 0
	s_mov_b64 s[8:9], s[12:13]
                                        ; implicit-def: $sgpr34
                                        ; implicit-def: $sgpr35
                                        ; implicit-def: $sgpr36
                                        ; implicit-def: $sgpr37
	s_delay_alu instid0(VALU_DEP_2) | instskip(NEXT) | instid1(VALU_DEP_2)
	v_mad_u32 v5, s17, v30, v5
	v_mad_u32 v7, s17, v32, v7
	s_delay_alu instid0(VALU_DEP_2) | instskip(NEXT) | instid1(VALU_DEP_2)
	v_mad_u32 v5, s16, v29, v5
	v_mad_u32 v7, s16, v31, v7
	s_branch .LBB749_1192
.LBB749_1191:                           ;   in Loop: Header=BB749_1192 Depth=2
	s_or_b32 exec_lo, exec_lo, s7
	s_delay_alu instid0(SALU_CYCLE_1) | instskip(NEXT) | instid1(SALU_CYCLE_1)
	s_and_b32 s7, exec_lo, s35
	s_or_b32 s33, s7, s33
	s_and_not1_b32 s7, s37, exec_lo
	s_and_b32 s37, s38, exec_lo
	s_and_not1_b32 s34, s34, exec_lo
	s_and_b32 s38, s36, exec_lo
	s_or_b32 s37, s7, s37
	s_or_b32 s34, s34, s38
	s_and_not1_b32 exec_lo, exec_lo, s33
	s_cbranch_execz .LBB749_1194
.LBB749_1192:                           ;   Parent Loop BB749_1143 Depth=1
                                        ; =>  This Inner Loop Header: Depth=2
	global_load_b64 v[34:35], v[4:5], off
	global_load_b64 v[44:45], v[6:7], off
	s_and_not1_b32 s36, s36, exec_lo
	s_or_b32 s35, s35, exec_lo
	s_wait_loadcnt 0x0
	v_cmp_ngt_f64_e32 vcc_lo, v[34:35], v[44:45]
	v_cmp_lt_f64_e64 s7, v[34:35], v[44:45]
	s_and_b32 s38, vcc_lo, s37
	s_xor_b32 s40, s7, vcc_lo
	s_or_b32 s38, s7, s38
	s_delay_alu instid0(SALU_CYCLE_1) | instskip(NEXT) | instid1(SALU_CYCLE_1)
	s_and_b32 s39, s38, exec_lo
	s_or_b32 s36, s36, s39
	s_and_saveexec_b32 s7, s40
	s_cbranch_execz .LBB749_1191
; %bb.1193:                             ;   in Loop: Header=BB749_1192 Depth=2
	s_add_nc_u64 s[8:9], s[8:9], -1
	v_add_nc_u64_e32 v[4:5], 8, v[4:5]
	s_cmp_eq_u64 s[8:9], 0
	v_add_nc_u64_e32 v[6:7], 8, v[6:7]
	s_cselect_b32 s37, -1, 0
	s_and_not1_b32 s35, s35, exec_lo
	s_and_b32 s37, s37, exec_lo
	s_and_not1_b32 s36, s36, exec_lo
	s_or_b32 s35, s35, s37
                                        ; implicit-def: $sgpr37
	s_branch .LBB749_1191
.LBB749_1194:                           ;   in Loop: Header=BB749_1143 Depth=1
	s_or_b32 exec_lo, exec_lo, s33
	s_xor_b32 s7, s34, -1
	s_and_not1_b32 s8, s29, exec_lo
	s_and_b32 s7, s7, exec_lo
	s_delay_alu instid0(SALU_CYCLE_1)
	s_or_b32 s29, s8, s7
.LBB749_1195:                           ;   in Loop: Header=BB749_1143 Depth=1
	s_or_b32 exec_lo, exec_lo, s31
	s_delay_alu instid0(SALU_CYCLE_1)
	s_or_not1_b32 s29, s29, exec_lo
.LBB749_1196:                           ;   in Loop: Header=BB749_1143 Depth=1
	s_or_b32 exec_lo, exec_lo, s30
	v_cndmask_b32_e64 v4, v8, v9, s29
	v_cndmask_b32_e64 v5, v26, v25, s29
	s_mov_b32 s30, -1
	s_mov_b32 s31, -1
	s_mov_b32 s33, exec_lo
	v_add_nc_u32_e32 v6, 1, v4
	s_delay_alu instid0(VALU_DEP_1) | instskip(SKIP_1) | instid1(VALU_DEP_2)
	v_add_min_u32_e64 v4, v5, -1, v6
	v_dual_cndmask_b32 v8, v6, v8, s29 :: v_dual_cndmask_b32 v9, v9, v6, s29
	v_lshlrev_b32_e32 v4, 3, v4
	ds_load_b64 v[4:5], v4
	s_wait_dscnt 0x0
	v_dual_cndmask_b32 v33, v5, v29, s29 :: v_dual_cndmask_b32 v34, v4, v30, s29
	v_dual_cndmask_b32 v35, v31, v5, s29 :: v_dual_cndmask_b32 v43, v32, v4, s29
	v_cmpx_lt_u32_e64 v8, v26
	s_cbranch_execz .LBB749_1204
; %bb.1197:                             ;   in Loop: Header=BB749_1143 Depth=1
	v_cmp_lt_u32_e64 s31, v9, v25
	s_and_b32 s7, s31, s22
	s_delay_alu instid0(SALU_CYCLE_1)
	s_and_saveexec_b32 s34, s7
	s_cbranch_execz .LBB749_1203
; %bb.1198:                             ;   in Loop: Header=BB749_1143 Depth=1
	v_mad_nc_u64_u32 v[4:5], s16, v34, s[14:15]
	v_mad_nc_u64_u32 v[6:7], s16, v43, s[14:15]
	s_mov_b32 s35, 0
	s_mov_b64 s[8:9], s[12:13]
                                        ; implicit-def: $sgpr36
                                        ; implicit-def: $sgpr37
                                        ; implicit-def: $sgpr38
                                        ; implicit-def: $sgpr39
	s_delay_alu instid0(VALU_DEP_2) | instskip(NEXT) | instid1(VALU_DEP_2)
	v_mad_u32 v5, s17, v34, v5
	v_mad_u32 v7, s17, v43, v7
	s_delay_alu instid0(VALU_DEP_2) | instskip(NEXT) | instid1(VALU_DEP_2)
	v_mad_u32 v5, s16, v33, v5
	v_mad_u32 v7, s16, v35, v7
	s_branch .LBB749_1200
.LBB749_1199:                           ;   in Loop: Header=BB749_1200 Depth=2
	s_or_b32 exec_lo, exec_lo, s7
	s_delay_alu instid0(SALU_CYCLE_1) | instskip(NEXT) | instid1(SALU_CYCLE_1)
	s_and_b32 s7, exec_lo, s37
	s_or_b32 s35, s7, s35
	s_and_not1_b32 s7, s39, exec_lo
	s_and_b32 s39, s40, exec_lo
	s_and_not1_b32 s36, s36, exec_lo
	s_and_b32 s40, s38, exec_lo
	s_or_b32 s39, s7, s39
	s_or_b32 s36, s36, s40
	s_and_not1_b32 exec_lo, exec_lo, s35
	s_cbranch_execz .LBB749_1202
.LBB749_1200:                           ;   Parent Loop BB749_1143 Depth=1
                                        ; =>  This Inner Loop Header: Depth=2
	global_load_b64 v[44:45], v[4:5], off
	global_load_b64 v[46:47], v[6:7], off
	s_and_not1_b32 s38, s38, exec_lo
	s_or_b32 s37, s37, exec_lo
	s_wait_loadcnt 0x0
	v_cmp_ngt_f64_e32 vcc_lo, v[44:45], v[46:47]
	v_cmp_lt_f64_e64 s7, v[44:45], v[46:47]
	s_and_b32 s40, vcc_lo, s39
	s_xor_b32 s42, s7, vcc_lo
	s_or_b32 s40, s7, s40
	s_delay_alu instid0(SALU_CYCLE_1) | instskip(NEXT) | instid1(SALU_CYCLE_1)
	s_and_b32 s41, s40, exec_lo
	s_or_b32 s38, s38, s41
	s_and_saveexec_b32 s7, s42
	s_cbranch_execz .LBB749_1199
; %bb.1201:                             ;   in Loop: Header=BB749_1200 Depth=2
	s_add_nc_u64 s[8:9], s[8:9], -1
	v_add_nc_u64_e32 v[4:5], 8, v[4:5]
	s_cmp_eq_u64 s[8:9], 0
	v_add_nc_u64_e32 v[6:7], 8, v[6:7]
	s_cselect_b32 s39, -1, 0
	s_and_not1_b32 s37, s37, exec_lo
	s_and_b32 s39, s39, exec_lo
	s_and_not1_b32 s38, s38, exec_lo
	s_or_b32 s37, s37, s39
                                        ; implicit-def: $sgpr39
	s_branch .LBB749_1199
.LBB749_1202:                           ;   in Loop: Header=BB749_1143 Depth=1
	s_or_b32 exec_lo, exec_lo, s35
	s_xor_b32 s7, s36, -1
	s_and_not1_b32 s8, s31, exec_lo
	s_and_b32 s7, s7, exec_lo
	s_delay_alu instid0(SALU_CYCLE_1)
	s_or_b32 s31, s8, s7
.LBB749_1203:                           ;   in Loop: Header=BB749_1143 Depth=1
	s_or_b32 exec_lo, exec_lo, s34
	s_delay_alu instid0(SALU_CYCLE_1)
	s_or_not1_b32 s31, s31, exec_lo
.LBB749_1204:                           ;   in Loop: Header=BB749_1143 Depth=1
	s_or_b32 exec_lo, exec_lo, s33
	v_cndmask_b32_e64 v4, v8, v9, s31
	v_cndmask_b32_e64 v5, v26, v25, s31
	s_mov_b32 s33, exec_lo
	s_delay_alu instid0(VALU_DEP_2) | instskip(NEXT) | instid1(VALU_DEP_1)
	v_add_nc_u32_e32 v6, 1, v4
	v_add_min_u32_e64 v4, v5, -1, v6
	v_dual_cndmask_b32 v48, v6, v8, s31 :: v_dual_cndmask_b32 v8, v9, v6, s31
	s_delay_alu instid0(VALU_DEP_2)
	v_lshlrev_b32_e32 v4, 3, v4
	ds_load_b64 v[4:5], v4
	s_wait_dscnt 0x0
	v_dual_cndmask_b32 v44, v5, v33, s31 :: v_dual_cndmask_b32 v45, v4, v34, s31
	v_cndmask_b32_e64 v46, v35, v5, s31
	v_cndmask_b32_e64 v47, v43, v4, s31
	v_cmpx_lt_u32_e64 v48, v26
	s_cbranch_execz .LBB749_1212
; %bb.1205:                             ;   in Loop: Header=BB749_1143 Depth=1
	v_cmp_lt_u32_e64 s30, v8, v25
	s_and_b32 s7, s30, s22
	s_delay_alu instid0(SALU_CYCLE_1)
	s_and_saveexec_b32 s34, s7
	s_cbranch_execz .LBB749_1211
; %bb.1206:                             ;   in Loop: Header=BB749_1143 Depth=1
	v_mad_nc_u64_u32 v[4:5], s16, v45, s[14:15]
	v_mad_nc_u64_u32 v[6:7], s16, v47, s[14:15]
	s_mov_b32 s35, 0
	s_mov_b64 s[8:9], s[12:13]
                                        ; implicit-def: $sgpr36
                                        ; implicit-def: $sgpr37
                                        ; implicit-def: $sgpr38
                                        ; implicit-def: $sgpr39
	s_delay_alu instid0(VALU_DEP_2) | instskip(NEXT) | instid1(VALU_DEP_2)
	v_mad_u32 v5, s17, v45, v5
	v_mad_u32 v7, s17, v47, v7
	s_delay_alu instid0(VALU_DEP_2) | instskip(NEXT) | instid1(VALU_DEP_2)
	v_mad_u32 v5, s16, v44, v5
	v_mad_u32 v7, s16, v46, v7
	s_branch .LBB749_1208
.LBB749_1207:                           ;   in Loop: Header=BB749_1208 Depth=2
	s_or_b32 exec_lo, exec_lo, s7
	s_delay_alu instid0(SALU_CYCLE_1) | instskip(NEXT) | instid1(SALU_CYCLE_1)
	s_and_b32 s7, exec_lo, s37
	s_or_b32 s35, s7, s35
	s_and_not1_b32 s7, s39, exec_lo
	s_and_b32 s39, s40, exec_lo
	s_and_not1_b32 s36, s36, exec_lo
	s_and_b32 s40, s38, exec_lo
	s_or_b32 s39, s7, s39
	s_or_b32 s36, s36, s40
	s_and_not1_b32 exec_lo, exec_lo, s35
	s_cbranch_execz .LBB749_1210
.LBB749_1208:                           ;   Parent Loop BB749_1143 Depth=1
                                        ; =>  This Inner Loop Header: Depth=2
	global_load_b64 v[50:51], v[4:5], off
	global_load_b64 v[52:53], v[6:7], off
	s_and_not1_b32 s38, s38, exec_lo
	s_or_b32 s37, s37, exec_lo
	s_wait_loadcnt 0x0
	v_cmp_ngt_f64_e32 vcc_lo, v[50:51], v[52:53]
	v_cmp_lt_f64_e64 s7, v[50:51], v[52:53]
	s_and_b32 s40, vcc_lo, s39
	s_xor_b32 s42, s7, vcc_lo
	s_or_b32 s40, s7, s40
	s_delay_alu instid0(SALU_CYCLE_1) | instskip(NEXT) | instid1(SALU_CYCLE_1)
	s_and_b32 s41, s40, exec_lo
	s_or_b32 s38, s38, s41
	s_and_saveexec_b32 s7, s42
	s_cbranch_execz .LBB749_1207
; %bb.1209:                             ;   in Loop: Header=BB749_1208 Depth=2
	s_add_nc_u64 s[8:9], s[8:9], -1
	v_add_nc_u64_e32 v[4:5], 8, v[4:5]
	s_cmp_eq_u64 s[8:9], 0
	v_add_nc_u64_e32 v[6:7], 8, v[6:7]
	s_cselect_b32 s39, -1, 0
	s_and_not1_b32 s37, s37, exec_lo
	s_and_b32 s39, s39, exec_lo
	s_and_not1_b32 s38, s38, exec_lo
	s_or_b32 s37, s37, s39
                                        ; implicit-def: $sgpr39
	s_branch .LBB749_1207
.LBB749_1210:                           ;   in Loop: Header=BB749_1143 Depth=1
	s_or_b32 exec_lo, exec_lo, s35
	s_xor_b32 s7, s36, -1
	s_and_not1_b32 s8, s30, exec_lo
	s_and_b32 s7, s7, exec_lo
	s_delay_alu instid0(SALU_CYCLE_1)
	s_or_b32 s30, s8, s7
.LBB749_1211:                           ;   in Loop: Header=BB749_1143 Depth=1
	s_or_b32 exec_lo, exec_lo, s34
	s_delay_alu instid0(SALU_CYCLE_1)
	s_or_not1_b32 s30, s30, exec_lo
.LBB749_1212:                           ;   in Loop: Header=BB749_1143 Depth=1
	s_or_b32 exec_lo, exec_lo, s33
	v_dual_cndmask_b32 v4, v48, v8, s30 :: v_dual_cndmask_b32 v5, v26, v25, s30
	s_mov_b32 s33, exec_lo
	s_delay_alu instid0(VALU_DEP_1) | instskip(NEXT) | instid1(VALU_DEP_1)
	v_add_nc_u32_e32 v9, 1, v4
	v_add_min_u32_e64 v4, v5, -1, v9
	s_delay_alu instid0(VALU_DEP_1) | instskip(SKIP_4) | instid1(VALU_DEP_2)
	v_lshlrev_b32_e32 v4, 3, v4
	ds_load_b64 v[6:7], v4
	s_wait_dscnt 0x0
	v_dual_cndmask_b32 v48, v9, v48, s30 :: v_dual_cndmask_b32 v5, v46, v7, s30
	v_cndmask_b32_e64 v4, v47, v6, s30
	v_cmpx_lt_u32_e64 v48, v26
	s_cbranch_execz .LBB749_1141
; %bb.1213:                             ;   in Loop: Header=BB749_1143 Depth=1
	v_dual_cndmask_b32 v8, v8, v9, s30 :: v_dual_cndmask_b32 v26, v7, v44, s30
	s_delay_alu instid0(VALU_DEP_1) | instskip(NEXT) | instid1(VALU_DEP_2)
	v_cmp_ge_u32_e32 vcc_lo, v8, v25
	v_dual_cndmask_b32 v48, v6, v45, s30 :: v_dual_cndmask_b32 v7, v5, v26, vcc_lo
	s_delay_alu instid0(VALU_DEP_1) | instskip(SKIP_1) | instid1(SALU_CYCLE_1)
	v_cndmask_b32_e32 v6, v4, v48, vcc_lo
	s_nor_b32 s7, vcc_lo, s19
	s_and_saveexec_b32 s34, s7
	s_cbranch_execz .LBB749_1140
; %bb.1214:                             ;   in Loop: Header=BB749_1143 Depth=1
	v_mad_nc_u64_u32 v[6:7], s16, v48, s[14:15]
	v_mad_nc_u64_u32 v[8:9], s16, v4, s[14:15]
	s_mov_b32 s35, 0
	s_mov_b64 s[8:9], s[12:13]
                                        ; implicit-def: $sgpr36
                                        ; implicit-def: $sgpr37
                                        ; implicit-def: $sgpr38
                                        ; implicit-def: $sgpr39
	s_delay_alu instid0(VALU_DEP_2) | instskip(NEXT) | instid1(VALU_DEP_2)
	v_mad_u32 v7, s17, v48, v7
	v_mad_u32 v9, s17, v4, v9
	s_delay_alu instid0(VALU_DEP_2) | instskip(NEXT) | instid1(VALU_DEP_2)
	v_mad_u32 v7, s16, v26, v7
	v_mad_u32 v9, s16, v5, v9
	s_branch .LBB749_1216
.LBB749_1215:                           ;   in Loop: Header=BB749_1216 Depth=2
	s_or_b32 exec_lo, exec_lo, s7
	s_delay_alu instid0(SALU_CYCLE_1) | instskip(NEXT) | instid1(SALU_CYCLE_1)
	s_and_b32 s7, exec_lo, s37
	s_or_b32 s35, s7, s35
	s_and_not1_b32 s7, s39, exec_lo
	s_and_b32 s39, s40, exec_lo
	s_and_not1_b32 s36, s36, exec_lo
	s_and_b32 s40, s38, exec_lo
	s_or_b32 s39, s7, s39
	s_or_b32 s36, s36, s40
	s_and_not1_b32 exec_lo, exec_lo, s35
	s_cbranch_execz .LBB749_1139
.LBB749_1216:                           ;   Parent Loop BB749_1143 Depth=1
                                        ; =>  This Inner Loop Header: Depth=2
	global_load_b64 v[50:51], v[6:7], off
	global_load_b64 v[52:53], v[8:9], off
	s_and_not1_b32 s38, s38, exec_lo
	s_or_b32 s37, s37, exec_lo
	s_wait_loadcnt 0x0
	v_cmp_ngt_f64_e32 vcc_lo, v[50:51], v[52:53]
	v_cmp_lt_f64_e64 s7, v[50:51], v[52:53]
	s_and_b32 s40, vcc_lo, s39
	s_xor_b32 s42, s7, vcc_lo
	s_or_b32 s40, s7, s40
	s_delay_alu instid0(SALU_CYCLE_1) | instskip(NEXT) | instid1(SALU_CYCLE_1)
	s_and_b32 s41, s40, exec_lo
	s_or_b32 s38, s38, s41
	s_and_saveexec_b32 s7, s42
	s_cbranch_execz .LBB749_1215
; %bb.1217:                             ;   in Loop: Header=BB749_1216 Depth=2
	s_add_nc_u64 s[8:9], s[8:9], -1
	v_add_nc_u64_e32 v[6:7], 8, v[6:7]
	s_cmp_eq_u64 s[8:9], 0
	v_add_nc_u64_e32 v[8:9], 8, v[8:9]
	s_cselect_b32 s39, -1, 0
	s_and_not1_b32 s37, s37, exec_lo
	s_and_b32 s39, s39, exec_lo
	s_and_not1_b32 s38, s38, exec_lo
	s_or_b32 s37, s37, s39
                                        ; implicit-def: $sgpr39
	s_branch .LBB749_1215
.LBB749_1218:
	s_barrier_signal -1
	s_barrier_wait -1
	ds_store_2addr_b64 v42, v[14:15], v[16:17] offset1:1
	ds_store_2addr_b64 v42, v[10:11], v[12:13] offset0:2 offset1:3
	ds_store_2addr_b64 v42, v[6:7], v[8:9] offset0:4 offset1:5
	;; [unrolled: 1-line block ×3, first 2 shown]
	s_wait_dscnt 0x0
	s_barrier_signal -1
	s_barrier_wait -1
	ds_load_b64 v[14:15], v21 offset:2048
	ds_load_b64 v[12:13], v36 offset:4096
	ds_load_b64 v[10:11], v37 offset:6144
	ds_load_b64 v[8:9], v38 offset:8192
	ds_load_b64 v[6:7], v39 offset:10240
	ds_load_b64 v[0:1], v40 offset:12288
	ds_load_b64 v[2:3], v41 offset:14336
	v_mov_b32_e32 v21, 0
	s_delay_alu instid0(VALU_DEP_1)
	v_add_nc_u64_e32 v[4:5], s[10:11], v[20:21]
	s_and_saveexec_b32 s7, s0
	s_cbranch_execnz .LBB749_1230
; %bb.1219:
	s_or_b32 exec_lo, exec_lo, s7
	s_and_saveexec_b32 s0, s1
	s_cbranch_execnz .LBB749_1231
.LBB749_1220:
	s_or_b32 exec_lo, exec_lo, s0
	s_and_saveexec_b32 s0, s2
	s_cbranch_execnz .LBB749_1232
.LBB749_1221:
	s_or_b32 exec_lo, exec_lo, s0
	s_and_saveexec_b32 s0, s3
	s_cbranch_execnz .LBB749_1233
.LBB749_1222:
	s_or_b32 exec_lo, exec_lo, s0
	s_and_saveexec_b32 s0, s4
	s_cbranch_execnz .LBB749_1234
.LBB749_1223:
	s_or_b32 exec_lo, exec_lo, s0
	s_and_saveexec_b32 s0, s5
	s_cbranch_execnz .LBB749_1235
.LBB749_1224:
	s_or_b32 exec_lo, exec_lo, s0
	s_and_saveexec_b32 s0, s6
	s_cbranch_execz .LBB749_1226
.LBB749_1225:
	s_wait_dscnt 0x1
	global_store_b64 v[4:5], v[0:1], off offset:12288
.LBB749_1226:
	s_wait_xcnt 0x0
	s_or_b32 exec_lo, exec_lo, s0
	v_mov_b32_e32 v19, v21
.LBB749_1227:
	s_wait_xcnt 0x0
	s_and_saveexec_b32 s0, s20
	s_cbranch_execz .LBB749_1229
; %bb.1228:
	s_wait_dscnt 0x1
	v_lshl_add_u64 v[0:1], v[18:19], 3, s[10:11]
	s_wait_dscnt 0x0
	global_store_b64 v[0:1], v[2:3], off offset:14336
.LBB749_1229:
	s_endpgm
.LBB749_1230:
	ds_load_b64 v[16:17], v19
	s_wait_dscnt 0x0
	global_store_b64 v[4:5], v[16:17], off
	s_wait_xcnt 0x0
	s_or_b32 exec_lo, exec_lo, s7
	s_and_saveexec_b32 s0, s1
	s_cbranch_execz .LBB749_1220
.LBB749_1231:
	s_wait_dscnt 0x6
	global_store_b64 v[4:5], v[14:15], off offset:2048
	s_wait_xcnt 0x0
	s_or_b32 exec_lo, exec_lo, s0
	s_and_saveexec_b32 s0, s2
	s_cbranch_execz .LBB749_1221
.LBB749_1232:
	s_wait_dscnt 0x5
	global_store_b64 v[4:5], v[12:13], off offset:4096
	s_wait_xcnt 0x0
	s_or_b32 exec_lo, exec_lo, s0
	s_and_saveexec_b32 s0, s3
	s_cbranch_execz .LBB749_1222
.LBB749_1233:
	s_wait_dscnt 0x4
	global_store_b64 v[4:5], v[10:11], off offset:6144
	s_wait_xcnt 0x0
	s_or_b32 exec_lo, exec_lo, s0
	s_and_saveexec_b32 s0, s4
	s_cbranch_execz .LBB749_1223
.LBB749_1234:
	s_wait_dscnt 0x3
	global_store_b64 v[4:5], v[8:9], off offset:8192
	s_wait_xcnt 0x0
	s_or_b32 exec_lo, exec_lo, s0
	s_and_saveexec_b32 s0, s5
	s_cbranch_execz .LBB749_1224
.LBB749_1235:
	s_wait_dscnt 0x2
	global_store_b64 v[4:5], v[6:7], off offset:10240
	s_wait_xcnt 0x0
	s_or_b32 exec_lo, exec_lo, s0
	s_and_saveexec_b32 s0, s6
	s_cbranch_execnz .LBB749_1225
	s_branch .LBB749_1226
	.section	.rodata,"a",@progbits
	.p2align	6, 0x0
	.amdhsa_kernel _ZN7rocprim17ROCPRIM_400000_NS6detail17trampoline_kernelINS0_14default_configENS1_37merge_sort_block_sort_config_selectorIlNS0_10empty_typeEEEZNS1_21merge_sort_block_sortIS3_PlS8_PS5_S9_ZN2at6native12_GLOBAL__N_124unique_dim_cuda_templateIdEESt5tupleIJNSA_6TensorESF_SF_EERKSF_lbbbEUlllE_EE10hipError_tT0_T1_T2_T3_mRjT4_P12ihipStream_tbNS1_7vsmem_tEEUlT_E_NS1_11comp_targetILNS1_3genE0ELNS1_11target_archE4294967295ELNS1_3gpuE0ELNS1_3repE0EEENS1_30default_config_static_selectorELNS0_4arch9wavefront6targetE0EEEvSM_
		.amdhsa_group_segment_fixed_size 16896
		.amdhsa_private_segment_fixed_size 0
		.amdhsa_kernarg_size 328
		.amdhsa_user_sgpr_count 2
		.amdhsa_user_sgpr_dispatch_ptr 0
		.amdhsa_user_sgpr_queue_ptr 0
		.amdhsa_user_sgpr_kernarg_segment_ptr 1
		.amdhsa_user_sgpr_dispatch_id 0
		.amdhsa_user_sgpr_kernarg_preload_length 0
		.amdhsa_user_sgpr_kernarg_preload_offset 0
		.amdhsa_user_sgpr_private_segment_size 0
		.amdhsa_wavefront_size32 1
		.amdhsa_uses_dynamic_stack 0
		.amdhsa_enable_private_segment 0
		.amdhsa_system_sgpr_workgroup_id_x 1
		.amdhsa_system_sgpr_workgroup_id_y 1
		.amdhsa_system_sgpr_workgroup_id_z 1
		.amdhsa_system_sgpr_workgroup_info 0
		.amdhsa_system_vgpr_workitem_id 2
		.amdhsa_next_free_vgpr 58
		.amdhsa_next_free_sgpr 43
		.amdhsa_named_barrier_count 0
		.amdhsa_reserve_vcc 1
		.amdhsa_float_round_mode_32 0
		.amdhsa_float_round_mode_16_64 0
		.amdhsa_float_denorm_mode_32 3
		.amdhsa_float_denorm_mode_16_64 3
		.amdhsa_fp16_overflow 0
		.amdhsa_memory_ordered 1
		.amdhsa_forward_progress 1
		.amdhsa_inst_pref_size 255
		.amdhsa_round_robin_scheduling 0
		.amdhsa_exception_fp_ieee_invalid_op 0
		.amdhsa_exception_fp_denorm_src 0
		.amdhsa_exception_fp_ieee_div_zero 0
		.amdhsa_exception_fp_ieee_overflow 0
		.amdhsa_exception_fp_ieee_underflow 0
		.amdhsa_exception_fp_ieee_inexact 0
		.amdhsa_exception_int_div_zero 0
	.end_amdhsa_kernel
	.section	.text._ZN7rocprim17ROCPRIM_400000_NS6detail17trampoline_kernelINS0_14default_configENS1_37merge_sort_block_sort_config_selectorIlNS0_10empty_typeEEEZNS1_21merge_sort_block_sortIS3_PlS8_PS5_S9_ZN2at6native12_GLOBAL__N_124unique_dim_cuda_templateIdEESt5tupleIJNSA_6TensorESF_SF_EERKSF_lbbbEUlllE_EE10hipError_tT0_T1_T2_T3_mRjT4_P12ihipStream_tbNS1_7vsmem_tEEUlT_E_NS1_11comp_targetILNS1_3genE0ELNS1_11target_archE4294967295ELNS1_3gpuE0ELNS1_3repE0EEENS1_30default_config_static_selectorELNS0_4arch9wavefront6targetE0EEEvSM_,"axG",@progbits,_ZN7rocprim17ROCPRIM_400000_NS6detail17trampoline_kernelINS0_14default_configENS1_37merge_sort_block_sort_config_selectorIlNS0_10empty_typeEEEZNS1_21merge_sort_block_sortIS3_PlS8_PS5_S9_ZN2at6native12_GLOBAL__N_124unique_dim_cuda_templateIdEESt5tupleIJNSA_6TensorESF_SF_EERKSF_lbbbEUlllE_EE10hipError_tT0_T1_T2_T3_mRjT4_P12ihipStream_tbNS1_7vsmem_tEEUlT_E_NS1_11comp_targetILNS1_3genE0ELNS1_11target_archE4294967295ELNS1_3gpuE0ELNS1_3repE0EEENS1_30default_config_static_selectorELNS0_4arch9wavefront6targetE0EEEvSM_,comdat
.Lfunc_end749:
	.size	_ZN7rocprim17ROCPRIM_400000_NS6detail17trampoline_kernelINS0_14default_configENS1_37merge_sort_block_sort_config_selectorIlNS0_10empty_typeEEEZNS1_21merge_sort_block_sortIS3_PlS8_PS5_S9_ZN2at6native12_GLOBAL__N_124unique_dim_cuda_templateIdEESt5tupleIJNSA_6TensorESF_SF_EERKSF_lbbbEUlllE_EE10hipError_tT0_T1_T2_T3_mRjT4_P12ihipStream_tbNS1_7vsmem_tEEUlT_E_NS1_11comp_targetILNS1_3genE0ELNS1_11target_archE4294967295ELNS1_3gpuE0ELNS1_3repE0EEENS1_30default_config_static_selectorELNS0_4arch9wavefront6targetE0EEEvSM_, .Lfunc_end749-_ZN7rocprim17ROCPRIM_400000_NS6detail17trampoline_kernelINS0_14default_configENS1_37merge_sort_block_sort_config_selectorIlNS0_10empty_typeEEEZNS1_21merge_sort_block_sortIS3_PlS8_PS5_S9_ZN2at6native12_GLOBAL__N_124unique_dim_cuda_templateIdEESt5tupleIJNSA_6TensorESF_SF_EERKSF_lbbbEUlllE_EE10hipError_tT0_T1_T2_T3_mRjT4_P12ihipStream_tbNS1_7vsmem_tEEUlT_E_NS1_11comp_targetILNS1_3genE0ELNS1_11target_archE4294967295ELNS1_3gpuE0ELNS1_3repE0EEENS1_30default_config_static_selectorELNS0_4arch9wavefront6targetE0EEEvSM_
                                        ; -- End function
	.set _ZN7rocprim17ROCPRIM_400000_NS6detail17trampoline_kernelINS0_14default_configENS1_37merge_sort_block_sort_config_selectorIlNS0_10empty_typeEEEZNS1_21merge_sort_block_sortIS3_PlS8_PS5_S9_ZN2at6native12_GLOBAL__N_124unique_dim_cuda_templateIdEESt5tupleIJNSA_6TensorESF_SF_EERKSF_lbbbEUlllE_EE10hipError_tT0_T1_T2_T3_mRjT4_P12ihipStream_tbNS1_7vsmem_tEEUlT_E_NS1_11comp_targetILNS1_3genE0ELNS1_11target_archE4294967295ELNS1_3gpuE0ELNS1_3repE0EEENS1_30default_config_static_selectorELNS0_4arch9wavefront6targetE0EEEvSM_.num_vgpr, 58
	.set _ZN7rocprim17ROCPRIM_400000_NS6detail17trampoline_kernelINS0_14default_configENS1_37merge_sort_block_sort_config_selectorIlNS0_10empty_typeEEEZNS1_21merge_sort_block_sortIS3_PlS8_PS5_S9_ZN2at6native12_GLOBAL__N_124unique_dim_cuda_templateIdEESt5tupleIJNSA_6TensorESF_SF_EERKSF_lbbbEUlllE_EE10hipError_tT0_T1_T2_T3_mRjT4_P12ihipStream_tbNS1_7vsmem_tEEUlT_E_NS1_11comp_targetILNS1_3genE0ELNS1_11target_archE4294967295ELNS1_3gpuE0ELNS1_3repE0EEENS1_30default_config_static_selectorELNS0_4arch9wavefront6targetE0EEEvSM_.num_agpr, 0
	.set _ZN7rocprim17ROCPRIM_400000_NS6detail17trampoline_kernelINS0_14default_configENS1_37merge_sort_block_sort_config_selectorIlNS0_10empty_typeEEEZNS1_21merge_sort_block_sortIS3_PlS8_PS5_S9_ZN2at6native12_GLOBAL__N_124unique_dim_cuda_templateIdEESt5tupleIJNSA_6TensorESF_SF_EERKSF_lbbbEUlllE_EE10hipError_tT0_T1_T2_T3_mRjT4_P12ihipStream_tbNS1_7vsmem_tEEUlT_E_NS1_11comp_targetILNS1_3genE0ELNS1_11target_archE4294967295ELNS1_3gpuE0ELNS1_3repE0EEENS1_30default_config_static_selectorELNS0_4arch9wavefront6targetE0EEEvSM_.numbered_sgpr, 43
	.set _ZN7rocprim17ROCPRIM_400000_NS6detail17trampoline_kernelINS0_14default_configENS1_37merge_sort_block_sort_config_selectorIlNS0_10empty_typeEEEZNS1_21merge_sort_block_sortIS3_PlS8_PS5_S9_ZN2at6native12_GLOBAL__N_124unique_dim_cuda_templateIdEESt5tupleIJNSA_6TensorESF_SF_EERKSF_lbbbEUlllE_EE10hipError_tT0_T1_T2_T3_mRjT4_P12ihipStream_tbNS1_7vsmem_tEEUlT_E_NS1_11comp_targetILNS1_3genE0ELNS1_11target_archE4294967295ELNS1_3gpuE0ELNS1_3repE0EEENS1_30default_config_static_selectorELNS0_4arch9wavefront6targetE0EEEvSM_.num_named_barrier, 0
	.set _ZN7rocprim17ROCPRIM_400000_NS6detail17trampoline_kernelINS0_14default_configENS1_37merge_sort_block_sort_config_selectorIlNS0_10empty_typeEEEZNS1_21merge_sort_block_sortIS3_PlS8_PS5_S9_ZN2at6native12_GLOBAL__N_124unique_dim_cuda_templateIdEESt5tupleIJNSA_6TensorESF_SF_EERKSF_lbbbEUlllE_EE10hipError_tT0_T1_T2_T3_mRjT4_P12ihipStream_tbNS1_7vsmem_tEEUlT_E_NS1_11comp_targetILNS1_3genE0ELNS1_11target_archE4294967295ELNS1_3gpuE0ELNS1_3repE0EEENS1_30default_config_static_selectorELNS0_4arch9wavefront6targetE0EEEvSM_.private_seg_size, 0
	.set _ZN7rocprim17ROCPRIM_400000_NS6detail17trampoline_kernelINS0_14default_configENS1_37merge_sort_block_sort_config_selectorIlNS0_10empty_typeEEEZNS1_21merge_sort_block_sortIS3_PlS8_PS5_S9_ZN2at6native12_GLOBAL__N_124unique_dim_cuda_templateIdEESt5tupleIJNSA_6TensorESF_SF_EERKSF_lbbbEUlllE_EE10hipError_tT0_T1_T2_T3_mRjT4_P12ihipStream_tbNS1_7vsmem_tEEUlT_E_NS1_11comp_targetILNS1_3genE0ELNS1_11target_archE4294967295ELNS1_3gpuE0ELNS1_3repE0EEENS1_30default_config_static_selectorELNS0_4arch9wavefront6targetE0EEEvSM_.uses_vcc, 1
	.set _ZN7rocprim17ROCPRIM_400000_NS6detail17trampoline_kernelINS0_14default_configENS1_37merge_sort_block_sort_config_selectorIlNS0_10empty_typeEEEZNS1_21merge_sort_block_sortIS3_PlS8_PS5_S9_ZN2at6native12_GLOBAL__N_124unique_dim_cuda_templateIdEESt5tupleIJNSA_6TensorESF_SF_EERKSF_lbbbEUlllE_EE10hipError_tT0_T1_T2_T3_mRjT4_P12ihipStream_tbNS1_7vsmem_tEEUlT_E_NS1_11comp_targetILNS1_3genE0ELNS1_11target_archE4294967295ELNS1_3gpuE0ELNS1_3repE0EEENS1_30default_config_static_selectorELNS0_4arch9wavefront6targetE0EEEvSM_.uses_flat_scratch, 0
	.set _ZN7rocprim17ROCPRIM_400000_NS6detail17trampoline_kernelINS0_14default_configENS1_37merge_sort_block_sort_config_selectorIlNS0_10empty_typeEEEZNS1_21merge_sort_block_sortIS3_PlS8_PS5_S9_ZN2at6native12_GLOBAL__N_124unique_dim_cuda_templateIdEESt5tupleIJNSA_6TensorESF_SF_EERKSF_lbbbEUlllE_EE10hipError_tT0_T1_T2_T3_mRjT4_P12ihipStream_tbNS1_7vsmem_tEEUlT_E_NS1_11comp_targetILNS1_3genE0ELNS1_11target_archE4294967295ELNS1_3gpuE0ELNS1_3repE0EEENS1_30default_config_static_selectorELNS0_4arch9wavefront6targetE0EEEvSM_.has_dyn_sized_stack, 0
	.set _ZN7rocprim17ROCPRIM_400000_NS6detail17trampoline_kernelINS0_14default_configENS1_37merge_sort_block_sort_config_selectorIlNS0_10empty_typeEEEZNS1_21merge_sort_block_sortIS3_PlS8_PS5_S9_ZN2at6native12_GLOBAL__N_124unique_dim_cuda_templateIdEESt5tupleIJNSA_6TensorESF_SF_EERKSF_lbbbEUlllE_EE10hipError_tT0_T1_T2_T3_mRjT4_P12ihipStream_tbNS1_7vsmem_tEEUlT_E_NS1_11comp_targetILNS1_3genE0ELNS1_11target_archE4294967295ELNS1_3gpuE0ELNS1_3repE0EEENS1_30default_config_static_selectorELNS0_4arch9wavefront6targetE0EEEvSM_.has_recursion, 0
	.set _ZN7rocprim17ROCPRIM_400000_NS6detail17trampoline_kernelINS0_14default_configENS1_37merge_sort_block_sort_config_selectorIlNS0_10empty_typeEEEZNS1_21merge_sort_block_sortIS3_PlS8_PS5_S9_ZN2at6native12_GLOBAL__N_124unique_dim_cuda_templateIdEESt5tupleIJNSA_6TensorESF_SF_EERKSF_lbbbEUlllE_EE10hipError_tT0_T1_T2_T3_mRjT4_P12ihipStream_tbNS1_7vsmem_tEEUlT_E_NS1_11comp_targetILNS1_3genE0ELNS1_11target_archE4294967295ELNS1_3gpuE0ELNS1_3repE0EEENS1_30default_config_static_selectorELNS0_4arch9wavefront6targetE0EEEvSM_.has_indirect_call, 0
	.section	.AMDGPU.csdata,"",@progbits
; Kernel info:
; codeLenInByte = 55648
; TotalNumSgprs: 45
; NumVgprs: 58
; ScratchSize: 0
; MemoryBound: 0
; FloatMode: 240
; IeeeMode: 1
; LDSByteSize: 16896 bytes/workgroup (compile time only)
; SGPRBlocks: 0
; VGPRBlocks: 3
; NumSGPRsForWavesPerEU: 45
; NumVGPRsForWavesPerEU: 58
; NamedBarCnt: 0
; Occupancy: 16
; WaveLimiterHint : 1
; COMPUTE_PGM_RSRC2:SCRATCH_EN: 0
; COMPUTE_PGM_RSRC2:USER_SGPR: 2
; COMPUTE_PGM_RSRC2:TRAP_HANDLER: 0
; COMPUTE_PGM_RSRC2:TGID_X_EN: 1
; COMPUTE_PGM_RSRC2:TGID_Y_EN: 1
; COMPUTE_PGM_RSRC2:TGID_Z_EN: 1
; COMPUTE_PGM_RSRC2:TIDIG_COMP_CNT: 2
	.section	.text._ZN7rocprim17ROCPRIM_400000_NS6detail17trampoline_kernelINS0_14default_configENS1_37merge_sort_block_sort_config_selectorIlNS0_10empty_typeEEEZNS1_21merge_sort_block_sortIS3_PlS8_PS5_S9_ZN2at6native12_GLOBAL__N_124unique_dim_cuda_templateIdEESt5tupleIJNSA_6TensorESF_SF_EERKSF_lbbbEUlllE_EE10hipError_tT0_T1_T2_T3_mRjT4_P12ihipStream_tbNS1_7vsmem_tEEUlT_E_NS1_11comp_targetILNS1_3genE5ELNS1_11target_archE942ELNS1_3gpuE9ELNS1_3repE0EEENS1_30default_config_static_selectorELNS0_4arch9wavefront6targetE0EEEvSM_,"axG",@progbits,_ZN7rocprim17ROCPRIM_400000_NS6detail17trampoline_kernelINS0_14default_configENS1_37merge_sort_block_sort_config_selectorIlNS0_10empty_typeEEEZNS1_21merge_sort_block_sortIS3_PlS8_PS5_S9_ZN2at6native12_GLOBAL__N_124unique_dim_cuda_templateIdEESt5tupleIJNSA_6TensorESF_SF_EERKSF_lbbbEUlllE_EE10hipError_tT0_T1_T2_T3_mRjT4_P12ihipStream_tbNS1_7vsmem_tEEUlT_E_NS1_11comp_targetILNS1_3genE5ELNS1_11target_archE942ELNS1_3gpuE9ELNS1_3repE0EEENS1_30default_config_static_selectorELNS0_4arch9wavefront6targetE0EEEvSM_,comdat
	.globl	_ZN7rocprim17ROCPRIM_400000_NS6detail17trampoline_kernelINS0_14default_configENS1_37merge_sort_block_sort_config_selectorIlNS0_10empty_typeEEEZNS1_21merge_sort_block_sortIS3_PlS8_PS5_S9_ZN2at6native12_GLOBAL__N_124unique_dim_cuda_templateIdEESt5tupleIJNSA_6TensorESF_SF_EERKSF_lbbbEUlllE_EE10hipError_tT0_T1_T2_T3_mRjT4_P12ihipStream_tbNS1_7vsmem_tEEUlT_E_NS1_11comp_targetILNS1_3genE5ELNS1_11target_archE942ELNS1_3gpuE9ELNS1_3repE0EEENS1_30default_config_static_selectorELNS0_4arch9wavefront6targetE0EEEvSM_ ; -- Begin function _ZN7rocprim17ROCPRIM_400000_NS6detail17trampoline_kernelINS0_14default_configENS1_37merge_sort_block_sort_config_selectorIlNS0_10empty_typeEEEZNS1_21merge_sort_block_sortIS3_PlS8_PS5_S9_ZN2at6native12_GLOBAL__N_124unique_dim_cuda_templateIdEESt5tupleIJNSA_6TensorESF_SF_EERKSF_lbbbEUlllE_EE10hipError_tT0_T1_T2_T3_mRjT4_P12ihipStream_tbNS1_7vsmem_tEEUlT_E_NS1_11comp_targetILNS1_3genE5ELNS1_11target_archE942ELNS1_3gpuE9ELNS1_3repE0EEENS1_30default_config_static_selectorELNS0_4arch9wavefront6targetE0EEEvSM_
	.p2align	8
	.type	_ZN7rocprim17ROCPRIM_400000_NS6detail17trampoline_kernelINS0_14default_configENS1_37merge_sort_block_sort_config_selectorIlNS0_10empty_typeEEEZNS1_21merge_sort_block_sortIS3_PlS8_PS5_S9_ZN2at6native12_GLOBAL__N_124unique_dim_cuda_templateIdEESt5tupleIJNSA_6TensorESF_SF_EERKSF_lbbbEUlllE_EE10hipError_tT0_T1_T2_T3_mRjT4_P12ihipStream_tbNS1_7vsmem_tEEUlT_E_NS1_11comp_targetILNS1_3genE5ELNS1_11target_archE942ELNS1_3gpuE9ELNS1_3repE0EEENS1_30default_config_static_selectorELNS0_4arch9wavefront6targetE0EEEvSM_,@function
_ZN7rocprim17ROCPRIM_400000_NS6detail17trampoline_kernelINS0_14default_configENS1_37merge_sort_block_sort_config_selectorIlNS0_10empty_typeEEEZNS1_21merge_sort_block_sortIS3_PlS8_PS5_S9_ZN2at6native12_GLOBAL__N_124unique_dim_cuda_templateIdEESt5tupleIJNSA_6TensorESF_SF_EERKSF_lbbbEUlllE_EE10hipError_tT0_T1_T2_T3_mRjT4_P12ihipStream_tbNS1_7vsmem_tEEUlT_E_NS1_11comp_targetILNS1_3genE5ELNS1_11target_archE942ELNS1_3gpuE9ELNS1_3repE0EEENS1_30default_config_static_selectorELNS0_4arch9wavefront6targetE0EEEvSM_: ; @_ZN7rocprim17ROCPRIM_400000_NS6detail17trampoline_kernelINS0_14default_configENS1_37merge_sort_block_sort_config_selectorIlNS0_10empty_typeEEEZNS1_21merge_sort_block_sortIS3_PlS8_PS5_S9_ZN2at6native12_GLOBAL__N_124unique_dim_cuda_templateIdEESt5tupleIJNSA_6TensorESF_SF_EERKSF_lbbbEUlllE_EE10hipError_tT0_T1_T2_T3_mRjT4_P12ihipStream_tbNS1_7vsmem_tEEUlT_E_NS1_11comp_targetILNS1_3genE5ELNS1_11target_archE942ELNS1_3gpuE9ELNS1_3repE0EEENS1_30default_config_static_selectorELNS0_4arch9wavefront6targetE0EEEvSM_
; %bb.0:
	.section	.rodata,"a",@progbits
	.p2align	6, 0x0
	.amdhsa_kernel _ZN7rocprim17ROCPRIM_400000_NS6detail17trampoline_kernelINS0_14default_configENS1_37merge_sort_block_sort_config_selectorIlNS0_10empty_typeEEEZNS1_21merge_sort_block_sortIS3_PlS8_PS5_S9_ZN2at6native12_GLOBAL__N_124unique_dim_cuda_templateIdEESt5tupleIJNSA_6TensorESF_SF_EERKSF_lbbbEUlllE_EE10hipError_tT0_T1_T2_T3_mRjT4_P12ihipStream_tbNS1_7vsmem_tEEUlT_E_NS1_11comp_targetILNS1_3genE5ELNS1_11target_archE942ELNS1_3gpuE9ELNS1_3repE0EEENS1_30default_config_static_selectorELNS0_4arch9wavefront6targetE0EEEvSM_
		.amdhsa_group_segment_fixed_size 0
		.amdhsa_private_segment_fixed_size 0
		.amdhsa_kernarg_size 72
		.amdhsa_user_sgpr_count 2
		.amdhsa_user_sgpr_dispatch_ptr 0
		.amdhsa_user_sgpr_queue_ptr 0
		.amdhsa_user_sgpr_kernarg_segment_ptr 1
		.amdhsa_user_sgpr_dispatch_id 0
		.amdhsa_user_sgpr_kernarg_preload_length 0
		.amdhsa_user_sgpr_kernarg_preload_offset 0
		.amdhsa_user_sgpr_private_segment_size 0
		.amdhsa_wavefront_size32 1
		.amdhsa_uses_dynamic_stack 0
		.amdhsa_enable_private_segment 0
		.amdhsa_system_sgpr_workgroup_id_x 1
		.amdhsa_system_sgpr_workgroup_id_y 0
		.amdhsa_system_sgpr_workgroup_id_z 0
		.amdhsa_system_sgpr_workgroup_info 0
		.amdhsa_system_vgpr_workitem_id 0
		.amdhsa_next_free_vgpr 1
		.amdhsa_next_free_sgpr 1
		.amdhsa_named_barrier_count 0
		.amdhsa_reserve_vcc 0
		.amdhsa_float_round_mode_32 0
		.amdhsa_float_round_mode_16_64 0
		.amdhsa_float_denorm_mode_32 3
		.amdhsa_float_denorm_mode_16_64 3
		.amdhsa_fp16_overflow 0
		.amdhsa_memory_ordered 1
		.amdhsa_forward_progress 1
		.amdhsa_inst_pref_size 0
		.amdhsa_round_robin_scheduling 0
		.amdhsa_exception_fp_ieee_invalid_op 0
		.amdhsa_exception_fp_denorm_src 0
		.amdhsa_exception_fp_ieee_div_zero 0
		.amdhsa_exception_fp_ieee_overflow 0
		.amdhsa_exception_fp_ieee_underflow 0
		.amdhsa_exception_fp_ieee_inexact 0
		.amdhsa_exception_int_div_zero 0
	.end_amdhsa_kernel
	.section	.text._ZN7rocprim17ROCPRIM_400000_NS6detail17trampoline_kernelINS0_14default_configENS1_37merge_sort_block_sort_config_selectorIlNS0_10empty_typeEEEZNS1_21merge_sort_block_sortIS3_PlS8_PS5_S9_ZN2at6native12_GLOBAL__N_124unique_dim_cuda_templateIdEESt5tupleIJNSA_6TensorESF_SF_EERKSF_lbbbEUlllE_EE10hipError_tT0_T1_T2_T3_mRjT4_P12ihipStream_tbNS1_7vsmem_tEEUlT_E_NS1_11comp_targetILNS1_3genE5ELNS1_11target_archE942ELNS1_3gpuE9ELNS1_3repE0EEENS1_30default_config_static_selectorELNS0_4arch9wavefront6targetE0EEEvSM_,"axG",@progbits,_ZN7rocprim17ROCPRIM_400000_NS6detail17trampoline_kernelINS0_14default_configENS1_37merge_sort_block_sort_config_selectorIlNS0_10empty_typeEEEZNS1_21merge_sort_block_sortIS3_PlS8_PS5_S9_ZN2at6native12_GLOBAL__N_124unique_dim_cuda_templateIdEESt5tupleIJNSA_6TensorESF_SF_EERKSF_lbbbEUlllE_EE10hipError_tT0_T1_T2_T3_mRjT4_P12ihipStream_tbNS1_7vsmem_tEEUlT_E_NS1_11comp_targetILNS1_3genE5ELNS1_11target_archE942ELNS1_3gpuE9ELNS1_3repE0EEENS1_30default_config_static_selectorELNS0_4arch9wavefront6targetE0EEEvSM_,comdat
.Lfunc_end750:
	.size	_ZN7rocprim17ROCPRIM_400000_NS6detail17trampoline_kernelINS0_14default_configENS1_37merge_sort_block_sort_config_selectorIlNS0_10empty_typeEEEZNS1_21merge_sort_block_sortIS3_PlS8_PS5_S9_ZN2at6native12_GLOBAL__N_124unique_dim_cuda_templateIdEESt5tupleIJNSA_6TensorESF_SF_EERKSF_lbbbEUlllE_EE10hipError_tT0_T1_T2_T3_mRjT4_P12ihipStream_tbNS1_7vsmem_tEEUlT_E_NS1_11comp_targetILNS1_3genE5ELNS1_11target_archE942ELNS1_3gpuE9ELNS1_3repE0EEENS1_30default_config_static_selectorELNS0_4arch9wavefront6targetE0EEEvSM_, .Lfunc_end750-_ZN7rocprim17ROCPRIM_400000_NS6detail17trampoline_kernelINS0_14default_configENS1_37merge_sort_block_sort_config_selectorIlNS0_10empty_typeEEEZNS1_21merge_sort_block_sortIS3_PlS8_PS5_S9_ZN2at6native12_GLOBAL__N_124unique_dim_cuda_templateIdEESt5tupleIJNSA_6TensorESF_SF_EERKSF_lbbbEUlllE_EE10hipError_tT0_T1_T2_T3_mRjT4_P12ihipStream_tbNS1_7vsmem_tEEUlT_E_NS1_11comp_targetILNS1_3genE5ELNS1_11target_archE942ELNS1_3gpuE9ELNS1_3repE0EEENS1_30default_config_static_selectorELNS0_4arch9wavefront6targetE0EEEvSM_
                                        ; -- End function
	.set _ZN7rocprim17ROCPRIM_400000_NS6detail17trampoline_kernelINS0_14default_configENS1_37merge_sort_block_sort_config_selectorIlNS0_10empty_typeEEEZNS1_21merge_sort_block_sortIS3_PlS8_PS5_S9_ZN2at6native12_GLOBAL__N_124unique_dim_cuda_templateIdEESt5tupleIJNSA_6TensorESF_SF_EERKSF_lbbbEUlllE_EE10hipError_tT0_T1_T2_T3_mRjT4_P12ihipStream_tbNS1_7vsmem_tEEUlT_E_NS1_11comp_targetILNS1_3genE5ELNS1_11target_archE942ELNS1_3gpuE9ELNS1_3repE0EEENS1_30default_config_static_selectorELNS0_4arch9wavefront6targetE0EEEvSM_.num_vgpr, 0
	.set _ZN7rocprim17ROCPRIM_400000_NS6detail17trampoline_kernelINS0_14default_configENS1_37merge_sort_block_sort_config_selectorIlNS0_10empty_typeEEEZNS1_21merge_sort_block_sortIS3_PlS8_PS5_S9_ZN2at6native12_GLOBAL__N_124unique_dim_cuda_templateIdEESt5tupleIJNSA_6TensorESF_SF_EERKSF_lbbbEUlllE_EE10hipError_tT0_T1_T2_T3_mRjT4_P12ihipStream_tbNS1_7vsmem_tEEUlT_E_NS1_11comp_targetILNS1_3genE5ELNS1_11target_archE942ELNS1_3gpuE9ELNS1_3repE0EEENS1_30default_config_static_selectorELNS0_4arch9wavefront6targetE0EEEvSM_.num_agpr, 0
	.set _ZN7rocprim17ROCPRIM_400000_NS6detail17trampoline_kernelINS0_14default_configENS1_37merge_sort_block_sort_config_selectorIlNS0_10empty_typeEEEZNS1_21merge_sort_block_sortIS3_PlS8_PS5_S9_ZN2at6native12_GLOBAL__N_124unique_dim_cuda_templateIdEESt5tupleIJNSA_6TensorESF_SF_EERKSF_lbbbEUlllE_EE10hipError_tT0_T1_T2_T3_mRjT4_P12ihipStream_tbNS1_7vsmem_tEEUlT_E_NS1_11comp_targetILNS1_3genE5ELNS1_11target_archE942ELNS1_3gpuE9ELNS1_3repE0EEENS1_30default_config_static_selectorELNS0_4arch9wavefront6targetE0EEEvSM_.numbered_sgpr, 0
	.set _ZN7rocprim17ROCPRIM_400000_NS6detail17trampoline_kernelINS0_14default_configENS1_37merge_sort_block_sort_config_selectorIlNS0_10empty_typeEEEZNS1_21merge_sort_block_sortIS3_PlS8_PS5_S9_ZN2at6native12_GLOBAL__N_124unique_dim_cuda_templateIdEESt5tupleIJNSA_6TensorESF_SF_EERKSF_lbbbEUlllE_EE10hipError_tT0_T1_T2_T3_mRjT4_P12ihipStream_tbNS1_7vsmem_tEEUlT_E_NS1_11comp_targetILNS1_3genE5ELNS1_11target_archE942ELNS1_3gpuE9ELNS1_3repE0EEENS1_30default_config_static_selectorELNS0_4arch9wavefront6targetE0EEEvSM_.num_named_barrier, 0
	.set _ZN7rocprim17ROCPRIM_400000_NS6detail17trampoline_kernelINS0_14default_configENS1_37merge_sort_block_sort_config_selectorIlNS0_10empty_typeEEEZNS1_21merge_sort_block_sortIS3_PlS8_PS5_S9_ZN2at6native12_GLOBAL__N_124unique_dim_cuda_templateIdEESt5tupleIJNSA_6TensorESF_SF_EERKSF_lbbbEUlllE_EE10hipError_tT0_T1_T2_T3_mRjT4_P12ihipStream_tbNS1_7vsmem_tEEUlT_E_NS1_11comp_targetILNS1_3genE5ELNS1_11target_archE942ELNS1_3gpuE9ELNS1_3repE0EEENS1_30default_config_static_selectorELNS0_4arch9wavefront6targetE0EEEvSM_.private_seg_size, 0
	.set _ZN7rocprim17ROCPRIM_400000_NS6detail17trampoline_kernelINS0_14default_configENS1_37merge_sort_block_sort_config_selectorIlNS0_10empty_typeEEEZNS1_21merge_sort_block_sortIS3_PlS8_PS5_S9_ZN2at6native12_GLOBAL__N_124unique_dim_cuda_templateIdEESt5tupleIJNSA_6TensorESF_SF_EERKSF_lbbbEUlllE_EE10hipError_tT0_T1_T2_T3_mRjT4_P12ihipStream_tbNS1_7vsmem_tEEUlT_E_NS1_11comp_targetILNS1_3genE5ELNS1_11target_archE942ELNS1_3gpuE9ELNS1_3repE0EEENS1_30default_config_static_selectorELNS0_4arch9wavefront6targetE0EEEvSM_.uses_vcc, 0
	.set _ZN7rocprim17ROCPRIM_400000_NS6detail17trampoline_kernelINS0_14default_configENS1_37merge_sort_block_sort_config_selectorIlNS0_10empty_typeEEEZNS1_21merge_sort_block_sortIS3_PlS8_PS5_S9_ZN2at6native12_GLOBAL__N_124unique_dim_cuda_templateIdEESt5tupleIJNSA_6TensorESF_SF_EERKSF_lbbbEUlllE_EE10hipError_tT0_T1_T2_T3_mRjT4_P12ihipStream_tbNS1_7vsmem_tEEUlT_E_NS1_11comp_targetILNS1_3genE5ELNS1_11target_archE942ELNS1_3gpuE9ELNS1_3repE0EEENS1_30default_config_static_selectorELNS0_4arch9wavefront6targetE0EEEvSM_.uses_flat_scratch, 0
	.set _ZN7rocprim17ROCPRIM_400000_NS6detail17trampoline_kernelINS0_14default_configENS1_37merge_sort_block_sort_config_selectorIlNS0_10empty_typeEEEZNS1_21merge_sort_block_sortIS3_PlS8_PS5_S9_ZN2at6native12_GLOBAL__N_124unique_dim_cuda_templateIdEESt5tupleIJNSA_6TensorESF_SF_EERKSF_lbbbEUlllE_EE10hipError_tT0_T1_T2_T3_mRjT4_P12ihipStream_tbNS1_7vsmem_tEEUlT_E_NS1_11comp_targetILNS1_3genE5ELNS1_11target_archE942ELNS1_3gpuE9ELNS1_3repE0EEENS1_30default_config_static_selectorELNS0_4arch9wavefront6targetE0EEEvSM_.has_dyn_sized_stack, 0
	.set _ZN7rocprim17ROCPRIM_400000_NS6detail17trampoline_kernelINS0_14default_configENS1_37merge_sort_block_sort_config_selectorIlNS0_10empty_typeEEEZNS1_21merge_sort_block_sortIS3_PlS8_PS5_S9_ZN2at6native12_GLOBAL__N_124unique_dim_cuda_templateIdEESt5tupleIJNSA_6TensorESF_SF_EERKSF_lbbbEUlllE_EE10hipError_tT0_T1_T2_T3_mRjT4_P12ihipStream_tbNS1_7vsmem_tEEUlT_E_NS1_11comp_targetILNS1_3genE5ELNS1_11target_archE942ELNS1_3gpuE9ELNS1_3repE0EEENS1_30default_config_static_selectorELNS0_4arch9wavefront6targetE0EEEvSM_.has_recursion, 0
	.set _ZN7rocprim17ROCPRIM_400000_NS6detail17trampoline_kernelINS0_14default_configENS1_37merge_sort_block_sort_config_selectorIlNS0_10empty_typeEEEZNS1_21merge_sort_block_sortIS3_PlS8_PS5_S9_ZN2at6native12_GLOBAL__N_124unique_dim_cuda_templateIdEESt5tupleIJNSA_6TensorESF_SF_EERKSF_lbbbEUlllE_EE10hipError_tT0_T1_T2_T3_mRjT4_P12ihipStream_tbNS1_7vsmem_tEEUlT_E_NS1_11comp_targetILNS1_3genE5ELNS1_11target_archE942ELNS1_3gpuE9ELNS1_3repE0EEENS1_30default_config_static_selectorELNS0_4arch9wavefront6targetE0EEEvSM_.has_indirect_call, 0
	.section	.AMDGPU.csdata,"",@progbits
; Kernel info:
; codeLenInByte = 0
; TotalNumSgprs: 0
; NumVgprs: 0
; ScratchSize: 0
; MemoryBound: 0
; FloatMode: 240
; IeeeMode: 1
; LDSByteSize: 0 bytes/workgroup (compile time only)
; SGPRBlocks: 0
; VGPRBlocks: 0
; NumSGPRsForWavesPerEU: 1
; NumVGPRsForWavesPerEU: 1
; NamedBarCnt: 0
; Occupancy: 16
; WaveLimiterHint : 0
; COMPUTE_PGM_RSRC2:SCRATCH_EN: 0
; COMPUTE_PGM_RSRC2:USER_SGPR: 2
; COMPUTE_PGM_RSRC2:TRAP_HANDLER: 0
; COMPUTE_PGM_RSRC2:TGID_X_EN: 1
; COMPUTE_PGM_RSRC2:TGID_Y_EN: 0
; COMPUTE_PGM_RSRC2:TGID_Z_EN: 0
; COMPUTE_PGM_RSRC2:TIDIG_COMP_CNT: 0
	.section	.text._ZN7rocprim17ROCPRIM_400000_NS6detail17trampoline_kernelINS0_14default_configENS1_37merge_sort_block_sort_config_selectorIlNS0_10empty_typeEEEZNS1_21merge_sort_block_sortIS3_PlS8_PS5_S9_ZN2at6native12_GLOBAL__N_124unique_dim_cuda_templateIdEESt5tupleIJNSA_6TensorESF_SF_EERKSF_lbbbEUlllE_EE10hipError_tT0_T1_T2_T3_mRjT4_P12ihipStream_tbNS1_7vsmem_tEEUlT_E_NS1_11comp_targetILNS1_3genE4ELNS1_11target_archE910ELNS1_3gpuE8ELNS1_3repE0EEENS1_30default_config_static_selectorELNS0_4arch9wavefront6targetE0EEEvSM_,"axG",@progbits,_ZN7rocprim17ROCPRIM_400000_NS6detail17trampoline_kernelINS0_14default_configENS1_37merge_sort_block_sort_config_selectorIlNS0_10empty_typeEEEZNS1_21merge_sort_block_sortIS3_PlS8_PS5_S9_ZN2at6native12_GLOBAL__N_124unique_dim_cuda_templateIdEESt5tupleIJNSA_6TensorESF_SF_EERKSF_lbbbEUlllE_EE10hipError_tT0_T1_T2_T3_mRjT4_P12ihipStream_tbNS1_7vsmem_tEEUlT_E_NS1_11comp_targetILNS1_3genE4ELNS1_11target_archE910ELNS1_3gpuE8ELNS1_3repE0EEENS1_30default_config_static_selectorELNS0_4arch9wavefront6targetE0EEEvSM_,comdat
	.globl	_ZN7rocprim17ROCPRIM_400000_NS6detail17trampoline_kernelINS0_14default_configENS1_37merge_sort_block_sort_config_selectorIlNS0_10empty_typeEEEZNS1_21merge_sort_block_sortIS3_PlS8_PS5_S9_ZN2at6native12_GLOBAL__N_124unique_dim_cuda_templateIdEESt5tupleIJNSA_6TensorESF_SF_EERKSF_lbbbEUlllE_EE10hipError_tT0_T1_T2_T3_mRjT4_P12ihipStream_tbNS1_7vsmem_tEEUlT_E_NS1_11comp_targetILNS1_3genE4ELNS1_11target_archE910ELNS1_3gpuE8ELNS1_3repE0EEENS1_30default_config_static_selectorELNS0_4arch9wavefront6targetE0EEEvSM_ ; -- Begin function _ZN7rocprim17ROCPRIM_400000_NS6detail17trampoline_kernelINS0_14default_configENS1_37merge_sort_block_sort_config_selectorIlNS0_10empty_typeEEEZNS1_21merge_sort_block_sortIS3_PlS8_PS5_S9_ZN2at6native12_GLOBAL__N_124unique_dim_cuda_templateIdEESt5tupleIJNSA_6TensorESF_SF_EERKSF_lbbbEUlllE_EE10hipError_tT0_T1_T2_T3_mRjT4_P12ihipStream_tbNS1_7vsmem_tEEUlT_E_NS1_11comp_targetILNS1_3genE4ELNS1_11target_archE910ELNS1_3gpuE8ELNS1_3repE0EEENS1_30default_config_static_selectorELNS0_4arch9wavefront6targetE0EEEvSM_
	.p2align	8
	.type	_ZN7rocprim17ROCPRIM_400000_NS6detail17trampoline_kernelINS0_14default_configENS1_37merge_sort_block_sort_config_selectorIlNS0_10empty_typeEEEZNS1_21merge_sort_block_sortIS3_PlS8_PS5_S9_ZN2at6native12_GLOBAL__N_124unique_dim_cuda_templateIdEESt5tupleIJNSA_6TensorESF_SF_EERKSF_lbbbEUlllE_EE10hipError_tT0_T1_T2_T3_mRjT4_P12ihipStream_tbNS1_7vsmem_tEEUlT_E_NS1_11comp_targetILNS1_3genE4ELNS1_11target_archE910ELNS1_3gpuE8ELNS1_3repE0EEENS1_30default_config_static_selectorELNS0_4arch9wavefront6targetE0EEEvSM_,@function
_ZN7rocprim17ROCPRIM_400000_NS6detail17trampoline_kernelINS0_14default_configENS1_37merge_sort_block_sort_config_selectorIlNS0_10empty_typeEEEZNS1_21merge_sort_block_sortIS3_PlS8_PS5_S9_ZN2at6native12_GLOBAL__N_124unique_dim_cuda_templateIdEESt5tupleIJNSA_6TensorESF_SF_EERKSF_lbbbEUlllE_EE10hipError_tT0_T1_T2_T3_mRjT4_P12ihipStream_tbNS1_7vsmem_tEEUlT_E_NS1_11comp_targetILNS1_3genE4ELNS1_11target_archE910ELNS1_3gpuE8ELNS1_3repE0EEENS1_30default_config_static_selectorELNS0_4arch9wavefront6targetE0EEEvSM_: ; @_ZN7rocprim17ROCPRIM_400000_NS6detail17trampoline_kernelINS0_14default_configENS1_37merge_sort_block_sort_config_selectorIlNS0_10empty_typeEEEZNS1_21merge_sort_block_sortIS3_PlS8_PS5_S9_ZN2at6native12_GLOBAL__N_124unique_dim_cuda_templateIdEESt5tupleIJNSA_6TensorESF_SF_EERKSF_lbbbEUlllE_EE10hipError_tT0_T1_T2_T3_mRjT4_P12ihipStream_tbNS1_7vsmem_tEEUlT_E_NS1_11comp_targetILNS1_3genE4ELNS1_11target_archE910ELNS1_3gpuE8ELNS1_3repE0EEENS1_30default_config_static_selectorELNS0_4arch9wavefront6targetE0EEEvSM_
; %bb.0:
	.section	.rodata,"a",@progbits
	.p2align	6, 0x0
	.amdhsa_kernel _ZN7rocprim17ROCPRIM_400000_NS6detail17trampoline_kernelINS0_14default_configENS1_37merge_sort_block_sort_config_selectorIlNS0_10empty_typeEEEZNS1_21merge_sort_block_sortIS3_PlS8_PS5_S9_ZN2at6native12_GLOBAL__N_124unique_dim_cuda_templateIdEESt5tupleIJNSA_6TensorESF_SF_EERKSF_lbbbEUlllE_EE10hipError_tT0_T1_T2_T3_mRjT4_P12ihipStream_tbNS1_7vsmem_tEEUlT_E_NS1_11comp_targetILNS1_3genE4ELNS1_11target_archE910ELNS1_3gpuE8ELNS1_3repE0EEENS1_30default_config_static_selectorELNS0_4arch9wavefront6targetE0EEEvSM_
		.amdhsa_group_segment_fixed_size 0
		.amdhsa_private_segment_fixed_size 0
		.amdhsa_kernarg_size 72
		.amdhsa_user_sgpr_count 2
		.amdhsa_user_sgpr_dispatch_ptr 0
		.amdhsa_user_sgpr_queue_ptr 0
		.amdhsa_user_sgpr_kernarg_segment_ptr 1
		.amdhsa_user_sgpr_dispatch_id 0
		.amdhsa_user_sgpr_kernarg_preload_length 0
		.amdhsa_user_sgpr_kernarg_preload_offset 0
		.amdhsa_user_sgpr_private_segment_size 0
		.amdhsa_wavefront_size32 1
		.amdhsa_uses_dynamic_stack 0
		.amdhsa_enable_private_segment 0
		.amdhsa_system_sgpr_workgroup_id_x 1
		.amdhsa_system_sgpr_workgroup_id_y 0
		.amdhsa_system_sgpr_workgroup_id_z 0
		.amdhsa_system_sgpr_workgroup_info 0
		.amdhsa_system_vgpr_workitem_id 0
		.amdhsa_next_free_vgpr 1
		.amdhsa_next_free_sgpr 1
		.amdhsa_named_barrier_count 0
		.amdhsa_reserve_vcc 0
		.amdhsa_float_round_mode_32 0
		.amdhsa_float_round_mode_16_64 0
		.amdhsa_float_denorm_mode_32 3
		.amdhsa_float_denorm_mode_16_64 3
		.amdhsa_fp16_overflow 0
		.amdhsa_memory_ordered 1
		.amdhsa_forward_progress 1
		.amdhsa_inst_pref_size 0
		.amdhsa_round_robin_scheduling 0
		.amdhsa_exception_fp_ieee_invalid_op 0
		.amdhsa_exception_fp_denorm_src 0
		.amdhsa_exception_fp_ieee_div_zero 0
		.amdhsa_exception_fp_ieee_overflow 0
		.amdhsa_exception_fp_ieee_underflow 0
		.amdhsa_exception_fp_ieee_inexact 0
		.amdhsa_exception_int_div_zero 0
	.end_amdhsa_kernel
	.section	.text._ZN7rocprim17ROCPRIM_400000_NS6detail17trampoline_kernelINS0_14default_configENS1_37merge_sort_block_sort_config_selectorIlNS0_10empty_typeEEEZNS1_21merge_sort_block_sortIS3_PlS8_PS5_S9_ZN2at6native12_GLOBAL__N_124unique_dim_cuda_templateIdEESt5tupleIJNSA_6TensorESF_SF_EERKSF_lbbbEUlllE_EE10hipError_tT0_T1_T2_T3_mRjT4_P12ihipStream_tbNS1_7vsmem_tEEUlT_E_NS1_11comp_targetILNS1_3genE4ELNS1_11target_archE910ELNS1_3gpuE8ELNS1_3repE0EEENS1_30default_config_static_selectorELNS0_4arch9wavefront6targetE0EEEvSM_,"axG",@progbits,_ZN7rocprim17ROCPRIM_400000_NS6detail17trampoline_kernelINS0_14default_configENS1_37merge_sort_block_sort_config_selectorIlNS0_10empty_typeEEEZNS1_21merge_sort_block_sortIS3_PlS8_PS5_S9_ZN2at6native12_GLOBAL__N_124unique_dim_cuda_templateIdEESt5tupleIJNSA_6TensorESF_SF_EERKSF_lbbbEUlllE_EE10hipError_tT0_T1_T2_T3_mRjT4_P12ihipStream_tbNS1_7vsmem_tEEUlT_E_NS1_11comp_targetILNS1_3genE4ELNS1_11target_archE910ELNS1_3gpuE8ELNS1_3repE0EEENS1_30default_config_static_selectorELNS0_4arch9wavefront6targetE0EEEvSM_,comdat
.Lfunc_end751:
	.size	_ZN7rocprim17ROCPRIM_400000_NS6detail17trampoline_kernelINS0_14default_configENS1_37merge_sort_block_sort_config_selectorIlNS0_10empty_typeEEEZNS1_21merge_sort_block_sortIS3_PlS8_PS5_S9_ZN2at6native12_GLOBAL__N_124unique_dim_cuda_templateIdEESt5tupleIJNSA_6TensorESF_SF_EERKSF_lbbbEUlllE_EE10hipError_tT0_T1_T2_T3_mRjT4_P12ihipStream_tbNS1_7vsmem_tEEUlT_E_NS1_11comp_targetILNS1_3genE4ELNS1_11target_archE910ELNS1_3gpuE8ELNS1_3repE0EEENS1_30default_config_static_selectorELNS0_4arch9wavefront6targetE0EEEvSM_, .Lfunc_end751-_ZN7rocprim17ROCPRIM_400000_NS6detail17trampoline_kernelINS0_14default_configENS1_37merge_sort_block_sort_config_selectorIlNS0_10empty_typeEEEZNS1_21merge_sort_block_sortIS3_PlS8_PS5_S9_ZN2at6native12_GLOBAL__N_124unique_dim_cuda_templateIdEESt5tupleIJNSA_6TensorESF_SF_EERKSF_lbbbEUlllE_EE10hipError_tT0_T1_T2_T3_mRjT4_P12ihipStream_tbNS1_7vsmem_tEEUlT_E_NS1_11comp_targetILNS1_3genE4ELNS1_11target_archE910ELNS1_3gpuE8ELNS1_3repE0EEENS1_30default_config_static_selectorELNS0_4arch9wavefront6targetE0EEEvSM_
                                        ; -- End function
	.set _ZN7rocprim17ROCPRIM_400000_NS6detail17trampoline_kernelINS0_14default_configENS1_37merge_sort_block_sort_config_selectorIlNS0_10empty_typeEEEZNS1_21merge_sort_block_sortIS3_PlS8_PS5_S9_ZN2at6native12_GLOBAL__N_124unique_dim_cuda_templateIdEESt5tupleIJNSA_6TensorESF_SF_EERKSF_lbbbEUlllE_EE10hipError_tT0_T1_T2_T3_mRjT4_P12ihipStream_tbNS1_7vsmem_tEEUlT_E_NS1_11comp_targetILNS1_3genE4ELNS1_11target_archE910ELNS1_3gpuE8ELNS1_3repE0EEENS1_30default_config_static_selectorELNS0_4arch9wavefront6targetE0EEEvSM_.num_vgpr, 0
	.set _ZN7rocprim17ROCPRIM_400000_NS6detail17trampoline_kernelINS0_14default_configENS1_37merge_sort_block_sort_config_selectorIlNS0_10empty_typeEEEZNS1_21merge_sort_block_sortIS3_PlS8_PS5_S9_ZN2at6native12_GLOBAL__N_124unique_dim_cuda_templateIdEESt5tupleIJNSA_6TensorESF_SF_EERKSF_lbbbEUlllE_EE10hipError_tT0_T1_T2_T3_mRjT4_P12ihipStream_tbNS1_7vsmem_tEEUlT_E_NS1_11comp_targetILNS1_3genE4ELNS1_11target_archE910ELNS1_3gpuE8ELNS1_3repE0EEENS1_30default_config_static_selectorELNS0_4arch9wavefront6targetE0EEEvSM_.num_agpr, 0
	.set _ZN7rocprim17ROCPRIM_400000_NS6detail17trampoline_kernelINS0_14default_configENS1_37merge_sort_block_sort_config_selectorIlNS0_10empty_typeEEEZNS1_21merge_sort_block_sortIS3_PlS8_PS5_S9_ZN2at6native12_GLOBAL__N_124unique_dim_cuda_templateIdEESt5tupleIJNSA_6TensorESF_SF_EERKSF_lbbbEUlllE_EE10hipError_tT0_T1_T2_T3_mRjT4_P12ihipStream_tbNS1_7vsmem_tEEUlT_E_NS1_11comp_targetILNS1_3genE4ELNS1_11target_archE910ELNS1_3gpuE8ELNS1_3repE0EEENS1_30default_config_static_selectorELNS0_4arch9wavefront6targetE0EEEvSM_.numbered_sgpr, 0
	.set _ZN7rocprim17ROCPRIM_400000_NS6detail17trampoline_kernelINS0_14default_configENS1_37merge_sort_block_sort_config_selectorIlNS0_10empty_typeEEEZNS1_21merge_sort_block_sortIS3_PlS8_PS5_S9_ZN2at6native12_GLOBAL__N_124unique_dim_cuda_templateIdEESt5tupleIJNSA_6TensorESF_SF_EERKSF_lbbbEUlllE_EE10hipError_tT0_T1_T2_T3_mRjT4_P12ihipStream_tbNS1_7vsmem_tEEUlT_E_NS1_11comp_targetILNS1_3genE4ELNS1_11target_archE910ELNS1_3gpuE8ELNS1_3repE0EEENS1_30default_config_static_selectorELNS0_4arch9wavefront6targetE0EEEvSM_.num_named_barrier, 0
	.set _ZN7rocprim17ROCPRIM_400000_NS6detail17trampoline_kernelINS0_14default_configENS1_37merge_sort_block_sort_config_selectorIlNS0_10empty_typeEEEZNS1_21merge_sort_block_sortIS3_PlS8_PS5_S9_ZN2at6native12_GLOBAL__N_124unique_dim_cuda_templateIdEESt5tupleIJNSA_6TensorESF_SF_EERKSF_lbbbEUlllE_EE10hipError_tT0_T1_T2_T3_mRjT4_P12ihipStream_tbNS1_7vsmem_tEEUlT_E_NS1_11comp_targetILNS1_3genE4ELNS1_11target_archE910ELNS1_3gpuE8ELNS1_3repE0EEENS1_30default_config_static_selectorELNS0_4arch9wavefront6targetE0EEEvSM_.private_seg_size, 0
	.set _ZN7rocprim17ROCPRIM_400000_NS6detail17trampoline_kernelINS0_14default_configENS1_37merge_sort_block_sort_config_selectorIlNS0_10empty_typeEEEZNS1_21merge_sort_block_sortIS3_PlS8_PS5_S9_ZN2at6native12_GLOBAL__N_124unique_dim_cuda_templateIdEESt5tupleIJNSA_6TensorESF_SF_EERKSF_lbbbEUlllE_EE10hipError_tT0_T1_T2_T3_mRjT4_P12ihipStream_tbNS1_7vsmem_tEEUlT_E_NS1_11comp_targetILNS1_3genE4ELNS1_11target_archE910ELNS1_3gpuE8ELNS1_3repE0EEENS1_30default_config_static_selectorELNS0_4arch9wavefront6targetE0EEEvSM_.uses_vcc, 0
	.set _ZN7rocprim17ROCPRIM_400000_NS6detail17trampoline_kernelINS0_14default_configENS1_37merge_sort_block_sort_config_selectorIlNS0_10empty_typeEEEZNS1_21merge_sort_block_sortIS3_PlS8_PS5_S9_ZN2at6native12_GLOBAL__N_124unique_dim_cuda_templateIdEESt5tupleIJNSA_6TensorESF_SF_EERKSF_lbbbEUlllE_EE10hipError_tT0_T1_T2_T3_mRjT4_P12ihipStream_tbNS1_7vsmem_tEEUlT_E_NS1_11comp_targetILNS1_3genE4ELNS1_11target_archE910ELNS1_3gpuE8ELNS1_3repE0EEENS1_30default_config_static_selectorELNS0_4arch9wavefront6targetE0EEEvSM_.uses_flat_scratch, 0
	.set _ZN7rocprim17ROCPRIM_400000_NS6detail17trampoline_kernelINS0_14default_configENS1_37merge_sort_block_sort_config_selectorIlNS0_10empty_typeEEEZNS1_21merge_sort_block_sortIS3_PlS8_PS5_S9_ZN2at6native12_GLOBAL__N_124unique_dim_cuda_templateIdEESt5tupleIJNSA_6TensorESF_SF_EERKSF_lbbbEUlllE_EE10hipError_tT0_T1_T2_T3_mRjT4_P12ihipStream_tbNS1_7vsmem_tEEUlT_E_NS1_11comp_targetILNS1_3genE4ELNS1_11target_archE910ELNS1_3gpuE8ELNS1_3repE0EEENS1_30default_config_static_selectorELNS0_4arch9wavefront6targetE0EEEvSM_.has_dyn_sized_stack, 0
	.set _ZN7rocprim17ROCPRIM_400000_NS6detail17trampoline_kernelINS0_14default_configENS1_37merge_sort_block_sort_config_selectorIlNS0_10empty_typeEEEZNS1_21merge_sort_block_sortIS3_PlS8_PS5_S9_ZN2at6native12_GLOBAL__N_124unique_dim_cuda_templateIdEESt5tupleIJNSA_6TensorESF_SF_EERKSF_lbbbEUlllE_EE10hipError_tT0_T1_T2_T3_mRjT4_P12ihipStream_tbNS1_7vsmem_tEEUlT_E_NS1_11comp_targetILNS1_3genE4ELNS1_11target_archE910ELNS1_3gpuE8ELNS1_3repE0EEENS1_30default_config_static_selectorELNS0_4arch9wavefront6targetE0EEEvSM_.has_recursion, 0
	.set _ZN7rocprim17ROCPRIM_400000_NS6detail17trampoline_kernelINS0_14default_configENS1_37merge_sort_block_sort_config_selectorIlNS0_10empty_typeEEEZNS1_21merge_sort_block_sortIS3_PlS8_PS5_S9_ZN2at6native12_GLOBAL__N_124unique_dim_cuda_templateIdEESt5tupleIJNSA_6TensorESF_SF_EERKSF_lbbbEUlllE_EE10hipError_tT0_T1_T2_T3_mRjT4_P12ihipStream_tbNS1_7vsmem_tEEUlT_E_NS1_11comp_targetILNS1_3genE4ELNS1_11target_archE910ELNS1_3gpuE8ELNS1_3repE0EEENS1_30default_config_static_selectorELNS0_4arch9wavefront6targetE0EEEvSM_.has_indirect_call, 0
	.section	.AMDGPU.csdata,"",@progbits
; Kernel info:
; codeLenInByte = 0
; TotalNumSgprs: 0
; NumVgprs: 0
; ScratchSize: 0
; MemoryBound: 0
; FloatMode: 240
; IeeeMode: 1
; LDSByteSize: 0 bytes/workgroup (compile time only)
; SGPRBlocks: 0
; VGPRBlocks: 0
; NumSGPRsForWavesPerEU: 1
; NumVGPRsForWavesPerEU: 1
; NamedBarCnt: 0
; Occupancy: 16
; WaveLimiterHint : 0
; COMPUTE_PGM_RSRC2:SCRATCH_EN: 0
; COMPUTE_PGM_RSRC2:USER_SGPR: 2
; COMPUTE_PGM_RSRC2:TRAP_HANDLER: 0
; COMPUTE_PGM_RSRC2:TGID_X_EN: 1
; COMPUTE_PGM_RSRC2:TGID_Y_EN: 0
; COMPUTE_PGM_RSRC2:TGID_Z_EN: 0
; COMPUTE_PGM_RSRC2:TIDIG_COMP_CNT: 0
	.section	.text._ZN7rocprim17ROCPRIM_400000_NS6detail17trampoline_kernelINS0_14default_configENS1_37merge_sort_block_sort_config_selectorIlNS0_10empty_typeEEEZNS1_21merge_sort_block_sortIS3_PlS8_PS5_S9_ZN2at6native12_GLOBAL__N_124unique_dim_cuda_templateIdEESt5tupleIJNSA_6TensorESF_SF_EERKSF_lbbbEUlllE_EE10hipError_tT0_T1_T2_T3_mRjT4_P12ihipStream_tbNS1_7vsmem_tEEUlT_E_NS1_11comp_targetILNS1_3genE3ELNS1_11target_archE908ELNS1_3gpuE7ELNS1_3repE0EEENS1_30default_config_static_selectorELNS0_4arch9wavefront6targetE0EEEvSM_,"axG",@progbits,_ZN7rocprim17ROCPRIM_400000_NS6detail17trampoline_kernelINS0_14default_configENS1_37merge_sort_block_sort_config_selectorIlNS0_10empty_typeEEEZNS1_21merge_sort_block_sortIS3_PlS8_PS5_S9_ZN2at6native12_GLOBAL__N_124unique_dim_cuda_templateIdEESt5tupleIJNSA_6TensorESF_SF_EERKSF_lbbbEUlllE_EE10hipError_tT0_T1_T2_T3_mRjT4_P12ihipStream_tbNS1_7vsmem_tEEUlT_E_NS1_11comp_targetILNS1_3genE3ELNS1_11target_archE908ELNS1_3gpuE7ELNS1_3repE0EEENS1_30default_config_static_selectorELNS0_4arch9wavefront6targetE0EEEvSM_,comdat
	.globl	_ZN7rocprim17ROCPRIM_400000_NS6detail17trampoline_kernelINS0_14default_configENS1_37merge_sort_block_sort_config_selectorIlNS0_10empty_typeEEEZNS1_21merge_sort_block_sortIS3_PlS8_PS5_S9_ZN2at6native12_GLOBAL__N_124unique_dim_cuda_templateIdEESt5tupleIJNSA_6TensorESF_SF_EERKSF_lbbbEUlllE_EE10hipError_tT0_T1_T2_T3_mRjT4_P12ihipStream_tbNS1_7vsmem_tEEUlT_E_NS1_11comp_targetILNS1_3genE3ELNS1_11target_archE908ELNS1_3gpuE7ELNS1_3repE0EEENS1_30default_config_static_selectorELNS0_4arch9wavefront6targetE0EEEvSM_ ; -- Begin function _ZN7rocprim17ROCPRIM_400000_NS6detail17trampoline_kernelINS0_14default_configENS1_37merge_sort_block_sort_config_selectorIlNS0_10empty_typeEEEZNS1_21merge_sort_block_sortIS3_PlS8_PS5_S9_ZN2at6native12_GLOBAL__N_124unique_dim_cuda_templateIdEESt5tupleIJNSA_6TensorESF_SF_EERKSF_lbbbEUlllE_EE10hipError_tT0_T1_T2_T3_mRjT4_P12ihipStream_tbNS1_7vsmem_tEEUlT_E_NS1_11comp_targetILNS1_3genE3ELNS1_11target_archE908ELNS1_3gpuE7ELNS1_3repE0EEENS1_30default_config_static_selectorELNS0_4arch9wavefront6targetE0EEEvSM_
	.p2align	8
	.type	_ZN7rocprim17ROCPRIM_400000_NS6detail17trampoline_kernelINS0_14default_configENS1_37merge_sort_block_sort_config_selectorIlNS0_10empty_typeEEEZNS1_21merge_sort_block_sortIS3_PlS8_PS5_S9_ZN2at6native12_GLOBAL__N_124unique_dim_cuda_templateIdEESt5tupleIJNSA_6TensorESF_SF_EERKSF_lbbbEUlllE_EE10hipError_tT0_T1_T2_T3_mRjT4_P12ihipStream_tbNS1_7vsmem_tEEUlT_E_NS1_11comp_targetILNS1_3genE3ELNS1_11target_archE908ELNS1_3gpuE7ELNS1_3repE0EEENS1_30default_config_static_selectorELNS0_4arch9wavefront6targetE0EEEvSM_,@function
_ZN7rocprim17ROCPRIM_400000_NS6detail17trampoline_kernelINS0_14default_configENS1_37merge_sort_block_sort_config_selectorIlNS0_10empty_typeEEEZNS1_21merge_sort_block_sortIS3_PlS8_PS5_S9_ZN2at6native12_GLOBAL__N_124unique_dim_cuda_templateIdEESt5tupleIJNSA_6TensorESF_SF_EERKSF_lbbbEUlllE_EE10hipError_tT0_T1_T2_T3_mRjT4_P12ihipStream_tbNS1_7vsmem_tEEUlT_E_NS1_11comp_targetILNS1_3genE3ELNS1_11target_archE908ELNS1_3gpuE7ELNS1_3repE0EEENS1_30default_config_static_selectorELNS0_4arch9wavefront6targetE0EEEvSM_: ; @_ZN7rocprim17ROCPRIM_400000_NS6detail17trampoline_kernelINS0_14default_configENS1_37merge_sort_block_sort_config_selectorIlNS0_10empty_typeEEEZNS1_21merge_sort_block_sortIS3_PlS8_PS5_S9_ZN2at6native12_GLOBAL__N_124unique_dim_cuda_templateIdEESt5tupleIJNSA_6TensorESF_SF_EERKSF_lbbbEUlllE_EE10hipError_tT0_T1_T2_T3_mRjT4_P12ihipStream_tbNS1_7vsmem_tEEUlT_E_NS1_11comp_targetILNS1_3genE3ELNS1_11target_archE908ELNS1_3gpuE7ELNS1_3repE0EEENS1_30default_config_static_selectorELNS0_4arch9wavefront6targetE0EEEvSM_
; %bb.0:
	.section	.rodata,"a",@progbits
	.p2align	6, 0x0
	.amdhsa_kernel _ZN7rocprim17ROCPRIM_400000_NS6detail17trampoline_kernelINS0_14default_configENS1_37merge_sort_block_sort_config_selectorIlNS0_10empty_typeEEEZNS1_21merge_sort_block_sortIS3_PlS8_PS5_S9_ZN2at6native12_GLOBAL__N_124unique_dim_cuda_templateIdEESt5tupleIJNSA_6TensorESF_SF_EERKSF_lbbbEUlllE_EE10hipError_tT0_T1_T2_T3_mRjT4_P12ihipStream_tbNS1_7vsmem_tEEUlT_E_NS1_11comp_targetILNS1_3genE3ELNS1_11target_archE908ELNS1_3gpuE7ELNS1_3repE0EEENS1_30default_config_static_selectorELNS0_4arch9wavefront6targetE0EEEvSM_
		.amdhsa_group_segment_fixed_size 0
		.amdhsa_private_segment_fixed_size 0
		.amdhsa_kernarg_size 72
		.amdhsa_user_sgpr_count 2
		.amdhsa_user_sgpr_dispatch_ptr 0
		.amdhsa_user_sgpr_queue_ptr 0
		.amdhsa_user_sgpr_kernarg_segment_ptr 1
		.amdhsa_user_sgpr_dispatch_id 0
		.amdhsa_user_sgpr_kernarg_preload_length 0
		.amdhsa_user_sgpr_kernarg_preload_offset 0
		.amdhsa_user_sgpr_private_segment_size 0
		.amdhsa_wavefront_size32 1
		.amdhsa_uses_dynamic_stack 0
		.amdhsa_enable_private_segment 0
		.amdhsa_system_sgpr_workgroup_id_x 1
		.amdhsa_system_sgpr_workgroup_id_y 0
		.amdhsa_system_sgpr_workgroup_id_z 0
		.amdhsa_system_sgpr_workgroup_info 0
		.amdhsa_system_vgpr_workitem_id 0
		.amdhsa_next_free_vgpr 1
		.amdhsa_next_free_sgpr 1
		.amdhsa_named_barrier_count 0
		.amdhsa_reserve_vcc 0
		.amdhsa_float_round_mode_32 0
		.amdhsa_float_round_mode_16_64 0
		.amdhsa_float_denorm_mode_32 3
		.amdhsa_float_denorm_mode_16_64 3
		.amdhsa_fp16_overflow 0
		.amdhsa_memory_ordered 1
		.amdhsa_forward_progress 1
		.amdhsa_inst_pref_size 0
		.amdhsa_round_robin_scheduling 0
		.amdhsa_exception_fp_ieee_invalid_op 0
		.amdhsa_exception_fp_denorm_src 0
		.amdhsa_exception_fp_ieee_div_zero 0
		.amdhsa_exception_fp_ieee_overflow 0
		.amdhsa_exception_fp_ieee_underflow 0
		.amdhsa_exception_fp_ieee_inexact 0
		.amdhsa_exception_int_div_zero 0
	.end_amdhsa_kernel
	.section	.text._ZN7rocprim17ROCPRIM_400000_NS6detail17trampoline_kernelINS0_14default_configENS1_37merge_sort_block_sort_config_selectorIlNS0_10empty_typeEEEZNS1_21merge_sort_block_sortIS3_PlS8_PS5_S9_ZN2at6native12_GLOBAL__N_124unique_dim_cuda_templateIdEESt5tupleIJNSA_6TensorESF_SF_EERKSF_lbbbEUlllE_EE10hipError_tT0_T1_T2_T3_mRjT4_P12ihipStream_tbNS1_7vsmem_tEEUlT_E_NS1_11comp_targetILNS1_3genE3ELNS1_11target_archE908ELNS1_3gpuE7ELNS1_3repE0EEENS1_30default_config_static_selectorELNS0_4arch9wavefront6targetE0EEEvSM_,"axG",@progbits,_ZN7rocprim17ROCPRIM_400000_NS6detail17trampoline_kernelINS0_14default_configENS1_37merge_sort_block_sort_config_selectorIlNS0_10empty_typeEEEZNS1_21merge_sort_block_sortIS3_PlS8_PS5_S9_ZN2at6native12_GLOBAL__N_124unique_dim_cuda_templateIdEESt5tupleIJNSA_6TensorESF_SF_EERKSF_lbbbEUlllE_EE10hipError_tT0_T1_T2_T3_mRjT4_P12ihipStream_tbNS1_7vsmem_tEEUlT_E_NS1_11comp_targetILNS1_3genE3ELNS1_11target_archE908ELNS1_3gpuE7ELNS1_3repE0EEENS1_30default_config_static_selectorELNS0_4arch9wavefront6targetE0EEEvSM_,comdat
.Lfunc_end752:
	.size	_ZN7rocprim17ROCPRIM_400000_NS6detail17trampoline_kernelINS0_14default_configENS1_37merge_sort_block_sort_config_selectorIlNS0_10empty_typeEEEZNS1_21merge_sort_block_sortIS3_PlS8_PS5_S9_ZN2at6native12_GLOBAL__N_124unique_dim_cuda_templateIdEESt5tupleIJNSA_6TensorESF_SF_EERKSF_lbbbEUlllE_EE10hipError_tT0_T1_T2_T3_mRjT4_P12ihipStream_tbNS1_7vsmem_tEEUlT_E_NS1_11comp_targetILNS1_3genE3ELNS1_11target_archE908ELNS1_3gpuE7ELNS1_3repE0EEENS1_30default_config_static_selectorELNS0_4arch9wavefront6targetE0EEEvSM_, .Lfunc_end752-_ZN7rocprim17ROCPRIM_400000_NS6detail17trampoline_kernelINS0_14default_configENS1_37merge_sort_block_sort_config_selectorIlNS0_10empty_typeEEEZNS1_21merge_sort_block_sortIS3_PlS8_PS5_S9_ZN2at6native12_GLOBAL__N_124unique_dim_cuda_templateIdEESt5tupleIJNSA_6TensorESF_SF_EERKSF_lbbbEUlllE_EE10hipError_tT0_T1_T2_T3_mRjT4_P12ihipStream_tbNS1_7vsmem_tEEUlT_E_NS1_11comp_targetILNS1_3genE3ELNS1_11target_archE908ELNS1_3gpuE7ELNS1_3repE0EEENS1_30default_config_static_selectorELNS0_4arch9wavefront6targetE0EEEvSM_
                                        ; -- End function
	.set _ZN7rocprim17ROCPRIM_400000_NS6detail17trampoline_kernelINS0_14default_configENS1_37merge_sort_block_sort_config_selectorIlNS0_10empty_typeEEEZNS1_21merge_sort_block_sortIS3_PlS8_PS5_S9_ZN2at6native12_GLOBAL__N_124unique_dim_cuda_templateIdEESt5tupleIJNSA_6TensorESF_SF_EERKSF_lbbbEUlllE_EE10hipError_tT0_T1_T2_T3_mRjT4_P12ihipStream_tbNS1_7vsmem_tEEUlT_E_NS1_11comp_targetILNS1_3genE3ELNS1_11target_archE908ELNS1_3gpuE7ELNS1_3repE0EEENS1_30default_config_static_selectorELNS0_4arch9wavefront6targetE0EEEvSM_.num_vgpr, 0
	.set _ZN7rocprim17ROCPRIM_400000_NS6detail17trampoline_kernelINS0_14default_configENS1_37merge_sort_block_sort_config_selectorIlNS0_10empty_typeEEEZNS1_21merge_sort_block_sortIS3_PlS8_PS5_S9_ZN2at6native12_GLOBAL__N_124unique_dim_cuda_templateIdEESt5tupleIJNSA_6TensorESF_SF_EERKSF_lbbbEUlllE_EE10hipError_tT0_T1_T2_T3_mRjT4_P12ihipStream_tbNS1_7vsmem_tEEUlT_E_NS1_11comp_targetILNS1_3genE3ELNS1_11target_archE908ELNS1_3gpuE7ELNS1_3repE0EEENS1_30default_config_static_selectorELNS0_4arch9wavefront6targetE0EEEvSM_.num_agpr, 0
	.set _ZN7rocprim17ROCPRIM_400000_NS6detail17trampoline_kernelINS0_14default_configENS1_37merge_sort_block_sort_config_selectorIlNS0_10empty_typeEEEZNS1_21merge_sort_block_sortIS3_PlS8_PS5_S9_ZN2at6native12_GLOBAL__N_124unique_dim_cuda_templateIdEESt5tupleIJNSA_6TensorESF_SF_EERKSF_lbbbEUlllE_EE10hipError_tT0_T1_T2_T3_mRjT4_P12ihipStream_tbNS1_7vsmem_tEEUlT_E_NS1_11comp_targetILNS1_3genE3ELNS1_11target_archE908ELNS1_3gpuE7ELNS1_3repE0EEENS1_30default_config_static_selectorELNS0_4arch9wavefront6targetE0EEEvSM_.numbered_sgpr, 0
	.set _ZN7rocprim17ROCPRIM_400000_NS6detail17trampoline_kernelINS0_14default_configENS1_37merge_sort_block_sort_config_selectorIlNS0_10empty_typeEEEZNS1_21merge_sort_block_sortIS3_PlS8_PS5_S9_ZN2at6native12_GLOBAL__N_124unique_dim_cuda_templateIdEESt5tupleIJNSA_6TensorESF_SF_EERKSF_lbbbEUlllE_EE10hipError_tT0_T1_T2_T3_mRjT4_P12ihipStream_tbNS1_7vsmem_tEEUlT_E_NS1_11comp_targetILNS1_3genE3ELNS1_11target_archE908ELNS1_3gpuE7ELNS1_3repE0EEENS1_30default_config_static_selectorELNS0_4arch9wavefront6targetE0EEEvSM_.num_named_barrier, 0
	.set _ZN7rocprim17ROCPRIM_400000_NS6detail17trampoline_kernelINS0_14default_configENS1_37merge_sort_block_sort_config_selectorIlNS0_10empty_typeEEEZNS1_21merge_sort_block_sortIS3_PlS8_PS5_S9_ZN2at6native12_GLOBAL__N_124unique_dim_cuda_templateIdEESt5tupleIJNSA_6TensorESF_SF_EERKSF_lbbbEUlllE_EE10hipError_tT0_T1_T2_T3_mRjT4_P12ihipStream_tbNS1_7vsmem_tEEUlT_E_NS1_11comp_targetILNS1_3genE3ELNS1_11target_archE908ELNS1_3gpuE7ELNS1_3repE0EEENS1_30default_config_static_selectorELNS0_4arch9wavefront6targetE0EEEvSM_.private_seg_size, 0
	.set _ZN7rocprim17ROCPRIM_400000_NS6detail17trampoline_kernelINS0_14default_configENS1_37merge_sort_block_sort_config_selectorIlNS0_10empty_typeEEEZNS1_21merge_sort_block_sortIS3_PlS8_PS5_S9_ZN2at6native12_GLOBAL__N_124unique_dim_cuda_templateIdEESt5tupleIJNSA_6TensorESF_SF_EERKSF_lbbbEUlllE_EE10hipError_tT0_T1_T2_T3_mRjT4_P12ihipStream_tbNS1_7vsmem_tEEUlT_E_NS1_11comp_targetILNS1_3genE3ELNS1_11target_archE908ELNS1_3gpuE7ELNS1_3repE0EEENS1_30default_config_static_selectorELNS0_4arch9wavefront6targetE0EEEvSM_.uses_vcc, 0
	.set _ZN7rocprim17ROCPRIM_400000_NS6detail17trampoline_kernelINS0_14default_configENS1_37merge_sort_block_sort_config_selectorIlNS0_10empty_typeEEEZNS1_21merge_sort_block_sortIS3_PlS8_PS5_S9_ZN2at6native12_GLOBAL__N_124unique_dim_cuda_templateIdEESt5tupleIJNSA_6TensorESF_SF_EERKSF_lbbbEUlllE_EE10hipError_tT0_T1_T2_T3_mRjT4_P12ihipStream_tbNS1_7vsmem_tEEUlT_E_NS1_11comp_targetILNS1_3genE3ELNS1_11target_archE908ELNS1_3gpuE7ELNS1_3repE0EEENS1_30default_config_static_selectorELNS0_4arch9wavefront6targetE0EEEvSM_.uses_flat_scratch, 0
	.set _ZN7rocprim17ROCPRIM_400000_NS6detail17trampoline_kernelINS0_14default_configENS1_37merge_sort_block_sort_config_selectorIlNS0_10empty_typeEEEZNS1_21merge_sort_block_sortIS3_PlS8_PS5_S9_ZN2at6native12_GLOBAL__N_124unique_dim_cuda_templateIdEESt5tupleIJNSA_6TensorESF_SF_EERKSF_lbbbEUlllE_EE10hipError_tT0_T1_T2_T3_mRjT4_P12ihipStream_tbNS1_7vsmem_tEEUlT_E_NS1_11comp_targetILNS1_3genE3ELNS1_11target_archE908ELNS1_3gpuE7ELNS1_3repE0EEENS1_30default_config_static_selectorELNS0_4arch9wavefront6targetE0EEEvSM_.has_dyn_sized_stack, 0
	.set _ZN7rocprim17ROCPRIM_400000_NS6detail17trampoline_kernelINS0_14default_configENS1_37merge_sort_block_sort_config_selectorIlNS0_10empty_typeEEEZNS1_21merge_sort_block_sortIS3_PlS8_PS5_S9_ZN2at6native12_GLOBAL__N_124unique_dim_cuda_templateIdEESt5tupleIJNSA_6TensorESF_SF_EERKSF_lbbbEUlllE_EE10hipError_tT0_T1_T2_T3_mRjT4_P12ihipStream_tbNS1_7vsmem_tEEUlT_E_NS1_11comp_targetILNS1_3genE3ELNS1_11target_archE908ELNS1_3gpuE7ELNS1_3repE0EEENS1_30default_config_static_selectorELNS0_4arch9wavefront6targetE0EEEvSM_.has_recursion, 0
	.set _ZN7rocprim17ROCPRIM_400000_NS6detail17trampoline_kernelINS0_14default_configENS1_37merge_sort_block_sort_config_selectorIlNS0_10empty_typeEEEZNS1_21merge_sort_block_sortIS3_PlS8_PS5_S9_ZN2at6native12_GLOBAL__N_124unique_dim_cuda_templateIdEESt5tupleIJNSA_6TensorESF_SF_EERKSF_lbbbEUlllE_EE10hipError_tT0_T1_T2_T3_mRjT4_P12ihipStream_tbNS1_7vsmem_tEEUlT_E_NS1_11comp_targetILNS1_3genE3ELNS1_11target_archE908ELNS1_3gpuE7ELNS1_3repE0EEENS1_30default_config_static_selectorELNS0_4arch9wavefront6targetE0EEEvSM_.has_indirect_call, 0
	.section	.AMDGPU.csdata,"",@progbits
; Kernel info:
; codeLenInByte = 0
; TotalNumSgprs: 0
; NumVgprs: 0
; ScratchSize: 0
; MemoryBound: 0
; FloatMode: 240
; IeeeMode: 1
; LDSByteSize: 0 bytes/workgroup (compile time only)
; SGPRBlocks: 0
; VGPRBlocks: 0
; NumSGPRsForWavesPerEU: 1
; NumVGPRsForWavesPerEU: 1
; NamedBarCnt: 0
; Occupancy: 16
; WaveLimiterHint : 0
; COMPUTE_PGM_RSRC2:SCRATCH_EN: 0
; COMPUTE_PGM_RSRC2:USER_SGPR: 2
; COMPUTE_PGM_RSRC2:TRAP_HANDLER: 0
; COMPUTE_PGM_RSRC2:TGID_X_EN: 1
; COMPUTE_PGM_RSRC2:TGID_Y_EN: 0
; COMPUTE_PGM_RSRC2:TGID_Z_EN: 0
; COMPUTE_PGM_RSRC2:TIDIG_COMP_CNT: 0
	.section	.text._ZN7rocprim17ROCPRIM_400000_NS6detail17trampoline_kernelINS0_14default_configENS1_37merge_sort_block_sort_config_selectorIlNS0_10empty_typeEEEZNS1_21merge_sort_block_sortIS3_PlS8_PS5_S9_ZN2at6native12_GLOBAL__N_124unique_dim_cuda_templateIdEESt5tupleIJNSA_6TensorESF_SF_EERKSF_lbbbEUlllE_EE10hipError_tT0_T1_T2_T3_mRjT4_P12ihipStream_tbNS1_7vsmem_tEEUlT_E_NS1_11comp_targetILNS1_3genE2ELNS1_11target_archE906ELNS1_3gpuE6ELNS1_3repE0EEENS1_30default_config_static_selectorELNS0_4arch9wavefront6targetE0EEEvSM_,"axG",@progbits,_ZN7rocprim17ROCPRIM_400000_NS6detail17trampoline_kernelINS0_14default_configENS1_37merge_sort_block_sort_config_selectorIlNS0_10empty_typeEEEZNS1_21merge_sort_block_sortIS3_PlS8_PS5_S9_ZN2at6native12_GLOBAL__N_124unique_dim_cuda_templateIdEESt5tupleIJNSA_6TensorESF_SF_EERKSF_lbbbEUlllE_EE10hipError_tT0_T1_T2_T3_mRjT4_P12ihipStream_tbNS1_7vsmem_tEEUlT_E_NS1_11comp_targetILNS1_3genE2ELNS1_11target_archE906ELNS1_3gpuE6ELNS1_3repE0EEENS1_30default_config_static_selectorELNS0_4arch9wavefront6targetE0EEEvSM_,comdat
	.globl	_ZN7rocprim17ROCPRIM_400000_NS6detail17trampoline_kernelINS0_14default_configENS1_37merge_sort_block_sort_config_selectorIlNS0_10empty_typeEEEZNS1_21merge_sort_block_sortIS3_PlS8_PS5_S9_ZN2at6native12_GLOBAL__N_124unique_dim_cuda_templateIdEESt5tupleIJNSA_6TensorESF_SF_EERKSF_lbbbEUlllE_EE10hipError_tT0_T1_T2_T3_mRjT4_P12ihipStream_tbNS1_7vsmem_tEEUlT_E_NS1_11comp_targetILNS1_3genE2ELNS1_11target_archE906ELNS1_3gpuE6ELNS1_3repE0EEENS1_30default_config_static_selectorELNS0_4arch9wavefront6targetE0EEEvSM_ ; -- Begin function _ZN7rocprim17ROCPRIM_400000_NS6detail17trampoline_kernelINS0_14default_configENS1_37merge_sort_block_sort_config_selectorIlNS0_10empty_typeEEEZNS1_21merge_sort_block_sortIS3_PlS8_PS5_S9_ZN2at6native12_GLOBAL__N_124unique_dim_cuda_templateIdEESt5tupleIJNSA_6TensorESF_SF_EERKSF_lbbbEUlllE_EE10hipError_tT0_T1_T2_T3_mRjT4_P12ihipStream_tbNS1_7vsmem_tEEUlT_E_NS1_11comp_targetILNS1_3genE2ELNS1_11target_archE906ELNS1_3gpuE6ELNS1_3repE0EEENS1_30default_config_static_selectorELNS0_4arch9wavefront6targetE0EEEvSM_
	.p2align	8
	.type	_ZN7rocprim17ROCPRIM_400000_NS6detail17trampoline_kernelINS0_14default_configENS1_37merge_sort_block_sort_config_selectorIlNS0_10empty_typeEEEZNS1_21merge_sort_block_sortIS3_PlS8_PS5_S9_ZN2at6native12_GLOBAL__N_124unique_dim_cuda_templateIdEESt5tupleIJNSA_6TensorESF_SF_EERKSF_lbbbEUlllE_EE10hipError_tT0_T1_T2_T3_mRjT4_P12ihipStream_tbNS1_7vsmem_tEEUlT_E_NS1_11comp_targetILNS1_3genE2ELNS1_11target_archE906ELNS1_3gpuE6ELNS1_3repE0EEENS1_30default_config_static_selectorELNS0_4arch9wavefront6targetE0EEEvSM_,@function
_ZN7rocprim17ROCPRIM_400000_NS6detail17trampoline_kernelINS0_14default_configENS1_37merge_sort_block_sort_config_selectorIlNS0_10empty_typeEEEZNS1_21merge_sort_block_sortIS3_PlS8_PS5_S9_ZN2at6native12_GLOBAL__N_124unique_dim_cuda_templateIdEESt5tupleIJNSA_6TensorESF_SF_EERKSF_lbbbEUlllE_EE10hipError_tT0_T1_T2_T3_mRjT4_P12ihipStream_tbNS1_7vsmem_tEEUlT_E_NS1_11comp_targetILNS1_3genE2ELNS1_11target_archE906ELNS1_3gpuE6ELNS1_3repE0EEENS1_30default_config_static_selectorELNS0_4arch9wavefront6targetE0EEEvSM_: ; @_ZN7rocprim17ROCPRIM_400000_NS6detail17trampoline_kernelINS0_14default_configENS1_37merge_sort_block_sort_config_selectorIlNS0_10empty_typeEEEZNS1_21merge_sort_block_sortIS3_PlS8_PS5_S9_ZN2at6native12_GLOBAL__N_124unique_dim_cuda_templateIdEESt5tupleIJNSA_6TensorESF_SF_EERKSF_lbbbEUlllE_EE10hipError_tT0_T1_T2_T3_mRjT4_P12ihipStream_tbNS1_7vsmem_tEEUlT_E_NS1_11comp_targetILNS1_3genE2ELNS1_11target_archE906ELNS1_3gpuE6ELNS1_3repE0EEENS1_30default_config_static_selectorELNS0_4arch9wavefront6targetE0EEEvSM_
; %bb.0:
	.section	.rodata,"a",@progbits
	.p2align	6, 0x0
	.amdhsa_kernel _ZN7rocprim17ROCPRIM_400000_NS6detail17trampoline_kernelINS0_14default_configENS1_37merge_sort_block_sort_config_selectorIlNS0_10empty_typeEEEZNS1_21merge_sort_block_sortIS3_PlS8_PS5_S9_ZN2at6native12_GLOBAL__N_124unique_dim_cuda_templateIdEESt5tupleIJNSA_6TensorESF_SF_EERKSF_lbbbEUlllE_EE10hipError_tT0_T1_T2_T3_mRjT4_P12ihipStream_tbNS1_7vsmem_tEEUlT_E_NS1_11comp_targetILNS1_3genE2ELNS1_11target_archE906ELNS1_3gpuE6ELNS1_3repE0EEENS1_30default_config_static_selectorELNS0_4arch9wavefront6targetE0EEEvSM_
		.amdhsa_group_segment_fixed_size 0
		.amdhsa_private_segment_fixed_size 0
		.amdhsa_kernarg_size 72
		.amdhsa_user_sgpr_count 2
		.amdhsa_user_sgpr_dispatch_ptr 0
		.amdhsa_user_sgpr_queue_ptr 0
		.amdhsa_user_sgpr_kernarg_segment_ptr 1
		.amdhsa_user_sgpr_dispatch_id 0
		.amdhsa_user_sgpr_kernarg_preload_length 0
		.amdhsa_user_sgpr_kernarg_preload_offset 0
		.amdhsa_user_sgpr_private_segment_size 0
		.amdhsa_wavefront_size32 1
		.amdhsa_uses_dynamic_stack 0
		.amdhsa_enable_private_segment 0
		.amdhsa_system_sgpr_workgroup_id_x 1
		.amdhsa_system_sgpr_workgroup_id_y 0
		.amdhsa_system_sgpr_workgroup_id_z 0
		.amdhsa_system_sgpr_workgroup_info 0
		.amdhsa_system_vgpr_workitem_id 0
		.amdhsa_next_free_vgpr 1
		.amdhsa_next_free_sgpr 1
		.amdhsa_named_barrier_count 0
		.amdhsa_reserve_vcc 0
		.amdhsa_float_round_mode_32 0
		.amdhsa_float_round_mode_16_64 0
		.amdhsa_float_denorm_mode_32 3
		.amdhsa_float_denorm_mode_16_64 3
		.amdhsa_fp16_overflow 0
		.amdhsa_memory_ordered 1
		.amdhsa_forward_progress 1
		.amdhsa_inst_pref_size 0
		.amdhsa_round_robin_scheduling 0
		.amdhsa_exception_fp_ieee_invalid_op 0
		.amdhsa_exception_fp_denorm_src 0
		.amdhsa_exception_fp_ieee_div_zero 0
		.amdhsa_exception_fp_ieee_overflow 0
		.amdhsa_exception_fp_ieee_underflow 0
		.amdhsa_exception_fp_ieee_inexact 0
		.amdhsa_exception_int_div_zero 0
	.end_amdhsa_kernel
	.section	.text._ZN7rocprim17ROCPRIM_400000_NS6detail17trampoline_kernelINS0_14default_configENS1_37merge_sort_block_sort_config_selectorIlNS0_10empty_typeEEEZNS1_21merge_sort_block_sortIS3_PlS8_PS5_S9_ZN2at6native12_GLOBAL__N_124unique_dim_cuda_templateIdEESt5tupleIJNSA_6TensorESF_SF_EERKSF_lbbbEUlllE_EE10hipError_tT0_T1_T2_T3_mRjT4_P12ihipStream_tbNS1_7vsmem_tEEUlT_E_NS1_11comp_targetILNS1_3genE2ELNS1_11target_archE906ELNS1_3gpuE6ELNS1_3repE0EEENS1_30default_config_static_selectorELNS0_4arch9wavefront6targetE0EEEvSM_,"axG",@progbits,_ZN7rocprim17ROCPRIM_400000_NS6detail17trampoline_kernelINS0_14default_configENS1_37merge_sort_block_sort_config_selectorIlNS0_10empty_typeEEEZNS1_21merge_sort_block_sortIS3_PlS8_PS5_S9_ZN2at6native12_GLOBAL__N_124unique_dim_cuda_templateIdEESt5tupleIJNSA_6TensorESF_SF_EERKSF_lbbbEUlllE_EE10hipError_tT0_T1_T2_T3_mRjT4_P12ihipStream_tbNS1_7vsmem_tEEUlT_E_NS1_11comp_targetILNS1_3genE2ELNS1_11target_archE906ELNS1_3gpuE6ELNS1_3repE0EEENS1_30default_config_static_selectorELNS0_4arch9wavefront6targetE0EEEvSM_,comdat
.Lfunc_end753:
	.size	_ZN7rocprim17ROCPRIM_400000_NS6detail17trampoline_kernelINS0_14default_configENS1_37merge_sort_block_sort_config_selectorIlNS0_10empty_typeEEEZNS1_21merge_sort_block_sortIS3_PlS8_PS5_S9_ZN2at6native12_GLOBAL__N_124unique_dim_cuda_templateIdEESt5tupleIJNSA_6TensorESF_SF_EERKSF_lbbbEUlllE_EE10hipError_tT0_T1_T2_T3_mRjT4_P12ihipStream_tbNS1_7vsmem_tEEUlT_E_NS1_11comp_targetILNS1_3genE2ELNS1_11target_archE906ELNS1_3gpuE6ELNS1_3repE0EEENS1_30default_config_static_selectorELNS0_4arch9wavefront6targetE0EEEvSM_, .Lfunc_end753-_ZN7rocprim17ROCPRIM_400000_NS6detail17trampoline_kernelINS0_14default_configENS1_37merge_sort_block_sort_config_selectorIlNS0_10empty_typeEEEZNS1_21merge_sort_block_sortIS3_PlS8_PS5_S9_ZN2at6native12_GLOBAL__N_124unique_dim_cuda_templateIdEESt5tupleIJNSA_6TensorESF_SF_EERKSF_lbbbEUlllE_EE10hipError_tT0_T1_T2_T3_mRjT4_P12ihipStream_tbNS1_7vsmem_tEEUlT_E_NS1_11comp_targetILNS1_3genE2ELNS1_11target_archE906ELNS1_3gpuE6ELNS1_3repE0EEENS1_30default_config_static_selectorELNS0_4arch9wavefront6targetE0EEEvSM_
                                        ; -- End function
	.set _ZN7rocprim17ROCPRIM_400000_NS6detail17trampoline_kernelINS0_14default_configENS1_37merge_sort_block_sort_config_selectorIlNS0_10empty_typeEEEZNS1_21merge_sort_block_sortIS3_PlS8_PS5_S9_ZN2at6native12_GLOBAL__N_124unique_dim_cuda_templateIdEESt5tupleIJNSA_6TensorESF_SF_EERKSF_lbbbEUlllE_EE10hipError_tT0_T1_T2_T3_mRjT4_P12ihipStream_tbNS1_7vsmem_tEEUlT_E_NS1_11comp_targetILNS1_3genE2ELNS1_11target_archE906ELNS1_3gpuE6ELNS1_3repE0EEENS1_30default_config_static_selectorELNS0_4arch9wavefront6targetE0EEEvSM_.num_vgpr, 0
	.set _ZN7rocprim17ROCPRIM_400000_NS6detail17trampoline_kernelINS0_14default_configENS1_37merge_sort_block_sort_config_selectorIlNS0_10empty_typeEEEZNS1_21merge_sort_block_sortIS3_PlS8_PS5_S9_ZN2at6native12_GLOBAL__N_124unique_dim_cuda_templateIdEESt5tupleIJNSA_6TensorESF_SF_EERKSF_lbbbEUlllE_EE10hipError_tT0_T1_T2_T3_mRjT4_P12ihipStream_tbNS1_7vsmem_tEEUlT_E_NS1_11comp_targetILNS1_3genE2ELNS1_11target_archE906ELNS1_3gpuE6ELNS1_3repE0EEENS1_30default_config_static_selectorELNS0_4arch9wavefront6targetE0EEEvSM_.num_agpr, 0
	.set _ZN7rocprim17ROCPRIM_400000_NS6detail17trampoline_kernelINS0_14default_configENS1_37merge_sort_block_sort_config_selectorIlNS0_10empty_typeEEEZNS1_21merge_sort_block_sortIS3_PlS8_PS5_S9_ZN2at6native12_GLOBAL__N_124unique_dim_cuda_templateIdEESt5tupleIJNSA_6TensorESF_SF_EERKSF_lbbbEUlllE_EE10hipError_tT0_T1_T2_T3_mRjT4_P12ihipStream_tbNS1_7vsmem_tEEUlT_E_NS1_11comp_targetILNS1_3genE2ELNS1_11target_archE906ELNS1_3gpuE6ELNS1_3repE0EEENS1_30default_config_static_selectorELNS0_4arch9wavefront6targetE0EEEvSM_.numbered_sgpr, 0
	.set _ZN7rocprim17ROCPRIM_400000_NS6detail17trampoline_kernelINS0_14default_configENS1_37merge_sort_block_sort_config_selectorIlNS0_10empty_typeEEEZNS1_21merge_sort_block_sortIS3_PlS8_PS5_S9_ZN2at6native12_GLOBAL__N_124unique_dim_cuda_templateIdEESt5tupleIJNSA_6TensorESF_SF_EERKSF_lbbbEUlllE_EE10hipError_tT0_T1_T2_T3_mRjT4_P12ihipStream_tbNS1_7vsmem_tEEUlT_E_NS1_11comp_targetILNS1_3genE2ELNS1_11target_archE906ELNS1_3gpuE6ELNS1_3repE0EEENS1_30default_config_static_selectorELNS0_4arch9wavefront6targetE0EEEvSM_.num_named_barrier, 0
	.set _ZN7rocprim17ROCPRIM_400000_NS6detail17trampoline_kernelINS0_14default_configENS1_37merge_sort_block_sort_config_selectorIlNS0_10empty_typeEEEZNS1_21merge_sort_block_sortIS3_PlS8_PS5_S9_ZN2at6native12_GLOBAL__N_124unique_dim_cuda_templateIdEESt5tupleIJNSA_6TensorESF_SF_EERKSF_lbbbEUlllE_EE10hipError_tT0_T1_T2_T3_mRjT4_P12ihipStream_tbNS1_7vsmem_tEEUlT_E_NS1_11comp_targetILNS1_3genE2ELNS1_11target_archE906ELNS1_3gpuE6ELNS1_3repE0EEENS1_30default_config_static_selectorELNS0_4arch9wavefront6targetE0EEEvSM_.private_seg_size, 0
	.set _ZN7rocprim17ROCPRIM_400000_NS6detail17trampoline_kernelINS0_14default_configENS1_37merge_sort_block_sort_config_selectorIlNS0_10empty_typeEEEZNS1_21merge_sort_block_sortIS3_PlS8_PS5_S9_ZN2at6native12_GLOBAL__N_124unique_dim_cuda_templateIdEESt5tupleIJNSA_6TensorESF_SF_EERKSF_lbbbEUlllE_EE10hipError_tT0_T1_T2_T3_mRjT4_P12ihipStream_tbNS1_7vsmem_tEEUlT_E_NS1_11comp_targetILNS1_3genE2ELNS1_11target_archE906ELNS1_3gpuE6ELNS1_3repE0EEENS1_30default_config_static_selectorELNS0_4arch9wavefront6targetE0EEEvSM_.uses_vcc, 0
	.set _ZN7rocprim17ROCPRIM_400000_NS6detail17trampoline_kernelINS0_14default_configENS1_37merge_sort_block_sort_config_selectorIlNS0_10empty_typeEEEZNS1_21merge_sort_block_sortIS3_PlS8_PS5_S9_ZN2at6native12_GLOBAL__N_124unique_dim_cuda_templateIdEESt5tupleIJNSA_6TensorESF_SF_EERKSF_lbbbEUlllE_EE10hipError_tT0_T1_T2_T3_mRjT4_P12ihipStream_tbNS1_7vsmem_tEEUlT_E_NS1_11comp_targetILNS1_3genE2ELNS1_11target_archE906ELNS1_3gpuE6ELNS1_3repE0EEENS1_30default_config_static_selectorELNS0_4arch9wavefront6targetE0EEEvSM_.uses_flat_scratch, 0
	.set _ZN7rocprim17ROCPRIM_400000_NS6detail17trampoline_kernelINS0_14default_configENS1_37merge_sort_block_sort_config_selectorIlNS0_10empty_typeEEEZNS1_21merge_sort_block_sortIS3_PlS8_PS5_S9_ZN2at6native12_GLOBAL__N_124unique_dim_cuda_templateIdEESt5tupleIJNSA_6TensorESF_SF_EERKSF_lbbbEUlllE_EE10hipError_tT0_T1_T2_T3_mRjT4_P12ihipStream_tbNS1_7vsmem_tEEUlT_E_NS1_11comp_targetILNS1_3genE2ELNS1_11target_archE906ELNS1_3gpuE6ELNS1_3repE0EEENS1_30default_config_static_selectorELNS0_4arch9wavefront6targetE0EEEvSM_.has_dyn_sized_stack, 0
	.set _ZN7rocprim17ROCPRIM_400000_NS6detail17trampoline_kernelINS0_14default_configENS1_37merge_sort_block_sort_config_selectorIlNS0_10empty_typeEEEZNS1_21merge_sort_block_sortIS3_PlS8_PS5_S9_ZN2at6native12_GLOBAL__N_124unique_dim_cuda_templateIdEESt5tupleIJNSA_6TensorESF_SF_EERKSF_lbbbEUlllE_EE10hipError_tT0_T1_T2_T3_mRjT4_P12ihipStream_tbNS1_7vsmem_tEEUlT_E_NS1_11comp_targetILNS1_3genE2ELNS1_11target_archE906ELNS1_3gpuE6ELNS1_3repE0EEENS1_30default_config_static_selectorELNS0_4arch9wavefront6targetE0EEEvSM_.has_recursion, 0
	.set _ZN7rocprim17ROCPRIM_400000_NS6detail17trampoline_kernelINS0_14default_configENS1_37merge_sort_block_sort_config_selectorIlNS0_10empty_typeEEEZNS1_21merge_sort_block_sortIS3_PlS8_PS5_S9_ZN2at6native12_GLOBAL__N_124unique_dim_cuda_templateIdEESt5tupleIJNSA_6TensorESF_SF_EERKSF_lbbbEUlllE_EE10hipError_tT0_T1_T2_T3_mRjT4_P12ihipStream_tbNS1_7vsmem_tEEUlT_E_NS1_11comp_targetILNS1_3genE2ELNS1_11target_archE906ELNS1_3gpuE6ELNS1_3repE0EEENS1_30default_config_static_selectorELNS0_4arch9wavefront6targetE0EEEvSM_.has_indirect_call, 0
	.section	.AMDGPU.csdata,"",@progbits
; Kernel info:
; codeLenInByte = 0
; TotalNumSgprs: 0
; NumVgprs: 0
; ScratchSize: 0
; MemoryBound: 0
; FloatMode: 240
; IeeeMode: 1
; LDSByteSize: 0 bytes/workgroup (compile time only)
; SGPRBlocks: 0
; VGPRBlocks: 0
; NumSGPRsForWavesPerEU: 1
; NumVGPRsForWavesPerEU: 1
; NamedBarCnt: 0
; Occupancy: 16
; WaveLimiterHint : 0
; COMPUTE_PGM_RSRC2:SCRATCH_EN: 0
; COMPUTE_PGM_RSRC2:USER_SGPR: 2
; COMPUTE_PGM_RSRC2:TRAP_HANDLER: 0
; COMPUTE_PGM_RSRC2:TGID_X_EN: 1
; COMPUTE_PGM_RSRC2:TGID_Y_EN: 0
; COMPUTE_PGM_RSRC2:TGID_Z_EN: 0
; COMPUTE_PGM_RSRC2:TIDIG_COMP_CNT: 0
	.section	.text._ZN7rocprim17ROCPRIM_400000_NS6detail17trampoline_kernelINS0_14default_configENS1_37merge_sort_block_sort_config_selectorIlNS0_10empty_typeEEEZNS1_21merge_sort_block_sortIS3_PlS8_PS5_S9_ZN2at6native12_GLOBAL__N_124unique_dim_cuda_templateIdEESt5tupleIJNSA_6TensorESF_SF_EERKSF_lbbbEUlllE_EE10hipError_tT0_T1_T2_T3_mRjT4_P12ihipStream_tbNS1_7vsmem_tEEUlT_E_NS1_11comp_targetILNS1_3genE10ELNS1_11target_archE1201ELNS1_3gpuE5ELNS1_3repE0EEENS1_30default_config_static_selectorELNS0_4arch9wavefront6targetE0EEEvSM_,"axG",@progbits,_ZN7rocprim17ROCPRIM_400000_NS6detail17trampoline_kernelINS0_14default_configENS1_37merge_sort_block_sort_config_selectorIlNS0_10empty_typeEEEZNS1_21merge_sort_block_sortIS3_PlS8_PS5_S9_ZN2at6native12_GLOBAL__N_124unique_dim_cuda_templateIdEESt5tupleIJNSA_6TensorESF_SF_EERKSF_lbbbEUlllE_EE10hipError_tT0_T1_T2_T3_mRjT4_P12ihipStream_tbNS1_7vsmem_tEEUlT_E_NS1_11comp_targetILNS1_3genE10ELNS1_11target_archE1201ELNS1_3gpuE5ELNS1_3repE0EEENS1_30default_config_static_selectorELNS0_4arch9wavefront6targetE0EEEvSM_,comdat
	.globl	_ZN7rocprim17ROCPRIM_400000_NS6detail17trampoline_kernelINS0_14default_configENS1_37merge_sort_block_sort_config_selectorIlNS0_10empty_typeEEEZNS1_21merge_sort_block_sortIS3_PlS8_PS5_S9_ZN2at6native12_GLOBAL__N_124unique_dim_cuda_templateIdEESt5tupleIJNSA_6TensorESF_SF_EERKSF_lbbbEUlllE_EE10hipError_tT0_T1_T2_T3_mRjT4_P12ihipStream_tbNS1_7vsmem_tEEUlT_E_NS1_11comp_targetILNS1_3genE10ELNS1_11target_archE1201ELNS1_3gpuE5ELNS1_3repE0EEENS1_30default_config_static_selectorELNS0_4arch9wavefront6targetE0EEEvSM_ ; -- Begin function _ZN7rocprim17ROCPRIM_400000_NS6detail17trampoline_kernelINS0_14default_configENS1_37merge_sort_block_sort_config_selectorIlNS0_10empty_typeEEEZNS1_21merge_sort_block_sortIS3_PlS8_PS5_S9_ZN2at6native12_GLOBAL__N_124unique_dim_cuda_templateIdEESt5tupleIJNSA_6TensorESF_SF_EERKSF_lbbbEUlllE_EE10hipError_tT0_T1_T2_T3_mRjT4_P12ihipStream_tbNS1_7vsmem_tEEUlT_E_NS1_11comp_targetILNS1_3genE10ELNS1_11target_archE1201ELNS1_3gpuE5ELNS1_3repE0EEENS1_30default_config_static_selectorELNS0_4arch9wavefront6targetE0EEEvSM_
	.p2align	8
	.type	_ZN7rocprim17ROCPRIM_400000_NS6detail17trampoline_kernelINS0_14default_configENS1_37merge_sort_block_sort_config_selectorIlNS0_10empty_typeEEEZNS1_21merge_sort_block_sortIS3_PlS8_PS5_S9_ZN2at6native12_GLOBAL__N_124unique_dim_cuda_templateIdEESt5tupleIJNSA_6TensorESF_SF_EERKSF_lbbbEUlllE_EE10hipError_tT0_T1_T2_T3_mRjT4_P12ihipStream_tbNS1_7vsmem_tEEUlT_E_NS1_11comp_targetILNS1_3genE10ELNS1_11target_archE1201ELNS1_3gpuE5ELNS1_3repE0EEENS1_30default_config_static_selectorELNS0_4arch9wavefront6targetE0EEEvSM_,@function
_ZN7rocprim17ROCPRIM_400000_NS6detail17trampoline_kernelINS0_14default_configENS1_37merge_sort_block_sort_config_selectorIlNS0_10empty_typeEEEZNS1_21merge_sort_block_sortIS3_PlS8_PS5_S9_ZN2at6native12_GLOBAL__N_124unique_dim_cuda_templateIdEESt5tupleIJNSA_6TensorESF_SF_EERKSF_lbbbEUlllE_EE10hipError_tT0_T1_T2_T3_mRjT4_P12ihipStream_tbNS1_7vsmem_tEEUlT_E_NS1_11comp_targetILNS1_3genE10ELNS1_11target_archE1201ELNS1_3gpuE5ELNS1_3repE0EEENS1_30default_config_static_selectorELNS0_4arch9wavefront6targetE0EEEvSM_: ; @_ZN7rocprim17ROCPRIM_400000_NS6detail17trampoline_kernelINS0_14default_configENS1_37merge_sort_block_sort_config_selectorIlNS0_10empty_typeEEEZNS1_21merge_sort_block_sortIS3_PlS8_PS5_S9_ZN2at6native12_GLOBAL__N_124unique_dim_cuda_templateIdEESt5tupleIJNSA_6TensorESF_SF_EERKSF_lbbbEUlllE_EE10hipError_tT0_T1_T2_T3_mRjT4_P12ihipStream_tbNS1_7vsmem_tEEUlT_E_NS1_11comp_targetILNS1_3genE10ELNS1_11target_archE1201ELNS1_3gpuE5ELNS1_3repE0EEENS1_30default_config_static_selectorELNS0_4arch9wavefront6targetE0EEEvSM_
; %bb.0:
	.section	.rodata,"a",@progbits
	.p2align	6, 0x0
	.amdhsa_kernel _ZN7rocprim17ROCPRIM_400000_NS6detail17trampoline_kernelINS0_14default_configENS1_37merge_sort_block_sort_config_selectorIlNS0_10empty_typeEEEZNS1_21merge_sort_block_sortIS3_PlS8_PS5_S9_ZN2at6native12_GLOBAL__N_124unique_dim_cuda_templateIdEESt5tupleIJNSA_6TensorESF_SF_EERKSF_lbbbEUlllE_EE10hipError_tT0_T1_T2_T3_mRjT4_P12ihipStream_tbNS1_7vsmem_tEEUlT_E_NS1_11comp_targetILNS1_3genE10ELNS1_11target_archE1201ELNS1_3gpuE5ELNS1_3repE0EEENS1_30default_config_static_selectorELNS0_4arch9wavefront6targetE0EEEvSM_
		.amdhsa_group_segment_fixed_size 0
		.amdhsa_private_segment_fixed_size 0
		.amdhsa_kernarg_size 72
		.amdhsa_user_sgpr_count 2
		.amdhsa_user_sgpr_dispatch_ptr 0
		.amdhsa_user_sgpr_queue_ptr 0
		.amdhsa_user_sgpr_kernarg_segment_ptr 1
		.amdhsa_user_sgpr_dispatch_id 0
		.amdhsa_user_sgpr_kernarg_preload_length 0
		.amdhsa_user_sgpr_kernarg_preload_offset 0
		.amdhsa_user_sgpr_private_segment_size 0
		.amdhsa_wavefront_size32 1
		.amdhsa_uses_dynamic_stack 0
		.amdhsa_enable_private_segment 0
		.amdhsa_system_sgpr_workgroup_id_x 1
		.amdhsa_system_sgpr_workgroup_id_y 0
		.amdhsa_system_sgpr_workgroup_id_z 0
		.amdhsa_system_sgpr_workgroup_info 0
		.amdhsa_system_vgpr_workitem_id 0
		.amdhsa_next_free_vgpr 1
		.amdhsa_next_free_sgpr 1
		.amdhsa_named_barrier_count 0
		.amdhsa_reserve_vcc 0
		.amdhsa_float_round_mode_32 0
		.amdhsa_float_round_mode_16_64 0
		.amdhsa_float_denorm_mode_32 3
		.amdhsa_float_denorm_mode_16_64 3
		.amdhsa_fp16_overflow 0
		.amdhsa_memory_ordered 1
		.amdhsa_forward_progress 1
		.amdhsa_inst_pref_size 0
		.amdhsa_round_robin_scheduling 0
		.amdhsa_exception_fp_ieee_invalid_op 0
		.amdhsa_exception_fp_denorm_src 0
		.amdhsa_exception_fp_ieee_div_zero 0
		.amdhsa_exception_fp_ieee_overflow 0
		.amdhsa_exception_fp_ieee_underflow 0
		.amdhsa_exception_fp_ieee_inexact 0
		.amdhsa_exception_int_div_zero 0
	.end_amdhsa_kernel
	.section	.text._ZN7rocprim17ROCPRIM_400000_NS6detail17trampoline_kernelINS0_14default_configENS1_37merge_sort_block_sort_config_selectorIlNS0_10empty_typeEEEZNS1_21merge_sort_block_sortIS3_PlS8_PS5_S9_ZN2at6native12_GLOBAL__N_124unique_dim_cuda_templateIdEESt5tupleIJNSA_6TensorESF_SF_EERKSF_lbbbEUlllE_EE10hipError_tT0_T1_T2_T3_mRjT4_P12ihipStream_tbNS1_7vsmem_tEEUlT_E_NS1_11comp_targetILNS1_3genE10ELNS1_11target_archE1201ELNS1_3gpuE5ELNS1_3repE0EEENS1_30default_config_static_selectorELNS0_4arch9wavefront6targetE0EEEvSM_,"axG",@progbits,_ZN7rocprim17ROCPRIM_400000_NS6detail17trampoline_kernelINS0_14default_configENS1_37merge_sort_block_sort_config_selectorIlNS0_10empty_typeEEEZNS1_21merge_sort_block_sortIS3_PlS8_PS5_S9_ZN2at6native12_GLOBAL__N_124unique_dim_cuda_templateIdEESt5tupleIJNSA_6TensorESF_SF_EERKSF_lbbbEUlllE_EE10hipError_tT0_T1_T2_T3_mRjT4_P12ihipStream_tbNS1_7vsmem_tEEUlT_E_NS1_11comp_targetILNS1_3genE10ELNS1_11target_archE1201ELNS1_3gpuE5ELNS1_3repE0EEENS1_30default_config_static_selectorELNS0_4arch9wavefront6targetE0EEEvSM_,comdat
.Lfunc_end754:
	.size	_ZN7rocprim17ROCPRIM_400000_NS6detail17trampoline_kernelINS0_14default_configENS1_37merge_sort_block_sort_config_selectorIlNS0_10empty_typeEEEZNS1_21merge_sort_block_sortIS3_PlS8_PS5_S9_ZN2at6native12_GLOBAL__N_124unique_dim_cuda_templateIdEESt5tupleIJNSA_6TensorESF_SF_EERKSF_lbbbEUlllE_EE10hipError_tT0_T1_T2_T3_mRjT4_P12ihipStream_tbNS1_7vsmem_tEEUlT_E_NS1_11comp_targetILNS1_3genE10ELNS1_11target_archE1201ELNS1_3gpuE5ELNS1_3repE0EEENS1_30default_config_static_selectorELNS0_4arch9wavefront6targetE0EEEvSM_, .Lfunc_end754-_ZN7rocprim17ROCPRIM_400000_NS6detail17trampoline_kernelINS0_14default_configENS1_37merge_sort_block_sort_config_selectorIlNS0_10empty_typeEEEZNS1_21merge_sort_block_sortIS3_PlS8_PS5_S9_ZN2at6native12_GLOBAL__N_124unique_dim_cuda_templateIdEESt5tupleIJNSA_6TensorESF_SF_EERKSF_lbbbEUlllE_EE10hipError_tT0_T1_T2_T3_mRjT4_P12ihipStream_tbNS1_7vsmem_tEEUlT_E_NS1_11comp_targetILNS1_3genE10ELNS1_11target_archE1201ELNS1_3gpuE5ELNS1_3repE0EEENS1_30default_config_static_selectorELNS0_4arch9wavefront6targetE0EEEvSM_
                                        ; -- End function
	.set _ZN7rocprim17ROCPRIM_400000_NS6detail17trampoline_kernelINS0_14default_configENS1_37merge_sort_block_sort_config_selectorIlNS0_10empty_typeEEEZNS1_21merge_sort_block_sortIS3_PlS8_PS5_S9_ZN2at6native12_GLOBAL__N_124unique_dim_cuda_templateIdEESt5tupleIJNSA_6TensorESF_SF_EERKSF_lbbbEUlllE_EE10hipError_tT0_T1_T2_T3_mRjT4_P12ihipStream_tbNS1_7vsmem_tEEUlT_E_NS1_11comp_targetILNS1_3genE10ELNS1_11target_archE1201ELNS1_3gpuE5ELNS1_3repE0EEENS1_30default_config_static_selectorELNS0_4arch9wavefront6targetE0EEEvSM_.num_vgpr, 0
	.set _ZN7rocprim17ROCPRIM_400000_NS6detail17trampoline_kernelINS0_14default_configENS1_37merge_sort_block_sort_config_selectorIlNS0_10empty_typeEEEZNS1_21merge_sort_block_sortIS3_PlS8_PS5_S9_ZN2at6native12_GLOBAL__N_124unique_dim_cuda_templateIdEESt5tupleIJNSA_6TensorESF_SF_EERKSF_lbbbEUlllE_EE10hipError_tT0_T1_T2_T3_mRjT4_P12ihipStream_tbNS1_7vsmem_tEEUlT_E_NS1_11comp_targetILNS1_3genE10ELNS1_11target_archE1201ELNS1_3gpuE5ELNS1_3repE0EEENS1_30default_config_static_selectorELNS0_4arch9wavefront6targetE0EEEvSM_.num_agpr, 0
	.set _ZN7rocprim17ROCPRIM_400000_NS6detail17trampoline_kernelINS0_14default_configENS1_37merge_sort_block_sort_config_selectorIlNS0_10empty_typeEEEZNS1_21merge_sort_block_sortIS3_PlS8_PS5_S9_ZN2at6native12_GLOBAL__N_124unique_dim_cuda_templateIdEESt5tupleIJNSA_6TensorESF_SF_EERKSF_lbbbEUlllE_EE10hipError_tT0_T1_T2_T3_mRjT4_P12ihipStream_tbNS1_7vsmem_tEEUlT_E_NS1_11comp_targetILNS1_3genE10ELNS1_11target_archE1201ELNS1_3gpuE5ELNS1_3repE0EEENS1_30default_config_static_selectorELNS0_4arch9wavefront6targetE0EEEvSM_.numbered_sgpr, 0
	.set _ZN7rocprim17ROCPRIM_400000_NS6detail17trampoline_kernelINS0_14default_configENS1_37merge_sort_block_sort_config_selectorIlNS0_10empty_typeEEEZNS1_21merge_sort_block_sortIS3_PlS8_PS5_S9_ZN2at6native12_GLOBAL__N_124unique_dim_cuda_templateIdEESt5tupleIJNSA_6TensorESF_SF_EERKSF_lbbbEUlllE_EE10hipError_tT0_T1_T2_T3_mRjT4_P12ihipStream_tbNS1_7vsmem_tEEUlT_E_NS1_11comp_targetILNS1_3genE10ELNS1_11target_archE1201ELNS1_3gpuE5ELNS1_3repE0EEENS1_30default_config_static_selectorELNS0_4arch9wavefront6targetE0EEEvSM_.num_named_barrier, 0
	.set _ZN7rocprim17ROCPRIM_400000_NS6detail17trampoline_kernelINS0_14default_configENS1_37merge_sort_block_sort_config_selectorIlNS0_10empty_typeEEEZNS1_21merge_sort_block_sortIS3_PlS8_PS5_S9_ZN2at6native12_GLOBAL__N_124unique_dim_cuda_templateIdEESt5tupleIJNSA_6TensorESF_SF_EERKSF_lbbbEUlllE_EE10hipError_tT0_T1_T2_T3_mRjT4_P12ihipStream_tbNS1_7vsmem_tEEUlT_E_NS1_11comp_targetILNS1_3genE10ELNS1_11target_archE1201ELNS1_3gpuE5ELNS1_3repE0EEENS1_30default_config_static_selectorELNS0_4arch9wavefront6targetE0EEEvSM_.private_seg_size, 0
	.set _ZN7rocprim17ROCPRIM_400000_NS6detail17trampoline_kernelINS0_14default_configENS1_37merge_sort_block_sort_config_selectorIlNS0_10empty_typeEEEZNS1_21merge_sort_block_sortIS3_PlS8_PS5_S9_ZN2at6native12_GLOBAL__N_124unique_dim_cuda_templateIdEESt5tupleIJNSA_6TensorESF_SF_EERKSF_lbbbEUlllE_EE10hipError_tT0_T1_T2_T3_mRjT4_P12ihipStream_tbNS1_7vsmem_tEEUlT_E_NS1_11comp_targetILNS1_3genE10ELNS1_11target_archE1201ELNS1_3gpuE5ELNS1_3repE0EEENS1_30default_config_static_selectorELNS0_4arch9wavefront6targetE0EEEvSM_.uses_vcc, 0
	.set _ZN7rocprim17ROCPRIM_400000_NS6detail17trampoline_kernelINS0_14default_configENS1_37merge_sort_block_sort_config_selectorIlNS0_10empty_typeEEEZNS1_21merge_sort_block_sortIS3_PlS8_PS5_S9_ZN2at6native12_GLOBAL__N_124unique_dim_cuda_templateIdEESt5tupleIJNSA_6TensorESF_SF_EERKSF_lbbbEUlllE_EE10hipError_tT0_T1_T2_T3_mRjT4_P12ihipStream_tbNS1_7vsmem_tEEUlT_E_NS1_11comp_targetILNS1_3genE10ELNS1_11target_archE1201ELNS1_3gpuE5ELNS1_3repE0EEENS1_30default_config_static_selectorELNS0_4arch9wavefront6targetE0EEEvSM_.uses_flat_scratch, 0
	.set _ZN7rocprim17ROCPRIM_400000_NS6detail17trampoline_kernelINS0_14default_configENS1_37merge_sort_block_sort_config_selectorIlNS0_10empty_typeEEEZNS1_21merge_sort_block_sortIS3_PlS8_PS5_S9_ZN2at6native12_GLOBAL__N_124unique_dim_cuda_templateIdEESt5tupleIJNSA_6TensorESF_SF_EERKSF_lbbbEUlllE_EE10hipError_tT0_T1_T2_T3_mRjT4_P12ihipStream_tbNS1_7vsmem_tEEUlT_E_NS1_11comp_targetILNS1_3genE10ELNS1_11target_archE1201ELNS1_3gpuE5ELNS1_3repE0EEENS1_30default_config_static_selectorELNS0_4arch9wavefront6targetE0EEEvSM_.has_dyn_sized_stack, 0
	.set _ZN7rocprim17ROCPRIM_400000_NS6detail17trampoline_kernelINS0_14default_configENS1_37merge_sort_block_sort_config_selectorIlNS0_10empty_typeEEEZNS1_21merge_sort_block_sortIS3_PlS8_PS5_S9_ZN2at6native12_GLOBAL__N_124unique_dim_cuda_templateIdEESt5tupleIJNSA_6TensorESF_SF_EERKSF_lbbbEUlllE_EE10hipError_tT0_T1_T2_T3_mRjT4_P12ihipStream_tbNS1_7vsmem_tEEUlT_E_NS1_11comp_targetILNS1_3genE10ELNS1_11target_archE1201ELNS1_3gpuE5ELNS1_3repE0EEENS1_30default_config_static_selectorELNS0_4arch9wavefront6targetE0EEEvSM_.has_recursion, 0
	.set _ZN7rocprim17ROCPRIM_400000_NS6detail17trampoline_kernelINS0_14default_configENS1_37merge_sort_block_sort_config_selectorIlNS0_10empty_typeEEEZNS1_21merge_sort_block_sortIS3_PlS8_PS5_S9_ZN2at6native12_GLOBAL__N_124unique_dim_cuda_templateIdEESt5tupleIJNSA_6TensorESF_SF_EERKSF_lbbbEUlllE_EE10hipError_tT0_T1_T2_T3_mRjT4_P12ihipStream_tbNS1_7vsmem_tEEUlT_E_NS1_11comp_targetILNS1_3genE10ELNS1_11target_archE1201ELNS1_3gpuE5ELNS1_3repE0EEENS1_30default_config_static_selectorELNS0_4arch9wavefront6targetE0EEEvSM_.has_indirect_call, 0
	.section	.AMDGPU.csdata,"",@progbits
; Kernel info:
; codeLenInByte = 0
; TotalNumSgprs: 0
; NumVgprs: 0
; ScratchSize: 0
; MemoryBound: 0
; FloatMode: 240
; IeeeMode: 1
; LDSByteSize: 0 bytes/workgroup (compile time only)
; SGPRBlocks: 0
; VGPRBlocks: 0
; NumSGPRsForWavesPerEU: 1
; NumVGPRsForWavesPerEU: 1
; NamedBarCnt: 0
; Occupancy: 16
; WaveLimiterHint : 0
; COMPUTE_PGM_RSRC2:SCRATCH_EN: 0
; COMPUTE_PGM_RSRC2:USER_SGPR: 2
; COMPUTE_PGM_RSRC2:TRAP_HANDLER: 0
; COMPUTE_PGM_RSRC2:TGID_X_EN: 1
; COMPUTE_PGM_RSRC2:TGID_Y_EN: 0
; COMPUTE_PGM_RSRC2:TGID_Z_EN: 0
; COMPUTE_PGM_RSRC2:TIDIG_COMP_CNT: 0
	.section	.text._ZN7rocprim17ROCPRIM_400000_NS6detail17trampoline_kernelINS0_14default_configENS1_37merge_sort_block_sort_config_selectorIlNS0_10empty_typeEEEZNS1_21merge_sort_block_sortIS3_PlS8_PS5_S9_ZN2at6native12_GLOBAL__N_124unique_dim_cuda_templateIdEESt5tupleIJNSA_6TensorESF_SF_EERKSF_lbbbEUlllE_EE10hipError_tT0_T1_T2_T3_mRjT4_P12ihipStream_tbNS1_7vsmem_tEEUlT_E_NS1_11comp_targetILNS1_3genE10ELNS1_11target_archE1200ELNS1_3gpuE4ELNS1_3repE0EEENS1_30default_config_static_selectorELNS0_4arch9wavefront6targetE0EEEvSM_,"axG",@progbits,_ZN7rocprim17ROCPRIM_400000_NS6detail17trampoline_kernelINS0_14default_configENS1_37merge_sort_block_sort_config_selectorIlNS0_10empty_typeEEEZNS1_21merge_sort_block_sortIS3_PlS8_PS5_S9_ZN2at6native12_GLOBAL__N_124unique_dim_cuda_templateIdEESt5tupleIJNSA_6TensorESF_SF_EERKSF_lbbbEUlllE_EE10hipError_tT0_T1_T2_T3_mRjT4_P12ihipStream_tbNS1_7vsmem_tEEUlT_E_NS1_11comp_targetILNS1_3genE10ELNS1_11target_archE1200ELNS1_3gpuE4ELNS1_3repE0EEENS1_30default_config_static_selectorELNS0_4arch9wavefront6targetE0EEEvSM_,comdat
	.globl	_ZN7rocprim17ROCPRIM_400000_NS6detail17trampoline_kernelINS0_14default_configENS1_37merge_sort_block_sort_config_selectorIlNS0_10empty_typeEEEZNS1_21merge_sort_block_sortIS3_PlS8_PS5_S9_ZN2at6native12_GLOBAL__N_124unique_dim_cuda_templateIdEESt5tupleIJNSA_6TensorESF_SF_EERKSF_lbbbEUlllE_EE10hipError_tT0_T1_T2_T3_mRjT4_P12ihipStream_tbNS1_7vsmem_tEEUlT_E_NS1_11comp_targetILNS1_3genE10ELNS1_11target_archE1200ELNS1_3gpuE4ELNS1_3repE0EEENS1_30default_config_static_selectorELNS0_4arch9wavefront6targetE0EEEvSM_ ; -- Begin function _ZN7rocprim17ROCPRIM_400000_NS6detail17trampoline_kernelINS0_14default_configENS1_37merge_sort_block_sort_config_selectorIlNS0_10empty_typeEEEZNS1_21merge_sort_block_sortIS3_PlS8_PS5_S9_ZN2at6native12_GLOBAL__N_124unique_dim_cuda_templateIdEESt5tupleIJNSA_6TensorESF_SF_EERKSF_lbbbEUlllE_EE10hipError_tT0_T1_T2_T3_mRjT4_P12ihipStream_tbNS1_7vsmem_tEEUlT_E_NS1_11comp_targetILNS1_3genE10ELNS1_11target_archE1200ELNS1_3gpuE4ELNS1_3repE0EEENS1_30default_config_static_selectorELNS0_4arch9wavefront6targetE0EEEvSM_
	.p2align	8
	.type	_ZN7rocprim17ROCPRIM_400000_NS6detail17trampoline_kernelINS0_14default_configENS1_37merge_sort_block_sort_config_selectorIlNS0_10empty_typeEEEZNS1_21merge_sort_block_sortIS3_PlS8_PS5_S9_ZN2at6native12_GLOBAL__N_124unique_dim_cuda_templateIdEESt5tupleIJNSA_6TensorESF_SF_EERKSF_lbbbEUlllE_EE10hipError_tT0_T1_T2_T3_mRjT4_P12ihipStream_tbNS1_7vsmem_tEEUlT_E_NS1_11comp_targetILNS1_3genE10ELNS1_11target_archE1200ELNS1_3gpuE4ELNS1_3repE0EEENS1_30default_config_static_selectorELNS0_4arch9wavefront6targetE0EEEvSM_,@function
_ZN7rocprim17ROCPRIM_400000_NS6detail17trampoline_kernelINS0_14default_configENS1_37merge_sort_block_sort_config_selectorIlNS0_10empty_typeEEEZNS1_21merge_sort_block_sortIS3_PlS8_PS5_S9_ZN2at6native12_GLOBAL__N_124unique_dim_cuda_templateIdEESt5tupleIJNSA_6TensorESF_SF_EERKSF_lbbbEUlllE_EE10hipError_tT0_T1_T2_T3_mRjT4_P12ihipStream_tbNS1_7vsmem_tEEUlT_E_NS1_11comp_targetILNS1_3genE10ELNS1_11target_archE1200ELNS1_3gpuE4ELNS1_3repE0EEENS1_30default_config_static_selectorELNS0_4arch9wavefront6targetE0EEEvSM_: ; @_ZN7rocprim17ROCPRIM_400000_NS6detail17trampoline_kernelINS0_14default_configENS1_37merge_sort_block_sort_config_selectorIlNS0_10empty_typeEEEZNS1_21merge_sort_block_sortIS3_PlS8_PS5_S9_ZN2at6native12_GLOBAL__N_124unique_dim_cuda_templateIdEESt5tupleIJNSA_6TensorESF_SF_EERKSF_lbbbEUlllE_EE10hipError_tT0_T1_T2_T3_mRjT4_P12ihipStream_tbNS1_7vsmem_tEEUlT_E_NS1_11comp_targetILNS1_3genE10ELNS1_11target_archE1200ELNS1_3gpuE4ELNS1_3repE0EEENS1_30default_config_static_selectorELNS0_4arch9wavefront6targetE0EEEvSM_
; %bb.0:
	.section	.rodata,"a",@progbits
	.p2align	6, 0x0
	.amdhsa_kernel _ZN7rocprim17ROCPRIM_400000_NS6detail17trampoline_kernelINS0_14default_configENS1_37merge_sort_block_sort_config_selectorIlNS0_10empty_typeEEEZNS1_21merge_sort_block_sortIS3_PlS8_PS5_S9_ZN2at6native12_GLOBAL__N_124unique_dim_cuda_templateIdEESt5tupleIJNSA_6TensorESF_SF_EERKSF_lbbbEUlllE_EE10hipError_tT0_T1_T2_T3_mRjT4_P12ihipStream_tbNS1_7vsmem_tEEUlT_E_NS1_11comp_targetILNS1_3genE10ELNS1_11target_archE1200ELNS1_3gpuE4ELNS1_3repE0EEENS1_30default_config_static_selectorELNS0_4arch9wavefront6targetE0EEEvSM_
		.amdhsa_group_segment_fixed_size 0
		.amdhsa_private_segment_fixed_size 0
		.amdhsa_kernarg_size 72
		.amdhsa_user_sgpr_count 2
		.amdhsa_user_sgpr_dispatch_ptr 0
		.amdhsa_user_sgpr_queue_ptr 0
		.amdhsa_user_sgpr_kernarg_segment_ptr 1
		.amdhsa_user_sgpr_dispatch_id 0
		.amdhsa_user_sgpr_kernarg_preload_length 0
		.amdhsa_user_sgpr_kernarg_preload_offset 0
		.amdhsa_user_sgpr_private_segment_size 0
		.amdhsa_wavefront_size32 1
		.amdhsa_uses_dynamic_stack 0
		.amdhsa_enable_private_segment 0
		.amdhsa_system_sgpr_workgroup_id_x 1
		.amdhsa_system_sgpr_workgroup_id_y 0
		.amdhsa_system_sgpr_workgroup_id_z 0
		.amdhsa_system_sgpr_workgroup_info 0
		.amdhsa_system_vgpr_workitem_id 0
		.amdhsa_next_free_vgpr 1
		.amdhsa_next_free_sgpr 1
		.amdhsa_named_barrier_count 0
		.amdhsa_reserve_vcc 0
		.amdhsa_float_round_mode_32 0
		.amdhsa_float_round_mode_16_64 0
		.amdhsa_float_denorm_mode_32 3
		.amdhsa_float_denorm_mode_16_64 3
		.amdhsa_fp16_overflow 0
		.amdhsa_memory_ordered 1
		.amdhsa_forward_progress 1
		.amdhsa_inst_pref_size 0
		.amdhsa_round_robin_scheduling 0
		.amdhsa_exception_fp_ieee_invalid_op 0
		.amdhsa_exception_fp_denorm_src 0
		.amdhsa_exception_fp_ieee_div_zero 0
		.amdhsa_exception_fp_ieee_overflow 0
		.amdhsa_exception_fp_ieee_underflow 0
		.amdhsa_exception_fp_ieee_inexact 0
		.amdhsa_exception_int_div_zero 0
	.end_amdhsa_kernel
	.section	.text._ZN7rocprim17ROCPRIM_400000_NS6detail17trampoline_kernelINS0_14default_configENS1_37merge_sort_block_sort_config_selectorIlNS0_10empty_typeEEEZNS1_21merge_sort_block_sortIS3_PlS8_PS5_S9_ZN2at6native12_GLOBAL__N_124unique_dim_cuda_templateIdEESt5tupleIJNSA_6TensorESF_SF_EERKSF_lbbbEUlllE_EE10hipError_tT0_T1_T2_T3_mRjT4_P12ihipStream_tbNS1_7vsmem_tEEUlT_E_NS1_11comp_targetILNS1_3genE10ELNS1_11target_archE1200ELNS1_3gpuE4ELNS1_3repE0EEENS1_30default_config_static_selectorELNS0_4arch9wavefront6targetE0EEEvSM_,"axG",@progbits,_ZN7rocprim17ROCPRIM_400000_NS6detail17trampoline_kernelINS0_14default_configENS1_37merge_sort_block_sort_config_selectorIlNS0_10empty_typeEEEZNS1_21merge_sort_block_sortIS3_PlS8_PS5_S9_ZN2at6native12_GLOBAL__N_124unique_dim_cuda_templateIdEESt5tupleIJNSA_6TensorESF_SF_EERKSF_lbbbEUlllE_EE10hipError_tT0_T1_T2_T3_mRjT4_P12ihipStream_tbNS1_7vsmem_tEEUlT_E_NS1_11comp_targetILNS1_3genE10ELNS1_11target_archE1200ELNS1_3gpuE4ELNS1_3repE0EEENS1_30default_config_static_selectorELNS0_4arch9wavefront6targetE0EEEvSM_,comdat
.Lfunc_end755:
	.size	_ZN7rocprim17ROCPRIM_400000_NS6detail17trampoline_kernelINS0_14default_configENS1_37merge_sort_block_sort_config_selectorIlNS0_10empty_typeEEEZNS1_21merge_sort_block_sortIS3_PlS8_PS5_S9_ZN2at6native12_GLOBAL__N_124unique_dim_cuda_templateIdEESt5tupleIJNSA_6TensorESF_SF_EERKSF_lbbbEUlllE_EE10hipError_tT0_T1_T2_T3_mRjT4_P12ihipStream_tbNS1_7vsmem_tEEUlT_E_NS1_11comp_targetILNS1_3genE10ELNS1_11target_archE1200ELNS1_3gpuE4ELNS1_3repE0EEENS1_30default_config_static_selectorELNS0_4arch9wavefront6targetE0EEEvSM_, .Lfunc_end755-_ZN7rocprim17ROCPRIM_400000_NS6detail17trampoline_kernelINS0_14default_configENS1_37merge_sort_block_sort_config_selectorIlNS0_10empty_typeEEEZNS1_21merge_sort_block_sortIS3_PlS8_PS5_S9_ZN2at6native12_GLOBAL__N_124unique_dim_cuda_templateIdEESt5tupleIJNSA_6TensorESF_SF_EERKSF_lbbbEUlllE_EE10hipError_tT0_T1_T2_T3_mRjT4_P12ihipStream_tbNS1_7vsmem_tEEUlT_E_NS1_11comp_targetILNS1_3genE10ELNS1_11target_archE1200ELNS1_3gpuE4ELNS1_3repE0EEENS1_30default_config_static_selectorELNS0_4arch9wavefront6targetE0EEEvSM_
                                        ; -- End function
	.set _ZN7rocprim17ROCPRIM_400000_NS6detail17trampoline_kernelINS0_14default_configENS1_37merge_sort_block_sort_config_selectorIlNS0_10empty_typeEEEZNS1_21merge_sort_block_sortIS3_PlS8_PS5_S9_ZN2at6native12_GLOBAL__N_124unique_dim_cuda_templateIdEESt5tupleIJNSA_6TensorESF_SF_EERKSF_lbbbEUlllE_EE10hipError_tT0_T1_T2_T3_mRjT4_P12ihipStream_tbNS1_7vsmem_tEEUlT_E_NS1_11comp_targetILNS1_3genE10ELNS1_11target_archE1200ELNS1_3gpuE4ELNS1_3repE0EEENS1_30default_config_static_selectorELNS0_4arch9wavefront6targetE0EEEvSM_.num_vgpr, 0
	.set _ZN7rocprim17ROCPRIM_400000_NS6detail17trampoline_kernelINS0_14default_configENS1_37merge_sort_block_sort_config_selectorIlNS0_10empty_typeEEEZNS1_21merge_sort_block_sortIS3_PlS8_PS5_S9_ZN2at6native12_GLOBAL__N_124unique_dim_cuda_templateIdEESt5tupleIJNSA_6TensorESF_SF_EERKSF_lbbbEUlllE_EE10hipError_tT0_T1_T2_T3_mRjT4_P12ihipStream_tbNS1_7vsmem_tEEUlT_E_NS1_11comp_targetILNS1_3genE10ELNS1_11target_archE1200ELNS1_3gpuE4ELNS1_3repE0EEENS1_30default_config_static_selectorELNS0_4arch9wavefront6targetE0EEEvSM_.num_agpr, 0
	.set _ZN7rocprim17ROCPRIM_400000_NS6detail17trampoline_kernelINS0_14default_configENS1_37merge_sort_block_sort_config_selectorIlNS0_10empty_typeEEEZNS1_21merge_sort_block_sortIS3_PlS8_PS5_S9_ZN2at6native12_GLOBAL__N_124unique_dim_cuda_templateIdEESt5tupleIJNSA_6TensorESF_SF_EERKSF_lbbbEUlllE_EE10hipError_tT0_T1_T2_T3_mRjT4_P12ihipStream_tbNS1_7vsmem_tEEUlT_E_NS1_11comp_targetILNS1_3genE10ELNS1_11target_archE1200ELNS1_3gpuE4ELNS1_3repE0EEENS1_30default_config_static_selectorELNS0_4arch9wavefront6targetE0EEEvSM_.numbered_sgpr, 0
	.set _ZN7rocprim17ROCPRIM_400000_NS6detail17trampoline_kernelINS0_14default_configENS1_37merge_sort_block_sort_config_selectorIlNS0_10empty_typeEEEZNS1_21merge_sort_block_sortIS3_PlS8_PS5_S9_ZN2at6native12_GLOBAL__N_124unique_dim_cuda_templateIdEESt5tupleIJNSA_6TensorESF_SF_EERKSF_lbbbEUlllE_EE10hipError_tT0_T1_T2_T3_mRjT4_P12ihipStream_tbNS1_7vsmem_tEEUlT_E_NS1_11comp_targetILNS1_3genE10ELNS1_11target_archE1200ELNS1_3gpuE4ELNS1_3repE0EEENS1_30default_config_static_selectorELNS0_4arch9wavefront6targetE0EEEvSM_.num_named_barrier, 0
	.set _ZN7rocprim17ROCPRIM_400000_NS6detail17trampoline_kernelINS0_14default_configENS1_37merge_sort_block_sort_config_selectorIlNS0_10empty_typeEEEZNS1_21merge_sort_block_sortIS3_PlS8_PS5_S9_ZN2at6native12_GLOBAL__N_124unique_dim_cuda_templateIdEESt5tupleIJNSA_6TensorESF_SF_EERKSF_lbbbEUlllE_EE10hipError_tT0_T1_T2_T3_mRjT4_P12ihipStream_tbNS1_7vsmem_tEEUlT_E_NS1_11comp_targetILNS1_3genE10ELNS1_11target_archE1200ELNS1_3gpuE4ELNS1_3repE0EEENS1_30default_config_static_selectorELNS0_4arch9wavefront6targetE0EEEvSM_.private_seg_size, 0
	.set _ZN7rocprim17ROCPRIM_400000_NS6detail17trampoline_kernelINS0_14default_configENS1_37merge_sort_block_sort_config_selectorIlNS0_10empty_typeEEEZNS1_21merge_sort_block_sortIS3_PlS8_PS5_S9_ZN2at6native12_GLOBAL__N_124unique_dim_cuda_templateIdEESt5tupleIJNSA_6TensorESF_SF_EERKSF_lbbbEUlllE_EE10hipError_tT0_T1_T2_T3_mRjT4_P12ihipStream_tbNS1_7vsmem_tEEUlT_E_NS1_11comp_targetILNS1_3genE10ELNS1_11target_archE1200ELNS1_3gpuE4ELNS1_3repE0EEENS1_30default_config_static_selectorELNS0_4arch9wavefront6targetE0EEEvSM_.uses_vcc, 0
	.set _ZN7rocprim17ROCPRIM_400000_NS6detail17trampoline_kernelINS0_14default_configENS1_37merge_sort_block_sort_config_selectorIlNS0_10empty_typeEEEZNS1_21merge_sort_block_sortIS3_PlS8_PS5_S9_ZN2at6native12_GLOBAL__N_124unique_dim_cuda_templateIdEESt5tupleIJNSA_6TensorESF_SF_EERKSF_lbbbEUlllE_EE10hipError_tT0_T1_T2_T3_mRjT4_P12ihipStream_tbNS1_7vsmem_tEEUlT_E_NS1_11comp_targetILNS1_3genE10ELNS1_11target_archE1200ELNS1_3gpuE4ELNS1_3repE0EEENS1_30default_config_static_selectorELNS0_4arch9wavefront6targetE0EEEvSM_.uses_flat_scratch, 0
	.set _ZN7rocprim17ROCPRIM_400000_NS6detail17trampoline_kernelINS0_14default_configENS1_37merge_sort_block_sort_config_selectorIlNS0_10empty_typeEEEZNS1_21merge_sort_block_sortIS3_PlS8_PS5_S9_ZN2at6native12_GLOBAL__N_124unique_dim_cuda_templateIdEESt5tupleIJNSA_6TensorESF_SF_EERKSF_lbbbEUlllE_EE10hipError_tT0_T1_T2_T3_mRjT4_P12ihipStream_tbNS1_7vsmem_tEEUlT_E_NS1_11comp_targetILNS1_3genE10ELNS1_11target_archE1200ELNS1_3gpuE4ELNS1_3repE0EEENS1_30default_config_static_selectorELNS0_4arch9wavefront6targetE0EEEvSM_.has_dyn_sized_stack, 0
	.set _ZN7rocprim17ROCPRIM_400000_NS6detail17trampoline_kernelINS0_14default_configENS1_37merge_sort_block_sort_config_selectorIlNS0_10empty_typeEEEZNS1_21merge_sort_block_sortIS3_PlS8_PS5_S9_ZN2at6native12_GLOBAL__N_124unique_dim_cuda_templateIdEESt5tupleIJNSA_6TensorESF_SF_EERKSF_lbbbEUlllE_EE10hipError_tT0_T1_T2_T3_mRjT4_P12ihipStream_tbNS1_7vsmem_tEEUlT_E_NS1_11comp_targetILNS1_3genE10ELNS1_11target_archE1200ELNS1_3gpuE4ELNS1_3repE0EEENS1_30default_config_static_selectorELNS0_4arch9wavefront6targetE0EEEvSM_.has_recursion, 0
	.set _ZN7rocprim17ROCPRIM_400000_NS6detail17trampoline_kernelINS0_14default_configENS1_37merge_sort_block_sort_config_selectorIlNS0_10empty_typeEEEZNS1_21merge_sort_block_sortIS3_PlS8_PS5_S9_ZN2at6native12_GLOBAL__N_124unique_dim_cuda_templateIdEESt5tupleIJNSA_6TensorESF_SF_EERKSF_lbbbEUlllE_EE10hipError_tT0_T1_T2_T3_mRjT4_P12ihipStream_tbNS1_7vsmem_tEEUlT_E_NS1_11comp_targetILNS1_3genE10ELNS1_11target_archE1200ELNS1_3gpuE4ELNS1_3repE0EEENS1_30default_config_static_selectorELNS0_4arch9wavefront6targetE0EEEvSM_.has_indirect_call, 0
	.section	.AMDGPU.csdata,"",@progbits
; Kernel info:
; codeLenInByte = 0
; TotalNumSgprs: 0
; NumVgprs: 0
; ScratchSize: 0
; MemoryBound: 0
; FloatMode: 240
; IeeeMode: 1
; LDSByteSize: 0 bytes/workgroup (compile time only)
; SGPRBlocks: 0
; VGPRBlocks: 0
; NumSGPRsForWavesPerEU: 1
; NumVGPRsForWavesPerEU: 1
; NamedBarCnt: 0
; Occupancy: 16
; WaveLimiterHint : 0
; COMPUTE_PGM_RSRC2:SCRATCH_EN: 0
; COMPUTE_PGM_RSRC2:USER_SGPR: 2
; COMPUTE_PGM_RSRC2:TRAP_HANDLER: 0
; COMPUTE_PGM_RSRC2:TGID_X_EN: 1
; COMPUTE_PGM_RSRC2:TGID_Y_EN: 0
; COMPUTE_PGM_RSRC2:TGID_Z_EN: 0
; COMPUTE_PGM_RSRC2:TIDIG_COMP_CNT: 0
	.section	.text._ZN7rocprim17ROCPRIM_400000_NS6detail17trampoline_kernelINS0_14default_configENS1_37merge_sort_block_sort_config_selectorIlNS0_10empty_typeEEEZNS1_21merge_sort_block_sortIS3_PlS8_PS5_S9_ZN2at6native12_GLOBAL__N_124unique_dim_cuda_templateIdEESt5tupleIJNSA_6TensorESF_SF_EERKSF_lbbbEUlllE_EE10hipError_tT0_T1_T2_T3_mRjT4_P12ihipStream_tbNS1_7vsmem_tEEUlT_E_NS1_11comp_targetILNS1_3genE9ELNS1_11target_archE1100ELNS1_3gpuE3ELNS1_3repE0EEENS1_30default_config_static_selectorELNS0_4arch9wavefront6targetE0EEEvSM_,"axG",@progbits,_ZN7rocprim17ROCPRIM_400000_NS6detail17trampoline_kernelINS0_14default_configENS1_37merge_sort_block_sort_config_selectorIlNS0_10empty_typeEEEZNS1_21merge_sort_block_sortIS3_PlS8_PS5_S9_ZN2at6native12_GLOBAL__N_124unique_dim_cuda_templateIdEESt5tupleIJNSA_6TensorESF_SF_EERKSF_lbbbEUlllE_EE10hipError_tT0_T1_T2_T3_mRjT4_P12ihipStream_tbNS1_7vsmem_tEEUlT_E_NS1_11comp_targetILNS1_3genE9ELNS1_11target_archE1100ELNS1_3gpuE3ELNS1_3repE0EEENS1_30default_config_static_selectorELNS0_4arch9wavefront6targetE0EEEvSM_,comdat
	.globl	_ZN7rocprim17ROCPRIM_400000_NS6detail17trampoline_kernelINS0_14default_configENS1_37merge_sort_block_sort_config_selectorIlNS0_10empty_typeEEEZNS1_21merge_sort_block_sortIS3_PlS8_PS5_S9_ZN2at6native12_GLOBAL__N_124unique_dim_cuda_templateIdEESt5tupleIJNSA_6TensorESF_SF_EERKSF_lbbbEUlllE_EE10hipError_tT0_T1_T2_T3_mRjT4_P12ihipStream_tbNS1_7vsmem_tEEUlT_E_NS1_11comp_targetILNS1_3genE9ELNS1_11target_archE1100ELNS1_3gpuE3ELNS1_3repE0EEENS1_30default_config_static_selectorELNS0_4arch9wavefront6targetE0EEEvSM_ ; -- Begin function _ZN7rocprim17ROCPRIM_400000_NS6detail17trampoline_kernelINS0_14default_configENS1_37merge_sort_block_sort_config_selectorIlNS0_10empty_typeEEEZNS1_21merge_sort_block_sortIS3_PlS8_PS5_S9_ZN2at6native12_GLOBAL__N_124unique_dim_cuda_templateIdEESt5tupleIJNSA_6TensorESF_SF_EERKSF_lbbbEUlllE_EE10hipError_tT0_T1_T2_T3_mRjT4_P12ihipStream_tbNS1_7vsmem_tEEUlT_E_NS1_11comp_targetILNS1_3genE9ELNS1_11target_archE1100ELNS1_3gpuE3ELNS1_3repE0EEENS1_30default_config_static_selectorELNS0_4arch9wavefront6targetE0EEEvSM_
	.p2align	8
	.type	_ZN7rocprim17ROCPRIM_400000_NS6detail17trampoline_kernelINS0_14default_configENS1_37merge_sort_block_sort_config_selectorIlNS0_10empty_typeEEEZNS1_21merge_sort_block_sortIS3_PlS8_PS5_S9_ZN2at6native12_GLOBAL__N_124unique_dim_cuda_templateIdEESt5tupleIJNSA_6TensorESF_SF_EERKSF_lbbbEUlllE_EE10hipError_tT0_T1_T2_T3_mRjT4_P12ihipStream_tbNS1_7vsmem_tEEUlT_E_NS1_11comp_targetILNS1_3genE9ELNS1_11target_archE1100ELNS1_3gpuE3ELNS1_3repE0EEENS1_30default_config_static_selectorELNS0_4arch9wavefront6targetE0EEEvSM_,@function
_ZN7rocprim17ROCPRIM_400000_NS6detail17trampoline_kernelINS0_14default_configENS1_37merge_sort_block_sort_config_selectorIlNS0_10empty_typeEEEZNS1_21merge_sort_block_sortIS3_PlS8_PS5_S9_ZN2at6native12_GLOBAL__N_124unique_dim_cuda_templateIdEESt5tupleIJNSA_6TensorESF_SF_EERKSF_lbbbEUlllE_EE10hipError_tT0_T1_T2_T3_mRjT4_P12ihipStream_tbNS1_7vsmem_tEEUlT_E_NS1_11comp_targetILNS1_3genE9ELNS1_11target_archE1100ELNS1_3gpuE3ELNS1_3repE0EEENS1_30default_config_static_selectorELNS0_4arch9wavefront6targetE0EEEvSM_: ; @_ZN7rocprim17ROCPRIM_400000_NS6detail17trampoline_kernelINS0_14default_configENS1_37merge_sort_block_sort_config_selectorIlNS0_10empty_typeEEEZNS1_21merge_sort_block_sortIS3_PlS8_PS5_S9_ZN2at6native12_GLOBAL__N_124unique_dim_cuda_templateIdEESt5tupleIJNSA_6TensorESF_SF_EERKSF_lbbbEUlllE_EE10hipError_tT0_T1_T2_T3_mRjT4_P12ihipStream_tbNS1_7vsmem_tEEUlT_E_NS1_11comp_targetILNS1_3genE9ELNS1_11target_archE1100ELNS1_3gpuE3ELNS1_3repE0EEENS1_30default_config_static_selectorELNS0_4arch9wavefront6targetE0EEEvSM_
; %bb.0:
	.section	.rodata,"a",@progbits
	.p2align	6, 0x0
	.amdhsa_kernel _ZN7rocprim17ROCPRIM_400000_NS6detail17trampoline_kernelINS0_14default_configENS1_37merge_sort_block_sort_config_selectorIlNS0_10empty_typeEEEZNS1_21merge_sort_block_sortIS3_PlS8_PS5_S9_ZN2at6native12_GLOBAL__N_124unique_dim_cuda_templateIdEESt5tupleIJNSA_6TensorESF_SF_EERKSF_lbbbEUlllE_EE10hipError_tT0_T1_T2_T3_mRjT4_P12ihipStream_tbNS1_7vsmem_tEEUlT_E_NS1_11comp_targetILNS1_3genE9ELNS1_11target_archE1100ELNS1_3gpuE3ELNS1_3repE0EEENS1_30default_config_static_selectorELNS0_4arch9wavefront6targetE0EEEvSM_
		.amdhsa_group_segment_fixed_size 0
		.amdhsa_private_segment_fixed_size 0
		.amdhsa_kernarg_size 72
		.amdhsa_user_sgpr_count 2
		.amdhsa_user_sgpr_dispatch_ptr 0
		.amdhsa_user_sgpr_queue_ptr 0
		.amdhsa_user_sgpr_kernarg_segment_ptr 1
		.amdhsa_user_sgpr_dispatch_id 0
		.amdhsa_user_sgpr_kernarg_preload_length 0
		.amdhsa_user_sgpr_kernarg_preload_offset 0
		.amdhsa_user_sgpr_private_segment_size 0
		.amdhsa_wavefront_size32 1
		.amdhsa_uses_dynamic_stack 0
		.amdhsa_enable_private_segment 0
		.amdhsa_system_sgpr_workgroup_id_x 1
		.amdhsa_system_sgpr_workgroup_id_y 0
		.amdhsa_system_sgpr_workgroup_id_z 0
		.amdhsa_system_sgpr_workgroup_info 0
		.amdhsa_system_vgpr_workitem_id 0
		.amdhsa_next_free_vgpr 1
		.amdhsa_next_free_sgpr 1
		.amdhsa_named_barrier_count 0
		.amdhsa_reserve_vcc 0
		.amdhsa_float_round_mode_32 0
		.amdhsa_float_round_mode_16_64 0
		.amdhsa_float_denorm_mode_32 3
		.amdhsa_float_denorm_mode_16_64 3
		.amdhsa_fp16_overflow 0
		.amdhsa_memory_ordered 1
		.amdhsa_forward_progress 1
		.amdhsa_inst_pref_size 0
		.amdhsa_round_robin_scheduling 0
		.amdhsa_exception_fp_ieee_invalid_op 0
		.amdhsa_exception_fp_denorm_src 0
		.amdhsa_exception_fp_ieee_div_zero 0
		.amdhsa_exception_fp_ieee_overflow 0
		.amdhsa_exception_fp_ieee_underflow 0
		.amdhsa_exception_fp_ieee_inexact 0
		.amdhsa_exception_int_div_zero 0
	.end_amdhsa_kernel
	.section	.text._ZN7rocprim17ROCPRIM_400000_NS6detail17trampoline_kernelINS0_14default_configENS1_37merge_sort_block_sort_config_selectorIlNS0_10empty_typeEEEZNS1_21merge_sort_block_sortIS3_PlS8_PS5_S9_ZN2at6native12_GLOBAL__N_124unique_dim_cuda_templateIdEESt5tupleIJNSA_6TensorESF_SF_EERKSF_lbbbEUlllE_EE10hipError_tT0_T1_T2_T3_mRjT4_P12ihipStream_tbNS1_7vsmem_tEEUlT_E_NS1_11comp_targetILNS1_3genE9ELNS1_11target_archE1100ELNS1_3gpuE3ELNS1_3repE0EEENS1_30default_config_static_selectorELNS0_4arch9wavefront6targetE0EEEvSM_,"axG",@progbits,_ZN7rocprim17ROCPRIM_400000_NS6detail17trampoline_kernelINS0_14default_configENS1_37merge_sort_block_sort_config_selectorIlNS0_10empty_typeEEEZNS1_21merge_sort_block_sortIS3_PlS8_PS5_S9_ZN2at6native12_GLOBAL__N_124unique_dim_cuda_templateIdEESt5tupleIJNSA_6TensorESF_SF_EERKSF_lbbbEUlllE_EE10hipError_tT0_T1_T2_T3_mRjT4_P12ihipStream_tbNS1_7vsmem_tEEUlT_E_NS1_11comp_targetILNS1_3genE9ELNS1_11target_archE1100ELNS1_3gpuE3ELNS1_3repE0EEENS1_30default_config_static_selectorELNS0_4arch9wavefront6targetE0EEEvSM_,comdat
.Lfunc_end756:
	.size	_ZN7rocprim17ROCPRIM_400000_NS6detail17trampoline_kernelINS0_14default_configENS1_37merge_sort_block_sort_config_selectorIlNS0_10empty_typeEEEZNS1_21merge_sort_block_sortIS3_PlS8_PS5_S9_ZN2at6native12_GLOBAL__N_124unique_dim_cuda_templateIdEESt5tupleIJNSA_6TensorESF_SF_EERKSF_lbbbEUlllE_EE10hipError_tT0_T1_T2_T3_mRjT4_P12ihipStream_tbNS1_7vsmem_tEEUlT_E_NS1_11comp_targetILNS1_3genE9ELNS1_11target_archE1100ELNS1_3gpuE3ELNS1_3repE0EEENS1_30default_config_static_selectorELNS0_4arch9wavefront6targetE0EEEvSM_, .Lfunc_end756-_ZN7rocprim17ROCPRIM_400000_NS6detail17trampoline_kernelINS0_14default_configENS1_37merge_sort_block_sort_config_selectorIlNS0_10empty_typeEEEZNS1_21merge_sort_block_sortIS3_PlS8_PS5_S9_ZN2at6native12_GLOBAL__N_124unique_dim_cuda_templateIdEESt5tupleIJNSA_6TensorESF_SF_EERKSF_lbbbEUlllE_EE10hipError_tT0_T1_T2_T3_mRjT4_P12ihipStream_tbNS1_7vsmem_tEEUlT_E_NS1_11comp_targetILNS1_3genE9ELNS1_11target_archE1100ELNS1_3gpuE3ELNS1_3repE0EEENS1_30default_config_static_selectorELNS0_4arch9wavefront6targetE0EEEvSM_
                                        ; -- End function
	.set _ZN7rocprim17ROCPRIM_400000_NS6detail17trampoline_kernelINS0_14default_configENS1_37merge_sort_block_sort_config_selectorIlNS0_10empty_typeEEEZNS1_21merge_sort_block_sortIS3_PlS8_PS5_S9_ZN2at6native12_GLOBAL__N_124unique_dim_cuda_templateIdEESt5tupleIJNSA_6TensorESF_SF_EERKSF_lbbbEUlllE_EE10hipError_tT0_T1_T2_T3_mRjT4_P12ihipStream_tbNS1_7vsmem_tEEUlT_E_NS1_11comp_targetILNS1_3genE9ELNS1_11target_archE1100ELNS1_3gpuE3ELNS1_3repE0EEENS1_30default_config_static_selectorELNS0_4arch9wavefront6targetE0EEEvSM_.num_vgpr, 0
	.set _ZN7rocprim17ROCPRIM_400000_NS6detail17trampoline_kernelINS0_14default_configENS1_37merge_sort_block_sort_config_selectorIlNS0_10empty_typeEEEZNS1_21merge_sort_block_sortIS3_PlS8_PS5_S9_ZN2at6native12_GLOBAL__N_124unique_dim_cuda_templateIdEESt5tupleIJNSA_6TensorESF_SF_EERKSF_lbbbEUlllE_EE10hipError_tT0_T1_T2_T3_mRjT4_P12ihipStream_tbNS1_7vsmem_tEEUlT_E_NS1_11comp_targetILNS1_3genE9ELNS1_11target_archE1100ELNS1_3gpuE3ELNS1_3repE0EEENS1_30default_config_static_selectorELNS0_4arch9wavefront6targetE0EEEvSM_.num_agpr, 0
	.set _ZN7rocprim17ROCPRIM_400000_NS6detail17trampoline_kernelINS0_14default_configENS1_37merge_sort_block_sort_config_selectorIlNS0_10empty_typeEEEZNS1_21merge_sort_block_sortIS3_PlS8_PS5_S9_ZN2at6native12_GLOBAL__N_124unique_dim_cuda_templateIdEESt5tupleIJNSA_6TensorESF_SF_EERKSF_lbbbEUlllE_EE10hipError_tT0_T1_T2_T3_mRjT4_P12ihipStream_tbNS1_7vsmem_tEEUlT_E_NS1_11comp_targetILNS1_3genE9ELNS1_11target_archE1100ELNS1_3gpuE3ELNS1_3repE0EEENS1_30default_config_static_selectorELNS0_4arch9wavefront6targetE0EEEvSM_.numbered_sgpr, 0
	.set _ZN7rocprim17ROCPRIM_400000_NS6detail17trampoline_kernelINS0_14default_configENS1_37merge_sort_block_sort_config_selectorIlNS0_10empty_typeEEEZNS1_21merge_sort_block_sortIS3_PlS8_PS5_S9_ZN2at6native12_GLOBAL__N_124unique_dim_cuda_templateIdEESt5tupleIJNSA_6TensorESF_SF_EERKSF_lbbbEUlllE_EE10hipError_tT0_T1_T2_T3_mRjT4_P12ihipStream_tbNS1_7vsmem_tEEUlT_E_NS1_11comp_targetILNS1_3genE9ELNS1_11target_archE1100ELNS1_3gpuE3ELNS1_3repE0EEENS1_30default_config_static_selectorELNS0_4arch9wavefront6targetE0EEEvSM_.num_named_barrier, 0
	.set _ZN7rocprim17ROCPRIM_400000_NS6detail17trampoline_kernelINS0_14default_configENS1_37merge_sort_block_sort_config_selectorIlNS0_10empty_typeEEEZNS1_21merge_sort_block_sortIS3_PlS8_PS5_S9_ZN2at6native12_GLOBAL__N_124unique_dim_cuda_templateIdEESt5tupleIJNSA_6TensorESF_SF_EERKSF_lbbbEUlllE_EE10hipError_tT0_T1_T2_T3_mRjT4_P12ihipStream_tbNS1_7vsmem_tEEUlT_E_NS1_11comp_targetILNS1_3genE9ELNS1_11target_archE1100ELNS1_3gpuE3ELNS1_3repE0EEENS1_30default_config_static_selectorELNS0_4arch9wavefront6targetE0EEEvSM_.private_seg_size, 0
	.set _ZN7rocprim17ROCPRIM_400000_NS6detail17trampoline_kernelINS0_14default_configENS1_37merge_sort_block_sort_config_selectorIlNS0_10empty_typeEEEZNS1_21merge_sort_block_sortIS3_PlS8_PS5_S9_ZN2at6native12_GLOBAL__N_124unique_dim_cuda_templateIdEESt5tupleIJNSA_6TensorESF_SF_EERKSF_lbbbEUlllE_EE10hipError_tT0_T1_T2_T3_mRjT4_P12ihipStream_tbNS1_7vsmem_tEEUlT_E_NS1_11comp_targetILNS1_3genE9ELNS1_11target_archE1100ELNS1_3gpuE3ELNS1_3repE0EEENS1_30default_config_static_selectorELNS0_4arch9wavefront6targetE0EEEvSM_.uses_vcc, 0
	.set _ZN7rocprim17ROCPRIM_400000_NS6detail17trampoline_kernelINS0_14default_configENS1_37merge_sort_block_sort_config_selectorIlNS0_10empty_typeEEEZNS1_21merge_sort_block_sortIS3_PlS8_PS5_S9_ZN2at6native12_GLOBAL__N_124unique_dim_cuda_templateIdEESt5tupleIJNSA_6TensorESF_SF_EERKSF_lbbbEUlllE_EE10hipError_tT0_T1_T2_T3_mRjT4_P12ihipStream_tbNS1_7vsmem_tEEUlT_E_NS1_11comp_targetILNS1_3genE9ELNS1_11target_archE1100ELNS1_3gpuE3ELNS1_3repE0EEENS1_30default_config_static_selectorELNS0_4arch9wavefront6targetE0EEEvSM_.uses_flat_scratch, 0
	.set _ZN7rocprim17ROCPRIM_400000_NS6detail17trampoline_kernelINS0_14default_configENS1_37merge_sort_block_sort_config_selectorIlNS0_10empty_typeEEEZNS1_21merge_sort_block_sortIS3_PlS8_PS5_S9_ZN2at6native12_GLOBAL__N_124unique_dim_cuda_templateIdEESt5tupleIJNSA_6TensorESF_SF_EERKSF_lbbbEUlllE_EE10hipError_tT0_T1_T2_T3_mRjT4_P12ihipStream_tbNS1_7vsmem_tEEUlT_E_NS1_11comp_targetILNS1_3genE9ELNS1_11target_archE1100ELNS1_3gpuE3ELNS1_3repE0EEENS1_30default_config_static_selectorELNS0_4arch9wavefront6targetE0EEEvSM_.has_dyn_sized_stack, 0
	.set _ZN7rocprim17ROCPRIM_400000_NS6detail17trampoline_kernelINS0_14default_configENS1_37merge_sort_block_sort_config_selectorIlNS0_10empty_typeEEEZNS1_21merge_sort_block_sortIS3_PlS8_PS5_S9_ZN2at6native12_GLOBAL__N_124unique_dim_cuda_templateIdEESt5tupleIJNSA_6TensorESF_SF_EERKSF_lbbbEUlllE_EE10hipError_tT0_T1_T2_T3_mRjT4_P12ihipStream_tbNS1_7vsmem_tEEUlT_E_NS1_11comp_targetILNS1_3genE9ELNS1_11target_archE1100ELNS1_3gpuE3ELNS1_3repE0EEENS1_30default_config_static_selectorELNS0_4arch9wavefront6targetE0EEEvSM_.has_recursion, 0
	.set _ZN7rocprim17ROCPRIM_400000_NS6detail17trampoline_kernelINS0_14default_configENS1_37merge_sort_block_sort_config_selectorIlNS0_10empty_typeEEEZNS1_21merge_sort_block_sortIS3_PlS8_PS5_S9_ZN2at6native12_GLOBAL__N_124unique_dim_cuda_templateIdEESt5tupleIJNSA_6TensorESF_SF_EERKSF_lbbbEUlllE_EE10hipError_tT0_T1_T2_T3_mRjT4_P12ihipStream_tbNS1_7vsmem_tEEUlT_E_NS1_11comp_targetILNS1_3genE9ELNS1_11target_archE1100ELNS1_3gpuE3ELNS1_3repE0EEENS1_30default_config_static_selectorELNS0_4arch9wavefront6targetE0EEEvSM_.has_indirect_call, 0
	.section	.AMDGPU.csdata,"",@progbits
; Kernel info:
; codeLenInByte = 0
; TotalNumSgprs: 0
; NumVgprs: 0
; ScratchSize: 0
; MemoryBound: 0
; FloatMode: 240
; IeeeMode: 1
; LDSByteSize: 0 bytes/workgroup (compile time only)
; SGPRBlocks: 0
; VGPRBlocks: 0
; NumSGPRsForWavesPerEU: 1
; NumVGPRsForWavesPerEU: 1
; NamedBarCnt: 0
; Occupancy: 16
; WaveLimiterHint : 0
; COMPUTE_PGM_RSRC2:SCRATCH_EN: 0
; COMPUTE_PGM_RSRC2:USER_SGPR: 2
; COMPUTE_PGM_RSRC2:TRAP_HANDLER: 0
; COMPUTE_PGM_RSRC2:TGID_X_EN: 1
; COMPUTE_PGM_RSRC2:TGID_Y_EN: 0
; COMPUTE_PGM_RSRC2:TGID_Z_EN: 0
; COMPUTE_PGM_RSRC2:TIDIG_COMP_CNT: 0
	.section	.text._ZN7rocprim17ROCPRIM_400000_NS6detail17trampoline_kernelINS0_14default_configENS1_37merge_sort_block_sort_config_selectorIlNS0_10empty_typeEEEZNS1_21merge_sort_block_sortIS3_PlS8_PS5_S9_ZN2at6native12_GLOBAL__N_124unique_dim_cuda_templateIdEESt5tupleIJNSA_6TensorESF_SF_EERKSF_lbbbEUlllE_EE10hipError_tT0_T1_T2_T3_mRjT4_P12ihipStream_tbNS1_7vsmem_tEEUlT_E_NS1_11comp_targetILNS1_3genE8ELNS1_11target_archE1030ELNS1_3gpuE2ELNS1_3repE0EEENS1_30default_config_static_selectorELNS0_4arch9wavefront6targetE0EEEvSM_,"axG",@progbits,_ZN7rocprim17ROCPRIM_400000_NS6detail17trampoline_kernelINS0_14default_configENS1_37merge_sort_block_sort_config_selectorIlNS0_10empty_typeEEEZNS1_21merge_sort_block_sortIS3_PlS8_PS5_S9_ZN2at6native12_GLOBAL__N_124unique_dim_cuda_templateIdEESt5tupleIJNSA_6TensorESF_SF_EERKSF_lbbbEUlllE_EE10hipError_tT0_T1_T2_T3_mRjT4_P12ihipStream_tbNS1_7vsmem_tEEUlT_E_NS1_11comp_targetILNS1_3genE8ELNS1_11target_archE1030ELNS1_3gpuE2ELNS1_3repE0EEENS1_30default_config_static_selectorELNS0_4arch9wavefront6targetE0EEEvSM_,comdat
	.globl	_ZN7rocprim17ROCPRIM_400000_NS6detail17trampoline_kernelINS0_14default_configENS1_37merge_sort_block_sort_config_selectorIlNS0_10empty_typeEEEZNS1_21merge_sort_block_sortIS3_PlS8_PS5_S9_ZN2at6native12_GLOBAL__N_124unique_dim_cuda_templateIdEESt5tupleIJNSA_6TensorESF_SF_EERKSF_lbbbEUlllE_EE10hipError_tT0_T1_T2_T3_mRjT4_P12ihipStream_tbNS1_7vsmem_tEEUlT_E_NS1_11comp_targetILNS1_3genE8ELNS1_11target_archE1030ELNS1_3gpuE2ELNS1_3repE0EEENS1_30default_config_static_selectorELNS0_4arch9wavefront6targetE0EEEvSM_ ; -- Begin function _ZN7rocprim17ROCPRIM_400000_NS6detail17trampoline_kernelINS0_14default_configENS1_37merge_sort_block_sort_config_selectorIlNS0_10empty_typeEEEZNS1_21merge_sort_block_sortIS3_PlS8_PS5_S9_ZN2at6native12_GLOBAL__N_124unique_dim_cuda_templateIdEESt5tupleIJNSA_6TensorESF_SF_EERKSF_lbbbEUlllE_EE10hipError_tT0_T1_T2_T3_mRjT4_P12ihipStream_tbNS1_7vsmem_tEEUlT_E_NS1_11comp_targetILNS1_3genE8ELNS1_11target_archE1030ELNS1_3gpuE2ELNS1_3repE0EEENS1_30default_config_static_selectorELNS0_4arch9wavefront6targetE0EEEvSM_
	.p2align	8
	.type	_ZN7rocprim17ROCPRIM_400000_NS6detail17trampoline_kernelINS0_14default_configENS1_37merge_sort_block_sort_config_selectorIlNS0_10empty_typeEEEZNS1_21merge_sort_block_sortIS3_PlS8_PS5_S9_ZN2at6native12_GLOBAL__N_124unique_dim_cuda_templateIdEESt5tupleIJNSA_6TensorESF_SF_EERKSF_lbbbEUlllE_EE10hipError_tT0_T1_T2_T3_mRjT4_P12ihipStream_tbNS1_7vsmem_tEEUlT_E_NS1_11comp_targetILNS1_3genE8ELNS1_11target_archE1030ELNS1_3gpuE2ELNS1_3repE0EEENS1_30default_config_static_selectorELNS0_4arch9wavefront6targetE0EEEvSM_,@function
_ZN7rocprim17ROCPRIM_400000_NS6detail17trampoline_kernelINS0_14default_configENS1_37merge_sort_block_sort_config_selectorIlNS0_10empty_typeEEEZNS1_21merge_sort_block_sortIS3_PlS8_PS5_S9_ZN2at6native12_GLOBAL__N_124unique_dim_cuda_templateIdEESt5tupleIJNSA_6TensorESF_SF_EERKSF_lbbbEUlllE_EE10hipError_tT0_T1_T2_T3_mRjT4_P12ihipStream_tbNS1_7vsmem_tEEUlT_E_NS1_11comp_targetILNS1_3genE8ELNS1_11target_archE1030ELNS1_3gpuE2ELNS1_3repE0EEENS1_30default_config_static_selectorELNS0_4arch9wavefront6targetE0EEEvSM_: ; @_ZN7rocprim17ROCPRIM_400000_NS6detail17trampoline_kernelINS0_14default_configENS1_37merge_sort_block_sort_config_selectorIlNS0_10empty_typeEEEZNS1_21merge_sort_block_sortIS3_PlS8_PS5_S9_ZN2at6native12_GLOBAL__N_124unique_dim_cuda_templateIdEESt5tupleIJNSA_6TensorESF_SF_EERKSF_lbbbEUlllE_EE10hipError_tT0_T1_T2_T3_mRjT4_P12ihipStream_tbNS1_7vsmem_tEEUlT_E_NS1_11comp_targetILNS1_3genE8ELNS1_11target_archE1030ELNS1_3gpuE2ELNS1_3repE0EEENS1_30default_config_static_selectorELNS0_4arch9wavefront6targetE0EEEvSM_
; %bb.0:
	.section	.rodata,"a",@progbits
	.p2align	6, 0x0
	.amdhsa_kernel _ZN7rocprim17ROCPRIM_400000_NS6detail17trampoline_kernelINS0_14default_configENS1_37merge_sort_block_sort_config_selectorIlNS0_10empty_typeEEEZNS1_21merge_sort_block_sortIS3_PlS8_PS5_S9_ZN2at6native12_GLOBAL__N_124unique_dim_cuda_templateIdEESt5tupleIJNSA_6TensorESF_SF_EERKSF_lbbbEUlllE_EE10hipError_tT0_T1_T2_T3_mRjT4_P12ihipStream_tbNS1_7vsmem_tEEUlT_E_NS1_11comp_targetILNS1_3genE8ELNS1_11target_archE1030ELNS1_3gpuE2ELNS1_3repE0EEENS1_30default_config_static_selectorELNS0_4arch9wavefront6targetE0EEEvSM_
		.amdhsa_group_segment_fixed_size 0
		.amdhsa_private_segment_fixed_size 0
		.amdhsa_kernarg_size 72
		.amdhsa_user_sgpr_count 2
		.amdhsa_user_sgpr_dispatch_ptr 0
		.amdhsa_user_sgpr_queue_ptr 0
		.amdhsa_user_sgpr_kernarg_segment_ptr 1
		.amdhsa_user_sgpr_dispatch_id 0
		.amdhsa_user_sgpr_kernarg_preload_length 0
		.amdhsa_user_sgpr_kernarg_preload_offset 0
		.amdhsa_user_sgpr_private_segment_size 0
		.amdhsa_wavefront_size32 1
		.amdhsa_uses_dynamic_stack 0
		.amdhsa_enable_private_segment 0
		.amdhsa_system_sgpr_workgroup_id_x 1
		.amdhsa_system_sgpr_workgroup_id_y 0
		.amdhsa_system_sgpr_workgroup_id_z 0
		.amdhsa_system_sgpr_workgroup_info 0
		.amdhsa_system_vgpr_workitem_id 0
		.amdhsa_next_free_vgpr 1
		.amdhsa_next_free_sgpr 1
		.amdhsa_named_barrier_count 0
		.amdhsa_reserve_vcc 0
		.amdhsa_float_round_mode_32 0
		.amdhsa_float_round_mode_16_64 0
		.amdhsa_float_denorm_mode_32 3
		.amdhsa_float_denorm_mode_16_64 3
		.amdhsa_fp16_overflow 0
		.amdhsa_memory_ordered 1
		.amdhsa_forward_progress 1
		.amdhsa_inst_pref_size 0
		.amdhsa_round_robin_scheduling 0
		.amdhsa_exception_fp_ieee_invalid_op 0
		.amdhsa_exception_fp_denorm_src 0
		.amdhsa_exception_fp_ieee_div_zero 0
		.amdhsa_exception_fp_ieee_overflow 0
		.amdhsa_exception_fp_ieee_underflow 0
		.amdhsa_exception_fp_ieee_inexact 0
		.amdhsa_exception_int_div_zero 0
	.end_amdhsa_kernel
	.section	.text._ZN7rocprim17ROCPRIM_400000_NS6detail17trampoline_kernelINS0_14default_configENS1_37merge_sort_block_sort_config_selectorIlNS0_10empty_typeEEEZNS1_21merge_sort_block_sortIS3_PlS8_PS5_S9_ZN2at6native12_GLOBAL__N_124unique_dim_cuda_templateIdEESt5tupleIJNSA_6TensorESF_SF_EERKSF_lbbbEUlllE_EE10hipError_tT0_T1_T2_T3_mRjT4_P12ihipStream_tbNS1_7vsmem_tEEUlT_E_NS1_11comp_targetILNS1_3genE8ELNS1_11target_archE1030ELNS1_3gpuE2ELNS1_3repE0EEENS1_30default_config_static_selectorELNS0_4arch9wavefront6targetE0EEEvSM_,"axG",@progbits,_ZN7rocprim17ROCPRIM_400000_NS6detail17trampoline_kernelINS0_14default_configENS1_37merge_sort_block_sort_config_selectorIlNS0_10empty_typeEEEZNS1_21merge_sort_block_sortIS3_PlS8_PS5_S9_ZN2at6native12_GLOBAL__N_124unique_dim_cuda_templateIdEESt5tupleIJNSA_6TensorESF_SF_EERKSF_lbbbEUlllE_EE10hipError_tT0_T1_T2_T3_mRjT4_P12ihipStream_tbNS1_7vsmem_tEEUlT_E_NS1_11comp_targetILNS1_3genE8ELNS1_11target_archE1030ELNS1_3gpuE2ELNS1_3repE0EEENS1_30default_config_static_selectorELNS0_4arch9wavefront6targetE0EEEvSM_,comdat
.Lfunc_end757:
	.size	_ZN7rocprim17ROCPRIM_400000_NS6detail17trampoline_kernelINS0_14default_configENS1_37merge_sort_block_sort_config_selectorIlNS0_10empty_typeEEEZNS1_21merge_sort_block_sortIS3_PlS8_PS5_S9_ZN2at6native12_GLOBAL__N_124unique_dim_cuda_templateIdEESt5tupleIJNSA_6TensorESF_SF_EERKSF_lbbbEUlllE_EE10hipError_tT0_T1_T2_T3_mRjT4_P12ihipStream_tbNS1_7vsmem_tEEUlT_E_NS1_11comp_targetILNS1_3genE8ELNS1_11target_archE1030ELNS1_3gpuE2ELNS1_3repE0EEENS1_30default_config_static_selectorELNS0_4arch9wavefront6targetE0EEEvSM_, .Lfunc_end757-_ZN7rocprim17ROCPRIM_400000_NS6detail17trampoline_kernelINS0_14default_configENS1_37merge_sort_block_sort_config_selectorIlNS0_10empty_typeEEEZNS1_21merge_sort_block_sortIS3_PlS8_PS5_S9_ZN2at6native12_GLOBAL__N_124unique_dim_cuda_templateIdEESt5tupleIJNSA_6TensorESF_SF_EERKSF_lbbbEUlllE_EE10hipError_tT0_T1_T2_T3_mRjT4_P12ihipStream_tbNS1_7vsmem_tEEUlT_E_NS1_11comp_targetILNS1_3genE8ELNS1_11target_archE1030ELNS1_3gpuE2ELNS1_3repE0EEENS1_30default_config_static_selectorELNS0_4arch9wavefront6targetE0EEEvSM_
                                        ; -- End function
	.set _ZN7rocprim17ROCPRIM_400000_NS6detail17trampoline_kernelINS0_14default_configENS1_37merge_sort_block_sort_config_selectorIlNS0_10empty_typeEEEZNS1_21merge_sort_block_sortIS3_PlS8_PS5_S9_ZN2at6native12_GLOBAL__N_124unique_dim_cuda_templateIdEESt5tupleIJNSA_6TensorESF_SF_EERKSF_lbbbEUlllE_EE10hipError_tT0_T1_T2_T3_mRjT4_P12ihipStream_tbNS1_7vsmem_tEEUlT_E_NS1_11comp_targetILNS1_3genE8ELNS1_11target_archE1030ELNS1_3gpuE2ELNS1_3repE0EEENS1_30default_config_static_selectorELNS0_4arch9wavefront6targetE0EEEvSM_.num_vgpr, 0
	.set _ZN7rocprim17ROCPRIM_400000_NS6detail17trampoline_kernelINS0_14default_configENS1_37merge_sort_block_sort_config_selectorIlNS0_10empty_typeEEEZNS1_21merge_sort_block_sortIS3_PlS8_PS5_S9_ZN2at6native12_GLOBAL__N_124unique_dim_cuda_templateIdEESt5tupleIJNSA_6TensorESF_SF_EERKSF_lbbbEUlllE_EE10hipError_tT0_T1_T2_T3_mRjT4_P12ihipStream_tbNS1_7vsmem_tEEUlT_E_NS1_11comp_targetILNS1_3genE8ELNS1_11target_archE1030ELNS1_3gpuE2ELNS1_3repE0EEENS1_30default_config_static_selectorELNS0_4arch9wavefront6targetE0EEEvSM_.num_agpr, 0
	.set _ZN7rocprim17ROCPRIM_400000_NS6detail17trampoline_kernelINS0_14default_configENS1_37merge_sort_block_sort_config_selectorIlNS0_10empty_typeEEEZNS1_21merge_sort_block_sortIS3_PlS8_PS5_S9_ZN2at6native12_GLOBAL__N_124unique_dim_cuda_templateIdEESt5tupleIJNSA_6TensorESF_SF_EERKSF_lbbbEUlllE_EE10hipError_tT0_T1_T2_T3_mRjT4_P12ihipStream_tbNS1_7vsmem_tEEUlT_E_NS1_11comp_targetILNS1_3genE8ELNS1_11target_archE1030ELNS1_3gpuE2ELNS1_3repE0EEENS1_30default_config_static_selectorELNS0_4arch9wavefront6targetE0EEEvSM_.numbered_sgpr, 0
	.set _ZN7rocprim17ROCPRIM_400000_NS6detail17trampoline_kernelINS0_14default_configENS1_37merge_sort_block_sort_config_selectorIlNS0_10empty_typeEEEZNS1_21merge_sort_block_sortIS3_PlS8_PS5_S9_ZN2at6native12_GLOBAL__N_124unique_dim_cuda_templateIdEESt5tupleIJNSA_6TensorESF_SF_EERKSF_lbbbEUlllE_EE10hipError_tT0_T1_T2_T3_mRjT4_P12ihipStream_tbNS1_7vsmem_tEEUlT_E_NS1_11comp_targetILNS1_3genE8ELNS1_11target_archE1030ELNS1_3gpuE2ELNS1_3repE0EEENS1_30default_config_static_selectorELNS0_4arch9wavefront6targetE0EEEvSM_.num_named_barrier, 0
	.set _ZN7rocprim17ROCPRIM_400000_NS6detail17trampoline_kernelINS0_14default_configENS1_37merge_sort_block_sort_config_selectorIlNS0_10empty_typeEEEZNS1_21merge_sort_block_sortIS3_PlS8_PS5_S9_ZN2at6native12_GLOBAL__N_124unique_dim_cuda_templateIdEESt5tupleIJNSA_6TensorESF_SF_EERKSF_lbbbEUlllE_EE10hipError_tT0_T1_T2_T3_mRjT4_P12ihipStream_tbNS1_7vsmem_tEEUlT_E_NS1_11comp_targetILNS1_3genE8ELNS1_11target_archE1030ELNS1_3gpuE2ELNS1_3repE0EEENS1_30default_config_static_selectorELNS0_4arch9wavefront6targetE0EEEvSM_.private_seg_size, 0
	.set _ZN7rocprim17ROCPRIM_400000_NS6detail17trampoline_kernelINS0_14default_configENS1_37merge_sort_block_sort_config_selectorIlNS0_10empty_typeEEEZNS1_21merge_sort_block_sortIS3_PlS8_PS5_S9_ZN2at6native12_GLOBAL__N_124unique_dim_cuda_templateIdEESt5tupleIJNSA_6TensorESF_SF_EERKSF_lbbbEUlllE_EE10hipError_tT0_T1_T2_T3_mRjT4_P12ihipStream_tbNS1_7vsmem_tEEUlT_E_NS1_11comp_targetILNS1_3genE8ELNS1_11target_archE1030ELNS1_3gpuE2ELNS1_3repE0EEENS1_30default_config_static_selectorELNS0_4arch9wavefront6targetE0EEEvSM_.uses_vcc, 0
	.set _ZN7rocprim17ROCPRIM_400000_NS6detail17trampoline_kernelINS0_14default_configENS1_37merge_sort_block_sort_config_selectorIlNS0_10empty_typeEEEZNS1_21merge_sort_block_sortIS3_PlS8_PS5_S9_ZN2at6native12_GLOBAL__N_124unique_dim_cuda_templateIdEESt5tupleIJNSA_6TensorESF_SF_EERKSF_lbbbEUlllE_EE10hipError_tT0_T1_T2_T3_mRjT4_P12ihipStream_tbNS1_7vsmem_tEEUlT_E_NS1_11comp_targetILNS1_3genE8ELNS1_11target_archE1030ELNS1_3gpuE2ELNS1_3repE0EEENS1_30default_config_static_selectorELNS0_4arch9wavefront6targetE0EEEvSM_.uses_flat_scratch, 0
	.set _ZN7rocprim17ROCPRIM_400000_NS6detail17trampoline_kernelINS0_14default_configENS1_37merge_sort_block_sort_config_selectorIlNS0_10empty_typeEEEZNS1_21merge_sort_block_sortIS3_PlS8_PS5_S9_ZN2at6native12_GLOBAL__N_124unique_dim_cuda_templateIdEESt5tupleIJNSA_6TensorESF_SF_EERKSF_lbbbEUlllE_EE10hipError_tT0_T1_T2_T3_mRjT4_P12ihipStream_tbNS1_7vsmem_tEEUlT_E_NS1_11comp_targetILNS1_3genE8ELNS1_11target_archE1030ELNS1_3gpuE2ELNS1_3repE0EEENS1_30default_config_static_selectorELNS0_4arch9wavefront6targetE0EEEvSM_.has_dyn_sized_stack, 0
	.set _ZN7rocprim17ROCPRIM_400000_NS6detail17trampoline_kernelINS0_14default_configENS1_37merge_sort_block_sort_config_selectorIlNS0_10empty_typeEEEZNS1_21merge_sort_block_sortIS3_PlS8_PS5_S9_ZN2at6native12_GLOBAL__N_124unique_dim_cuda_templateIdEESt5tupleIJNSA_6TensorESF_SF_EERKSF_lbbbEUlllE_EE10hipError_tT0_T1_T2_T3_mRjT4_P12ihipStream_tbNS1_7vsmem_tEEUlT_E_NS1_11comp_targetILNS1_3genE8ELNS1_11target_archE1030ELNS1_3gpuE2ELNS1_3repE0EEENS1_30default_config_static_selectorELNS0_4arch9wavefront6targetE0EEEvSM_.has_recursion, 0
	.set _ZN7rocprim17ROCPRIM_400000_NS6detail17trampoline_kernelINS0_14default_configENS1_37merge_sort_block_sort_config_selectorIlNS0_10empty_typeEEEZNS1_21merge_sort_block_sortIS3_PlS8_PS5_S9_ZN2at6native12_GLOBAL__N_124unique_dim_cuda_templateIdEESt5tupleIJNSA_6TensorESF_SF_EERKSF_lbbbEUlllE_EE10hipError_tT0_T1_T2_T3_mRjT4_P12ihipStream_tbNS1_7vsmem_tEEUlT_E_NS1_11comp_targetILNS1_3genE8ELNS1_11target_archE1030ELNS1_3gpuE2ELNS1_3repE0EEENS1_30default_config_static_selectorELNS0_4arch9wavefront6targetE0EEEvSM_.has_indirect_call, 0
	.section	.AMDGPU.csdata,"",@progbits
; Kernel info:
; codeLenInByte = 0
; TotalNumSgprs: 0
; NumVgprs: 0
; ScratchSize: 0
; MemoryBound: 0
; FloatMode: 240
; IeeeMode: 1
; LDSByteSize: 0 bytes/workgroup (compile time only)
; SGPRBlocks: 0
; VGPRBlocks: 0
; NumSGPRsForWavesPerEU: 1
; NumVGPRsForWavesPerEU: 1
; NamedBarCnt: 0
; Occupancy: 16
; WaveLimiterHint : 0
; COMPUTE_PGM_RSRC2:SCRATCH_EN: 0
; COMPUTE_PGM_RSRC2:USER_SGPR: 2
; COMPUTE_PGM_RSRC2:TRAP_HANDLER: 0
; COMPUTE_PGM_RSRC2:TGID_X_EN: 1
; COMPUTE_PGM_RSRC2:TGID_Y_EN: 0
; COMPUTE_PGM_RSRC2:TGID_Z_EN: 0
; COMPUTE_PGM_RSRC2:TIDIG_COMP_CNT: 0
	.section	.text._ZN7rocprim17ROCPRIM_400000_NS6detail17trampoline_kernelINS0_14default_configENS1_38merge_sort_block_merge_config_selectorIlNS0_10empty_typeEEEZZNS1_27merge_sort_block_merge_implIS3_PlPS5_mZN2at6native12_GLOBAL__N_124unique_dim_cuda_templateIdEESt5tupleIJNSA_6TensorESF_SF_EERKSF_lbbbEUlllE_EE10hipError_tT0_T1_T2_jT3_P12ihipStream_tbPNSt15iterator_traitsISL_E10value_typeEPNSR_ISM_E10value_typeEPSN_NS1_7vsmem_tEENKUlT_SL_SM_SN_E_clIS8_S8_S9_S9_EESK_S10_SL_SM_SN_EUlS10_E_NS1_11comp_targetILNS1_3genE0ELNS1_11target_archE4294967295ELNS1_3gpuE0ELNS1_3repE0EEENS1_48merge_mergepath_partition_config_static_selectorELNS0_4arch9wavefront6targetE0EEEvSM_,"axG",@progbits,_ZN7rocprim17ROCPRIM_400000_NS6detail17trampoline_kernelINS0_14default_configENS1_38merge_sort_block_merge_config_selectorIlNS0_10empty_typeEEEZZNS1_27merge_sort_block_merge_implIS3_PlPS5_mZN2at6native12_GLOBAL__N_124unique_dim_cuda_templateIdEESt5tupleIJNSA_6TensorESF_SF_EERKSF_lbbbEUlllE_EE10hipError_tT0_T1_T2_jT3_P12ihipStream_tbPNSt15iterator_traitsISL_E10value_typeEPNSR_ISM_E10value_typeEPSN_NS1_7vsmem_tEENKUlT_SL_SM_SN_E_clIS8_S8_S9_S9_EESK_S10_SL_SM_SN_EUlS10_E_NS1_11comp_targetILNS1_3genE0ELNS1_11target_archE4294967295ELNS1_3gpuE0ELNS1_3repE0EEENS1_48merge_mergepath_partition_config_static_selectorELNS0_4arch9wavefront6targetE0EEEvSM_,comdat
	.globl	_ZN7rocprim17ROCPRIM_400000_NS6detail17trampoline_kernelINS0_14default_configENS1_38merge_sort_block_merge_config_selectorIlNS0_10empty_typeEEEZZNS1_27merge_sort_block_merge_implIS3_PlPS5_mZN2at6native12_GLOBAL__N_124unique_dim_cuda_templateIdEESt5tupleIJNSA_6TensorESF_SF_EERKSF_lbbbEUlllE_EE10hipError_tT0_T1_T2_jT3_P12ihipStream_tbPNSt15iterator_traitsISL_E10value_typeEPNSR_ISM_E10value_typeEPSN_NS1_7vsmem_tEENKUlT_SL_SM_SN_E_clIS8_S8_S9_S9_EESK_S10_SL_SM_SN_EUlS10_E_NS1_11comp_targetILNS1_3genE0ELNS1_11target_archE4294967295ELNS1_3gpuE0ELNS1_3repE0EEENS1_48merge_mergepath_partition_config_static_selectorELNS0_4arch9wavefront6targetE0EEEvSM_ ; -- Begin function _ZN7rocprim17ROCPRIM_400000_NS6detail17trampoline_kernelINS0_14default_configENS1_38merge_sort_block_merge_config_selectorIlNS0_10empty_typeEEEZZNS1_27merge_sort_block_merge_implIS3_PlPS5_mZN2at6native12_GLOBAL__N_124unique_dim_cuda_templateIdEESt5tupleIJNSA_6TensorESF_SF_EERKSF_lbbbEUlllE_EE10hipError_tT0_T1_T2_jT3_P12ihipStream_tbPNSt15iterator_traitsISL_E10value_typeEPNSR_ISM_E10value_typeEPSN_NS1_7vsmem_tEENKUlT_SL_SM_SN_E_clIS8_S8_S9_S9_EESK_S10_SL_SM_SN_EUlS10_E_NS1_11comp_targetILNS1_3genE0ELNS1_11target_archE4294967295ELNS1_3gpuE0ELNS1_3repE0EEENS1_48merge_mergepath_partition_config_static_selectorELNS0_4arch9wavefront6targetE0EEEvSM_
	.p2align	8
	.type	_ZN7rocprim17ROCPRIM_400000_NS6detail17trampoline_kernelINS0_14default_configENS1_38merge_sort_block_merge_config_selectorIlNS0_10empty_typeEEEZZNS1_27merge_sort_block_merge_implIS3_PlPS5_mZN2at6native12_GLOBAL__N_124unique_dim_cuda_templateIdEESt5tupleIJNSA_6TensorESF_SF_EERKSF_lbbbEUlllE_EE10hipError_tT0_T1_T2_jT3_P12ihipStream_tbPNSt15iterator_traitsISL_E10value_typeEPNSR_ISM_E10value_typeEPSN_NS1_7vsmem_tEENKUlT_SL_SM_SN_E_clIS8_S8_S9_S9_EESK_S10_SL_SM_SN_EUlS10_E_NS1_11comp_targetILNS1_3genE0ELNS1_11target_archE4294967295ELNS1_3gpuE0ELNS1_3repE0EEENS1_48merge_mergepath_partition_config_static_selectorELNS0_4arch9wavefront6targetE0EEEvSM_,@function
_ZN7rocprim17ROCPRIM_400000_NS6detail17trampoline_kernelINS0_14default_configENS1_38merge_sort_block_merge_config_selectorIlNS0_10empty_typeEEEZZNS1_27merge_sort_block_merge_implIS3_PlPS5_mZN2at6native12_GLOBAL__N_124unique_dim_cuda_templateIdEESt5tupleIJNSA_6TensorESF_SF_EERKSF_lbbbEUlllE_EE10hipError_tT0_T1_T2_jT3_P12ihipStream_tbPNSt15iterator_traitsISL_E10value_typeEPNSR_ISM_E10value_typeEPSN_NS1_7vsmem_tEENKUlT_SL_SM_SN_E_clIS8_S8_S9_S9_EESK_S10_SL_SM_SN_EUlS10_E_NS1_11comp_targetILNS1_3genE0ELNS1_11target_archE4294967295ELNS1_3gpuE0ELNS1_3repE0EEENS1_48merge_mergepath_partition_config_static_selectorELNS0_4arch9wavefront6targetE0EEEvSM_: ; @_ZN7rocprim17ROCPRIM_400000_NS6detail17trampoline_kernelINS0_14default_configENS1_38merge_sort_block_merge_config_selectorIlNS0_10empty_typeEEEZZNS1_27merge_sort_block_merge_implIS3_PlPS5_mZN2at6native12_GLOBAL__N_124unique_dim_cuda_templateIdEESt5tupleIJNSA_6TensorESF_SF_EERKSF_lbbbEUlllE_EE10hipError_tT0_T1_T2_jT3_P12ihipStream_tbPNSt15iterator_traitsISL_E10value_typeEPNSR_ISM_E10value_typeEPSN_NS1_7vsmem_tEENKUlT_SL_SM_SN_E_clIS8_S8_S9_S9_EESK_S10_SL_SM_SN_EUlS10_E_NS1_11comp_targetILNS1_3genE0ELNS1_11target_archE4294967295ELNS1_3gpuE0ELNS1_3repE0EEENS1_48merge_mergepath_partition_config_static_selectorELNS0_4arch9wavefront6targetE0EEEvSM_
; %bb.0:
	s_load_b32 s2, s[0:1], 0x0
	s_bfe_u32 s3, ttmp6, 0x4000c
	s_and_b32 s4, ttmp6, 15
	s_add_co_i32 s3, s3, 1
	s_getreg_b32 s5, hwreg(HW_REG_IB_STS2, 6, 4)
	s_mul_i32 s3, ttmp9, s3
	s_delay_alu instid0(SALU_CYCLE_1) | instskip(SKIP_2) | instid1(SALU_CYCLE_1)
	s_add_co_i32 s4, s4, s3
	s_cmp_eq_u32 s5, 0
	s_cselect_b32 s3, ttmp9, s4
	v_lshl_or_b32 v16, s3, 7, v0
	s_wait_kmcnt 0x0
	s_delay_alu instid0(VALU_DEP_1)
	v_cmp_gt_u32_e32 vcc_lo, s2, v16
	s_and_saveexec_b32 s2, vcc_lo
	s_cbranch_execz .LBB758_12
; %bb.1:
	s_load_b128 s[4:7], s[0:1], 0x8
	s_wait_kmcnt 0x0
	s_lshr_b64 s[2:3], s[4:5], 9
	s_delay_alu instid0(SALU_CYCLE_1) | instskip(NEXT) | instid1(SALU_CYCLE_1)
	s_and_b32 s2, s2, -2
	s_sub_co_i32 s3, 0, s2
	s_delay_alu instid0(SALU_CYCLE_1) | instskip(SKIP_1) | instid1(VALU_DEP_1)
	v_dual_mov_b32 v3, 0 :: v_dual_bitop2_b32 v2, s3, v16 bitop3:0x40
	s_add_co_i32 s2, s2, -1
	v_lshlrev_b64_e32 v[0:1], 10, v[2:3]
	v_and_b32_e32 v2, s2, v16
	s_delay_alu instid0(VALU_DEP_1) | instskip(NEXT) | instid1(VALU_DEP_3)
	v_lshlrev_b64_e32 v[2:3], 10, v[2:3]
	v_add_nc_u64_e32 v[4:5], s[4:5], v[0:1]
	v_min_u64 v[0:1], s[6:7], v[0:1]
	s_delay_alu instid0(VALU_DEP_2) | instskip(NEXT) | instid1(VALU_DEP_1)
	v_min_u64 v[6:7], s[6:7], v[4:5]
	v_add_nc_u64_e32 v[4:5], s[4:5], v[6:7]
	s_delay_alu instid0(VALU_DEP_1) | instskip(SKIP_3) | instid1(VALU_DEP_1)
	v_min_u64 v[4:5], s[6:7], v[4:5]
	s_load_b256 s[4:11], s[0:1], 0x18
	s_wait_xcnt 0x0
	s_mov_b32 s1, exec_lo
	v_sub_nc_u64_e32 v[8:9], v[4:5], v[0:1]
	s_delay_alu instid0(VALU_DEP_1) | instskip(SKIP_2) | instid1(VALU_DEP_2)
	v_min_u64 v[8:9], v[8:9], v[2:3]
	v_sub_nc_u64_e32 v[2:3], v[4:5], v[6:7]
	v_sub_nc_u64_e32 v[4:5], v[6:7], v[0:1]
	v_max_u64 v[10:11], v[8:9], v[2:3]
	s_delay_alu instid0(VALU_DEP_2) | instskip(NEXT) | instid1(VALU_DEP_2)
	v_min_u64 v[4:5], v[8:9], v[4:5]
	v_sub_nc_u64_e32 v[2:3], v[10:11], v[2:3]
	s_delay_alu instid0(VALU_DEP_1)
	v_cmpx_lt_u64_e64 v[2:3], v[4:5]
	s_cbranch_execz .LBB758_11
; %bb.2:
	s_wait_kmcnt 0x0
	v_lshl_add_u64 v[10:11], v[6:7], 3, s[4:5]
	v_cmp_gt_i64_e64 s12, s[6:7], 0
	v_lshl_add_u64 v[6:7], v[0:1], 3, s[4:5]
	s_lshl_b64 s[2:3], s[6:7], 3
	s_mov_b32 s13, 0
	v_lshl_add_u64 v[8:9], v[8:9], 3, v[10:11]
	s_branch .LBB758_5
.LBB758_3:                              ;   in Loop: Header=BB758_5 Depth=1
	s_or_b32 exec_lo, exec_lo, s15
.LBB758_4:                              ;   in Loop: Header=BB758_5 Depth=1
	s_delay_alu instid0(VALU_DEP_1) | instskip(SKIP_1) | instid1(VALU_DEP_2)
	v_add_nc_u64_e32 v[12:13], 1, v[10:11]
	v_dual_cndmask_b32 v5, v5, v11, s14 :: v_dual_cndmask_b32 v4, v4, v10, s14
	v_dual_cndmask_b32 v3, v13, v3, s14 :: v_dual_cndmask_b32 v2, v12, v2, s14
	s_delay_alu instid0(VALU_DEP_1) | instskip(SKIP_1) | instid1(SALU_CYCLE_1)
	v_cmp_ge_u64_e32 vcc_lo, v[2:3], v[4:5]
	s_or_b32 s13, vcc_lo, s13
	s_and_not1_b32 exec_lo, exec_lo, s13
	s_cbranch_execz .LBB758_10
.LBB758_5:                              ; =>This Loop Header: Depth=1
                                        ;     Child Loop BB758_8 Depth 2
	v_add_nc_u64_e32 v[10:11], v[4:5], v[2:3]
	s_and_not1_b32 vcc_lo, exec_lo, s12
	s_mov_b32 s14, 0
	s_delay_alu instid0(VALU_DEP_1)
	v_lshrrev_b64 v[10:11], 1, v[10:11]
	s_cbranch_vccnz .LBB758_4
; %bb.6:                                ;   in Loop: Header=BB758_5 Depth=1
	s_delay_alu instid0(VALU_DEP_1) | instskip(NEXT) | instid1(VALU_DEP_2)
	v_not_b32_e32 v13, v11
	v_not_b32_e32 v12, v10
	v_lshl_add_u64 v[14:15], v[10:11], 3, v[6:7]
	s_mov_b32 s15, 0
	s_mov_b64 s[4:5], s[6:7]
                                        ; implicit-def: $sgpr14
                                        ; implicit-def: $sgpr16
                                        ; implicit-def: $sgpr17
                                        ; implicit-def: $sgpr18
	s_delay_alu instid0(VALU_DEP_2)
	v_lshl_add_u64 v[12:13], v[12:13], 3, v[8:9]
	s_clause 0x1
	global_load_b64 v[18:19], v[12:13], off
	global_load_b64 v[20:21], v[14:15], off
	s_wait_loadcnt 0x1
	s_wait_xcnt 0x1
	v_mad_nc_u64_u32 v[12:13], s2, v18, s[8:9]
	s_wait_loadcnt 0x0
	v_mad_nc_u64_u32 v[14:15], s2, v20, s[8:9]
	s_delay_alu instid0(VALU_DEP_2) | instskip(NEXT) | instid1(VALU_DEP_2)
	v_mad_u32 v13, s3, v18, v13
	v_mad_u32 v15, s3, v20, v15
	s_delay_alu instid0(VALU_DEP_2) | instskip(NEXT) | instid1(VALU_DEP_2)
	v_mad_u32 v13, s2, v19, v13
	v_mad_u32 v15, s2, v21, v15
	s_branch .LBB758_8
.LBB758_7:                              ;   in Loop: Header=BB758_8 Depth=2
	s_or_b32 exec_lo, exec_lo, s0
	s_delay_alu instid0(SALU_CYCLE_1) | instskip(NEXT) | instid1(SALU_CYCLE_1)
	s_and_b32 s0, exec_lo, s16
	s_or_b32 s15, s0, s15
	s_and_not1_b32 s0, s18, exec_lo
	s_and_b32 s18, s19, exec_lo
	s_and_not1_b32 s14, s14, exec_lo
	s_and_b32 s19, s17, exec_lo
	s_or_b32 s18, s0, s18
	s_or_b32 s14, s14, s19
	s_and_not1_b32 exec_lo, exec_lo, s15
	s_cbranch_execz .LBB758_3
.LBB758_8:                              ;   Parent Loop BB758_5 Depth=1
                                        ; =>  This Inner Loop Header: Depth=2
	global_load_b64 v[18:19], v[12:13], off
	global_load_b64 v[20:21], v[14:15], off
	s_and_not1_b32 s17, s17, exec_lo
	s_or_b32 s16, s16, exec_lo
	s_wait_loadcnt 0x0
	v_cmp_ngt_f64_e32 vcc_lo, v[18:19], v[20:21]
	v_cmp_lt_f64_e64 s0, v[18:19], v[20:21]
	s_and_b32 s19, vcc_lo, s18
	s_xor_b32 s21, s0, vcc_lo
	s_or_b32 s19, s0, s19
	s_delay_alu instid0(SALU_CYCLE_1) | instskip(NEXT) | instid1(SALU_CYCLE_1)
	s_and_b32 s20, s19, exec_lo
	s_or_b32 s17, s17, s20
	s_and_saveexec_b32 s0, s21
	s_cbranch_execz .LBB758_7
; %bb.9:                                ;   in Loop: Header=BB758_8 Depth=2
	s_add_nc_u64 s[4:5], s[4:5], -1
	v_add_nc_u64_e32 v[12:13], 8, v[12:13]
	s_cmp_eq_u64 s[4:5], 0
	v_add_nc_u64_e32 v[14:15], 8, v[14:15]
	s_cselect_b32 s18, -1, 0
	s_and_not1_b32 s16, s16, exec_lo
	s_and_b32 s18, s18, exec_lo
	s_and_not1_b32 s17, s17, exec_lo
	s_or_b32 s16, s16, s18
                                        ; implicit-def: $sgpr18
	s_branch .LBB758_7
.LBB758_10:
	s_or_b32 exec_lo, exec_lo, s13
.LBB758_11:
	s_delay_alu instid0(SALU_CYCLE_1)
	s_or_b32 exec_lo, exec_lo, s1
	v_add_nc_u64_e32 v[0:1], v[2:3], v[0:1]
	s_wait_kmcnt 0x0
	global_store_b64 v16, v[0:1], s[10:11] scale_offset
.LBB758_12:
	s_endpgm
	.section	.rodata,"a",@progbits
	.p2align	6, 0x0
	.amdhsa_kernel _ZN7rocprim17ROCPRIM_400000_NS6detail17trampoline_kernelINS0_14default_configENS1_38merge_sort_block_merge_config_selectorIlNS0_10empty_typeEEEZZNS1_27merge_sort_block_merge_implIS3_PlPS5_mZN2at6native12_GLOBAL__N_124unique_dim_cuda_templateIdEESt5tupleIJNSA_6TensorESF_SF_EERKSF_lbbbEUlllE_EE10hipError_tT0_T1_T2_jT3_P12ihipStream_tbPNSt15iterator_traitsISL_E10value_typeEPNSR_ISM_E10value_typeEPSN_NS1_7vsmem_tEENKUlT_SL_SM_SN_E_clIS8_S8_S9_S9_EESK_S10_SL_SM_SN_EUlS10_E_NS1_11comp_targetILNS1_3genE0ELNS1_11target_archE4294967295ELNS1_3gpuE0ELNS1_3repE0EEENS1_48merge_mergepath_partition_config_static_selectorELNS0_4arch9wavefront6targetE0EEEvSM_
		.amdhsa_group_segment_fixed_size 0
		.amdhsa_private_segment_fixed_size 0
		.amdhsa_kernarg_size 56
		.amdhsa_user_sgpr_count 2
		.amdhsa_user_sgpr_dispatch_ptr 0
		.amdhsa_user_sgpr_queue_ptr 0
		.amdhsa_user_sgpr_kernarg_segment_ptr 1
		.amdhsa_user_sgpr_dispatch_id 0
		.amdhsa_user_sgpr_kernarg_preload_length 0
		.amdhsa_user_sgpr_kernarg_preload_offset 0
		.amdhsa_user_sgpr_private_segment_size 0
		.amdhsa_wavefront_size32 1
		.amdhsa_uses_dynamic_stack 0
		.amdhsa_enable_private_segment 0
		.amdhsa_system_sgpr_workgroup_id_x 1
		.amdhsa_system_sgpr_workgroup_id_y 0
		.amdhsa_system_sgpr_workgroup_id_z 0
		.amdhsa_system_sgpr_workgroup_info 0
		.amdhsa_system_vgpr_workitem_id 0
		.amdhsa_next_free_vgpr 22
		.amdhsa_next_free_sgpr 22
		.amdhsa_named_barrier_count 0
		.amdhsa_reserve_vcc 1
		.amdhsa_float_round_mode_32 0
		.amdhsa_float_round_mode_16_64 0
		.amdhsa_float_denorm_mode_32 3
		.amdhsa_float_denorm_mode_16_64 3
		.amdhsa_fp16_overflow 0
		.amdhsa_memory_ordered 1
		.amdhsa_forward_progress 1
		.amdhsa_inst_pref_size 6
		.amdhsa_round_robin_scheduling 0
		.amdhsa_exception_fp_ieee_invalid_op 0
		.amdhsa_exception_fp_denorm_src 0
		.amdhsa_exception_fp_ieee_div_zero 0
		.amdhsa_exception_fp_ieee_overflow 0
		.amdhsa_exception_fp_ieee_underflow 0
		.amdhsa_exception_fp_ieee_inexact 0
		.amdhsa_exception_int_div_zero 0
	.end_amdhsa_kernel
	.section	.text._ZN7rocprim17ROCPRIM_400000_NS6detail17trampoline_kernelINS0_14default_configENS1_38merge_sort_block_merge_config_selectorIlNS0_10empty_typeEEEZZNS1_27merge_sort_block_merge_implIS3_PlPS5_mZN2at6native12_GLOBAL__N_124unique_dim_cuda_templateIdEESt5tupleIJNSA_6TensorESF_SF_EERKSF_lbbbEUlllE_EE10hipError_tT0_T1_T2_jT3_P12ihipStream_tbPNSt15iterator_traitsISL_E10value_typeEPNSR_ISM_E10value_typeEPSN_NS1_7vsmem_tEENKUlT_SL_SM_SN_E_clIS8_S8_S9_S9_EESK_S10_SL_SM_SN_EUlS10_E_NS1_11comp_targetILNS1_3genE0ELNS1_11target_archE4294967295ELNS1_3gpuE0ELNS1_3repE0EEENS1_48merge_mergepath_partition_config_static_selectorELNS0_4arch9wavefront6targetE0EEEvSM_,"axG",@progbits,_ZN7rocprim17ROCPRIM_400000_NS6detail17trampoline_kernelINS0_14default_configENS1_38merge_sort_block_merge_config_selectorIlNS0_10empty_typeEEEZZNS1_27merge_sort_block_merge_implIS3_PlPS5_mZN2at6native12_GLOBAL__N_124unique_dim_cuda_templateIdEESt5tupleIJNSA_6TensorESF_SF_EERKSF_lbbbEUlllE_EE10hipError_tT0_T1_T2_jT3_P12ihipStream_tbPNSt15iterator_traitsISL_E10value_typeEPNSR_ISM_E10value_typeEPSN_NS1_7vsmem_tEENKUlT_SL_SM_SN_E_clIS8_S8_S9_S9_EESK_S10_SL_SM_SN_EUlS10_E_NS1_11comp_targetILNS1_3genE0ELNS1_11target_archE4294967295ELNS1_3gpuE0ELNS1_3repE0EEENS1_48merge_mergepath_partition_config_static_selectorELNS0_4arch9wavefront6targetE0EEEvSM_,comdat
.Lfunc_end758:
	.size	_ZN7rocprim17ROCPRIM_400000_NS6detail17trampoline_kernelINS0_14default_configENS1_38merge_sort_block_merge_config_selectorIlNS0_10empty_typeEEEZZNS1_27merge_sort_block_merge_implIS3_PlPS5_mZN2at6native12_GLOBAL__N_124unique_dim_cuda_templateIdEESt5tupleIJNSA_6TensorESF_SF_EERKSF_lbbbEUlllE_EE10hipError_tT0_T1_T2_jT3_P12ihipStream_tbPNSt15iterator_traitsISL_E10value_typeEPNSR_ISM_E10value_typeEPSN_NS1_7vsmem_tEENKUlT_SL_SM_SN_E_clIS8_S8_S9_S9_EESK_S10_SL_SM_SN_EUlS10_E_NS1_11comp_targetILNS1_3genE0ELNS1_11target_archE4294967295ELNS1_3gpuE0ELNS1_3repE0EEENS1_48merge_mergepath_partition_config_static_selectorELNS0_4arch9wavefront6targetE0EEEvSM_, .Lfunc_end758-_ZN7rocprim17ROCPRIM_400000_NS6detail17trampoline_kernelINS0_14default_configENS1_38merge_sort_block_merge_config_selectorIlNS0_10empty_typeEEEZZNS1_27merge_sort_block_merge_implIS3_PlPS5_mZN2at6native12_GLOBAL__N_124unique_dim_cuda_templateIdEESt5tupleIJNSA_6TensorESF_SF_EERKSF_lbbbEUlllE_EE10hipError_tT0_T1_T2_jT3_P12ihipStream_tbPNSt15iterator_traitsISL_E10value_typeEPNSR_ISM_E10value_typeEPSN_NS1_7vsmem_tEENKUlT_SL_SM_SN_E_clIS8_S8_S9_S9_EESK_S10_SL_SM_SN_EUlS10_E_NS1_11comp_targetILNS1_3genE0ELNS1_11target_archE4294967295ELNS1_3gpuE0ELNS1_3repE0EEENS1_48merge_mergepath_partition_config_static_selectorELNS0_4arch9wavefront6targetE0EEEvSM_
                                        ; -- End function
	.set _ZN7rocprim17ROCPRIM_400000_NS6detail17trampoline_kernelINS0_14default_configENS1_38merge_sort_block_merge_config_selectorIlNS0_10empty_typeEEEZZNS1_27merge_sort_block_merge_implIS3_PlPS5_mZN2at6native12_GLOBAL__N_124unique_dim_cuda_templateIdEESt5tupleIJNSA_6TensorESF_SF_EERKSF_lbbbEUlllE_EE10hipError_tT0_T1_T2_jT3_P12ihipStream_tbPNSt15iterator_traitsISL_E10value_typeEPNSR_ISM_E10value_typeEPSN_NS1_7vsmem_tEENKUlT_SL_SM_SN_E_clIS8_S8_S9_S9_EESK_S10_SL_SM_SN_EUlS10_E_NS1_11comp_targetILNS1_3genE0ELNS1_11target_archE4294967295ELNS1_3gpuE0ELNS1_3repE0EEENS1_48merge_mergepath_partition_config_static_selectorELNS0_4arch9wavefront6targetE0EEEvSM_.num_vgpr, 22
	.set _ZN7rocprim17ROCPRIM_400000_NS6detail17trampoline_kernelINS0_14default_configENS1_38merge_sort_block_merge_config_selectorIlNS0_10empty_typeEEEZZNS1_27merge_sort_block_merge_implIS3_PlPS5_mZN2at6native12_GLOBAL__N_124unique_dim_cuda_templateIdEESt5tupleIJNSA_6TensorESF_SF_EERKSF_lbbbEUlllE_EE10hipError_tT0_T1_T2_jT3_P12ihipStream_tbPNSt15iterator_traitsISL_E10value_typeEPNSR_ISM_E10value_typeEPSN_NS1_7vsmem_tEENKUlT_SL_SM_SN_E_clIS8_S8_S9_S9_EESK_S10_SL_SM_SN_EUlS10_E_NS1_11comp_targetILNS1_3genE0ELNS1_11target_archE4294967295ELNS1_3gpuE0ELNS1_3repE0EEENS1_48merge_mergepath_partition_config_static_selectorELNS0_4arch9wavefront6targetE0EEEvSM_.num_agpr, 0
	.set _ZN7rocprim17ROCPRIM_400000_NS6detail17trampoline_kernelINS0_14default_configENS1_38merge_sort_block_merge_config_selectorIlNS0_10empty_typeEEEZZNS1_27merge_sort_block_merge_implIS3_PlPS5_mZN2at6native12_GLOBAL__N_124unique_dim_cuda_templateIdEESt5tupleIJNSA_6TensorESF_SF_EERKSF_lbbbEUlllE_EE10hipError_tT0_T1_T2_jT3_P12ihipStream_tbPNSt15iterator_traitsISL_E10value_typeEPNSR_ISM_E10value_typeEPSN_NS1_7vsmem_tEENKUlT_SL_SM_SN_E_clIS8_S8_S9_S9_EESK_S10_SL_SM_SN_EUlS10_E_NS1_11comp_targetILNS1_3genE0ELNS1_11target_archE4294967295ELNS1_3gpuE0ELNS1_3repE0EEENS1_48merge_mergepath_partition_config_static_selectorELNS0_4arch9wavefront6targetE0EEEvSM_.numbered_sgpr, 22
	.set _ZN7rocprim17ROCPRIM_400000_NS6detail17trampoline_kernelINS0_14default_configENS1_38merge_sort_block_merge_config_selectorIlNS0_10empty_typeEEEZZNS1_27merge_sort_block_merge_implIS3_PlPS5_mZN2at6native12_GLOBAL__N_124unique_dim_cuda_templateIdEESt5tupleIJNSA_6TensorESF_SF_EERKSF_lbbbEUlllE_EE10hipError_tT0_T1_T2_jT3_P12ihipStream_tbPNSt15iterator_traitsISL_E10value_typeEPNSR_ISM_E10value_typeEPSN_NS1_7vsmem_tEENKUlT_SL_SM_SN_E_clIS8_S8_S9_S9_EESK_S10_SL_SM_SN_EUlS10_E_NS1_11comp_targetILNS1_3genE0ELNS1_11target_archE4294967295ELNS1_3gpuE0ELNS1_3repE0EEENS1_48merge_mergepath_partition_config_static_selectorELNS0_4arch9wavefront6targetE0EEEvSM_.num_named_barrier, 0
	.set _ZN7rocprim17ROCPRIM_400000_NS6detail17trampoline_kernelINS0_14default_configENS1_38merge_sort_block_merge_config_selectorIlNS0_10empty_typeEEEZZNS1_27merge_sort_block_merge_implIS3_PlPS5_mZN2at6native12_GLOBAL__N_124unique_dim_cuda_templateIdEESt5tupleIJNSA_6TensorESF_SF_EERKSF_lbbbEUlllE_EE10hipError_tT0_T1_T2_jT3_P12ihipStream_tbPNSt15iterator_traitsISL_E10value_typeEPNSR_ISM_E10value_typeEPSN_NS1_7vsmem_tEENKUlT_SL_SM_SN_E_clIS8_S8_S9_S9_EESK_S10_SL_SM_SN_EUlS10_E_NS1_11comp_targetILNS1_3genE0ELNS1_11target_archE4294967295ELNS1_3gpuE0ELNS1_3repE0EEENS1_48merge_mergepath_partition_config_static_selectorELNS0_4arch9wavefront6targetE0EEEvSM_.private_seg_size, 0
	.set _ZN7rocprim17ROCPRIM_400000_NS6detail17trampoline_kernelINS0_14default_configENS1_38merge_sort_block_merge_config_selectorIlNS0_10empty_typeEEEZZNS1_27merge_sort_block_merge_implIS3_PlPS5_mZN2at6native12_GLOBAL__N_124unique_dim_cuda_templateIdEESt5tupleIJNSA_6TensorESF_SF_EERKSF_lbbbEUlllE_EE10hipError_tT0_T1_T2_jT3_P12ihipStream_tbPNSt15iterator_traitsISL_E10value_typeEPNSR_ISM_E10value_typeEPSN_NS1_7vsmem_tEENKUlT_SL_SM_SN_E_clIS8_S8_S9_S9_EESK_S10_SL_SM_SN_EUlS10_E_NS1_11comp_targetILNS1_3genE0ELNS1_11target_archE4294967295ELNS1_3gpuE0ELNS1_3repE0EEENS1_48merge_mergepath_partition_config_static_selectorELNS0_4arch9wavefront6targetE0EEEvSM_.uses_vcc, 1
	.set _ZN7rocprim17ROCPRIM_400000_NS6detail17trampoline_kernelINS0_14default_configENS1_38merge_sort_block_merge_config_selectorIlNS0_10empty_typeEEEZZNS1_27merge_sort_block_merge_implIS3_PlPS5_mZN2at6native12_GLOBAL__N_124unique_dim_cuda_templateIdEESt5tupleIJNSA_6TensorESF_SF_EERKSF_lbbbEUlllE_EE10hipError_tT0_T1_T2_jT3_P12ihipStream_tbPNSt15iterator_traitsISL_E10value_typeEPNSR_ISM_E10value_typeEPSN_NS1_7vsmem_tEENKUlT_SL_SM_SN_E_clIS8_S8_S9_S9_EESK_S10_SL_SM_SN_EUlS10_E_NS1_11comp_targetILNS1_3genE0ELNS1_11target_archE4294967295ELNS1_3gpuE0ELNS1_3repE0EEENS1_48merge_mergepath_partition_config_static_selectorELNS0_4arch9wavefront6targetE0EEEvSM_.uses_flat_scratch, 0
	.set _ZN7rocprim17ROCPRIM_400000_NS6detail17trampoline_kernelINS0_14default_configENS1_38merge_sort_block_merge_config_selectorIlNS0_10empty_typeEEEZZNS1_27merge_sort_block_merge_implIS3_PlPS5_mZN2at6native12_GLOBAL__N_124unique_dim_cuda_templateIdEESt5tupleIJNSA_6TensorESF_SF_EERKSF_lbbbEUlllE_EE10hipError_tT0_T1_T2_jT3_P12ihipStream_tbPNSt15iterator_traitsISL_E10value_typeEPNSR_ISM_E10value_typeEPSN_NS1_7vsmem_tEENKUlT_SL_SM_SN_E_clIS8_S8_S9_S9_EESK_S10_SL_SM_SN_EUlS10_E_NS1_11comp_targetILNS1_3genE0ELNS1_11target_archE4294967295ELNS1_3gpuE0ELNS1_3repE0EEENS1_48merge_mergepath_partition_config_static_selectorELNS0_4arch9wavefront6targetE0EEEvSM_.has_dyn_sized_stack, 0
	.set _ZN7rocprim17ROCPRIM_400000_NS6detail17trampoline_kernelINS0_14default_configENS1_38merge_sort_block_merge_config_selectorIlNS0_10empty_typeEEEZZNS1_27merge_sort_block_merge_implIS3_PlPS5_mZN2at6native12_GLOBAL__N_124unique_dim_cuda_templateIdEESt5tupleIJNSA_6TensorESF_SF_EERKSF_lbbbEUlllE_EE10hipError_tT0_T1_T2_jT3_P12ihipStream_tbPNSt15iterator_traitsISL_E10value_typeEPNSR_ISM_E10value_typeEPSN_NS1_7vsmem_tEENKUlT_SL_SM_SN_E_clIS8_S8_S9_S9_EESK_S10_SL_SM_SN_EUlS10_E_NS1_11comp_targetILNS1_3genE0ELNS1_11target_archE4294967295ELNS1_3gpuE0ELNS1_3repE0EEENS1_48merge_mergepath_partition_config_static_selectorELNS0_4arch9wavefront6targetE0EEEvSM_.has_recursion, 0
	.set _ZN7rocprim17ROCPRIM_400000_NS6detail17trampoline_kernelINS0_14default_configENS1_38merge_sort_block_merge_config_selectorIlNS0_10empty_typeEEEZZNS1_27merge_sort_block_merge_implIS3_PlPS5_mZN2at6native12_GLOBAL__N_124unique_dim_cuda_templateIdEESt5tupleIJNSA_6TensorESF_SF_EERKSF_lbbbEUlllE_EE10hipError_tT0_T1_T2_jT3_P12ihipStream_tbPNSt15iterator_traitsISL_E10value_typeEPNSR_ISM_E10value_typeEPSN_NS1_7vsmem_tEENKUlT_SL_SM_SN_E_clIS8_S8_S9_S9_EESK_S10_SL_SM_SN_EUlS10_E_NS1_11comp_targetILNS1_3genE0ELNS1_11target_archE4294967295ELNS1_3gpuE0ELNS1_3repE0EEENS1_48merge_mergepath_partition_config_static_selectorELNS0_4arch9wavefront6targetE0EEEvSM_.has_indirect_call, 0
	.section	.AMDGPU.csdata,"",@progbits
; Kernel info:
; codeLenInByte = 736
; TotalNumSgprs: 24
; NumVgprs: 22
; ScratchSize: 0
; MemoryBound: 0
; FloatMode: 240
; IeeeMode: 1
; LDSByteSize: 0 bytes/workgroup (compile time only)
; SGPRBlocks: 0
; VGPRBlocks: 1
; NumSGPRsForWavesPerEU: 24
; NumVGPRsForWavesPerEU: 22
; NamedBarCnt: 0
; Occupancy: 16
; WaveLimiterHint : 0
; COMPUTE_PGM_RSRC2:SCRATCH_EN: 0
; COMPUTE_PGM_RSRC2:USER_SGPR: 2
; COMPUTE_PGM_RSRC2:TRAP_HANDLER: 0
; COMPUTE_PGM_RSRC2:TGID_X_EN: 1
; COMPUTE_PGM_RSRC2:TGID_Y_EN: 0
; COMPUTE_PGM_RSRC2:TGID_Z_EN: 0
; COMPUTE_PGM_RSRC2:TIDIG_COMP_CNT: 0
	.section	.text._ZN7rocprim17ROCPRIM_400000_NS6detail17trampoline_kernelINS0_14default_configENS1_38merge_sort_block_merge_config_selectorIlNS0_10empty_typeEEEZZNS1_27merge_sort_block_merge_implIS3_PlPS5_mZN2at6native12_GLOBAL__N_124unique_dim_cuda_templateIdEESt5tupleIJNSA_6TensorESF_SF_EERKSF_lbbbEUlllE_EE10hipError_tT0_T1_T2_jT3_P12ihipStream_tbPNSt15iterator_traitsISL_E10value_typeEPNSR_ISM_E10value_typeEPSN_NS1_7vsmem_tEENKUlT_SL_SM_SN_E_clIS8_S8_S9_S9_EESK_S10_SL_SM_SN_EUlS10_E_NS1_11comp_targetILNS1_3genE10ELNS1_11target_archE1201ELNS1_3gpuE5ELNS1_3repE0EEENS1_48merge_mergepath_partition_config_static_selectorELNS0_4arch9wavefront6targetE0EEEvSM_,"axG",@progbits,_ZN7rocprim17ROCPRIM_400000_NS6detail17trampoline_kernelINS0_14default_configENS1_38merge_sort_block_merge_config_selectorIlNS0_10empty_typeEEEZZNS1_27merge_sort_block_merge_implIS3_PlPS5_mZN2at6native12_GLOBAL__N_124unique_dim_cuda_templateIdEESt5tupleIJNSA_6TensorESF_SF_EERKSF_lbbbEUlllE_EE10hipError_tT0_T1_T2_jT3_P12ihipStream_tbPNSt15iterator_traitsISL_E10value_typeEPNSR_ISM_E10value_typeEPSN_NS1_7vsmem_tEENKUlT_SL_SM_SN_E_clIS8_S8_S9_S9_EESK_S10_SL_SM_SN_EUlS10_E_NS1_11comp_targetILNS1_3genE10ELNS1_11target_archE1201ELNS1_3gpuE5ELNS1_3repE0EEENS1_48merge_mergepath_partition_config_static_selectorELNS0_4arch9wavefront6targetE0EEEvSM_,comdat
	.globl	_ZN7rocprim17ROCPRIM_400000_NS6detail17trampoline_kernelINS0_14default_configENS1_38merge_sort_block_merge_config_selectorIlNS0_10empty_typeEEEZZNS1_27merge_sort_block_merge_implIS3_PlPS5_mZN2at6native12_GLOBAL__N_124unique_dim_cuda_templateIdEESt5tupleIJNSA_6TensorESF_SF_EERKSF_lbbbEUlllE_EE10hipError_tT0_T1_T2_jT3_P12ihipStream_tbPNSt15iterator_traitsISL_E10value_typeEPNSR_ISM_E10value_typeEPSN_NS1_7vsmem_tEENKUlT_SL_SM_SN_E_clIS8_S8_S9_S9_EESK_S10_SL_SM_SN_EUlS10_E_NS1_11comp_targetILNS1_3genE10ELNS1_11target_archE1201ELNS1_3gpuE5ELNS1_3repE0EEENS1_48merge_mergepath_partition_config_static_selectorELNS0_4arch9wavefront6targetE0EEEvSM_ ; -- Begin function _ZN7rocprim17ROCPRIM_400000_NS6detail17trampoline_kernelINS0_14default_configENS1_38merge_sort_block_merge_config_selectorIlNS0_10empty_typeEEEZZNS1_27merge_sort_block_merge_implIS3_PlPS5_mZN2at6native12_GLOBAL__N_124unique_dim_cuda_templateIdEESt5tupleIJNSA_6TensorESF_SF_EERKSF_lbbbEUlllE_EE10hipError_tT0_T1_T2_jT3_P12ihipStream_tbPNSt15iterator_traitsISL_E10value_typeEPNSR_ISM_E10value_typeEPSN_NS1_7vsmem_tEENKUlT_SL_SM_SN_E_clIS8_S8_S9_S9_EESK_S10_SL_SM_SN_EUlS10_E_NS1_11comp_targetILNS1_3genE10ELNS1_11target_archE1201ELNS1_3gpuE5ELNS1_3repE0EEENS1_48merge_mergepath_partition_config_static_selectorELNS0_4arch9wavefront6targetE0EEEvSM_
	.p2align	8
	.type	_ZN7rocprim17ROCPRIM_400000_NS6detail17trampoline_kernelINS0_14default_configENS1_38merge_sort_block_merge_config_selectorIlNS0_10empty_typeEEEZZNS1_27merge_sort_block_merge_implIS3_PlPS5_mZN2at6native12_GLOBAL__N_124unique_dim_cuda_templateIdEESt5tupleIJNSA_6TensorESF_SF_EERKSF_lbbbEUlllE_EE10hipError_tT0_T1_T2_jT3_P12ihipStream_tbPNSt15iterator_traitsISL_E10value_typeEPNSR_ISM_E10value_typeEPSN_NS1_7vsmem_tEENKUlT_SL_SM_SN_E_clIS8_S8_S9_S9_EESK_S10_SL_SM_SN_EUlS10_E_NS1_11comp_targetILNS1_3genE10ELNS1_11target_archE1201ELNS1_3gpuE5ELNS1_3repE0EEENS1_48merge_mergepath_partition_config_static_selectorELNS0_4arch9wavefront6targetE0EEEvSM_,@function
_ZN7rocprim17ROCPRIM_400000_NS6detail17trampoline_kernelINS0_14default_configENS1_38merge_sort_block_merge_config_selectorIlNS0_10empty_typeEEEZZNS1_27merge_sort_block_merge_implIS3_PlPS5_mZN2at6native12_GLOBAL__N_124unique_dim_cuda_templateIdEESt5tupleIJNSA_6TensorESF_SF_EERKSF_lbbbEUlllE_EE10hipError_tT0_T1_T2_jT3_P12ihipStream_tbPNSt15iterator_traitsISL_E10value_typeEPNSR_ISM_E10value_typeEPSN_NS1_7vsmem_tEENKUlT_SL_SM_SN_E_clIS8_S8_S9_S9_EESK_S10_SL_SM_SN_EUlS10_E_NS1_11comp_targetILNS1_3genE10ELNS1_11target_archE1201ELNS1_3gpuE5ELNS1_3repE0EEENS1_48merge_mergepath_partition_config_static_selectorELNS0_4arch9wavefront6targetE0EEEvSM_: ; @_ZN7rocprim17ROCPRIM_400000_NS6detail17trampoline_kernelINS0_14default_configENS1_38merge_sort_block_merge_config_selectorIlNS0_10empty_typeEEEZZNS1_27merge_sort_block_merge_implIS3_PlPS5_mZN2at6native12_GLOBAL__N_124unique_dim_cuda_templateIdEESt5tupleIJNSA_6TensorESF_SF_EERKSF_lbbbEUlllE_EE10hipError_tT0_T1_T2_jT3_P12ihipStream_tbPNSt15iterator_traitsISL_E10value_typeEPNSR_ISM_E10value_typeEPSN_NS1_7vsmem_tEENKUlT_SL_SM_SN_E_clIS8_S8_S9_S9_EESK_S10_SL_SM_SN_EUlS10_E_NS1_11comp_targetILNS1_3genE10ELNS1_11target_archE1201ELNS1_3gpuE5ELNS1_3repE0EEENS1_48merge_mergepath_partition_config_static_selectorELNS0_4arch9wavefront6targetE0EEEvSM_
; %bb.0:
	.section	.rodata,"a",@progbits
	.p2align	6, 0x0
	.amdhsa_kernel _ZN7rocprim17ROCPRIM_400000_NS6detail17trampoline_kernelINS0_14default_configENS1_38merge_sort_block_merge_config_selectorIlNS0_10empty_typeEEEZZNS1_27merge_sort_block_merge_implIS3_PlPS5_mZN2at6native12_GLOBAL__N_124unique_dim_cuda_templateIdEESt5tupleIJNSA_6TensorESF_SF_EERKSF_lbbbEUlllE_EE10hipError_tT0_T1_T2_jT3_P12ihipStream_tbPNSt15iterator_traitsISL_E10value_typeEPNSR_ISM_E10value_typeEPSN_NS1_7vsmem_tEENKUlT_SL_SM_SN_E_clIS8_S8_S9_S9_EESK_S10_SL_SM_SN_EUlS10_E_NS1_11comp_targetILNS1_3genE10ELNS1_11target_archE1201ELNS1_3gpuE5ELNS1_3repE0EEENS1_48merge_mergepath_partition_config_static_selectorELNS0_4arch9wavefront6targetE0EEEvSM_
		.amdhsa_group_segment_fixed_size 0
		.amdhsa_private_segment_fixed_size 0
		.amdhsa_kernarg_size 56
		.amdhsa_user_sgpr_count 2
		.amdhsa_user_sgpr_dispatch_ptr 0
		.amdhsa_user_sgpr_queue_ptr 0
		.amdhsa_user_sgpr_kernarg_segment_ptr 1
		.amdhsa_user_sgpr_dispatch_id 0
		.amdhsa_user_sgpr_kernarg_preload_length 0
		.amdhsa_user_sgpr_kernarg_preload_offset 0
		.amdhsa_user_sgpr_private_segment_size 0
		.amdhsa_wavefront_size32 1
		.amdhsa_uses_dynamic_stack 0
		.amdhsa_enable_private_segment 0
		.amdhsa_system_sgpr_workgroup_id_x 1
		.amdhsa_system_sgpr_workgroup_id_y 0
		.amdhsa_system_sgpr_workgroup_id_z 0
		.amdhsa_system_sgpr_workgroup_info 0
		.amdhsa_system_vgpr_workitem_id 0
		.amdhsa_next_free_vgpr 1
		.amdhsa_next_free_sgpr 1
		.amdhsa_named_barrier_count 0
		.amdhsa_reserve_vcc 0
		.amdhsa_float_round_mode_32 0
		.amdhsa_float_round_mode_16_64 0
		.amdhsa_float_denorm_mode_32 3
		.amdhsa_float_denorm_mode_16_64 3
		.amdhsa_fp16_overflow 0
		.amdhsa_memory_ordered 1
		.amdhsa_forward_progress 1
		.amdhsa_inst_pref_size 0
		.amdhsa_round_robin_scheduling 0
		.amdhsa_exception_fp_ieee_invalid_op 0
		.amdhsa_exception_fp_denorm_src 0
		.amdhsa_exception_fp_ieee_div_zero 0
		.amdhsa_exception_fp_ieee_overflow 0
		.amdhsa_exception_fp_ieee_underflow 0
		.amdhsa_exception_fp_ieee_inexact 0
		.amdhsa_exception_int_div_zero 0
	.end_amdhsa_kernel
	.section	.text._ZN7rocprim17ROCPRIM_400000_NS6detail17trampoline_kernelINS0_14default_configENS1_38merge_sort_block_merge_config_selectorIlNS0_10empty_typeEEEZZNS1_27merge_sort_block_merge_implIS3_PlPS5_mZN2at6native12_GLOBAL__N_124unique_dim_cuda_templateIdEESt5tupleIJNSA_6TensorESF_SF_EERKSF_lbbbEUlllE_EE10hipError_tT0_T1_T2_jT3_P12ihipStream_tbPNSt15iterator_traitsISL_E10value_typeEPNSR_ISM_E10value_typeEPSN_NS1_7vsmem_tEENKUlT_SL_SM_SN_E_clIS8_S8_S9_S9_EESK_S10_SL_SM_SN_EUlS10_E_NS1_11comp_targetILNS1_3genE10ELNS1_11target_archE1201ELNS1_3gpuE5ELNS1_3repE0EEENS1_48merge_mergepath_partition_config_static_selectorELNS0_4arch9wavefront6targetE0EEEvSM_,"axG",@progbits,_ZN7rocprim17ROCPRIM_400000_NS6detail17trampoline_kernelINS0_14default_configENS1_38merge_sort_block_merge_config_selectorIlNS0_10empty_typeEEEZZNS1_27merge_sort_block_merge_implIS3_PlPS5_mZN2at6native12_GLOBAL__N_124unique_dim_cuda_templateIdEESt5tupleIJNSA_6TensorESF_SF_EERKSF_lbbbEUlllE_EE10hipError_tT0_T1_T2_jT3_P12ihipStream_tbPNSt15iterator_traitsISL_E10value_typeEPNSR_ISM_E10value_typeEPSN_NS1_7vsmem_tEENKUlT_SL_SM_SN_E_clIS8_S8_S9_S9_EESK_S10_SL_SM_SN_EUlS10_E_NS1_11comp_targetILNS1_3genE10ELNS1_11target_archE1201ELNS1_3gpuE5ELNS1_3repE0EEENS1_48merge_mergepath_partition_config_static_selectorELNS0_4arch9wavefront6targetE0EEEvSM_,comdat
.Lfunc_end759:
	.size	_ZN7rocprim17ROCPRIM_400000_NS6detail17trampoline_kernelINS0_14default_configENS1_38merge_sort_block_merge_config_selectorIlNS0_10empty_typeEEEZZNS1_27merge_sort_block_merge_implIS3_PlPS5_mZN2at6native12_GLOBAL__N_124unique_dim_cuda_templateIdEESt5tupleIJNSA_6TensorESF_SF_EERKSF_lbbbEUlllE_EE10hipError_tT0_T1_T2_jT3_P12ihipStream_tbPNSt15iterator_traitsISL_E10value_typeEPNSR_ISM_E10value_typeEPSN_NS1_7vsmem_tEENKUlT_SL_SM_SN_E_clIS8_S8_S9_S9_EESK_S10_SL_SM_SN_EUlS10_E_NS1_11comp_targetILNS1_3genE10ELNS1_11target_archE1201ELNS1_3gpuE5ELNS1_3repE0EEENS1_48merge_mergepath_partition_config_static_selectorELNS0_4arch9wavefront6targetE0EEEvSM_, .Lfunc_end759-_ZN7rocprim17ROCPRIM_400000_NS6detail17trampoline_kernelINS0_14default_configENS1_38merge_sort_block_merge_config_selectorIlNS0_10empty_typeEEEZZNS1_27merge_sort_block_merge_implIS3_PlPS5_mZN2at6native12_GLOBAL__N_124unique_dim_cuda_templateIdEESt5tupleIJNSA_6TensorESF_SF_EERKSF_lbbbEUlllE_EE10hipError_tT0_T1_T2_jT3_P12ihipStream_tbPNSt15iterator_traitsISL_E10value_typeEPNSR_ISM_E10value_typeEPSN_NS1_7vsmem_tEENKUlT_SL_SM_SN_E_clIS8_S8_S9_S9_EESK_S10_SL_SM_SN_EUlS10_E_NS1_11comp_targetILNS1_3genE10ELNS1_11target_archE1201ELNS1_3gpuE5ELNS1_3repE0EEENS1_48merge_mergepath_partition_config_static_selectorELNS0_4arch9wavefront6targetE0EEEvSM_
                                        ; -- End function
	.set _ZN7rocprim17ROCPRIM_400000_NS6detail17trampoline_kernelINS0_14default_configENS1_38merge_sort_block_merge_config_selectorIlNS0_10empty_typeEEEZZNS1_27merge_sort_block_merge_implIS3_PlPS5_mZN2at6native12_GLOBAL__N_124unique_dim_cuda_templateIdEESt5tupleIJNSA_6TensorESF_SF_EERKSF_lbbbEUlllE_EE10hipError_tT0_T1_T2_jT3_P12ihipStream_tbPNSt15iterator_traitsISL_E10value_typeEPNSR_ISM_E10value_typeEPSN_NS1_7vsmem_tEENKUlT_SL_SM_SN_E_clIS8_S8_S9_S9_EESK_S10_SL_SM_SN_EUlS10_E_NS1_11comp_targetILNS1_3genE10ELNS1_11target_archE1201ELNS1_3gpuE5ELNS1_3repE0EEENS1_48merge_mergepath_partition_config_static_selectorELNS0_4arch9wavefront6targetE0EEEvSM_.num_vgpr, 0
	.set _ZN7rocprim17ROCPRIM_400000_NS6detail17trampoline_kernelINS0_14default_configENS1_38merge_sort_block_merge_config_selectorIlNS0_10empty_typeEEEZZNS1_27merge_sort_block_merge_implIS3_PlPS5_mZN2at6native12_GLOBAL__N_124unique_dim_cuda_templateIdEESt5tupleIJNSA_6TensorESF_SF_EERKSF_lbbbEUlllE_EE10hipError_tT0_T1_T2_jT3_P12ihipStream_tbPNSt15iterator_traitsISL_E10value_typeEPNSR_ISM_E10value_typeEPSN_NS1_7vsmem_tEENKUlT_SL_SM_SN_E_clIS8_S8_S9_S9_EESK_S10_SL_SM_SN_EUlS10_E_NS1_11comp_targetILNS1_3genE10ELNS1_11target_archE1201ELNS1_3gpuE5ELNS1_3repE0EEENS1_48merge_mergepath_partition_config_static_selectorELNS0_4arch9wavefront6targetE0EEEvSM_.num_agpr, 0
	.set _ZN7rocprim17ROCPRIM_400000_NS6detail17trampoline_kernelINS0_14default_configENS1_38merge_sort_block_merge_config_selectorIlNS0_10empty_typeEEEZZNS1_27merge_sort_block_merge_implIS3_PlPS5_mZN2at6native12_GLOBAL__N_124unique_dim_cuda_templateIdEESt5tupleIJNSA_6TensorESF_SF_EERKSF_lbbbEUlllE_EE10hipError_tT0_T1_T2_jT3_P12ihipStream_tbPNSt15iterator_traitsISL_E10value_typeEPNSR_ISM_E10value_typeEPSN_NS1_7vsmem_tEENKUlT_SL_SM_SN_E_clIS8_S8_S9_S9_EESK_S10_SL_SM_SN_EUlS10_E_NS1_11comp_targetILNS1_3genE10ELNS1_11target_archE1201ELNS1_3gpuE5ELNS1_3repE0EEENS1_48merge_mergepath_partition_config_static_selectorELNS0_4arch9wavefront6targetE0EEEvSM_.numbered_sgpr, 0
	.set _ZN7rocprim17ROCPRIM_400000_NS6detail17trampoline_kernelINS0_14default_configENS1_38merge_sort_block_merge_config_selectorIlNS0_10empty_typeEEEZZNS1_27merge_sort_block_merge_implIS3_PlPS5_mZN2at6native12_GLOBAL__N_124unique_dim_cuda_templateIdEESt5tupleIJNSA_6TensorESF_SF_EERKSF_lbbbEUlllE_EE10hipError_tT0_T1_T2_jT3_P12ihipStream_tbPNSt15iterator_traitsISL_E10value_typeEPNSR_ISM_E10value_typeEPSN_NS1_7vsmem_tEENKUlT_SL_SM_SN_E_clIS8_S8_S9_S9_EESK_S10_SL_SM_SN_EUlS10_E_NS1_11comp_targetILNS1_3genE10ELNS1_11target_archE1201ELNS1_3gpuE5ELNS1_3repE0EEENS1_48merge_mergepath_partition_config_static_selectorELNS0_4arch9wavefront6targetE0EEEvSM_.num_named_barrier, 0
	.set _ZN7rocprim17ROCPRIM_400000_NS6detail17trampoline_kernelINS0_14default_configENS1_38merge_sort_block_merge_config_selectorIlNS0_10empty_typeEEEZZNS1_27merge_sort_block_merge_implIS3_PlPS5_mZN2at6native12_GLOBAL__N_124unique_dim_cuda_templateIdEESt5tupleIJNSA_6TensorESF_SF_EERKSF_lbbbEUlllE_EE10hipError_tT0_T1_T2_jT3_P12ihipStream_tbPNSt15iterator_traitsISL_E10value_typeEPNSR_ISM_E10value_typeEPSN_NS1_7vsmem_tEENKUlT_SL_SM_SN_E_clIS8_S8_S9_S9_EESK_S10_SL_SM_SN_EUlS10_E_NS1_11comp_targetILNS1_3genE10ELNS1_11target_archE1201ELNS1_3gpuE5ELNS1_3repE0EEENS1_48merge_mergepath_partition_config_static_selectorELNS0_4arch9wavefront6targetE0EEEvSM_.private_seg_size, 0
	.set _ZN7rocprim17ROCPRIM_400000_NS6detail17trampoline_kernelINS0_14default_configENS1_38merge_sort_block_merge_config_selectorIlNS0_10empty_typeEEEZZNS1_27merge_sort_block_merge_implIS3_PlPS5_mZN2at6native12_GLOBAL__N_124unique_dim_cuda_templateIdEESt5tupleIJNSA_6TensorESF_SF_EERKSF_lbbbEUlllE_EE10hipError_tT0_T1_T2_jT3_P12ihipStream_tbPNSt15iterator_traitsISL_E10value_typeEPNSR_ISM_E10value_typeEPSN_NS1_7vsmem_tEENKUlT_SL_SM_SN_E_clIS8_S8_S9_S9_EESK_S10_SL_SM_SN_EUlS10_E_NS1_11comp_targetILNS1_3genE10ELNS1_11target_archE1201ELNS1_3gpuE5ELNS1_3repE0EEENS1_48merge_mergepath_partition_config_static_selectorELNS0_4arch9wavefront6targetE0EEEvSM_.uses_vcc, 0
	.set _ZN7rocprim17ROCPRIM_400000_NS6detail17trampoline_kernelINS0_14default_configENS1_38merge_sort_block_merge_config_selectorIlNS0_10empty_typeEEEZZNS1_27merge_sort_block_merge_implIS3_PlPS5_mZN2at6native12_GLOBAL__N_124unique_dim_cuda_templateIdEESt5tupleIJNSA_6TensorESF_SF_EERKSF_lbbbEUlllE_EE10hipError_tT0_T1_T2_jT3_P12ihipStream_tbPNSt15iterator_traitsISL_E10value_typeEPNSR_ISM_E10value_typeEPSN_NS1_7vsmem_tEENKUlT_SL_SM_SN_E_clIS8_S8_S9_S9_EESK_S10_SL_SM_SN_EUlS10_E_NS1_11comp_targetILNS1_3genE10ELNS1_11target_archE1201ELNS1_3gpuE5ELNS1_3repE0EEENS1_48merge_mergepath_partition_config_static_selectorELNS0_4arch9wavefront6targetE0EEEvSM_.uses_flat_scratch, 0
	.set _ZN7rocprim17ROCPRIM_400000_NS6detail17trampoline_kernelINS0_14default_configENS1_38merge_sort_block_merge_config_selectorIlNS0_10empty_typeEEEZZNS1_27merge_sort_block_merge_implIS3_PlPS5_mZN2at6native12_GLOBAL__N_124unique_dim_cuda_templateIdEESt5tupleIJNSA_6TensorESF_SF_EERKSF_lbbbEUlllE_EE10hipError_tT0_T1_T2_jT3_P12ihipStream_tbPNSt15iterator_traitsISL_E10value_typeEPNSR_ISM_E10value_typeEPSN_NS1_7vsmem_tEENKUlT_SL_SM_SN_E_clIS8_S8_S9_S9_EESK_S10_SL_SM_SN_EUlS10_E_NS1_11comp_targetILNS1_3genE10ELNS1_11target_archE1201ELNS1_3gpuE5ELNS1_3repE0EEENS1_48merge_mergepath_partition_config_static_selectorELNS0_4arch9wavefront6targetE0EEEvSM_.has_dyn_sized_stack, 0
	.set _ZN7rocprim17ROCPRIM_400000_NS6detail17trampoline_kernelINS0_14default_configENS1_38merge_sort_block_merge_config_selectorIlNS0_10empty_typeEEEZZNS1_27merge_sort_block_merge_implIS3_PlPS5_mZN2at6native12_GLOBAL__N_124unique_dim_cuda_templateIdEESt5tupleIJNSA_6TensorESF_SF_EERKSF_lbbbEUlllE_EE10hipError_tT0_T1_T2_jT3_P12ihipStream_tbPNSt15iterator_traitsISL_E10value_typeEPNSR_ISM_E10value_typeEPSN_NS1_7vsmem_tEENKUlT_SL_SM_SN_E_clIS8_S8_S9_S9_EESK_S10_SL_SM_SN_EUlS10_E_NS1_11comp_targetILNS1_3genE10ELNS1_11target_archE1201ELNS1_3gpuE5ELNS1_3repE0EEENS1_48merge_mergepath_partition_config_static_selectorELNS0_4arch9wavefront6targetE0EEEvSM_.has_recursion, 0
	.set _ZN7rocprim17ROCPRIM_400000_NS6detail17trampoline_kernelINS0_14default_configENS1_38merge_sort_block_merge_config_selectorIlNS0_10empty_typeEEEZZNS1_27merge_sort_block_merge_implIS3_PlPS5_mZN2at6native12_GLOBAL__N_124unique_dim_cuda_templateIdEESt5tupleIJNSA_6TensorESF_SF_EERKSF_lbbbEUlllE_EE10hipError_tT0_T1_T2_jT3_P12ihipStream_tbPNSt15iterator_traitsISL_E10value_typeEPNSR_ISM_E10value_typeEPSN_NS1_7vsmem_tEENKUlT_SL_SM_SN_E_clIS8_S8_S9_S9_EESK_S10_SL_SM_SN_EUlS10_E_NS1_11comp_targetILNS1_3genE10ELNS1_11target_archE1201ELNS1_3gpuE5ELNS1_3repE0EEENS1_48merge_mergepath_partition_config_static_selectorELNS0_4arch9wavefront6targetE0EEEvSM_.has_indirect_call, 0
	.section	.AMDGPU.csdata,"",@progbits
; Kernel info:
; codeLenInByte = 0
; TotalNumSgprs: 0
; NumVgprs: 0
; ScratchSize: 0
; MemoryBound: 0
; FloatMode: 240
; IeeeMode: 1
; LDSByteSize: 0 bytes/workgroup (compile time only)
; SGPRBlocks: 0
; VGPRBlocks: 0
; NumSGPRsForWavesPerEU: 1
; NumVGPRsForWavesPerEU: 1
; NamedBarCnt: 0
; Occupancy: 16
; WaveLimiterHint : 0
; COMPUTE_PGM_RSRC2:SCRATCH_EN: 0
; COMPUTE_PGM_RSRC2:USER_SGPR: 2
; COMPUTE_PGM_RSRC2:TRAP_HANDLER: 0
; COMPUTE_PGM_RSRC2:TGID_X_EN: 1
; COMPUTE_PGM_RSRC2:TGID_Y_EN: 0
; COMPUTE_PGM_RSRC2:TGID_Z_EN: 0
; COMPUTE_PGM_RSRC2:TIDIG_COMP_CNT: 0
	.section	.text._ZN7rocprim17ROCPRIM_400000_NS6detail17trampoline_kernelINS0_14default_configENS1_38merge_sort_block_merge_config_selectorIlNS0_10empty_typeEEEZZNS1_27merge_sort_block_merge_implIS3_PlPS5_mZN2at6native12_GLOBAL__N_124unique_dim_cuda_templateIdEESt5tupleIJNSA_6TensorESF_SF_EERKSF_lbbbEUlllE_EE10hipError_tT0_T1_T2_jT3_P12ihipStream_tbPNSt15iterator_traitsISL_E10value_typeEPNSR_ISM_E10value_typeEPSN_NS1_7vsmem_tEENKUlT_SL_SM_SN_E_clIS8_S8_S9_S9_EESK_S10_SL_SM_SN_EUlS10_E_NS1_11comp_targetILNS1_3genE5ELNS1_11target_archE942ELNS1_3gpuE9ELNS1_3repE0EEENS1_48merge_mergepath_partition_config_static_selectorELNS0_4arch9wavefront6targetE0EEEvSM_,"axG",@progbits,_ZN7rocprim17ROCPRIM_400000_NS6detail17trampoline_kernelINS0_14default_configENS1_38merge_sort_block_merge_config_selectorIlNS0_10empty_typeEEEZZNS1_27merge_sort_block_merge_implIS3_PlPS5_mZN2at6native12_GLOBAL__N_124unique_dim_cuda_templateIdEESt5tupleIJNSA_6TensorESF_SF_EERKSF_lbbbEUlllE_EE10hipError_tT0_T1_T2_jT3_P12ihipStream_tbPNSt15iterator_traitsISL_E10value_typeEPNSR_ISM_E10value_typeEPSN_NS1_7vsmem_tEENKUlT_SL_SM_SN_E_clIS8_S8_S9_S9_EESK_S10_SL_SM_SN_EUlS10_E_NS1_11comp_targetILNS1_3genE5ELNS1_11target_archE942ELNS1_3gpuE9ELNS1_3repE0EEENS1_48merge_mergepath_partition_config_static_selectorELNS0_4arch9wavefront6targetE0EEEvSM_,comdat
	.globl	_ZN7rocprim17ROCPRIM_400000_NS6detail17trampoline_kernelINS0_14default_configENS1_38merge_sort_block_merge_config_selectorIlNS0_10empty_typeEEEZZNS1_27merge_sort_block_merge_implIS3_PlPS5_mZN2at6native12_GLOBAL__N_124unique_dim_cuda_templateIdEESt5tupleIJNSA_6TensorESF_SF_EERKSF_lbbbEUlllE_EE10hipError_tT0_T1_T2_jT3_P12ihipStream_tbPNSt15iterator_traitsISL_E10value_typeEPNSR_ISM_E10value_typeEPSN_NS1_7vsmem_tEENKUlT_SL_SM_SN_E_clIS8_S8_S9_S9_EESK_S10_SL_SM_SN_EUlS10_E_NS1_11comp_targetILNS1_3genE5ELNS1_11target_archE942ELNS1_3gpuE9ELNS1_3repE0EEENS1_48merge_mergepath_partition_config_static_selectorELNS0_4arch9wavefront6targetE0EEEvSM_ ; -- Begin function _ZN7rocprim17ROCPRIM_400000_NS6detail17trampoline_kernelINS0_14default_configENS1_38merge_sort_block_merge_config_selectorIlNS0_10empty_typeEEEZZNS1_27merge_sort_block_merge_implIS3_PlPS5_mZN2at6native12_GLOBAL__N_124unique_dim_cuda_templateIdEESt5tupleIJNSA_6TensorESF_SF_EERKSF_lbbbEUlllE_EE10hipError_tT0_T1_T2_jT3_P12ihipStream_tbPNSt15iterator_traitsISL_E10value_typeEPNSR_ISM_E10value_typeEPSN_NS1_7vsmem_tEENKUlT_SL_SM_SN_E_clIS8_S8_S9_S9_EESK_S10_SL_SM_SN_EUlS10_E_NS1_11comp_targetILNS1_3genE5ELNS1_11target_archE942ELNS1_3gpuE9ELNS1_3repE0EEENS1_48merge_mergepath_partition_config_static_selectorELNS0_4arch9wavefront6targetE0EEEvSM_
	.p2align	8
	.type	_ZN7rocprim17ROCPRIM_400000_NS6detail17trampoline_kernelINS0_14default_configENS1_38merge_sort_block_merge_config_selectorIlNS0_10empty_typeEEEZZNS1_27merge_sort_block_merge_implIS3_PlPS5_mZN2at6native12_GLOBAL__N_124unique_dim_cuda_templateIdEESt5tupleIJNSA_6TensorESF_SF_EERKSF_lbbbEUlllE_EE10hipError_tT0_T1_T2_jT3_P12ihipStream_tbPNSt15iterator_traitsISL_E10value_typeEPNSR_ISM_E10value_typeEPSN_NS1_7vsmem_tEENKUlT_SL_SM_SN_E_clIS8_S8_S9_S9_EESK_S10_SL_SM_SN_EUlS10_E_NS1_11comp_targetILNS1_3genE5ELNS1_11target_archE942ELNS1_3gpuE9ELNS1_3repE0EEENS1_48merge_mergepath_partition_config_static_selectorELNS0_4arch9wavefront6targetE0EEEvSM_,@function
_ZN7rocprim17ROCPRIM_400000_NS6detail17trampoline_kernelINS0_14default_configENS1_38merge_sort_block_merge_config_selectorIlNS0_10empty_typeEEEZZNS1_27merge_sort_block_merge_implIS3_PlPS5_mZN2at6native12_GLOBAL__N_124unique_dim_cuda_templateIdEESt5tupleIJNSA_6TensorESF_SF_EERKSF_lbbbEUlllE_EE10hipError_tT0_T1_T2_jT3_P12ihipStream_tbPNSt15iterator_traitsISL_E10value_typeEPNSR_ISM_E10value_typeEPSN_NS1_7vsmem_tEENKUlT_SL_SM_SN_E_clIS8_S8_S9_S9_EESK_S10_SL_SM_SN_EUlS10_E_NS1_11comp_targetILNS1_3genE5ELNS1_11target_archE942ELNS1_3gpuE9ELNS1_3repE0EEENS1_48merge_mergepath_partition_config_static_selectorELNS0_4arch9wavefront6targetE0EEEvSM_: ; @_ZN7rocprim17ROCPRIM_400000_NS6detail17trampoline_kernelINS0_14default_configENS1_38merge_sort_block_merge_config_selectorIlNS0_10empty_typeEEEZZNS1_27merge_sort_block_merge_implIS3_PlPS5_mZN2at6native12_GLOBAL__N_124unique_dim_cuda_templateIdEESt5tupleIJNSA_6TensorESF_SF_EERKSF_lbbbEUlllE_EE10hipError_tT0_T1_T2_jT3_P12ihipStream_tbPNSt15iterator_traitsISL_E10value_typeEPNSR_ISM_E10value_typeEPSN_NS1_7vsmem_tEENKUlT_SL_SM_SN_E_clIS8_S8_S9_S9_EESK_S10_SL_SM_SN_EUlS10_E_NS1_11comp_targetILNS1_3genE5ELNS1_11target_archE942ELNS1_3gpuE9ELNS1_3repE0EEENS1_48merge_mergepath_partition_config_static_selectorELNS0_4arch9wavefront6targetE0EEEvSM_
; %bb.0:
	.section	.rodata,"a",@progbits
	.p2align	6, 0x0
	.amdhsa_kernel _ZN7rocprim17ROCPRIM_400000_NS6detail17trampoline_kernelINS0_14default_configENS1_38merge_sort_block_merge_config_selectorIlNS0_10empty_typeEEEZZNS1_27merge_sort_block_merge_implIS3_PlPS5_mZN2at6native12_GLOBAL__N_124unique_dim_cuda_templateIdEESt5tupleIJNSA_6TensorESF_SF_EERKSF_lbbbEUlllE_EE10hipError_tT0_T1_T2_jT3_P12ihipStream_tbPNSt15iterator_traitsISL_E10value_typeEPNSR_ISM_E10value_typeEPSN_NS1_7vsmem_tEENKUlT_SL_SM_SN_E_clIS8_S8_S9_S9_EESK_S10_SL_SM_SN_EUlS10_E_NS1_11comp_targetILNS1_3genE5ELNS1_11target_archE942ELNS1_3gpuE9ELNS1_3repE0EEENS1_48merge_mergepath_partition_config_static_selectorELNS0_4arch9wavefront6targetE0EEEvSM_
		.amdhsa_group_segment_fixed_size 0
		.amdhsa_private_segment_fixed_size 0
		.amdhsa_kernarg_size 56
		.amdhsa_user_sgpr_count 2
		.amdhsa_user_sgpr_dispatch_ptr 0
		.amdhsa_user_sgpr_queue_ptr 0
		.amdhsa_user_sgpr_kernarg_segment_ptr 1
		.amdhsa_user_sgpr_dispatch_id 0
		.amdhsa_user_sgpr_kernarg_preload_length 0
		.amdhsa_user_sgpr_kernarg_preload_offset 0
		.amdhsa_user_sgpr_private_segment_size 0
		.amdhsa_wavefront_size32 1
		.amdhsa_uses_dynamic_stack 0
		.amdhsa_enable_private_segment 0
		.amdhsa_system_sgpr_workgroup_id_x 1
		.amdhsa_system_sgpr_workgroup_id_y 0
		.amdhsa_system_sgpr_workgroup_id_z 0
		.amdhsa_system_sgpr_workgroup_info 0
		.amdhsa_system_vgpr_workitem_id 0
		.amdhsa_next_free_vgpr 1
		.amdhsa_next_free_sgpr 1
		.amdhsa_named_barrier_count 0
		.amdhsa_reserve_vcc 0
		.amdhsa_float_round_mode_32 0
		.amdhsa_float_round_mode_16_64 0
		.amdhsa_float_denorm_mode_32 3
		.amdhsa_float_denorm_mode_16_64 3
		.amdhsa_fp16_overflow 0
		.amdhsa_memory_ordered 1
		.amdhsa_forward_progress 1
		.amdhsa_inst_pref_size 0
		.amdhsa_round_robin_scheduling 0
		.amdhsa_exception_fp_ieee_invalid_op 0
		.amdhsa_exception_fp_denorm_src 0
		.amdhsa_exception_fp_ieee_div_zero 0
		.amdhsa_exception_fp_ieee_overflow 0
		.amdhsa_exception_fp_ieee_underflow 0
		.amdhsa_exception_fp_ieee_inexact 0
		.amdhsa_exception_int_div_zero 0
	.end_amdhsa_kernel
	.section	.text._ZN7rocprim17ROCPRIM_400000_NS6detail17trampoline_kernelINS0_14default_configENS1_38merge_sort_block_merge_config_selectorIlNS0_10empty_typeEEEZZNS1_27merge_sort_block_merge_implIS3_PlPS5_mZN2at6native12_GLOBAL__N_124unique_dim_cuda_templateIdEESt5tupleIJNSA_6TensorESF_SF_EERKSF_lbbbEUlllE_EE10hipError_tT0_T1_T2_jT3_P12ihipStream_tbPNSt15iterator_traitsISL_E10value_typeEPNSR_ISM_E10value_typeEPSN_NS1_7vsmem_tEENKUlT_SL_SM_SN_E_clIS8_S8_S9_S9_EESK_S10_SL_SM_SN_EUlS10_E_NS1_11comp_targetILNS1_3genE5ELNS1_11target_archE942ELNS1_3gpuE9ELNS1_3repE0EEENS1_48merge_mergepath_partition_config_static_selectorELNS0_4arch9wavefront6targetE0EEEvSM_,"axG",@progbits,_ZN7rocprim17ROCPRIM_400000_NS6detail17trampoline_kernelINS0_14default_configENS1_38merge_sort_block_merge_config_selectorIlNS0_10empty_typeEEEZZNS1_27merge_sort_block_merge_implIS3_PlPS5_mZN2at6native12_GLOBAL__N_124unique_dim_cuda_templateIdEESt5tupleIJNSA_6TensorESF_SF_EERKSF_lbbbEUlllE_EE10hipError_tT0_T1_T2_jT3_P12ihipStream_tbPNSt15iterator_traitsISL_E10value_typeEPNSR_ISM_E10value_typeEPSN_NS1_7vsmem_tEENKUlT_SL_SM_SN_E_clIS8_S8_S9_S9_EESK_S10_SL_SM_SN_EUlS10_E_NS1_11comp_targetILNS1_3genE5ELNS1_11target_archE942ELNS1_3gpuE9ELNS1_3repE0EEENS1_48merge_mergepath_partition_config_static_selectorELNS0_4arch9wavefront6targetE0EEEvSM_,comdat
.Lfunc_end760:
	.size	_ZN7rocprim17ROCPRIM_400000_NS6detail17trampoline_kernelINS0_14default_configENS1_38merge_sort_block_merge_config_selectorIlNS0_10empty_typeEEEZZNS1_27merge_sort_block_merge_implIS3_PlPS5_mZN2at6native12_GLOBAL__N_124unique_dim_cuda_templateIdEESt5tupleIJNSA_6TensorESF_SF_EERKSF_lbbbEUlllE_EE10hipError_tT0_T1_T2_jT3_P12ihipStream_tbPNSt15iterator_traitsISL_E10value_typeEPNSR_ISM_E10value_typeEPSN_NS1_7vsmem_tEENKUlT_SL_SM_SN_E_clIS8_S8_S9_S9_EESK_S10_SL_SM_SN_EUlS10_E_NS1_11comp_targetILNS1_3genE5ELNS1_11target_archE942ELNS1_3gpuE9ELNS1_3repE0EEENS1_48merge_mergepath_partition_config_static_selectorELNS0_4arch9wavefront6targetE0EEEvSM_, .Lfunc_end760-_ZN7rocprim17ROCPRIM_400000_NS6detail17trampoline_kernelINS0_14default_configENS1_38merge_sort_block_merge_config_selectorIlNS0_10empty_typeEEEZZNS1_27merge_sort_block_merge_implIS3_PlPS5_mZN2at6native12_GLOBAL__N_124unique_dim_cuda_templateIdEESt5tupleIJNSA_6TensorESF_SF_EERKSF_lbbbEUlllE_EE10hipError_tT0_T1_T2_jT3_P12ihipStream_tbPNSt15iterator_traitsISL_E10value_typeEPNSR_ISM_E10value_typeEPSN_NS1_7vsmem_tEENKUlT_SL_SM_SN_E_clIS8_S8_S9_S9_EESK_S10_SL_SM_SN_EUlS10_E_NS1_11comp_targetILNS1_3genE5ELNS1_11target_archE942ELNS1_3gpuE9ELNS1_3repE0EEENS1_48merge_mergepath_partition_config_static_selectorELNS0_4arch9wavefront6targetE0EEEvSM_
                                        ; -- End function
	.set _ZN7rocprim17ROCPRIM_400000_NS6detail17trampoline_kernelINS0_14default_configENS1_38merge_sort_block_merge_config_selectorIlNS0_10empty_typeEEEZZNS1_27merge_sort_block_merge_implIS3_PlPS5_mZN2at6native12_GLOBAL__N_124unique_dim_cuda_templateIdEESt5tupleIJNSA_6TensorESF_SF_EERKSF_lbbbEUlllE_EE10hipError_tT0_T1_T2_jT3_P12ihipStream_tbPNSt15iterator_traitsISL_E10value_typeEPNSR_ISM_E10value_typeEPSN_NS1_7vsmem_tEENKUlT_SL_SM_SN_E_clIS8_S8_S9_S9_EESK_S10_SL_SM_SN_EUlS10_E_NS1_11comp_targetILNS1_3genE5ELNS1_11target_archE942ELNS1_3gpuE9ELNS1_3repE0EEENS1_48merge_mergepath_partition_config_static_selectorELNS0_4arch9wavefront6targetE0EEEvSM_.num_vgpr, 0
	.set _ZN7rocprim17ROCPRIM_400000_NS6detail17trampoline_kernelINS0_14default_configENS1_38merge_sort_block_merge_config_selectorIlNS0_10empty_typeEEEZZNS1_27merge_sort_block_merge_implIS3_PlPS5_mZN2at6native12_GLOBAL__N_124unique_dim_cuda_templateIdEESt5tupleIJNSA_6TensorESF_SF_EERKSF_lbbbEUlllE_EE10hipError_tT0_T1_T2_jT3_P12ihipStream_tbPNSt15iterator_traitsISL_E10value_typeEPNSR_ISM_E10value_typeEPSN_NS1_7vsmem_tEENKUlT_SL_SM_SN_E_clIS8_S8_S9_S9_EESK_S10_SL_SM_SN_EUlS10_E_NS1_11comp_targetILNS1_3genE5ELNS1_11target_archE942ELNS1_3gpuE9ELNS1_3repE0EEENS1_48merge_mergepath_partition_config_static_selectorELNS0_4arch9wavefront6targetE0EEEvSM_.num_agpr, 0
	.set _ZN7rocprim17ROCPRIM_400000_NS6detail17trampoline_kernelINS0_14default_configENS1_38merge_sort_block_merge_config_selectorIlNS0_10empty_typeEEEZZNS1_27merge_sort_block_merge_implIS3_PlPS5_mZN2at6native12_GLOBAL__N_124unique_dim_cuda_templateIdEESt5tupleIJNSA_6TensorESF_SF_EERKSF_lbbbEUlllE_EE10hipError_tT0_T1_T2_jT3_P12ihipStream_tbPNSt15iterator_traitsISL_E10value_typeEPNSR_ISM_E10value_typeEPSN_NS1_7vsmem_tEENKUlT_SL_SM_SN_E_clIS8_S8_S9_S9_EESK_S10_SL_SM_SN_EUlS10_E_NS1_11comp_targetILNS1_3genE5ELNS1_11target_archE942ELNS1_3gpuE9ELNS1_3repE0EEENS1_48merge_mergepath_partition_config_static_selectorELNS0_4arch9wavefront6targetE0EEEvSM_.numbered_sgpr, 0
	.set _ZN7rocprim17ROCPRIM_400000_NS6detail17trampoline_kernelINS0_14default_configENS1_38merge_sort_block_merge_config_selectorIlNS0_10empty_typeEEEZZNS1_27merge_sort_block_merge_implIS3_PlPS5_mZN2at6native12_GLOBAL__N_124unique_dim_cuda_templateIdEESt5tupleIJNSA_6TensorESF_SF_EERKSF_lbbbEUlllE_EE10hipError_tT0_T1_T2_jT3_P12ihipStream_tbPNSt15iterator_traitsISL_E10value_typeEPNSR_ISM_E10value_typeEPSN_NS1_7vsmem_tEENKUlT_SL_SM_SN_E_clIS8_S8_S9_S9_EESK_S10_SL_SM_SN_EUlS10_E_NS1_11comp_targetILNS1_3genE5ELNS1_11target_archE942ELNS1_3gpuE9ELNS1_3repE0EEENS1_48merge_mergepath_partition_config_static_selectorELNS0_4arch9wavefront6targetE0EEEvSM_.num_named_barrier, 0
	.set _ZN7rocprim17ROCPRIM_400000_NS6detail17trampoline_kernelINS0_14default_configENS1_38merge_sort_block_merge_config_selectorIlNS0_10empty_typeEEEZZNS1_27merge_sort_block_merge_implIS3_PlPS5_mZN2at6native12_GLOBAL__N_124unique_dim_cuda_templateIdEESt5tupleIJNSA_6TensorESF_SF_EERKSF_lbbbEUlllE_EE10hipError_tT0_T1_T2_jT3_P12ihipStream_tbPNSt15iterator_traitsISL_E10value_typeEPNSR_ISM_E10value_typeEPSN_NS1_7vsmem_tEENKUlT_SL_SM_SN_E_clIS8_S8_S9_S9_EESK_S10_SL_SM_SN_EUlS10_E_NS1_11comp_targetILNS1_3genE5ELNS1_11target_archE942ELNS1_3gpuE9ELNS1_3repE0EEENS1_48merge_mergepath_partition_config_static_selectorELNS0_4arch9wavefront6targetE0EEEvSM_.private_seg_size, 0
	.set _ZN7rocprim17ROCPRIM_400000_NS6detail17trampoline_kernelINS0_14default_configENS1_38merge_sort_block_merge_config_selectorIlNS0_10empty_typeEEEZZNS1_27merge_sort_block_merge_implIS3_PlPS5_mZN2at6native12_GLOBAL__N_124unique_dim_cuda_templateIdEESt5tupleIJNSA_6TensorESF_SF_EERKSF_lbbbEUlllE_EE10hipError_tT0_T1_T2_jT3_P12ihipStream_tbPNSt15iterator_traitsISL_E10value_typeEPNSR_ISM_E10value_typeEPSN_NS1_7vsmem_tEENKUlT_SL_SM_SN_E_clIS8_S8_S9_S9_EESK_S10_SL_SM_SN_EUlS10_E_NS1_11comp_targetILNS1_3genE5ELNS1_11target_archE942ELNS1_3gpuE9ELNS1_3repE0EEENS1_48merge_mergepath_partition_config_static_selectorELNS0_4arch9wavefront6targetE0EEEvSM_.uses_vcc, 0
	.set _ZN7rocprim17ROCPRIM_400000_NS6detail17trampoline_kernelINS0_14default_configENS1_38merge_sort_block_merge_config_selectorIlNS0_10empty_typeEEEZZNS1_27merge_sort_block_merge_implIS3_PlPS5_mZN2at6native12_GLOBAL__N_124unique_dim_cuda_templateIdEESt5tupleIJNSA_6TensorESF_SF_EERKSF_lbbbEUlllE_EE10hipError_tT0_T1_T2_jT3_P12ihipStream_tbPNSt15iterator_traitsISL_E10value_typeEPNSR_ISM_E10value_typeEPSN_NS1_7vsmem_tEENKUlT_SL_SM_SN_E_clIS8_S8_S9_S9_EESK_S10_SL_SM_SN_EUlS10_E_NS1_11comp_targetILNS1_3genE5ELNS1_11target_archE942ELNS1_3gpuE9ELNS1_3repE0EEENS1_48merge_mergepath_partition_config_static_selectorELNS0_4arch9wavefront6targetE0EEEvSM_.uses_flat_scratch, 0
	.set _ZN7rocprim17ROCPRIM_400000_NS6detail17trampoline_kernelINS0_14default_configENS1_38merge_sort_block_merge_config_selectorIlNS0_10empty_typeEEEZZNS1_27merge_sort_block_merge_implIS3_PlPS5_mZN2at6native12_GLOBAL__N_124unique_dim_cuda_templateIdEESt5tupleIJNSA_6TensorESF_SF_EERKSF_lbbbEUlllE_EE10hipError_tT0_T1_T2_jT3_P12ihipStream_tbPNSt15iterator_traitsISL_E10value_typeEPNSR_ISM_E10value_typeEPSN_NS1_7vsmem_tEENKUlT_SL_SM_SN_E_clIS8_S8_S9_S9_EESK_S10_SL_SM_SN_EUlS10_E_NS1_11comp_targetILNS1_3genE5ELNS1_11target_archE942ELNS1_3gpuE9ELNS1_3repE0EEENS1_48merge_mergepath_partition_config_static_selectorELNS0_4arch9wavefront6targetE0EEEvSM_.has_dyn_sized_stack, 0
	.set _ZN7rocprim17ROCPRIM_400000_NS6detail17trampoline_kernelINS0_14default_configENS1_38merge_sort_block_merge_config_selectorIlNS0_10empty_typeEEEZZNS1_27merge_sort_block_merge_implIS3_PlPS5_mZN2at6native12_GLOBAL__N_124unique_dim_cuda_templateIdEESt5tupleIJNSA_6TensorESF_SF_EERKSF_lbbbEUlllE_EE10hipError_tT0_T1_T2_jT3_P12ihipStream_tbPNSt15iterator_traitsISL_E10value_typeEPNSR_ISM_E10value_typeEPSN_NS1_7vsmem_tEENKUlT_SL_SM_SN_E_clIS8_S8_S9_S9_EESK_S10_SL_SM_SN_EUlS10_E_NS1_11comp_targetILNS1_3genE5ELNS1_11target_archE942ELNS1_3gpuE9ELNS1_3repE0EEENS1_48merge_mergepath_partition_config_static_selectorELNS0_4arch9wavefront6targetE0EEEvSM_.has_recursion, 0
	.set _ZN7rocprim17ROCPRIM_400000_NS6detail17trampoline_kernelINS0_14default_configENS1_38merge_sort_block_merge_config_selectorIlNS0_10empty_typeEEEZZNS1_27merge_sort_block_merge_implIS3_PlPS5_mZN2at6native12_GLOBAL__N_124unique_dim_cuda_templateIdEESt5tupleIJNSA_6TensorESF_SF_EERKSF_lbbbEUlllE_EE10hipError_tT0_T1_T2_jT3_P12ihipStream_tbPNSt15iterator_traitsISL_E10value_typeEPNSR_ISM_E10value_typeEPSN_NS1_7vsmem_tEENKUlT_SL_SM_SN_E_clIS8_S8_S9_S9_EESK_S10_SL_SM_SN_EUlS10_E_NS1_11comp_targetILNS1_3genE5ELNS1_11target_archE942ELNS1_3gpuE9ELNS1_3repE0EEENS1_48merge_mergepath_partition_config_static_selectorELNS0_4arch9wavefront6targetE0EEEvSM_.has_indirect_call, 0
	.section	.AMDGPU.csdata,"",@progbits
; Kernel info:
; codeLenInByte = 0
; TotalNumSgprs: 0
; NumVgprs: 0
; ScratchSize: 0
; MemoryBound: 0
; FloatMode: 240
; IeeeMode: 1
; LDSByteSize: 0 bytes/workgroup (compile time only)
; SGPRBlocks: 0
; VGPRBlocks: 0
; NumSGPRsForWavesPerEU: 1
; NumVGPRsForWavesPerEU: 1
; NamedBarCnt: 0
; Occupancy: 16
; WaveLimiterHint : 0
; COMPUTE_PGM_RSRC2:SCRATCH_EN: 0
; COMPUTE_PGM_RSRC2:USER_SGPR: 2
; COMPUTE_PGM_RSRC2:TRAP_HANDLER: 0
; COMPUTE_PGM_RSRC2:TGID_X_EN: 1
; COMPUTE_PGM_RSRC2:TGID_Y_EN: 0
; COMPUTE_PGM_RSRC2:TGID_Z_EN: 0
; COMPUTE_PGM_RSRC2:TIDIG_COMP_CNT: 0
	.section	.text._ZN7rocprim17ROCPRIM_400000_NS6detail17trampoline_kernelINS0_14default_configENS1_38merge_sort_block_merge_config_selectorIlNS0_10empty_typeEEEZZNS1_27merge_sort_block_merge_implIS3_PlPS5_mZN2at6native12_GLOBAL__N_124unique_dim_cuda_templateIdEESt5tupleIJNSA_6TensorESF_SF_EERKSF_lbbbEUlllE_EE10hipError_tT0_T1_T2_jT3_P12ihipStream_tbPNSt15iterator_traitsISL_E10value_typeEPNSR_ISM_E10value_typeEPSN_NS1_7vsmem_tEENKUlT_SL_SM_SN_E_clIS8_S8_S9_S9_EESK_S10_SL_SM_SN_EUlS10_E_NS1_11comp_targetILNS1_3genE4ELNS1_11target_archE910ELNS1_3gpuE8ELNS1_3repE0EEENS1_48merge_mergepath_partition_config_static_selectorELNS0_4arch9wavefront6targetE0EEEvSM_,"axG",@progbits,_ZN7rocprim17ROCPRIM_400000_NS6detail17trampoline_kernelINS0_14default_configENS1_38merge_sort_block_merge_config_selectorIlNS0_10empty_typeEEEZZNS1_27merge_sort_block_merge_implIS3_PlPS5_mZN2at6native12_GLOBAL__N_124unique_dim_cuda_templateIdEESt5tupleIJNSA_6TensorESF_SF_EERKSF_lbbbEUlllE_EE10hipError_tT0_T1_T2_jT3_P12ihipStream_tbPNSt15iterator_traitsISL_E10value_typeEPNSR_ISM_E10value_typeEPSN_NS1_7vsmem_tEENKUlT_SL_SM_SN_E_clIS8_S8_S9_S9_EESK_S10_SL_SM_SN_EUlS10_E_NS1_11comp_targetILNS1_3genE4ELNS1_11target_archE910ELNS1_3gpuE8ELNS1_3repE0EEENS1_48merge_mergepath_partition_config_static_selectorELNS0_4arch9wavefront6targetE0EEEvSM_,comdat
	.globl	_ZN7rocprim17ROCPRIM_400000_NS6detail17trampoline_kernelINS0_14default_configENS1_38merge_sort_block_merge_config_selectorIlNS0_10empty_typeEEEZZNS1_27merge_sort_block_merge_implIS3_PlPS5_mZN2at6native12_GLOBAL__N_124unique_dim_cuda_templateIdEESt5tupleIJNSA_6TensorESF_SF_EERKSF_lbbbEUlllE_EE10hipError_tT0_T1_T2_jT3_P12ihipStream_tbPNSt15iterator_traitsISL_E10value_typeEPNSR_ISM_E10value_typeEPSN_NS1_7vsmem_tEENKUlT_SL_SM_SN_E_clIS8_S8_S9_S9_EESK_S10_SL_SM_SN_EUlS10_E_NS1_11comp_targetILNS1_3genE4ELNS1_11target_archE910ELNS1_3gpuE8ELNS1_3repE0EEENS1_48merge_mergepath_partition_config_static_selectorELNS0_4arch9wavefront6targetE0EEEvSM_ ; -- Begin function _ZN7rocprim17ROCPRIM_400000_NS6detail17trampoline_kernelINS0_14default_configENS1_38merge_sort_block_merge_config_selectorIlNS0_10empty_typeEEEZZNS1_27merge_sort_block_merge_implIS3_PlPS5_mZN2at6native12_GLOBAL__N_124unique_dim_cuda_templateIdEESt5tupleIJNSA_6TensorESF_SF_EERKSF_lbbbEUlllE_EE10hipError_tT0_T1_T2_jT3_P12ihipStream_tbPNSt15iterator_traitsISL_E10value_typeEPNSR_ISM_E10value_typeEPSN_NS1_7vsmem_tEENKUlT_SL_SM_SN_E_clIS8_S8_S9_S9_EESK_S10_SL_SM_SN_EUlS10_E_NS1_11comp_targetILNS1_3genE4ELNS1_11target_archE910ELNS1_3gpuE8ELNS1_3repE0EEENS1_48merge_mergepath_partition_config_static_selectorELNS0_4arch9wavefront6targetE0EEEvSM_
	.p2align	8
	.type	_ZN7rocprim17ROCPRIM_400000_NS6detail17trampoline_kernelINS0_14default_configENS1_38merge_sort_block_merge_config_selectorIlNS0_10empty_typeEEEZZNS1_27merge_sort_block_merge_implIS3_PlPS5_mZN2at6native12_GLOBAL__N_124unique_dim_cuda_templateIdEESt5tupleIJNSA_6TensorESF_SF_EERKSF_lbbbEUlllE_EE10hipError_tT0_T1_T2_jT3_P12ihipStream_tbPNSt15iterator_traitsISL_E10value_typeEPNSR_ISM_E10value_typeEPSN_NS1_7vsmem_tEENKUlT_SL_SM_SN_E_clIS8_S8_S9_S9_EESK_S10_SL_SM_SN_EUlS10_E_NS1_11comp_targetILNS1_3genE4ELNS1_11target_archE910ELNS1_3gpuE8ELNS1_3repE0EEENS1_48merge_mergepath_partition_config_static_selectorELNS0_4arch9wavefront6targetE0EEEvSM_,@function
_ZN7rocprim17ROCPRIM_400000_NS6detail17trampoline_kernelINS0_14default_configENS1_38merge_sort_block_merge_config_selectorIlNS0_10empty_typeEEEZZNS1_27merge_sort_block_merge_implIS3_PlPS5_mZN2at6native12_GLOBAL__N_124unique_dim_cuda_templateIdEESt5tupleIJNSA_6TensorESF_SF_EERKSF_lbbbEUlllE_EE10hipError_tT0_T1_T2_jT3_P12ihipStream_tbPNSt15iterator_traitsISL_E10value_typeEPNSR_ISM_E10value_typeEPSN_NS1_7vsmem_tEENKUlT_SL_SM_SN_E_clIS8_S8_S9_S9_EESK_S10_SL_SM_SN_EUlS10_E_NS1_11comp_targetILNS1_3genE4ELNS1_11target_archE910ELNS1_3gpuE8ELNS1_3repE0EEENS1_48merge_mergepath_partition_config_static_selectorELNS0_4arch9wavefront6targetE0EEEvSM_: ; @_ZN7rocprim17ROCPRIM_400000_NS6detail17trampoline_kernelINS0_14default_configENS1_38merge_sort_block_merge_config_selectorIlNS0_10empty_typeEEEZZNS1_27merge_sort_block_merge_implIS3_PlPS5_mZN2at6native12_GLOBAL__N_124unique_dim_cuda_templateIdEESt5tupleIJNSA_6TensorESF_SF_EERKSF_lbbbEUlllE_EE10hipError_tT0_T1_T2_jT3_P12ihipStream_tbPNSt15iterator_traitsISL_E10value_typeEPNSR_ISM_E10value_typeEPSN_NS1_7vsmem_tEENKUlT_SL_SM_SN_E_clIS8_S8_S9_S9_EESK_S10_SL_SM_SN_EUlS10_E_NS1_11comp_targetILNS1_3genE4ELNS1_11target_archE910ELNS1_3gpuE8ELNS1_3repE0EEENS1_48merge_mergepath_partition_config_static_selectorELNS0_4arch9wavefront6targetE0EEEvSM_
; %bb.0:
	.section	.rodata,"a",@progbits
	.p2align	6, 0x0
	.amdhsa_kernel _ZN7rocprim17ROCPRIM_400000_NS6detail17trampoline_kernelINS0_14default_configENS1_38merge_sort_block_merge_config_selectorIlNS0_10empty_typeEEEZZNS1_27merge_sort_block_merge_implIS3_PlPS5_mZN2at6native12_GLOBAL__N_124unique_dim_cuda_templateIdEESt5tupleIJNSA_6TensorESF_SF_EERKSF_lbbbEUlllE_EE10hipError_tT0_T1_T2_jT3_P12ihipStream_tbPNSt15iterator_traitsISL_E10value_typeEPNSR_ISM_E10value_typeEPSN_NS1_7vsmem_tEENKUlT_SL_SM_SN_E_clIS8_S8_S9_S9_EESK_S10_SL_SM_SN_EUlS10_E_NS1_11comp_targetILNS1_3genE4ELNS1_11target_archE910ELNS1_3gpuE8ELNS1_3repE0EEENS1_48merge_mergepath_partition_config_static_selectorELNS0_4arch9wavefront6targetE0EEEvSM_
		.amdhsa_group_segment_fixed_size 0
		.amdhsa_private_segment_fixed_size 0
		.amdhsa_kernarg_size 56
		.amdhsa_user_sgpr_count 2
		.amdhsa_user_sgpr_dispatch_ptr 0
		.amdhsa_user_sgpr_queue_ptr 0
		.amdhsa_user_sgpr_kernarg_segment_ptr 1
		.amdhsa_user_sgpr_dispatch_id 0
		.amdhsa_user_sgpr_kernarg_preload_length 0
		.amdhsa_user_sgpr_kernarg_preload_offset 0
		.amdhsa_user_sgpr_private_segment_size 0
		.amdhsa_wavefront_size32 1
		.amdhsa_uses_dynamic_stack 0
		.amdhsa_enable_private_segment 0
		.amdhsa_system_sgpr_workgroup_id_x 1
		.amdhsa_system_sgpr_workgroup_id_y 0
		.amdhsa_system_sgpr_workgroup_id_z 0
		.amdhsa_system_sgpr_workgroup_info 0
		.amdhsa_system_vgpr_workitem_id 0
		.amdhsa_next_free_vgpr 1
		.amdhsa_next_free_sgpr 1
		.amdhsa_named_barrier_count 0
		.amdhsa_reserve_vcc 0
		.amdhsa_float_round_mode_32 0
		.amdhsa_float_round_mode_16_64 0
		.amdhsa_float_denorm_mode_32 3
		.amdhsa_float_denorm_mode_16_64 3
		.amdhsa_fp16_overflow 0
		.amdhsa_memory_ordered 1
		.amdhsa_forward_progress 1
		.amdhsa_inst_pref_size 0
		.amdhsa_round_robin_scheduling 0
		.amdhsa_exception_fp_ieee_invalid_op 0
		.amdhsa_exception_fp_denorm_src 0
		.amdhsa_exception_fp_ieee_div_zero 0
		.amdhsa_exception_fp_ieee_overflow 0
		.amdhsa_exception_fp_ieee_underflow 0
		.amdhsa_exception_fp_ieee_inexact 0
		.amdhsa_exception_int_div_zero 0
	.end_amdhsa_kernel
	.section	.text._ZN7rocprim17ROCPRIM_400000_NS6detail17trampoline_kernelINS0_14default_configENS1_38merge_sort_block_merge_config_selectorIlNS0_10empty_typeEEEZZNS1_27merge_sort_block_merge_implIS3_PlPS5_mZN2at6native12_GLOBAL__N_124unique_dim_cuda_templateIdEESt5tupleIJNSA_6TensorESF_SF_EERKSF_lbbbEUlllE_EE10hipError_tT0_T1_T2_jT3_P12ihipStream_tbPNSt15iterator_traitsISL_E10value_typeEPNSR_ISM_E10value_typeEPSN_NS1_7vsmem_tEENKUlT_SL_SM_SN_E_clIS8_S8_S9_S9_EESK_S10_SL_SM_SN_EUlS10_E_NS1_11comp_targetILNS1_3genE4ELNS1_11target_archE910ELNS1_3gpuE8ELNS1_3repE0EEENS1_48merge_mergepath_partition_config_static_selectorELNS0_4arch9wavefront6targetE0EEEvSM_,"axG",@progbits,_ZN7rocprim17ROCPRIM_400000_NS6detail17trampoline_kernelINS0_14default_configENS1_38merge_sort_block_merge_config_selectorIlNS0_10empty_typeEEEZZNS1_27merge_sort_block_merge_implIS3_PlPS5_mZN2at6native12_GLOBAL__N_124unique_dim_cuda_templateIdEESt5tupleIJNSA_6TensorESF_SF_EERKSF_lbbbEUlllE_EE10hipError_tT0_T1_T2_jT3_P12ihipStream_tbPNSt15iterator_traitsISL_E10value_typeEPNSR_ISM_E10value_typeEPSN_NS1_7vsmem_tEENKUlT_SL_SM_SN_E_clIS8_S8_S9_S9_EESK_S10_SL_SM_SN_EUlS10_E_NS1_11comp_targetILNS1_3genE4ELNS1_11target_archE910ELNS1_3gpuE8ELNS1_3repE0EEENS1_48merge_mergepath_partition_config_static_selectorELNS0_4arch9wavefront6targetE0EEEvSM_,comdat
.Lfunc_end761:
	.size	_ZN7rocprim17ROCPRIM_400000_NS6detail17trampoline_kernelINS0_14default_configENS1_38merge_sort_block_merge_config_selectorIlNS0_10empty_typeEEEZZNS1_27merge_sort_block_merge_implIS3_PlPS5_mZN2at6native12_GLOBAL__N_124unique_dim_cuda_templateIdEESt5tupleIJNSA_6TensorESF_SF_EERKSF_lbbbEUlllE_EE10hipError_tT0_T1_T2_jT3_P12ihipStream_tbPNSt15iterator_traitsISL_E10value_typeEPNSR_ISM_E10value_typeEPSN_NS1_7vsmem_tEENKUlT_SL_SM_SN_E_clIS8_S8_S9_S9_EESK_S10_SL_SM_SN_EUlS10_E_NS1_11comp_targetILNS1_3genE4ELNS1_11target_archE910ELNS1_3gpuE8ELNS1_3repE0EEENS1_48merge_mergepath_partition_config_static_selectorELNS0_4arch9wavefront6targetE0EEEvSM_, .Lfunc_end761-_ZN7rocprim17ROCPRIM_400000_NS6detail17trampoline_kernelINS0_14default_configENS1_38merge_sort_block_merge_config_selectorIlNS0_10empty_typeEEEZZNS1_27merge_sort_block_merge_implIS3_PlPS5_mZN2at6native12_GLOBAL__N_124unique_dim_cuda_templateIdEESt5tupleIJNSA_6TensorESF_SF_EERKSF_lbbbEUlllE_EE10hipError_tT0_T1_T2_jT3_P12ihipStream_tbPNSt15iterator_traitsISL_E10value_typeEPNSR_ISM_E10value_typeEPSN_NS1_7vsmem_tEENKUlT_SL_SM_SN_E_clIS8_S8_S9_S9_EESK_S10_SL_SM_SN_EUlS10_E_NS1_11comp_targetILNS1_3genE4ELNS1_11target_archE910ELNS1_3gpuE8ELNS1_3repE0EEENS1_48merge_mergepath_partition_config_static_selectorELNS0_4arch9wavefront6targetE0EEEvSM_
                                        ; -- End function
	.set _ZN7rocprim17ROCPRIM_400000_NS6detail17trampoline_kernelINS0_14default_configENS1_38merge_sort_block_merge_config_selectorIlNS0_10empty_typeEEEZZNS1_27merge_sort_block_merge_implIS3_PlPS5_mZN2at6native12_GLOBAL__N_124unique_dim_cuda_templateIdEESt5tupleIJNSA_6TensorESF_SF_EERKSF_lbbbEUlllE_EE10hipError_tT0_T1_T2_jT3_P12ihipStream_tbPNSt15iterator_traitsISL_E10value_typeEPNSR_ISM_E10value_typeEPSN_NS1_7vsmem_tEENKUlT_SL_SM_SN_E_clIS8_S8_S9_S9_EESK_S10_SL_SM_SN_EUlS10_E_NS1_11comp_targetILNS1_3genE4ELNS1_11target_archE910ELNS1_3gpuE8ELNS1_3repE0EEENS1_48merge_mergepath_partition_config_static_selectorELNS0_4arch9wavefront6targetE0EEEvSM_.num_vgpr, 0
	.set _ZN7rocprim17ROCPRIM_400000_NS6detail17trampoline_kernelINS0_14default_configENS1_38merge_sort_block_merge_config_selectorIlNS0_10empty_typeEEEZZNS1_27merge_sort_block_merge_implIS3_PlPS5_mZN2at6native12_GLOBAL__N_124unique_dim_cuda_templateIdEESt5tupleIJNSA_6TensorESF_SF_EERKSF_lbbbEUlllE_EE10hipError_tT0_T1_T2_jT3_P12ihipStream_tbPNSt15iterator_traitsISL_E10value_typeEPNSR_ISM_E10value_typeEPSN_NS1_7vsmem_tEENKUlT_SL_SM_SN_E_clIS8_S8_S9_S9_EESK_S10_SL_SM_SN_EUlS10_E_NS1_11comp_targetILNS1_3genE4ELNS1_11target_archE910ELNS1_3gpuE8ELNS1_3repE0EEENS1_48merge_mergepath_partition_config_static_selectorELNS0_4arch9wavefront6targetE0EEEvSM_.num_agpr, 0
	.set _ZN7rocprim17ROCPRIM_400000_NS6detail17trampoline_kernelINS0_14default_configENS1_38merge_sort_block_merge_config_selectorIlNS0_10empty_typeEEEZZNS1_27merge_sort_block_merge_implIS3_PlPS5_mZN2at6native12_GLOBAL__N_124unique_dim_cuda_templateIdEESt5tupleIJNSA_6TensorESF_SF_EERKSF_lbbbEUlllE_EE10hipError_tT0_T1_T2_jT3_P12ihipStream_tbPNSt15iterator_traitsISL_E10value_typeEPNSR_ISM_E10value_typeEPSN_NS1_7vsmem_tEENKUlT_SL_SM_SN_E_clIS8_S8_S9_S9_EESK_S10_SL_SM_SN_EUlS10_E_NS1_11comp_targetILNS1_3genE4ELNS1_11target_archE910ELNS1_3gpuE8ELNS1_3repE0EEENS1_48merge_mergepath_partition_config_static_selectorELNS0_4arch9wavefront6targetE0EEEvSM_.numbered_sgpr, 0
	.set _ZN7rocprim17ROCPRIM_400000_NS6detail17trampoline_kernelINS0_14default_configENS1_38merge_sort_block_merge_config_selectorIlNS0_10empty_typeEEEZZNS1_27merge_sort_block_merge_implIS3_PlPS5_mZN2at6native12_GLOBAL__N_124unique_dim_cuda_templateIdEESt5tupleIJNSA_6TensorESF_SF_EERKSF_lbbbEUlllE_EE10hipError_tT0_T1_T2_jT3_P12ihipStream_tbPNSt15iterator_traitsISL_E10value_typeEPNSR_ISM_E10value_typeEPSN_NS1_7vsmem_tEENKUlT_SL_SM_SN_E_clIS8_S8_S9_S9_EESK_S10_SL_SM_SN_EUlS10_E_NS1_11comp_targetILNS1_3genE4ELNS1_11target_archE910ELNS1_3gpuE8ELNS1_3repE0EEENS1_48merge_mergepath_partition_config_static_selectorELNS0_4arch9wavefront6targetE0EEEvSM_.num_named_barrier, 0
	.set _ZN7rocprim17ROCPRIM_400000_NS6detail17trampoline_kernelINS0_14default_configENS1_38merge_sort_block_merge_config_selectorIlNS0_10empty_typeEEEZZNS1_27merge_sort_block_merge_implIS3_PlPS5_mZN2at6native12_GLOBAL__N_124unique_dim_cuda_templateIdEESt5tupleIJNSA_6TensorESF_SF_EERKSF_lbbbEUlllE_EE10hipError_tT0_T1_T2_jT3_P12ihipStream_tbPNSt15iterator_traitsISL_E10value_typeEPNSR_ISM_E10value_typeEPSN_NS1_7vsmem_tEENKUlT_SL_SM_SN_E_clIS8_S8_S9_S9_EESK_S10_SL_SM_SN_EUlS10_E_NS1_11comp_targetILNS1_3genE4ELNS1_11target_archE910ELNS1_3gpuE8ELNS1_3repE0EEENS1_48merge_mergepath_partition_config_static_selectorELNS0_4arch9wavefront6targetE0EEEvSM_.private_seg_size, 0
	.set _ZN7rocprim17ROCPRIM_400000_NS6detail17trampoline_kernelINS0_14default_configENS1_38merge_sort_block_merge_config_selectorIlNS0_10empty_typeEEEZZNS1_27merge_sort_block_merge_implIS3_PlPS5_mZN2at6native12_GLOBAL__N_124unique_dim_cuda_templateIdEESt5tupleIJNSA_6TensorESF_SF_EERKSF_lbbbEUlllE_EE10hipError_tT0_T1_T2_jT3_P12ihipStream_tbPNSt15iterator_traitsISL_E10value_typeEPNSR_ISM_E10value_typeEPSN_NS1_7vsmem_tEENKUlT_SL_SM_SN_E_clIS8_S8_S9_S9_EESK_S10_SL_SM_SN_EUlS10_E_NS1_11comp_targetILNS1_3genE4ELNS1_11target_archE910ELNS1_3gpuE8ELNS1_3repE0EEENS1_48merge_mergepath_partition_config_static_selectorELNS0_4arch9wavefront6targetE0EEEvSM_.uses_vcc, 0
	.set _ZN7rocprim17ROCPRIM_400000_NS6detail17trampoline_kernelINS0_14default_configENS1_38merge_sort_block_merge_config_selectorIlNS0_10empty_typeEEEZZNS1_27merge_sort_block_merge_implIS3_PlPS5_mZN2at6native12_GLOBAL__N_124unique_dim_cuda_templateIdEESt5tupleIJNSA_6TensorESF_SF_EERKSF_lbbbEUlllE_EE10hipError_tT0_T1_T2_jT3_P12ihipStream_tbPNSt15iterator_traitsISL_E10value_typeEPNSR_ISM_E10value_typeEPSN_NS1_7vsmem_tEENKUlT_SL_SM_SN_E_clIS8_S8_S9_S9_EESK_S10_SL_SM_SN_EUlS10_E_NS1_11comp_targetILNS1_3genE4ELNS1_11target_archE910ELNS1_3gpuE8ELNS1_3repE0EEENS1_48merge_mergepath_partition_config_static_selectorELNS0_4arch9wavefront6targetE0EEEvSM_.uses_flat_scratch, 0
	.set _ZN7rocprim17ROCPRIM_400000_NS6detail17trampoline_kernelINS0_14default_configENS1_38merge_sort_block_merge_config_selectorIlNS0_10empty_typeEEEZZNS1_27merge_sort_block_merge_implIS3_PlPS5_mZN2at6native12_GLOBAL__N_124unique_dim_cuda_templateIdEESt5tupleIJNSA_6TensorESF_SF_EERKSF_lbbbEUlllE_EE10hipError_tT0_T1_T2_jT3_P12ihipStream_tbPNSt15iterator_traitsISL_E10value_typeEPNSR_ISM_E10value_typeEPSN_NS1_7vsmem_tEENKUlT_SL_SM_SN_E_clIS8_S8_S9_S9_EESK_S10_SL_SM_SN_EUlS10_E_NS1_11comp_targetILNS1_3genE4ELNS1_11target_archE910ELNS1_3gpuE8ELNS1_3repE0EEENS1_48merge_mergepath_partition_config_static_selectorELNS0_4arch9wavefront6targetE0EEEvSM_.has_dyn_sized_stack, 0
	.set _ZN7rocprim17ROCPRIM_400000_NS6detail17trampoline_kernelINS0_14default_configENS1_38merge_sort_block_merge_config_selectorIlNS0_10empty_typeEEEZZNS1_27merge_sort_block_merge_implIS3_PlPS5_mZN2at6native12_GLOBAL__N_124unique_dim_cuda_templateIdEESt5tupleIJNSA_6TensorESF_SF_EERKSF_lbbbEUlllE_EE10hipError_tT0_T1_T2_jT3_P12ihipStream_tbPNSt15iterator_traitsISL_E10value_typeEPNSR_ISM_E10value_typeEPSN_NS1_7vsmem_tEENKUlT_SL_SM_SN_E_clIS8_S8_S9_S9_EESK_S10_SL_SM_SN_EUlS10_E_NS1_11comp_targetILNS1_3genE4ELNS1_11target_archE910ELNS1_3gpuE8ELNS1_3repE0EEENS1_48merge_mergepath_partition_config_static_selectorELNS0_4arch9wavefront6targetE0EEEvSM_.has_recursion, 0
	.set _ZN7rocprim17ROCPRIM_400000_NS6detail17trampoline_kernelINS0_14default_configENS1_38merge_sort_block_merge_config_selectorIlNS0_10empty_typeEEEZZNS1_27merge_sort_block_merge_implIS3_PlPS5_mZN2at6native12_GLOBAL__N_124unique_dim_cuda_templateIdEESt5tupleIJNSA_6TensorESF_SF_EERKSF_lbbbEUlllE_EE10hipError_tT0_T1_T2_jT3_P12ihipStream_tbPNSt15iterator_traitsISL_E10value_typeEPNSR_ISM_E10value_typeEPSN_NS1_7vsmem_tEENKUlT_SL_SM_SN_E_clIS8_S8_S9_S9_EESK_S10_SL_SM_SN_EUlS10_E_NS1_11comp_targetILNS1_3genE4ELNS1_11target_archE910ELNS1_3gpuE8ELNS1_3repE0EEENS1_48merge_mergepath_partition_config_static_selectorELNS0_4arch9wavefront6targetE0EEEvSM_.has_indirect_call, 0
	.section	.AMDGPU.csdata,"",@progbits
; Kernel info:
; codeLenInByte = 0
; TotalNumSgprs: 0
; NumVgprs: 0
; ScratchSize: 0
; MemoryBound: 0
; FloatMode: 240
; IeeeMode: 1
; LDSByteSize: 0 bytes/workgroup (compile time only)
; SGPRBlocks: 0
; VGPRBlocks: 0
; NumSGPRsForWavesPerEU: 1
; NumVGPRsForWavesPerEU: 1
; NamedBarCnt: 0
; Occupancy: 16
; WaveLimiterHint : 0
; COMPUTE_PGM_RSRC2:SCRATCH_EN: 0
; COMPUTE_PGM_RSRC2:USER_SGPR: 2
; COMPUTE_PGM_RSRC2:TRAP_HANDLER: 0
; COMPUTE_PGM_RSRC2:TGID_X_EN: 1
; COMPUTE_PGM_RSRC2:TGID_Y_EN: 0
; COMPUTE_PGM_RSRC2:TGID_Z_EN: 0
; COMPUTE_PGM_RSRC2:TIDIG_COMP_CNT: 0
	.section	.text._ZN7rocprim17ROCPRIM_400000_NS6detail17trampoline_kernelINS0_14default_configENS1_38merge_sort_block_merge_config_selectorIlNS0_10empty_typeEEEZZNS1_27merge_sort_block_merge_implIS3_PlPS5_mZN2at6native12_GLOBAL__N_124unique_dim_cuda_templateIdEESt5tupleIJNSA_6TensorESF_SF_EERKSF_lbbbEUlllE_EE10hipError_tT0_T1_T2_jT3_P12ihipStream_tbPNSt15iterator_traitsISL_E10value_typeEPNSR_ISM_E10value_typeEPSN_NS1_7vsmem_tEENKUlT_SL_SM_SN_E_clIS8_S8_S9_S9_EESK_S10_SL_SM_SN_EUlS10_E_NS1_11comp_targetILNS1_3genE3ELNS1_11target_archE908ELNS1_3gpuE7ELNS1_3repE0EEENS1_48merge_mergepath_partition_config_static_selectorELNS0_4arch9wavefront6targetE0EEEvSM_,"axG",@progbits,_ZN7rocprim17ROCPRIM_400000_NS6detail17trampoline_kernelINS0_14default_configENS1_38merge_sort_block_merge_config_selectorIlNS0_10empty_typeEEEZZNS1_27merge_sort_block_merge_implIS3_PlPS5_mZN2at6native12_GLOBAL__N_124unique_dim_cuda_templateIdEESt5tupleIJNSA_6TensorESF_SF_EERKSF_lbbbEUlllE_EE10hipError_tT0_T1_T2_jT3_P12ihipStream_tbPNSt15iterator_traitsISL_E10value_typeEPNSR_ISM_E10value_typeEPSN_NS1_7vsmem_tEENKUlT_SL_SM_SN_E_clIS8_S8_S9_S9_EESK_S10_SL_SM_SN_EUlS10_E_NS1_11comp_targetILNS1_3genE3ELNS1_11target_archE908ELNS1_3gpuE7ELNS1_3repE0EEENS1_48merge_mergepath_partition_config_static_selectorELNS0_4arch9wavefront6targetE0EEEvSM_,comdat
	.globl	_ZN7rocprim17ROCPRIM_400000_NS6detail17trampoline_kernelINS0_14default_configENS1_38merge_sort_block_merge_config_selectorIlNS0_10empty_typeEEEZZNS1_27merge_sort_block_merge_implIS3_PlPS5_mZN2at6native12_GLOBAL__N_124unique_dim_cuda_templateIdEESt5tupleIJNSA_6TensorESF_SF_EERKSF_lbbbEUlllE_EE10hipError_tT0_T1_T2_jT3_P12ihipStream_tbPNSt15iterator_traitsISL_E10value_typeEPNSR_ISM_E10value_typeEPSN_NS1_7vsmem_tEENKUlT_SL_SM_SN_E_clIS8_S8_S9_S9_EESK_S10_SL_SM_SN_EUlS10_E_NS1_11comp_targetILNS1_3genE3ELNS1_11target_archE908ELNS1_3gpuE7ELNS1_3repE0EEENS1_48merge_mergepath_partition_config_static_selectorELNS0_4arch9wavefront6targetE0EEEvSM_ ; -- Begin function _ZN7rocprim17ROCPRIM_400000_NS6detail17trampoline_kernelINS0_14default_configENS1_38merge_sort_block_merge_config_selectorIlNS0_10empty_typeEEEZZNS1_27merge_sort_block_merge_implIS3_PlPS5_mZN2at6native12_GLOBAL__N_124unique_dim_cuda_templateIdEESt5tupleIJNSA_6TensorESF_SF_EERKSF_lbbbEUlllE_EE10hipError_tT0_T1_T2_jT3_P12ihipStream_tbPNSt15iterator_traitsISL_E10value_typeEPNSR_ISM_E10value_typeEPSN_NS1_7vsmem_tEENKUlT_SL_SM_SN_E_clIS8_S8_S9_S9_EESK_S10_SL_SM_SN_EUlS10_E_NS1_11comp_targetILNS1_3genE3ELNS1_11target_archE908ELNS1_3gpuE7ELNS1_3repE0EEENS1_48merge_mergepath_partition_config_static_selectorELNS0_4arch9wavefront6targetE0EEEvSM_
	.p2align	8
	.type	_ZN7rocprim17ROCPRIM_400000_NS6detail17trampoline_kernelINS0_14default_configENS1_38merge_sort_block_merge_config_selectorIlNS0_10empty_typeEEEZZNS1_27merge_sort_block_merge_implIS3_PlPS5_mZN2at6native12_GLOBAL__N_124unique_dim_cuda_templateIdEESt5tupleIJNSA_6TensorESF_SF_EERKSF_lbbbEUlllE_EE10hipError_tT0_T1_T2_jT3_P12ihipStream_tbPNSt15iterator_traitsISL_E10value_typeEPNSR_ISM_E10value_typeEPSN_NS1_7vsmem_tEENKUlT_SL_SM_SN_E_clIS8_S8_S9_S9_EESK_S10_SL_SM_SN_EUlS10_E_NS1_11comp_targetILNS1_3genE3ELNS1_11target_archE908ELNS1_3gpuE7ELNS1_3repE0EEENS1_48merge_mergepath_partition_config_static_selectorELNS0_4arch9wavefront6targetE0EEEvSM_,@function
_ZN7rocprim17ROCPRIM_400000_NS6detail17trampoline_kernelINS0_14default_configENS1_38merge_sort_block_merge_config_selectorIlNS0_10empty_typeEEEZZNS1_27merge_sort_block_merge_implIS3_PlPS5_mZN2at6native12_GLOBAL__N_124unique_dim_cuda_templateIdEESt5tupleIJNSA_6TensorESF_SF_EERKSF_lbbbEUlllE_EE10hipError_tT0_T1_T2_jT3_P12ihipStream_tbPNSt15iterator_traitsISL_E10value_typeEPNSR_ISM_E10value_typeEPSN_NS1_7vsmem_tEENKUlT_SL_SM_SN_E_clIS8_S8_S9_S9_EESK_S10_SL_SM_SN_EUlS10_E_NS1_11comp_targetILNS1_3genE3ELNS1_11target_archE908ELNS1_3gpuE7ELNS1_3repE0EEENS1_48merge_mergepath_partition_config_static_selectorELNS0_4arch9wavefront6targetE0EEEvSM_: ; @_ZN7rocprim17ROCPRIM_400000_NS6detail17trampoline_kernelINS0_14default_configENS1_38merge_sort_block_merge_config_selectorIlNS0_10empty_typeEEEZZNS1_27merge_sort_block_merge_implIS3_PlPS5_mZN2at6native12_GLOBAL__N_124unique_dim_cuda_templateIdEESt5tupleIJNSA_6TensorESF_SF_EERKSF_lbbbEUlllE_EE10hipError_tT0_T1_T2_jT3_P12ihipStream_tbPNSt15iterator_traitsISL_E10value_typeEPNSR_ISM_E10value_typeEPSN_NS1_7vsmem_tEENKUlT_SL_SM_SN_E_clIS8_S8_S9_S9_EESK_S10_SL_SM_SN_EUlS10_E_NS1_11comp_targetILNS1_3genE3ELNS1_11target_archE908ELNS1_3gpuE7ELNS1_3repE0EEENS1_48merge_mergepath_partition_config_static_selectorELNS0_4arch9wavefront6targetE0EEEvSM_
; %bb.0:
	.section	.rodata,"a",@progbits
	.p2align	6, 0x0
	.amdhsa_kernel _ZN7rocprim17ROCPRIM_400000_NS6detail17trampoline_kernelINS0_14default_configENS1_38merge_sort_block_merge_config_selectorIlNS0_10empty_typeEEEZZNS1_27merge_sort_block_merge_implIS3_PlPS5_mZN2at6native12_GLOBAL__N_124unique_dim_cuda_templateIdEESt5tupleIJNSA_6TensorESF_SF_EERKSF_lbbbEUlllE_EE10hipError_tT0_T1_T2_jT3_P12ihipStream_tbPNSt15iterator_traitsISL_E10value_typeEPNSR_ISM_E10value_typeEPSN_NS1_7vsmem_tEENKUlT_SL_SM_SN_E_clIS8_S8_S9_S9_EESK_S10_SL_SM_SN_EUlS10_E_NS1_11comp_targetILNS1_3genE3ELNS1_11target_archE908ELNS1_3gpuE7ELNS1_3repE0EEENS1_48merge_mergepath_partition_config_static_selectorELNS0_4arch9wavefront6targetE0EEEvSM_
		.amdhsa_group_segment_fixed_size 0
		.amdhsa_private_segment_fixed_size 0
		.amdhsa_kernarg_size 56
		.amdhsa_user_sgpr_count 2
		.amdhsa_user_sgpr_dispatch_ptr 0
		.amdhsa_user_sgpr_queue_ptr 0
		.amdhsa_user_sgpr_kernarg_segment_ptr 1
		.amdhsa_user_sgpr_dispatch_id 0
		.amdhsa_user_sgpr_kernarg_preload_length 0
		.amdhsa_user_sgpr_kernarg_preload_offset 0
		.amdhsa_user_sgpr_private_segment_size 0
		.amdhsa_wavefront_size32 1
		.amdhsa_uses_dynamic_stack 0
		.amdhsa_enable_private_segment 0
		.amdhsa_system_sgpr_workgroup_id_x 1
		.amdhsa_system_sgpr_workgroup_id_y 0
		.amdhsa_system_sgpr_workgroup_id_z 0
		.amdhsa_system_sgpr_workgroup_info 0
		.amdhsa_system_vgpr_workitem_id 0
		.amdhsa_next_free_vgpr 1
		.amdhsa_next_free_sgpr 1
		.amdhsa_named_barrier_count 0
		.amdhsa_reserve_vcc 0
		.amdhsa_float_round_mode_32 0
		.amdhsa_float_round_mode_16_64 0
		.amdhsa_float_denorm_mode_32 3
		.amdhsa_float_denorm_mode_16_64 3
		.amdhsa_fp16_overflow 0
		.amdhsa_memory_ordered 1
		.amdhsa_forward_progress 1
		.amdhsa_inst_pref_size 0
		.amdhsa_round_robin_scheduling 0
		.amdhsa_exception_fp_ieee_invalid_op 0
		.amdhsa_exception_fp_denorm_src 0
		.amdhsa_exception_fp_ieee_div_zero 0
		.amdhsa_exception_fp_ieee_overflow 0
		.amdhsa_exception_fp_ieee_underflow 0
		.amdhsa_exception_fp_ieee_inexact 0
		.amdhsa_exception_int_div_zero 0
	.end_amdhsa_kernel
	.section	.text._ZN7rocprim17ROCPRIM_400000_NS6detail17trampoline_kernelINS0_14default_configENS1_38merge_sort_block_merge_config_selectorIlNS0_10empty_typeEEEZZNS1_27merge_sort_block_merge_implIS3_PlPS5_mZN2at6native12_GLOBAL__N_124unique_dim_cuda_templateIdEESt5tupleIJNSA_6TensorESF_SF_EERKSF_lbbbEUlllE_EE10hipError_tT0_T1_T2_jT3_P12ihipStream_tbPNSt15iterator_traitsISL_E10value_typeEPNSR_ISM_E10value_typeEPSN_NS1_7vsmem_tEENKUlT_SL_SM_SN_E_clIS8_S8_S9_S9_EESK_S10_SL_SM_SN_EUlS10_E_NS1_11comp_targetILNS1_3genE3ELNS1_11target_archE908ELNS1_3gpuE7ELNS1_3repE0EEENS1_48merge_mergepath_partition_config_static_selectorELNS0_4arch9wavefront6targetE0EEEvSM_,"axG",@progbits,_ZN7rocprim17ROCPRIM_400000_NS6detail17trampoline_kernelINS0_14default_configENS1_38merge_sort_block_merge_config_selectorIlNS0_10empty_typeEEEZZNS1_27merge_sort_block_merge_implIS3_PlPS5_mZN2at6native12_GLOBAL__N_124unique_dim_cuda_templateIdEESt5tupleIJNSA_6TensorESF_SF_EERKSF_lbbbEUlllE_EE10hipError_tT0_T1_T2_jT3_P12ihipStream_tbPNSt15iterator_traitsISL_E10value_typeEPNSR_ISM_E10value_typeEPSN_NS1_7vsmem_tEENKUlT_SL_SM_SN_E_clIS8_S8_S9_S9_EESK_S10_SL_SM_SN_EUlS10_E_NS1_11comp_targetILNS1_3genE3ELNS1_11target_archE908ELNS1_3gpuE7ELNS1_3repE0EEENS1_48merge_mergepath_partition_config_static_selectorELNS0_4arch9wavefront6targetE0EEEvSM_,comdat
.Lfunc_end762:
	.size	_ZN7rocprim17ROCPRIM_400000_NS6detail17trampoline_kernelINS0_14default_configENS1_38merge_sort_block_merge_config_selectorIlNS0_10empty_typeEEEZZNS1_27merge_sort_block_merge_implIS3_PlPS5_mZN2at6native12_GLOBAL__N_124unique_dim_cuda_templateIdEESt5tupleIJNSA_6TensorESF_SF_EERKSF_lbbbEUlllE_EE10hipError_tT0_T1_T2_jT3_P12ihipStream_tbPNSt15iterator_traitsISL_E10value_typeEPNSR_ISM_E10value_typeEPSN_NS1_7vsmem_tEENKUlT_SL_SM_SN_E_clIS8_S8_S9_S9_EESK_S10_SL_SM_SN_EUlS10_E_NS1_11comp_targetILNS1_3genE3ELNS1_11target_archE908ELNS1_3gpuE7ELNS1_3repE0EEENS1_48merge_mergepath_partition_config_static_selectorELNS0_4arch9wavefront6targetE0EEEvSM_, .Lfunc_end762-_ZN7rocprim17ROCPRIM_400000_NS6detail17trampoline_kernelINS0_14default_configENS1_38merge_sort_block_merge_config_selectorIlNS0_10empty_typeEEEZZNS1_27merge_sort_block_merge_implIS3_PlPS5_mZN2at6native12_GLOBAL__N_124unique_dim_cuda_templateIdEESt5tupleIJNSA_6TensorESF_SF_EERKSF_lbbbEUlllE_EE10hipError_tT0_T1_T2_jT3_P12ihipStream_tbPNSt15iterator_traitsISL_E10value_typeEPNSR_ISM_E10value_typeEPSN_NS1_7vsmem_tEENKUlT_SL_SM_SN_E_clIS8_S8_S9_S9_EESK_S10_SL_SM_SN_EUlS10_E_NS1_11comp_targetILNS1_3genE3ELNS1_11target_archE908ELNS1_3gpuE7ELNS1_3repE0EEENS1_48merge_mergepath_partition_config_static_selectorELNS0_4arch9wavefront6targetE0EEEvSM_
                                        ; -- End function
	.set _ZN7rocprim17ROCPRIM_400000_NS6detail17trampoline_kernelINS0_14default_configENS1_38merge_sort_block_merge_config_selectorIlNS0_10empty_typeEEEZZNS1_27merge_sort_block_merge_implIS3_PlPS5_mZN2at6native12_GLOBAL__N_124unique_dim_cuda_templateIdEESt5tupleIJNSA_6TensorESF_SF_EERKSF_lbbbEUlllE_EE10hipError_tT0_T1_T2_jT3_P12ihipStream_tbPNSt15iterator_traitsISL_E10value_typeEPNSR_ISM_E10value_typeEPSN_NS1_7vsmem_tEENKUlT_SL_SM_SN_E_clIS8_S8_S9_S9_EESK_S10_SL_SM_SN_EUlS10_E_NS1_11comp_targetILNS1_3genE3ELNS1_11target_archE908ELNS1_3gpuE7ELNS1_3repE0EEENS1_48merge_mergepath_partition_config_static_selectorELNS0_4arch9wavefront6targetE0EEEvSM_.num_vgpr, 0
	.set _ZN7rocprim17ROCPRIM_400000_NS6detail17trampoline_kernelINS0_14default_configENS1_38merge_sort_block_merge_config_selectorIlNS0_10empty_typeEEEZZNS1_27merge_sort_block_merge_implIS3_PlPS5_mZN2at6native12_GLOBAL__N_124unique_dim_cuda_templateIdEESt5tupleIJNSA_6TensorESF_SF_EERKSF_lbbbEUlllE_EE10hipError_tT0_T1_T2_jT3_P12ihipStream_tbPNSt15iterator_traitsISL_E10value_typeEPNSR_ISM_E10value_typeEPSN_NS1_7vsmem_tEENKUlT_SL_SM_SN_E_clIS8_S8_S9_S9_EESK_S10_SL_SM_SN_EUlS10_E_NS1_11comp_targetILNS1_3genE3ELNS1_11target_archE908ELNS1_3gpuE7ELNS1_3repE0EEENS1_48merge_mergepath_partition_config_static_selectorELNS0_4arch9wavefront6targetE0EEEvSM_.num_agpr, 0
	.set _ZN7rocprim17ROCPRIM_400000_NS6detail17trampoline_kernelINS0_14default_configENS1_38merge_sort_block_merge_config_selectorIlNS0_10empty_typeEEEZZNS1_27merge_sort_block_merge_implIS3_PlPS5_mZN2at6native12_GLOBAL__N_124unique_dim_cuda_templateIdEESt5tupleIJNSA_6TensorESF_SF_EERKSF_lbbbEUlllE_EE10hipError_tT0_T1_T2_jT3_P12ihipStream_tbPNSt15iterator_traitsISL_E10value_typeEPNSR_ISM_E10value_typeEPSN_NS1_7vsmem_tEENKUlT_SL_SM_SN_E_clIS8_S8_S9_S9_EESK_S10_SL_SM_SN_EUlS10_E_NS1_11comp_targetILNS1_3genE3ELNS1_11target_archE908ELNS1_3gpuE7ELNS1_3repE0EEENS1_48merge_mergepath_partition_config_static_selectorELNS0_4arch9wavefront6targetE0EEEvSM_.numbered_sgpr, 0
	.set _ZN7rocprim17ROCPRIM_400000_NS6detail17trampoline_kernelINS0_14default_configENS1_38merge_sort_block_merge_config_selectorIlNS0_10empty_typeEEEZZNS1_27merge_sort_block_merge_implIS3_PlPS5_mZN2at6native12_GLOBAL__N_124unique_dim_cuda_templateIdEESt5tupleIJNSA_6TensorESF_SF_EERKSF_lbbbEUlllE_EE10hipError_tT0_T1_T2_jT3_P12ihipStream_tbPNSt15iterator_traitsISL_E10value_typeEPNSR_ISM_E10value_typeEPSN_NS1_7vsmem_tEENKUlT_SL_SM_SN_E_clIS8_S8_S9_S9_EESK_S10_SL_SM_SN_EUlS10_E_NS1_11comp_targetILNS1_3genE3ELNS1_11target_archE908ELNS1_3gpuE7ELNS1_3repE0EEENS1_48merge_mergepath_partition_config_static_selectorELNS0_4arch9wavefront6targetE0EEEvSM_.num_named_barrier, 0
	.set _ZN7rocprim17ROCPRIM_400000_NS6detail17trampoline_kernelINS0_14default_configENS1_38merge_sort_block_merge_config_selectorIlNS0_10empty_typeEEEZZNS1_27merge_sort_block_merge_implIS3_PlPS5_mZN2at6native12_GLOBAL__N_124unique_dim_cuda_templateIdEESt5tupleIJNSA_6TensorESF_SF_EERKSF_lbbbEUlllE_EE10hipError_tT0_T1_T2_jT3_P12ihipStream_tbPNSt15iterator_traitsISL_E10value_typeEPNSR_ISM_E10value_typeEPSN_NS1_7vsmem_tEENKUlT_SL_SM_SN_E_clIS8_S8_S9_S9_EESK_S10_SL_SM_SN_EUlS10_E_NS1_11comp_targetILNS1_3genE3ELNS1_11target_archE908ELNS1_3gpuE7ELNS1_3repE0EEENS1_48merge_mergepath_partition_config_static_selectorELNS0_4arch9wavefront6targetE0EEEvSM_.private_seg_size, 0
	.set _ZN7rocprim17ROCPRIM_400000_NS6detail17trampoline_kernelINS0_14default_configENS1_38merge_sort_block_merge_config_selectorIlNS0_10empty_typeEEEZZNS1_27merge_sort_block_merge_implIS3_PlPS5_mZN2at6native12_GLOBAL__N_124unique_dim_cuda_templateIdEESt5tupleIJNSA_6TensorESF_SF_EERKSF_lbbbEUlllE_EE10hipError_tT0_T1_T2_jT3_P12ihipStream_tbPNSt15iterator_traitsISL_E10value_typeEPNSR_ISM_E10value_typeEPSN_NS1_7vsmem_tEENKUlT_SL_SM_SN_E_clIS8_S8_S9_S9_EESK_S10_SL_SM_SN_EUlS10_E_NS1_11comp_targetILNS1_3genE3ELNS1_11target_archE908ELNS1_3gpuE7ELNS1_3repE0EEENS1_48merge_mergepath_partition_config_static_selectorELNS0_4arch9wavefront6targetE0EEEvSM_.uses_vcc, 0
	.set _ZN7rocprim17ROCPRIM_400000_NS6detail17trampoline_kernelINS0_14default_configENS1_38merge_sort_block_merge_config_selectorIlNS0_10empty_typeEEEZZNS1_27merge_sort_block_merge_implIS3_PlPS5_mZN2at6native12_GLOBAL__N_124unique_dim_cuda_templateIdEESt5tupleIJNSA_6TensorESF_SF_EERKSF_lbbbEUlllE_EE10hipError_tT0_T1_T2_jT3_P12ihipStream_tbPNSt15iterator_traitsISL_E10value_typeEPNSR_ISM_E10value_typeEPSN_NS1_7vsmem_tEENKUlT_SL_SM_SN_E_clIS8_S8_S9_S9_EESK_S10_SL_SM_SN_EUlS10_E_NS1_11comp_targetILNS1_3genE3ELNS1_11target_archE908ELNS1_3gpuE7ELNS1_3repE0EEENS1_48merge_mergepath_partition_config_static_selectorELNS0_4arch9wavefront6targetE0EEEvSM_.uses_flat_scratch, 0
	.set _ZN7rocprim17ROCPRIM_400000_NS6detail17trampoline_kernelINS0_14default_configENS1_38merge_sort_block_merge_config_selectorIlNS0_10empty_typeEEEZZNS1_27merge_sort_block_merge_implIS3_PlPS5_mZN2at6native12_GLOBAL__N_124unique_dim_cuda_templateIdEESt5tupleIJNSA_6TensorESF_SF_EERKSF_lbbbEUlllE_EE10hipError_tT0_T1_T2_jT3_P12ihipStream_tbPNSt15iterator_traitsISL_E10value_typeEPNSR_ISM_E10value_typeEPSN_NS1_7vsmem_tEENKUlT_SL_SM_SN_E_clIS8_S8_S9_S9_EESK_S10_SL_SM_SN_EUlS10_E_NS1_11comp_targetILNS1_3genE3ELNS1_11target_archE908ELNS1_3gpuE7ELNS1_3repE0EEENS1_48merge_mergepath_partition_config_static_selectorELNS0_4arch9wavefront6targetE0EEEvSM_.has_dyn_sized_stack, 0
	.set _ZN7rocprim17ROCPRIM_400000_NS6detail17trampoline_kernelINS0_14default_configENS1_38merge_sort_block_merge_config_selectorIlNS0_10empty_typeEEEZZNS1_27merge_sort_block_merge_implIS3_PlPS5_mZN2at6native12_GLOBAL__N_124unique_dim_cuda_templateIdEESt5tupleIJNSA_6TensorESF_SF_EERKSF_lbbbEUlllE_EE10hipError_tT0_T1_T2_jT3_P12ihipStream_tbPNSt15iterator_traitsISL_E10value_typeEPNSR_ISM_E10value_typeEPSN_NS1_7vsmem_tEENKUlT_SL_SM_SN_E_clIS8_S8_S9_S9_EESK_S10_SL_SM_SN_EUlS10_E_NS1_11comp_targetILNS1_3genE3ELNS1_11target_archE908ELNS1_3gpuE7ELNS1_3repE0EEENS1_48merge_mergepath_partition_config_static_selectorELNS0_4arch9wavefront6targetE0EEEvSM_.has_recursion, 0
	.set _ZN7rocprim17ROCPRIM_400000_NS6detail17trampoline_kernelINS0_14default_configENS1_38merge_sort_block_merge_config_selectorIlNS0_10empty_typeEEEZZNS1_27merge_sort_block_merge_implIS3_PlPS5_mZN2at6native12_GLOBAL__N_124unique_dim_cuda_templateIdEESt5tupleIJNSA_6TensorESF_SF_EERKSF_lbbbEUlllE_EE10hipError_tT0_T1_T2_jT3_P12ihipStream_tbPNSt15iterator_traitsISL_E10value_typeEPNSR_ISM_E10value_typeEPSN_NS1_7vsmem_tEENKUlT_SL_SM_SN_E_clIS8_S8_S9_S9_EESK_S10_SL_SM_SN_EUlS10_E_NS1_11comp_targetILNS1_3genE3ELNS1_11target_archE908ELNS1_3gpuE7ELNS1_3repE0EEENS1_48merge_mergepath_partition_config_static_selectorELNS0_4arch9wavefront6targetE0EEEvSM_.has_indirect_call, 0
	.section	.AMDGPU.csdata,"",@progbits
; Kernel info:
; codeLenInByte = 0
; TotalNumSgprs: 0
; NumVgprs: 0
; ScratchSize: 0
; MemoryBound: 0
; FloatMode: 240
; IeeeMode: 1
; LDSByteSize: 0 bytes/workgroup (compile time only)
; SGPRBlocks: 0
; VGPRBlocks: 0
; NumSGPRsForWavesPerEU: 1
; NumVGPRsForWavesPerEU: 1
; NamedBarCnt: 0
; Occupancy: 16
; WaveLimiterHint : 0
; COMPUTE_PGM_RSRC2:SCRATCH_EN: 0
; COMPUTE_PGM_RSRC2:USER_SGPR: 2
; COMPUTE_PGM_RSRC2:TRAP_HANDLER: 0
; COMPUTE_PGM_RSRC2:TGID_X_EN: 1
; COMPUTE_PGM_RSRC2:TGID_Y_EN: 0
; COMPUTE_PGM_RSRC2:TGID_Z_EN: 0
; COMPUTE_PGM_RSRC2:TIDIG_COMP_CNT: 0
	.section	.text._ZN7rocprim17ROCPRIM_400000_NS6detail17trampoline_kernelINS0_14default_configENS1_38merge_sort_block_merge_config_selectorIlNS0_10empty_typeEEEZZNS1_27merge_sort_block_merge_implIS3_PlPS5_mZN2at6native12_GLOBAL__N_124unique_dim_cuda_templateIdEESt5tupleIJNSA_6TensorESF_SF_EERKSF_lbbbEUlllE_EE10hipError_tT0_T1_T2_jT3_P12ihipStream_tbPNSt15iterator_traitsISL_E10value_typeEPNSR_ISM_E10value_typeEPSN_NS1_7vsmem_tEENKUlT_SL_SM_SN_E_clIS8_S8_S9_S9_EESK_S10_SL_SM_SN_EUlS10_E_NS1_11comp_targetILNS1_3genE2ELNS1_11target_archE906ELNS1_3gpuE6ELNS1_3repE0EEENS1_48merge_mergepath_partition_config_static_selectorELNS0_4arch9wavefront6targetE0EEEvSM_,"axG",@progbits,_ZN7rocprim17ROCPRIM_400000_NS6detail17trampoline_kernelINS0_14default_configENS1_38merge_sort_block_merge_config_selectorIlNS0_10empty_typeEEEZZNS1_27merge_sort_block_merge_implIS3_PlPS5_mZN2at6native12_GLOBAL__N_124unique_dim_cuda_templateIdEESt5tupleIJNSA_6TensorESF_SF_EERKSF_lbbbEUlllE_EE10hipError_tT0_T1_T2_jT3_P12ihipStream_tbPNSt15iterator_traitsISL_E10value_typeEPNSR_ISM_E10value_typeEPSN_NS1_7vsmem_tEENKUlT_SL_SM_SN_E_clIS8_S8_S9_S9_EESK_S10_SL_SM_SN_EUlS10_E_NS1_11comp_targetILNS1_3genE2ELNS1_11target_archE906ELNS1_3gpuE6ELNS1_3repE0EEENS1_48merge_mergepath_partition_config_static_selectorELNS0_4arch9wavefront6targetE0EEEvSM_,comdat
	.globl	_ZN7rocprim17ROCPRIM_400000_NS6detail17trampoline_kernelINS0_14default_configENS1_38merge_sort_block_merge_config_selectorIlNS0_10empty_typeEEEZZNS1_27merge_sort_block_merge_implIS3_PlPS5_mZN2at6native12_GLOBAL__N_124unique_dim_cuda_templateIdEESt5tupleIJNSA_6TensorESF_SF_EERKSF_lbbbEUlllE_EE10hipError_tT0_T1_T2_jT3_P12ihipStream_tbPNSt15iterator_traitsISL_E10value_typeEPNSR_ISM_E10value_typeEPSN_NS1_7vsmem_tEENKUlT_SL_SM_SN_E_clIS8_S8_S9_S9_EESK_S10_SL_SM_SN_EUlS10_E_NS1_11comp_targetILNS1_3genE2ELNS1_11target_archE906ELNS1_3gpuE6ELNS1_3repE0EEENS1_48merge_mergepath_partition_config_static_selectorELNS0_4arch9wavefront6targetE0EEEvSM_ ; -- Begin function _ZN7rocprim17ROCPRIM_400000_NS6detail17trampoline_kernelINS0_14default_configENS1_38merge_sort_block_merge_config_selectorIlNS0_10empty_typeEEEZZNS1_27merge_sort_block_merge_implIS3_PlPS5_mZN2at6native12_GLOBAL__N_124unique_dim_cuda_templateIdEESt5tupleIJNSA_6TensorESF_SF_EERKSF_lbbbEUlllE_EE10hipError_tT0_T1_T2_jT3_P12ihipStream_tbPNSt15iterator_traitsISL_E10value_typeEPNSR_ISM_E10value_typeEPSN_NS1_7vsmem_tEENKUlT_SL_SM_SN_E_clIS8_S8_S9_S9_EESK_S10_SL_SM_SN_EUlS10_E_NS1_11comp_targetILNS1_3genE2ELNS1_11target_archE906ELNS1_3gpuE6ELNS1_3repE0EEENS1_48merge_mergepath_partition_config_static_selectorELNS0_4arch9wavefront6targetE0EEEvSM_
	.p2align	8
	.type	_ZN7rocprim17ROCPRIM_400000_NS6detail17trampoline_kernelINS0_14default_configENS1_38merge_sort_block_merge_config_selectorIlNS0_10empty_typeEEEZZNS1_27merge_sort_block_merge_implIS3_PlPS5_mZN2at6native12_GLOBAL__N_124unique_dim_cuda_templateIdEESt5tupleIJNSA_6TensorESF_SF_EERKSF_lbbbEUlllE_EE10hipError_tT0_T1_T2_jT3_P12ihipStream_tbPNSt15iterator_traitsISL_E10value_typeEPNSR_ISM_E10value_typeEPSN_NS1_7vsmem_tEENKUlT_SL_SM_SN_E_clIS8_S8_S9_S9_EESK_S10_SL_SM_SN_EUlS10_E_NS1_11comp_targetILNS1_3genE2ELNS1_11target_archE906ELNS1_3gpuE6ELNS1_3repE0EEENS1_48merge_mergepath_partition_config_static_selectorELNS0_4arch9wavefront6targetE0EEEvSM_,@function
_ZN7rocprim17ROCPRIM_400000_NS6detail17trampoline_kernelINS0_14default_configENS1_38merge_sort_block_merge_config_selectorIlNS0_10empty_typeEEEZZNS1_27merge_sort_block_merge_implIS3_PlPS5_mZN2at6native12_GLOBAL__N_124unique_dim_cuda_templateIdEESt5tupleIJNSA_6TensorESF_SF_EERKSF_lbbbEUlllE_EE10hipError_tT0_T1_T2_jT3_P12ihipStream_tbPNSt15iterator_traitsISL_E10value_typeEPNSR_ISM_E10value_typeEPSN_NS1_7vsmem_tEENKUlT_SL_SM_SN_E_clIS8_S8_S9_S9_EESK_S10_SL_SM_SN_EUlS10_E_NS1_11comp_targetILNS1_3genE2ELNS1_11target_archE906ELNS1_3gpuE6ELNS1_3repE0EEENS1_48merge_mergepath_partition_config_static_selectorELNS0_4arch9wavefront6targetE0EEEvSM_: ; @_ZN7rocprim17ROCPRIM_400000_NS6detail17trampoline_kernelINS0_14default_configENS1_38merge_sort_block_merge_config_selectorIlNS0_10empty_typeEEEZZNS1_27merge_sort_block_merge_implIS3_PlPS5_mZN2at6native12_GLOBAL__N_124unique_dim_cuda_templateIdEESt5tupleIJNSA_6TensorESF_SF_EERKSF_lbbbEUlllE_EE10hipError_tT0_T1_T2_jT3_P12ihipStream_tbPNSt15iterator_traitsISL_E10value_typeEPNSR_ISM_E10value_typeEPSN_NS1_7vsmem_tEENKUlT_SL_SM_SN_E_clIS8_S8_S9_S9_EESK_S10_SL_SM_SN_EUlS10_E_NS1_11comp_targetILNS1_3genE2ELNS1_11target_archE906ELNS1_3gpuE6ELNS1_3repE0EEENS1_48merge_mergepath_partition_config_static_selectorELNS0_4arch9wavefront6targetE0EEEvSM_
; %bb.0:
	.section	.rodata,"a",@progbits
	.p2align	6, 0x0
	.amdhsa_kernel _ZN7rocprim17ROCPRIM_400000_NS6detail17trampoline_kernelINS0_14default_configENS1_38merge_sort_block_merge_config_selectorIlNS0_10empty_typeEEEZZNS1_27merge_sort_block_merge_implIS3_PlPS5_mZN2at6native12_GLOBAL__N_124unique_dim_cuda_templateIdEESt5tupleIJNSA_6TensorESF_SF_EERKSF_lbbbEUlllE_EE10hipError_tT0_T1_T2_jT3_P12ihipStream_tbPNSt15iterator_traitsISL_E10value_typeEPNSR_ISM_E10value_typeEPSN_NS1_7vsmem_tEENKUlT_SL_SM_SN_E_clIS8_S8_S9_S9_EESK_S10_SL_SM_SN_EUlS10_E_NS1_11comp_targetILNS1_3genE2ELNS1_11target_archE906ELNS1_3gpuE6ELNS1_3repE0EEENS1_48merge_mergepath_partition_config_static_selectorELNS0_4arch9wavefront6targetE0EEEvSM_
		.amdhsa_group_segment_fixed_size 0
		.amdhsa_private_segment_fixed_size 0
		.amdhsa_kernarg_size 56
		.amdhsa_user_sgpr_count 2
		.amdhsa_user_sgpr_dispatch_ptr 0
		.amdhsa_user_sgpr_queue_ptr 0
		.amdhsa_user_sgpr_kernarg_segment_ptr 1
		.amdhsa_user_sgpr_dispatch_id 0
		.amdhsa_user_sgpr_kernarg_preload_length 0
		.amdhsa_user_sgpr_kernarg_preload_offset 0
		.amdhsa_user_sgpr_private_segment_size 0
		.amdhsa_wavefront_size32 1
		.amdhsa_uses_dynamic_stack 0
		.amdhsa_enable_private_segment 0
		.amdhsa_system_sgpr_workgroup_id_x 1
		.amdhsa_system_sgpr_workgroup_id_y 0
		.amdhsa_system_sgpr_workgroup_id_z 0
		.amdhsa_system_sgpr_workgroup_info 0
		.amdhsa_system_vgpr_workitem_id 0
		.amdhsa_next_free_vgpr 1
		.amdhsa_next_free_sgpr 1
		.amdhsa_named_barrier_count 0
		.amdhsa_reserve_vcc 0
		.amdhsa_float_round_mode_32 0
		.amdhsa_float_round_mode_16_64 0
		.amdhsa_float_denorm_mode_32 3
		.amdhsa_float_denorm_mode_16_64 3
		.amdhsa_fp16_overflow 0
		.amdhsa_memory_ordered 1
		.amdhsa_forward_progress 1
		.amdhsa_inst_pref_size 0
		.amdhsa_round_robin_scheduling 0
		.amdhsa_exception_fp_ieee_invalid_op 0
		.amdhsa_exception_fp_denorm_src 0
		.amdhsa_exception_fp_ieee_div_zero 0
		.amdhsa_exception_fp_ieee_overflow 0
		.amdhsa_exception_fp_ieee_underflow 0
		.amdhsa_exception_fp_ieee_inexact 0
		.amdhsa_exception_int_div_zero 0
	.end_amdhsa_kernel
	.section	.text._ZN7rocprim17ROCPRIM_400000_NS6detail17trampoline_kernelINS0_14default_configENS1_38merge_sort_block_merge_config_selectorIlNS0_10empty_typeEEEZZNS1_27merge_sort_block_merge_implIS3_PlPS5_mZN2at6native12_GLOBAL__N_124unique_dim_cuda_templateIdEESt5tupleIJNSA_6TensorESF_SF_EERKSF_lbbbEUlllE_EE10hipError_tT0_T1_T2_jT3_P12ihipStream_tbPNSt15iterator_traitsISL_E10value_typeEPNSR_ISM_E10value_typeEPSN_NS1_7vsmem_tEENKUlT_SL_SM_SN_E_clIS8_S8_S9_S9_EESK_S10_SL_SM_SN_EUlS10_E_NS1_11comp_targetILNS1_3genE2ELNS1_11target_archE906ELNS1_3gpuE6ELNS1_3repE0EEENS1_48merge_mergepath_partition_config_static_selectorELNS0_4arch9wavefront6targetE0EEEvSM_,"axG",@progbits,_ZN7rocprim17ROCPRIM_400000_NS6detail17trampoline_kernelINS0_14default_configENS1_38merge_sort_block_merge_config_selectorIlNS0_10empty_typeEEEZZNS1_27merge_sort_block_merge_implIS3_PlPS5_mZN2at6native12_GLOBAL__N_124unique_dim_cuda_templateIdEESt5tupleIJNSA_6TensorESF_SF_EERKSF_lbbbEUlllE_EE10hipError_tT0_T1_T2_jT3_P12ihipStream_tbPNSt15iterator_traitsISL_E10value_typeEPNSR_ISM_E10value_typeEPSN_NS1_7vsmem_tEENKUlT_SL_SM_SN_E_clIS8_S8_S9_S9_EESK_S10_SL_SM_SN_EUlS10_E_NS1_11comp_targetILNS1_3genE2ELNS1_11target_archE906ELNS1_3gpuE6ELNS1_3repE0EEENS1_48merge_mergepath_partition_config_static_selectorELNS0_4arch9wavefront6targetE0EEEvSM_,comdat
.Lfunc_end763:
	.size	_ZN7rocprim17ROCPRIM_400000_NS6detail17trampoline_kernelINS0_14default_configENS1_38merge_sort_block_merge_config_selectorIlNS0_10empty_typeEEEZZNS1_27merge_sort_block_merge_implIS3_PlPS5_mZN2at6native12_GLOBAL__N_124unique_dim_cuda_templateIdEESt5tupleIJNSA_6TensorESF_SF_EERKSF_lbbbEUlllE_EE10hipError_tT0_T1_T2_jT3_P12ihipStream_tbPNSt15iterator_traitsISL_E10value_typeEPNSR_ISM_E10value_typeEPSN_NS1_7vsmem_tEENKUlT_SL_SM_SN_E_clIS8_S8_S9_S9_EESK_S10_SL_SM_SN_EUlS10_E_NS1_11comp_targetILNS1_3genE2ELNS1_11target_archE906ELNS1_3gpuE6ELNS1_3repE0EEENS1_48merge_mergepath_partition_config_static_selectorELNS0_4arch9wavefront6targetE0EEEvSM_, .Lfunc_end763-_ZN7rocprim17ROCPRIM_400000_NS6detail17trampoline_kernelINS0_14default_configENS1_38merge_sort_block_merge_config_selectorIlNS0_10empty_typeEEEZZNS1_27merge_sort_block_merge_implIS3_PlPS5_mZN2at6native12_GLOBAL__N_124unique_dim_cuda_templateIdEESt5tupleIJNSA_6TensorESF_SF_EERKSF_lbbbEUlllE_EE10hipError_tT0_T1_T2_jT3_P12ihipStream_tbPNSt15iterator_traitsISL_E10value_typeEPNSR_ISM_E10value_typeEPSN_NS1_7vsmem_tEENKUlT_SL_SM_SN_E_clIS8_S8_S9_S9_EESK_S10_SL_SM_SN_EUlS10_E_NS1_11comp_targetILNS1_3genE2ELNS1_11target_archE906ELNS1_3gpuE6ELNS1_3repE0EEENS1_48merge_mergepath_partition_config_static_selectorELNS0_4arch9wavefront6targetE0EEEvSM_
                                        ; -- End function
	.set _ZN7rocprim17ROCPRIM_400000_NS6detail17trampoline_kernelINS0_14default_configENS1_38merge_sort_block_merge_config_selectorIlNS0_10empty_typeEEEZZNS1_27merge_sort_block_merge_implIS3_PlPS5_mZN2at6native12_GLOBAL__N_124unique_dim_cuda_templateIdEESt5tupleIJNSA_6TensorESF_SF_EERKSF_lbbbEUlllE_EE10hipError_tT0_T1_T2_jT3_P12ihipStream_tbPNSt15iterator_traitsISL_E10value_typeEPNSR_ISM_E10value_typeEPSN_NS1_7vsmem_tEENKUlT_SL_SM_SN_E_clIS8_S8_S9_S9_EESK_S10_SL_SM_SN_EUlS10_E_NS1_11comp_targetILNS1_3genE2ELNS1_11target_archE906ELNS1_3gpuE6ELNS1_3repE0EEENS1_48merge_mergepath_partition_config_static_selectorELNS0_4arch9wavefront6targetE0EEEvSM_.num_vgpr, 0
	.set _ZN7rocprim17ROCPRIM_400000_NS6detail17trampoline_kernelINS0_14default_configENS1_38merge_sort_block_merge_config_selectorIlNS0_10empty_typeEEEZZNS1_27merge_sort_block_merge_implIS3_PlPS5_mZN2at6native12_GLOBAL__N_124unique_dim_cuda_templateIdEESt5tupleIJNSA_6TensorESF_SF_EERKSF_lbbbEUlllE_EE10hipError_tT0_T1_T2_jT3_P12ihipStream_tbPNSt15iterator_traitsISL_E10value_typeEPNSR_ISM_E10value_typeEPSN_NS1_7vsmem_tEENKUlT_SL_SM_SN_E_clIS8_S8_S9_S9_EESK_S10_SL_SM_SN_EUlS10_E_NS1_11comp_targetILNS1_3genE2ELNS1_11target_archE906ELNS1_3gpuE6ELNS1_3repE0EEENS1_48merge_mergepath_partition_config_static_selectorELNS0_4arch9wavefront6targetE0EEEvSM_.num_agpr, 0
	.set _ZN7rocprim17ROCPRIM_400000_NS6detail17trampoline_kernelINS0_14default_configENS1_38merge_sort_block_merge_config_selectorIlNS0_10empty_typeEEEZZNS1_27merge_sort_block_merge_implIS3_PlPS5_mZN2at6native12_GLOBAL__N_124unique_dim_cuda_templateIdEESt5tupleIJNSA_6TensorESF_SF_EERKSF_lbbbEUlllE_EE10hipError_tT0_T1_T2_jT3_P12ihipStream_tbPNSt15iterator_traitsISL_E10value_typeEPNSR_ISM_E10value_typeEPSN_NS1_7vsmem_tEENKUlT_SL_SM_SN_E_clIS8_S8_S9_S9_EESK_S10_SL_SM_SN_EUlS10_E_NS1_11comp_targetILNS1_3genE2ELNS1_11target_archE906ELNS1_3gpuE6ELNS1_3repE0EEENS1_48merge_mergepath_partition_config_static_selectorELNS0_4arch9wavefront6targetE0EEEvSM_.numbered_sgpr, 0
	.set _ZN7rocprim17ROCPRIM_400000_NS6detail17trampoline_kernelINS0_14default_configENS1_38merge_sort_block_merge_config_selectorIlNS0_10empty_typeEEEZZNS1_27merge_sort_block_merge_implIS3_PlPS5_mZN2at6native12_GLOBAL__N_124unique_dim_cuda_templateIdEESt5tupleIJNSA_6TensorESF_SF_EERKSF_lbbbEUlllE_EE10hipError_tT0_T1_T2_jT3_P12ihipStream_tbPNSt15iterator_traitsISL_E10value_typeEPNSR_ISM_E10value_typeEPSN_NS1_7vsmem_tEENKUlT_SL_SM_SN_E_clIS8_S8_S9_S9_EESK_S10_SL_SM_SN_EUlS10_E_NS1_11comp_targetILNS1_3genE2ELNS1_11target_archE906ELNS1_3gpuE6ELNS1_3repE0EEENS1_48merge_mergepath_partition_config_static_selectorELNS0_4arch9wavefront6targetE0EEEvSM_.num_named_barrier, 0
	.set _ZN7rocprim17ROCPRIM_400000_NS6detail17trampoline_kernelINS0_14default_configENS1_38merge_sort_block_merge_config_selectorIlNS0_10empty_typeEEEZZNS1_27merge_sort_block_merge_implIS3_PlPS5_mZN2at6native12_GLOBAL__N_124unique_dim_cuda_templateIdEESt5tupleIJNSA_6TensorESF_SF_EERKSF_lbbbEUlllE_EE10hipError_tT0_T1_T2_jT3_P12ihipStream_tbPNSt15iterator_traitsISL_E10value_typeEPNSR_ISM_E10value_typeEPSN_NS1_7vsmem_tEENKUlT_SL_SM_SN_E_clIS8_S8_S9_S9_EESK_S10_SL_SM_SN_EUlS10_E_NS1_11comp_targetILNS1_3genE2ELNS1_11target_archE906ELNS1_3gpuE6ELNS1_3repE0EEENS1_48merge_mergepath_partition_config_static_selectorELNS0_4arch9wavefront6targetE0EEEvSM_.private_seg_size, 0
	.set _ZN7rocprim17ROCPRIM_400000_NS6detail17trampoline_kernelINS0_14default_configENS1_38merge_sort_block_merge_config_selectorIlNS0_10empty_typeEEEZZNS1_27merge_sort_block_merge_implIS3_PlPS5_mZN2at6native12_GLOBAL__N_124unique_dim_cuda_templateIdEESt5tupleIJNSA_6TensorESF_SF_EERKSF_lbbbEUlllE_EE10hipError_tT0_T1_T2_jT3_P12ihipStream_tbPNSt15iterator_traitsISL_E10value_typeEPNSR_ISM_E10value_typeEPSN_NS1_7vsmem_tEENKUlT_SL_SM_SN_E_clIS8_S8_S9_S9_EESK_S10_SL_SM_SN_EUlS10_E_NS1_11comp_targetILNS1_3genE2ELNS1_11target_archE906ELNS1_3gpuE6ELNS1_3repE0EEENS1_48merge_mergepath_partition_config_static_selectorELNS0_4arch9wavefront6targetE0EEEvSM_.uses_vcc, 0
	.set _ZN7rocprim17ROCPRIM_400000_NS6detail17trampoline_kernelINS0_14default_configENS1_38merge_sort_block_merge_config_selectorIlNS0_10empty_typeEEEZZNS1_27merge_sort_block_merge_implIS3_PlPS5_mZN2at6native12_GLOBAL__N_124unique_dim_cuda_templateIdEESt5tupleIJNSA_6TensorESF_SF_EERKSF_lbbbEUlllE_EE10hipError_tT0_T1_T2_jT3_P12ihipStream_tbPNSt15iterator_traitsISL_E10value_typeEPNSR_ISM_E10value_typeEPSN_NS1_7vsmem_tEENKUlT_SL_SM_SN_E_clIS8_S8_S9_S9_EESK_S10_SL_SM_SN_EUlS10_E_NS1_11comp_targetILNS1_3genE2ELNS1_11target_archE906ELNS1_3gpuE6ELNS1_3repE0EEENS1_48merge_mergepath_partition_config_static_selectorELNS0_4arch9wavefront6targetE0EEEvSM_.uses_flat_scratch, 0
	.set _ZN7rocprim17ROCPRIM_400000_NS6detail17trampoline_kernelINS0_14default_configENS1_38merge_sort_block_merge_config_selectorIlNS0_10empty_typeEEEZZNS1_27merge_sort_block_merge_implIS3_PlPS5_mZN2at6native12_GLOBAL__N_124unique_dim_cuda_templateIdEESt5tupleIJNSA_6TensorESF_SF_EERKSF_lbbbEUlllE_EE10hipError_tT0_T1_T2_jT3_P12ihipStream_tbPNSt15iterator_traitsISL_E10value_typeEPNSR_ISM_E10value_typeEPSN_NS1_7vsmem_tEENKUlT_SL_SM_SN_E_clIS8_S8_S9_S9_EESK_S10_SL_SM_SN_EUlS10_E_NS1_11comp_targetILNS1_3genE2ELNS1_11target_archE906ELNS1_3gpuE6ELNS1_3repE0EEENS1_48merge_mergepath_partition_config_static_selectorELNS0_4arch9wavefront6targetE0EEEvSM_.has_dyn_sized_stack, 0
	.set _ZN7rocprim17ROCPRIM_400000_NS6detail17trampoline_kernelINS0_14default_configENS1_38merge_sort_block_merge_config_selectorIlNS0_10empty_typeEEEZZNS1_27merge_sort_block_merge_implIS3_PlPS5_mZN2at6native12_GLOBAL__N_124unique_dim_cuda_templateIdEESt5tupleIJNSA_6TensorESF_SF_EERKSF_lbbbEUlllE_EE10hipError_tT0_T1_T2_jT3_P12ihipStream_tbPNSt15iterator_traitsISL_E10value_typeEPNSR_ISM_E10value_typeEPSN_NS1_7vsmem_tEENKUlT_SL_SM_SN_E_clIS8_S8_S9_S9_EESK_S10_SL_SM_SN_EUlS10_E_NS1_11comp_targetILNS1_3genE2ELNS1_11target_archE906ELNS1_3gpuE6ELNS1_3repE0EEENS1_48merge_mergepath_partition_config_static_selectorELNS0_4arch9wavefront6targetE0EEEvSM_.has_recursion, 0
	.set _ZN7rocprim17ROCPRIM_400000_NS6detail17trampoline_kernelINS0_14default_configENS1_38merge_sort_block_merge_config_selectorIlNS0_10empty_typeEEEZZNS1_27merge_sort_block_merge_implIS3_PlPS5_mZN2at6native12_GLOBAL__N_124unique_dim_cuda_templateIdEESt5tupleIJNSA_6TensorESF_SF_EERKSF_lbbbEUlllE_EE10hipError_tT0_T1_T2_jT3_P12ihipStream_tbPNSt15iterator_traitsISL_E10value_typeEPNSR_ISM_E10value_typeEPSN_NS1_7vsmem_tEENKUlT_SL_SM_SN_E_clIS8_S8_S9_S9_EESK_S10_SL_SM_SN_EUlS10_E_NS1_11comp_targetILNS1_3genE2ELNS1_11target_archE906ELNS1_3gpuE6ELNS1_3repE0EEENS1_48merge_mergepath_partition_config_static_selectorELNS0_4arch9wavefront6targetE0EEEvSM_.has_indirect_call, 0
	.section	.AMDGPU.csdata,"",@progbits
; Kernel info:
; codeLenInByte = 0
; TotalNumSgprs: 0
; NumVgprs: 0
; ScratchSize: 0
; MemoryBound: 0
; FloatMode: 240
; IeeeMode: 1
; LDSByteSize: 0 bytes/workgroup (compile time only)
; SGPRBlocks: 0
; VGPRBlocks: 0
; NumSGPRsForWavesPerEU: 1
; NumVGPRsForWavesPerEU: 1
; NamedBarCnt: 0
; Occupancy: 16
; WaveLimiterHint : 0
; COMPUTE_PGM_RSRC2:SCRATCH_EN: 0
; COMPUTE_PGM_RSRC2:USER_SGPR: 2
; COMPUTE_PGM_RSRC2:TRAP_HANDLER: 0
; COMPUTE_PGM_RSRC2:TGID_X_EN: 1
; COMPUTE_PGM_RSRC2:TGID_Y_EN: 0
; COMPUTE_PGM_RSRC2:TGID_Z_EN: 0
; COMPUTE_PGM_RSRC2:TIDIG_COMP_CNT: 0
	.section	.text._ZN7rocprim17ROCPRIM_400000_NS6detail17trampoline_kernelINS0_14default_configENS1_38merge_sort_block_merge_config_selectorIlNS0_10empty_typeEEEZZNS1_27merge_sort_block_merge_implIS3_PlPS5_mZN2at6native12_GLOBAL__N_124unique_dim_cuda_templateIdEESt5tupleIJNSA_6TensorESF_SF_EERKSF_lbbbEUlllE_EE10hipError_tT0_T1_T2_jT3_P12ihipStream_tbPNSt15iterator_traitsISL_E10value_typeEPNSR_ISM_E10value_typeEPSN_NS1_7vsmem_tEENKUlT_SL_SM_SN_E_clIS8_S8_S9_S9_EESK_S10_SL_SM_SN_EUlS10_E_NS1_11comp_targetILNS1_3genE9ELNS1_11target_archE1100ELNS1_3gpuE3ELNS1_3repE0EEENS1_48merge_mergepath_partition_config_static_selectorELNS0_4arch9wavefront6targetE0EEEvSM_,"axG",@progbits,_ZN7rocprim17ROCPRIM_400000_NS6detail17trampoline_kernelINS0_14default_configENS1_38merge_sort_block_merge_config_selectorIlNS0_10empty_typeEEEZZNS1_27merge_sort_block_merge_implIS3_PlPS5_mZN2at6native12_GLOBAL__N_124unique_dim_cuda_templateIdEESt5tupleIJNSA_6TensorESF_SF_EERKSF_lbbbEUlllE_EE10hipError_tT0_T1_T2_jT3_P12ihipStream_tbPNSt15iterator_traitsISL_E10value_typeEPNSR_ISM_E10value_typeEPSN_NS1_7vsmem_tEENKUlT_SL_SM_SN_E_clIS8_S8_S9_S9_EESK_S10_SL_SM_SN_EUlS10_E_NS1_11comp_targetILNS1_3genE9ELNS1_11target_archE1100ELNS1_3gpuE3ELNS1_3repE0EEENS1_48merge_mergepath_partition_config_static_selectorELNS0_4arch9wavefront6targetE0EEEvSM_,comdat
	.globl	_ZN7rocprim17ROCPRIM_400000_NS6detail17trampoline_kernelINS0_14default_configENS1_38merge_sort_block_merge_config_selectorIlNS0_10empty_typeEEEZZNS1_27merge_sort_block_merge_implIS3_PlPS5_mZN2at6native12_GLOBAL__N_124unique_dim_cuda_templateIdEESt5tupleIJNSA_6TensorESF_SF_EERKSF_lbbbEUlllE_EE10hipError_tT0_T1_T2_jT3_P12ihipStream_tbPNSt15iterator_traitsISL_E10value_typeEPNSR_ISM_E10value_typeEPSN_NS1_7vsmem_tEENKUlT_SL_SM_SN_E_clIS8_S8_S9_S9_EESK_S10_SL_SM_SN_EUlS10_E_NS1_11comp_targetILNS1_3genE9ELNS1_11target_archE1100ELNS1_3gpuE3ELNS1_3repE0EEENS1_48merge_mergepath_partition_config_static_selectorELNS0_4arch9wavefront6targetE0EEEvSM_ ; -- Begin function _ZN7rocprim17ROCPRIM_400000_NS6detail17trampoline_kernelINS0_14default_configENS1_38merge_sort_block_merge_config_selectorIlNS0_10empty_typeEEEZZNS1_27merge_sort_block_merge_implIS3_PlPS5_mZN2at6native12_GLOBAL__N_124unique_dim_cuda_templateIdEESt5tupleIJNSA_6TensorESF_SF_EERKSF_lbbbEUlllE_EE10hipError_tT0_T1_T2_jT3_P12ihipStream_tbPNSt15iterator_traitsISL_E10value_typeEPNSR_ISM_E10value_typeEPSN_NS1_7vsmem_tEENKUlT_SL_SM_SN_E_clIS8_S8_S9_S9_EESK_S10_SL_SM_SN_EUlS10_E_NS1_11comp_targetILNS1_3genE9ELNS1_11target_archE1100ELNS1_3gpuE3ELNS1_3repE0EEENS1_48merge_mergepath_partition_config_static_selectorELNS0_4arch9wavefront6targetE0EEEvSM_
	.p2align	8
	.type	_ZN7rocprim17ROCPRIM_400000_NS6detail17trampoline_kernelINS0_14default_configENS1_38merge_sort_block_merge_config_selectorIlNS0_10empty_typeEEEZZNS1_27merge_sort_block_merge_implIS3_PlPS5_mZN2at6native12_GLOBAL__N_124unique_dim_cuda_templateIdEESt5tupleIJNSA_6TensorESF_SF_EERKSF_lbbbEUlllE_EE10hipError_tT0_T1_T2_jT3_P12ihipStream_tbPNSt15iterator_traitsISL_E10value_typeEPNSR_ISM_E10value_typeEPSN_NS1_7vsmem_tEENKUlT_SL_SM_SN_E_clIS8_S8_S9_S9_EESK_S10_SL_SM_SN_EUlS10_E_NS1_11comp_targetILNS1_3genE9ELNS1_11target_archE1100ELNS1_3gpuE3ELNS1_3repE0EEENS1_48merge_mergepath_partition_config_static_selectorELNS0_4arch9wavefront6targetE0EEEvSM_,@function
_ZN7rocprim17ROCPRIM_400000_NS6detail17trampoline_kernelINS0_14default_configENS1_38merge_sort_block_merge_config_selectorIlNS0_10empty_typeEEEZZNS1_27merge_sort_block_merge_implIS3_PlPS5_mZN2at6native12_GLOBAL__N_124unique_dim_cuda_templateIdEESt5tupleIJNSA_6TensorESF_SF_EERKSF_lbbbEUlllE_EE10hipError_tT0_T1_T2_jT3_P12ihipStream_tbPNSt15iterator_traitsISL_E10value_typeEPNSR_ISM_E10value_typeEPSN_NS1_7vsmem_tEENKUlT_SL_SM_SN_E_clIS8_S8_S9_S9_EESK_S10_SL_SM_SN_EUlS10_E_NS1_11comp_targetILNS1_3genE9ELNS1_11target_archE1100ELNS1_3gpuE3ELNS1_3repE0EEENS1_48merge_mergepath_partition_config_static_selectorELNS0_4arch9wavefront6targetE0EEEvSM_: ; @_ZN7rocprim17ROCPRIM_400000_NS6detail17trampoline_kernelINS0_14default_configENS1_38merge_sort_block_merge_config_selectorIlNS0_10empty_typeEEEZZNS1_27merge_sort_block_merge_implIS3_PlPS5_mZN2at6native12_GLOBAL__N_124unique_dim_cuda_templateIdEESt5tupleIJNSA_6TensorESF_SF_EERKSF_lbbbEUlllE_EE10hipError_tT0_T1_T2_jT3_P12ihipStream_tbPNSt15iterator_traitsISL_E10value_typeEPNSR_ISM_E10value_typeEPSN_NS1_7vsmem_tEENKUlT_SL_SM_SN_E_clIS8_S8_S9_S9_EESK_S10_SL_SM_SN_EUlS10_E_NS1_11comp_targetILNS1_3genE9ELNS1_11target_archE1100ELNS1_3gpuE3ELNS1_3repE0EEENS1_48merge_mergepath_partition_config_static_selectorELNS0_4arch9wavefront6targetE0EEEvSM_
; %bb.0:
	.section	.rodata,"a",@progbits
	.p2align	6, 0x0
	.amdhsa_kernel _ZN7rocprim17ROCPRIM_400000_NS6detail17trampoline_kernelINS0_14default_configENS1_38merge_sort_block_merge_config_selectorIlNS0_10empty_typeEEEZZNS1_27merge_sort_block_merge_implIS3_PlPS5_mZN2at6native12_GLOBAL__N_124unique_dim_cuda_templateIdEESt5tupleIJNSA_6TensorESF_SF_EERKSF_lbbbEUlllE_EE10hipError_tT0_T1_T2_jT3_P12ihipStream_tbPNSt15iterator_traitsISL_E10value_typeEPNSR_ISM_E10value_typeEPSN_NS1_7vsmem_tEENKUlT_SL_SM_SN_E_clIS8_S8_S9_S9_EESK_S10_SL_SM_SN_EUlS10_E_NS1_11comp_targetILNS1_3genE9ELNS1_11target_archE1100ELNS1_3gpuE3ELNS1_3repE0EEENS1_48merge_mergepath_partition_config_static_selectorELNS0_4arch9wavefront6targetE0EEEvSM_
		.amdhsa_group_segment_fixed_size 0
		.amdhsa_private_segment_fixed_size 0
		.amdhsa_kernarg_size 56
		.amdhsa_user_sgpr_count 2
		.amdhsa_user_sgpr_dispatch_ptr 0
		.amdhsa_user_sgpr_queue_ptr 0
		.amdhsa_user_sgpr_kernarg_segment_ptr 1
		.amdhsa_user_sgpr_dispatch_id 0
		.amdhsa_user_sgpr_kernarg_preload_length 0
		.amdhsa_user_sgpr_kernarg_preload_offset 0
		.amdhsa_user_sgpr_private_segment_size 0
		.amdhsa_wavefront_size32 1
		.amdhsa_uses_dynamic_stack 0
		.amdhsa_enable_private_segment 0
		.amdhsa_system_sgpr_workgroup_id_x 1
		.amdhsa_system_sgpr_workgroup_id_y 0
		.amdhsa_system_sgpr_workgroup_id_z 0
		.amdhsa_system_sgpr_workgroup_info 0
		.amdhsa_system_vgpr_workitem_id 0
		.amdhsa_next_free_vgpr 1
		.amdhsa_next_free_sgpr 1
		.amdhsa_named_barrier_count 0
		.amdhsa_reserve_vcc 0
		.amdhsa_float_round_mode_32 0
		.amdhsa_float_round_mode_16_64 0
		.amdhsa_float_denorm_mode_32 3
		.amdhsa_float_denorm_mode_16_64 3
		.amdhsa_fp16_overflow 0
		.amdhsa_memory_ordered 1
		.amdhsa_forward_progress 1
		.amdhsa_inst_pref_size 0
		.amdhsa_round_robin_scheduling 0
		.amdhsa_exception_fp_ieee_invalid_op 0
		.amdhsa_exception_fp_denorm_src 0
		.amdhsa_exception_fp_ieee_div_zero 0
		.amdhsa_exception_fp_ieee_overflow 0
		.amdhsa_exception_fp_ieee_underflow 0
		.amdhsa_exception_fp_ieee_inexact 0
		.amdhsa_exception_int_div_zero 0
	.end_amdhsa_kernel
	.section	.text._ZN7rocprim17ROCPRIM_400000_NS6detail17trampoline_kernelINS0_14default_configENS1_38merge_sort_block_merge_config_selectorIlNS0_10empty_typeEEEZZNS1_27merge_sort_block_merge_implIS3_PlPS5_mZN2at6native12_GLOBAL__N_124unique_dim_cuda_templateIdEESt5tupleIJNSA_6TensorESF_SF_EERKSF_lbbbEUlllE_EE10hipError_tT0_T1_T2_jT3_P12ihipStream_tbPNSt15iterator_traitsISL_E10value_typeEPNSR_ISM_E10value_typeEPSN_NS1_7vsmem_tEENKUlT_SL_SM_SN_E_clIS8_S8_S9_S9_EESK_S10_SL_SM_SN_EUlS10_E_NS1_11comp_targetILNS1_3genE9ELNS1_11target_archE1100ELNS1_3gpuE3ELNS1_3repE0EEENS1_48merge_mergepath_partition_config_static_selectorELNS0_4arch9wavefront6targetE0EEEvSM_,"axG",@progbits,_ZN7rocprim17ROCPRIM_400000_NS6detail17trampoline_kernelINS0_14default_configENS1_38merge_sort_block_merge_config_selectorIlNS0_10empty_typeEEEZZNS1_27merge_sort_block_merge_implIS3_PlPS5_mZN2at6native12_GLOBAL__N_124unique_dim_cuda_templateIdEESt5tupleIJNSA_6TensorESF_SF_EERKSF_lbbbEUlllE_EE10hipError_tT0_T1_T2_jT3_P12ihipStream_tbPNSt15iterator_traitsISL_E10value_typeEPNSR_ISM_E10value_typeEPSN_NS1_7vsmem_tEENKUlT_SL_SM_SN_E_clIS8_S8_S9_S9_EESK_S10_SL_SM_SN_EUlS10_E_NS1_11comp_targetILNS1_3genE9ELNS1_11target_archE1100ELNS1_3gpuE3ELNS1_3repE0EEENS1_48merge_mergepath_partition_config_static_selectorELNS0_4arch9wavefront6targetE0EEEvSM_,comdat
.Lfunc_end764:
	.size	_ZN7rocprim17ROCPRIM_400000_NS6detail17trampoline_kernelINS0_14default_configENS1_38merge_sort_block_merge_config_selectorIlNS0_10empty_typeEEEZZNS1_27merge_sort_block_merge_implIS3_PlPS5_mZN2at6native12_GLOBAL__N_124unique_dim_cuda_templateIdEESt5tupleIJNSA_6TensorESF_SF_EERKSF_lbbbEUlllE_EE10hipError_tT0_T1_T2_jT3_P12ihipStream_tbPNSt15iterator_traitsISL_E10value_typeEPNSR_ISM_E10value_typeEPSN_NS1_7vsmem_tEENKUlT_SL_SM_SN_E_clIS8_S8_S9_S9_EESK_S10_SL_SM_SN_EUlS10_E_NS1_11comp_targetILNS1_3genE9ELNS1_11target_archE1100ELNS1_3gpuE3ELNS1_3repE0EEENS1_48merge_mergepath_partition_config_static_selectorELNS0_4arch9wavefront6targetE0EEEvSM_, .Lfunc_end764-_ZN7rocprim17ROCPRIM_400000_NS6detail17trampoline_kernelINS0_14default_configENS1_38merge_sort_block_merge_config_selectorIlNS0_10empty_typeEEEZZNS1_27merge_sort_block_merge_implIS3_PlPS5_mZN2at6native12_GLOBAL__N_124unique_dim_cuda_templateIdEESt5tupleIJNSA_6TensorESF_SF_EERKSF_lbbbEUlllE_EE10hipError_tT0_T1_T2_jT3_P12ihipStream_tbPNSt15iterator_traitsISL_E10value_typeEPNSR_ISM_E10value_typeEPSN_NS1_7vsmem_tEENKUlT_SL_SM_SN_E_clIS8_S8_S9_S9_EESK_S10_SL_SM_SN_EUlS10_E_NS1_11comp_targetILNS1_3genE9ELNS1_11target_archE1100ELNS1_3gpuE3ELNS1_3repE0EEENS1_48merge_mergepath_partition_config_static_selectorELNS0_4arch9wavefront6targetE0EEEvSM_
                                        ; -- End function
	.set _ZN7rocprim17ROCPRIM_400000_NS6detail17trampoline_kernelINS0_14default_configENS1_38merge_sort_block_merge_config_selectorIlNS0_10empty_typeEEEZZNS1_27merge_sort_block_merge_implIS3_PlPS5_mZN2at6native12_GLOBAL__N_124unique_dim_cuda_templateIdEESt5tupleIJNSA_6TensorESF_SF_EERKSF_lbbbEUlllE_EE10hipError_tT0_T1_T2_jT3_P12ihipStream_tbPNSt15iterator_traitsISL_E10value_typeEPNSR_ISM_E10value_typeEPSN_NS1_7vsmem_tEENKUlT_SL_SM_SN_E_clIS8_S8_S9_S9_EESK_S10_SL_SM_SN_EUlS10_E_NS1_11comp_targetILNS1_3genE9ELNS1_11target_archE1100ELNS1_3gpuE3ELNS1_3repE0EEENS1_48merge_mergepath_partition_config_static_selectorELNS0_4arch9wavefront6targetE0EEEvSM_.num_vgpr, 0
	.set _ZN7rocprim17ROCPRIM_400000_NS6detail17trampoline_kernelINS0_14default_configENS1_38merge_sort_block_merge_config_selectorIlNS0_10empty_typeEEEZZNS1_27merge_sort_block_merge_implIS3_PlPS5_mZN2at6native12_GLOBAL__N_124unique_dim_cuda_templateIdEESt5tupleIJNSA_6TensorESF_SF_EERKSF_lbbbEUlllE_EE10hipError_tT0_T1_T2_jT3_P12ihipStream_tbPNSt15iterator_traitsISL_E10value_typeEPNSR_ISM_E10value_typeEPSN_NS1_7vsmem_tEENKUlT_SL_SM_SN_E_clIS8_S8_S9_S9_EESK_S10_SL_SM_SN_EUlS10_E_NS1_11comp_targetILNS1_3genE9ELNS1_11target_archE1100ELNS1_3gpuE3ELNS1_3repE0EEENS1_48merge_mergepath_partition_config_static_selectorELNS0_4arch9wavefront6targetE0EEEvSM_.num_agpr, 0
	.set _ZN7rocprim17ROCPRIM_400000_NS6detail17trampoline_kernelINS0_14default_configENS1_38merge_sort_block_merge_config_selectorIlNS0_10empty_typeEEEZZNS1_27merge_sort_block_merge_implIS3_PlPS5_mZN2at6native12_GLOBAL__N_124unique_dim_cuda_templateIdEESt5tupleIJNSA_6TensorESF_SF_EERKSF_lbbbEUlllE_EE10hipError_tT0_T1_T2_jT3_P12ihipStream_tbPNSt15iterator_traitsISL_E10value_typeEPNSR_ISM_E10value_typeEPSN_NS1_7vsmem_tEENKUlT_SL_SM_SN_E_clIS8_S8_S9_S9_EESK_S10_SL_SM_SN_EUlS10_E_NS1_11comp_targetILNS1_3genE9ELNS1_11target_archE1100ELNS1_3gpuE3ELNS1_3repE0EEENS1_48merge_mergepath_partition_config_static_selectorELNS0_4arch9wavefront6targetE0EEEvSM_.numbered_sgpr, 0
	.set _ZN7rocprim17ROCPRIM_400000_NS6detail17trampoline_kernelINS0_14default_configENS1_38merge_sort_block_merge_config_selectorIlNS0_10empty_typeEEEZZNS1_27merge_sort_block_merge_implIS3_PlPS5_mZN2at6native12_GLOBAL__N_124unique_dim_cuda_templateIdEESt5tupleIJNSA_6TensorESF_SF_EERKSF_lbbbEUlllE_EE10hipError_tT0_T1_T2_jT3_P12ihipStream_tbPNSt15iterator_traitsISL_E10value_typeEPNSR_ISM_E10value_typeEPSN_NS1_7vsmem_tEENKUlT_SL_SM_SN_E_clIS8_S8_S9_S9_EESK_S10_SL_SM_SN_EUlS10_E_NS1_11comp_targetILNS1_3genE9ELNS1_11target_archE1100ELNS1_3gpuE3ELNS1_3repE0EEENS1_48merge_mergepath_partition_config_static_selectorELNS0_4arch9wavefront6targetE0EEEvSM_.num_named_barrier, 0
	.set _ZN7rocprim17ROCPRIM_400000_NS6detail17trampoline_kernelINS0_14default_configENS1_38merge_sort_block_merge_config_selectorIlNS0_10empty_typeEEEZZNS1_27merge_sort_block_merge_implIS3_PlPS5_mZN2at6native12_GLOBAL__N_124unique_dim_cuda_templateIdEESt5tupleIJNSA_6TensorESF_SF_EERKSF_lbbbEUlllE_EE10hipError_tT0_T1_T2_jT3_P12ihipStream_tbPNSt15iterator_traitsISL_E10value_typeEPNSR_ISM_E10value_typeEPSN_NS1_7vsmem_tEENKUlT_SL_SM_SN_E_clIS8_S8_S9_S9_EESK_S10_SL_SM_SN_EUlS10_E_NS1_11comp_targetILNS1_3genE9ELNS1_11target_archE1100ELNS1_3gpuE3ELNS1_3repE0EEENS1_48merge_mergepath_partition_config_static_selectorELNS0_4arch9wavefront6targetE0EEEvSM_.private_seg_size, 0
	.set _ZN7rocprim17ROCPRIM_400000_NS6detail17trampoline_kernelINS0_14default_configENS1_38merge_sort_block_merge_config_selectorIlNS0_10empty_typeEEEZZNS1_27merge_sort_block_merge_implIS3_PlPS5_mZN2at6native12_GLOBAL__N_124unique_dim_cuda_templateIdEESt5tupleIJNSA_6TensorESF_SF_EERKSF_lbbbEUlllE_EE10hipError_tT0_T1_T2_jT3_P12ihipStream_tbPNSt15iterator_traitsISL_E10value_typeEPNSR_ISM_E10value_typeEPSN_NS1_7vsmem_tEENKUlT_SL_SM_SN_E_clIS8_S8_S9_S9_EESK_S10_SL_SM_SN_EUlS10_E_NS1_11comp_targetILNS1_3genE9ELNS1_11target_archE1100ELNS1_3gpuE3ELNS1_3repE0EEENS1_48merge_mergepath_partition_config_static_selectorELNS0_4arch9wavefront6targetE0EEEvSM_.uses_vcc, 0
	.set _ZN7rocprim17ROCPRIM_400000_NS6detail17trampoline_kernelINS0_14default_configENS1_38merge_sort_block_merge_config_selectorIlNS0_10empty_typeEEEZZNS1_27merge_sort_block_merge_implIS3_PlPS5_mZN2at6native12_GLOBAL__N_124unique_dim_cuda_templateIdEESt5tupleIJNSA_6TensorESF_SF_EERKSF_lbbbEUlllE_EE10hipError_tT0_T1_T2_jT3_P12ihipStream_tbPNSt15iterator_traitsISL_E10value_typeEPNSR_ISM_E10value_typeEPSN_NS1_7vsmem_tEENKUlT_SL_SM_SN_E_clIS8_S8_S9_S9_EESK_S10_SL_SM_SN_EUlS10_E_NS1_11comp_targetILNS1_3genE9ELNS1_11target_archE1100ELNS1_3gpuE3ELNS1_3repE0EEENS1_48merge_mergepath_partition_config_static_selectorELNS0_4arch9wavefront6targetE0EEEvSM_.uses_flat_scratch, 0
	.set _ZN7rocprim17ROCPRIM_400000_NS6detail17trampoline_kernelINS0_14default_configENS1_38merge_sort_block_merge_config_selectorIlNS0_10empty_typeEEEZZNS1_27merge_sort_block_merge_implIS3_PlPS5_mZN2at6native12_GLOBAL__N_124unique_dim_cuda_templateIdEESt5tupleIJNSA_6TensorESF_SF_EERKSF_lbbbEUlllE_EE10hipError_tT0_T1_T2_jT3_P12ihipStream_tbPNSt15iterator_traitsISL_E10value_typeEPNSR_ISM_E10value_typeEPSN_NS1_7vsmem_tEENKUlT_SL_SM_SN_E_clIS8_S8_S9_S9_EESK_S10_SL_SM_SN_EUlS10_E_NS1_11comp_targetILNS1_3genE9ELNS1_11target_archE1100ELNS1_3gpuE3ELNS1_3repE0EEENS1_48merge_mergepath_partition_config_static_selectorELNS0_4arch9wavefront6targetE0EEEvSM_.has_dyn_sized_stack, 0
	.set _ZN7rocprim17ROCPRIM_400000_NS6detail17trampoline_kernelINS0_14default_configENS1_38merge_sort_block_merge_config_selectorIlNS0_10empty_typeEEEZZNS1_27merge_sort_block_merge_implIS3_PlPS5_mZN2at6native12_GLOBAL__N_124unique_dim_cuda_templateIdEESt5tupleIJNSA_6TensorESF_SF_EERKSF_lbbbEUlllE_EE10hipError_tT0_T1_T2_jT3_P12ihipStream_tbPNSt15iterator_traitsISL_E10value_typeEPNSR_ISM_E10value_typeEPSN_NS1_7vsmem_tEENKUlT_SL_SM_SN_E_clIS8_S8_S9_S9_EESK_S10_SL_SM_SN_EUlS10_E_NS1_11comp_targetILNS1_3genE9ELNS1_11target_archE1100ELNS1_3gpuE3ELNS1_3repE0EEENS1_48merge_mergepath_partition_config_static_selectorELNS0_4arch9wavefront6targetE0EEEvSM_.has_recursion, 0
	.set _ZN7rocprim17ROCPRIM_400000_NS6detail17trampoline_kernelINS0_14default_configENS1_38merge_sort_block_merge_config_selectorIlNS0_10empty_typeEEEZZNS1_27merge_sort_block_merge_implIS3_PlPS5_mZN2at6native12_GLOBAL__N_124unique_dim_cuda_templateIdEESt5tupleIJNSA_6TensorESF_SF_EERKSF_lbbbEUlllE_EE10hipError_tT0_T1_T2_jT3_P12ihipStream_tbPNSt15iterator_traitsISL_E10value_typeEPNSR_ISM_E10value_typeEPSN_NS1_7vsmem_tEENKUlT_SL_SM_SN_E_clIS8_S8_S9_S9_EESK_S10_SL_SM_SN_EUlS10_E_NS1_11comp_targetILNS1_3genE9ELNS1_11target_archE1100ELNS1_3gpuE3ELNS1_3repE0EEENS1_48merge_mergepath_partition_config_static_selectorELNS0_4arch9wavefront6targetE0EEEvSM_.has_indirect_call, 0
	.section	.AMDGPU.csdata,"",@progbits
; Kernel info:
; codeLenInByte = 0
; TotalNumSgprs: 0
; NumVgprs: 0
; ScratchSize: 0
; MemoryBound: 0
; FloatMode: 240
; IeeeMode: 1
; LDSByteSize: 0 bytes/workgroup (compile time only)
; SGPRBlocks: 0
; VGPRBlocks: 0
; NumSGPRsForWavesPerEU: 1
; NumVGPRsForWavesPerEU: 1
; NamedBarCnt: 0
; Occupancy: 16
; WaveLimiterHint : 0
; COMPUTE_PGM_RSRC2:SCRATCH_EN: 0
; COMPUTE_PGM_RSRC2:USER_SGPR: 2
; COMPUTE_PGM_RSRC2:TRAP_HANDLER: 0
; COMPUTE_PGM_RSRC2:TGID_X_EN: 1
; COMPUTE_PGM_RSRC2:TGID_Y_EN: 0
; COMPUTE_PGM_RSRC2:TGID_Z_EN: 0
; COMPUTE_PGM_RSRC2:TIDIG_COMP_CNT: 0
	.section	.text._ZN7rocprim17ROCPRIM_400000_NS6detail17trampoline_kernelINS0_14default_configENS1_38merge_sort_block_merge_config_selectorIlNS0_10empty_typeEEEZZNS1_27merge_sort_block_merge_implIS3_PlPS5_mZN2at6native12_GLOBAL__N_124unique_dim_cuda_templateIdEESt5tupleIJNSA_6TensorESF_SF_EERKSF_lbbbEUlllE_EE10hipError_tT0_T1_T2_jT3_P12ihipStream_tbPNSt15iterator_traitsISL_E10value_typeEPNSR_ISM_E10value_typeEPSN_NS1_7vsmem_tEENKUlT_SL_SM_SN_E_clIS8_S8_S9_S9_EESK_S10_SL_SM_SN_EUlS10_E_NS1_11comp_targetILNS1_3genE8ELNS1_11target_archE1030ELNS1_3gpuE2ELNS1_3repE0EEENS1_48merge_mergepath_partition_config_static_selectorELNS0_4arch9wavefront6targetE0EEEvSM_,"axG",@progbits,_ZN7rocprim17ROCPRIM_400000_NS6detail17trampoline_kernelINS0_14default_configENS1_38merge_sort_block_merge_config_selectorIlNS0_10empty_typeEEEZZNS1_27merge_sort_block_merge_implIS3_PlPS5_mZN2at6native12_GLOBAL__N_124unique_dim_cuda_templateIdEESt5tupleIJNSA_6TensorESF_SF_EERKSF_lbbbEUlllE_EE10hipError_tT0_T1_T2_jT3_P12ihipStream_tbPNSt15iterator_traitsISL_E10value_typeEPNSR_ISM_E10value_typeEPSN_NS1_7vsmem_tEENKUlT_SL_SM_SN_E_clIS8_S8_S9_S9_EESK_S10_SL_SM_SN_EUlS10_E_NS1_11comp_targetILNS1_3genE8ELNS1_11target_archE1030ELNS1_3gpuE2ELNS1_3repE0EEENS1_48merge_mergepath_partition_config_static_selectorELNS0_4arch9wavefront6targetE0EEEvSM_,comdat
	.globl	_ZN7rocprim17ROCPRIM_400000_NS6detail17trampoline_kernelINS0_14default_configENS1_38merge_sort_block_merge_config_selectorIlNS0_10empty_typeEEEZZNS1_27merge_sort_block_merge_implIS3_PlPS5_mZN2at6native12_GLOBAL__N_124unique_dim_cuda_templateIdEESt5tupleIJNSA_6TensorESF_SF_EERKSF_lbbbEUlllE_EE10hipError_tT0_T1_T2_jT3_P12ihipStream_tbPNSt15iterator_traitsISL_E10value_typeEPNSR_ISM_E10value_typeEPSN_NS1_7vsmem_tEENKUlT_SL_SM_SN_E_clIS8_S8_S9_S9_EESK_S10_SL_SM_SN_EUlS10_E_NS1_11comp_targetILNS1_3genE8ELNS1_11target_archE1030ELNS1_3gpuE2ELNS1_3repE0EEENS1_48merge_mergepath_partition_config_static_selectorELNS0_4arch9wavefront6targetE0EEEvSM_ ; -- Begin function _ZN7rocprim17ROCPRIM_400000_NS6detail17trampoline_kernelINS0_14default_configENS1_38merge_sort_block_merge_config_selectorIlNS0_10empty_typeEEEZZNS1_27merge_sort_block_merge_implIS3_PlPS5_mZN2at6native12_GLOBAL__N_124unique_dim_cuda_templateIdEESt5tupleIJNSA_6TensorESF_SF_EERKSF_lbbbEUlllE_EE10hipError_tT0_T1_T2_jT3_P12ihipStream_tbPNSt15iterator_traitsISL_E10value_typeEPNSR_ISM_E10value_typeEPSN_NS1_7vsmem_tEENKUlT_SL_SM_SN_E_clIS8_S8_S9_S9_EESK_S10_SL_SM_SN_EUlS10_E_NS1_11comp_targetILNS1_3genE8ELNS1_11target_archE1030ELNS1_3gpuE2ELNS1_3repE0EEENS1_48merge_mergepath_partition_config_static_selectorELNS0_4arch9wavefront6targetE0EEEvSM_
	.p2align	8
	.type	_ZN7rocprim17ROCPRIM_400000_NS6detail17trampoline_kernelINS0_14default_configENS1_38merge_sort_block_merge_config_selectorIlNS0_10empty_typeEEEZZNS1_27merge_sort_block_merge_implIS3_PlPS5_mZN2at6native12_GLOBAL__N_124unique_dim_cuda_templateIdEESt5tupleIJNSA_6TensorESF_SF_EERKSF_lbbbEUlllE_EE10hipError_tT0_T1_T2_jT3_P12ihipStream_tbPNSt15iterator_traitsISL_E10value_typeEPNSR_ISM_E10value_typeEPSN_NS1_7vsmem_tEENKUlT_SL_SM_SN_E_clIS8_S8_S9_S9_EESK_S10_SL_SM_SN_EUlS10_E_NS1_11comp_targetILNS1_3genE8ELNS1_11target_archE1030ELNS1_3gpuE2ELNS1_3repE0EEENS1_48merge_mergepath_partition_config_static_selectorELNS0_4arch9wavefront6targetE0EEEvSM_,@function
_ZN7rocprim17ROCPRIM_400000_NS6detail17trampoline_kernelINS0_14default_configENS1_38merge_sort_block_merge_config_selectorIlNS0_10empty_typeEEEZZNS1_27merge_sort_block_merge_implIS3_PlPS5_mZN2at6native12_GLOBAL__N_124unique_dim_cuda_templateIdEESt5tupleIJNSA_6TensorESF_SF_EERKSF_lbbbEUlllE_EE10hipError_tT0_T1_T2_jT3_P12ihipStream_tbPNSt15iterator_traitsISL_E10value_typeEPNSR_ISM_E10value_typeEPSN_NS1_7vsmem_tEENKUlT_SL_SM_SN_E_clIS8_S8_S9_S9_EESK_S10_SL_SM_SN_EUlS10_E_NS1_11comp_targetILNS1_3genE8ELNS1_11target_archE1030ELNS1_3gpuE2ELNS1_3repE0EEENS1_48merge_mergepath_partition_config_static_selectorELNS0_4arch9wavefront6targetE0EEEvSM_: ; @_ZN7rocprim17ROCPRIM_400000_NS6detail17trampoline_kernelINS0_14default_configENS1_38merge_sort_block_merge_config_selectorIlNS0_10empty_typeEEEZZNS1_27merge_sort_block_merge_implIS3_PlPS5_mZN2at6native12_GLOBAL__N_124unique_dim_cuda_templateIdEESt5tupleIJNSA_6TensorESF_SF_EERKSF_lbbbEUlllE_EE10hipError_tT0_T1_T2_jT3_P12ihipStream_tbPNSt15iterator_traitsISL_E10value_typeEPNSR_ISM_E10value_typeEPSN_NS1_7vsmem_tEENKUlT_SL_SM_SN_E_clIS8_S8_S9_S9_EESK_S10_SL_SM_SN_EUlS10_E_NS1_11comp_targetILNS1_3genE8ELNS1_11target_archE1030ELNS1_3gpuE2ELNS1_3repE0EEENS1_48merge_mergepath_partition_config_static_selectorELNS0_4arch9wavefront6targetE0EEEvSM_
; %bb.0:
	.section	.rodata,"a",@progbits
	.p2align	6, 0x0
	.amdhsa_kernel _ZN7rocprim17ROCPRIM_400000_NS6detail17trampoline_kernelINS0_14default_configENS1_38merge_sort_block_merge_config_selectorIlNS0_10empty_typeEEEZZNS1_27merge_sort_block_merge_implIS3_PlPS5_mZN2at6native12_GLOBAL__N_124unique_dim_cuda_templateIdEESt5tupleIJNSA_6TensorESF_SF_EERKSF_lbbbEUlllE_EE10hipError_tT0_T1_T2_jT3_P12ihipStream_tbPNSt15iterator_traitsISL_E10value_typeEPNSR_ISM_E10value_typeEPSN_NS1_7vsmem_tEENKUlT_SL_SM_SN_E_clIS8_S8_S9_S9_EESK_S10_SL_SM_SN_EUlS10_E_NS1_11comp_targetILNS1_3genE8ELNS1_11target_archE1030ELNS1_3gpuE2ELNS1_3repE0EEENS1_48merge_mergepath_partition_config_static_selectorELNS0_4arch9wavefront6targetE0EEEvSM_
		.amdhsa_group_segment_fixed_size 0
		.amdhsa_private_segment_fixed_size 0
		.amdhsa_kernarg_size 56
		.amdhsa_user_sgpr_count 2
		.amdhsa_user_sgpr_dispatch_ptr 0
		.amdhsa_user_sgpr_queue_ptr 0
		.amdhsa_user_sgpr_kernarg_segment_ptr 1
		.amdhsa_user_sgpr_dispatch_id 0
		.amdhsa_user_sgpr_kernarg_preload_length 0
		.amdhsa_user_sgpr_kernarg_preload_offset 0
		.amdhsa_user_sgpr_private_segment_size 0
		.amdhsa_wavefront_size32 1
		.amdhsa_uses_dynamic_stack 0
		.amdhsa_enable_private_segment 0
		.amdhsa_system_sgpr_workgroup_id_x 1
		.amdhsa_system_sgpr_workgroup_id_y 0
		.amdhsa_system_sgpr_workgroup_id_z 0
		.amdhsa_system_sgpr_workgroup_info 0
		.amdhsa_system_vgpr_workitem_id 0
		.amdhsa_next_free_vgpr 1
		.amdhsa_next_free_sgpr 1
		.amdhsa_named_barrier_count 0
		.amdhsa_reserve_vcc 0
		.amdhsa_float_round_mode_32 0
		.amdhsa_float_round_mode_16_64 0
		.amdhsa_float_denorm_mode_32 3
		.amdhsa_float_denorm_mode_16_64 3
		.amdhsa_fp16_overflow 0
		.amdhsa_memory_ordered 1
		.amdhsa_forward_progress 1
		.amdhsa_inst_pref_size 0
		.amdhsa_round_robin_scheduling 0
		.amdhsa_exception_fp_ieee_invalid_op 0
		.amdhsa_exception_fp_denorm_src 0
		.amdhsa_exception_fp_ieee_div_zero 0
		.amdhsa_exception_fp_ieee_overflow 0
		.amdhsa_exception_fp_ieee_underflow 0
		.amdhsa_exception_fp_ieee_inexact 0
		.amdhsa_exception_int_div_zero 0
	.end_amdhsa_kernel
	.section	.text._ZN7rocprim17ROCPRIM_400000_NS6detail17trampoline_kernelINS0_14default_configENS1_38merge_sort_block_merge_config_selectorIlNS0_10empty_typeEEEZZNS1_27merge_sort_block_merge_implIS3_PlPS5_mZN2at6native12_GLOBAL__N_124unique_dim_cuda_templateIdEESt5tupleIJNSA_6TensorESF_SF_EERKSF_lbbbEUlllE_EE10hipError_tT0_T1_T2_jT3_P12ihipStream_tbPNSt15iterator_traitsISL_E10value_typeEPNSR_ISM_E10value_typeEPSN_NS1_7vsmem_tEENKUlT_SL_SM_SN_E_clIS8_S8_S9_S9_EESK_S10_SL_SM_SN_EUlS10_E_NS1_11comp_targetILNS1_3genE8ELNS1_11target_archE1030ELNS1_3gpuE2ELNS1_3repE0EEENS1_48merge_mergepath_partition_config_static_selectorELNS0_4arch9wavefront6targetE0EEEvSM_,"axG",@progbits,_ZN7rocprim17ROCPRIM_400000_NS6detail17trampoline_kernelINS0_14default_configENS1_38merge_sort_block_merge_config_selectorIlNS0_10empty_typeEEEZZNS1_27merge_sort_block_merge_implIS3_PlPS5_mZN2at6native12_GLOBAL__N_124unique_dim_cuda_templateIdEESt5tupleIJNSA_6TensorESF_SF_EERKSF_lbbbEUlllE_EE10hipError_tT0_T1_T2_jT3_P12ihipStream_tbPNSt15iterator_traitsISL_E10value_typeEPNSR_ISM_E10value_typeEPSN_NS1_7vsmem_tEENKUlT_SL_SM_SN_E_clIS8_S8_S9_S9_EESK_S10_SL_SM_SN_EUlS10_E_NS1_11comp_targetILNS1_3genE8ELNS1_11target_archE1030ELNS1_3gpuE2ELNS1_3repE0EEENS1_48merge_mergepath_partition_config_static_selectorELNS0_4arch9wavefront6targetE0EEEvSM_,comdat
.Lfunc_end765:
	.size	_ZN7rocprim17ROCPRIM_400000_NS6detail17trampoline_kernelINS0_14default_configENS1_38merge_sort_block_merge_config_selectorIlNS0_10empty_typeEEEZZNS1_27merge_sort_block_merge_implIS3_PlPS5_mZN2at6native12_GLOBAL__N_124unique_dim_cuda_templateIdEESt5tupleIJNSA_6TensorESF_SF_EERKSF_lbbbEUlllE_EE10hipError_tT0_T1_T2_jT3_P12ihipStream_tbPNSt15iterator_traitsISL_E10value_typeEPNSR_ISM_E10value_typeEPSN_NS1_7vsmem_tEENKUlT_SL_SM_SN_E_clIS8_S8_S9_S9_EESK_S10_SL_SM_SN_EUlS10_E_NS1_11comp_targetILNS1_3genE8ELNS1_11target_archE1030ELNS1_3gpuE2ELNS1_3repE0EEENS1_48merge_mergepath_partition_config_static_selectorELNS0_4arch9wavefront6targetE0EEEvSM_, .Lfunc_end765-_ZN7rocprim17ROCPRIM_400000_NS6detail17trampoline_kernelINS0_14default_configENS1_38merge_sort_block_merge_config_selectorIlNS0_10empty_typeEEEZZNS1_27merge_sort_block_merge_implIS3_PlPS5_mZN2at6native12_GLOBAL__N_124unique_dim_cuda_templateIdEESt5tupleIJNSA_6TensorESF_SF_EERKSF_lbbbEUlllE_EE10hipError_tT0_T1_T2_jT3_P12ihipStream_tbPNSt15iterator_traitsISL_E10value_typeEPNSR_ISM_E10value_typeEPSN_NS1_7vsmem_tEENKUlT_SL_SM_SN_E_clIS8_S8_S9_S9_EESK_S10_SL_SM_SN_EUlS10_E_NS1_11comp_targetILNS1_3genE8ELNS1_11target_archE1030ELNS1_3gpuE2ELNS1_3repE0EEENS1_48merge_mergepath_partition_config_static_selectorELNS0_4arch9wavefront6targetE0EEEvSM_
                                        ; -- End function
	.set _ZN7rocprim17ROCPRIM_400000_NS6detail17trampoline_kernelINS0_14default_configENS1_38merge_sort_block_merge_config_selectorIlNS0_10empty_typeEEEZZNS1_27merge_sort_block_merge_implIS3_PlPS5_mZN2at6native12_GLOBAL__N_124unique_dim_cuda_templateIdEESt5tupleIJNSA_6TensorESF_SF_EERKSF_lbbbEUlllE_EE10hipError_tT0_T1_T2_jT3_P12ihipStream_tbPNSt15iterator_traitsISL_E10value_typeEPNSR_ISM_E10value_typeEPSN_NS1_7vsmem_tEENKUlT_SL_SM_SN_E_clIS8_S8_S9_S9_EESK_S10_SL_SM_SN_EUlS10_E_NS1_11comp_targetILNS1_3genE8ELNS1_11target_archE1030ELNS1_3gpuE2ELNS1_3repE0EEENS1_48merge_mergepath_partition_config_static_selectorELNS0_4arch9wavefront6targetE0EEEvSM_.num_vgpr, 0
	.set _ZN7rocprim17ROCPRIM_400000_NS6detail17trampoline_kernelINS0_14default_configENS1_38merge_sort_block_merge_config_selectorIlNS0_10empty_typeEEEZZNS1_27merge_sort_block_merge_implIS3_PlPS5_mZN2at6native12_GLOBAL__N_124unique_dim_cuda_templateIdEESt5tupleIJNSA_6TensorESF_SF_EERKSF_lbbbEUlllE_EE10hipError_tT0_T1_T2_jT3_P12ihipStream_tbPNSt15iterator_traitsISL_E10value_typeEPNSR_ISM_E10value_typeEPSN_NS1_7vsmem_tEENKUlT_SL_SM_SN_E_clIS8_S8_S9_S9_EESK_S10_SL_SM_SN_EUlS10_E_NS1_11comp_targetILNS1_3genE8ELNS1_11target_archE1030ELNS1_3gpuE2ELNS1_3repE0EEENS1_48merge_mergepath_partition_config_static_selectorELNS0_4arch9wavefront6targetE0EEEvSM_.num_agpr, 0
	.set _ZN7rocprim17ROCPRIM_400000_NS6detail17trampoline_kernelINS0_14default_configENS1_38merge_sort_block_merge_config_selectorIlNS0_10empty_typeEEEZZNS1_27merge_sort_block_merge_implIS3_PlPS5_mZN2at6native12_GLOBAL__N_124unique_dim_cuda_templateIdEESt5tupleIJNSA_6TensorESF_SF_EERKSF_lbbbEUlllE_EE10hipError_tT0_T1_T2_jT3_P12ihipStream_tbPNSt15iterator_traitsISL_E10value_typeEPNSR_ISM_E10value_typeEPSN_NS1_7vsmem_tEENKUlT_SL_SM_SN_E_clIS8_S8_S9_S9_EESK_S10_SL_SM_SN_EUlS10_E_NS1_11comp_targetILNS1_3genE8ELNS1_11target_archE1030ELNS1_3gpuE2ELNS1_3repE0EEENS1_48merge_mergepath_partition_config_static_selectorELNS0_4arch9wavefront6targetE0EEEvSM_.numbered_sgpr, 0
	.set _ZN7rocprim17ROCPRIM_400000_NS6detail17trampoline_kernelINS0_14default_configENS1_38merge_sort_block_merge_config_selectorIlNS0_10empty_typeEEEZZNS1_27merge_sort_block_merge_implIS3_PlPS5_mZN2at6native12_GLOBAL__N_124unique_dim_cuda_templateIdEESt5tupleIJNSA_6TensorESF_SF_EERKSF_lbbbEUlllE_EE10hipError_tT0_T1_T2_jT3_P12ihipStream_tbPNSt15iterator_traitsISL_E10value_typeEPNSR_ISM_E10value_typeEPSN_NS1_7vsmem_tEENKUlT_SL_SM_SN_E_clIS8_S8_S9_S9_EESK_S10_SL_SM_SN_EUlS10_E_NS1_11comp_targetILNS1_3genE8ELNS1_11target_archE1030ELNS1_3gpuE2ELNS1_3repE0EEENS1_48merge_mergepath_partition_config_static_selectorELNS0_4arch9wavefront6targetE0EEEvSM_.num_named_barrier, 0
	.set _ZN7rocprim17ROCPRIM_400000_NS6detail17trampoline_kernelINS0_14default_configENS1_38merge_sort_block_merge_config_selectorIlNS0_10empty_typeEEEZZNS1_27merge_sort_block_merge_implIS3_PlPS5_mZN2at6native12_GLOBAL__N_124unique_dim_cuda_templateIdEESt5tupleIJNSA_6TensorESF_SF_EERKSF_lbbbEUlllE_EE10hipError_tT0_T1_T2_jT3_P12ihipStream_tbPNSt15iterator_traitsISL_E10value_typeEPNSR_ISM_E10value_typeEPSN_NS1_7vsmem_tEENKUlT_SL_SM_SN_E_clIS8_S8_S9_S9_EESK_S10_SL_SM_SN_EUlS10_E_NS1_11comp_targetILNS1_3genE8ELNS1_11target_archE1030ELNS1_3gpuE2ELNS1_3repE0EEENS1_48merge_mergepath_partition_config_static_selectorELNS0_4arch9wavefront6targetE0EEEvSM_.private_seg_size, 0
	.set _ZN7rocprim17ROCPRIM_400000_NS6detail17trampoline_kernelINS0_14default_configENS1_38merge_sort_block_merge_config_selectorIlNS0_10empty_typeEEEZZNS1_27merge_sort_block_merge_implIS3_PlPS5_mZN2at6native12_GLOBAL__N_124unique_dim_cuda_templateIdEESt5tupleIJNSA_6TensorESF_SF_EERKSF_lbbbEUlllE_EE10hipError_tT0_T1_T2_jT3_P12ihipStream_tbPNSt15iterator_traitsISL_E10value_typeEPNSR_ISM_E10value_typeEPSN_NS1_7vsmem_tEENKUlT_SL_SM_SN_E_clIS8_S8_S9_S9_EESK_S10_SL_SM_SN_EUlS10_E_NS1_11comp_targetILNS1_3genE8ELNS1_11target_archE1030ELNS1_3gpuE2ELNS1_3repE0EEENS1_48merge_mergepath_partition_config_static_selectorELNS0_4arch9wavefront6targetE0EEEvSM_.uses_vcc, 0
	.set _ZN7rocprim17ROCPRIM_400000_NS6detail17trampoline_kernelINS0_14default_configENS1_38merge_sort_block_merge_config_selectorIlNS0_10empty_typeEEEZZNS1_27merge_sort_block_merge_implIS3_PlPS5_mZN2at6native12_GLOBAL__N_124unique_dim_cuda_templateIdEESt5tupleIJNSA_6TensorESF_SF_EERKSF_lbbbEUlllE_EE10hipError_tT0_T1_T2_jT3_P12ihipStream_tbPNSt15iterator_traitsISL_E10value_typeEPNSR_ISM_E10value_typeEPSN_NS1_7vsmem_tEENKUlT_SL_SM_SN_E_clIS8_S8_S9_S9_EESK_S10_SL_SM_SN_EUlS10_E_NS1_11comp_targetILNS1_3genE8ELNS1_11target_archE1030ELNS1_3gpuE2ELNS1_3repE0EEENS1_48merge_mergepath_partition_config_static_selectorELNS0_4arch9wavefront6targetE0EEEvSM_.uses_flat_scratch, 0
	.set _ZN7rocprim17ROCPRIM_400000_NS6detail17trampoline_kernelINS0_14default_configENS1_38merge_sort_block_merge_config_selectorIlNS0_10empty_typeEEEZZNS1_27merge_sort_block_merge_implIS3_PlPS5_mZN2at6native12_GLOBAL__N_124unique_dim_cuda_templateIdEESt5tupleIJNSA_6TensorESF_SF_EERKSF_lbbbEUlllE_EE10hipError_tT0_T1_T2_jT3_P12ihipStream_tbPNSt15iterator_traitsISL_E10value_typeEPNSR_ISM_E10value_typeEPSN_NS1_7vsmem_tEENKUlT_SL_SM_SN_E_clIS8_S8_S9_S9_EESK_S10_SL_SM_SN_EUlS10_E_NS1_11comp_targetILNS1_3genE8ELNS1_11target_archE1030ELNS1_3gpuE2ELNS1_3repE0EEENS1_48merge_mergepath_partition_config_static_selectorELNS0_4arch9wavefront6targetE0EEEvSM_.has_dyn_sized_stack, 0
	.set _ZN7rocprim17ROCPRIM_400000_NS6detail17trampoline_kernelINS0_14default_configENS1_38merge_sort_block_merge_config_selectorIlNS0_10empty_typeEEEZZNS1_27merge_sort_block_merge_implIS3_PlPS5_mZN2at6native12_GLOBAL__N_124unique_dim_cuda_templateIdEESt5tupleIJNSA_6TensorESF_SF_EERKSF_lbbbEUlllE_EE10hipError_tT0_T1_T2_jT3_P12ihipStream_tbPNSt15iterator_traitsISL_E10value_typeEPNSR_ISM_E10value_typeEPSN_NS1_7vsmem_tEENKUlT_SL_SM_SN_E_clIS8_S8_S9_S9_EESK_S10_SL_SM_SN_EUlS10_E_NS1_11comp_targetILNS1_3genE8ELNS1_11target_archE1030ELNS1_3gpuE2ELNS1_3repE0EEENS1_48merge_mergepath_partition_config_static_selectorELNS0_4arch9wavefront6targetE0EEEvSM_.has_recursion, 0
	.set _ZN7rocprim17ROCPRIM_400000_NS6detail17trampoline_kernelINS0_14default_configENS1_38merge_sort_block_merge_config_selectorIlNS0_10empty_typeEEEZZNS1_27merge_sort_block_merge_implIS3_PlPS5_mZN2at6native12_GLOBAL__N_124unique_dim_cuda_templateIdEESt5tupleIJNSA_6TensorESF_SF_EERKSF_lbbbEUlllE_EE10hipError_tT0_T1_T2_jT3_P12ihipStream_tbPNSt15iterator_traitsISL_E10value_typeEPNSR_ISM_E10value_typeEPSN_NS1_7vsmem_tEENKUlT_SL_SM_SN_E_clIS8_S8_S9_S9_EESK_S10_SL_SM_SN_EUlS10_E_NS1_11comp_targetILNS1_3genE8ELNS1_11target_archE1030ELNS1_3gpuE2ELNS1_3repE0EEENS1_48merge_mergepath_partition_config_static_selectorELNS0_4arch9wavefront6targetE0EEEvSM_.has_indirect_call, 0
	.section	.AMDGPU.csdata,"",@progbits
; Kernel info:
; codeLenInByte = 0
; TotalNumSgprs: 0
; NumVgprs: 0
; ScratchSize: 0
; MemoryBound: 0
; FloatMode: 240
; IeeeMode: 1
; LDSByteSize: 0 bytes/workgroup (compile time only)
; SGPRBlocks: 0
; VGPRBlocks: 0
; NumSGPRsForWavesPerEU: 1
; NumVGPRsForWavesPerEU: 1
; NamedBarCnt: 0
; Occupancy: 16
; WaveLimiterHint : 0
; COMPUTE_PGM_RSRC2:SCRATCH_EN: 0
; COMPUTE_PGM_RSRC2:USER_SGPR: 2
; COMPUTE_PGM_RSRC2:TRAP_HANDLER: 0
; COMPUTE_PGM_RSRC2:TGID_X_EN: 1
; COMPUTE_PGM_RSRC2:TGID_Y_EN: 0
; COMPUTE_PGM_RSRC2:TGID_Z_EN: 0
; COMPUTE_PGM_RSRC2:TIDIG_COMP_CNT: 0
	.section	.text._ZN7rocprim17ROCPRIM_400000_NS6detail17trampoline_kernelINS0_14default_configENS1_38merge_sort_block_merge_config_selectorIlNS0_10empty_typeEEEZZNS1_27merge_sort_block_merge_implIS3_PlPS5_mZN2at6native12_GLOBAL__N_124unique_dim_cuda_templateIdEESt5tupleIJNSA_6TensorESF_SF_EERKSF_lbbbEUlllE_EE10hipError_tT0_T1_T2_jT3_P12ihipStream_tbPNSt15iterator_traitsISL_E10value_typeEPNSR_ISM_E10value_typeEPSN_NS1_7vsmem_tEENKUlT_SL_SM_SN_E_clIS8_S8_S9_S9_EESK_S10_SL_SM_SN_EUlS10_E0_NS1_11comp_targetILNS1_3genE0ELNS1_11target_archE4294967295ELNS1_3gpuE0ELNS1_3repE0EEENS1_38merge_mergepath_config_static_selectorELNS0_4arch9wavefront6targetE0EEEvSM_,"axG",@progbits,_ZN7rocprim17ROCPRIM_400000_NS6detail17trampoline_kernelINS0_14default_configENS1_38merge_sort_block_merge_config_selectorIlNS0_10empty_typeEEEZZNS1_27merge_sort_block_merge_implIS3_PlPS5_mZN2at6native12_GLOBAL__N_124unique_dim_cuda_templateIdEESt5tupleIJNSA_6TensorESF_SF_EERKSF_lbbbEUlllE_EE10hipError_tT0_T1_T2_jT3_P12ihipStream_tbPNSt15iterator_traitsISL_E10value_typeEPNSR_ISM_E10value_typeEPSN_NS1_7vsmem_tEENKUlT_SL_SM_SN_E_clIS8_S8_S9_S9_EESK_S10_SL_SM_SN_EUlS10_E0_NS1_11comp_targetILNS1_3genE0ELNS1_11target_archE4294967295ELNS1_3gpuE0ELNS1_3repE0EEENS1_38merge_mergepath_config_static_selectorELNS0_4arch9wavefront6targetE0EEEvSM_,comdat
	.globl	_ZN7rocprim17ROCPRIM_400000_NS6detail17trampoline_kernelINS0_14default_configENS1_38merge_sort_block_merge_config_selectorIlNS0_10empty_typeEEEZZNS1_27merge_sort_block_merge_implIS3_PlPS5_mZN2at6native12_GLOBAL__N_124unique_dim_cuda_templateIdEESt5tupleIJNSA_6TensorESF_SF_EERKSF_lbbbEUlllE_EE10hipError_tT0_T1_T2_jT3_P12ihipStream_tbPNSt15iterator_traitsISL_E10value_typeEPNSR_ISM_E10value_typeEPSN_NS1_7vsmem_tEENKUlT_SL_SM_SN_E_clIS8_S8_S9_S9_EESK_S10_SL_SM_SN_EUlS10_E0_NS1_11comp_targetILNS1_3genE0ELNS1_11target_archE4294967295ELNS1_3gpuE0ELNS1_3repE0EEENS1_38merge_mergepath_config_static_selectorELNS0_4arch9wavefront6targetE0EEEvSM_ ; -- Begin function _ZN7rocprim17ROCPRIM_400000_NS6detail17trampoline_kernelINS0_14default_configENS1_38merge_sort_block_merge_config_selectorIlNS0_10empty_typeEEEZZNS1_27merge_sort_block_merge_implIS3_PlPS5_mZN2at6native12_GLOBAL__N_124unique_dim_cuda_templateIdEESt5tupleIJNSA_6TensorESF_SF_EERKSF_lbbbEUlllE_EE10hipError_tT0_T1_T2_jT3_P12ihipStream_tbPNSt15iterator_traitsISL_E10value_typeEPNSR_ISM_E10value_typeEPSN_NS1_7vsmem_tEENKUlT_SL_SM_SN_E_clIS8_S8_S9_S9_EESK_S10_SL_SM_SN_EUlS10_E0_NS1_11comp_targetILNS1_3genE0ELNS1_11target_archE4294967295ELNS1_3gpuE0ELNS1_3repE0EEENS1_38merge_mergepath_config_static_selectorELNS0_4arch9wavefront6targetE0EEEvSM_
	.p2align	8
	.type	_ZN7rocprim17ROCPRIM_400000_NS6detail17trampoline_kernelINS0_14default_configENS1_38merge_sort_block_merge_config_selectorIlNS0_10empty_typeEEEZZNS1_27merge_sort_block_merge_implIS3_PlPS5_mZN2at6native12_GLOBAL__N_124unique_dim_cuda_templateIdEESt5tupleIJNSA_6TensorESF_SF_EERKSF_lbbbEUlllE_EE10hipError_tT0_T1_T2_jT3_P12ihipStream_tbPNSt15iterator_traitsISL_E10value_typeEPNSR_ISM_E10value_typeEPSN_NS1_7vsmem_tEENKUlT_SL_SM_SN_E_clIS8_S8_S9_S9_EESK_S10_SL_SM_SN_EUlS10_E0_NS1_11comp_targetILNS1_3genE0ELNS1_11target_archE4294967295ELNS1_3gpuE0ELNS1_3repE0EEENS1_38merge_mergepath_config_static_selectorELNS0_4arch9wavefront6targetE0EEEvSM_,@function
_ZN7rocprim17ROCPRIM_400000_NS6detail17trampoline_kernelINS0_14default_configENS1_38merge_sort_block_merge_config_selectorIlNS0_10empty_typeEEEZZNS1_27merge_sort_block_merge_implIS3_PlPS5_mZN2at6native12_GLOBAL__N_124unique_dim_cuda_templateIdEESt5tupleIJNSA_6TensorESF_SF_EERKSF_lbbbEUlllE_EE10hipError_tT0_T1_T2_jT3_P12ihipStream_tbPNSt15iterator_traitsISL_E10value_typeEPNSR_ISM_E10value_typeEPSN_NS1_7vsmem_tEENKUlT_SL_SM_SN_E_clIS8_S8_S9_S9_EESK_S10_SL_SM_SN_EUlS10_E0_NS1_11comp_targetILNS1_3genE0ELNS1_11target_archE4294967295ELNS1_3gpuE0ELNS1_3repE0EEENS1_38merge_mergepath_config_static_selectorELNS0_4arch9wavefront6targetE0EEEvSM_: ; @_ZN7rocprim17ROCPRIM_400000_NS6detail17trampoline_kernelINS0_14default_configENS1_38merge_sort_block_merge_config_selectorIlNS0_10empty_typeEEEZZNS1_27merge_sort_block_merge_implIS3_PlPS5_mZN2at6native12_GLOBAL__N_124unique_dim_cuda_templateIdEESt5tupleIJNSA_6TensorESF_SF_EERKSF_lbbbEUlllE_EE10hipError_tT0_T1_T2_jT3_P12ihipStream_tbPNSt15iterator_traitsISL_E10value_typeEPNSR_ISM_E10value_typeEPSN_NS1_7vsmem_tEENKUlT_SL_SM_SN_E_clIS8_S8_S9_S9_EESK_S10_SL_SM_SN_EUlS10_E0_NS1_11comp_targetILNS1_3genE0ELNS1_11target_archE4294967295ELNS1_3gpuE0ELNS1_3repE0EEENS1_38merge_mergepath_config_static_selectorELNS0_4arch9wavefront6targetE0EEEvSM_
; %bb.0:
	s_bfe_u32 s2, ttmp6, 0x40010
	s_and_b32 s4, ttmp7, 0xffff
	s_add_co_i32 s5, s2, 1
	s_clause 0x1
	s_load_b32 s6, s[0:1], 0x38
	s_load_b64 s[2:3], s[0:1], 0x58
	s_bfe_u32 s8, ttmp6, 0x4000c
	s_mul_i32 s5, s4, s5
	s_bfe_u32 s7, ttmp6, 0x40004
	s_add_co_i32 s8, s8, 1
	s_bfe_u32 s9, ttmp6, 0x40014
	s_add_co_i32 s7, s7, s5
	s_and_b32 s5, ttmp6, 15
	s_mul_i32 s8, ttmp9, s8
	s_lshr_b32 s10, ttmp7, 16
	s_add_co_i32 s9, s9, 1
	s_add_co_i32 s5, s5, s8
	s_mul_i32 s8, s10, s9
	s_bfe_u32 s9, ttmp6, 0x40008
	s_getreg_b32 s11, hwreg(HW_REG_IB_STS2, 6, 4)
	s_add_co_i32 s9, s9, s8
	s_cmp_eq_u32 s11, 0
	s_mov_b32 s19, 0
	s_cselect_b32 s8, s10, s9
	s_cselect_b32 s4, s4, s7
	s_wait_kmcnt 0x0
	s_mul_i32 s8, s3, s8
	s_cselect_b32 s3, ttmp9, s5
	s_add_co_i32 s4, s8, s4
	s_delay_alu instid0(SALU_CYCLE_1) | instskip(NEXT) | instid1(SALU_CYCLE_1)
	s_mul_i32 s4, s4, s2
	s_add_co_i32 s18, s4, s3
	s_delay_alu instid0(SALU_CYCLE_1)
	s_cmp_ge_u32 s18, s6
	s_cbranch_scc1 .LBB766_116
; %bb.1:
	s_clause 0x1
	s_load_b64 s[4:5], s[0:1], 0x50
	s_load_b128 s[8:11], s[0:1], 0x28
	s_lshl_b64 s[6:7], s[18:19], 3
	s_mov_b32 s23, s19
	s_add_nc_u64 s[20:21], s[0:1], 0x58
	s_wait_kmcnt 0x0
	s_add_nc_u64 s[16:17], s[4:5], s[6:7]
	s_load_b128 s[12:15], s[16:17], 0x0
	s_load_b128 s[4:7], s[0:1], 0x8
	s_wait_xcnt 0x0
	s_lshr_b64 s[16:17], s[10:11], 9
	s_delay_alu instid0(SALU_CYCLE_1) | instskip(NEXT) | instid1(SALU_CYCLE_1)
	s_and_b32 s16, s16, -2
	s_sub_co_i32 s30, 0, s16
	s_lshl_b64 s[16:17], s[18:19], 10
	s_and_b32 s22, s18, s30
	s_or_b32 s30, s18, s30
	s_lshl_b64 s[24:25], s[22:23], 10
	s_lshl_b64 s[22:23], s[22:23], 11
	s_sub_nc_u64 s[28:29], s[16:17], s[24:25]
	s_add_nc_u64 s[26:27], s[22:23], s[10:11]
	s_cmp_lg_u32 s30, -1
	s_add_nc_u64 s[22:23], s[26:27], s[28:29]
	s_mov_b32 s28, -1
	s_cbranch_scc0 .LBB766_3
; %bb.2:
	s_wait_kmcnt 0x0
	s_sub_nc_u64 s[10:11], s[22:23], s[14:15]
	v_mov_b64_e32 v[2:3], s[14:15]
	s_add_nc_u64 s[10:11], s[10:11], 0x400
	s_branch .LBB766_4
.LBB766_3:
	s_wait_kmcnt 0x0
	s_sub_nc_u64 s[14:15], s[26:27], s[24:25]
	s_delay_alu instid0(SALU_CYCLE_1)
	v_min_u64 v[2:3], s[8:9], s[14:15]
	s_add_nc_u64 s[10:11], s[14:15], s[10:11]
.LBB766_4:
	v_mov_b32_e32 v21, 0
	v_min_u64 v[4:5], s[8:9], s[10:11]
	s_sub_nc_u64 s[10:11], s[22:23], s[12:13]
	v_lshlrev_b32_e32 v20, 3, v0
	v_min_u64 v[6:7], s[8:9], s[10:11]
	global_load_b32 v1, v21, s[20:21] offset:14
	s_lshr_b64 s[10:11], s[8:9], 10
	s_delay_alu instid0(SALU_CYCLE_1)
	s_cmp_lg_u64 s[10:11], s[18:19]
	s_cselect_b32 s9, -1, 0
	s_lshl_b64 s[14:15], s[12:13], 3
	s_cmp_lt_u32 s3, s2
	s_mov_b32 s3, 0
	s_cselect_b32 s2, 12, 18
	s_cmp_eq_u64 s[10:11], s[18:19]
	s_add_nc_u64 s[2:3], s[20:21], s[2:3]
	s_add_nc_u64 s[10:11], s[4:5], s[14:15]
	s_load_u16 s2, s[2:3], 0x0
	v_lshlrev_b64_e32 v[8:9], 3, v[6:7]
	v_sub_nc_u32_e32 v24, v4, v6
	s_delay_alu instid0(VALU_DEP_2) | instskip(SKIP_3) | instid1(VALU_DEP_1)
	v_add_nc_u64_e32 v[22:23], s[4:5], v[8:9]
	s_wait_loadcnt 0x0
	v_lshrrev_b32_e32 v3, 16, v1
	v_and_b32_e32 v1, 0xffff, v1
	v_mul_lo_u32 v1, v1, v3
	s_wait_kmcnt 0x0
	s_delay_alu instid0(VALU_DEP_1)
	v_mul_lo_u32 v25, v1, s2
	v_subrev_nc_u32_e32 v1, s12, v2
	s_cbranch_scc1 .LBB766_6
; %bb.5:
	s_delay_alu instid0(VALU_DEP_1) | instskip(SKIP_3) | instid1(VALU_DEP_3)
	v_sub_co_u32 v4, vcc_lo, v0, v1
	v_dual_mov_b32 v5, v21 :: v_dual_mov_b32 v7, v21
	v_add_nc_u64_e32 v[2:3], s[10:11], v[20:21]
	v_dual_mov_b32 v17, v21 :: v_dual_mov_b32 v19, v21
	v_lshl_add_u64 v[4:5], v[4:5], 3, v[22:23]
	v_add_nc_u32_e32 v6, v25, v0
	s_delay_alu instid0(VALU_DEP_2) | instskip(NEXT) | instid1(VALU_DEP_2)
	v_dual_add_nc_u32 v36, v1, v24 :: v_dual_cndmask_b32 v2, v4, v2, vcc_lo
	v_lshl_add_u64 v[8:9], v[6:7], 3, s[10:11]
	v_sub_co_u32 v10, s2, v6, v1
	v_dual_mov_b32 v11, v21 :: v_dual_add_nc_u32 v6, v6, v25
	v_cndmask_b32_e32 v3, v5, v3, vcc_lo
	s_delay_alu instid0(VALU_DEP_2) | instskip(NEXT) | instid1(VALU_DEP_3)
	v_lshl_add_u64 v[4:5], v[10:11], 3, v[22:23]
	v_lshl_add_u64 v[10:11], v[6:7], 3, s[10:11]
	v_sub_co_u32 v12, vcc_lo, v6, v1
	s_delay_alu instid0(VALU_DEP_3) | instskip(SKIP_3) | instid1(VALU_DEP_4)
	v_dual_mov_b32 v13, v21 :: v_dual_cndmask_b32 v4, v4, v8, s2
	v_add_nc_u32_e32 v6, v6, v25
	v_cndmask_b32_e64 v5, v5, v9, s2
	v_mov_b32_e32 v15, v21
	v_lshl_add_u64 v[8:9], v[12:13], 3, v[22:23]
	global_load_b64 v[2:3], v[2:3], off
	v_lshl_add_u64 v[12:13], v[6:7], 3, s[10:11]
	v_sub_co_u32 v14, s2, v6, v1
	v_dual_cndmask_b32 v9, v9, v11 :: v_dual_add_nc_u32 v6, v6, v25
	v_cndmask_b32_e32 v8, v8, v10, vcc_lo
	s_delay_alu instid0(VALU_DEP_3) | instskip(SKIP_4) | instid1(VALU_DEP_3)
	v_lshl_add_u64 v[10:11], v[14:15], 3, v[22:23]
	global_load_b64 v[4:5], v[4:5], off
	v_add_nc_u32_e32 v18, v6, v25
	v_sub_co_u32 v16, vcc_lo, v6, v1
	v_dual_cndmask_b32 v27, v11, v13, s2 :: v_dual_cndmask_b32 v26, v10, v12, s2
	v_dual_mov_b32 v13, v21 :: v_dual_add_nc_u32 v12, v18, v25
	v_lshl_add_u64 v[14:15], v[6:7], 3, s[10:11]
	global_load_b64 v[6:7], v[8:9], off
	s_wait_xcnt 0x0
	v_lshl_add_u64 v[8:9], v[16:17], 3, v[22:23]
	v_lshl_add_u64 v[10:11], v[18:19], 3, s[10:11]
	v_sub_co_u32 v16, s2, v18, v1
	s_delay_alu instid0(VALU_DEP_3) | instskip(SKIP_2) | instid1(VALU_DEP_3)
	v_dual_cndmask_b32 v33, v9, v15 :: v_dual_add_nc_u32 v18, v12, v25
	v_lshl_add_u64 v[28:29], v[12:13], 3, s[10:11]
	v_sub_co_u32 v12, s3, v12, v1
	v_lshl_add_u64 v[30:31], v[18:19], 3, s[10:11]
	v_sub_co_u32 v18, s4, v18, v1
	v_lshl_add_u64 v[16:17], v[16:17], 3, v[22:23]
	s_delay_alu instid0(VALU_DEP_4) | instskip(SKIP_1) | instid1(VALU_DEP_4)
	v_lshl_add_u64 v[12:13], v[12:13], 3, v[22:23]
	v_cndmask_b32_e32 v32, v8, v14, vcc_lo
	v_lshl_add_u64 v[8:9], v[18:19], 3, v[22:23]
	s_delay_alu instid0(VALU_DEP_4) | instskip(NEXT) | instid1(VALU_DEP_4)
	v_dual_cndmask_b32 v19, v17, v11, s2 :: v_dual_cndmask_b32 v18, v16, v10, s2
	v_dual_cndmask_b32 v29, v13, v29, s3 :: v_dual_cndmask_b32 v28, v12, v28, s3
	s_delay_alu instid0(VALU_DEP_3)
	v_dual_cndmask_b32 v31, v9, v31, s4 :: v_dual_cndmask_b32 v30, v8, v30, s4
	global_load_b64 v[8:9], v[26:27], off
	global_load_b64 v[10:11], v[32:33], off
	;; [unrolled: 1-line block ×5, first 2 shown]
	s_cbranch_execz .LBB766_7
	s_branch .LBB766_24
.LBB766_6:
                                        ; implicit-def: $vgpr2_vgpr3_vgpr4_vgpr5_vgpr6_vgpr7_vgpr8_vgpr9_vgpr10_vgpr11_vgpr12_vgpr13_vgpr14_vgpr15_vgpr16_vgpr17
                                        ; implicit-def: $vgpr36
	s_and_not1_b32 vcc_lo, exec_lo, s28
	s_cbranch_vccnz .LBB766_24
.LBB766_7:
	s_wait_loadcnt 0x7
	v_dual_add_nc_u32 v36, v1, v24 :: v_dual_mov_b32 v2, 0
	s_mov_b32 s2, exec_lo
	s_wait_loadcnt 0x6
	s_delay_alu instid0(VALU_DEP_1)
	v_dual_mov_b32 v3, v2 :: v_dual_mov_b32 v4, v2
	s_wait_loadcnt 0x5
	v_dual_mov_b32 v5, v2 :: v_dual_mov_b32 v6, v2
	s_wait_loadcnt 0x4
	;; [unrolled: 2-line block ×6, first 2 shown]
	v_dual_mov_b32 v15, v2 :: v_dual_mov_b32 v16, v2
	v_mov_b32_e32 v17, v2
	v_cmpx_lt_u32_e64 v0, v36
	s_cbranch_execz .LBB766_9
; %bb.8:
	v_dual_mov_b32 v21, v2 :: v_dual_mov_b32 v5, v2
	v_sub_co_u32 v4, vcc_lo, v0, v1
	v_dual_mov_b32 v18, v2 :: v_dual_mov_b32 v19, v2
	s_delay_alu instid0(VALU_DEP_3) | instskip(NEXT) | instid1(VALU_DEP_3)
	v_add_nc_u64_e32 v[6:7], s[10:11], v[20:21]
	v_lshl_add_u64 v[4:5], v[4:5], 3, v[22:23]
	v_dual_mov_b32 v8, v2 :: v_dual_mov_b32 v9, v2
	v_dual_mov_b32 v10, v2 :: v_dual_mov_b32 v11, v2
	;; [unrolled: 1-line block ×3, first 2 shown]
	s_delay_alu instid0(VALU_DEP_4)
	v_dual_cndmask_b32 v5, v5, v7 :: v_dual_cndmask_b32 v4, v4, v6
	v_dual_mov_b32 v6, v2 :: v_dual_mov_b32 v7, v2
	v_dual_mov_b32 v14, v2 :: v_dual_mov_b32 v15, v2
	global_load_b64 v[4:5], v[4:5], off
	v_dual_mov_b32 v16, v2 :: v_dual_mov_b32 v17, v2
	s_wait_loadcnt 0x0
	v_mov_b64_e32 v[2:3], v[4:5]
	v_mov_b64_e32 v[4:5], v[6:7]
	;; [unrolled: 1-line block ×8, first 2 shown]
.LBB766_9:
	s_or_b32 exec_lo, exec_lo, s2
	v_add_nc_u32_e32 v18, v25, v0
	s_mov_b32 s2, exec_lo
	s_delay_alu instid0(VALU_DEP_1)
	v_cmpx_lt_u32_e64 v18, v36
	s_cbranch_execz .LBB766_11
; %bb.10:
	v_sub_co_u32 v26, vcc_lo, v18, v1
	v_mov_b32_e32 v19, 0
	s_delay_alu instid0(VALU_DEP_1) | instskip(SKIP_1) | instid1(VALU_DEP_1)
	v_lshl_add_u64 v[4:5], v[18:19], 3, s[10:11]
	v_mov_b32_e32 v27, v19
	v_lshl_add_u64 v[26:27], v[26:27], 3, v[22:23]
	s_delay_alu instid0(VALU_DEP_1)
	v_dual_cndmask_b32 v5, v27, v5 :: v_dual_cndmask_b32 v4, v26, v4
	global_load_b64 v[4:5], v[4:5], off
.LBB766_11:
	s_wait_xcnt 0x0
	s_or_b32 exec_lo, exec_lo, s2
	v_add_nc_u32_e32 v18, v18, v25
	s_mov_b32 s2, exec_lo
	s_delay_alu instid0(VALU_DEP_1)
	v_cmpx_lt_u32_e64 v18, v36
	s_cbranch_execz .LBB766_13
; %bb.12:
	v_sub_co_u32 v26, vcc_lo, v18, v1
	v_mov_b32_e32 v19, 0
	s_delay_alu instid0(VALU_DEP_1) | instskip(SKIP_1) | instid1(VALU_DEP_1)
	v_lshl_add_u64 v[6:7], v[18:19], 3, s[10:11]
	v_mov_b32_e32 v27, v19
	v_lshl_add_u64 v[26:27], v[26:27], 3, v[22:23]
	s_delay_alu instid0(VALU_DEP_1)
	v_dual_cndmask_b32 v7, v27, v7 :: v_dual_cndmask_b32 v6, v26, v6
	global_load_b64 v[6:7], v[6:7], off
.LBB766_13:
	s_wait_xcnt 0x0
	;; [unrolled: 18-line block ×6, first 2 shown]
	s_or_b32 exec_lo, exec_lo, s2
	v_add_nc_u32_e32 v18, v18, v25
	s_mov_b32 s2, exec_lo
	s_delay_alu instid0(VALU_DEP_1)
	v_cmpx_lt_u32_e64 v18, v36
	s_cbranch_execz .LBB766_23
; %bb.22:
	v_mov_b32_e32 v19, 0
	s_delay_alu instid0(VALU_DEP_1) | instskip(SKIP_1) | instid1(VALU_DEP_1)
	v_lshl_add_u64 v[16:17], v[18:19], 3, s[10:11]
	v_sub_co_u32 v18, vcc_lo, v18, v1
	v_lshl_add_u64 v[18:19], v[18:19], 3, v[22:23]
	s_delay_alu instid0(VALU_DEP_1)
	v_dual_cndmask_b32 v17, v19, v17 :: v_dual_cndmask_b32 v16, v18, v16
	global_load_b64 v[16:17], v[16:17], off
.LBB766_23:
	s_wait_xcnt 0x0
	s_or_b32 exec_lo, exec_lo, s2
.LBB766_24:
	s_load_b128 s[12:15], s[0:1], 0x40
	v_min_u32_e32 v25, v36, v20
	s_wait_xcnt 0x0
	s_mov_b32 s1, exec_lo
	s_wait_loadcnt 0x0
	ds_store_2addr_stride64_b64 v20, v[2:3], v[4:5] offset1:2
	ds_store_2addr_stride64_b64 v20, v[6:7], v[8:9] offset0:4 offset1:6
	ds_store_2addr_stride64_b64 v20, v[10:11], v[12:13] offset0:8 offset1:10
	;; [unrolled: 1-line block ×3, first 2 shown]
	s_wait_dscnt 0x0
	s_barrier_signal -1
	v_sub_nc_u32_e64 v21, v25, v24 clamp
	v_min_u32_e32 v24, v25, v1
	s_barrier_wait -1
	s_delay_alu instid0(VALU_DEP_1)
	v_cmpx_lt_u32_e64 v21, v24
	s_cbranch_execz .LBB766_34
; %bb.25:
	v_lshlrev_b32_e32 v18, 3, v25
	s_wait_kmcnt 0x0
	v_cmp_gt_i64_e64 s10, s[12:13], 0
	s_lshl_b64 s[2:3], s[12:13], 3
	s_mov_b32 s11, 0
	v_lshl_add_u32 v26, v1, 3, v18
	s_branch .LBB766_28
.LBB766_26:                             ;   in Loop: Header=BB766_28 Depth=1
	s_or_b32 exec_lo, exec_lo, s19
.LBB766_27:                             ;   in Loop: Header=BB766_28 Depth=1
	s_delay_alu instid0(VALU_DEP_1) | instskip(NEXT) | instid1(VALU_DEP_1)
	v_dual_add_nc_u32 v18, 1, v27 :: v_dual_cndmask_b32 v24, v24, v27, s18
	v_cndmask_b32_e64 v21, v18, v21, s18
	s_delay_alu instid0(VALU_DEP_1) | instskip(SKIP_1) | instid1(SALU_CYCLE_1)
	v_cmp_ge_u32_e32 vcc_lo, v21, v24
	s_or_b32 s11, vcc_lo, s11
	s_and_not1_b32 exec_lo, exec_lo, s11
	s_cbranch_execz .LBB766_33
.LBB766_28:                             ; =>This Loop Header: Depth=1
                                        ;     Child Loop BB766_31 Depth 2
	v_add_nc_u32_e32 v18, v24, v21
	s_and_not1_b32 vcc_lo, exec_lo, s10
	s_mov_b32 s18, 0
	s_delay_alu instid0(VALU_DEP_1)
	v_lshrrev_b32_e32 v27, 1, v18
	s_cbranch_vccnz .LBB766_27
; %bb.29:                               ;   in Loop: Header=BB766_28 Depth=1
	s_delay_alu instid0(VALU_DEP_1) | instskip(SKIP_3) | instid1(VALU_DEP_2)
	v_not_b32_e32 v18, v27
	v_lshlrev_b32_e32 v19, 3, v27
	s_mov_b32 s19, 0
	s_mov_b64 s[4:5], s[12:13]
                                        ; implicit-def: $sgpr18
                                        ; implicit-def: $sgpr20
                                        ; implicit-def: $sgpr21
                                        ; implicit-def: $sgpr22
	v_lshl_add_u32 v18, v18, 3, v26
	ds_load_b64 v[28:29], v18
	ds_load_b64 v[30:31], v19
	s_wait_dscnt 0x1
	v_mad_nc_u64_u32 v[18:19], s2, v28, s[14:15]
	s_wait_dscnt 0x0
	v_mad_nc_u64_u32 v[22:23], s2, v30, s[14:15]
	s_delay_alu instid0(VALU_DEP_2) | instskip(NEXT) | instid1(VALU_DEP_2)
	v_mad_u32 v19, s3, v28, v19
	v_mad_u32 v23, s3, v30, v23
	s_delay_alu instid0(VALU_DEP_2) | instskip(NEXT) | instid1(VALU_DEP_2)
	v_mad_u32 v19, s2, v29, v19
	v_mad_u32 v23, s2, v31, v23
	s_branch .LBB766_31
.LBB766_30:                             ;   in Loop: Header=BB766_31 Depth=2
	s_or_b32 exec_lo, exec_lo, s0
	s_delay_alu instid0(SALU_CYCLE_1) | instskip(NEXT) | instid1(SALU_CYCLE_1)
	s_and_b32 s0, exec_lo, s20
	s_or_b32 s19, s0, s19
	s_and_not1_b32 s0, s22, exec_lo
	s_and_b32 s22, s23, exec_lo
	s_and_not1_b32 s18, s18, exec_lo
	s_and_b32 s23, s21, exec_lo
	s_or_b32 s22, s0, s22
	s_or_b32 s18, s18, s23
	s_and_not1_b32 exec_lo, exec_lo, s19
	s_cbranch_execz .LBB766_26
.LBB766_31:                             ;   Parent Loop BB766_28 Depth=1
                                        ; =>  This Inner Loop Header: Depth=2
	global_load_b64 v[28:29], v[18:19], off
	global_load_b64 v[30:31], v[22:23], off
	s_and_not1_b32 s21, s21, exec_lo
	s_or_b32 s20, s20, exec_lo
	s_wait_loadcnt 0x0
	v_cmp_ngt_f64_e32 vcc_lo, v[28:29], v[30:31]
	v_cmp_lt_f64_e64 s0, v[28:29], v[30:31]
	s_and_b32 s23, vcc_lo, s22
	s_xor_b32 s25, s0, vcc_lo
	s_or_b32 s23, s0, s23
	s_delay_alu instid0(SALU_CYCLE_1) | instskip(NEXT) | instid1(SALU_CYCLE_1)
	s_and_b32 s24, s23, exec_lo
	s_or_b32 s21, s21, s24
	s_and_saveexec_b32 s0, s25
	s_cbranch_execz .LBB766_30
; %bb.32:                               ;   in Loop: Header=BB766_31 Depth=2
	s_add_nc_u64 s[4:5], s[4:5], -1
	v_add_nc_u64_e32 v[18:19], 8, v[18:19]
	s_cmp_eq_u64 s[4:5], 0
	v_add_nc_u64_e32 v[22:23], 8, v[22:23]
	s_cselect_b32 s22, -1, 0
	s_and_not1_b32 s20, s20, exec_lo
	s_and_b32 s22, s22, exec_lo
	s_and_not1_b32 s21, s21, exec_lo
	s_or_b32 s20, s20, s22
                                        ; implicit-def: $sgpr22
	s_branch .LBB766_30
.LBB766_33:
	s_or_b32 exec_lo, exec_lo, s11
.LBB766_34:
	s_delay_alu instid0(SALU_CYCLE_1) | instskip(SKIP_2) | instid1(VALU_DEP_2)
	s_or_b32 exec_lo, exec_lo, s1
	v_sub_nc_u32_e32 v18, v25, v21
	v_cmp_le_u32_e32 vcc_lo, v21, v1
	v_add_nc_u32_e32 v18, v18, v1
	s_delay_alu instid0(VALU_DEP_1) | instskip(SKIP_1) | instid1(SALU_CYCLE_1)
	v_cmp_le_u32_e64 s0, v18, v36
	s_or_b32 s0, vcc_lo, s0
	s_and_saveexec_b32 s4, s0
	s_cbranch_execz .LBB766_102
; %bb.35:
	s_mov_b32 s1, exec_lo
	v_cmp_ge_u32_e32 vcc_lo, v21, v1
                                        ; implicit-def: $vgpr2_vgpr3
	v_cmpx_lt_u32_e64 v21, v1
; %bb.36:
	v_lshlrev_b32_e32 v2, 3, v21
	ds_load_b64 v[2:3], v2
; %bb.37:
	s_or_b32 exec_lo, exec_lo, s1
	v_cmp_ge_u32_e64 s0, v18, v36
	s_mov_b32 s2, exec_lo
                                        ; implicit-def: $vgpr16_vgpr17
	v_cmpx_lt_u32_e64 v18, v36
; %bb.38:
	v_lshlrev_b32_e32 v4, 3, v18
	ds_load_b64 v[16:17], v4
; %bb.39:
	s_or_b32 exec_lo, exec_lo, s2
	s_wait_kmcnt 0x0
	v_cmp_lt_i64_e64 s5, s[12:13], 1
	s_or_b32 s1, vcc_lo, s0
	s_xor_b32 s2, vcc_lo, -1
	s_nor_b32 s3, s1, s5
	s_or_b32 s1, s0, s2
	s_and_saveexec_b32 s10, s3
	s_cbranch_execz .LBB766_45
; %bb.40:
	s_wait_dscnt 0x0
	v_mul_u64_e32 v[4:5], s[12:13], v[16:17]
	v_mul_u64_e32 v[6:7], s[12:13], v[2:3]
	s_mov_b32 s11, 0
	s_mov_b64 s[2:3], s[12:13]
                                        ; implicit-def: $sgpr18
                                        ; implicit-def: $sgpr19
                                        ; implicit-def: $sgpr20
                                        ; implicit-def: $sgpr21
	s_delay_alu instid0(VALU_DEP_2) | instskip(NEXT) | instid1(VALU_DEP_2)
	v_lshl_add_u64 v[4:5], v[4:5], 3, s[14:15]
	v_lshl_add_u64 v[6:7], v[6:7], 3, s[14:15]
	s_branch .LBB766_42
.LBB766_41:                             ;   in Loop: Header=BB766_42 Depth=1
	s_or_b32 exec_lo, exec_lo, s0
	s_delay_alu instid0(SALU_CYCLE_1) | instskip(NEXT) | instid1(SALU_CYCLE_1)
	s_and_b32 s0, exec_lo, s19
	s_or_b32 s11, s0, s11
	s_and_not1_b32 s0, s21, exec_lo
	s_and_b32 s21, s22, exec_lo
	s_and_not1_b32 s18, s18, exec_lo
	s_and_b32 s22, s20, exec_lo
	s_or_b32 s21, s0, s21
	s_or_b32 s18, s18, s22
	s_and_not1_b32 exec_lo, exec_lo, s11
	s_cbranch_execz .LBB766_44
.LBB766_42:                             ; =>This Inner Loop Header: Depth=1
	global_load_b64 v[8:9], v[4:5], off
	global_load_b64 v[10:11], v[6:7], off
	s_and_not1_b32 s20, s20, exec_lo
	s_or_b32 s19, s19, exec_lo
	s_wait_loadcnt 0x0
	v_cmp_ngt_f64_e32 vcc_lo, v[8:9], v[10:11]
	v_cmp_lt_f64_e64 s0, v[8:9], v[10:11]
	s_and_b32 s22, vcc_lo, s21
	s_xor_b32 s24, s0, vcc_lo
	s_or_b32 s22, s0, s22
	s_delay_alu instid0(SALU_CYCLE_1) | instskip(NEXT) | instid1(SALU_CYCLE_1)
	s_and_b32 s23, s22, exec_lo
	s_or_b32 s20, s20, s23
	s_and_saveexec_b32 s0, s24
	s_cbranch_execz .LBB766_41
; %bb.43:                               ;   in Loop: Header=BB766_42 Depth=1
	s_add_nc_u64 s[2:3], s[2:3], -1
	v_add_nc_u64_e32 v[4:5], 8, v[4:5]
	s_cmp_eq_u64 s[2:3], 0
	v_add_nc_u64_e32 v[6:7], 8, v[6:7]
	s_cselect_b32 s21, -1, 0
	s_and_not1_b32 s19, s19, exec_lo
	s_and_b32 s21, s21, exec_lo
	s_and_not1_b32 s20, s20, exec_lo
	s_or_b32 s19, s19, s21
                                        ; implicit-def: $sgpr21
	s_branch .LBB766_41
.LBB766_44:
	s_or_b32 exec_lo, exec_lo, s11
	s_xor_b32 s0, s18, -1
	s_and_not1_b32 s1, s1, exec_lo
	s_and_b32 s0, s0, exec_lo
	s_delay_alu instid0(SALU_CYCLE_1)
	s_or_b32 s1, s1, s0
.LBB766_45:
	s_or_b32 exec_lo, exec_lo, s10
	v_cndmask_b32_e64 v4, v18, v21, s1
	v_cndmask_b32_e64 v5, v36, v1, s1
	s_mov_b32 s11, -1
	s_mov_b32 s10, -1
	s_mov_b32 s18, exec_lo
	v_add_nc_u32_e32 v4, 1, v4
	s_delay_alu instid0(VALU_DEP_1) | instskip(NEXT) | instid1(VALU_DEP_1)
	v_add_min_u32_e64 v5, v5, -1, v4
	v_dual_cndmask_b32 v10, v4, v18, s1 :: v_dual_lshlrev_b32 v5, 3, v5
	ds_load_b64 v[6:7], v5
	s_wait_dscnt 0x0
	v_dual_cndmask_b32 v11, v21, v4, s1 :: v_dual_cndmask_b32 v5, v7, v17, s1
	v_dual_cndmask_b32 v4, v6, v16, s1 :: v_dual_cndmask_b32 v19, v3, v7, s1
	v_cndmask_b32_e64 v18, v2, v6, s1
	v_cmpx_lt_u32_e64 v10, v36
	s_cbranch_execz .LBB766_53
; %bb.46:
	v_cmp_lt_u32_e64 s10, v11, v1
	s_xor_b32 s0, s5, -1
	s_delay_alu instid0(SALU_CYCLE_1) | instskip(NEXT) | instid1(SALU_CYCLE_1)
	s_and_b32 s0, s10, s0
	s_and_saveexec_b32 s19, s0
	s_cbranch_execz .LBB766_52
; %bb.47:
	v_mul_u64_e32 v[6:7], s[12:13], v[4:5]
	v_mul_u64_e32 v[8:9], s[12:13], v[18:19]
	s_mov_b32 s20, 0
	s_mov_b64 s[2:3], s[12:13]
                                        ; implicit-def: $sgpr21
                                        ; implicit-def: $sgpr22
                                        ; implicit-def: $sgpr23
                                        ; implicit-def: $sgpr24
	s_delay_alu instid0(VALU_DEP_2) | instskip(NEXT) | instid1(VALU_DEP_2)
	v_lshl_add_u64 v[6:7], v[6:7], 3, s[14:15]
	v_lshl_add_u64 v[8:9], v[8:9], 3, s[14:15]
	s_branch .LBB766_49
.LBB766_48:                             ;   in Loop: Header=BB766_49 Depth=1
	s_or_b32 exec_lo, exec_lo, s0
	s_delay_alu instid0(SALU_CYCLE_1) | instskip(NEXT) | instid1(SALU_CYCLE_1)
	s_and_b32 s0, exec_lo, s22
	s_or_b32 s20, s0, s20
	s_and_not1_b32 s0, s24, exec_lo
	s_and_b32 s24, s25, exec_lo
	s_and_not1_b32 s21, s21, exec_lo
	s_and_b32 s25, s23, exec_lo
	s_or_b32 s24, s0, s24
	s_or_b32 s21, s21, s25
	s_and_not1_b32 exec_lo, exec_lo, s20
	s_cbranch_execz .LBB766_51
.LBB766_49:                             ; =>This Inner Loop Header: Depth=1
	global_load_b64 v[12:13], v[6:7], off
	global_load_b64 v[14:15], v[8:9], off
	s_and_not1_b32 s23, s23, exec_lo
	s_or_b32 s22, s22, exec_lo
	s_wait_loadcnt 0x0
	v_cmp_ngt_f64_e32 vcc_lo, v[12:13], v[14:15]
	v_cmp_lt_f64_e64 s0, v[12:13], v[14:15]
	s_and_b32 s25, vcc_lo, s24
	s_xor_b32 s27, s0, vcc_lo
	s_or_b32 s25, s0, s25
	s_delay_alu instid0(SALU_CYCLE_1) | instskip(NEXT) | instid1(SALU_CYCLE_1)
	s_and_b32 s26, s25, exec_lo
	s_or_b32 s23, s23, s26
	s_and_saveexec_b32 s0, s27
	s_cbranch_execz .LBB766_48
; %bb.50:                               ;   in Loop: Header=BB766_49 Depth=1
	s_add_nc_u64 s[2:3], s[2:3], -1
	v_add_nc_u64_e32 v[6:7], 8, v[6:7]
	s_cmp_eq_u64 s[2:3], 0
	v_add_nc_u64_e32 v[8:9], 8, v[8:9]
	s_cselect_b32 s24, -1, 0
	s_and_not1_b32 s22, s22, exec_lo
	s_and_b32 s24, s24, exec_lo
	s_and_not1_b32 s23, s23, exec_lo
	s_or_b32 s22, s22, s24
                                        ; implicit-def: $sgpr24
	s_branch .LBB766_48
.LBB766_51:
	s_or_b32 exec_lo, exec_lo, s20
	s_xor_b32 s0, s21, -1
	s_and_not1_b32 s2, s10, exec_lo
	s_and_b32 s0, s0, exec_lo
	s_delay_alu instid0(SALU_CYCLE_1)
	s_or_b32 s10, s2, s0
.LBB766_52:
	s_or_b32 exec_lo, exec_lo, s19
	s_delay_alu instid0(SALU_CYCLE_1)
	s_or_not1_b32 s10, s10, exec_lo
.LBB766_53:
	s_or_b32 exec_lo, exec_lo, s18
	v_dual_cndmask_b32 v6, v10, v11, s10 :: v_dual_cndmask_b32 v7, v36, v1, s10
	s_mov_b32 s18, exec_lo
	s_delay_alu instid0(VALU_DEP_1) | instskip(NEXT) | instid1(VALU_DEP_1)
	v_add_nc_u32_e32 v6, 1, v6
	v_add_min_u32_e64 v7, v7, -1, v6
	s_delay_alu instid0(VALU_DEP_1)
	v_lshlrev_b32_e32 v7, 3, v7
	ds_load_b64 v[8:9], v7
	v_cndmask_b32_e64 v12, v6, v10, s10
	s_wait_dscnt 0x0
	v_dual_cndmask_b32 v13, v11, v6, s10 :: v_dual_cndmask_b32 v6, v8, v4, s10
	v_cndmask_b32_e64 v7, v9, v5, s10
	v_dual_cndmask_b32 v23, v19, v9, s10 :: v_dual_cndmask_b32 v22, v18, v8, s10
	v_cmpx_lt_u32_e64 v12, v36
	s_cbranch_execz .LBB766_61
; %bb.54:
	v_cmp_lt_u32_e64 s11, v13, v1
	s_xor_b32 s0, s5, -1
	s_delay_alu instid0(SALU_CYCLE_1) | instskip(NEXT) | instid1(SALU_CYCLE_1)
	s_and_b32 s0, s11, s0
	s_and_saveexec_b32 s19, s0
	s_cbranch_execz .LBB766_60
; %bb.55:
	v_mul_u64_e32 v[8:9], s[12:13], v[6:7]
	v_mul_u64_e32 v[10:11], s[12:13], v[22:23]
	s_mov_b32 s20, 0
	s_mov_b64 s[2:3], s[12:13]
                                        ; implicit-def: $sgpr21
                                        ; implicit-def: $sgpr22
                                        ; implicit-def: $sgpr23
                                        ; implicit-def: $sgpr24
	s_delay_alu instid0(VALU_DEP_2) | instskip(NEXT) | instid1(VALU_DEP_2)
	v_lshl_add_u64 v[8:9], v[8:9], 3, s[14:15]
	v_lshl_add_u64 v[10:11], v[10:11], 3, s[14:15]
	s_branch .LBB766_57
.LBB766_56:                             ;   in Loop: Header=BB766_57 Depth=1
	s_or_b32 exec_lo, exec_lo, s0
	s_delay_alu instid0(SALU_CYCLE_1) | instskip(NEXT) | instid1(SALU_CYCLE_1)
	s_and_b32 s0, exec_lo, s22
	s_or_b32 s20, s0, s20
	s_and_not1_b32 s0, s24, exec_lo
	s_and_b32 s24, s25, exec_lo
	s_and_not1_b32 s21, s21, exec_lo
	s_and_b32 s25, s23, exec_lo
	s_or_b32 s24, s0, s24
	s_or_b32 s21, s21, s25
	s_and_not1_b32 exec_lo, exec_lo, s20
	s_cbranch_execz .LBB766_59
.LBB766_57:                             ; =>This Inner Loop Header: Depth=1
	global_load_b64 v[14:15], v[8:9], off
	global_load_b64 v[24:25], v[10:11], off
	s_and_not1_b32 s23, s23, exec_lo
	s_or_b32 s22, s22, exec_lo
	s_wait_loadcnt 0x0
	v_cmp_ngt_f64_e32 vcc_lo, v[14:15], v[24:25]
	v_cmp_lt_f64_e64 s0, v[14:15], v[24:25]
	s_and_b32 s25, vcc_lo, s24
	s_xor_b32 s27, s0, vcc_lo
	s_or_b32 s25, s0, s25
	s_delay_alu instid0(SALU_CYCLE_1) | instskip(NEXT) | instid1(SALU_CYCLE_1)
	s_and_b32 s26, s25, exec_lo
	s_or_b32 s23, s23, s26
	s_and_saveexec_b32 s0, s27
	s_cbranch_execz .LBB766_56
; %bb.58:                               ;   in Loop: Header=BB766_57 Depth=1
	s_add_nc_u64 s[2:3], s[2:3], -1
	v_add_nc_u64_e32 v[8:9], 8, v[8:9]
	s_cmp_eq_u64 s[2:3], 0
	v_add_nc_u64_e32 v[10:11], 8, v[10:11]
	s_cselect_b32 s24, -1, 0
	s_and_not1_b32 s22, s22, exec_lo
	s_and_b32 s24, s24, exec_lo
	s_and_not1_b32 s23, s23, exec_lo
	s_or_b32 s22, s22, s24
                                        ; implicit-def: $sgpr24
	s_branch .LBB766_56
.LBB766_59:
	s_or_b32 exec_lo, exec_lo, s20
	s_xor_b32 s0, s21, -1
	s_and_not1_b32 s2, s11, exec_lo
	s_and_b32 s0, s0, exec_lo
	s_delay_alu instid0(SALU_CYCLE_1)
	s_or_b32 s11, s2, s0
.LBB766_60:
	s_or_b32 exec_lo, exec_lo, s19
	s_delay_alu instid0(SALU_CYCLE_1)
	s_or_not1_b32 s11, s11, exec_lo
.LBB766_61:
	s_or_b32 exec_lo, exec_lo, s18
	v_cndmask_b32_e64 v8, v12, v13, s11
	v_cndmask_b32_e64 v9, v36, v1, s11
	s_mov_b32 s19, -1
	s_mov_b32 s18, -1
	s_mov_b32 s20, exec_lo
	v_add_nc_u32_e32 v8, 1, v8
	s_delay_alu instid0(VALU_DEP_1) | instskip(NEXT) | instid1(VALU_DEP_1)
	v_add_min_u32_e64 v9, v9, -1, v8
	v_dual_cndmask_b32 v14, v8, v12, s11 :: v_dual_lshlrev_b32 v9, 3, v9
	ds_load_b64 v[10:11], v9
	s_wait_dscnt 0x0
	v_dual_cndmask_b32 v15, v13, v8, s11 :: v_dual_cndmask_b32 v8, v10, v6, s11
	v_cndmask_b32_e64 v9, v11, v7, s11
	v_dual_cndmask_b32 v25, v23, v11, s11 :: v_dual_cndmask_b32 v24, v22, v10, s11
	v_cmpx_lt_u32_e64 v14, v36
	s_cbranch_execz .LBB766_69
; %bb.62:
	v_cmp_lt_u32_e64 s18, v15, v1
	s_xor_b32 s0, s5, -1
	s_delay_alu instid0(SALU_CYCLE_1) | instskip(NEXT) | instid1(SALU_CYCLE_1)
	s_and_b32 s0, s18, s0
	s_and_saveexec_b32 s21, s0
	s_cbranch_execz .LBB766_68
; %bb.63:
	v_mul_u64_e32 v[10:11], s[12:13], v[8:9]
	v_mul_u64_e32 v[12:13], s[12:13], v[24:25]
	s_mov_b32 s22, 0
	s_mov_b64 s[2:3], s[12:13]
                                        ; implicit-def: $sgpr23
                                        ; implicit-def: $sgpr24
                                        ; implicit-def: $sgpr25
                                        ; implicit-def: $sgpr26
	s_delay_alu instid0(VALU_DEP_2) | instskip(NEXT) | instid1(VALU_DEP_2)
	v_lshl_add_u64 v[10:11], v[10:11], 3, s[14:15]
	v_lshl_add_u64 v[12:13], v[12:13], 3, s[14:15]
	s_branch .LBB766_65
.LBB766_64:                             ;   in Loop: Header=BB766_65 Depth=1
	s_or_b32 exec_lo, exec_lo, s0
	s_delay_alu instid0(SALU_CYCLE_1) | instskip(NEXT) | instid1(SALU_CYCLE_1)
	s_and_b32 s0, exec_lo, s24
	s_or_b32 s22, s0, s22
	s_and_not1_b32 s0, s26, exec_lo
	s_and_b32 s26, s27, exec_lo
	s_and_not1_b32 s23, s23, exec_lo
	s_and_b32 s27, s25, exec_lo
	s_or_b32 s26, s0, s26
	s_or_b32 s23, s23, s27
	s_and_not1_b32 exec_lo, exec_lo, s22
	s_cbranch_execz .LBB766_67
.LBB766_65:                             ; =>This Inner Loop Header: Depth=1
	global_load_b64 v[26:27], v[10:11], off
	global_load_b64 v[28:29], v[12:13], off
	s_and_not1_b32 s25, s25, exec_lo
	s_or_b32 s24, s24, exec_lo
	s_wait_loadcnt 0x0
	v_cmp_ngt_f64_e32 vcc_lo, v[26:27], v[28:29]
	v_cmp_lt_f64_e64 s0, v[26:27], v[28:29]
	s_and_b32 s27, vcc_lo, s26
	s_xor_b32 s29, s0, vcc_lo
	s_or_b32 s27, s0, s27
	s_delay_alu instid0(SALU_CYCLE_1) | instskip(NEXT) | instid1(SALU_CYCLE_1)
	s_and_b32 s28, s27, exec_lo
	s_or_b32 s25, s25, s28
	s_and_saveexec_b32 s0, s29
	s_cbranch_execz .LBB766_64
; %bb.66:                               ;   in Loop: Header=BB766_65 Depth=1
	s_add_nc_u64 s[2:3], s[2:3], -1
	v_add_nc_u64_e32 v[10:11], 8, v[10:11]
	s_cmp_eq_u64 s[2:3], 0
	v_add_nc_u64_e32 v[12:13], 8, v[12:13]
	s_cselect_b32 s26, -1, 0
	s_and_not1_b32 s24, s24, exec_lo
	s_and_b32 s26, s26, exec_lo
	s_and_not1_b32 s25, s25, exec_lo
	s_or_b32 s24, s24, s26
                                        ; implicit-def: $sgpr26
	s_branch .LBB766_64
.LBB766_67:
	s_or_b32 exec_lo, exec_lo, s22
	s_xor_b32 s0, s23, -1
	s_and_not1_b32 s2, s18, exec_lo
	s_and_b32 s0, s0, exec_lo
	s_delay_alu instid0(SALU_CYCLE_1)
	s_or_b32 s18, s2, s0
.LBB766_68:
	s_or_b32 exec_lo, exec_lo, s21
	s_delay_alu instid0(SALU_CYCLE_1)
	s_or_not1_b32 s18, s18, exec_lo
.LBB766_69:
	s_or_b32 exec_lo, exec_lo, s20
	v_dual_cndmask_b32 v10, v14, v15, s18 :: v_dual_cndmask_b32 v11, v36, v1, s18
	s_mov_b32 s20, exec_lo
	s_delay_alu instid0(VALU_DEP_1) | instskip(NEXT) | instid1(VALU_DEP_1)
	v_add_nc_u32_e32 v10, 1, v10
	v_add_min_u32_e64 v11, v11, -1, v10
	s_delay_alu instid0(VALU_DEP_1)
	v_lshlrev_b32_e32 v11, 3, v11
	ds_load_b64 v[12:13], v11
	v_cndmask_b32_e64 v21, v10, v14, s18
	s_wait_dscnt 0x0
	v_dual_cndmask_b32 v28, v15, v10, s18 :: v_dual_cndmask_b32 v10, v12, v8, s18
	v_cndmask_b32_e64 v11, v13, v9, s18
	v_dual_cndmask_b32 v27, v25, v13, s18 :: v_dual_cndmask_b32 v26, v24, v12, s18
	v_cmpx_lt_u32_e64 v21, v36
	s_cbranch_execz .LBB766_77
; %bb.70:
	v_cmp_lt_u32_e64 s19, v28, v1
	s_xor_b32 s0, s5, -1
	s_delay_alu instid0(SALU_CYCLE_1) | instskip(NEXT) | instid1(SALU_CYCLE_1)
	s_and_b32 s0, s19, s0
	s_and_saveexec_b32 s21, s0
	s_cbranch_execz .LBB766_76
; %bb.71:
	v_mul_u64_e32 v[12:13], s[12:13], v[10:11]
	v_mul_u64_e32 v[14:15], s[12:13], v[26:27]
	s_mov_b32 s22, 0
	s_mov_b64 s[2:3], s[12:13]
                                        ; implicit-def: $sgpr23
                                        ; implicit-def: $sgpr24
                                        ; implicit-def: $sgpr25
                                        ; implicit-def: $sgpr26
	s_delay_alu instid0(VALU_DEP_2) | instskip(NEXT) | instid1(VALU_DEP_2)
	v_lshl_add_u64 v[12:13], v[12:13], 3, s[14:15]
	v_lshl_add_u64 v[14:15], v[14:15], 3, s[14:15]
	s_branch .LBB766_73
.LBB766_72:                             ;   in Loop: Header=BB766_73 Depth=1
	s_or_b32 exec_lo, exec_lo, s0
	s_delay_alu instid0(SALU_CYCLE_1) | instskip(NEXT) | instid1(SALU_CYCLE_1)
	s_and_b32 s0, exec_lo, s24
	s_or_b32 s22, s0, s22
	s_and_not1_b32 s0, s26, exec_lo
	s_and_b32 s26, s27, exec_lo
	s_and_not1_b32 s23, s23, exec_lo
	s_and_b32 s27, s25, exec_lo
	s_or_b32 s26, s0, s26
	s_or_b32 s23, s23, s27
	s_and_not1_b32 exec_lo, exec_lo, s22
	s_cbranch_execz .LBB766_75
.LBB766_73:                             ; =>This Inner Loop Header: Depth=1
	global_load_b64 v[30:31], v[12:13], off
	global_load_b64 v[32:33], v[14:15], off
	s_and_not1_b32 s25, s25, exec_lo
	s_or_b32 s24, s24, exec_lo
	s_wait_loadcnt 0x0
	v_cmp_ngt_f64_e32 vcc_lo, v[30:31], v[32:33]
	v_cmp_lt_f64_e64 s0, v[30:31], v[32:33]
	s_and_b32 s27, vcc_lo, s26
	s_xor_b32 s29, s0, vcc_lo
	s_or_b32 s27, s0, s27
	s_delay_alu instid0(SALU_CYCLE_1) | instskip(NEXT) | instid1(SALU_CYCLE_1)
	s_and_b32 s28, s27, exec_lo
	s_or_b32 s25, s25, s28
	s_and_saveexec_b32 s0, s29
	s_cbranch_execz .LBB766_72
; %bb.74:                               ;   in Loop: Header=BB766_73 Depth=1
	s_add_nc_u64 s[2:3], s[2:3], -1
	v_add_nc_u64_e32 v[12:13], 8, v[12:13]
	s_cmp_eq_u64 s[2:3], 0
	v_add_nc_u64_e32 v[14:15], 8, v[14:15]
	s_cselect_b32 s26, -1, 0
	s_and_not1_b32 s24, s24, exec_lo
	s_and_b32 s26, s26, exec_lo
	s_and_not1_b32 s25, s25, exec_lo
	s_or_b32 s24, s24, s26
                                        ; implicit-def: $sgpr26
	s_branch .LBB766_72
.LBB766_75:
	s_or_b32 exec_lo, exec_lo, s22
	s_xor_b32 s0, s23, -1
	s_and_not1_b32 s2, s19, exec_lo
	s_and_b32 s0, s0, exec_lo
	s_delay_alu instid0(SALU_CYCLE_1)
	s_or_b32 s19, s2, s0
.LBB766_76:
	s_or_b32 exec_lo, exec_lo, s21
	s_delay_alu instid0(SALU_CYCLE_1)
	s_or_not1_b32 s19, s19, exec_lo
.LBB766_77:
	s_or_b32 exec_lo, exec_lo, s20
	v_dual_cndmask_b32 v12, v21, v28, s19 :: v_dual_cndmask_b32 v13, v36, v1, s19
	s_mov_b32 s21, -1
	s_mov_b32 s20, -1
	s_mov_b32 s22, exec_lo
	s_delay_alu instid0(VALU_DEP_1) | instskip(NEXT) | instid1(VALU_DEP_1)
	v_add_nc_u32_e32 v12, 1, v12
	v_add_min_u32_e64 v13, v13, -1, v12
	s_delay_alu instid0(VALU_DEP_1)
	v_lshlrev_b32_e32 v13, 3, v13
	ds_load_b64 v[14:15], v13
	v_cndmask_b32_e64 v21, v12, v21, s19
	s_wait_dscnt 0x0
	v_dual_cndmask_b32 v32, v28, v12, s19 :: v_dual_cndmask_b32 v12, v14, v10, s19
	v_cndmask_b32_e64 v13, v15, v11, s19
	v_dual_cndmask_b32 v29, v27, v15, s19 :: v_dual_cndmask_b32 v28, v26, v14, s19
	v_cmpx_lt_u32_e64 v21, v36
	s_cbranch_execz .LBB766_85
; %bb.78:
	v_cmp_lt_u32_e64 s20, v32, v1
	s_xor_b32 s0, s5, -1
	s_delay_alu instid0(SALU_CYCLE_1) | instskip(NEXT) | instid1(SALU_CYCLE_1)
	s_and_b32 s0, s20, s0
	s_and_saveexec_b32 s23, s0
	s_cbranch_execz .LBB766_84
; %bb.79:
	v_mul_u64_e32 v[14:15], s[12:13], v[12:13]
	v_mul_u64_e32 v[30:31], s[12:13], v[28:29]
	s_mov_b32 s24, 0
	s_mov_b64 s[2:3], s[12:13]
                                        ; implicit-def: $sgpr25
                                        ; implicit-def: $sgpr26
                                        ; implicit-def: $sgpr27
                                        ; implicit-def: $sgpr28
	s_delay_alu instid0(VALU_DEP_2) | instskip(NEXT) | instid1(VALU_DEP_2)
	v_lshl_add_u64 v[14:15], v[14:15], 3, s[14:15]
	v_lshl_add_u64 v[30:31], v[30:31], 3, s[14:15]
	s_branch .LBB766_81
.LBB766_80:                             ;   in Loop: Header=BB766_81 Depth=1
	s_or_b32 exec_lo, exec_lo, s0
	s_delay_alu instid0(SALU_CYCLE_1) | instskip(NEXT) | instid1(SALU_CYCLE_1)
	s_and_b32 s0, exec_lo, s26
	s_or_b32 s24, s0, s24
	s_and_not1_b32 s0, s28, exec_lo
	s_and_b32 s28, s29, exec_lo
	s_and_not1_b32 s25, s25, exec_lo
	s_and_b32 s29, s27, exec_lo
	s_or_b32 s28, s0, s28
	s_or_b32 s25, s25, s29
	s_and_not1_b32 exec_lo, exec_lo, s24
	s_cbranch_execz .LBB766_83
.LBB766_81:                             ; =>This Inner Loop Header: Depth=1
	global_load_b64 v[34:35], v[14:15], off
	global_load_b64 v[38:39], v[30:31], off
	s_and_not1_b32 s27, s27, exec_lo
	s_or_b32 s26, s26, exec_lo
	s_wait_loadcnt 0x0
	v_cmp_ngt_f64_e32 vcc_lo, v[34:35], v[38:39]
	v_cmp_lt_f64_e64 s0, v[34:35], v[38:39]
	s_and_b32 s29, vcc_lo, s28
	s_xor_b32 s31, s0, vcc_lo
	s_or_b32 s29, s0, s29
	s_delay_alu instid0(SALU_CYCLE_1) | instskip(NEXT) | instid1(SALU_CYCLE_1)
	s_and_b32 s30, s29, exec_lo
	s_or_b32 s27, s27, s30
	s_and_saveexec_b32 s0, s31
	s_cbranch_execz .LBB766_80
; %bb.82:                               ;   in Loop: Header=BB766_81 Depth=1
	s_add_nc_u64 s[2:3], s[2:3], -1
	v_add_nc_u64_e32 v[14:15], 8, v[14:15]
	s_cmp_eq_u64 s[2:3], 0
	v_add_nc_u64_e32 v[30:31], 8, v[30:31]
	s_cselect_b32 s28, -1, 0
	s_and_not1_b32 s26, s26, exec_lo
	s_and_b32 s28, s28, exec_lo
	s_and_not1_b32 s27, s27, exec_lo
	s_or_b32 s26, s26, s28
                                        ; implicit-def: $sgpr28
	s_branch .LBB766_80
.LBB766_83:
	s_or_b32 exec_lo, exec_lo, s24
	s_xor_b32 s0, s25, -1
	s_and_not1_b32 s2, s20, exec_lo
	s_and_b32 s0, s0, exec_lo
	s_delay_alu instid0(SALU_CYCLE_1)
	s_or_b32 s20, s2, s0
.LBB766_84:
	s_or_b32 exec_lo, exec_lo, s23
	s_delay_alu instid0(SALU_CYCLE_1)
	s_or_not1_b32 s20, s20, exec_lo
.LBB766_85:
	s_or_b32 exec_lo, exec_lo, s22
	v_dual_cndmask_b32 v14, v21, v32, s20 :: v_dual_cndmask_b32 v15, v36, v1, s20
	s_mov_b32 s22, exec_lo
	s_delay_alu instid0(VALU_DEP_1) | instskip(NEXT) | instid1(VALU_DEP_1)
	v_add_nc_u32_e32 v14, 1, v14
	v_add_min_u32_e64 v15, v15, -1, v14
	s_delay_alu instid0(VALU_DEP_1)
	v_dual_lshlrev_b32 v15, 3, v15 :: v_dual_cndmask_b32 v37, v14, v21, s20
	v_cndmask_b32_e64 v21, v32, v14, s20
	ds_load_b64 v[30:31], v15
	s_wait_dscnt 0x0
	v_dual_cndmask_b32 v15, v31, v13, s20 :: v_dual_cndmask_b32 v14, v30, v12, s20
	v_dual_cndmask_b32 v31, v29, v31, s20 :: v_dual_cndmask_b32 v30, v28, v30, s20
	v_cmpx_lt_u32_e64 v37, v36
	s_cbranch_execz .LBB766_93
; %bb.86:
	v_cmp_lt_u32_e64 s21, v21, v1
	s_xor_b32 s0, s5, -1
	s_delay_alu instid0(SALU_CYCLE_1) | instskip(NEXT) | instid1(SALU_CYCLE_1)
	s_and_b32 s0, s21, s0
	s_and_saveexec_b32 s23, s0
	s_cbranch_execz .LBB766_92
; %bb.87:
	v_mul_u64_e32 v[32:33], s[12:13], v[14:15]
	v_mul_u64_e32 v[34:35], s[12:13], v[30:31]
	s_mov_b32 s24, 0
	s_mov_b64 s[2:3], s[12:13]
                                        ; implicit-def: $sgpr25
                                        ; implicit-def: $sgpr26
                                        ; implicit-def: $sgpr27
                                        ; implicit-def: $sgpr28
	s_delay_alu instid0(VALU_DEP_2) | instskip(NEXT) | instid1(VALU_DEP_2)
	v_lshl_add_u64 v[32:33], v[32:33], 3, s[14:15]
	v_lshl_add_u64 v[34:35], v[34:35], 3, s[14:15]
	s_branch .LBB766_89
.LBB766_88:                             ;   in Loop: Header=BB766_89 Depth=1
	s_or_b32 exec_lo, exec_lo, s0
	s_delay_alu instid0(SALU_CYCLE_1) | instskip(NEXT) | instid1(SALU_CYCLE_1)
	s_and_b32 s0, exec_lo, s26
	s_or_b32 s24, s0, s24
	s_and_not1_b32 s0, s28, exec_lo
	s_and_b32 s28, s29, exec_lo
	s_and_not1_b32 s25, s25, exec_lo
	s_and_b32 s29, s27, exec_lo
	s_or_b32 s28, s0, s28
	s_or_b32 s25, s25, s29
	s_and_not1_b32 exec_lo, exec_lo, s24
	s_cbranch_execz .LBB766_91
.LBB766_89:                             ; =>This Inner Loop Header: Depth=1
	global_load_b64 v[38:39], v[32:33], off
	global_load_b64 v[40:41], v[34:35], off
	s_and_not1_b32 s27, s27, exec_lo
	s_or_b32 s26, s26, exec_lo
	s_wait_loadcnt 0x0
	v_cmp_ngt_f64_e32 vcc_lo, v[38:39], v[40:41]
	v_cmp_lt_f64_e64 s0, v[38:39], v[40:41]
	s_and_b32 s29, vcc_lo, s28
	s_xor_b32 s31, s0, vcc_lo
	s_or_b32 s29, s0, s29
	s_delay_alu instid0(SALU_CYCLE_1) | instskip(NEXT) | instid1(SALU_CYCLE_1)
	s_and_b32 s30, s29, exec_lo
	s_or_b32 s27, s27, s30
	s_and_saveexec_b32 s0, s31
	s_cbranch_execz .LBB766_88
; %bb.90:                               ;   in Loop: Header=BB766_89 Depth=1
	s_add_nc_u64 s[2:3], s[2:3], -1
	v_add_nc_u64_e32 v[32:33], 8, v[32:33]
	s_cmp_eq_u64 s[2:3], 0
	v_add_nc_u64_e32 v[34:35], 8, v[34:35]
	s_cselect_b32 s28, -1, 0
	s_and_not1_b32 s26, s26, exec_lo
	s_and_b32 s28, s28, exec_lo
	s_and_not1_b32 s27, s27, exec_lo
	s_or_b32 s26, s26, s28
                                        ; implicit-def: $sgpr28
	s_branch .LBB766_88
.LBB766_91:
	s_or_b32 exec_lo, exec_lo, s24
	s_xor_b32 s0, s25, -1
	s_and_not1_b32 s2, s21, exec_lo
	s_and_b32 s0, s0, exec_lo
	s_delay_alu instid0(SALU_CYCLE_1)
	s_or_b32 s21, s2, s0
.LBB766_92:
	s_or_b32 exec_lo, exec_lo, s23
	s_delay_alu instid0(SALU_CYCLE_1)
	s_or_not1_b32 s21, s21, exec_lo
.LBB766_93:
	s_or_b32 exec_lo, exec_lo, s22
	v_cndmask_b32_e64 v32, v37, v21, s21
	v_cndmask_b32_e64 v33, v36, v1, s21
	s_mov_b32 s0, -1
	s_mov_b32 s2, exec_lo
	s_delay_alu instid0(VALU_DEP_2) | instskip(NEXT) | instid1(VALU_DEP_1)
	v_add_nc_u32_e32 v38, 1, v32
	v_add_min_u32_e64 v32, v33, -1, v38
	s_delay_alu instid0(VALU_DEP_1)
	v_dual_cndmask_b32 v37, v38, v37, s21 :: v_dual_lshlrev_b32 v32, 3, v32
	ds_load_b64 v[34:35], v32
	s_wait_dscnt 0x0
	v_dual_cndmask_b32 v33, v35, v15, s21 :: v_dual_cndmask_b32 v32, v34, v14, s21
	v_dual_cndmask_b32 v35, v31, v35, s21 :: v_dual_cndmask_b32 v34, v30, v34, s21
	v_cmpx_lt_u32_e64 v37, v36
	s_cbranch_execz .LBB766_101
; %bb.94:
	v_cndmask_b32_e64 v21, v21, v38, s21
	s_xor_b32 s0, s5, -1
	s_delay_alu instid0(VALU_DEP_1) | instskip(SKIP_1) | instid1(SALU_CYCLE_1)
	v_cmp_lt_u32_e64 s3, v21, v1
	s_and_b32 s0, s3, s0
	s_and_saveexec_b32 s5, s0
	s_cbranch_execz .LBB766_100
; %bb.95:
	v_mul_u64_e32 v[36:37], s[12:13], v[32:33]
	v_mul_u64_e32 v[38:39], s[12:13], v[34:35]
                                        ; implicit-def: $sgpr22
                                        ; implicit-def: $sgpr23
                                        ; implicit-def: $sgpr24
	s_delay_alu instid0(VALU_DEP_2) | instskip(NEXT) | instid1(VALU_DEP_2)
	v_lshl_add_u64 v[36:37], v[36:37], 3, s[14:15]
	v_lshl_add_u64 v[38:39], v[38:39], 3, s[14:15]
	s_mov_b32 s14, 0
                                        ; implicit-def: $sgpr15
	s_branch .LBB766_97
.LBB766_96:                             ;   in Loop: Header=BB766_97 Depth=1
	s_or_b32 exec_lo, exec_lo, s0
	s_delay_alu instid0(SALU_CYCLE_1) | instskip(NEXT) | instid1(SALU_CYCLE_1)
	s_and_b32 s0, exec_lo, s22
	s_or_b32 s14, s0, s14
	s_and_not1_b32 s0, s24, exec_lo
	s_and_b32 s24, s25, exec_lo
	s_and_not1_b32 s15, s15, exec_lo
	s_and_b32 s25, s23, exec_lo
	s_or_b32 s24, s0, s24
	s_or_b32 s15, s15, s25
	s_and_not1_b32 exec_lo, exec_lo, s14
	s_cbranch_execz .LBB766_99
.LBB766_97:                             ; =>This Inner Loop Header: Depth=1
	global_load_b64 v[40:41], v[36:37], off
	global_load_b64 v[42:43], v[38:39], off
	s_and_not1_b32 s23, s23, exec_lo
	s_or_b32 s22, s22, exec_lo
	s_wait_loadcnt 0x0
	v_cmp_ngt_f64_e32 vcc_lo, v[40:41], v[42:43]
	v_cmp_lt_f64_e64 s0, v[40:41], v[42:43]
	s_and_b32 s25, vcc_lo, s24
	s_xor_b32 s27, s0, vcc_lo
	s_or_b32 s25, s0, s25
	s_delay_alu instid0(SALU_CYCLE_1) | instskip(NEXT) | instid1(SALU_CYCLE_1)
	s_and_b32 s26, s25, exec_lo
	s_or_b32 s23, s23, s26
	s_and_saveexec_b32 s0, s27
	s_cbranch_execz .LBB766_96
; %bb.98:                               ;   in Loop: Header=BB766_97 Depth=1
	s_add_nc_u64 s[12:13], s[12:13], -1
	v_add_nc_u64_e32 v[36:37], 8, v[36:37]
	s_cmp_eq_u64 s[12:13], 0
	v_add_nc_u64_e32 v[38:39], 8, v[38:39]
	s_cselect_b32 s24, -1, 0
	s_and_not1_b32 s22, s22, exec_lo
	s_and_b32 s24, s24, exec_lo
	s_and_not1_b32 s23, s23, exec_lo
	s_or_b32 s22, s22, s24
                                        ; implicit-def: $sgpr24
	s_branch .LBB766_96
.LBB766_99:
	s_or_b32 exec_lo, exec_lo, s14
	s_xor_b32 s0, s15, -1
	s_and_not1_b32 s3, s3, exec_lo
	s_and_b32 s0, s0, exec_lo
	s_delay_alu instid0(SALU_CYCLE_1)
	s_or_b32 s3, s3, s0
.LBB766_100:
	s_or_b32 exec_lo, exec_lo, s5
	s_delay_alu instid0(SALU_CYCLE_1)
	s_or_not1_b32 s0, s3, exec_lo
.LBB766_101:
	s_or_b32 exec_lo, exec_lo, s2
	v_dual_cndmask_b32 v15, v15, v31, s21 :: v_dual_cndmask_b32 v14, v14, v30, s21
	v_dual_cndmask_b32 v13, v13, v29, s20 :: v_dual_cndmask_b32 v12, v12, v28, s20
	;; [unrolled: 1-line block ×8, first 2 shown]
.LBB766_102:
	s_or_b32 exec_lo, exec_lo, s4
	v_or_b32_e32 v25, 0x80, v0
	v_lshrrev_b32_e32 v1, 2, v0
	v_or_b32_e32 v22, 0x100, v0
	v_lshlrev_b32_e32 v18, 3, v20
	s_delay_alu instid0(VALU_DEP_4) | instskip(SKIP_1) | instid1(VALU_DEP_3)
	v_lshrrev_b32_e32 v19, 2, v25
	s_barrier_signal -1
	v_lshrrev_b32_e32 v21, 2, v22
	s_delay_alu instid0(VALU_DEP_3)
	v_lshl_add_u32 v18, v1, 3, v18
	s_barrier_wait -1
	s_barrier_signal -1
	s_barrier_wait -1
	ds_store_2addr_b64 v18, v[2:3], v[4:5] offset1:1
	ds_store_2addr_b64 v18, v[6:7], v[8:9] offset0:2 offset1:3
	v_and_b32_e32 v2, 56, v19
	v_and_b32_e32 v1, 24, v1
	v_or_b32_e32 v24, 0x180, v0
	v_and_b32_e32 v3, 0x58, v21
	v_or_b32_e32 v23, 0x200, v0
	s_delay_alu instid0(VALU_DEP_4) | instskip(NEXT) | instid1(VALU_DEP_4)
	v_dual_add_nc_u32 v6, v2, v20 :: v_dual_add_nc_u32 v26, v1, v20
	v_lshrrev_b32_e32 v1, 2, v24
	ds_store_2addr_b64 v18, v[10:11], v[12:13] offset0:4 offset1:5
	ds_store_2addr_b64 v18, v[14:15], v[16:17] offset0:6 offset1:7
	v_or_b32_e32 v19, 0x280, v0
	v_add_nc_u32_e32 v7, v3, v20
	v_or_b32_e32 v18, 0x300, v0
	v_lshrrev_b32_e32 v3, 2, v23
	v_and_b32_e32 v2, 0x78, v1
	v_or_b32_e32 v1, 0x380, v0
	s_delay_alu instid0(VALU_DEP_4) | instskip(NEXT) | instid1(VALU_DEP_4)
	v_dual_lshrrev_b32 v4, 2, v19 :: v_dual_lshrrev_b32 v5, 2, v18
	v_and_b32_e32 v3, 0x98, v3
	s_delay_alu instid0(VALU_DEP_3)
	v_dual_add_nc_u32 v8, v2, v20 :: v_dual_lshrrev_b32 v2, 2, v1
	v_mov_b32_e32 v21, 0
	s_lshl_b64 s[0:1], s[16:17], 3
	v_and_b32_e32 v4, 0xb8, v4
	v_and_b32_e32 v5, 0xd8, v5
	;; [unrolled: 1-line block ×3, first 2 shown]
	s_add_nc_u64 s[0:1], s[6:7], s[0:1]
	s_delay_alu instid0(VALU_DEP_3) | instskip(SKIP_1) | instid1(VALU_DEP_3)
	v_dual_add_nc_u32 v9, v3, v20 :: v_dual_add_nc_u32 v27, v4, v20
	v_add_nc_u64_e32 v[2:3], s[0:1], v[20:21]
	v_dual_add_nc_u32 v28, v5, v20 :: v_dual_add_nc_u32 v20, v10, v20
	s_and_b32 vcc_lo, exec_lo, s9
	s_wait_dscnt 0x0
	s_cbranch_vccz .LBB766_104
; %bb.103:
	s_barrier_signal -1
	s_barrier_wait -1
	ds_load_b64 v[10:11], v26
	ds_load_b64 v[12:13], v6 offset:1024
	ds_load_b64 v[14:15], v7 offset:2048
	ds_load_b64 v[16:17], v8 offset:3072
	ds_load_b64 v[30:31], v9 offset:4096
	ds_load_b64 v[32:33], v27 offset:5120
	ds_load_b64 v[34:35], v28 offset:6144
	ds_load_b64 v[4:5], v20 offset:7168
	s_mov_b32 s0, -1
	s_wait_dscnt 0x7
	global_store_b64 v[2:3], v[10:11], off
	s_wait_dscnt 0x6
	global_store_b64 v[2:3], v[12:13], off offset:1024
	s_wait_dscnt 0x5
	global_store_b64 v[2:3], v[14:15], off offset:2048
	;; [unrolled: 2-line block ×6, first 2 shown]
	s_cbranch_execz .LBB766_105
	s_branch .LBB766_114
.LBB766_104:
	s_mov_b32 s0, 0
                                        ; implicit-def: $vgpr4_vgpr5
.LBB766_105:
	s_barrier_signal -1
	s_barrier_wait -1
	s_wait_storecnt_dscnt 0x0
	s_wait_xcnt 0x3
	ds_load_b64 v[16:17], v6 offset:1024
	ds_load_b64 v[14:15], v7 offset:2048
	ds_load_b64 v[12:13], v8 offset:3072
	ds_load_b64 v[10:11], v9 offset:4096
	ds_load_b64 v[8:9], v27 offset:5120
	ds_load_b64 v[6:7], v28 offset:6144
	ds_load_b64 v[4:5], v20 offset:7168
	s_sub_co_i32 s0, s8, s16
	s_mov_b32 s1, exec_lo
	s_wait_xcnt 0x0
	v_cmpx_gt_u32_e64 s0, v0
	s_cbranch_execnz .LBB766_117
; %bb.106:
	s_or_b32 exec_lo, exec_lo, s1
	s_delay_alu instid0(SALU_CYCLE_1)
	s_mov_b32 s1, exec_lo
	v_cmpx_gt_u32_e64 s0, v25
	s_cbranch_execnz .LBB766_118
.LBB766_107:
	s_or_b32 exec_lo, exec_lo, s1
	s_delay_alu instid0(SALU_CYCLE_1)
	s_mov_b32 s1, exec_lo
	v_cmpx_gt_u32_e64 s0, v22
	s_cbranch_execnz .LBB766_119
.LBB766_108:
	s_or_b32 exec_lo, exec_lo, s1
	s_delay_alu instid0(SALU_CYCLE_1)
	s_mov_b32 s1, exec_lo
	v_cmpx_gt_u32_e64 s0, v24
	s_cbranch_execnz .LBB766_120
.LBB766_109:
	s_or_b32 exec_lo, exec_lo, s1
	s_delay_alu instid0(SALU_CYCLE_1)
	s_mov_b32 s1, exec_lo
	v_cmpx_gt_u32_e64 s0, v23
	s_cbranch_execnz .LBB766_121
.LBB766_110:
	s_or_b32 exec_lo, exec_lo, s1
	s_delay_alu instid0(SALU_CYCLE_1)
	s_mov_b32 s1, exec_lo
	v_cmpx_gt_u32_e64 s0, v19
	s_cbranch_execnz .LBB766_122
.LBB766_111:
	s_or_b32 exec_lo, exec_lo, s1
	s_delay_alu instid0(SALU_CYCLE_1)
	s_mov_b32 s1, exec_lo
	v_cmpx_gt_u32_e64 s0, v18
	s_cbranch_execz .LBB766_113
.LBB766_112:
	s_wait_dscnt 0x1
	global_store_b64 v[2:3], v[6:7], off offset:6144
.LBB766_113:
	s_wait_xcnt 0x0
	s_or_b32 exec_lo, exec_lo, s1
	v_cmp_gt_u32_e64 s0, s0, v1
.LBB766_114:
	s_wait_xcnt 0x0
	s_delay_alu instid0(VALU_DEP_1)
	s_and_saveexec_b32 s1, s0
	s_cbranch_execz .LBB766_116
; %bb.115:
	s_wait_dscnt 0x0
	global_store_b64 v[2:3], v[4:5], off offset:7168
.LBB766_116:
	s_endpgm
.LBB766_117:
	ds_load_b64 v[20:21], v26
	s_wait_dscnt 0x0
	global_store_b64 v[2:3], v[20:21], off
	s_wait_xcnt 0x0
	s_or_b32 exec_lo, exec_lo, s1
	s_delay_alu instid0(SALU_CYCLE_1)
	s_mov_b32 s1, exec_lo
	v_cmpx_gt_u32_e64 s0, v25
	s_cbranch_execz .LBB766_107
.LBB766_118:
	s_wait_dscnt 0x6
	global_store_b64 v[2:3], v[16:17], off offset:1024
	s_wait_xcnt 0x0
	s_or_b32 exec_lo, exec_lo, s1
	s_delay_alu instid0(SALU_CYCLE_1)
	s_mov_b32 s1, exec_lo
	v_cmpx_gt_u32_e64 s0, v22
	s_cbranch_execz .LBB766_108
.LBB766_119:
	s_wait_dscnt 0x5
	global_store_b64 v[2:3], v[14:15], off offset:2048
	s_wait_xcnt 0x0
	s_or_b32 exec_lo, exec_lo, s1
	s_delay_alu instid0(SALU_CYCLE_1)
	s_mov_b32 s1, exec_lo
	v_cmpx_gt_u32_e64 s0, v24
	s_cbranch_execz .LBB766_109
.LBB766_120:
	s_wait_dscnt 0x4
	global_store_b64 v[2:3], v[12:13], off offset:3072
	s_wait_xcnt 0x0
	s_or_b32 exec_lo, exec_lo, s1
	s_delay_alu instid0(SALU_CYCLE_1)
	s_mov_b32 s1, exec_lo
	v_cmpx_gt_u32_e64 s0, v23
	s_cbranch_execz .LBB766_110
.LBB766_121:
	s_wait_dscnt 0x3
	global_store_b64 v[2:3], v[10:11], off offset:4096
	s_wait_xcnt 0x0
	s_or_b32 exec_lo, exec_lo, s1
	s_delay_alu instid0(SALU_CYCLE_1)
	s_mov_b32 s1, exec_lo
	v_cmpx_gt_u32_e64 s0, v19
	s_cbranch_execz .LBB766_111
.LBB766_122:
	s_wait_dscnt 0x2
	global_store_b64 v[2:3], v[8:9], off offset:5120
	s_wait_xcnt 0x0
	s_or_b32 exec_lo, exec_lo, s1
	s_delay_alu instid0(SALU_CYCLE_1)
	s_mov_b32 s1, exec_lo
	v_cmpx_gt_u32_e64 s0, v18
	s_cbranch_execnz .LBB766_112
	s_branch .LBB766_113
	.section	.rodata,"a",@progbits
	.p2align	6, 0x0
	.amdhsa_kernel _ZN7rocprim17ROCPRIM_400000_NS6detail17trampoline_kernelINS0_14default_configENS1_38merge_sort_block_merge_config_selectorIlNS0_10empty_typeEEEZZNS1_27merge_sort_block_merge_implIS3_PlPS5_mZN2at6native12_GLOBAL__N_124unique_dim_cuda_templateIdEESt5tupleIJNSA_6TensorESF_SF_EERKSF_lbbbEUlllE_EE10hipError_tT0_T1_T2_jT3_P12ihipStream_tbPNSt15iterator_traitsISL_E10value_typeEPNSR_ISM_E10value_typeEPSN_NS1_7vsmem_tEENKUlT_SL_SM_SN_E_clIS8_S8_S9_S9_EESK_S10_SL_SM_SN_EUlS10_E0_NS1_11comp_targetILNS1_3genE0ELNS1_11target_archE4294967295ELNS1_3gpuE0ELNS1_3repE0EEENS1_38merge_mergepath_config_static_selectorELNS0_4arch9wavefront6targetE0EEEvSM_
		.amdhsa_group_segment_fixed_size 8448
		.amdhsa_private_segment_fixed_size 0
		.amdhsa_kernarg_size 344
		.amdhsa_user_sgpr_count 2
		.amdhsa_user_sgpr_dispatch_ptr 0
		.amdhsa_user_sgpr_queue_ptr 0
		.amdhsa_user_sgpr_kernarg_segment_ptr 1
		.amdhsa_user_sgpr_dispatch_id 0
		.amdhsa_user_sgpr_kernarg_preload_length 0
		.amdhsa_user_sgpr_kernarg_preload_offset 0
		.amdhsa_user_sgpr_private_segment_size 0
		.amdhsa_wavefront_size32 1
		.amdhsa_uses_dynamic_stack 0
		.amdhsa_enable_private_segment 0
		.amdhsa_system_sgpr_workgroup_id_x 1
		.amdhsa_system_sgpr_workgroup_id_y 1
		.amdhsa_system_sgpr_workgroup_id_z 1
		.amdhsa_system_sgpr_workgroup_info 0
		.amdhsa_system_vgpr_workitem_id 0
		.amdhsa_next_free_vgpr 44
		.amdhsa_next_free_sgpr 32
		.amdhsa_named_barrier_count 0
		.amdhsa_reserve_vcc 1
		.amdhsa_float_round_mode_32 0
		.amdhsa_float_round_mode_16_64 0
		.amdhsa_float_denorm_mode_32 3
		.amdhsa_float_denorm_mode_16_64 3
		.amdhsa_fp16_overflow 0
		.amdhsa_memory_ordered 1
		.amdhsa_forward_progress 1
		.amdhsa_inst_pref_size 53
		.amdhsa_round_robin_scheduling 0
		.amdhsa_exception_fp_ieee_invalid_op 0
		.amdhsa_exception_fp_denorm_src 0
		.amdhsa_exception_fp_ieee_div_zero 0
		.amdhsa_exception_fp_ieee_overflow 0
		.amdhsa_exception_fp_ieee_underflow 0
		.amdhsa_exception_fp_ieee_inexact 0
		.amdhsa_exception_int_div_zero 0
	.end_amdhsa_kernel
	.section	.text._ZN7rocprim17ROCPRIM_400000_NS6detail17trampoline_kernelINS0_14default_configENS1_38merge_sort_block_merge_config_selectorIlNS0_10empty_typeEEEZZNS1_27merge_sort_block_merge_implIS3_PlPS5_mZN2at6native12_GLOBAL__N_124unique_dim_cuda_templateIdEESt5tupleIJNSA_6TensorESF_SF_EERKSF_lbbbEUlllE_EE10hipError_tT0_T1_T2_jT3_P12ihipStream_tbPNSt15iterator_traitsISL_E10value_typeEPNSR_ISM_E10value_typeEPSN_NS1_7vsmem_tEENKUlT_SL_SM_SN_E_clIS8_S8_S9_S9_EESK_S10_SL_SM_SN_EUlS10_E0_NS1_11comp_targetILNS1_3genE0ELNS1_11target_archE4294967295ELNS1_3gpuE0ELNS1_3repE0EEENS1_38merge_mergepath_config_static_selectorELNS0_4arch9wavefront6targetE0EEEvSM_,"axG",@progbits,_ZN7rocprim17ROCPRIM_400000_NS6detail17trampoline_kernelINS0_14default_configENS1_38merge_sort_block_merge_config_selectorIlNS0_10empty_typeEEEZZNS1_27merge_sort_block_merge_implIS3_PlPS5_mZN2at6native12_GLOBAL__N_124unique_dim_cuda_templateIdEESt5tupleIJNSA_6TensorESF_SF_EERKSF_lbbbEUlllE_EE10hipError_tT0_T1_T2_jT3_P12ihipStream_tbPNSt15iterator_traitsISL_E10value_typeEPNSR_ISM_E10value_typeEPSN_NS1_7vsmem_tEENKUlT_SL_SM_SN_E_clIS8_S8_S9_S9_EESK_S10_SL_SM_SN_EUlS10_E0_NS1_11comp_targetILNS1_3genE0ELNS1_11target_archE4294967295ELNS1_3gpuE0ELNS1_3repE0EEENS1_38merge_mergepath_config_static_selectorELNS0_4arch9wavefront6targetE0EEEvSM_,comdat
.Lfunc_end766:
	.size	_ZN7rocprim17ROCPRIM_400000_NS6detail17trampoline_kernelINS0_14default_configENS1_38merge_sort_block_merge_config_selectorIlNS0_10empty_typeEEEZZNS1_27merge_sort_block_merge_implIS3_PlPS5_mZN2at6native12_GLOBAL__N_124unique_dim_cuda_templateIdEESt5tupleIJNSA_6TensorESF_SF_EERKSF_lbbbEUlllE_EE10hipError_tT0_T1_T2_jT3_P12ihipStream_tbPNSt15iterator_traitsISL_E10value_typeEPNSR_ISM_E10value_typeEPSN_NS1_7vsmem_tEENKUlT_SL_SM_SN_E_clIS8_S8_S9_S9_EESK_S10_SL_SM_SN_EUlS10_E0_NS1_11comp_targetILNS1_3genE0ELNS1_11target_archE4294967295ELNS1_3gpuE0ELNS1_3repE0EEENS1_38merge_mergepath_config_static_selectorELNS0_4arch9wavefront6targetE0EEEvSM_, .Lfunc_end766-_ZN7rocprim17ROCPRIM_400000_NS6detail17trampoline_kernelINS0_14default_configENS1_38merge_sort_block_merge_config_selectorIlNS0_10empty_typeEEEZZNS1_27merge_sort_block_merge_implIS3_PlPS5_mZN2at6native12_GLOBAL__N_124unique_dim_cuda_templateIdEESt5tupleIJNSA_6TensorESF_SF_EERKSF_lbbbEUlllE_EE10hipError_tT0_T1_T2_jT3_P12ihipStream_tbPNSt15iterator_traitsISL_E10value_typeEPNSR_ISM_E10value_typeEPSN_NS1_7vsmem_tEENKUlT_SL_SM_SN_E_clIS8_S8_S9_S9_EESK_S10_SL_SM_SN_EUlS10_E0_NS1_11comp_targetILNS1_3genE0ELNS1_11target_archE4294967295ELNS1_3gpuE0ELNS1_3repE0EEENS1_38merge_mergepath_config_static_selectorELNS0_4arch9wavefront6targetE0EEEvSM_
                                        ; -- End function
	.set _ZN7rocprim17ROCPRIM_400000_NS6detail17trampoline_kernelINS0_14default_configENS1_38merge_sort_block_merge_config_selectorIlNS0_10empty_typeEEEZZNS1_27merge_sort_block_merge_implIS3_PlPS5_mZN2at6native12_GLOBAL__N_124unique_dim_cuda_templateIdEESt5tupleIJNSA_6TensorESF_SF_EERKSF_lbbbEUlllE_EE10hipError_tT0_T1_T2_jT3_P12ihipStream_tbPNSt15iterator_traitsISL_E10value_typeEPNSR_ISM_E10value_typeEPSN_NS1_7vsmem_tEENKUlT_SL_SM_SN_E_clIS8_S8_S9_S9_EESK_S10_SL_SM_SN_EUlS10_E0_NS1_11comp_targetILNS1_3genE0ELNS1_11target_archE4294967295ELNS1_3gpuE0ELNS1_3repE0EEENS1_38merge_mergepath_config_static_selectorELNS0_4arch9wavefront6targetE0EEEvSM_.num_vgpr, 44
	.set _ZN7rocprim17ROCPRIM_400000_NS6detail17trampoline_kernelINS0_14default_configENS1_38merge_sort_block_merge_config_selectorIlNS0_10empty_typeEEEZZNS1_27merge_sort_block_merge_implIS3_PlPS5_mZN2at6native12_GLOBAL__N_124unique_dim_cuda_templateIdEESt5tupleIJNSA_6TensorESF_SF_EERKSF_lbbbEUlllE_EE10hipError_tT0_T1_T2_jT3_P12ihipStream_tbPNSt15iterator_traitsISL_E10value_typeEPNSR_ISM_E10value_typeEPSN_NS1_7vsmem_tEENKUlT_SL_SM_SN_E_clIS8_S8_S9_S9_EESK_S10_SL_SM_SN_EUlS10_E0_NS1_11comp_targetILNS1_3genE0ELNS1_11target_archE4294967295ELNS1_3gpuE0ELNS1_3repE0EEENS1_38merge_mergepath_config_static_selectorELNS0_4arch9wavefront6targetE0EEEvSM_.num_agpr, 0
	.set _ZN7rocprim17ROCPRIM_400000_NS6detail17trampoline_kernelINS0_14default_configENS1_38merge_sort_block_merge_config_selectorIlNS0_10empty_typeEEEZZNS1_27merge_sort_block_merge_implIS3_PlPS5_mZN2at6native12_GLOBAL__N_124unique_dim_cuda_templateIdEESt5tupleIJNSA_6TensorESF_SF_EERKSF_lbbbEUlllE_EE10hipError_tT0_T1_T2_jT3_P12ihipStream_tbPNSt15iterator_traitsISL_E10value_typeEPNSR_ISM_E10value_typeEPSN_NS1_7vsmem_tEENKUlT_SL_SM_SN_E_clIS8_S8_S9_S9_EESK_S10_SL_SM_SN_EUlS10_E0_NS1_11comp_targetILNS1_3genE0ELNS1_11target_archE4294967295ELNS1_3gpuE0ELNS1_3repE0EEENS1_38merge_mergepath_config_static_selectorELNS0_4arch9wavefront6targetE0EEEvSM_.numbered_sgpr, 32
	.set _ZN7rocprim17ROCPRIM_400000_NS6detail17trampoline_kernelINS0_14default_configENS1_38merge_sort_block_merge_config_selectorIlNS0_10empty_typeEEEZZNS1_27merge_sort_block_merge_implIS3_PlPS5_mZN2at6native12_GLOBAL__N_124unique_dim_cuda_templateIdEESt5tupleIJNSA_6TensorESF_SF_EERKSF_lbbbEUlllE_EE10hipError_tT0_T1_T2_jT3_P12ihipStream_tbPNSt15iterator_traitsISL_E10value_typeEPNSR_ISM_E10value_typeEPSN_NS1_7vsmem_tEENKUlT_SL_SM_SN_E_clIS8_S8_S9_S9_EESK_S10_SL_SM_SN_EUlS10_E0_NS1_11comp_targetILNS1_3genE0ELNS1_11target_archE4294967295ELNS1_3gpuE0ELNS1_3repE0EEENS1_38merge_mergepath_config_static_selectorELNS0_4arch9wavefront6targetE0EEEvSM_.num_named_barrier, 0
	.set _ZN7rocprim17ROCPRIM_400000_NS6detail17trampoline_kernelINS0_14default_configENS1_38merge_sort_block_merge_config_selectorIlNS0_10empty_typeEEEZZNS1_27merge_sort_block_merge_implIS3_PlPS5_mZN2at6native12_GLOBAL__N_124unique_dim_cuda_templateIdEESt5tupleIJNSA_6TensorESF_SF_EERKSF_lbbbEUlllE_EE10hipError_tT0_T1_T2_jT3_P12ihipStream_tbPNSt15iterator_traitsISL_E10value_typeEPNSR_ISM_E10value_typeEPSN_NS1_7vsmem_tEENKUlT_SL_SM_SN_E_clIS8_S8_S9_S9_EESK_S10_SL_SM_SN_EUlS10_E0_NS1_11comp_targetILNS1_3genE0ELNS1_11target_archE4294967295ELNS1_3gpuE0ELNS1_3repE0EEENS1_38merge_mergepath_config_static_selectorELNS0_4arch9wavefront6targetE0EEEvSM_.private_seg_size, 0
	.set _ZN7rocprim17ROCPRIM_400000_NS6detail17trampoline_kernelINS0_14default_configENS1_38merge_sort_block_merge_config_selectorIlNS0_10empty_typeEEEZZNS1_27merge_sort_block_merge_implIS3_PlPS5_mZN2at6native12_GLOBAL__N_124unique_dim_cuda_templateIdEESt5tupleIJNSA_6TensorESF_SF_EERKSF_lbbbEUlllE_EE10hipError_tT0_T1_T2_jT3_P12ihipStream_tbPNSt15iterator_traitsISL_E10value_typeEPNSR_ISM_E10value_typeEPSN_NS1_7vsmem_tEENKUlT_SL_SM_SN_E_clIS8_S8_S9_S9_EESK_S10_SL_SM_SN_EUlS10_E0_NS1_11comp_targetILNS1_3genE0ELNS1_11target_archE4294967295ELNS1_3gpuE0ELNS1_3repE0EEENS1_38merge_mergepath_config_static_selectorELNS0_4arch9wavefront6targetE0EEEvSM_.uses_vcc, 1
	.set _ZN7rocprim17ROCPRIM_400000_NS6detail17trampoline_kernelINS0_14default_configENS1_38merge_sort_block_merge_config_selectorIlNS0_10empty_typeEEEZZNS1_27merge_sort_block_merge_implIS3_PlPS5_mZN2at6native12_GLOBAL__N_124unique_dim_cuda_templateIdEESt5tupleIJNSA_6TensorESF_SF_EERKSF_lbbbEUlllE_EE10hipError_tT0_T1_T2_jT3_P12ihipStream_tbPNSt15iterator_traitsISL_E10value_typeEPNSR_ISM_E10value_typeEPSN_NS1_7vsmem_tEENKUlT_SL_SM_SN_E_clIS8_S8_S9_S9_EESK_S10_SL_SM_SN_EUlS10_E0_NS1_11comp_targetILNS1_3genE0ELNS1_11target_archE4294967295ELNS1_3gpuE0ELNS1_3repE0EEENS1_38merge_mergepath_config_static_selectorELNS0_4arch9wavefront6targetE0EEEvSM_.uses_flat_scratch, 0
	.set _ZN7rocprim17ROCPRIM_400000_NS6detail17trampoline_kernelINS0_14default_configENS1_38merge_sort_block_merge_config_selectorIlNS0_10empty_typeEEEZZNS1_27merge_sort_block_merge_implIS3_PlPS5_mZN2at6native12_GLOBAL__N_124unique_dim_cuda_templateIdEESt5tupleIJNSA_6TensorESF_SF_EERKSF_lbbbEUlllE_EE10hipError_tT0_T1_T2_jT3_P12ihipStream_tbPNSt15iterator_traitsISL_E10value_typeEPNSR_ISM_E10value_typeEPSN_NS1_7vsmem_tEENKUlT_SL_SM_SN_E_clIS8_S8_S9_S9_EESK_S10_SL_SM_SN_EUlS10_E0_NS1_11comp_targetILNS1_3genE0ELNS1_11target_archE4294967295ELNS1_3gpuE0ELNS1_3repE0EEENS1_38merge_mergepath_config_static_selectorELNS0_4arch9wavefront6targetE0EEEvSM_.has_dyn_sized_stack, 0
	.set _ZN7rocprim17ROCPRIM_400000_NS6detail17trampoline_kernelINS0_14default_configENS1_38merge_sort_block_merge_config_selectorIlNS0_10empty_typeEEEZZNS1_27merge_sort_block_merge_implIS3_PlPS5_mZN2at6native12_GLOBAL__N_124unique_dim_cuda_templateIdEESt5tupleIJNSA_6TensorESF_SF_EERKSF_lbbbEUlllE_EE10hipError_tT0_T1_T2_jT3_P12ihipStream_tbPNSt15iterator_traitsISL_E10value_typeEPNSR_ISM_E10value_typeEPSN_NS1_7vsmem_tEENKUlT_SL_SM_SN_E_clIS8_S8_S9_S9_EESK_S10_SL_SM_SN_EUlS10_E0_NS1_11comp_targetILNS1_3genE0ELNS1_11target_archE4294967295ELNS1_3gpuE0ELNS1_3repE0EEENS1_38merge_mergepath_config_static_selectorELNS0_4arch9wavefront6targetE0EEEvSM_.has_recursion, 0
	.set _ZN7rocprim17ROCPRIM_400000_NS6detail17trampoline_kernelINS0_14default_configENS1_38merge_sort_block_merge_config_selectorIlNS0_10empty_typeEEEZZNS1_27merge_sort_block_merge_implIS3_PlPS5_mZN2at6native12_GLOBAL__N_124unique_dim_cuda_templateIdEESt5tupleIJNSA_6TensorESF_SF_EERKSF_lbbbEUlllE_EE10hipError_tT0_T1_T2_jT3_P12ihipStream_tbPNSt15iterator_traitsISL_E10value_typeEPNSR_ISM_E10value_typeEPSN_NS1_7vsmem_tEENKUlT_SL_SM_SN_E_clIS8_S8_S9_S9_EESK_S10_SL_SM_SN_EUlS10_E0_NS1_11comp_targetILNS1_3genE0ELNS1_11target_archE4294967295ELNS1_3gpuE0ELNS1_3repE0EEENS1_38merge_mergepath_config_static_selectorELNS0_4arch9wavefront6targetE0EEEvSM_.has_indirect_call, 0
	.section	.AMDGPU.csdata,"",@progbits
; Kernel info:
; codeLenInByte = 6680
; TotalNumSgprs: 34
; NumVgprs: 44
; ScratchSize: 0
; MemoryBound: 0
; FloatMode: 240
; IeeeMode: 1
; LDSByteSize: 8448 bytes/workgroup (compile time only)
; SGPRBlocks: 0
; VGPRBlocks: 2
; NumSGPRsForWavesPerEU: 34
; NumVGPRsForWavesPerEU: 44
; NamedBarCnt: 0
; Occupancy: 16
; WaveLimiterHint : 1
; COMPUTE_PGM_RSRC2:SCRATCH_EN: 0
; COMPUTE_PGM_RSRC2:USER_SGPR: 2
; COMPUTE_PGM_RSRC2:TRAP_HANDLER: 0
; COMPUTE_PGM_RSRC2:TGID_X_EN: 1
; COMPUTE_PGM_RSRC2:TGID_Y_EN: 1
; COMPUTE_PGM_RSRC2:TGID_Z_EN: 1
; COMPUTE_PGM_RSRC2:TIDIG_COMP_CNT: 0
	.section	.text._ZN7rocprim17ROCPRIM_400000_NS6detail17trampoline_kernelINS0_14default_configENS1_38merge_sort_block_merge_config_selectorIlNS0_10empty_typeEEEZZNS1_27merge_sort_block_merge_implIS3_PlPS5_mZN2at6native12_GLOBAL__N_124unique_dim_cuda_templateIdEESt5tupleIJNSA_6TensorESF_SF_EERKSF_lbbbEUlllE_EE10hipError_tT0_T1_T2_jT3_P12ihipStream_tbPNSt15iterator_traitsISL_E10value_typeEPNSR_ISM_E10value_typeEPSN_NS1_7vsmem_tEENKUlT_SL_SM_SN_E_clIS8_S8_S9_S9_EESK_S10_SL_SM_SN_EUlS10_E0_NS1_11comp_targetILNS1_3genE10ELNS1_11target_archE1201ELNS1_3gpuE5ELNS1_3repE0EEENS1_38merge_mergepath_config_static_selectorELNS0_4arch9wavefront6targetE0EEEvSM_,"axG",@progbits,_ZN7rocprim17ROCPRIM_400000_NS6detail17trampoline_kernelINS0_14default_configENS1_38merge_sort_block_merge_config_selectorIlNS0_10empty_typeEEEZZNS1_27merge_sort_block_merge_implIS3_PlPS5_mZN2at6native12_GLOBAL__N_124unique_dim_cuda_templateIdEESt5tupleIJNSA_6TensorESF_SF_EERKSF_lbbbEUlllE_EE10hipError_tT0_T1_T2_jT3_P12ihipStream_tbPNSt15iterator_traitsISL_E10value_typeEPNSR_ISM_E10value_typeEPSN_NS1_7vsmem_tEENKUlT_SL_SM_SN_E_clIS8_S8_S9_S9_EESK_S10_SL_SM_SN_EUlS10_E0_NS1_11comp_targetILNS1_3genE10ELNS1_11target_archE1201ELNS1_3gpuE5ELNS1_3repE0EEENS1_38merge_mergepath_config_static_selectorELNS0_4arch9wavefront6targetE0EEEvSM_,comdat
	.globl	_ZN7rocprim17ROCPRIM_400000_NS6detail17trampoline_kernelINS0_14default_configENS1_38merge_sort_block_merge_config_selectorIlNS0_10empty_typeEEEZZNS1_27merge_sort_block_merge_implIS3_PlPS5_mZN2at6native12_GLOBAL__N_124unique_dim_cuda_templateIdEESt5tupleIJNSA_6TensorESF_SF_EERKSF_lbbbEUlllE_EE10hipError_tT0_T1_T2_jT3_P12ihipStream_tbPNSt15iterator_traitsISL_E10value_typeEPNSR_ISM_E10value_typeEPSN_NS1_7vsmem_tEENKUlT_SL_SM_SN_E_clIS8_S8_S9_S9_EESK_S10_SL_SM_SN_EUlS10_E0_NS1_11comp_targetILNS1_3genE10ELNS1_11target_archE1201ELNS1_3gpuE5ELNS1_3repE0EEENS1_38merge_mergepath_config_static_selectorELNS0_4arch9wavefront6targetE0EEEvSM_ ; -- Begin function _ZN7rocprim17ROCPRIM_400000_NS6detail17trampoline_kernelINS0_14default_configENS1_38merge_sort_block_merge_config_selectorIlNS0_10empty_typeEEEZZNS1_27merge_sort_block_merge_implIS3_PlPS5_mZN2at6native12_GLOBAL__N_124unique_dim_cuda_templateIdEESt5tupleIJNSA_6TensorESF_SF_EERKSF_lbbbEUlllE_EE10hipError_tT0_T1_T2_jT3_P12ihipStream_tbPNSt15iterator_traitsISL_E10value_typeEPNSR_ISM_E10value_typeEPSN_NS1_7vsmem_tEENKUlT_SL_SM_SN_E_clIS8_S8_S9_S9_EESK_S10_SL_SM_SN_EUlS10_E0_NS1_11comp_targetILNS1_3genE10ELNS1_11target_archE1201ELNS1_3gpuE5ELNS1_3repE0EEENS1_38merge_mergepath_config_static_selectorELNS0_4arch9wavefront6targetE0EEEvSM_
	.p2align	8
	.type	_ZN7rocprim17ROCPRIM_400000_NS6detail17trampoline_kernelINS0_14default_configENS1_38merge_sort_block_merge_config_selectorIlNS0_10empty_typeEEEZZNS1_27merge_sort_block_merge_implIS3_PlPS5_mZN2at6native12_GLOBAL__N_124unique_dim_cuda_templateIdEESt5tupleIJNSA_6TensorESF_SF_EERKSF_lbbbEUlllE_EE10hipError_tT0_T1_T2_jT3_P12ihipStream_tbPNSt15iterator_traitsISL_E10value_typeEPNSR_ISM_E10value_typeEPSN_NS1_7vsmem_tEENKUlT_SL_SM_SN_E_clIS8_S8_S9_S9_EESK_S10_SL_SM_SN_EUlS10_E0_NS1_11comp_targetILNS1_3genE10ELNS1_11target_archE1201ELNS1_3gpuE5ELNS1_3repE0EEENS1_38merge_mergepath_config_static_selectorELNS0_4arch9wavefront6targetE0EEEvSM_,@function
_ZN7rocprim17ROCPRIM_400000_NS6detail17trampoline_kernelINS0_14default_configENS1_38merge_sort_block_merge_config_selectorIlNS0_10empty_typeEEEZZNS1_27merge_sort_block_merge_implIS3_PlPS5_mZN2at6native12_GLOBAL__N_124unique_dim_cuda_templateIdEESt5tupleIJNSA_6TensorESF_SF_EERKSF_lbbbEUlllE_EE10hipError_tT0_T1_T2_jT3_P12ihipStream_tbPNSt15iterator_traitsISL_E10value_typeEPNSR_ISM_E10value_typeEPSN_NS1_7vsmem_tEENKUlT_SL_SM_SN_E_clIS8_S8_S9_S9_EESK_S10_SL_SM_SN_EUlS10_E0_NS1_11comp_targetILNS1_3genE10ELNS1_11target_archE1201ELNS1_3gpuE5ELNS1_3repE0EEENS1_38merge_mergepath_config_static_selectorELNS0_4arch9wavefront6targetE0EEEvSM_: ; @_ZN7rocprim17ROCPRIM_400000_NS6detail17trampoline_kernelINS0_14default_configENS1_38merge_sort_block_merge_config_selectorIlNS0_10empty_typeEEEZZNS1_27merge_sort_block_merge_implIS3_PlPS5_mZN2at6native12_GLOBAL__N_124unique_dim_cuda_templateIdEESt5tupleIJNSA_6TensorESF_SF_EERKSF_lbbbEUlllE_EE10hipError_tT0_T1_T2_jT3_P12ihipStream_tbPNSt15iterator_traitsISL_E10value_typeEPNSR_ISM_E10value_typeEPSN_NS1_7vsmem_tEENKUlT_SL_SM_SN_E_clIS8_S8_S9_S9_EESK_S10_SL_SM_SN_EUlS10_E0_NS1_11comp_targetILNS1_3genE10ELNS1_11target_archE1201ELNS1_3gpuE5ELNS1_3repE0EEENS1_38merge_mergepath_config_static_selectorELNS0_4arch9wavefront6targetE0EEEvSM_
; %bb.0:
	.section	.rodata,"a",@progbits
	.p2align	6, 0x0
	.amdhsa_kernel _ZN7rocprim17ROCPRIM_400000_NS6detail17trampoline_kernelINS0_14default_configENS1_38merge_sort_block_merge_config_selectorIlNS0_10empty_typeEEEZZNS1_27merge_sort_block_merge_implIS3_PlPS5_mZN2at6native12_GLOBAL__N_124unique_dim_cuda_templateIdEESt5tupleIJNSA_6TensorESF_SF_EERKSF_lbbbEUlllE_EE10hipError_tT0_T1_T2_jT3_P12ihipStream_tbPNSt15iterator_traitsISL_E10value_typeEPNSR_ISM_E10value_typeEPSN_NS1_7vsmem_tEENKUlT_SL_SM_SN_E_clIS8_S8_S9_S9_EESK_S10_SL_SM_SN_EUlS10_E0_NS1_11comp_targetILNS1_3genE10ELNS1_11target_archE1201ELNS1_3gpuE5ELNS1_3repE0EEENS1_38merge_mergepath_config_static_selectorELNS0_4arch9wavefront6targetE0EEEvSM_
		.amdhsa_group_segment_fixed_size 0
		.amdhsa_private_segment_fixed_size 0
		.amdhsa_kernarg_size 88
		.amdhsa_user_sgpr_count 2
		.amdhsa_user_sgpr_dispatch_ptr 0
		.amdhsa_user_sgpr_queue_ptr 0
		.amdhsa_user_sgpr_kernarg_segment_ptr 1
		.amdhsa_user_sgpr_dispatch_id 0
		.amdhsa_user_sgpr_kernarg_preload_length 0
		.amdhsa_user_sgpr_kernarg_preload_offset 0
		.amdhsa_user_sgpr_private_segment_size 0
		.amdhsa_wavefront_size32 1
		.amdhsa_uses_dynamic_stack 0
		.amdhsa_enable_private_segment 0
		.amdhsa_system_sgpr_workgroup_id_x 1
		.amdhsa_system_sgpr_workgroup_id_y 0
		.amdhsa_system_sgpr_workgroup_id_z 0
		.amdhsa_system_sgpr_workgroup_info 0
		.amdhsa_system_vgpr_workitem_id 0
		.amdhsa_next_free_vgpr 1
		.amdhsa_next_free_sgpr 1
		.amdhsa_named_barrier_count 0
		.amdhsa_reserve_vcc 0
		.amdhsa_float_round_mode_32 0
		.amdhsa_float_round_mode_16_64 0
		.amdhsa_float_denorm_mode_32 3
		.amdhsa_float_denorm_mode_16_64 3
		.amdhsa_fp16_overflow 0
		.amdhsa_memory_ordered 1
		.amdhsa_forward_progress 1
		.amdhsa_inst_pref_size 0
		.amdhsa_round_robin_scheduling 0
		.amdhsa_exception_fp_ieee_invalid_op 0
		.amdhsa_exception_fp_denorm_src 0
		.amdhsa_exception_fp_ieee_div_zero 0
		.amdhsa_exception_fp_ieee_overflow 0
		.amdhsa_exception_fp_ieee_underflow 0
		.amdhsa_exception_fp_ieee_inexact 0
		.amdhsa_exception_int_div_zero 0
	.end_amdhsa_kernel
	.section	.text._ZN7rocprim17ROCPRIM_400000_NS6detail17trampoline_kernelINS0_14default_configENS1_38merge_sort_block_merge_config_selectorIlNS0_10empty_typeEEEZZNS1_27merge_sort_block_merge_implIS3_PlPS5_mZN2at6native12_GLOBAL__N_124unique_dim_cuda_templateIdEESt5tupleIJNSA_6TensorESF_SF_EERKSF_lbbbEUlllE_EE10hipError_tT0_T1_T2_jT3_P12ihipStream_tbPNSt15iterator_traitsISL_E10value_typeEPNSR_ISM_E10value_typeEPSN_NS1_7vsmem_tEENKUlT_SL_SM_SN_E_clIS8_S8_S9_S9_EESK_S10_SL_SM_SN_EUlS10_E0_NS1_11comp_targetILNS1_3genE10ELNS1_11target_archE1201ELNS1_3gpuE5ELNS1_3repE0EEENS1_38merge_mergepath_config_static_selectorELNS0_4arch9wavefront6targetE0EEEvSM_,"axG",@progbits,_ZN7rocprim17ROCPRIM_400000_NS6detail17trampoline_kernelINS0_14default_configENS1_38merge_sort_block_merge_config_selectorIlNS0_10empty_typeEEEZZNS1_27merge_sort_block_merge_implIS3_PlPS5_mZN2at6native12_GLOBAL__N_124unique_dim_cuda_templateIdEESt5tupleIJNSA_6TensorESF_SF_EERKSF_lbbbEUlllE_EE10hipError_tT0_T1_T2_jT3_P12ihipStream_tbPNSt15iterator_traitsISL_E10value_typeEPNSR_ISM_E10value_typeEPSN_NS1_7vsmem_tEENKUlT_SL_SM_SN_E_clIS8_S8_S9_S9_EESK_S10_SL_SM_SN_EUlS10_E0_NS1_11comp_targetILNS1_3genE10ELNS1_11target_archE1201ELNS1_3gpuE5ELNS1_3repE0EEENS1_38merge_mergepath_config_static_selectorELNS0_4arch9wavefront6targetE0EEEvSM_,comdat
.Lfunc_end767:
	.size	_ZN7rocprim17ROCPRIM_400000_NS6detail17trampoline_kernelINS0_14default_configENS1_38merge_sort_block_merge_config_selectorIlNS0_10empty_typeEEEZZNS1_27merge_sort_block_merge_implIS3_PlPS5_mZN2at6native12_GLOBAL__N_124unique_dim_cuda_templateIdEESt5tupleIJNSA_6TensorESF_SF_EERKSF_lbbbEUlllE_EE10hipError_tT0_T1_T2_jT3_P12ihipStream_tbPNSt15iterator_traitsISL_E10value_typeEPNSR_ISM_E10value_typeEPSN_NS1_7vsmem_tEENKUlT_SL_SM_SN_E_clIS8_S8_S9_S9_EESK_S10_SL_SM_SN_EUlS10_E0_NS1_11comp_targetILNS1_3genE10ELNS1_11target_archE1201ELNS1_3gpuE5ELNS1_3repE0EEENS1_38merge_mergepath_config_static_selectorELNS0_4arch9wavefront6targetE0EEEvSM_, .Lfunc_end767-_ZN7rocprim17ROCPRIM_400000_NS6detail17trampoline_kernelINS0_14default_configENS1_38merge_sort_block_merge_config_selectorIlNS0_10empty_typeEEEZZNS1_27merge_sort_block_merge_implIS3_PlPS5_mZN2at6native12_GLOBAL__N_124unique_dim_cuda_templateIdEESt5tupleIJNSA_6TensorESF_SF_EERKSF_lbbbEUlllE_EE10hipError_tT0_T1_T2_jT3_P12ihipStream_tbPNSt15iterator_traitsISL_E10value_typeEPNSR_ISM_E10value_typeEPSN_NS1_7vsmem_tEENKUlT_SL_SM_SN_E_clIS8_S8_S9_S9_EESK_S10_SL_SM_SN_EUlS10_E0_NS1_11comp_targetILNS1_3genE10ELNS1_11target_archE1201ELNS1_3gpuE5ELNS1_3repE0EEENS1_38merge_mergepath_config_static_selectorELNS0_4arch9wavefront6targetE0EEEvSM_
                                        ; -- End function
	.set _ZN7rocprim17ROCPRIM_400000_NS6detail17trampoline_kernelINS0_14default_configENS1_38merge_sort_block_merge_config_selectorIlNS0_10empty_typeEEEZZNS1_27merge_sort_block_merge_implIS3_PlPS5_mZN2at6native12_GLOBAL__N_124unique_dim_cuda_templateIdEESt5tupleIJNSA_6TensorESF_SF_EERKSF_lbbbEUlllE_EE10hipError_tT0_T1_T2_jT3_P12ihipStream_tbPNSt15iterator_traitsISL_E10value_typeEPNSR_ISM_E10value_typeEPSN_NS1_7vsmem_tEENKUlT_SL_SM_SN_E_clIS8_S8_S9_S9_EESK_S10_SL_SM_SN_EUlS10_E0_NS1_11comp_targetILNS1_3genE10ELNS1_11target_archE1201ELNS1_3gpuE5ELNS1_3repE0EEENS1_38merge_mergepath_config_static_selectorELNS0_4arch9wavefront6targetE0EEEvSM_.num_vgpr, 0
	.set _ZN7rocprim17ROCPRIM_400000_NS6detail17trampoline_kernelINS0_14default_configENS1_38merge_sort_block_merge_config_selectorIlNS0_10empty_typeEEEZZNS1_27merge_sort_block_merge_implIS3_PlPS5_mZN2at6native12_GLOBAL__N_124unique_dim_cuda_templateIdEESt5tupleIJNSA_6TensorESF_SF_EERKSF_lbbbEUlllE_EE10hipError_tT0_T1_T2_jT3_P12ihipStream_tbPNSt15iterator_traitsISL_E10value_typeEPNSR_ISM_E10value_typeEPSN_NS1_7vsmem_tEENKUlT_SL_SM_SN_E_clIS8_S8_S9_S9_EESK_S10_SL_SM_SN_EUlS10_E0_NS1_11comp_targetILNS1_3genE10ELNS1_11target_archE1201ELNS1_3gpuE5ELNS1_3repE0EEENS1_38merge_mergepath_config_static_selectorELNS0_4arch9wavefront6targetE0EEEvSM_.num_agpr, 0
	.set _ZN7rocprim17ROCPRIM_400000_NS6detail17trampoline_kernelINS0_14default_configENS1_38merge_sort_block_merge_config_selectorIlNS0_10empty_typeEEEZZNS1_27merge_sort_block_merge_implIS3_PlPS5_mZN2at6native12_GLOBAL__N_124unique_dim_cuda_templateIdEESt5tupleIJNSA_6TensorESF_SF_EERKSF_lbbbEUlllE_EE10hipError_tT0_T1_T2_jT3_P12ihipStream_tbPNSt15iterator_traitsISL_E10value_typeEPNSR_ISM_E10value_typeEPSN_NS1_7vsmem_tEENKUlT_SL_SM_SN_E_clIS8_S8_S9_S9_EESK_S10_SL_SM_SN_EUlS10_E0_NS1_11comp_targetILNS1_3genE10ELNS1_11target_archE1201ELNS1_3gpuE5ELNS1_3repE0EEENS1_38merge_mergepath_config_static_selectorELNS0_4arch9wavefront6targetE0EEEvSM_.numbered_sgpr, 0
	.set _ZN7rocprim17ROCPRIM_400000_NS6detail17trampoline_kernelINS0_14default_configENS1_38merge_sort_block_merge_config_selectorIlNS0_10empty_typeEEEZZNS1_27merge_sort_block_merge_implIS3_PlPS5_mZN2at6native12_GLOBAL__N_124unique_dim_cuda_templateIdEESt5tupleIJNSA_6TensorESF_SF_EERKSF_lbbbEUlllE_EE10hipError_tT0_T1_T2_jT3_P12ihipStream_tbPNSt15iterator_traitsISL_E10value_typeEPNSR_ISM_E10value_typeEPSN_NS1_7vsmem_tEENKUlT_SL_SM_SN_E_clIS8_S8_S9_S9_EESK_S10_SL_SM_SN_EUlS10_E0_NS1_11comp_targetILNS1_3genE10ELNS1_11target_archE1201ELNS1_3gpuE5ELNS1_3repE0EEENS1_38merge_mergepath_config_static_selectorELNS0_4arch9wavefront6targetE0EEEvSM_.num_named_barrier, 0
	.set _ZN7rocprim17ROCPRIM_400000_NS6detail17trampoline_kernelINS0_14default_configENS1_38merge_sort_block_merge_config_selectorIlNS0_10empty_typeEEEZZNS1_27merge_sort_block_merge_implIS3_PlPS5_mZN2at6native12_GLOBAL__N_124unique_dim_cuda_templateIdEESt5tupleIJNSA_6TensorESF_SF_EERKSF_lbbbEUlllE_EE10hipError_tT0_T1_T2_jT3_P12ihipStream_tbPNSt15iterator_traitsISL_E10value_typeEPNSR_ISM_E10value_typeEPSN_NS1_7vsmem_tEENKUlT_SL_SM_SN_E_clIS8_S8_S9_S9_EESK_S10_SL_SM_SN_EUlS10_E0_NS1_11comp_targetILNS1_3genE10ELNS1_11target_archE1201ELNS1_3gpuE5ELNS1_3repE0EEENS1_38merge_mergepath_config_static_selectorELNS0_4arch9wavefront6targetE0EEEvSM_.private_seg_size, 0
	.set _ZN7rocprim17ROCPRIM_400000_NS6detail17trampoline_kernelINS0_14default_configENS1_38merge_sort_block_merge_config_selectorIlNS0_10empty_typeEEEZZNS1_27merge_sort_block_merge_implIS3_PlPS5_mZN2at6native12_GLOBAL__N_124unique_dim_cuda_templateIdEESt5tupleIJNSA_6TensorESF_SF_EERKSF_lbbbEUlllE_EE10hipError_tT0_T1_T2_jT3_P12ihipStream_tbPNSt15iterator_traitsISL_E10value_typeEPNSR_ISM_E10value_typeEPSN_NS1_7vsmem_tEENKUlT_SL_SM_SN_E_clIS8_S8_S9_S9_EESK_S10_SL_SM_SN_EUlS10_E0_NS1_11comp_targetILNS1_3genE10ELNS1_11target_archE1201ELNS1_3gpuE5ELNS1_3repE0EEENS1_38merge_mergepath_config_static_selectorELNS0_4arch9wavefront6targetE0EEEvSM_.uses_vcc, 0
	.set _ZN7rocprim17ROCPRIM_400000_NS6detail17trampoline_kernelINS0_14default_configENS1_38merge_sort_block_merge_config_selectorIlNS0_10empty_typeEEEZZNS1_27merge_sort_block_merge_implIS3_PlPS5_mZN2at6native12_GLOBAL__N_124unique_dim_cuda_templateIdEESt5tupleIJNSA_6TensorESF_SF_EERKSF_lbbbEUlllE_EE10hipError_tT0_T1_T2_jT3_P12ihipStream_tbPNSt15iterator_traitsISL_E10value_typeEPNSR_ISM_E10value_typeEPSN_NS1_7vsmem_tEENKUlT_SL_SM_SN_E_clIS8_S8_S9_S9_EESK_S10_SL_SM_SN_EUlS10_E0_NS1_11comp_targetILNS1_3genE10ELNS1_11target_archE1201ELNS1_3gpuE5ELNS1_3repE0EEENS1_38merge_mergepath_config_static_selectorELNS0_4arch9wavefront6targetE0EEEvSM_.uses_flat_scratch, 0
	.set _ZN7rocprim17ROCPRIM_400000_NS6detail17trampoline_kernelINS0_14default_configENS1_38merge_sort_block_merge_config_selectorIlNS0_10empty_typeEEEZZNS1_27merge_sort_block_merge_implIS3_PlPS5_mZN2at6native12_GLOBAL__N_124unique_dim_cuda_templateIdEESt5tupleIJNSA_6TensorESF_SF_EERKSF_lbbbEUlllE_EE10hipError_tT0_T1_T2_jT3_P12ihipStream_tbPNSt15iterator_traitsISL_E10value_typeEPNSR_ISM_E10value_typeEPSN_NS1_7vsmem_tEENKUlT_SL_SM_SN_E_clIS8_S8_S9_S9_EESK_S10_SL_SM_SN_EUlS10_E0_NS1_11comp_targetILNS1_3genE10ELNS1_11target_archE1201ELNS1_3gpuE5ELNS1_3repE0EEENS1_38merge_mergepath_config_static_selectorELNS0_4arch9wavefront6targetE0EEEvSM_.has_dyn_sized_stack, 0
	.set _ZN7rocprim17ROCPRIM_400000_NS6detail17trampoline_kernelINS0_14default_configENS1_38merge_sort_block_merge_config_selectorIlNS0_10empty_typeEEEZZNS1_27merge_sort_block_merge_implIS3_PlPS5_mZN2at6native12_GLOBAL__N_124unique_dim_cuda_templateIdEESt5tupleIJNSA_6TensorESF_SF_EERKSF_lbbbEUlllE_EE10hipError_tT0_T1_T2_jT3_P12ihipStream_tbPNSt15iterator_traitsISL_E10value_typeEPNSR_ISM_E10value_typeEPSN_NS1_7vsmem_tEENKUlT_SL_SM_SN_E_clIS8_S8_S9_S9_EESK_S10_SL_SM_SN_EUlS10_E0_NS1_11comp_targetILNS1_3genE10ELNS1_11target_archE1201ELNS1_3gpuE5ELNS1_3repE0EEENS1_38merge_mergepath_config_static_selectorELNS0_4arch9wavefront6targetE0EEEvSM_.has_recursion, 0
	.set _ZN7rocprim17ROCPRIM_400000_NS6detail17trampoline_kernelINS0_14default_configENS1_38merge_sort_block_merge_config_selectorIlNS0_10empty_typeEEEZZNS1_27merge_sort_block_merge_implIS3_PlPS5_mZN2at6native12_GLOBAL__N_124unique_dim_cuda_templateIdEESt5tupleIJNSA_6TensorESF_SF_EERKSF_lbbbEUlllE_EE10hipError_tT0_T1_T2_jT3_P12ihipStream_tbPNSt15iterator_traitsISL_E10value_typeEPNSR_ISM_E10value_typeEPSN_NS1_7vsmem_tEENKUlT_SL_SM_SN_E_clIS8_S8_S9_S9_EESK_S10_SL_SM_SN_EUlS10_E0_NS1_11comp_targetILNS1_3genE10ELNS1_11target_archE1201ELNS1_3gpuE5ELNS1_3repE0EEENS1_38merge_mergepath_config_static_selectorELNS0_4arch9wavefront6targetE0EEEvSM_.has_indirect_call, 0
	.section	.AMDGPU.csdata,"",@progbits
; Kernel info:
; codeLenInByte = 0
; TotalNumSgprs: 0
; NumVgprs: 0
; ScratchSize: 0
; MemoryBound: 0
; FloatMode: 240
; IeeeMode: 1
; LDSByteSize: 0 bytes/workgroup (compile time only)
; SGPRBlocks: 0
; VGPRBlocks: 0
; NumSGPRsForWavesPerEU: 1
; NumVGPRsForWavesPerEU: 1
; NamedBarCnt: 0
; Occupancy: 16
; WaveLimiterHint : 0
; COMPUTE_PGM_RSRC2:SCRATCH_EN: 0
; COMPUTE_PGM_RSRC2:USER_SGPR: 2
; COMPUTE_PGM_RSRC2:TRAP_HANDLER: 0
; COMPUTE_PGM_RSRC2:TGID_X_EN: 1
; COMPUTE_PGM_RSRC2:TGID_Y_EN: 0
; COMPUTE_PGM_RSRC2:TGID_Z_EN: 0
; COMPUTE_PGM_RSRC2:TIDIG_COMP_CNT: 0
	.section	.text._ZN7rocprim17ROCPRIM_400000_NS6detail17trampoline_kernelINS0_14default_configENS1_38merge_sort_block_merge_config_selectorIlNS0_10empty_typeEEEZZNS1_27merge_sort_block_merge_implIS3_PlPS5_mZN2at6native12_GLOBAL__N_124unique_dim_cuda_templateIdEESt5tupleIJNSA_6TensorESF_SF_EERKSF_lbbbEUlllE_EE10hipError_tT0_T1_T2_jT3_P12ihipStream_tbPNSt15iterator_traitsISL_E10value_typeEPNSR_ISM_E10value_typeEPSN_NS1_7vsmem_tEENKUlT_SL_SM_SN_E_clIS8_S8_S9_S9_EESK_S10_SL_SM_SN_EUlS10_E0_NS1_11comp_targetILNS1_3genE5ELNS1_11target_archE942ELNS1_3gpuE9ELNS1_3repE0EEENS1_38merge_mergepath_config_static_selectorELNS0_4arch9wavefront6targetE0EEEvSM_,"axG",@progbits,_ZN7rocprim17ROCPRIM_400000_NS6detail17trampoline_kernelINS0_14default_configENS1_38merge_sort_block_merge_config_selectorIlNS0_10empty_typeEEEZZNS1_27merge_sort_block_merge_implIS3_PlPS5_mZN2at6native12_GLOBAL__N_124unique_dim_cuda_templateIdEESt5tupleIJNSA_6TensorESF_SF_EERKSF_lbbbEUlllE_EE10hipError_tT0_T1_T2_jT3_P12ihipStream_tbPNSt15iterator_traitsISL_E10value_typeEPNSR_ISM_E10value_typeEPSN_NS1_7vsmem_tEENKUlT_SL_SM_SN_E_clIS8_S8_S9_S9_EESK_S10_SL_SM_SN_EUlS10_E0_NS1_11comp_targetILNS1_3genE5ELNS1_11target_archE942ELNS1_3gpuE9ELNS1_3repE0EEENS1_38merge_mergepath_config_static_selectorELNS0_4arch9wavefront6targetE0EEEvSM_,comdat
	.globl	_ZN7rocprim17ROCPRIM_400000_NS6detail17trampoline_kernelINS0_14default_configENS1_38merge_sort_block_merge_config_selectorIlNS0_10empty_typeEEEZZNS1_27merge_sort_block_merge_implIS3_PlPS5_mZN2at6native12_GLOBAL__N_124unique_dim_cuda_templateIdEESt5tupleIJNSA_6TensorESF_SF_EERKSF_lbbbEUlllE_EE10hipError_tT0_T1_T2_jT3_P12ihipStream_tbPNSt15iterator_traitsISL_E10value_typeEPNSR_ISM_E10value_typeEPSN_NS1_7vsmem_tEENKUlT_SL_SM_SN_E_clIS8_S8_S9_S9_EESK_S10_SL_SM_SN_EUlS10_E0_NS1_11comp_targetILNS1_3genE5ELNS1_11target_archE942ELNS1_3gpuE9ELNS1_3repE0EEENS1_38merge_mergepath_config_static_selectorELNS0_4arch9wavefront6targetE0EEEvSM_ ; -- Begin function _ZN7rocprim17ROCPRIM_400000_NS6detail17trampoline_kernelINS0_14default_configENS1_38merge_sort_block_merge_config_selectorIlNS0_10empty_typeEEEZZNS1_27merge_sort_block_merge_implIS3_PlPS5_mZN2at6native12_GLOBAL__N_124unique_dim_cuda_templateIdEESt5tupleIJNSA_6TensorESF_SF_EERKSF_lbbbEUlllE_EE10hipError_tT0_T1_T2_jT3_P12ihipStream_tbPNSt15iterator_traitsISL_E10value_typeEPNSR_ISM_E10value_typeEPSN_NS1_7vsmem_tEENKUlT_SL_SM_SN_E_clIS8_S8_S9_S9_EESK_S10_SL_SM_SN_EUlS10_E0_NS1_11comp_targetILNS1_3genE5ELNS1_11target_archE942ELNS1_3gpuE9ELNS1_3repE0EEENS1_38merge_mergepath_config_static_selectorELNS0_4arch9wavefront6targetE0EEEvSM_
	.p2align	8
	.type	_ZN7rocprim17ROCPRIM_400000_NS6detail17trampoline_kernelINS0_14default_configENS1_38merge_sort_block_merge_config_selectorIlNS0_10empty_typeEEEZZNS1_27merge_sort_block_merge_implIS3_PlPS5_mZN2at6native12_GLOBAL__N_124unique_dim_cuda_templateIdEESt5tupleIJNSA_6TensorESF_SF_EERKSF_lbbbEUlllE_EE10hipError_tT0_T1_T2_jT3_P12ihipStream_tbPNSt15iterator_traitsISL_E10value_typeEPNSR_ISM_E10value_typeEPSN_NS1_7vsmem_tEENKUlT_SL_SM_SN_E_clIS8_S8_S9_S9_EESK_S10_SL_SM_SN_EUlS10_E0_NS1_11comp_targetILNS1_3genE5ELNS1_11target_archE942ELNS1_3gpuE9ELNS1_3repE0EEENS1_38merge_mergepath_config_static_selectorELNS0_4arch9wavefront6targetE0EEEvSM_,@function
_ZN7rocprim17ROCPRIM_400000_NS6detail17trampoline_kernelINS0_14default_configENS1_38merge_sort_block_merge_config_selectorIlNS0_10empty_typeEEEZZNS1_27merge_sort_block_merge_implIS3_PlPS5_mZN2at6native12_GLOBAL__N_124unique_dim_cuda_templateIdEESt5tupleIJNSA_6TensorESF_SF_EERKSF_lbbbEUlllE_EE10hipError_tT0_T1_T2_jT3_P12ihipStream_tbPNSt15iterator_traitsISL_E10value_typeEPNSR_ISM_E10value_typeEPSN_NS1_7vsmem_tEENKUlT_SL_SM_SN_E_clIS8_S8_S9_S9_EESK_S10_SL_SM_SN_EUlS10_E0_NS1_11comp_targetILNS1_3genE5ELNS1_11target_archE942ELNS1_3gpuE9ELNS1_3repE0EEENS1_38merge_mergepath_config_static_selectorELNS0_4arch9wavefront6targetE0EEEvSM_: ; @_ZN7rocprim17ROCPRIM_400000_NS6detail17trampoline_kernelINS0_14default_configENS1_38merge_sort_block_merge_config_selectorIlNS0_10empty_typeEEEZZNS1_27merge_sort_block_merge_implIS3_PlPS5_mZN2at6native12_GLOBAL__N_124unique_dim_cuda_templateIdEESt5tupleIJNSA_6TensorESF_SF_EERKSF_lbbbEUlllE_EE10hipError_tT0_T1_T2_jT3_P12ihipStream_tbPNSt15iterator_traitsISL_E10value_typeEPNSR_ISM_E10value_typeEPSN_NS1_7vsmem_tEENKUlT_SL_SM_SN_E_clIS8_S8_S9_S9_EESK_S10_SL_SM_SN_EUlS10_E0_NS1_11comp_targetILNS1_3genE5ELNS1_11target_archE942ELNS1_3gpuE9ELNS1_3repE0EEENS1_38merge_mergepath_config_static_selectorELNS0_4arch9wavefront6targetE0EEEvSM_
; %bb.0:
	.section	.rodata,"a",@progbits
	.p2align	6, 0x0
	.amdhsa_kernel _ZN7rocprim17ROCPRIM_400000_NS6detail17trampoline_kernelINS0_14default_configENS1_38merge_sort_block_merge_config_selectorIlNS0_10empty_typeEEEZZNS1_27merge_sort_block_merge_implIS3_PlPS5_mZN2at6native12_GLOBAL__N_124unique_dim_cuda_templateIdEESt5tupleIJNSA_6TensorESF_SF_EERKSF_lbbbEUlllE_EE10hipError_tT0_T1_T2_jT3_P12ihipStream_tbPNSt15iterator_traitsISL_E10value_typeEPNSR_ISM_E10value_typeEPSN_NS1_7vsmem_tEENKUlT_SL_SM_SN_E_clIS8_S8_S9_S9_EESK_S10_SL_SM_SN_EUlS10_E0_NS1_11comp_targetILNS1_3genE5ELNS1_11target_archE942ELNS1_3gpuE9ELNS1_3repE0EEENS1_38merge_mergepath_config_static_selectorELNS0_4arch9wavefront6targetE0EEEvSM_
		.amdhsa_group_segment_fixed_size 0
		.amdhsa_private_segment_fixed_size 0
		.amdhsa_kernarg_size 88
		.amdhsa_user_sgpr_count 2
		.amdhsa_user_sgpr_dispatch_ptr 0
		.amdhsa_user_sgpr_queue_ptr 0
		.amdhsa_user_sgpr_kernarg_segment_ptr 1
		.amdhsa_user_sgpr_dispatch_id 0
		.amdhsa_user_sgpr_kernarg_preload_length 0
		.amdhsa_user_sgpr_kernarg_preload_offset 0
		.amdhsa_user_sgpr_private_segment_size 0
		.amdhsa_wavefront_size32 1
		.amdhsa_uses_dynamic_stack 0
		.amdhsa_enable_private_segment 0
		.amdhsa_system_sgpr_workgroup_id_x 1
		.amdhsa_system_sgpr_workgroup_id_y 0
		.amdhsa_system_sgpr_workgroup_id_z 0
		.amdhsa_system_sgpr_workgroup_info 0
		.amdhsa_system_vgpr_workitem_id 0
		.amdhsa_next_free_vgpr 1
		.amdhsa_next_free_sgpr 1
		.amdhsa_named_barrier_count 0
		.amdhsa_reserve_vcc 0
		.amdhsa_float_round_mode_32 0
		.amdhsa_float_round_mode_16_64 0
		.amdhsa_float_denorm_mode_32 3
		.amdhsa_float_denorm_mode_16_64 3
		.amdhsa_fp16_overflow 0
		.amdhsa_memory_ordered 1
		.amdhsa_forward_progress 1
		.amdhsa_inst_pref_size 0
		.amdhsa_round_robin_scheduling 0
		.amdhsa_exception_fp_ieee_invalid_op 0
		.amdhsa_exception_fp_denorm_src 0
		.amdhsa_exception_fp_ieee_div_zero 0
		.amdhsa_exception_fp_ieee_overflow 0
		.amdhsa_exception_fp_ieee_underflow 0
		.amdhsa_exception_fp_ieee_inexact 0
		.amdhsa_exception_int_div_zero 0
	.end_amdhsa_kernel
	.section	.text._ZN7rocprim17ROCPRIM_400000_NS6detail17trampoline_kernelINS0_14default_configENS1_38merge_sort_block_merge_config_selectorIlNS0_10empty_typeEEEZZNS1_27merge_sort_block_merge_implIS3_PlPS5_mZN2at6native12_GLOBAL__N_124unique_dim_cuda_templateIdEESt5tupleIJNSA_6TensorESF_SF_EERKSF_lbbbEUlllE_EE10hipError_tT0_T1_T2_jT3_P12ihipStream_tbPNSt15iterator_traitsISL_E10value_typeEPNSR_ISM_E10value_typeEPSN_NS1_7vsmem_tEENKUlT_SL_SM_SN_E_clIS8_S8_S9_S9_EESK_S10_SL_SM_SN_EUlS10_E0_NS1_11comp_targetILNS1_3genE5ELNS1_11target_archE942ELNS1_3gpuE9ELNS1_3repE0EEENS1_38merge_mergepath_config_static_selectorELNS0_4arch9wavefront6targetE0EEEvSM_,"axG",@progbits,_ZN7rocprim17ROCPRIM_400000_NS6detail17trampoline_kernelINS0_14default_configENS1_38merge_sort_block_merge_config_selectorIlNS0_10empty_typeEEEZZNS1_27merge_sort_block_merge_implIS3_PlPS5_mZN2at6native12_GLOBAL__N_124unique_dim_cuda_templateIdEESt5tupleIJNSA_6TensorESF_SF_EERKSF_lbbbEUlllE_EE10hipError_tT0_T1_T2_jT3_P12ihipStream_tbPNSt15iterator_traitsISL_E10value_typeEPNSR_ISM_E10value_typeEPSN_NS1_7vsmem_tEENKUlT_SL_SM_SN_E_clIS8_S8_S9_S9_EESK_S10_SL_SM_SN_EUlS10_E0_NS1_11comp_targetILNS1_3genE5ELNS1_11target_archE942ELNS1_3gpuE9ELNS1_3repE0EEENS1_38merge_mergepath_config_static_selectorELNS0_4arch9wavefront6targetE0EEEvSM_,comdat
.Lfunc_end768:
	.size	_ZN7rocprim17ROCPRIM_400000_NS6detail17trampoline_kernelINS0_14default_configENS1_38merge_sort_block_merge_config_selectorIlNS0_10empty_typeEEEZZNS1_27merge_sort_block_merge_implIS3_PlPS5_mZN2at6native12_GLOBAL__N_124unique_dim_cuda_templateIdEESt5tupleIJNSA_6TensorESF_SF_EERKSF_lbbbEUlllE_EE10hipError_tT0_T1_T2_jT3_P12ihipStream_tbPNSt15iterator_traitsISL_E10value_typeEPNSR_ISM_E10value_typeEPSN_NS1_7vsmem_tEENKUlT_SL_SM_SN_E_clIS8_S8_S9_S9_EESK_S10_SL_SM_SN_EUlS10_E0_NS1_11comp_targetILNS1_3genE5ELNS1_11target_archE942ELNS1_3gpuE9ELNS1_3repE0EEENS1_38merge_mergepath_config_static_selectorELNS0_4arch9wavefront6targetE0EEEvSM_, .Lfunc_end768-_ZN7rocprim17ROCPRIM_400000_NS6detail17trampoline_kernelINS0_14default_configENS1_38merge_sort_block_merge_config_selectorIlNS0_10empty_typeEEEZZNS1_27merge_sort_block_merge_implIS3_PlPS5_mZN2at6native12_GLOBAL__N_124unique_dim_cuda_templateIdEESt5tupleIJNSA_6TensorESF_SF_EERKSF_lbbbEUlllE_EE10hipError_tT0_T1_T2_jT3_P12ihipStream_tbPNSt15iterator_traitsISL_E10value_typeEPNSR_ISM_E10value_typeEPSN_NS1_7vsmem_tEENKUlT_SL_SM_SN_E_clIS8_S8_S9_S9_EESK_S10_SL_SM_SN_EUlS10_E0_NS1_11comp_targetILNS1_3genE5ELNS1_11target_archE942ELNS1_3gpuE9ELNS1_3repE0EEENS1_38merge_mergepath_config_static_selectorELNS0_4arch9wavefront6targetE0EEEvSM_
                                        ; -- End function
	.set _ZN7rocprim17ROCPRIM_400000_NS6detail17trampoline_kernelINS0_14default_configENS1_38merge_sort_block_merge_config_selectorIlNS0_10empty_typeEEEZZNS1_27merge_sort_block_merge_implIS3_PlPS5_mZN2at6native12_GLOBAL__N_124unique_dim_cuda_templateIdEESt5tupleIJNSA_6TensorESF_SF_EERKSF_lbbbEUlllE_EE10hipError_tT0_T1_T2_jT3_P12ihipStream_tbPNSt15iterator_traitsISL_E10value_typeEPNSR_ISM_E10value_typeEPSN_NS1_7vsmem_tEENKUlT_SL_SM_SN_E_clIS8_S8_S9_S9_EESK_S10_SL_SM_SN_EUlS10_E0_NS1_11comp_targetILNS1_3genE5ELNS1_11target_archE942ELNS1_3gpuE9ELNS1_3repE0EEENS1_38merge_mergepath_config_static_selectorELNS0_4arch9wavefront6targetE0EEEvSM_.num_vgpr, 0
	.set _ZN7rocprim17ROCPRIM_400000_NS6detail17trampoline_kernelINS0_14default_configENS1_38merge_sort_block_merge_config_selectorIlNS0_10empty_typeEEEZZNS1_27merge_sort_block_merge_implIS3_PlPS5_mZN2at6native12_GLOBAL__N_124unique_dim_cuda_templateIdEESt5tupleIJNSA_6TensorESF_SF_EERKSF_lbbbEUlllE_EE10hipError_tT0_T1_T2_jT3_P12ihipStream_tbPNSt15iterator_traitsISL_E10value_typeEPNSR_ISM_E10value_typeEPSN_NS1_7vsmem_tEENKUlT_SL_SM_SN_E_clIS8_S8_S9_S9_EESK_S10_SL_SM_SN_EUlS10_E0_NS1_11comp_targetILNS1_3genE5ELNS1_11target_archE942ELNS1_3gpuE9ELNS1_3repE0EEENS1_38merge_mergepath_config_static_selectorELNS0_4arch9wavefront6targetE0EEEvSM_.num_agpr, 0
	.set _ZN7rocprim17ROCPRIM_400000_NS6detail17trampoline_kernelINS0_14default_configENS1_38merge_sort_block_merge_config_selectorIlNS0_10empty_typeEEEZZNS1_27merge_sort_block_merge_implIS3_PlPS5_mZN2at6native12_GLOBAL__N_124unique_dim_cuda_templateIdEESt5tupleIJNSA_6TensorESF_SF_EERKSF_lbbbEUlllE_EE10hipError_tT0_T1_T2_jT3_P12ihipStream_tbPNSt15iterator_traitsISL_E10value_typeEPNSR_ISM_E10value_typeEPSN_NS1_7vsmem_tEENKUlT_SL_SM_SN_E_clIS8_S8_S9_S9_EESK_S10_SL_SM_SN_EUlS10_E0_NS1_11comp_targetILNS1_3genE5ELNS1_11target_archE942ELNS1_3gpuE9ELNS1_3repE0EEENS1_38merge_mergepath_config_static_selectorELNS0_4arch9wavefront6targetE0EEEvSM_.numbered_sgpr, 0
	.set _ZN7rocprim17ROCPRIM_400000_NS6detail17trampoline_kernelINS0_14default_configENS1_38merge_sort_block_merge_config_selectorIlNS0_10empty_typeEEEZZNS1_27merge_sort_block_merge_implIS3_PlPS5_mZN2at6native12_GLOBAL__N_124unique_dim_cuda_templateIdEESt5tupleIJNSA_6TensorESF_SF_EERKSF_lbbbEUlllE_EE10hipError_tT0_T1_T2_jT3_P12ihipStream_tbPNSt15iterator_traitsISL_E10value_typeEPNSR_ISM_E10value_typeEPSN_NS1_7vsmem_tEENKUlT_SL_SM_SN_E_clIS8_S8_S9_S9_EESK_S10_SL_SM_SN_EUlS10_E0_NS1_11comp_targetILNS1_3genE5ELNS1_11target_archE942ELNS1_3gpuE9ELNS1_3repE0EEENS1_38merge_mergepath_config_static_selectorELNS0_4arch9wavefront6targetE0EEEvSM_.num_named_barrier, 0
	.set _ZN7rocprim17ROCPRIM_400000_NS6detail17trampoline_kernelINS0_14default_configENS1_38merge_sort_block_merge_config_selectorIlNS0_10empty_typeEEEZZNS1_27merge_sort_block_merge_implIS3_PlPS5_mZN2at6native12_GLOBAL__N_124unique_dim_cuda_templateIdEESt5tupleIJNSA_6TensorESF_SF_EERKSF_lbbbEUlllE_EE10hipError_tT0_T1_T2_jT3_P12ihipStream_tbPNSt15iterator_traitsISL_E10value_typeEPNSR_ISM_E10value_typeEPSN_NS1_7vsmem_tEENKUlT_SL_SM_SN_E_clIS8_S8_S9_S9_EESK_S10_SL_SM_SN_EUlS10_E0_NS1_11comp_targetILNS1_3genE5ELNS1_11target_archE942ELNS1_3gpuE9ELNS1_3repE0EEENS1_38merge_mergepath_config_static_selectorELNS0_4arch9wavefront6targetE0EEEvSM_.private_seg_size, 0
	.set _ZN7rocprim17ROCPRIM_400000_NS6detail17trampoline_kernelINS0_14default_configENS1_38merge_sort_block_merge_config_selectorIlNS0_10empty_typeEEEZZNS1_27merge_sort_block_merge_implIS3_PlPS5_mZN2at6native12_GLOBAL__N_124unique_dim_cuda_templateIdEESt5tupleIJNSA_6TensorESF_SF_EERKSF_lbbbEUlllE_EE10hipError_tT0_T1_T2_jT3_P12ihipStream_tbPNSt15iterator_traitsISL_E10value_typeEPNSR_ISM_E10value_typeEPSN_NS1_7vsmem_tEENKUlT_SL_SM_SN_E_clIS8_S8_S9_S9_EESK_S10_SL_SM_SN_EUlS10_E0_NS1_11comp_targetILNS1_3genE5ELNS1_11target_archE942ELNS1_3gpuE9ELNS1_3repE0EEENS1_38merge_mergepath_config_static_selectorELNS0_4arch9wavefront6targetE0EEEvSM_.uses_vcc, 0
	.set _ZN7rocprim17ROCPRIM_400000_NS6detail17trampoline_kernelINS0_14default_configENS1_38merge_sort_block_merge_config_selectorIlNS0_10empty_typeEEEZZNS1_27merge_sort_block_merge_implIS3_PlPS5_mZN2at6native12_GLOBAL__N_124unique_dim_cuda_templateIdEESt5tupleIJNSA_6TensorESF_SF_EERKSF_lbbbEUlllE_EE10hipError_tT0_T1_T2_jT3_P12ihipStream_tbPNSt15iterator_traitsISL_E10value_typeEPNSR_ISM_E10value_typeEPSN_NS1_7vsmem_tEENKUlT_SL_SM_SN_E_clIS8_S8_S9_S9_EESK_S10_SL_SM_SN_EUlS10_E0_NS1_11comp_targetILNS1_3genE5ELNS1_11target_archE942ELNS1_3gpuE9ELNS1_3repE0EEENS1_38merge_mergepath_config_static_selectorELNS0_4arch9wavefront6targetE0EEEvSM_.uses_flat_scratch, 0
	.set _ZN7rocprim17ROCPRIM_400000_NS6detail17trampoline_kernelINS0_14default_configENS1_38merge_sort_block_merge_config_selectorIlNS0_10empty_typeEEEZZNS1_27merge_sort_block_merge_implIS3_PlPS5_mZN2at6native12_GLOBAL__N_124unique_dim_cuda_templateIdEESt5tupleIJNSA_6TensorESF_SF_EERKSF_lbbbEUlllE_EE10hipError_tT0_T1_T2_jT3_P12ihipStream_tbPNSt15iterator_traitsISL_E10value_typeEPNSR_ISM_E10value_typeEPSN_NS1_7vsmem_tEENKUlT_SL_SM_SN_E_clIS8_S8_S9_S9_EESK_S10_SL_SM_SN_EUlS10_E0_NS1_11comp_targetILNS1_3genE5ELNS1_11target_archE942ELNS1_3gpuE9ELNS1_3repE0EEENS1_38merge_mergepath_config_static_selectorELNS0_4arch9wavefront6targetE0EEEvSM_.has_dyn_sized_stack, 0
	.set _ZN7rocprim17ROCPRIM_400000_NS6detail17trampoline_kernelINS0_14default_configENS1_38merge_sort_block_merge_config_selectorIlNS0_10empty_typeEEEZZNS1_27merge_sort_block_merge_implIS3_PlPS5_mZN2at6native12_GLOBAL__N_124unique_dim_cuda_templateIdEESt5tupleIJNSA_6TensorESF_SF_EERKSF_lbbbEUlllE_EE10hipError_tT0_T1_T2_jT3_P12ihipStream_tbPNSt15iterator_traitsISL_E10value_typeEPNSR_ISM_E10value_typeEPSN_NS1_7vsmem_tEENKUlT_SL_SM_SN_E_clIS8_S8_S9_S9_EESK_S10_SL_SM_SN_EUlS10_E0_NS1_11comp_targetILNS1_3genE5ELNS1_11target_archE942ELNS1_3gpuE9ELNS1_3repE0EEENS1_38merge_mergepath_config_static_selectorELNS0_4arch9wavefront6targetE0EEEvSM_.has_recursion, 0
	.set _ZN7rocprim17ROCPRIM_400000_NS6detail17trampoline_kernelINS0_14default_configENS1_38merge_sort_block_merge_config_selectorIlNS0_10empty_typeEEEZZNS1_27merge_sort_block_merge_implIS3_PlPS5_mZN2at6native12_GLOBAL__N_124unique_dim_cuda_templateIdEESt5tupleIJNSA_6TensorESF_SF_EERKSF_lbbbEUlllE_EE10hipError_tT0_T1_T2_jT3_P12ihipStream_tbPNSt15iterator_traitsISL_E10value_typeEPNSR_ISM_E10value_typeEPSN_NS1_7vsmem_tEENKUlT_SL_SM_SN_E_clIS8_S8_S9_S9_EESK_S10_SL_SM_SN_EUlS10_E0_NS1_11comp_targetILNS1_3genE5ELNS1_11target_archE942ELNS1_3gpuE9ELNS1_3repE0EEENS1_38merge_mergepath_config_static_selectorELNS0_4arch9wavefront6targetE0EEEvSM_.has_indirect_call, 0
	.section	.AMDGPU.csdata,"",@progbits
; Kernel info:
; codeLenInByte = 0
; TotalNumSgprs: 0
; NumVgprs: 0
; ScratchSize: 0
; MemoryBound: 0
; FloatMode: 240
; IeeeMode: 1
; LDSByteSize: 0 bytes/workgroup (compile time only)
; SGPRBlocks: 0
; VGPRBlocks: 0
; NumSGPRsForWavesPerEU: 1
; NumVGPRsForWavesPerEU: 1
; NamedBarCnt: 0
; Occupancy: 16
; WaveLimiterHint : 0
; COMPUTE_PGM_RSRC2:SCRATCH_EN: 0
; COMPUTE_PGM_RSRC2:USER_SGPR: 2
; COMPUTE_PGM_RSRC2:TRAP_HANDLER: 0
; COMPUTE_PGM_RSRC2:TGID_X_EN: 1
; COMPUTE_PGM_RSRC2:TGID_Y_EN: 0
; COMPUTE_PGM_RSRC2:TGID_Z_EN: 0
; COMPUTE_PGM_RSRC2:TIDIG_COMP_CNT: 0
	.section	.text._ZN7rocprim17ROCPRIM_400000_NS6detail17trampoline_kernelINS0_14default_configENS1_38merge_sort_block_merge_config_selectorIlNS0_10empty_typeEEEZZNS1_27merge_sort_block_merge_implIS3_PlPS5_mZN2at6native12_GLOBAL__N_124unique_dim_cuda_templateIdEESt5tupleIJNSA_6TensorESF_SF_EERKSF_lbbbEUlllE_EE10hipError_tT0_T1_T2_jT3_P12ihipStream_tbPNSt15iterator_traitsISL_E10value_typeEPNSR_ISM_E10value_typeEPSN_NS1_7vsmem_tEENKUlT_SL_SM_SN_E_clIS8_S8_S9_S9_EESK_S10_SL_SM_SN_EUlS10_E0_NS1_11comp_targetILNS1_3genE4ELNS1_11target_archE910ELNS1_3gpuE8ELNS1_3repE0EEENS1_38merge_mergepath_config_static_selectorELNS0_4arch9wavefront6targetE0EEEvSM_,"axG",@progbits,_ZN7rocprim17ROCPRIM_400000_NS6detail17trampoline_kernelINS0_14default_configENS1_38merge_sort_block_merge_config_selectorIlNS0_10empty_typeEEEZZNS1_27merge_sort_block_merge_implIS3_PlPS5_mZN2at6native12_GLOBAL__N_124unique_dim_cuda_templateIdEESt5tupleIJNSA_6TensorESF_SF_EERKSF_lbbbEUlllE_EE10hipError_tT0_T1_T2_jT3_P12ihipStream_tbPNSt15iterator_traitsISL_E10value_typeEPNSR_ISM_E10value_typeEPSN_NS1_7vsmem_tEENKUlT_SL_SM_SN_E_clIS8_S8_S9_S9_EESK_S10_SL_SM_SN_EUlS10_E0_NS1_11comp_targetILNS1_3genE4ELNS1_11target_archE910ELNS1_3gpuE8ELNS1_3repE0EEENS1_38merge_mergepath_config_static_selectorELNS0_4arch9wavefront6targetE0EEEvSM_,comdat
	.globl	_ZN7rocprim17ROCPRIM_400000_NS6detail17trampoline_kernelINS0_14default_configENS1_38merge_sort_block_merge_config_selectorIlNS0_10empty_typeEEEZZNS1_27merge_sort_block_merge_implIS3_PlPS5_mZN2at6native12_GLOBAL__N_124unique_dim_cuda_templateIdEESt5tupleIJNSA_6TensorESF_SF_EERKSF_lbbbEUlllE_EE10hipError_tT0_T1_T2_jT3_P12ihipStream_tbPNSt15iterator_traitsISL_E10value_typeEPNSR_ISM_E10value_typeEPSN_NS1_7vsmem_tEENKUlT_SL_SM_SN_E_clIS8_S8_S9_S9_EESK_S10_SL_SM_SN_EUlS10_E0_NS1_11comp_targetILNS1_3genE4ELNS1_11target_archE910ELNS1_3gpuE8ELNS1_3repE0EEENS1_38merge_mergepath_config_static_selectorELNS0_4arch9wavefront6targetE0EEEvSM_ ; -- Begin function _ZN7rocprim17ROCPRIM_400000_NS6detail17trampoline_kernelINS0_14default_configENS1_38merge_sort_block_merge_config_selectorIlNS0_10empty_typeEEEZZNS1_27merge_sort_block_merge_implIS3_PlPS5_mZN2at6native12_GLOBAL__N_124unique_dim_cuda_templateIdEESt5tupleIJNSA_6TensorESF_SF_EERKSF_lbbbEUlllE_EE10hipError_tT0_T1_T2_jT3_P12ihipStream_tbPNSt15iterator_traitsISL_E10value_typeEPNSR_ISM_E10value_typeEPSN_NS1_7vsmem_tEENKUlT_SL_SM_SN_E_clIS8_S8_S9_S9_EESK_S10_SL_SM_SN_EUlS10_E0_NS1_11comp_targetILNS1_3genE4ELNS1_11target_archE910ELNS1_3gpuE8ELNS1_3repE0EEENS1_38merge_mergepath_config_static_selectorELNS0_4arch9wavefront6targetE0EEEvSM_
	.p2align	8
	.type	_ZN7rocprim17ROCPRIM_400000_NS6detail17trampoline_kernelINS0_14default_configENS1_38merge_sort_block_merge_config_selectorIlNS0_10empty_typeEEEZZNS1_27merge_sort_block_merge_implIS3_PlPS5_mZN2at6native12_GLOBAL__N_124unique_dim_cuda_templateIdEESt5tupleIJNSA_6TensorESF_SF_EERKSF_lbbbEUlllE_EE10hipError_tT0_T1_T2_jT3_P12ihipStream_tbPNSt15iterator_traitsISL_E10value_typeEPNSR_ISM_E10value_typeEPSN_NS1_7vsmem_tEENKUlT_SL_SM_SN_E_clIS8_S8_S9_S9_EESK_S10_SL_SM_SN_EUlS10_E0_NS1_11comp_targetILNS1_3genE4ELNS1_11target_archE910ELNS1_3gpuE8ELNS1_3repE0EEENS1_38merge_mergepath_config_static_selectorELNS0_4arch9wavefront6targetE0EEEvSM_,@function
_ZN7rocprim17ROCPRIM_400000_NS6detail17trampoline_kernelINS0_14default_configENS1_38merge_sort_block_merge_config_selectorIlNS0_10empty_typeEEEZZNS1_27merge_sort_block_merge_implIS3_PlPS5_mZN2at6native12_GLOBAL__N_124unique_dim_cuda_templateIdEESt5tupleIJNSA_6TensorESF_SF_EERKSF_lbbbEUlllE_EE10hipError_tT0_T1_T2_jT3_P12ihipStream_tbPNSt15iterator_traitsISL_E10value_typeEPNSR_ISM_E10value_typeEPSN_NS1_7vsmem_tEENKUlT_SL_SM_SN_E_clIS8_S8_S9_S9_EESK_S10_SL_SM_SN_EUlS10_E0_NS1_11comp_targetILNS1_3genE4ELNS1_11target_archE910ELNS1_3gpuE8ELNS1_3repE0EEENS1_38merge_mergepath_config_static_selectorELNS0_4arch9wavefront6targetE0EEEvSM_: ; @_ZN7rocprim17ROCPRIM_400000_NS6detail17trampoline_kernelINS0_14default_configENS1_38merge_sort_block_merge_config_selectorIlNS0_10empty_typeEEEZZNS1_27merge_sort_block_merge_implIS3_PlPS5_mZN2at6native12_GLOBAL__N_124unique_dim_cuda_templateIdEESt5tupleIJNSA_6TensorESF_SF_EERKSF_lbbbEUlllE_EE10hipError_tT0_T1_T2_jT3_P12ihipStream_tbPNSt15iterator_traitsISL_E10value_typeEPNSR_ISM_E10value_typeEPSN_NS1_7vsmem_tEENKUlT_SL_SM_SN_E_clIS8_S8_S9_S9_EESK_S10_SL_SM_SN_EUlS10_E0_NS1_11comp_targetILNS1_3genE4ELNS1_11target_archE910ELNS1_3gpuE8ELNS1_3repE0EEENS1_38merge_mergepath_config_static_selectorELNS0_4arch9wavefront6targetE0EEEvSM_
; %bb.0:
	.section	.rodata,"a",@progbits
	.p2align	6, 0x0
	.amdhsa_kernel _ZN7rocprim17ROCPRIM_400000_NS6detail17trampoline_kernelINS0_14default_configENS1_38merge_sort_block_merge_config_selectorIlNS0_10empty_typeEEEZZNS1_27merge_sort_block_merge_implIS3_PlPS5_mZN2at6native12_GLOBAL__N_124unique_dim_cuda_templateIdEESt5tupleIJNSA_6TensorESF_SF_EERKSF_lbbbEUlllE_EE10hipError_tT0_T1_T2_jT3_P12ihipStream_tbPNSt15iterator_traitsISL_E10value_typeEPNSR_ISM_E10value_typeEPSN_NS1_7vsmem_tEENKUlT_SL_SM_SN_E_clIS8_S8_S9_S9_EESK_S10_SL_SM_SN_EUlS10_E0_NS1_11comp_targetILNS1_3genE4ELNS1_11target_archE910ELNS1_3gpuE8ELNS1_3repE0EEENS1_38merge_mergepath_config_static_selectorELNS0_4arch9wavefront6targetE0EEEvSM_
		.amdhsa_group_segment_fixed_size 0
		.amdhsa_private_segment_fixed_size 0
		.amdhsa_kernarg_size 88
		.amdhsa_user_sgpr_count 2
		.amdhsa_user_sgpr_dispatch_ptr 0
		.amdhsa_user_sgpr_queue_ptr 0
		.amdhsa_user_sgpr_kernarg_segment_ptr 1
		.amdhsa_user_sgpr_dispatch_id 0
		.amdhsa_user_sgpr_kernarg_preload_length 0
		.amdhsa_user_sgpr_kernarg_preload_offset 0
		.amdhsa_user_sgpr_private_segment_size 0
		.amdhsa_wavefront_size32 1
		.amdhsa_uses_dynamic_stack 0
		.amdhsa_enable_private_segment 0
		.amdhsa_system_sgpr_workgroup_id_x 1
		.amdhsa_system_sgpr_workgroup_id_y 0
		.amdhsa_system_sgpr_workgroup_id_z 0
		.amdhsa_system_sgpr_workgroup_info 0
		.amdhsa_system_vgpr_workitem_id 0
		.amdhsa_next_free_vgpr 1
		.amdhsa_next_free_sgpr 1
		.amdhsa_named_barrier_count 0
		.amdhsa_reserve_vcc 0
		.amdhsa_float_round_mode_32 0
		.amdhsa_float_round_mode_16_64 0
		.amdhsa_float_denorm_mode_32 3
		.amdhsa_float_denorm_mode_16_64 3
		.amdhsa_fp16_overflow 0
		.amdhsa_memory_ordered 1
		.amdhsa_forward_progress 1
		.amdhsa_inst_pref_size 0
		.amdhsa_round_robin_scheduling 0
		.amdhsa_exception_fp_ieee_invalid_op 0
		.amdhsa_exception_fp_denorm_src 0
		.amdhsa_exception_fp_ieee_div_zero 0
		.amdhsa_exception_fp_ieee_overflow 0
		.amdhsa_exception_fp_ieee_underflow 0
		.amdhsa_exception_fp_ieee_inexact 0
		.amdhsa_exception_int_div_zero 0
	.end_amdhsa_kernel
	.section	.text._ZN7rocprim17ROCPRIM_400000_NS6detail17trampoline_kernelINS0_14default_configENS1_38merge_sort_block_merge_config_selectorIlNS0_10empty_typeEEEZZNS1_27merge_sort_block_merge_implIS3_PlPS5_mZN2at6native12_GLOBAL__N_124unique_dim_cuda_templateIdEESt5tupleIJNSA_6TensorESF_SF_EERKSF_lbbbEUlllE_EE10hipError_tT0_T1_T2_jT3_P12ihipStream_tbPNSt15iterator_traitsISL_E10value_typeEPNSR_ISM_E10value_typeEPSN_NS1_7vsmem_tEENKUlT_SL_SM_SN_E_clIS8_S8_S9_S9_EESK_S10_SL_SM_SN_EUlS10_E0_NS1_11comp_targetILNS1_3genE4ELNS1_11target_archE910ELNS1_3gpuE8ELNS1_3repE0EEENS1_38merge_mergepath_config_static_selectorELNS0_4arch9wavefront6targetE0EEEvSM_,"axG",@progbits,_ZN7rocprim17ROCPRIM_400000_NS6detail17trampoline_kernelINS0_14default_configENS1_38merge_sort_block_merge_config_selectorIlNS0_10empty_typeEEEZZNS1_27merge_sort_block_merge_implIS3_PlPS5_mZN2at6native12_GLOBAL__N_124unique_dim_cuda_templateIdEESt5tupleIJNSA_6TensorESF_SF_EERKSF_lbbbEUlllE_EE10hipError_tT0_T1_T2_jT3_P12ihipStream_tbPNSt15iterator_traitsISL_E10value_typeEPNSR_ISM_E10value_typeEPSN_NS1_7vsmem_tEENKUlT_SL_SM_SN_E_clIS8_S8_S9_S9_EESK_S10_SL_SM_SN_EUlS10_E0_NS1_11comp_targetILNS1_3genE4ELNS1_11target_archE910ELNS1_3gpuE8ELNS1_3repE0EEENS1_38merge_mergepath_config_static_selectorELNS0_4arch9wavefront6targetE0EEEvSM_,comdat
.Lfunc_end769:
	.size	_ZN7rocprim17ROCPRIM_400000_NS6detail17trampoline_kernelINS0_14default_configENS1_38merge_sort_block_merge_config_selectorIlNS0_10empty_typeEEEZZNS1_27merge_sort_block_merge_implIS3_PlPS5_mZN2at6native12_GLOBAL__N_124unique_dim_cuda_templateIdEESt5tupleIJNSA_6TensorESF_SF_EERKSF_lbbbEUlllE_EE10hipError_tT0_T1_T2_jT3_P12ihipStream_tbPNSt15iterator_traitsISL_E10value_typeEPNSR_ISM_E10value_typeEPSN_NS1_7vsmem_tEENKUlT_SL_SM_SN_E_clIS8_S8_S9_S9_EESK_S10_SL_SM_SN_EUlS10_E0_NS1_11comp_targetILNS1_3genE4ELNS1_11target_archE910ELNS1_3gpuE8ELNS1_3repE0EEENS1_38merge_mergepath_config_static_selectorELNS0_4arch9wavefront6targetE0EEEvSM_, .Lfunc_end769-_ZN7rocprim17ROCPRIM_400000_NS6detail17trampoline_kernelINS0_14default_configENS1_38merge_sort_block_merge_config_selectorIlNS0_10empty_typeEEEZZNS1_27merge_sort_block_merge_implIS3_PlPS5_mZN2at6native12_GLOBAL__N_124unique_dim_cuda_templateIdEESt5tupleIJNSA_6TensorESF_SF_EERKSF_lbbbEUlllE_EE10hipError_tT0_T1_T2_jT3_P12ihipStream_tbPNSt15iterator_traitsISL_E10value_typeEPNSR_ISM_E10value_typeEPSN_NS1_7vsmem_tEENKUlT_SL_SM_SN_E_clIS8_S8_S9_S9_EESK_S10_SL_SM_SN_EUlS10_E0_NS1_11comp_targetILNS1_3genE4ELNS1_11target_archE910ELNS1_3gpuE8ELNS1_3repE0EEENS1_38merge_mergepath_config_static_selectorELNS0_4arch9wavefront6targetE0EEEvSM_
                                        ; -- End function
	.set _ZN7rocprim17ROCPRIM_400000_NS6detail17trampoline_kernelINS0_14default_configENS1_38merge_sort_block_merge_config_selectorIlNS0_10empty_typeEEEZZNS1_27merge_sort_block_merge_implIS3_PlPS5_mZN2at6native12_GLOBAL__N_124unique_dim_cuda_templateIdEESt5tupleIJNSA_6TensorESF_SF_EERKSF_lbbbEUlllE_EE10hipError_tT0_T1_T2_jT3_P12ihipStream_tbPNSt15iterator_traitsISL_E10value_typeEPNSR_ISM_E10value_typeEPSN_NS1_7vsmem_tEENKUlT_SL_SM_SN_E_clIS8_S8_S9_S9_EESK_S10_SL_SM_SN_EUlS10_E0_NS1_11comp_targetILNS1_3genE4ELNS1_11target_archE910ELNS1_3gpuE8ELNS1_3repE0EEENS1_38merge_mergepath_config_static_selectorELNS0_4arch9wavefront6targetE0EEEvSM_.num_vgpr, 0
	.set _ZN7rocprim17ROCPRIM_400000_NS6detail17trampoline_kernelINS0_14default_configENS1_38merge_sort_block_merge_config_selectorIlNS0_10empty_typeEEEZZNS1_27merge_sort_block_merge_implIS3_PlPS5_mZN2at6native12_GLOBAL__N_124unique_dim_cuda_templateIdEESt5tupleIJNSA_6TensorESF_SF_EERKSF_lbbbEUlllE_EE10hipError_tT0_T1_T2_jT3_P12ihipStream_tbPNSt15iterator_traitsISL_E10value_typeEPNSR_ISM_E10value_typeEPSN_NS1_7vsmem_tEENKUlT_SL_SM_SN_E_clIS8_S8_S9_S9_EESK_S10_SL_SM_SN_EUlS10_E0_NS1_11comp_targetILNS1_3genE4ELNS1_11target_archE910ELNS1_3gpuE8ELNS1_3repE0EEENS1_38merge_mergepath_config_static_selectorELNS0_4arch9wavefront6targetE0EEEvSM_.num_agpr, 0
	.set _ZN7rocprim17ROCPRIM_400000_NS6detail17trampoline_kernelINS0_14default_configENS1_38merge_sort_block_merge_config_selectorIlNS0_10empty_typeEEEZZNS1_27merge_sort_block_merge_implIS3_PlPS5_mZN2at6native12_GLOBAL__N_124unique_dim_cuda_templateIdEESt5tupleIJNSA_6TensorESF_SF_EERKSF_lbbbEUlllE_EE10hipError_tT0_T1_T2_jT3_P12ihipStream_tbPNSt15iterator_traitsISL_E10value_typeEPNSR_ISM_E10value_typeEPSN_NS1_7vsmem_tEENKUlT_SL_SM_SN_E_clIS8_S8_S9_S9_EESK_S10_SL_SM_SN_EUlS10_E0_NS1_11comp_targetILNS1_3genE4ELNS1_11target_archE910ELNS1_3gpuE8ELNS1_3repE0EEENS1_38merge_mergepath_config_static_selectorELNS0_4arch9wavefront6targetE0EEEvSM_.numbered_sgpr, 0
	.set _ZN7rocprim17ROCPRIM_400000_NS6detail17trampoline_kernelINS0_14default_configENS1_38merge_sort_block_merge_config_selectorIlNS0_10empty_typeEEEZZNS1_27merge_sort_block_merge_implIS3_PlPS5_mZN2at6native12_GLOBAL__N_124unique_dim_cuda_templateIdEESt5tupleIJNSA_6TensorESF_SF_EERKSF_lbbbEUlllE_EE10hipError_tT0_T1_T2_jT3_P12ihipStream_tbPNSt15iterator_traitsISL_E10value_typeEPNSR_ISM_E10value_typeEPSN_NS1_7vsmem_tEENKUlT_SL_SM_SN_E_clIS8_S8_S9_S9_EESK_S10_SL_SM_SN_EUlS10_E0_NS1_11comp_targetILNS1_3genE4ELNS1_11target_archE910ELNS1_3gpuE8ELNS1_3repE0EEENS1_38merge_mergepath_config_static_selectorELNS0_4arch9wavefront6targetE0EEEvSM_.num_named_barrier, 0
	.set _ZN7rocprim17ROCPRIM_400000_NS6detail17trampoline_kernelINS0_14default_configENS1_38merge_sort_block_merge_config_selectorIlNS0_10empty_typeEEEZZNS1_27merge_sort_block_merge_implIS3_PlPS5_mZN2at6native12_GLOBAL__N_124unique_dim_cuda_templateIdEESt5tupleIJNSA_6TensorESF_SF_EERKSF_lbbbEUlllE_EE10hipError_tT0_T1_T2_jT3_P12ihipStream_tbPNSt15iterator_traitsISL_E10value_typeEPNSR_ISM_E10value_typeEPSN_NS1_7vsmem_tEENKUlT_SL_SM_SN_E_clIS8_S8_S9_S9_EESK_S10_SL_SM_SN_EUlS10_E0_NS1_11comp_targetILNS1_3genE4ELNS1_11target_archE910ELNS1_3gpuE8ELNS1_3repE0EEENS1_38merge_mergepath_config_static_selectorELNS0_4arch9wavefront6targetE0EEEvSM_.private_seg_size, 0
	.set _ZN7rocprim17ROCPRIM_400000_NS6detail17trampoline_kernelINS0_14default_configENS1_38merge_sort_block_merge_config_selectorIlNS0_10empty_typeEEEZZNS1_27merge_sort_block_merge_implIS3_PlPS5_mZN2at6native12_GLOBAL__N_124unique_dim_cuda_templateIdEESt5tupleIJNSA_6TensorESF_SF_EERKSF_lbbbEUlllE_EE10hipError_tT0_T1_T2_jT3_P12ihipStream_tbPNSt15iterator_traitsISL_E10value_typeEPNSR_ISM_E10value_typeEPSN_NS1_7vsmem_tEENKUlT_SL_SM_SN_E_clIS8_S8_S9_S9_EESK_S10_SL_SM_SN_EUlS10_E0_NS1_11comp_targetILNS1_3genE4ELNS1_11target_archE910ELNS1_3gpuE8ELNS1_3repE0EEENS1_38merge_mergepath_config_static_selectorELNS0_4arch9wavefront6targetE0EEEvSM_.uses_vcc, 0
	.set _ZN7rocprim17ROCPRIM_400000_NS6detail17trampoline_kernelINS0_14default_configENS1_38merge_sort_block_merge_config_selectorIlNS0_10empty_typeEEEZZNS1_27merge_sort_block_merge_implIS3_PlPS5_mZN2at6native12_GLOBAL__N_124unique_dim_cuda_templateIdEESt5tupleIJNSA_6TensorESF_SF_EERKSF_lbbbEUlllE_EE10hipError_tT0_T1_T2_jT3_P12ihipStream_tbPNSt15iterator_traitsISL_E10value_typeEPNSR_ISM_E10value_typeEPSN_NS1_7vsmem_tEENKUlT_SL_SM_SN_E_clIS8_S8_S9_S9_EESK_S10_SL_SM_SN_EUlS10_E0_NS1_11comp_targetILNS1_3genE4ELNS1_11target_archE910ELNS1_3gpuE8ELNS1_3repE0EEENS1_38merge_mergepath_config_static_selectorELNS0_4arch9wavefront6targetE0EEEvSM_.uses_flat_scratch, 0
	.set _ZN7rocprim17ROCPRIM_400000_NS6detail17trampoline_kernelINS0_14default_configENS1_38merge_sort_block_merge_config_selectorIlNS0_10empty_typeEEEZZNS1_27merge_sort_block_merge_implIS3_PlPS5_mZN2at6native12_GLOBAL__N_124unique_dim_cuda_templateIdEESt5tupleIJNSA_6TensorESF_SF_EERKSF_lbbbEUlllE_EE10hipError_tT0_T1_T2_jT3_P12ihipStream_tbPNSt15iterator_traitsISL_E10value_typeEPNSR_ISM_E10value_typeEPSN_NS1_7vsmem_tEENKUlT_SL_SM_SN_E_clIS8_S8_S9_S9_EESK_S10_SL_SM_SN_EUlS10_E0_NS1_11comp_targetILNS1_3genE4ELNS1_11target_archE910ELNS1_3gpuE8ELNS1_3repE0EEENS1_38merge_mergepath_config_static_selectorELNS0_4arch9wavefront6targetE0EEEvSM_.has_dyn_sized_stack, 0
	.set _ZN7rocprim17ROCPRIM_400000_NS6detail17trampoline_kernelINS0_14default_configENS1_38merge_sort_block_merge_config_selectorIlNS0_10empty_typeEEEZZNS1_27merge_sort_block_merge_implIS3_PlPS5_mZN2at6native12_GLOBAL__N_124unique_dim_cuda_templateIdEESt5tupleIJNSA_6TensorESF_SF_EERKSF_lbbbEUlllE_EE10hipError_tT0_T1_T2_jT3_P12ihipStream_tbPNSt15iterator_traitsISL_E10value_typeEPNSR_ISM_E10value_typeEPSN_NS1_7vsmem_tEENKUlT_SL_SM_SN_E_clIS8_S8_S9_S9_EESK_S10_SL_SM_SN_EUlS10_E0_NS1_11comp_targetILNS1_3genE4ELNS1_11target_archE910ELNS1_3gpuE8ELNS1_3repE0EEENS1_38merge_mergepath_config_static_selectorELNS0_4arch9wavefront6targetE0EEEvSM_.has_recursion, 0
	.set _ZN7rocprim17ROCPRIM_400000_NS6detail17trampoline_kernelINS0_14default_configENS1_38merge_sort_block_merge_config_selectorIlNS0_10empty_typeEEEZZNS1_27merge_sort_block_merge_implIS3_PlPS5_mZN2at6native12_GLOBAL__N_124unique_dim_cuda_templateIdEESt5tupleIJNSA_6TensorESF_SF_EERKSF_lbbbEUlllE_EE10hipError_tT0_T1_T2_jT3_P12ihipStream_tbPNSt15iterator_traitsISL_E10value_typeEPNSR_ISM_E10value_typeEPSN_NS1_7vsmem_tEENKUlT_SL_SM_SN_E_clIS8_S8_S9_S9_EESK_S10_SL_SM_SN_EUlS10_E0_NS1_11comp_targetILNS1_3genE4ELNS1_11target_archE910ELNS1_3gpuE8ELNS1_3repE0EEENS1_38merge_mergepath_config_static_selectorELNS0_4arch9wavefront6targetE0EEEvSM_.has_indirect_call, 0
	.section	.AMDGPU.csdata,"",@progbits
; Kernel info:
; codeLenInByte = 0
; TotalNumSgprs: 0
; NumVgprs: 0
; ScratchSize: 0
; MemoryBound: 0
; FloatMode: 240
; IeeeMode: 1
; LDSByteSize: 0 bytes/workgroup (compile time only)
; SGPRBlocks: 0
; VGPRBlocks: 0
; NumSGPRsForWavesPerEU: 1
; NumVGPRsForWavesPerEU: 1
; NamedBarCnt: 0
; Occupancy: 16
; WaveLimiterHint : 0
; COMPUTE_PGM_RSRC2:SCRATCH_EN: 0
; COMPUTE_PGM_RSRC2:USER_SGPR: 2
; COMPUTE_PGM_RSRC2:TRAP_HANDLER: 0
; COMPUTE_PGM_RSRC2:TGID_X_EN: 1
; COMPUTE_PGM_RSRC2:TGID_Y_EN: 0
; COMPUTE_PGM_RSRC2:TGID_Z_EN: 0
; COMPUTE_PGM_RSRC2:TIDIG_COMP_CNT: 0
	.section	.text._ZN7rocprim17ROCPRIM_400000_NS6detail17trampoline_kernelINS0_14default_configENS1_38merge_sort_block_merge_config_selectorIlNS0_10empty_typeEEEZZNS1_27merge_sort_block_merge_implIS3_PlPS5_mZN2at6native12_GLOBAL__N_124unique_dim_cuda_templateIdEESt5tupleIJNSA_6TensorESF_SF_EERKSF_lbbbEUlllE_EE10hipError_tT0_T1_T2_jT3_P12ihipStream_tbPNSt15iterator_traitsISL_E10value_typeEPNSR_ISM_E10value_typeEPSN_NS1_7vsmem_tEENKUlT_SL_SM_SN_E_clIS8_S8_S9_S9_EESK_S10_SL_SM_SN_EUlS10_E0_NS1_11comp_targetILNS1_3genE3ELNS1_11target_archE908ELNS1_3gpuE7ELNS1_3repE0EEENS1_38merge_mergepath_config_static_selectorELNS0_4arch9wavefront6targetE0EEEvSM_,"axG",@progbits,_ZN7rocprim17ROCPRIM_400000_NS6detail17trampoline_kernelINS0_14default_configENS1_38merge_sort_block_merge_config_selectorIlNS0_10empty_typeEEEZZNS1_27merge_sort_block_merge_implIS3_PlPS5_mZN2at6native12_GLOBAL__N_124unique_dim_cuda_templateIdEESt5tupleIJNSA_6TensorESF_SF_EERKSF_lbbbEUlllE_EE10hipError_tT0_T1_T2_jT3_P12ihipStream_tbPNSt15iterator_traitsISL_E10value_typeEPNSR_ISM_E10value_typeEPSN_NS1_7vsmem_tEENKUlT_SL_SM_SN_E_clIS8_S8_S9_S9_EESK_S10_SL_SM_SN_EUlS10_E0_NS1_11comp_targetILNS1_3genE3ELNS1_11target_archE908ELNS1_3gpuE7ELNS1_3repE0EEENS1_38merge_mergepath_config_static_selectorELNS0_4arch9wavefront6targetE0EEEvSM_,comdat
	.globl	_ZN7rocprim17ROCPRIM_400000_NS6detail17trampoline_kernelINS0_14default_configENS1_38merge_sort_block_merge_config_selectorIlNS0_10empty_typeEEEZZNS1_27merge_sort_block_merge_implIS3_PlPS5_mZN2at6native12_GLOBAL__N_124unique_dim_cuda_templateIdEESt5tupleIJNSA_6TensorESF_SF_EERKSF_lbbbEUlllE_EE10hipError_tT0_T1_T2_jT3_P12ihipStream_tbPNSt15iterator_traitsISL_E10value_typeEPNSR_ISM_E10value_typeEPSN_NS1_7vsmem_tEENKUlT_SL_SM_SN_E_clIS8_S8_S9_S9_EESK_S10_SL_SM_SN_EUlS10_E0_NS1_11comp_targetILNS1_3genE3ELNS1_11target_archE908ELNS1_3gpuE7ELNS1_3repE0EEENS1_38merge_mergepath_config_static_selectorELNS0_4arch9wavefront6targetE0EEEvSM_ ; -- Begin function _ZN7rocprim17ROCPRIM_400000_NS6detail17trampoline_kernelINS0_14default_configENS1_38merge_sort_block_merge_config_selectorIlNS0_10empty_typeEEEZZNS1_27merge_sort_block_merge_implIS3_PlPS5_mZN2at6native12_GLOBAL__N_124unique_dim_cuda_templateIdEESt5tupleIJNSA_6TensorESF_SF_EERKSF_lbbbEUlllE_EE10hipError_tT0_T1_T2_jT3_P12ihipStream_tbPNSt15iterator_traitsISL_E10value_typeEPNSR_ISM_E10value_typeEPSN_NS1_7vsmem_tEENKUlT_SL_SM_SN_E_clIS8_S8_S9_S9_EESK_S10_SL_SM_SN_EUlS10_E0_NS1_11comp_targetILNS1_3genE3ELNS1_11target_archE908ELNS1_3gpuE7ELNS1_3repE0EEENS1_38merge_mergepath_config_static_selectorELNS0_4arch9wavefront6targetE0EEEvSM_
	.p2align	8
	.type	_ZN7rocprim17ROCPRIM_400000_NS6detail17trampoline_kernelINS0_14default_configENS1_38merge_sort_block_merge_config_selectorIlNS0_10empty_typeEEEZZNS1_27merge_sort_block_merge_implIS3_PlPS5_mZN2at6native12_GLOBAL__N_124unique_dim_cuda_templateIdEESt5tupleIJNSA_6TensorESF_SF_EERKSF_lbbbEUlllE_EE10hipError_tT0_T1_T2_jT3_P12ihipStream_tbPNSt15iterator_traitsISL_E10value_typeEPNSR_ISM_E10value_typeEPSN_NS1_7vsmem_tEENKUlT_SL_SM_SN_E_clIS8_S8_S9_S9_EESK_S10_SL_SM_SN_EUlS10_E0_NS1_11comp_targetILNS1_3genE3ELNS1_11target_archE908ELNS1_3gpuE7ELNS1_3repE0EEENS1_38merge_mergepath_config_static_selectorELNS0_4arch9wavefront6targetE0EEEvSM_,@function
_ZN7rocprim17ROCPRIM_400000_NS6detail17trampoline_kernelINS0_14default_configENS1_38merge_sort_block_merge_config_selectorIlNS0_10empty_typeEEEZZNS1_27merge_sort_block_merge_implIS3_PlPS5_mZN2at6native12_GLOBAL__N_124unique_dim_cuda_templateIdEESt5tupleIJNSA_6TensorESF_SF_EERKSF_lbbbEUlllE_EE10hipError_tT0_T1_T2_jT3_P12ihipStream_tbPNSt15iterator_traitsISL_E10value_typeEPNSR_ISM_E10value_typeEPSN_NS1_7vsmem_tEENKUlT_SL_SM_SN_E_clIS8_S8_S9_S9_EESK_S10_SL_SM_SN_EUlS10_E0_NS1_11comp_targetILNS1_3genE3ELNS1_11target_archE908ELNS1_3gpuE7ELNS1_3repE0EEENS1_38merge_mergepath_config_static_selectorELNS0_4arch9wavefront6targetE0EEEvSM_: ; @_ZN7rocprim17ROCPRIM_400000_NS6detail17trampoline_kernelINS0_14default_configENS1_38merge_sort_block_merge_config_selectorIlNS0_10empty_typeEEEZZNS1_27merge_sort_block_merge_implIS3_PlPS5_mZN2at6native12_GLOBAL__N_124unique_dim_cuda_templateIdEESt5tupleIJNSA_6TensorESF_SF_EERKSF_lbbbEUlllE_EE10hipError_tT0_T1_T2_jT3_P12ihipStream_tbPNSt15iterator_traitsISL_E10value_typeEPNSR_ISM_E10value_typeEPSN_NS1_7vsmem_tEENKUlT_SL_SM_SN_E_clIS8_S8_S9_S9_EESK_S10_SL_SM_SN_EUlS10_E0_NS1_11comp_targetILNS1_3genE3ELNS1_11target_archE908ELNS1_3gpuE7ELNS1_3repE0EEENS1_38merge_mergepath_config_static_selectorELNS0_4arch9wavefront6targetE0EEEvSM_
; %bb.0:
	.section	.rodata,"a",@progbits
	.p2align	6, 0x0
	.amdhsa_kernel _ZN7rocprim17ROCPRIM_400000_NS6detail17trampoline_kernelINS0_14default_configENS1_38merge_sort_block_merge_config_selectorIlNS0_10empty_typeEEEZZNS1_27merge_sort_block_merge_implIS3_PlPS5_mZN2at6native12_GLOBAL__N_124unique_dim_cuda_templateIdEESt5tupleIJNSA_6TensorESF_SF_EERKSF_lbbbEUlllE_EE10hipError_tT0_T1_T2_jT3_P12ihipStream_tbPNSt15iterator_traitsISL_E10value_typeEPNSR_ISM_E10value_typeEPSN_NS1_7vsmem_tEENKUlT_SL_SM_SN_E_clIS8_S8_S9_S9_EESK_S10_SL_SM_SN_EUlS10_E0_NS1_11comp_targetILNS1_3genE3ELNS1_11target_archE908ELNS1_3gpuE7ELNS1_3repE0EEENS1_38merge_mergepath_config_static_selectorELNS0_4arch9wavefront6targetE0EEEvSM_
		.amdhsa_group_segment_fixed_size 0
		.amdhsa_private_segment_fixed_size 0
		.amdhsa_kernarg_size 88
		.amdhsa_user_sgpr_count 2
		.amdhsa_user_sgpr_dispatch_ptr 0
		.amdhsa_user_sgpr_queue_ptr 0
		.amdhsa_user_sgpr_kernarg_segment_ptr 1
		.amdhsa_user_sgpr_dispatch_id 0
		.amdhsa_user_sgpr_kernarg_preload_length 0
		.amdhsa_user_sgpr_kernarg_preload_offset 0
		.amdhsa_user_sgpr_private_segment_size 0
		.amdhsa_wavefront_size32 1
		.amdhsa_uses_dynamic_stack 0
		.amdhsa_enable_private_segment 0
		.amdhsa_system_sgpr_workgroup_id_x 1
		.amdhsa_system_sgpr_workgroup_id_y 0
		.amdhsa_system_sgpr_workgroup_id_z 0
		.amdhsa_system_sgpr_workgroup_info 0
		.amdhsa_system_vgpr_workitem_id 0
		.amdhsa_next_free_vgpr 1
		.amdhsa_next_free_sgpr 1
		.amdhsa_named_barrier_count 0
		.amdhsa_reserve_vcc 0
		.amdhsa_float_round_mode_32 0
		.amdhsa_float_round_mode_16_64 0
		.amdhsa_float_denorm_mode_32 3
		.amdhsa_float_denorm_mode_16_64 3
		.amdhsa_fp16_overflow 0
		.amdhsa_memory_ordered 1
		.amdhsa_forward_progress 1
		.amdhsa_inst_pref_size 0
		.amdhsa_round_robin_scheduling 0
		.amdhsa_exception_fp_ieee_invalid_op 0
		.amdhsa_exception_fp_denorm_src 0
		.amdhsa_exception_fp_ieee_div_zero 0
		.amdhsa_exception_fp_ieee_overflow 0
		.amdhsa_exception_fp_ieee_underflow 0
		.amdhsa_exception_fp_ieee_inexact 0
		.amdhsa_exception_int_div_zero 0
	.end_amdhsa_kernel
	.section	.text._ZN7rocprim17ROCPRIM_400000_NS6detail17trampoline_kernelINS0_14default_configENS1_38merge_sort_block_merge_config_selectorIlNS0_10empty_typeEEEZZNS1_27merge_sort_block_merge_implIS3_PlPS5_mZN2at6native12_GLOBAL__N_124unique_dim_cuda_templateIdEESt5tupleIJNSA_6TensorESF_SF_EERKSF_lbbbEUlllE_EE10hipError_tT0_T1_T2_jT3_P12ihipStream_tbPNSt15iterator_traitsISL_E10value_typeEPNSR_ISM_E10value_typeEPSN_NS1_7vsmem_tEENKUlT_SL_SM_SN_E_clIS8_S8_S9_S9_EESK_S10_SL_SM_SN_EUlS10_E0_NS1_11comp_targetILNS1_3genE3ELNS1_11target_archE908ELNS1_3gpuE7ELNS1_3repE0EEENS1_38merge_mergepath_config_static_selectorELNS0_4arch9wavefront6targetE0EEEvSM_,"axG",@progbits,_ZN7rocprim17ROCPRIM_400000_NS6detail17trampoline_kernelINS0_14default_configENS1_38merge_sort_block_merge_config_selectorIlNS0_10empty_typeEEEZZNS1_27merge_sort_block_merge_implIS3_PlPS5_mZN2at6native12_GLOBAL__N_124unique_dim_cuda_templateIdEESt5tupleIJNSA_6TensorESF_SF_EERKSF_lbbbEUlllE_EE10hipError_tT0_T1_T2_jT3_P12ihipStream_tbPNSt15iterator_traitsISL_E10value_typeEPNSR_ISM_E10value_typeEPSN_NS1_7vsmem_tEENKUlT_SL_SM_SN_E_clIS8_S8_S9_S9_EESK_S10_SL_SM_SN_EUlS10_E0_NS1_11comp_targetILNS1_3genE3ELNS1_11target_archE908ELNS1_3gpuE7ELNS1_3repE0EEENS1_38merge_mergepath_config_static_selectorELNS0_4arch9wavefront6targetE0EEEvSM_,comdat
.Lfunc_end770:
	.size	_ZN7rocprim17ROCPRIM_400000_NS6detail17trampoline_kernelINS0_14default_configENS1_38merge_sort_block_merge_config_selectorIlNS0_10empty_typeEEEZZNS1_27merge_sort_block_merge_implIS3_PlPS5_mZN2at6native12_GLOBAL__N_124unique_dim_cuda_templateIdEESt5tupleIJNSA_6TensorESF_SF_EERKSF_lbbbEUlllE_EE10hipError_tT0_T1_T2_jT3_P12ihipStream_tbPNSt15iterator_traitsISL_E10value_typeEPNSR_ISM_E10value_typeEPSN_NS1_7vsmem_tEENKUlT_SL_SM_SN_E_clIS8_S8_S9_S9_EESK_S10_SL_SM_SN_EUlS10_E0_NS1_11comp_targetILNS1_3genE3ELNS1_11target_archE908ELNS1_3gpuE7ELNS1_3repE0EEENS1_38merge_mergepath_config_static_selectorELNS0_4arch9wavefront6targetE0EEEvSM_, .Lfunc_end770-_ZN7rocprim17ROCPRIM_400000_NS6detail17trampoline_kernelINS0_14default_configENS1_38merge_sort_block_merge_config_selectorIlNS0_10empty_typeEEEZZNS1_27merge_sort_block_merge_implIS3_PlPS5_mZN2at6native12_GLOBAL__N_124unique_dim_cuda_templateIdEESt5tupleIJNSA_6TensorESF_SF_EERKSF_lbbbEUlllE_EE10hipError_tT0_T1_T2_jT3_P12ihipStream_tbPNSt15iterator_traitsISL_E10value_typeEPNSR_ISM_E10value_typeEPSN_NS1_7vsmem_tEENKUlT_SL_SM_SN_E_clIS8_S8_S9_S9_EESK_S10_SL_SM_SN_EUlS10_E0_NS1_11comp_targetILNS1_3genE3ELNS1_11target_archE908ELNS1_3gpuE7ELNS1_3repE0EEENS1_38merge_mergepath_config_static_selectorELNS0_4arch9wavefront6targetE0EEEvSM_
                                        ; -- End function
	.set _ZN7rocprim17ROCPRIM_400000_NS6detail17trampoline_kernelINS0_14default_configENS1_38merge_sort_block_merge_config_selectorIlNS0_10empty_typeEEEZZNS1_27merge_sort_block_merge_implIS3_PlPS5_mZN2at6native12_GLOBAL__N_124unique_dim_cuda_templateIdEESt5tupleIJNSA_6TensorESF_SF_EERKSF_lbbbEUlllE_EE10hipError_tT0_T1_T2_jT3_P12ihipStream_tbPNSt15iterator_traitsISL_E10value_typeEPNSR_ISM_E10value_typeEPSN_NS1_7vsmem_tEENKUlT_SL_SM_SN_E_clIS8_S8_S9_S9_EESK_S10_SL_SM_SN_EUlS10_E0_NS1_11comp_targetILNS1_3genE3ELNS1_11target_archE908ELNS1_3gpuE7ELNS1_3repE0EEENS1_38merge_mergepath_config_static_selectorELNS0_4arch9wavefront6targetE0EEEvSM_.num_vgpr, 0
	.set _ZN7rocprim17ROCPRIM_400000_NS6detail17trampoline_kernelINS0_14default_configENS1_38merge_sort_block_merge_config_selectorIlNS0_10empty_typeEEEZZNS1_27merge_sort_block_merge_implIS3_PlPS5_mZN2at6native12_GLOBAL__N_124unique_dim_cuda_templateIdEESt5tupleIJNSA_6TensorESF_SF_EERKSF_lbbbEUlllE_EE10hipError_tT0_T1_T2_jT3_P12ihipStream_tbPNSt15iterator_traitsISL_E10value_typeEPNSR_ISM_E10value_typeEPSN_NS1_7vsmem_tEENKUlT_SL_SM_SN_E_clIS8_S8_S9_S9_EESK_S10_SL_SM_SN_EUlS10_E0_NS1_11comp_targetILNS1_3genE3ELNS1_11target_archE908ELNS1_3gpuE7ELNS1_3repE0EEENS1_38merge_mergepath_config_static_selectorELNS0_4arch9wavefront6targetE0EEEvSM_.num_agpr, 0
	.set _ZN7rocprim17ROCPRIM_400000_NS6detail17trampoline_kernelINS0_14default_configENS1_38merge_sort_block_merge_config_selectorIlNS0_10empty_typeEEEZZNS1_27merge_sort_block_merge_implIS3_PlPS5_mZN2at6native12_GLOBAL__N_124unique_dim_cuda_templateIdEESt5tupleIJNSA_6TensorESF_SF_EERKSF_lbbbEUlllE_EE10hipError_tT0_T1_T2_jT3_P12ihipStream_tbPNSt15iterator_traitsISL_E10value_typeEPNSR_ISM_E10value_typeEPSN_NS1_7vsmem_tEENKUlT_SL_SM_SN_E_clIS8_S8_S9_S9_EESK_S10_SL_SM_SN_EUlS10_E0_NS1_11comp_targetILNS1_3genE3ELNS1_11target_archE908ELNS1_3gpuE7ELNS1_3repE0EEENS1_38merge_mergepath_config_static_selectorELNS0_4arch9wavefront6targetE0EEEvSM_.numbered_sgpr, 0
	.set _ZN7rocprim17ROCPRIM_400000_NS6detail17trampoline_kernelINS0_14default_configENS1_38merge_sort_block_merge_config_selectorIlNS0_10empty_typeEEEZZNS1_27merge_sort_block_merge_implIS3_PlPS5_mZN2at6native12_GLOBAL__N_124unique_dim_cuda_templateIdEESt5tupleIJNSA_6TensorESF_SF_EERKSF_lbbbEUlllE_EE10hipError_tT0_T1_T2_jT3_P12ihipStream_tbPNSt15iterator_traitsISL_E10value_typeEPNSR_ISM_E10value_typeEPSN_NS1_7vsmem_tEENKUlT_SL_SM_SN_E_clIS8_S8_S9_S9_EESK_S10_SL_SM_SN_EUlS10_E0_NS1_11comp_targetILNS1_3genE3ELNS1_11target_archE908ELNS1_3gpuE7ELNS1_3repE0EEENS1_38merge_mergepath_config_static_selectorELNS0_4arch9wavefront6targetE0EEEvSM_.num_named_barrier, 0
	.set _ZN7rocprim17ROCPRIM_400000_NS6detail17trampoline_kernelINS0_14default_configENS1_38merge_sort_block_merge_config_selectorIlNS0_10empty_typeEEEZZNS1_27merge_sort_block_merge_implIS3_PlPS5_mZN2at6native12_GLOBAL__N_124unique_dim_cuda_templateIdEESt5tupleIJNSA_6TensorESF_SF_EERKSF_lbbbEUlllE_EE10hipError_tT0_T1_T2_jT3_P12ihipStream_tbPNSt15iterator_traitsISL_E10value_typeEPNSR_ISM_E10value_typeEPSN_NS1_7vsmem_tEENKUlT_SL_SM_SN_E_clIS8_S8_S9_S9_EESK_S10_SL_SM_SN_EUlS10_E0_NS1_11comp_targetILNS1_3genE3ELNS1_11target_archE908ELNS1_3gpuE7ELNS1_3repE0EEENS1_38merge_mergepath_config_static_selectorELNS0_4arch9wavefront6targetE0EEEvSM_.private_seg_size, 0
	.set _ZN7rocprim17ROCPRIM_400000_NS6detail17trampoline_kernelINS0_14default_configENS1_38merge_sort_block_merge_config_selectorIlNS0_10empty_typeEEEZZNS1_27merge_sort_block_merge_implIS3_PlPS5_mZN2at6native12_GLOBAL__N_124unique_dim_cuda_templateIdEESt5tupleIJNSA_6TensorESF_SF_EERKSF_lbbbEUlllE_EE10hipError_tT0_T1_T2_jT3_P12ihipStream_tbPNSt15iterator_traitsISL_E10value_typeEPNSR_ISM_E10value_typeEPSN_NS1_7vsmem_tEENKUlT_SL_SM_SN_E_clIS8_S8_S9_S9_EESK_S10_SL_SM_SN_EUlS10_E0_NS1_11comp_targetILNS1_3genE3ELNS1_11target_archE908ELNS1_3gpuE7ELNS1_3repE0EEENS1_38merge_mergepath_config_static_selectorELNS0_4arch9wavefront6targetE0EEEvSM_.uses_vcc, 0
	.set _ZN7rocprim17ROCPRIM_400000_NS6detail17trampoline_kernelINS0_14default_configENS1_38merge_sort_block_merge_config_selectorIlNS0_10empty_typeEEEZZNS1_27merge_sort_block_merge_implIS3_PlPS5_mZN2at6native12_GLOBAL__N_124unique_dim_cuda_templateIdEESt5tupleIJNSA_6TensorESF_SF_EERKSF_lbbbEUlllE_EE10hipError_tT0_T1_T2_jT3_P12ihipStream_tbPNSt15iterator_traitsISL_E10value_typeEPNSR_ISM_E10value_typeEPSN_NS1_7vsmem_tEENKUlT_SL_SM_SN_E_clIS8_S8_S9_S9_EESK_S10_SL_SM_SN_EUlS10_E0_NS1_11comp_targetILNS1_3genE3ELNS1_11target_archE908ELNS1_3gpuE7ELNS1_3repE0EEENS1_38merge_mergepath_config_static_selectorELNS0_4arch9wavefront6targetE0EEEvSM_.uses_flat_scratch, 0
	.set _ZN7rocprim17ROCPRIM_400000_NS6detail17trampoline_kernelINS0_14default_configENS1_38merge_sort_block_merge_config_selectorIlNS0_10empty_typeEEEZZNS1_27merge_sort_block_merge_implIS3_PlPS5_mZN2at6native12_GLOBAL__N_124unique_dim_cuda_templateIdEESt5tupleIJNSA_6TensorESF_SF_EERKSF_lbbbEUlllE_EE10hipError_tT0_T1_T2_jT3_P12ihipStream_tbPNSt15iterator_traitsISL_E10value_typeEPNSR_ISM_E10value_typeEPSN_NS1_7vsmem_tEENKUlT_SL_SM_SN_E_clIS8_S8_S9_S9_EESK_S10_SL_SM_SN_EUlS10_E0_NS1_11comp_targetILNS1_3genE3ELNS1_11target_archE908ELNS1_3gpuE7ELNS1_3repE0EEENS1_38merge_mergepath_config_static_selectorELNS0_4arch9wavefront6targetE0EEEvSM_.has_dyn_sized_stack, 0
	.set _ZN7rocprim17ROCPRIM_400000_NS6detail17trampoline_kernelINS0_14default_configENS1_38merge_sort_block_merge_config_selectorIlNS0_10empty_typeEEEZZNS1_27merge_sort_block_merge_implIS3_PlPS5_mZN2at6native12_GLOBAL__N_124unique_dim_cuda_templateIdEESt5tupleIJNSA_6TensorESF_SF_EERKSF_lbbbEUlllE_EE10hipError_tT0_T1_T2_jT3_P12ihipStream_tbPNSt15iterator_traitsISL_E10value_typeEPNSR_ISM_E10value_typeEPSN_NS1_7vsmem_tEENKUlT_SL_SM_SN_E_clIS8_S8_S9_S9_EESK_S10_SL_SM_SN_EUlS10_E0_NS1_11comp_targetILNS1_3genE3ELNS1_11target_archE908ELNS1_3gpuE7ELNS1_3repE0EEENS1_38merge_mergepath_config_static_selectorELNS0_4arch9wavefront6targetE0EEEvSM_.has_recursion, 0
	.set _ZN7rocprim17ROCPRIM_400000_NS6detail17trampoline_kernelINS0_14default_configENS1_38merge_sort_block_merge_config_selectorIlNS0_10empty_typeEEEZZNS1_27merge_sort_block_merge_implIS3_PlPS5_mZN2at6native12_GLOBAL__N_124unique_dim_cuda_templateIdEESt5tupleIJNSA_6TensorESF_SF_EERKSF_lbbbEUlllE_EE10hipError_tT0_T1_T2_jT3_P12ihipStream_tbPNSt15iterator_traitsISL_E10value_typeEPNSR_ISM_E10value_typeEPSN_NS1_7vsmem_tEENKUlT_SL_SM_SN_E_clIS8_S8_S9_S9_EESK_S10_SL_SM_SN_EUlS10_E0_NS1_11comp_targetILNS1_3genE3ELNS1_11target_archE908ELNS1_3gpuE7ELNS1_3repE0EEENS1_38merge_mergepath_config_static_selectorELNS0_4arch9wavefront6targetE0EEEvSM_.has_indirect_call, 0
	.section	.AMDGPU.csdata,"",@progbits
; Kernel info:
; codeLenInByte = 0
; TotalNumSgprs: 0
; NumVgprs: 0
; ScratchSize: 0
; MemoryBound: 0
; FloatMode: 240
; IeeeMode: 1
; LDSByteSize: 0 bytes/workgroup (compile time only)
; SGPRBlocks: 0
; VGPRBlocks: 0
; NumSGPRsForWavesPerEU: 1
; NumVGPRsForWavesPerEU: 1
; NamedBarCnt: 0
; Occupancy: 16
; WaveLimiterHint : 0
; COMPUTE_PGM_RSRC2:SCRATCH_EN: 0
; COMPUTE_PGM_RSRC2:USER_SGPR: 2
; COMPUTE_PGM_RSRC2:TRAP_HANDLER: 0
; COMPUTE_PGM_RSRC2:TGID_X_EN: 1
; COMPUTE_PGM_RSRC2:TGID_Y_EN: 0
; COMPUTE_PGM_RSRC2:TGID_Z_EN: 0
; COMPUTE_PGM_RSRC2:TIDIG_COMP_CNT: 0
	.section	.text._ZN7rocprim17ROCPRIM_400000_NS6detail17trampoline_kernelINS0_14default_configENS1_38merge_sort_block_merge_config_selectorIlNS0_10empty_typeEEEZZNS1_27merge_sort_block_merge_implIS3_PlPS5_mZN2at6native12_GLOBAL__N_124unique_dim_cuda_templateIdEESt5tupleIJNSA_6TensorESF_SF_EERKSF_lbbbEUlllE_EE10hipError_tT0_T1_T2_jT3_P12ihipStream_tbPNSt15iterator_traitsISL_E10value_typeEPNSR_ISM_E10value_typeEPSN_NS1_7vsmem_tEENKUlT_SL_SM_SN_E_clIS8_S8_S9_S9_EESK_S10_SL_SM_SN_EUlS10_E0_NS1_11comp_targetILNS1_3genE2ELNS1_11target_archE906ELNS1_3gpuE6ELNS1_3repE0EEENS1_38merge_mergepath_config_static_selectorELNS0_4arch9wavefront6targetE0EEEvSM_,"axG",@progbits,_ZN7rocprim17ROCPRIM_400000_NS6detail17trampoline_kernelINS0_14default_configENS1_38merge_sort_block_merge_config_selectorIlNS0_10empty_typeEEEZZNS1_27merge_sort_block_merge_implIS3_PlPS5_mZN2at6native12_GLOBAL__N_124unique_dim_cuda_templateIdEESt5tupleIJNSA_6TensorESF_SF_EERKSF_lbbbEUlllE_EE10hipError_tT0_T1_T2_jT3_P12ihipStream_tbPNSt15iterator_traitsISL_E10value_typeEPNSR_ISM_E10value_typeEPSN_NS1_7vsmem_tEENKUlT_SL_SM_SN_E_clIS8_S8_S9_S9_EESK_S10_SL_SM_SN_EUlS10_E0_NS1_11comp_targetILNS1_3genE2ELNS1_11target_archE906ELNS1_3gpuE6ELNS1_3repE0EEENS1_38merge_mergepath_config_static_selectorELNS0_4arch9wavefront6targetE0EEEvSM_,comdat
	.globl	_ZN7rocprim17ROCPRIM_400000_NS6detail17trampoline_kernelINS0_14default_configENS1_38merge_sort_block_merge_config_selectorIlNS0_10empty_typeEEEZZNS1_27merge_sort_block_merge_implIS3_PlPS5_mZN2at6native12_GLOBAL__N_124unique_dim_cuda_templateIdEESt5tupleIJNSA_6TensorESF_SF_EERKSF_lbbbEUlllE_EE10hipError_tT0_T1_T2_jT3_P12ihipStream_tbPNSt15iterator_traitsISL_E10value_typeEPNSR_ISM_E10value_typeEPSN_NS1_7vsmem_tEENKUlT_SL_SM_SN_E_clIS8_S8_S9_S9_EESK_S10_SL_SM_SN_EUlS10_E0_NS1_11comp_targetILNS1_3genE2ELNS1_11target_archE906ELNS1_3gpuE6ELNS1_3repE0EEENS1_38merge_mergepath_config_static_selectorELNS0_4arch9wavefront6targetE0EEEvSM_ ; -- Begin function _ZN7rocprim17ROCPRIM_400000_NS6detail17trampoline_kernelINS0_14default_configENS1_38merge_sort_block_merge_config_selectorIlNS0_10empty_typeEEEZZNS1_27merge_sort_block_merge_implIS3_PlPS5_mZN2at6native12_GLOBAL__N_124unique_dim_cuda_templateIdEESt5tupleIJNSA_6TensorESF_SF_EERKSF_lbbbEUlllE_EE10hipError_tT0_T1_T2_jT3_P12ihipStream_tbPNSt15iterator_traitsISL_E10value_typeEPNSR_ISM_E10value_typeEPSN_NS1_7vsmem_tEENKUlT_SL_SM_SN_E_clIS8_S8_S9_S9_EESK_S10_SL_SM_SN_EUlS10_E0_NS1_11comp_targetILNS1_3genE2ELNS1_11target_archE906ELNS1_3gpuE6ELNS1_3repE0EEENS1_38merge_mergepath_config_static_selectorELNS0_4arch9wavefront6targetE0EEEvSM_
	.p2align	8
	.type	_ZN7rocprim17ROCPRIM_400000_NS6detail17trampoline_kernelINS0_14default_configENS1_38merge_sort_block_merge_config_selectorIlNS0_10empty_typeEEEZZNS1_27merge_sort_block_merge_implIS3_PlPS5_mZN2at6native12_GLOBAL__N_124unique_dim_cuda_templateIdEESt5tupleIJNSA_6TensorESF_SF_EERKSF_lbbbEUlllE_EE10hipError_tT0_T1_T2_jT3_P12ihipStream_tbPNSt15iterator_traitsISL_E10value_typeEPNSR_ISM_E10value_typeEPSN_NS1_7vsmem_tEENKUlT_SL_SM_SN_E_clIS8_S8_S9_S9_EESK_S10_SL_SM_SN_EUlS10_E0_NS1_11comp_targetILNS1_3genE2ELNS1_11target_archE906ELNS1_3gpuE6ELNS1_3repE0EEENS1_38merge_mergepath_config_static_selectorELNS0_4arch9wavefront6targetE0EEEvSM_,@function
_ZN7rocprim17ROCPRIM_400000_NS6detail17trampoline_kernelINS0_14default_configENS1_38merge_sort_block_merge_config_selectorIlNS0_10empty_typeEEEZZNS1_27merge_sort_block_merge_implIS3_PlPS5_mZN2at6native12_GLOBAL__N_124unique_dim_cuda_templateIdEESt5tupleIJNSA_6TensorESF_SF_EERKSF_lbbbEUlllE_EE10hipError_tT0_T1_T2_jT3_P12ihipStream_tbPNSt15iterator_traitsISL_E10value_typeEPNSR_ISM_E10value_typeEPSN_NS1_7vsmem_tEENKUlT_SL_SM_SN_E_clIS8_S8_S9_S9_EESK_S10_SL_SM_SN_EUlS10_E0_NS1_11comp_targetILNS1_3genE2ELNS1_11target_archE906ELNS1_3gpuE6ELNS1_3repE0EEENS1_38merge_mergepath_config_static_selectorELNS0_4arch9wavefront6targetE0EEEvSM_: ; @_ZN7rocprim17ROCPRIM_400000_NS6detail17trampoline_kernelINS0_14default_configENS1_38merge_sort_block_merge_config_selectorIlNS0_10empty_typeEEEZZNS1_27merge_sort_block_merge_implIS3_PlPS5_mZN2at6native12_GLOBAL__N_124unique_dim_cuda_templateIdEESt5tupleIJNSA_6TensorESF_SF_EERKSF_lbbbEUlllE_EE10hipError_tT0_T1_T2_jT3_P12ihipStream_tbPNSt15iterator_traitsISL_E10value_typeEPNSR_ISM_E10value_typeEPSN_NS1_7vsmem_tEENKUlT_SL_SM_SN_E_clIS8_S8_S9_S9_EESK_S10_SL_SM_SN_EUlS10_E0_NS1_11comp_targetILNS1_3genE2ELNS1_11target_archE906ELNS1_3gpuE6ELNS1_3repE0EEENS1_38merge_mergepath_config_static_selectorELNS0_4arch9wavefront6targetE0EEEvSM_
; %bb.0:
	.section	.rodata,"a",@progbits
	.p2align	6, 0x0
	.amdhsa_kernel _ZN7rocprim17ROCPRIM_400000_NS6detail17trampoline_kernelINS0_14default_configENS1_38merge_sort_block_merge_config_selectorIlNS0_10empty_typeEEEZZNS1_27merge_sort_block_merge_implIS3_PlPS5_mZN2at6native12_GLOBAL__N_124unique_dim_cuda_templateIdEESt5tupleIJNSA_6TensorESF_SF_EERKSF_lbbbEUlllE_EE10hipError_tT0_T1_T2_jT3_P12ihipStream_tbPNSt15iterator_traitsISL_E10value_typeEPNSR_ISM_E10value_typeEPSN_NS1_7vsmem_tEENKUlT_SL_SM_SN_E_clIS8_S8_S9_S9_EESK_S10_SL_SM_SN_EUlS10_E0_NS1_11comp_targetILNS1_3genE2ELNS1_11target_archE906ELNS1_3gpuE6ELNS1_3repE0EEENS1_38merge_mergepath_config_static_selectorELNS0_4arch9wavefront6targetE0EEEvSM_
		.amdhsa_group_segment_fixed_size 0
		.amdhsa_private_segment_fixed_size 0
		.amdhsa_kernarg_size 88
		.amdhsa_user_sgpr_count 2
		.amdhsa_user_sgpr_dispatch_ptr 0
		.amdhsa_user_sgpr_queue_ptr 0
		.amdhsa_user_sgpr_kernarg_segment_ptr 1
		.amdhsa_user_sgpr_dispatch_id 0
		.amdhsa_user_sgpr_kernarg_preload_length 0
		.amdhsa_user_sgpr_kernarg_preload_offset 0
		.amdhsa_user_sgpr_private_segment_size 0
		.amdhsa_wavefront_size32 1
		.amdhsa_uses_dynamic_stack 0
		.amdhsa_enable_private_segment 0
		.amdhsa_system_sgpr_workgroup_id_x 1
		.amdhsa_system_sgpr_workgroup_id_y 0
		.amdhsa_system_sgpr_workgroup_id_z 0
		.amdhsa_system_sgpr_workgroup_info 0
		.amdhsa_system_vgpr_workitem_id 0
		.amdhsa_next_free_vgpr 1
		.amdhsa_next_free_sgpr 1
		.amdhsa_named_barrier_count 0
		.amdhsa_reserve_vcc 0
		.amdhsa_float_round_mode_32 0
		.amdhsa_float_round_mode_16_64 0
		.amdhsa_float_denorm_mode_32 3
		.amdhsa_float_denorm_mode_16_64 3
		.amdhsa_fp16_overflow 0
		.amdhsa_memory_ordered 1
		.amdhsa_forward_progress 1
		.amdhsa_inst_pref_size 0
		.amdhsa_round_robin_scheduling 0
		.amdhsa_exception_fp_ieee_invalid_op 0
		.amdhsa_exception_fp_denorm_src 0
		.amdhsa_exception_fp_ieee_div_zero 0
		.amdhsa_exception_fp_ieee_overflow 0
		.amdhsa_exception_fp_ieee_underflow 0
		.amdhsa_exception_fp_ieee_inexact 0
		.amdhsa_exception_int_div_zero 0
	.end_amdhsa_kernel
	.section	.text._ZN7rocprim17ROCPRIM_400000_NS6detail17trampoline_kernelINS0_14default_configENS1_38merge_sort_block_merge_config_selectorIlNS0_10empty_typeEEEZZNS1_27merge_sort_block_merge_implIS3_PlPS5_mZN2at6native12_GLOBAL__N_124unique_dim_cuda_templateIdEESt5tupleIJNSA_6TensorESF_SF_EERKSF_lbbbEUlllE_EE10hipError_tT0_T1_T2_jT3_P12ihipStream_tbPNSt15iterator_traitsISL_E10value_typeEPNSR_ISM_E10value_typeEPSN_NS1_7vsmem_tEENKUlT_SL_SM_SN_E_clIS8_S8_S9_S9_EESK_S10_SL_SM_SN_EUlS10_E0_NS1_11comp_targetILNS1_3genE2ELNS1_11target_archE906ELNS1_3gpuE6ELNS1_3repE0EEENS1_38merge_mergepath_config_static_selectorELNS0_4arch9wavefront6targetE0EEEvSM_,"axG",@progbits,_ZN7rocprim17ROCPRIM_400000_NS6detail17trampoline_kernelINS0_14default_configENS1_38merge_sort_block_merge_config_selectorIlNS0_10empty_typeEEEZZNS1_27merge_sort_block_merge_implIS3_PlPS5_mZN2at6native12_GLOBAL__N_124unique_dim_cuda_templateIdEESt5tupleIJNSA_6TensorESF_SF_EERKSF_lbbbEUlllE_EE10hipError_tT0_T1_T2_jT3_P12ihipStream_tbPNSt15iterator_traitsISL_E10value_typeEPNSR_ISM_E10value_typeEPSN_NS1_7vsmem_tEENKUlT_SL_SM_SN_E_clIS8_S8_S9_S9_EESK_S10_SL_SM_SN_EUlS10_E0_NS1_11comp_targetILNS1_3genE2ELNS1_11target_archE906ELNS1_3gpuE6ELNS1_3repE0EEENS1_38merge_mergepath_config_static_selectorELNS0_4arch9wavefront6targetE0EEEvSM_,comdat
.Lfunc_end771:
	.size	_ZN7rocprim17ROCPRIM_400000_NS6detail17trampoline_kernelINS0_14default_configENS1_38merge_sort_block_merge_config_selectorIlNS0_10empty_typeEEEZZNS1_27merge_sort_block_merge_implIS3_PlPS5_mZN2at6native12_GLOBAL__N_124unique_dim_cuda_templateIdEESt5tupleIJNSA_6TensorESF_SF_EERKSF_lbbbEUlllE_EE10hipError_tT0_T1_T2_jT3_P12ihipStream_tbPNSt15iterator_traitsISL_E10value_typeEPNSR_ISM_E10value_typeEPSN_NS1_7vsmem_tEENKUlT_SL_SM_SN_E_clIS8_S8_S9_S9_EESK_S10_SL_SM_SN_EUlS10_E0_NS1_11comp_targetILNS1_3genE2ELNS1_11target_archE906ELNS1_3gpuE6ELNS1_3repE0EEENS1_38merge_mergepath_config_static_selectorELNS0_4arch9wavefront6targetE0EEEvSM_, .Lfunc_end771-_ZN7rocprim17ROCPRIM_400000_NS6detail17trampoline_kernelINS0_14default_configENS1_38merge_sort_block_merge_config_selectorIlNS0_10empty_typeEEEZZNS1_27merge_sort_block_merge_implIS3_PlPS5_mZN2at6native12_GLOBAL__N_124unique_dim_cuda_templateIdEESt5tupleIJNSA_6TensorESF_SF_EERKSF_lbbbEUlllE_EE10hipError_tT0_T1_T2_jT3_P12ihipStream_tbPNSt15iterator_traitsISL_E10value_typeEPNSR_ISM_E10value_typeEPSN_NS1_7vsmem_tEENKUlT_SL_SM_SN_E_clIS8_S8_S9_S9_EESK_S10_SL_SM_SN_EUlS10_E0_NS1_11comp_targetILNS1_3genE2ELNS1_11target_archE906ELNS1_3gpuE6ELNS1_3repE0EEENS1_38merge_mergepath_config_static_selectorELNS0_4arch9wavefront6targetE0EEEvSM_
                                        ; -- End function
	.set _ZN7rocprim17ROCPRIM_400000_NS6detail17trampoline_kernelINS0_14default_configENS1_38merge_sort_block_merge_config_selectorIlNS0_10empty_typeEEEZZNS1_27merge_sort_block_merge_implIS3_PlPS5_mZN2at6native12_GLOBAL__N_124unique_dim_cuda_templateIdEESt5tupleIJNSA_6TensorESF_SF_EERKSF_lbbbEUlllE_EE10hipError_tT0_T1_T2_jT3_P12ihipStream_tbPNSt15iterator_traitsISL_E10value_typeEPNSR_ISM_E10value_typeEPSN_NS1_7vsmem_tEENKUlT_SL_SM_SN_E_clIS8_S8_S9_S9_EESK_S10_SL_SM_SN_EUlS10_E0_NS1_11comp_targetILNS1_3genE2ELNS1_11target_archE906ELNS1_3gpuE6ELNS1_3repE0EEENS1_38merge_mergepath_config_static_selectorELNS0_4arch9wavefront6targetE0EEEvSM_.num_vgpr, 0
	.set _ZN7rocprim17ROCPRIM_400000_NS6detail17trampoline_kernelINS0_14default_configENS1_38merge_sort_block_merge_config_selectorIlNS0_10empty_typeEEEZZNS1_27merge_sort_block_merge_implIS3_PlPS5_mZN2at6native12_GLOBAL__N_124unique_dim_cuda_templateIdEESt5tupleIJNSA_6TensorESF_SF_EERKSF_lbbbEUlllE_EE10hipError_tT0_T1_T2_jT3_P12ihipStream_tbPNSt15iterator_traitsISL_E10value_typeEPNSR_ISM_E10value_typeEPSN_NS1_7vsmem_tEENKUlT_SL_SM_SN_E_clIS8_S8_S9_S9_EESK_S10_SL_SM_SN_EUlS10_E0_NS1_11comp_targetILNS1_3genE2ELNS1_11target_archE906ELNS1_3gpuE6ELNS1_3repE0EEENS1_38merge_mergepath_config_static_selectorELNS0_4arch9wavefront6targetE0EEEvSM_.num_agpr, 0
	.set _ZN7rocprim17ROCPRIM_400000_NS6detail17trampoline_kernelINS0_14default_configENS1_38merge_sort_block_merge_config_selectorIlNS0_10empty_typeEEEZZNS1_27merge_sort_block_merge_implIS3_PlPS5_mZN2at6native12_GLOBAL__N_124unique_dim_cuda_templateIdEESt5tupleIJNSA_6TensorESF_SF_EERKSF_lbbbEUlllE_EE10hipError_tT0_T1_T2_jT3_P12ihipStream_tbPNSt15iterator_traitsISL_E10value_typeEPNSR_ISM_E10value_typeEPSN_NS1_7vsmem_tEENKUlT_SL_SM_SN_E_clIS8_S8_S9_S9_EESK_S10_SL_SM_SN_EUlS10_E0_NS1_11comp_targetILNS1_3genE2ELNS1_11target_archE906ELNS1_3gpuE6ELNS1_3repE0EEENS1_38merge_mergepath_config_static_selectorELNS0_4arch9wavefront6targetE0EEEvSM_.numbered_sgpr, 0
	.set _ZN7rocprim17ROCPRIM_400000_NS6detail17trampoline_kernelINS0_14default_configENS1_38merge_sort_block_merge_config_selectorIlNS0_10empty_typeEEEZZNS1_27merge_sort_block_merge_implIS3_PlPS5_mZN2at6native12_GLOBAL__N_124unique_dim_cuda_templateIdEESt5tupleIJNSA_6TensorESF_SF_EERKSF_lbbbEUlllE_EE10hipError_tT0_T1_T2_jT3_P12ihipStream_tbPNSt15iterator_traitsISL_E10value_typeEPNSR_ISM_E10value_typeEPSN_NS1_7vsmem_tEENKUlT_SL_SM_SN_E_clIS8_S8_S9_S9_EESK_S10_SL_SM_SN_EUlS10_E0_NS1_11comp_targetILNS1_3genE2ELNS1_11target_archE906ELNS1_3gpuE6ELNS1_3repE0EEENS1_38merge_mergepath_config_static_selectorELNS0_4arch9wavefront6targetE0EEEvSM_.num_named_barrier, 0
	.set _ZN7rocprim17ROCPRIM_400000_NS6detail17trampoline_kernelINS0_14default_configENS1_38merge_sort_block_merge_config_selectorIlNS0_10empty_typeEEEZZNS1_27merge_sort_block_merge_implIS3_PlPS5_mZN2at6native12_GLOBAL__N_124unique_dim_cuda_templateIdEESt5tupleIJNSA_6TensorESF_SF_EERKSF_lbbbEUlllE_EE10hipError_tT0_T1_T2_jT3_P12ihipStream_tbPNSt15iterator_traitsISL_E10value_typeEPNSR_ISM_E10value_typeEPSN_NS1_7vsmem_tEENKUlT_SL_SM_SN_E_clIS8_S8_S9_S9_EESK_S10_SL_SM_SN_EUlS10_E0_NS1_11comp_targetILNS1_3genE2ELNS1_11target_archE906ELNS1_3gpuE6ELNS1_3repE0EEENS1_38merge_mergepath_config_static_selectorELNS0_4arch9wavefront6targetE0EEEvSM_.private_seg_size, 0
	.set _ZN7rocprim17ROCPRIM_400000_NS6detail17trampoline_kernelINS0_14default_configENS1_38merge_sort_block_merge_config_selectorIlNS0_10empty_typeEEEZZNS1_27merge_sort_block_merge_implIS3_PlPS5_mZN2at6native12_GLOBAL__N_124unique_dim_cuda_templateIdEESt5tupleIJNSA_6TensorESF_SF_EERKSF_lbbbEUlllE_EE10hipError_tT0_T1_T2_jT3_P12ihipStream_tbPNSt15iterator_traitsISL_E10value_typeEPNSR_ISM_E10value_typeEPSN_NS1_7vsmem_tEENKUlT_SL_SM_SN_E_clIS8_S8_S9_S9_EESK_S10_SL_SM_SN_EUlS10_E0_NS1_11comp_targetILNS1_3genE2ELNS1_11target_archE906ELNS1_3gpuE6ELNS1_3repE0EEENS1_38merge_mergepath_config_static_selectorELNS0_4arch9wavefront6targetE0EEEvSM_.uses_vcc, 0
	.set _ZN7rocprim17ROCPRIM_400000_NS6detail17trampoline_kernelINS0_14default_configENS1_38merge_sort_block_merge_config_selectorIlNS0_10empty_typeEEEZZNS1_27merge_sort_block_merge_implIS3_PlPS5_mZN2at6native12_GLOBAL__N_124unique_dim_cuda_templateIdEESt5tupleIJNSA_6TensorESF_SF_EERKSF_lbbbEUlllE_EE10hipError_tT0_T1_T2_jT3_P12ihipStream_tbPNSt15iterator_traitsISL_E10value_typeEPNSR_ISM_E10value_typeEPSN_NS1_7vsmem_tEENKUlT_SL_SM_SN_E_clIS8_S8_S9_S9_EESK_S10_SL_SM_SN_EUlS10_E0_NS1_11comp_targetILNS1_3genE2ELNS1_11target_archE906ELNS1_3gpuE6ELNS1_3repE0EEENS1_38merge_mergepath_config_static_selectorELNS0_4arch9wavefront6targetE0EEEvSM_.uses_flat_scratch, 0
	.set _ZN7rocprim17ROCPRIM_400000_NS6detail17trampoline_kernelINS0_14default_configENS1_38merge_sort_block_merge_config_selectorIlNS0_10empty_typeEEEZZNS1_27merge_sort_block_merge_implIS3_PlPS5_mZN2at6native12_GLOBAL__N_124unique_dim_cuda_templateIdEESt5tupleIJNSA_6TensorESF_SF_EERKSF_lbbbEUlllE_EE10hipError_tT0_T1_T2_jT3_P12ihipStream_tbPNSt15iterator_traitsISL_E10value_typeEPNSR_ISM_E10value_typeEPSN_NS1_7vsmem_tEENKUlT_SL_SM_SN_E_clIS8_S8_S9_S9_EESK_S10_SL_SM_SN_EUlS10_E0_NS1_11comp_targetILNS1_3genE2ELNS1_11target_archE906ELNS1_3gpuE6ELNS1_3repE0EEENS1_38merge_mergepath_config_static_selectorELNS0_4arch9wavefront6targetE0EEEvSM_.has_dyn_sized_stack, 0
	.set _ZN7rocprim17ROCPRIM_400000_NS6detail17trampoline_kernelINS0_14default_configENS1_38merge_sort_block_merge_config_selectorIlNS0_10empty_typeEEEZZNS1_27merge_sort_block_merge_implIS3_PlPS5_mZN2at6native12_GLOBAL__N_124unique_dim_cuda_templateIdEESt5tupleIJNSA_6TensorESF_SF_EERKSF_lbbbEUlllE_EE10hipError_tT0_T1_T2_jT3_P12ihipStream_tbPNSt15iterator_traitsISL_E10value_typeEPNSR_ISM_E10value_typeEPSN_NS1_7vsmem_tEENKUlT_SL_SM_SN_E_clIS8_S8_S9_S9_EESK_S10_SL_SM_SN_EUlS10_E0_NS1_11comp_targetILNS1_3genE2ELNS1_11target_archE906ELNS1_3gpuE6ELNS1_3repE0EEENS1_38merge_mergepath_config_static_selectorELNS0_4arch9wavefront6targetE0EEEvSM_.has_recursion, 0
	.set _ZN7rocprim17ROCPRIM_400000_NS6detail17trampoline_kernelINS0_14default_configENS1_38merge_sort_block_merge_config_selectorIlNS0_10empty_typeEEEZZNS1_27merge_sort_block_merge_implIS3_PlPS5_mZN2at6native12_GLOBAL__N_124unique_dim_cuda_templateIdEESt5tupleIJNSA_6TensorESF_SF_EERKSF_lbbbEUlllE_EE10hipError_tT0_T1_T2_jT3_P12ihipStream_tbPNSt15iterator_traitsISL_E10value_typeEPNSR_ISM_E10value_typeEPSN_NS1_7vsmem_tEENKUlT_SL_SM_SN_E_clIS8_S8_S9_S9_EESK_S10_SL_SM_SN_EUlS10_E0_NS1_11comp_targetILNS1_3genE2ELNS1_11target_archE906ELNS1_3gpuE6ELNS1_3repE0EEENS1_38merge_mergepath_config_static_selectorELNS0_4arch9wavefront6targetE0EEEvSM_.has_indirect_call, 0
	.section	.AMDGPU.csdata,"",@progbits
; Kernel info:
; codeLenInByte = 0
; TotalNumSgprs: 0
; NumVgprs: 0
; ScratchSize: 0
; MemoryBound: 0
; FloatMode: 240
; IeeeMode: 1
; LDSByteSize: 0 bytes/workgroup (compile time only)
; SGPRBlocks: 0
; VGPRBlocks: 0
; NumSGPRsForWavesPerEU: 1
; NumVGPRsForWavesPerEU: 1
; NamedBarCnt: 0
; Occupancy: 16
; WaveLimiterHint : 0
; COMPUTE_PGM_RSRC2:SCRATCH_EN: 0
; COMPUTE_PGM_RSRC2:USER_SGPR: 2
; COMPUTE_PGM_RSRC2:TRAP_HANDLER: 0
; COMPUTE_PGM_RSRC2:TGID_X_EN: 1
; COMPUTE_PGM_RSRC2:TGID_Y_EN: 0
; COMPUTE_PGM_RSRC2:TGID_Z_EN: 0
; COMPUTE_PGM_RSRC2:TIDIG_COMP_CNT: 0
	.section	.text._ZN7rocprim17ROCPRIM_400000_NS6detail17trampoline_kernelINS0_14default_configENS1_38merge_sort_block_merge_config_selectorIlNS0_10empty_typeEEEZZNS1_27merge_sort_block_merge_implIS3_PlPS5_mZN2at6native12_GLOBAL__N_124unique_dim_cuda_templateIdEESt5tupleIJNSA_6TensorESF_SF_EERKSF_lbbbEUlllE_EE10hipError_tT0_T1_T2_jT3_P12ihipStream_tbPNSt15iterator_traitsISL_E10value_typeEPNSR_ISM_E10value_typeEPSN_NS1_7vsmem_tEENKUlT_SL_SM_SN_E_clIS8_S8_S9_S9_EESK_S10_SL_SM_SN_EUlS10_E0_NS1_11comp_targetILNS1_3genE9ELNS1_11target_archE1100ELNS1_3gpuE3ELNS1_3repE0EEENS1_38merge_mergepath_config_static_selectorELNS0_4arch9wavefront6targetE0EEEvSM_,"axG",@progbits,_ZN7rocprim17ROCPRIM_400000_NS6detail17trampoline_kernelINS0_14default_configENS1_38merge_sort_block_merge_config_selectorIlNS0_10empty_typeEEEZZNS1_27merge_sort_block_merge_implIS3_PlPS5_mZN2at6native12_GLOBAL__N_124unique_dim_cuda_templateIdEESt5tupleIJNSA_6TensorESF_SF_EERKSF_lbbbEUlllE_EE10hipError_tT0_T1_T2_jT3_P12ihipStream_tbPNSt15iterator_traitsISL_E10value_typeEPNSR_ISM_E10value_typeEPSN_NS1_7vsmem_tEENKUlT_SL_SM_SN_E_clIS8_S8_S9_S9_EESK_S10_SL_SM_SN_EUlS10_E0_NS1_11comp_targetILNS1_3genE9ELNS1_11target_archE1100ELNS1_3gpuE3ELNS1_3repE0EEENS1_38merge_mergepath_config_static_selectorELNS0_4arch9wavefront6targetE0EEEvSM_,comdat
	.globl	_ZN7rocprim17ROCPRIM_400000_NS6detail17trampoline_kernelINS0_14default_configENS1_38merge_sort_block_merge_config_selectorIlNS0_10empty_typeEEEZZNS1_27merge_sort_block_merge_implIS3_PlPS5_mZN2at6native12_GLOBAL__N_124unique_dim_cuda_templateIdEESt5tupleIJNSA_6TensorESF_SF_EERKSF_lbbbEUlllE_EE10hipError_tT0_T1_T2_jT3_P12ihipStream_tbPNSt15iterator_traitsISL_E10value_typeEPNSR_ISM_E10value_typeEPSN_NS1_7vsmem_tEENKUlT_SL_SM_SN_E_clIS8_S8_S9_S9_EESK_S10_SL_SM_SN_EUlS10_E0_NS1_11comp_targetILNS1_3genE9ELNS1_11target_archE1100ELNS1_3gpuE3ELNS1_3repE0EEENS1_38merge_mergepath_config_static_selectorELNS0_4arch9wavefront6targetE0EEEvSM_ ; -- Begin function _ZN7rocprim17ROCPRIM_400000_NS6detail17trampoline_kernelINS0_14default_configENS1_38merge_sort_block_merge_config_selectorIlNS0_10empty_typeEEEZZNS1_27merge_sort_block_merge_implIS3_PlPS5_mZN2at6native12_GLOBAL__N_124unique_dim_cuda_templateIdEESt5tupleIJNSA_6TensorESF_SF_EERKSF_lbbbEUlllE_EE10hipError_tT0_T1_T2_jT3_P12ihipStream_tbPNSt15iterator_traitsISL_E10value_typeEPNSR_ISM_E10value_typeEPSN_NS1_7vsmem_tEENKUlT_SL_SM_SN_E_clIS8_S8_S9_S9_EESK_S10_SL_SM_SN_EUlS10_E0_NS1_11comp_targetILNS1_3genE9ELNS1_11target_archE1100ELNS1_3gpuE3ELNS1_3repE0EEENS1_38merge_mergepath_config_static_selectorELNS0_4arch9wavefront6targetE0EEEvSM_
	.p2align	8
	.type	_ZN7rocprim17ROCPRIM_400000_NS6detail17trampoline_kernelINS0_14default_configENS1_38merge_sort_block_merge_config_selectorIlNS0_10empty_typeEEEZZNS1_27merge_sort_block_merge_implIS3_PlPS5_mZN2at6native12_GLOBAL__N_124unique_dim_cuda_templateIdEESt5tupleIJNSA_6TensorESF_SF_EERKSF_lbbbEUlllE_EE10hipError_tT0_T1_T2_jT3_P12ihipStream_tbPNSt15iterator_traitsISL_E10value_typeEPNSR_ISM_E10value_typeEPSN_NS1_7vsmem_tEENKUlT_SL_SM_SN_E_clIS8_S8_S9_S9_EESK_S10_SL_SM_SN_EUlS10_E0_NS1_11comp_targetILNS1_3genE9ELNS1_11target_archE1100ELNS1_3gpuE3ELNS1_3repE0EEENS1_38merge_mergepath_config_static_selectorELNS0_4arch9wavefront6targetE0EEEvSM_,@function
_ZN7rocprim17ROCPRIM_400000_NS6detail17trampoline_kernelINS0_14default_configENS1_38merge_sort_block_merge_config_selectorIlNS0_10empty_typeEEEZZNS1_27merge_sort_block_merge_implIS3_PlPS5_mZN2at6native12_GLOBAL__N_124unique_dim_cuda_templateIdEESt5tupleIJNSA_6TensorESF_SF_EERKSF_lbbbEUlllE_EE10hipError_tT0_T1_T2_jT3_P12ihipStream_tbPNSt15iterator_traitsISL_E10value_typeEPNSR_ISM_E10value_typeEPSN_NS1_7vsmem_tEENKUlT_SL_SM_SN_E_clIS8_S8_S9_S9_EESK_S10_SL_SM_SN_EUlS10_E0_NS1_11comp_targetILNS1_3genE9ELNS1_11target_archE1100ELNS1_3gpuE3ELNS1_3repE0EEENS1_38merge_mergepath_config_static_selectorELNS0_4arch9wavefront6targetE0EEEvSM_: ; @_ZN7rocprim17ROCPRIM_400000_NS6detail17trampoline_kernelINS0_14default_configENS1_38merge_sort_block_merge_config_selectorIlNS0_10empty_typeEEEZZNS1_27merge_sort_block_merge_implIS3_PlPS5_mZN2at6native12_GLOBAL__N_124unique_dim_cuda_templateIdEESt5tupleIJNSA_6TensorESF_SF_EERKSF_lbbbEUlllE_EE10hipError_tT0_T1_T2_jT3_P12ihipStream_tbPNSt15iterator_traitsISL_E10value_typeEPNSR_ISM_E10value_typeEPSN_NS1_7vsmem_tEENKUlT_SL_SM_SN_E_clIS8_S8_S9_S9_EESK_S10_SL_SM_SN_EUlS10_E0_NS1_11comp_targetILNS1_3genE9ELNS1_11target_archE1100ELNS1_3gpuE3ELNS1_3repE0EEENS1_38merge_mergepath_config_static_selectorELNS0_4arch9wavefront6targetE0EEEvSM_
; %bb.0:
	.section	.rodata,"a",@progbits
	.p2align	6, 0x0
	.amdhsa_kernel _ZN7rocprim17ROCPRIM_400000_NS6detail17trampoline_kernelINS0_14default_configENS1_38merge_sort_block_merge_config_selectorIlNS0_10empty_typeEEEZZNS1_27merge_sort_block_merge_implIS3_PlPS5_mZN2at6native12_GLOBAL__N_124unique_dim_cuda_templateIdEESt5tupleIJNSA_6TensorESF_SF_EERKSF_lbbbEUlllE_EE10hipError_tT0_T1_T2_jT3_P12ihipStream_tbPNSt15iterator_traitsISL_E10value_typeEPNSR_ISM_E10value_typeEPSN_NS1_7vsmem_tEENKUlT_SL_SM_SN_E_clIS8_S8_S9_S9_EESK_S10_SL_SM_SN_EUlS10_E0_NS1_11comp_targetILNS1_3genE9ELNS1_11target_archE1100ELNS1_3gpuE3ELNS1_3repE0EEENS1_38merge_mergepath_config_static_selectorELNS0_4arch9wavefront6targetE0EEEvSM_
		.amdhsa_group_segment_fixed_size 0
		.amdhsa_private_segment_fixed_size 0
		.amdhsa_kernarg_size 88
		.amdhsa_user_sgpr_count 2
		.amdhsa_user_sgpr_dispatch_ptr 0
		.amdhsa_user_sgpr_queue_ptr 0
		.amdhsa_user_sgpr_kernarg_segment_ptr 1
		.amdhsa_user_sgpr_dispatch_id 0
		.amdhsa_user_sgpr_kernarg_preload_length 0
		.amdhsa_user_sgpr_kernarg_preload_offset 0
		.amdhsa_user_sgpr_private_segment_size 0
		.amdhsa_wavefront_size32 1
		.amdhsa_uses_dynamic_stack 0
		.amdhsa_enable_private_segment 0
		.amdhsa_system_sgpr_workgroup_id_x 1
		.amdhsa_system_sgpr_workgroup_id_y 0
		.amdhsa_system_sgpr_workgroup_id_z 0
		.amdhsa_system_sgpr_workgroup_info 0
		.amdhsa_system_vgpr_workitem_id 0
		.amdhsa_next_free_vgpr 1
		.amdhsa_next_free_sgpr 1
		.amdhsa_named_barrier_count 0
		.amdhsa_reserve_vcc 0
		.amdhsa_float_round_mode_32 0
		.amdhsa_float_round_mode_16_64 0
		.amdhsa_float_denorm_mode_32 3
		.amdhsa_float_denorm_mode_16_64 3
		.amdhsa_fp16_overflow 0
		.amdhsa_memory_ordered 1
		.amdhsa_forward_progress 1
		.amdhsa_inst_pref_size 0
		.amdhsa_round_robin_scheduling 0
		.amdhsa_exception_fp_ieee_invalid_op 0
		.amdhsa_exception_fp_denorm_src 0
		.amdhsa_exception_fp_ieee_div_zero 0
		.amdhsa_exception_fp_ieee_overflow 0
		.amdhsa_exception_fp_ieee_underflow 0
		.amdhsa_exception_fp_ieee_inexact 0
		.amdhsa_exception_int_div_zero 0
	.end_amdhsa_kernel
	.section	.text._ZN7rocprim17ROCPRIM_400000_NS6detail17trampoline_kernelINS0_14default_configENS1_38merge_sort_block_merge_config_selectorIlNS0_10empty_typeEEEZZNS1_27merge_sort_block_merge_implIS3_PlPS5_mZN2at6native12_GLOBAL__N_124unique_dim_cuda_templateIdEESt5tupleIJNSA_6TensorESF_SF_EERKSF_lbbbEUlllE_EE10hipError_tT0_T1_T2_jT3_P12ihipStream_tbPNSt15iterator_traitsISL_E10value_typeEPNSR_ISM_E10value_typeEPSN_NS1_7vsmem_tEENKUlT_SL_SM_SN_E_clIS8_S8_S9_S9_EESK_S10_SL_SM_SN_EUlS10_E0_NS1_11comp_targetILNS1_3genE9ELNS1_11target_archE1100ELNS1_3gpuE3ELNS1_3repE0EEENS1_38merge_mergepath_config_static_selectorELNS0_4arch9wavefront6targetE0EEEvSM_,"axG",@progbits,_ZN7rocprim17ROCPRIM_400000_NS6detail17trampoline_kernelINS0_14default_configENS1_38merge_sort_block_merge_config_selectorIlNS0_10empty_typeEEEZZNS1_27merge_sort_block_merge_implIS3_PlPS5_mZN2at6native12_GLOBAL__N_124unique_dim_cuda_templateIdEESt5tupleIJNSA_6TensorESF_SF_EERKSF_lbbbEUlllE_EE10hipError_tT0_T1_T2_jT3_P12ihipStream_tbPNSt15iterator_traitsISL_E10value_typeEPNSR_ISM_E10value_typeEPSN_NS1_7vsmem_tEENKUlT_SL_SM_SN_E_clIS8_S8_S9_S9_EESK_S10_SL_SM_SN_EUlS10_E0_NS1_11comp_targetILNS1_3genE9ELNS1_11target_archE1100ELNS1_3gpuE3ELNS1_3repE0EEENS1_38merge_mergepath_config_static_selectorELNS0_4arch9wavefront6targetE0EEEvSM_,comdat
.Lfunc_end772:
	.size	_ZN7rocprim17ROCPRIM_400000_NS6detail17trampoline_kernelINS0_14default_configENS1_38merge_sort_block_merge_config_selectorIlNS0_10empty_typeEEEZZNS1_27merge_sort_block_merge_implIS3_PlPS5_mZN2at6native12_GLOBAL__N_124unique_dim_cuda_templateIdEESt5tupleIJNSA_6TensorESF_SF_EERKSF_lbbbEUlllE_EE10hipError_tT0_T1_T2_jT3_P12ihipStream_tbPNSt15iterator_traitsISL_E10value_typeEPNSR_ISM_E10value_typeEPSN_NS1_7vsmem_tEENKUlT_SL_SM_SN_E_clIS8_S8_S9_S9_EESK_S10_SL_SM_SN_EUlS10_E0_NS1_11comp_targetILNS1_3genE9ELNS1_11target_archE1100ELNS1_3gpuE3ELNS1_3repE0EEENS1_38merge_mergepath_config_static_selectorELNS0_4arch9wavefront6targetE0EEEvSM_, .Lfunc_end772-_ZN7rocprim17ROCPRIM_400000_NS6detail17trampoline_kernelINS0_14default_configENS1_38merge_sort_block_merge_config_selectorIlNS0_10empty_typeEEEZZNS1_27merge_sort_block_merge_implIS3_PlPS5_mZN2at6native12_GLOBAL__N_124unique_dim_cuda_templateIdEESt5tupleIJNSA_6TensorESF_SF_EERKSF_lbbbEUlllE_EE10hipError_tT0_T1_T2_jT3_P12ihipStream_tbPNSt15iterator_traitsISL_E10value_typeEPNSR_ISM_E10value_typeEPSN_NS1_7vsmem_tEENKUlT_SL_SM_SN_E_clIS8_S8_S9_S9_EESK_S10_SL_SM_SN_EUlS10_E0_NS1_11comp_targetILNS1_3genE9ELNS1_11target_archE1100ELNS1_3gpuE3ELNS1_3repE0EEENS1_38merge_mergepath_config_static_selectorELNS0_4arch9wavefront6targetE0EEEvSM_
                                        ; -- End function
	.set _ZN7rocprim17ROCPRIM_400000_NS6detail17trampoline_kernelINS0_14default_configENS1_38merge_sort_block_merge_config_selectorIlNS0_10empty_typeEEEZZNS1_27merge_sort_block_merge_implIS3_PlPS5_mZN2at6native12_GLOBAL__N_124unique_dim_cuda_templateIdEESt5tupleIJNSA_6TensorESF_SF_EERKSF_lbbbEUlllE_EE10hipError_tT0_T1_T2_jT3_P12ihipStream_tbPNSt15iterator_traitsISL_E10value_typeEPNSR_ISM_E10value_typeEPSN_NS1_7vsmem_tEENKUlT_SL_SM_SN_E_clIS8_S8_S9_S9_EESK_S10_SL_SM_SN_EUlS10_E0_NS1_11comp_targetILNS1_3genE9ELNS1_11target_archE1100ELNS1_3gpuE3ELNS1_3repE0EEENS1_38merge_mergepath_config_static_selectorELNS0_4arch9wavefront6targetE0EEEvSM_.num_vgpr, 0
	.set _ZN7rocprim17ROCPRIM_400000_NS6detail17trampoline_kernelINS0_14default_configENS1_38merge_sort_block_merge_config_selectorIlNS0_10empty_typeEEEZZNS1_27merge_sort_block_merge_implIS3_PlPS5_mZN2at6native12_GLOBAL__N_124unique_dim_cuda_templateIdEESt5tupleIJNSA_6TensorESF_SF_EERKSF_lbbbEUlllE_EE10hipError_tT0_T1_T2_jT3_P12ihipStream_tbPNSt15iterator_traitsISL_E10value_typeEPNSR_ISM_E10value_typeEPSN_NS1_7vsmem_tEENKUlT_SL_SM_SN_E_clIS8_S8_S9_S9_EESK_S10_SL_SM_SN_EUlS10_E0_NS1_11comp_targetILNS1_3genE9ELNS1_11target_archE1100ELNS1_3gpuE3ELNS1_3repE0EEENS1_38merge_mergepath_config_static_selectorELNS0_4arch9wavefront6targetE0EEEvSM_.num_agpr, 0
	.set _ZN7rocprim17ROCPRIM_400000_NS6detail17trampoline_kernelINS0_14default_configENS1_38merge_sort_block_merge_config_selectorIlNS0_10empty_typeEEEZZNS1_27merge_sort_block_merge_implIS3_PlPS5_mZN2at6native12_GLOBAL__N_124unique_dim_cuda_templateIdEESt5tupleIJNSA_6TensorESF_SF_EERKSF_lbbbEUlllE_EE10hipError_tT0_T1_T2_jT3_P12ihipStream_tbPNSt15iterator_traitsISL_E10value_typeEPNSR_ISM_E10value_typeEPSN_NS1_7vsmem_tEENKUlT_SL_SM_SN_E_clIS8_S8_S9_S9_EESK_S10_SL_SM_SN_EUlS10_E0_NS1_11comp_targetILNS1_3genE9ELNS1_11target_archE1100ELNS1_3gpuE3ELNS1_3repE0EEENS1_38merge_mergepath_config_static_selectorELNS0_4arch9wavefront6targetE0EEEvSM_.numbered_sgpr, 0
	.set _ZN7rocprim17ROCPRIM_400000_NS6detail17trampoline_kernelINS0_14default_configENS1_38merge_sort_block_merge_config_selectorIlNS0_10empty_typeEEEZZNS1_27merge_sort_block_merge_implIS3_PlPS5_mZN2at6native12_GLOBAL__N_124unique_dim_cuda_templateIdEESt5tupleIJNSA_6TensorESF_SF_EERKSF_lbbbEUlllE_EE10hipError_tT0_T1_T2_jT3_P12ihipStream_tbPNSt15iterator_traitsISL_E10value_typeEPNSR_ISM_E10value_typeEPSN_NS1_7vsmem_tEENKUlT_SL_SM_SN_E_clIS8_S8_S9_S9_EESK_S10_SL_SM_SN_EUlS10_E0_NS1_11comp_targetILNS1_3genE9ELNS1_11target_archE1100ELNS1_3gpuE3ELNS1_3repE0EEENS1_38merge_mergepath_config_static_selectorELNS0_4arch9wavefront6targetE0EEEvSM_.num_named_barrier, 0
	.set _ZN7rocprim17ROCPRIM_400000_NS6detail17trampoline_kernelINS0_14default_configENS1_38merge_sort_block_merge_config_selectorIlNS0_10empty_typeEEEZZNS1_27merge_sort_block_merge_implIS3_PlPS5_mZN2at6native12_GLOBAL__N_124unique_dim_cuda_templateIdEESt5tupleIJNSA_6TensorESF_SF_EERKSF_lbbbEUlllE_EE10hipError_tT0_T1_T2_jT3_P12ihipStream_tbPNSt15iterator_traitsISL_E10value_typeEPNSR_ISM_E10value_typeEPSN_NS1_7vsmem_tEENKUlT_SL_SM_SN_E_clIS8_S8_S9_S9_EESK_S10_SL_SM_SN_EUlS10_E0_NS1_11comp_targetILNS1_3genE9ELNS1_11target_archE1100ELNS1_3gpuE3ELNS1_3repE0EEENS1_38merge_mergepath_config_static_selectorELNS0_4arch9wavefront6targetE0EEEvSM_.private_seg_size, 0
	.set _ZN7rocprim17ROCPRIM_400000_NS6detail17trampoline_kernelINS0_14default_configENS1_38merge_sort_block_merge_config_selectorIlNS0_10empty_typeEEEZZNS1_27merge_sort_block_merge_implIS3_PlPS5_mZN2at6native12_GLOBAL__N_124unique_dim_cuda_templateIdEESt5tupleIJNSA_6TensorESF_SF_EERKSF_lbbbEUlllE_EE10hipError_tT0_T1_T2_jT3_P12ihipStream_tbPNSt15iterator_traitsISL_E10value_typeEPNSR_ISM_E10value_typeEPSN_NS1_7vsmem_tEENKUlT_SL_SM_SN_E_clIS8_S8_S9_S9_EESK_S10_SL_SM_SN_EUlS10_E0_NS1_11comp_targetILNS1_3genE9ELNS1_11target_archE1100ELNS1_3gpuE3ELNS1_3repE0EEENS1_38merge_mergepath_config_static_selectorELNS0_4arch9wavefront6targetE0EEEvSM_.uses_vcc, 0
	.set _ZN7rocprim17ROCPRIM_400000_NS6detail17trampoline_kernelINS0_14default_configENS1_38merge_sort_block_merge_config_selectorIlNS0_10empty_typeEEEZZNS1_27merge_sort_block_merge_implIS3_PlPS5_mZN2at6native12_GLOBAL__N_124unique_dim_cuda_templateIdEESt5tupleIJNSA_6TensorESF_SF_EERKSF_lbbbEUlllE_EE10hipError_tT0_T1_T2_jT3_P12ihipStream_tbPNSt15iterator_traitsISL_E10value_typeEPNSR_ISM_E10value_typeEPSN_NS1_7vsmem_tEENKUlT_SL_SM_SN_E_clIS8_S8_S9_S9_EESK_S10_SL_SM_SN_EUlS10_E0_NS1_11comp_targetILNS1_3genE9ELNS1_11target_archE1100ELNS1_3gpuE3ELNS1_3repE0EEENS1_38merge_mergepath_config_static_selectorELNS0_4arch9wavefront6targetE0EEEvSM_.uses_flat_scratch, 0
	.set _ZN7rocprim17ROCPRIM_400000_NS6detail17trampoline_kernelINS0_14default_configENS1_38merge_sort_block_merge_config_selectorIlNS0_10empty_typeEEEZZNS1_27merge_sort_block_merge_implIS3_PlPS5_mZN2at6native12_GLOBAL__N_124unique_dim_cuda_templateIdEESt5tupleIJNSA_6TensorESF_SF_EERKSF_lbbbEUlllE_EE10hipError_tT0_T1_T2_jT3_P12ihipStream_tbPNSt15iterator_traitsISL_E10value_typeEPNSR_ISM_E10value_typeEPSN_NS1_7vsmem_tEENKUlT_SL_SM_SN_E_clIS8_S8_S9_S9_EESK_S10_SL_SM_SN_EUlS10_E0_NS1_11comp_targetILNS1_3genE9ELNS1_11target_archE1100ELNS1_3gpuE3ELNS1_3repE0EEENS1_38merge_mergepath_config_static_selectorELNS0_4arch9wavefront6targetE0EEEvSM_.has_dyn_sized_stack, 0
	.set _ZN7rocprim17ROCPRIM_400000_NS6detail17trampoline_kernelINS0_14default_configENS1_38merge_sort_block_merge_config_selectorIlNS0_10empty_typeEEEZZNS1_27merge_sort_block_merge_implIS3_PlPS5_mZN2at6native12_GLOBAL__N_124unique_dim_cuda_templateIdEESt5tupleIJNSA_6TensorESF_SF_EERKSF_lbbbEUlllE_EE10hipError_tT0_T1_T2_jT3_P12ihipStream_tbPNSt15iterator_traitsISL_E10value_typeEPNSR_ISM_E10value_typeEPSN_NS1_7vsmem_tEENKUlT_SL_SM_SN_E_clIS8_S8_S9_S9_EESK_S10_SL_SM_SN_EUlS10_E0_NS1_11comp_targetILNS1_3genE9ELNS1_11target_archE1100ELNS1_3gpuE3ELNS1_3repE0EEENS1_38merge_mergepath_config_static_selectorELNS0_4arch9wavefront6targetE0EEEvSM_.has_recursion, 0
	.set _ZN7rocprim17ROCPRIM_400000_NS6detail17trampoline_kernelINS0_14default_configENS1_38merge_sort_block_merge_config_selectorIlNS0_10empty_typeEEEZZNS1_27merge_sort_block_merge_implIS3_PlPS5_mZN2at6native12_GLOBAL__N_124unique_dim_cuda_templateIdEESt5tupleIJNSA_6TensorESF_SF_EERKSF_lbbbEUlllE_EE10hipError_tT0_T1_T2_jT3_P12ihipStream_tbPNSt15iterator_traitsISL_E10value_typeEPNSR_ISM_E10value_typeEPSN_NS1_7vsmem_tEENKUlT_SL_SM_SN_E_clIS8_S8_S9_S9_EESK_S10_SL_SM_SN_EUlS10_E0_NS1_11comp_targetILNS1_3genE9ELNS1_11target_archE1100ELNS1_3gpuE3ELNS1_3repE0EEENS1_38merge_mergepath_config_static_selectorELNS0_4arch9wavefront6targetE0EEEvSM_.has_indirect_call, 0
	.section	.AMDGPU.csdata,"",@progbits
; Kernel info:
; codeLenInByte = 0
; TotalNumSgprs: 0
; NumVgprs: 0
; ScratchSize: 0
; MemoryBound: 0
; FloatMode: 240
; IeeeMode: 1
; LDSByteSize: 0 bytes/workgroup (compile time only)
; SGPRBlocks: 0
; VGPRBlocks: 0
; NumSGPRsForWavesPerEU: 1
; NumVGPRsForWavesPerEU: 1
; NamedBarCnt: 0
; Occupancy: 16
; WaveLimiterHint : 0
; COMPUTE_PGM_RSRC2:SCRATCH_EN: 0
; COMPUTE_PGM_RSRC2:USER_SGPR: 2
; COMPUTE_PGM_RSRC2:TRAP_HANDLER: 0
; COMPUTE_PGM_RSRC2:TGID_X_EN: 1
; COMPUTE_PGM_RSRC2:TGID_Y_EN: 0
; COMPUTE_PGM_RSRC2:TGID_Z_EN: 0
; COMPUTE_PGM_RSRC2:TIDIG_COMP_CNT: 0
	.section	.text._ZN7rocprim17ROCPRIM_400000_NS6detail17trampoline_kernelINS0_14default_configENS1_38merge_sort_block_merge_config_selectorIlNS0_10empty_typeEEEZZNS1_27merge_sort_block_merge_implIS3_PlPS5_mZN2at6native12_GLOBAL__N_124unique_dim_cuda_templateIdEESt5tupleIJNSA_6TensorESF_SF_EERKSF_lbbbEUlllE_EE10hipError_tT0_T1_T2_jT3_P12ihipStream_tbPNSt15iterator_traitsISL_E10value_typeEPNSR_ISM_E10value_typeEPSN_NS1_7vsmem_tEENKUlT_SL_SM_SN_E_clIS8_S8_S9_S9_EESK_S10_SL_SM_SN_EUlS10_E0_NS1_11comp_targetILNS1_3genE8ELNS1_11target_archE1030ELNS1_3gpuE2ELNS1_3repE0EEENS1_38merge_mergepath_config_static_selectorELNS0_4arch9wavefront6targetE0EEEvSM_,"axG",@progbits,_ZN7rocprim17ROCPRIM_400000_NS6detail17trampoline_kernelINS0_14default_configENS1_38merge_sort_block_merge_config_selectorIlNS0_10empty_typeEEEZZNS1_27merge_sort_block_merge_implIS3_PlPS5_mZN2at6native12_GLOBAL__N_124unique_dim_cuda_templateIdEESt5tupleIJNSA_6TensorESF_SF_EERKSF_lbbbEUlllE_EE10hipError_tT0_T1_T2_jT3_P12ihipStream_tbPNSt15iterator_traitsISL_E10value_typeEPNSR_ISM_E10value_typeEPSN_NS1_7vsmem_tEENKUlT_SL_SM_SN_E_clIS8_S8_S9_S9_EESK_S10_SL_SM_SN_EUlS10_E0_NS1_11comp_targetILNS1_3genE8ELNS1_11target_archE1030ELNS1_3gpuE2ELNS1_3repE0EEENS1_38merge_mergepath_config_static_selectorELNS0_4arch9wavefront6targetE0EEEvSM_,comdat
	.globl	_ZN7rocprim17ROCPRIM_400000_NS6detail17trampoline_kernelINS0_14default_configENS1_38merge_sort_block_merge_config_selectorIlNS0_10empty_typeEEEZZNS1_27merge_sort_block_merge_implIS3_PlPS5_mZN2at6native12_GLOBAL__N_124unique_dim_cuda_templateIdEESt5tupleIJNSA_6TensorESF_SF_EERKSF_lbbbEUlllE_EE10hipError_tT0_T1_T2_jT3_P12ihipStream_tbPNSt15iterator_traitsISL_E10value_typeEPNSR_ISM_E10value_typeEPSN_NS1_7vsmem_tEENKUlT_SL_SM_SN_E_clIS8_S8_S9_S9_EESK_S10_SL_SM_SN_EUlS10_E0_NS1_11comp_targetILNS1_3genE8ELNS1_11target_archE1030ELNS1_3gpuE2ELNS1_3repE0EEENS1_38merge_mergepath_config_static_selectorELNS0_4arch9wavefront6targetE0EEEvSM_ ; -- Begin function _ZN7rocprim17ROCPRIM_400000_NS6detail17trampoline_kernelINS0_14default_configENS1_38merge_sort_block_merge_config_selectorIlNS0_10empty_typeEEEZZNS1_27merge_sort_block_merge_implIS3_PlPS5_mZN2at6native12_GLOBAL__N_124unique_dim_cuda_templateIdEESt5tupleIJNSA_6TensorESF_SF_EERKSF_lbbbEUlllE_EE10hipError_tT0_T1_T2_jT3_P12ihipStream_tbPNSt15iterator_traitsISL_E10value_typeEPNSR_ISM_E10value_typeEPSN_NS1_7vsmem_tEENKUlT_SL_SM_SN_E_clIS8_S8_S9_S9_EESK_S10_SL_SM_SN_EUlS10_E0_NS1_11comp_targetILNS1_3genE8ELNS1_11target_archE1030ELNS1_3gpuE2ELNS1_3repE0EEENS1_38merge_mergepath_config_static_selectorELNS0_4arch9wavefront6targetE0EEEvSM_
	.p2align	8
	.type	_ZN7rocprim17ROCPRIM_400000_NS6detail17trampoline_kernelINS0_14default_configENS1_38merge_sort_block_merge_config_selectorIlNS0_10empty_typeEEEZZNS1_27merge_sort_block_merge_implIS3_PlPS5_mZN2at6native12_GLOBAL__N_124unique_dim_cuda_templateIdEESt5tupleIJNSA_6TensorESF_SF_EERKSF_lbbbEUlllE_EE10hipError_tT0_T1_T2_jT3_P12ihipStream_tbPNSt15iterator_traitsISL_E10value_typeEPNSR_ISM_E10value_typeEPSN_NS1_7vsmem_tEENKUlT_SL_SM_SN_E_clIS8_S8_S9_S9_EESK_S10_SL_SM_SN_EUlS10_E0_NS1_11comp_targetILNS1_3genE8ELNS1_11target_archE1030ELNS1_3gpuE2ELNS1_3repE0EEENS1_38merge_mergepath_config_static_selectorELNS0_4arch9wavefront6targetE0EEEvSM_,@function
_ZN7rocprim17ROCPRIM_400000_NS6detail17trampoline_kernelINS0_14default_configENS1_38merge_sort_block_merge_config_selectorIlNS0_10empty_typeEEEZZNS1_27merge_sort_block_merge_implIS3_PlPS5_mZN2at6native12_GLOBAL__N_124unique_dim_cuda_templateIdEESt5tupleIJNSA_6TensorESF_SF_EERKSF_lbbbEUlllE_EE10hipError_tT0_T1_T2_jT3_P12ihipStream_tbPNSt15iterator_traitsISL_E10value_typeEPNSR_ISM_E10value_typeEPSN_NS1_7vsmem_tEENKUlT_SL_SM_SN_E_clIS8_S8_S9_S9_EESK_S10_SL_SM_SN_EUlS10_E0_NS1_11comp_targetILNS1_3genE8ELNS1_11target_archE1030ELNS1_3gpuE2ELNS1_3repE0EEENS1_38merge_mergepath_config_static_selectorELNS0_4arch9wavefront6targetE0EEEvSM_: ; @_ZN7rocprim17ROCPRIM_400000_NS6detail17trampoline_kernelINS0_14default_configENS1_38merge_sort_block_merge_config_selectorIlNS0_10empty_typeEEEZZNS1_27merge_sort_block_merge_implIS3_PlPS5_mZN2at6native12_GLOBAL__N_124unique_dim_cuda_templateIdEESt5tupleIJNSA_6TensorESF_SF_EERKSF_lbbbEUlllE_EE10hipError_tT0_T1_T2_jT3_P12ihipStream_tbPNSt15iterator_traitsISL_E10value_typeEPNSR_ISM_E10value_typeEPSN_NS1_7vsmem_tEENKUlT_SL_SM_SN_E_clIS8_S8_S9_S9_EESK_S10_SL_SM_SN_EUlS10_E0_NS1_11comp_targetILNS1_3genE8ELNS1_11target_archE1030ELNS1_3gpuE2ELNS1_3repE0EEENS1_38merge_mergepath_config_static_selectorELNS0_4arch9wavefront6targetE0EEEvSM_
; %bb.0:
	.section	.rodata,"a",@progbits
	.p2align	6, 0x0
	.amdhsa_kernel _ZN7rocprim17ROCPRIM_400000_NS6detail17trampoline_kernelINS0_14default_configENS1_38merge_sort_block_merge_config_selectorIlNS0_10empty_typeEEEZZNS1_27merge_sort_block_merge_implIS3_PlPS5_mZN2at6native12_GLOBAL__N_124unique_dim_cuda_templateIdEESt5tupleIJNSA_6TensorESF_SF_EERKSF_lbbbEUlllE_EE10hipError_tT0_T1_T2_jT3_P12ihipStream_tbPNSt15iterator_traitsISL_E10value_typeEPNSR_ISM_E10value_typeEPSN_NS1_7vsmem_tEENKUlT_SL_SM_SN_E_clIS8_S8_S9_S9_EESK_S10_SL_SM_SN_EUlS10_E0_NS1_11comp_targetILNS1_3genE8ELNS1_11target_archE1030ELNS1_3gpuE2ELNS1_3repE0EEENS1_38merge_mergepath_config_static_selectorELNS0_4arch9wavefront6targetE0EEEvSM_
		.amdhsa_group_segment_fixed_size 0
		.amdhsa_private_segment_fixed_size 0
		.amdhsa_kernarg_size 88
		.amdhsa_user_sgpr_count 2
		.amdhsa_user_sgpr_dispatch_ptr 0
		.amdhsa_user_sgpr_queue_ptr 0
		.amdhsa_user_sgpr_kernarg_segment_ptr 1
		.amdhsa_user_sgpr_dispatch_id 0
		.amdhsa_user_sgpr_kernarg_preload_length 0
		.amdhsa_user_sgpr_kernarg_preload_offset 0
		.amdhsa_user_sgpr_private_segment_size 0
		.amdhsa_wavefront_size32 1
		.amdhsa_uses_dynamic_stack 0
		.amdhsa_enable_private_segment 0
		.amdhsa_system_sgpr_workgroup_id_x 1
		.amdhsa_system_sgpr_workgroup_id_y 0
		.amdhsa_system_sgpr_workgroup_id_z 0
		.amdhsa_system_sgpr_workgroup_info 0
		.amdhsa_system_vgpr_workitem_id 0
		.amdhsa_next_free_vgpr 1
		.amdhsa_next_free_sgpr 1
		.amdhsa_named_barrier_count 0
		.amdhsa_reserve_vcc 0
		.amdhsa_float_round_mode_32 0
		.amdhsa_float_round_mode_16_64 0
		.amdhsa_float_denorm_mode_32 3
		.amdhsa_float_denorm_mode_16_64 3
		.amdhsa_fp16_overflow 0
		.amdhsa_memory_ordered 1
		.amdhsa_forward_progress 1
		.amdhsa_inst_pref_size 0
		.amdhsa_round_robin_scheduling 0
		.amdhsa_exception_fp_ieee_invalid_op 0
		.amdhsa_exception_fp_denorm_src 0
		.amdhsa_exception_fp_ieee_div_zero 0
		.amdhsa_exception_fp_ieee_overflow 0
		.amdhsa_exception_fp_ieee_underflow 0
		.amdhsa_exception_fp_ieee_inexact 0
		.amdhsa_exception_int_div_zero 0
	.end_amdhsa_kernel
	.section	.text._ZN7rocprim17ROCPRIM_400000_NS6detail17trampoline_kernelINS0_14default_configENS1_38merge_sort_block_merge_config_selectorIlNS0_10empty_typeEEEZZNS1_27merge_sort_block_merge_implIS3_PlPS5_mZN2at6native12_GLOBAL__N_124unique_dim_cuda_templateIdEESt5tupleIJNSA_6TensorESF_SF_EERKSF_lbbbEUlllE_EE10hipError_tT0_T1_T2_jT3_P12ihipStream_tbPNSt15iterator_traitsISL_E10value_typeEPNSR_ISM_E10value_typeEPSN_NS1_7vsmem_tEENKUlT_SL_SM_SN_E_clIS8_S8_S9_S9_EESK_S10_SL_SM_SN_EUlS10_E0_NS1_11comp_targetILNS1_3genE8ELNS1_11target_archE1030ELNS1_3gpuE2ELNS1_3repE0EEENS1_38merge_mergepath_config_static_selectorELNS0_4arch9wavefront6targetE0EEEvSM_,"axG",@progbits,_ZN7rocprim17ROCPRIM_400000_NS6detail17trampoline_kernelINS0_14default_configENS1_38merge_sort_block_merge_config_selectorIlNS0_10empty_typeEEEZZNS1_27merge_sort_block_merge_implIS3_PlPS5_mZN2at6native12_GLOBAL__N_124unique_dim_cuda_templateIdEESt5tupleIJNSA_6TensorESF_SF_EERKSF_lbbbEUlllE_EE10hipError_tT0_T1_T2_jT3_P12ihipStream_tbPNSt15iterator_traitsISL_E10value_typeEPNSR_ISM_E10value_typeEPSN_NS1_7vsmem_tEENKUlT_SL_SM_SN_E_clIS8_S8_S9_S9_EESK_S10_SL_SM_SN_EUlS10_E0_NS1_11comp_targetILNS1_3genE8ELNS1_11target_archE1030ELNS1_3gpuE2ELNS1_3repE0EEENS1_38merge_mergepath_config_static_selectorELNS0_4arch9wavefront6targetE0EEEvSM_,comdat
.Lfunc_end773:
	.size	_ZN7rocprim17ROCPRIM_400000_NS6detail17trampoline_kernelINS0_14default_configENS1_38merge_sort_block_merge_config_selectorIlNS0_10empty_typeEEEZZNS1_27merge_sort_block_merge_implIS3_PlPS5_mZN2at6native12_GLOBAL__N_124unique_dim_cuda_templateIdEESt5tupleIJNSA_6TensorESF_SF_EERKSF_lbbbEUlllE_EE10hipError_tT0_T1_T2_jT3_P12ihipStream_tbPNSt15iterator_traitsISL_E10value_typeEPNSR_ISM_E10value_typeEPSN_NS1_7vsmem_tEENKUlT_SL_SM_SN_E_clIS8_S8_S9_S9_EESK_S10_SL_SM_SN_EUlS10_E0_NS1_11comp_targetILNS1_3genE8ELNS1_11target_archE1030ELNS1_3gpuE2ELNS1_3repE0EEENS1_38merge_mergepath_config_static_selectorELNS0_4arch9wavefront6targetE0EEEvSM_, .Lfunc_end773-_ZN7rocprim17ROCPRIM_400000_NS6detail17trampoline_kernelINS0_14default_configENS1_38merge_sort_block_merge_config_selectorIlNS0_10empty_typeEEEZZNS1_27merge_sort_block_merge_implIS3_PlPS5_mZN2at6native12_GLOBAL__N_124unique_dim_cuda_templateIdEESt5tupleIJNSA_6TensorESF_SF_EERKSF_lbbbEUlllE_EE10hipError_tT0_T1_T2_jT3_P12ihipStream_tbPNSt15iterator_traitsISL_E10value_typeEPNSR_ISM_E10value_typeEPSN_NS1_7vsmem_tEENKUlT_SL_SM_SN_E_clIS8_S8_S9_S9_EESK_S10_SL_SM_SN_EUlS10_E0_NS1_11comp_targetILNS1_3genE8ELNS1_11target_archE1030ELNS1_3gpuE2ELNS1_3repE0EEENS1_38merge_mergepath_config_static_selectorELNS0_4arch9wavefront6targetE0EEEvSM_
                                        ; -- End function
	.set _ZN7rocprim17ROCPRIM_400000_NS6detail17trampoline_kernelINS0_14default_configENS1_38merge_sort_block_merge_config_selectorIlNS0_10empty_typeEEEZZNS1_27merge_sort_block_merge_implIS3_PlPS5_mZN2at6native12_GLOBAL__N_124unique_dim_cuda_templateIdEESt5tupleIJNSA_6TensorESF_SF_EERKSF_lbbbEUlllE_EE10hipError_tT0_T1_T2_jT3_P12ihipStream_tbPNSt15iterator_traitsISL_E10value_typeEPNSR_ISM_E10value_typeEPSN_NS1_7vsmem_tEENKUlT_SL_SM_SN_E_clIS8_S8_S9_S9_EESK_S10_SL_SM_SN_EUlS10_E0_NS1_11comp_targetILNS1_3genE8ELNS1_11target_archE1030ELNS1_3gpuE2ELNS1_3repE0EEENS1_38merge_mergepath_config_static_selectorELNS0_4arch9wavefront6targetE0EEEvSM_.num_vgpr, 0
	.set _ZN7rocprim17ROCPRIM_400000_NS6detail17trampoline_kernelINS0_14default_configENS1_38merge_sort_block_merge_config_selectorIlNS0_10empty_typeEEEZZNS1_27merge_sort_block_merge_implIS3_PlPS5_mZN2at6native12_GLOBAL__N_124unique_dim_cuda_templateIdEESt5tupleIJNSA_6TensorESF_SF_EERKSF_lbbbEUlllE_EE10hipError_tT0_T1_T2_jT3_P12ihipStream_tbPNSt15iterator_traitsISL_E10value_typeEPNSR_ISM_E10value_typeEPSN_NS1_7vsmem_tEENKUlT_SL_SM_SN_E_clIS8_S8_S9_S9_EESK_S10_SL_SM_SN_EUlS10_E0_NS1_11comp_targetILNS1_3genE8ELNS1_11target_archE1030ELNS1_3gpuE2ELNS1_3repE0EEENS1_38merge_mergepath_config_static_selectorELNS0_4arch9wavefront6targetE0EEEvSM_.num_agpr, 0
	.set _ZN7rocprim17ROCPRIM_400000_NS6detail17trampoline_kernelINS0_14default_configENS1_38merge_sort_block_merge_config_selectorIlNS0_10empty_typeEEEZZNS1_27merge_sort_block_merge_implIS3_PlPS5_mZN2at6native12_GLOBAL__N_124unique_dim_cuda_templateIdEESt5tupleIJNSA_6TensorESF_SF_EERKSF_lbbbEUlllE_EE10hipError_tT0_T1_T2_jT3_P12ihipStream_tbPNSt15iterator_traitsISL_E10value_typeEPNSR_ISM_E10value_typeEPSN_NS1_7vsmem_tEENKUlT_SL_SM_SN_E_clIS8_S8_S9_S9_EESK_S10_SL_SM_SN_EUlS10_E0_NS1_11comp_targetILNS1_3genE8ELNS1_11target_archE1030ELNS1_3gpuE2ELNS1_3repE0EEENS1_38merge_mergepath_config_static_selectorELNS0_4arch9wavefront6targetE0EEEvSM_.numbered_sgpr, 0
	.set _ZN7rocprim17ROCPRIM_400000_NS6detail17trampoline_kernelINS0_14default_configENS1_38merge_sort_block_merge_config_selectorIlNS0_10empty_typeEEEZZNS1_27merge_sort_block_merge_implIS3_PlPS5_mZN2at6native12_GLOBAL__N_124unique_dim_cuda_templateIdEESt5tupleIJNSA_6TensorESF_SF_EERKSF_lbbbEUlllE_EE10hipError_tT0_T1_T2_jT3_P12ihipStream_tbPNSt15iterator_traitsISL_E10value_typeEPNSR_ISM_E10value_typeEPSN_NS1_7vsmem_tEENKUlT_SL_SM_SN_E_clIS8_S8_S9_S9_EESK_S10_SL_SM_SN_EUlS10_E0_NS1_11comp_targetILNS1_3genE8ELNS1_11target_archE1030ELNS1_3gpuE2ELNS1_3repE0EEENS1_38merge_mergepath_config_static_selectorELNS0_4arch9wavefront6targetE0EEEvSM_.num_named_barrier, 0
	.set _ZN7rocprim17ROCPRIM_400000_NS6detail17trampoline_kernelINS0_14default_configENS1_38merge_sort_block_merge_config_selectorIlNS0_10empty_typeEEEZZNS1_27merge_sort_block_merge_implIS3_PlPS5_mZN2at6native12_GLOBAL__N_124unique_dim_cuda_templateIdEESt5tupleIJNSA_6TensorESF_SF_EERKSF_lbbbEUlllE_EE10hipError_tT0_T1_T2_jT3_P12ihipStream_tbPNSt15iterator_traitsISL_E10value_typeEPNSR_ISM_E10value_typeEPSN_NS1_7vsmem_tEENKUlT_SL_SM_SN_E_clIS8_S8_S9_S9_EESK_S10_SL_SM_SN_EUlS10_E0_NS1_11comp_targetILNS1_3genE8ELNS1_11target_archE1030ELNS1_3gpuE2ELNS1_3repE0EEENS1_38merge_mergepath_config_static_selectorELNS0_4arch9wavefront6targetE0EEEvSM_.private_seg_size, 0
	.set _ZN7rocprim17ROCPRIM_400000_NS6detail17trampoline_kernelINS0_14default_configENS1_38merge_sort_block_merge_config_selectorIlNS0_10empty_typeEEEZZNS1_27merge_sort_block_merge_implIS3_PlPS5_mZN2at6native12_GLOBAL__N_124unique_dim_cuda_templateIdEESt5tupleIJNSA_6TensorESF_SF_EERKSF_lbbbEUlllE_EE10hipError_tT0_T1_T2_jT3_P12ihipStream_tbPNSt15iterator_traitsISL_E10value_typeEPNSR_ISM_E10value_typeEPSN_NS1_7vsmem_tEENKUlT_SL_SM_SN_E_clIS8_S8_S9_S9_EESK_S10_SL_SM_SN_EUlS10_E0_NS1_11comp_targetILNS1_3genE8ELNS1_11target_archE1030ELNS1_3gpuE2ELNS1_3repE0EEENS1_38merge_mergepath_config_static_selectorELNS0_4arch9wavefront6targetE0EEEvSM_.uses_vcc, 0
	.set _ZN7rocprim17ROCPRIM_400000_NS6detail17trampoline_kernelINS0_14default_configENS1_38merge_sort_block_merge_config_selectorIlNS0_10empty_typeEEEZZNS1_27merge_sort_block_merge_implIS3_PlPS5_mZN2at6native12_GLOBAL__N_124unique_dim_cuda_templateIdEESt5tupleIJNSA_6TensorESF_SF_EERKSF_lbbbEUlllE_EE10hipError_tT0_T1_T2_jT3_P12ihipStream_tbPNSt15iterator_traitsISL_E10value_typeEPNSR_ISM_E10value_typeEPSN_NS1_7vsmem_tEENKUlT_SL_SM_SN_E_clIS8_S8_S9_S9_EESK_S10_SL_SM_SN_EUlS10_E0_NS1_11comp_targetILNS1_3genE8ELNS1_11target_archE1030ELNS1_3gpuE2ELNS1_3repE0EEENS1_38merge_mergepath_config_static_selectorELNS0_4arch9wavefront6targetE0EEEvSM_.uses_flat_scratch, 0
	.set _ZN7rocprim17ROCPRIM_400000_NS6detail17trampoline_kernelINS0_14default_configENS1_38merge_sort_block_merge_config_selectorIlNS0_10empty_typeEEEZZNS1_27merge_sort_block_merge_implIS3_PlPS5_mZN2at6native12_GLOBAL__N_124unique_dim_cuda_templateIdEESt5tupleIJNSA_6TensorESF_SF_EERKSF_lbbbEUlllE_EE10hipError_tT0_T1_T2_jT3_P12ihipStream_tbPNSt15iterator_traitsISL_E10value_typeEPNSR_ISM_E10value_typeEPSN_NS1_7vsmem_tEENKUlT_SL_SM_SN_E_clIS8_S8_S9_S9_EESK_S10_SL_SM_SN_EUlS10_E0_NS1_11comp_targetILNS1_3genE8ELNS1_11target_archE1030ELNS1_3gpuE2ELNS1_3repE0EEENS1_38merge_mergepath_config_static_selectorELNS0_4arch9wavefront6targetE0EEEvSM_.has_dyn_sized_stack, 0
	.set _ZN7rocprim17ROCPRIM_400000_NS6detail17trampoline_kernelINS0_14default_configENS1_38merge_sort_block_merge_config_selectorIlNS0_10empty_typeEEEZZNS1_27merge_sort_block_merge_implIS3_PlPS5_mZN2at6native12_GLOBAL__N_124unique_dim_cuda_templateIdEESt5tupleIJNSA_6TensorESF_SF_EERKSF_lbbbEUlllE_EE10hipError_tT0_T1_T2_jT3_P12ihipStream_tbPNSt15iterator_traitsISL_E10value_typeEPNSR_ISM_E10value_typeEPSN_NS1_7vsmem_tEENKUlT_SL_SM_SN_E_clIS8_S8_S9_S9_EESK_S10_SL_SM_SN_EUlS10_E0_NS1_11comp_targetILNS1_3genE8ELNS1_11target_archE1030ELNS1_3gpuE2ELNS1_3repE0EEENS1_38merge_mergepath_config_static_selectorELNS0_4arch9wavefront6targetE0EEEvSM_.has_recursion, 0
	.set _ZN7rocprim17ROCPRIM_400000_NS6detail17trampoline_kernelINS0_14default_configENS1_38merge_sort_block_merge_config_selectorIlNS0_10empty_typeEEEZZNS1_27merge_sort_block_merge_implIS3_PlPS5_mZN2at6native12_GLOBAL__N_124unique_dim_cuda_templateIdEESt5tupleIJNSA_6TensorESF_SF_EERKSF_lbbbEUlllE_EE10hipError_tT0_T1_T2_jT3_P12ihipStream_tbPNSt15iterator_traitsISL_E10value_typeEPNSR_ISM_E10value_typeEPSN_NS1_7vsmem_tEENKUlT_SL_SM_SN_E_clIS8_S8_S9_S9_EESK_S10_SL_SM_SN_EUlS10_E0_NS1_11comp_targetILNS1_3genE8ELNS1_11target_archE1030ELNS1_3gpuE2ELNS1_3repE0EEENS1_38merge_mergepath_config_static_selectorELNS0_4arch9wavefront6targetE0EEEvSM_.has_indirect_call, 0
	.section	.AMDGPU.csdata,"",@progbits
; Kernel info:
; codeLenInByte = 0
; TotalNumSgprs: 0
; NumVgprs: 0
; ScratchSize: 0
; MemoryBound: 0
; FloatMode: 240
; IeeeMode: 1
; LDSByteSize: 0 bytes/workgroup (compile time only)
; SGPRBlocks: 0
; VGPRBlocks: 0
; NumSGPRsForWavesPerEU: 1
; NumVGPRsForWavesPerEU: 1
; NamedBarCnt: 0
; Occupancy: 16
; WaveLimiterHint : 0
; COMPUTE_PGM_RSRC2:SCRATCH_EN: 0
; COMPUTE_PGM_RSRC2:USER_SGPR: 2
; COMPUTE_PGM_RSRC2:TRAP_HANDLER: 0
; COMPUTE_PGM_RSRC2:TGID_X_EN: 1
; COMPUTE_PGM_RSRC2:TGID_Y_EN: 0
; COMPUTE_PGM_RSRC2:TGID_Z_EN: 0
; COMPUTE_PGM_RSRC2:TIDIG_COMP_CNT: 0
	.section	.text._ZN7rocprim17ROCPRIM_400000_NS6detail17trampoline_kernelINS0_14default_configENS1_38merge_sort_block_merge_config_selectorIlNS0_10empty_typeEEEZZNS1_27merge_sort_block_merge_implIS3_PlPS5_mZN2at6native12_GLOBAL__N_124unique_dim_cuda_templateIdEESt5tupleIJNSA_6TensorESF_SF_EERKSF_lbbbEUlllE_EE10hipError_tT0_T1_T2_jT3_P12ihipStream_tbPNSt15iterator_traitsISL_E10value_typeEPNSR_ISM_E10value_typeEPSN_NS1_7vsmem_tEENKUlT_SL_SM_SN_E_clIS8_S8_S9_S9_EESK_S10_SL_SM_SN_EUlS10_E1_NS1_11comp_targetILNS1_3genE0ELNS1_11target_archE4294967295ELNS1_3gpuE0ELNS1_3repE0EEENS1_36merge_oddeven_config_static_selectorELNS0_4arch9wavefront6targetE0EEEvSM_,"axG",@progbits,_ZN7rocprim17ROCPRIM_400000_NS6detail17trampoline_kernelINS0_14default_configENS1_38merge_sort_block_merge_config_selectorIlNS0_10empty_typeEEEZZNS1_27merge_sort_block_merge_implIS3_PlPS5_mZN2at6native12_GLOBAL__N_124unique_dim_cuda_templateIdEESt5tupleIJNSA_6TensorESF_SF_EERKSF_lbbbEUlllE_EE10hipError_tT0_T1_T2_jT3_P12ihipStream_tbPNSt15iterator_traitsISL_E10value_typeEPNSR_ISM_E10value_typeEPSN_NS1_7vsmem_tEENKUlT_SL_SM_SN_E_clIS8_S8_S9_S9_EESK_S10_SL_SM_SN_EUlS10_E1_NS1_11comp_targetILNS1_3genE0ELNS1_11target_archE4294967295ELNS1_3gpuE0ELNS1_3repE0EEENS1_36merge_oddeven_config_static_selectorELNS0_4arch9wavefront6targetE0EEEvSM_,comdat
	.globl	_ZN7rocprim17ROCPRIM_400000_NS6detail17trampoline_kernelINS0_14default_configENS1_38merge_sort_block_merge_config_selectorIlNS0_10empty_typeEEEZZNS1_27merge_sort_block_merge_implIS3_PlPS5_mZN2at6native12_GLOBAL__N_124unique_dim_cuda_templateIdEESt5tupleIJNSA_6TensorESF_SF_EERKSF_lbbbEUlllE_EE10hipError_tT0_T1_T2_jT3_P12ihipStream_tbPNSt15iterator_traitsISL_E10value_typeEPNSR_ISM_E10value_typeEPSN_NS1_7vsmem_tEENKUlT_SL_SM_SN_E_clIS8_S8_S9_S9_EESK_S10_SL_SM_SN_EUlS10_E1_NS1_11comp_targetILNS1_3genE0ELNS1_11target_archE4294967295ELNS1_3gpuE0ELNS1_3repE0EEENS1_36merge_oddeven_config_static_selectorELNS0_4arch9wavefront6targetE0EEEvSM_ ; -- Begin function _ZN7rocprim17ROCPRIM_400000_NS6detail17trampoline_kernelINS0_14default_configENS1_38merge_sort_block_merge_config_selectorIlNS0_10empty_typeEEEZZNS1_27merge_sort_block_merge_implIS3_PlPS5_mZN2at6native12_GLOBAL__N_124unique_dim_cuda_templateIdEESt5tupleIJNSA_6TensorESF_SF_EERKSF_lbbbEUlllE_EE10hipError_tT0_T1_T2_jT3_P12ihipStream_tbPNSt15iterator_traitsISL_E10value_typeEPNSR_ISM_E10value_typeEPSN_NS1_7vsmem_tEENKUlT_SL_SM_SN_E_clIS8_S8_S9_S9_EESK_S10_SL_SM_SN_EUlS10_E1_NS1_11comp_targetILNS1_3genE0ELNS1_11target_archE4294967295ELNS1_3gpuE0ELNS1_3repE0EEENS1_36merge_oddeven_config_static_selectorELNS0_4arch9wavefront6targetE0EEEvSM_
	.p2align	8
	.type	_ZN7rocprim17ROCPRIM_400000_NS6detail17trampoline_kernelINS0_14default_configENS1_38merge_sort_block_merge_config_selectorIlNS0_10empty_typeEEEZZNS1_27merge_sort_block_merge_implIS3_PlPS5_mZN2at6native12_GLOBAL__N_124unique_dim_cuda_templateIdEESt5tupleIJNSA_6TensorESF_SF_EERKSF_lbbbEUlllE_EE10hipError_tT0_T1_T2_jT3_P12ihipStream_tbPNSt15iterator_traitsISL_E10value_typeEPNSR_ISM_E10value_typeEPSN_NS1_7vsmem_tEENKUlT_SL_SM_SN_E_clIS8_S8_S9_S9_EESK_S10_SL_SM_SN_EUlS10_E1_NS1_11comp_targetILNS1_3genE0ELNS1_11target_archE4294967295ELNS1_3gpuE0ELNS1_3repE0EEENS1_36merge_oddeven_config_static_selectorELNS0_4arch9wavefront6targetE0EEEvSM_,@function
_ZN7rocprim17ROCPRIM_400000_NS6detail17trampoline_kernelINS0_14default_configENS1_38merge_sort_block_merge_config_selectorIlNS0_10empty_typeEEEZZNS1_27merge_sort_block_merge_implIS3_PlPS5_mZN2at6native12_GLOBAL__N_124unique_dim_cuda_templateIdEESt5tupleIJNSA_6TensorESF_SF_EERKSF_lbbbEUlllE_EE10hipError_tT0_T1_T2_jT3_P12ihipStream_tbPNSt15iterator_traitsISL_E10value_typeEPNSR_ISM_E10value_typeEPSN_NS1_7vsmem_tEENKUlT_SL_SM_SN_E_clIS8_S8_S9_S9_EESK_S10_SL_SM_SN_EUlS10_E1_NS1_11comp_targetILNS1_3genE0ELNS1_11target_archE4294967295ELNS1_3gpuE0ELNS1_3repE0EEENS1_36merge_oddeven_config_static_selectorELNS0_4arch9wavefront6targetE0EEEvSM_: ; @_ZN7rocprim17ROCPRIM_400000_NS6detail17trampoline_kernelINS0_14default_configENS1_38merge_sort_block_merge_config_selectorIlNS0_10empty_typeEEEZZNS1_27merge_sort_block_merge_implIS3_PlPS5_mZN2at6native12_GLOBAL__N_124unique_dim_cuda_templateIdEESt5tupleIJNSA_6TensorESF_SF_EERKSF_lbbbEUlllE_EE10hipError_tT0_T1_T2_jT3_P12ihipStream_tbPNSt15iterator_traitsISL_E10value_typeEPNSR_ISM_E10value_typeEPSN_NS1_7vsmem_tEENKUlT_SL_SM_SN_E_clIS8_S8_S9_S9_EESK_S10_SL_SM_SN_EUlS10_E1_NS1_11comp_targetILNS1_3genE0ELNS1_11target_archE4294967295ELNS1_3gpuE0ELNS1_3repE0EEENS1_36merge_oddeven_config_static_selectorELNS0_4arch9wavefront6targetE0EEEvSM_
; %bb.0:
	s_load_b32 s3, s[0:1], 0x20
	s_bfe_u32 s2, ttmp6, 0x4000c
	s_and_b32 s4, ttmp6, 15
	s_add_co_i32 s2, s2, 1
	s_getreg_b32 s5, hwreg(HW_REG_IB_STS2, 6, 4)
	s_mul_i32 s2, ttmp9, s2
	s_mov_b32 s13, 0
	s_add_co_i32 s4, s4, s2
	s_cmp_eq_u32 s5, 0
	s_cselect_b32 s9, ttmp9, s4
	s_wait_kmcnt 0x0
	s_lshr_b32 s2, s3, 8
	s_delay_alu instid0(SALU_CYCLE_1) | instskip(SKIP_4) | instid1(SALU_CYCLE_1)
	s_cmp_lg_u32 s9, s2
	s_cselect_b32 s8, -1, 0
	s_cmp_eq_u32 s9, s2
	s_cselect_b32 s14, -1, 0
	s_lshl_b32 s12, s9, 8
	s_sub_co_i32 s2, s3, s12
	s_delay_alu instid0(SALU_CYCLE_1) | instskip(SKIP_1) | instid1(SALU_CYCLE_1)
	v_cmp_gt_u32_e64 s2, s2, v0
	s_or_b32 s4, s8, s2
	s_and_saveexec_b32 s5, s4
	s_cbranch_execz .LBB774_54
; %bb.1:
	s_clause 0x1
	s_load_b128 s[4:7], s[0:1], 0x0
	s_load_b32 s15, s[0:1], 0x28
	s_lshl_b64 s[10:11], s[12:13], 3
	s_wait_kmcnt 0x0
	s_add_nc_u64 s[10:11], s[4:5], s[10:11]
	global_load_b64 v[2:3], v0, s[10:11] scale_offset
	s_wait_xcnt 0x0
	s_lshr_b32 s10, s15, 8
	s_delay_alu instid0(SALU_CYCLE_1) | instskip(NEXT) | instid1(SALU_CYCLE_1)
	s_sub_co_i32 s11, 0, s10
	s_and_b32 s9, s9, s11
	s_delay_alu instid0(SALU_CYCLE_1) | instskip(NEXT) | instid1(SALU_CYCLE_1)
	s_and_b32 s10, s9, s10
	s_cmp_lg_u32 s10, 0
	s_cselect_b32 s16, -1, 0
	s_lshl_b32 s18, s9, 8
	s_sub_co_i32 s9, 0, s15
	s_cmp_eq_u32 s10, 0
	s_cselect_b32 s17, s15, s9
	s_delay_alu instid0(SALU_CYCLE_1) | instskip(NEXT) | instid1(SALU_CYCLE_1)
	s_add_co_i32 s17, s17, s18
	s_cmp_lt_u32 s17, s3
	s_cbranch_scc1 .LBB774_3
; %bb.2:
	v_add_nc_u32_e32 v1, s12, v0
	s_delay_alu instid0(VALU_DEP_1) | instskip(SKIP_1) | instid1(SALU_CYCLE_1)
	v_cmp_gt_u32_e32 vcc_lo, s3, v1
	s_or_b32 s9, vcc_lo, s8
	s_and_b32 s13, s9, exec_lo
	s_cbranch_execz .LBB774_4
	s_branch .LBB774_52
.LBB774_3:
                                        ; implicit-def: $vgpr1
.LBB774_4:
	s_load_b128 s[8:11], s[0:1], 0x30
	v_add_nc_u32_e32 v0, s12, v0
	s_min_u32 s12, s17, s3
	s_and_b32 vcc_lo, exec_lo, s14
	s_wait_xcnt 0x0
	s_add_co_i32 s0, s18, s12
	s_delay_alu instid0(SALU_CYCLE_1) | instskip(SKIP_3) | instid1(VALU_DEP_1)
	v_subrev_nc_u32_e32 v0, s0, v0
	s_add_co_i32 s0, s12, s15
	s_min_u32 s15, s18, s12
	s_min_u32 s18, s0, s3
	v_add_nc_u32_e32 v10, s15, v0
	s_wait_kmcnt 0x0
	v_cmp_gt_i64_e64 s1, s[8:9], 0
	s_cbranch_vccz .LBB774_26
; %bb.5:
                                        ; implicit-def: $vgpr1
	s_and_saveexec_b32 s19, s2
	s_cbranch_execz .LBB774_29
; %bb.6:
	v_mov_b32_e32 v11, s12
	s_cmp_ge_u32 s17, s18
	s_cbranch_scc1 .LBB774_28
; %bb.7:
	s_wait_loadcnt 0x0
	v_mul_u64_e32 v[0:1], s[8:9], v[2:3]
	v_dual_mov_b32 v12, s18 :: v_dual_mov_b32 v11, s12
	s_lshl_b64 s[2:3], s[8:9], 3
	s_mov_b32 s20, 0
	s_delay_alu instid0(VALU_DEP_2)
	v_lshl_add_u64 v[0:1], v[0:1], 3, s[10:11]
	s_branch .LBB774_10
.LBB774_8:                              ;   in Loop: Header=BB774_10 Depth=1
	s_or_b32 exec_lo, exec_lo, s22
.LBB774_9:                              ;   in Loop: Header=BB774_10 Depth=1
	s_wait_loadcnt 0x0
	v_dual_add_nc_u32 v4, 1, v13 :: v_dual_cndmask_b32 v12, v13, v12, s21
	s_delay_alu instid0(VALU_DEP_1) | instskip(NEXT) | instid1(VALU_DEP_1)
	v_cndmask_b32_e64 v11, v11, v4, s21
	v_cmp_ge_u32_e32 vcc_lo, v11, v12
	s_or_b32 s20, vcc_lo, s20
	s_delay_alu instid0(SALU_CYCLE_1)
	s_and_not1_b32 exec_lo, exec_lo, s20
	s_cbranch_execz .LBB774_27
.LBB774_10:                             ; =>This Loop Header: Depth=1
                                        ;     Child Loop BB774_14 Depth 2
                                        ;     Child Loop BB774_23 Depth 2
	v_add_nc_u32_e32 v4, v11, v12
	s_and_not1_b32 vcc_lo, exec_lo, s16
	s_mov_b32 s0, -1
                                        ; implicit-def: $sgpr21
	s_delay_alu instid0(VALU_DEP_1)
	v_lshrrev_b32_e32 v13, 1, v4
	global_load_b64 v[4:5], v13, s[4:5] scale_offset
	s_cbranch_vccnz .LBB774_19
; %bb.11:                               ;   in Loop: Header=BB774_10 Depth=1
	s_and_not1_b32 vcc_lo, exec_lo, s1
	s_cbranch_vccnz .LBB774_17
; %bb.12:                               ;   in Loop: Header=BB774_10 Depth=1
	s_wait_loadcnt 0x0
	v_mad_nc_u64_u32 v[6:7], s2, v4, s[10:11]
	v_mov_b64_e32 v[8:9], v[0:1]
	s_mov_b32 s21, 0
	s_mov_b64 s[14:15], s[8:9]
                                        ; implicit-def: $sgpr22
                                        ; implicit-def: $sgpr23
                                        ; implicit-def: $sgpr24
                                        ; implicit-def: $sgpr25
	s_delay_alu instid0(VALU_DEP_2) | instskip(NEXT) | instid1(VALU_DEP_1)
	v_mad_u32 v7, s3, v4, v7
	v_mad_u32 v7, s2, v5, v7
	s_branch .LBB774_14
.LBB774_13:                             ;   in Loop: Header=BB774_14 Depth=2
	s_or_b32 exec_lo, exec_lo, s0
	s_delay_alu instid0(SALU_CYCLE_1) | instskip(NEXT) | instid1(SALU_CYCLE_1)
	s_and_b32 s0, exec_lo, s23
	s_or_b32 s21, s0, s21
	s_and_not1_b32 s0, s25, exec_lo
	s_and_b32 s25, s26, exec_lo
	s_and_not1_b32 s22, s22, exec_lo
	s_and_b32 s26, s24, exec_lo
	s_or_b32 s25, s0, s25
	s_or_b32 s22, s22, s26
	s_and_not1_b32 exec_lo, exec_lo, s21
	s_cbranch_execz .LBB774_16
.LBB774_14:                             ;   Parent Loop BB774_10 Depth=1
                                        ; =>  This Inner Loop Header: Depth=2
	global_load_b64 v[14:15], v[8:9], off
	global_load_b64 v[16:17], v[6:7], off
	s_and_not1_b32 s24, s24, exec_lo
	s_or_b32 s23, s23, exec_lo
	s_wait_loadcnt 0x0
	v_cmp_ngt_f64_e32 vcc_lo, v[14:15], v[16:17]
	v_cmp_lt_f64_e64 s0, v[14:15], v[16:17]
	s_and_b32 s26, vcc_lo, s25
	s_xor_b32 s28, s0, vcc_lo
	s_or_b32 s26, s0, s26
	s_delay_alu instid0(SALU_CYCLE_1) | instskip(NEXT) | instid1(SALU_CYCLE_1)
	s_and_b32 s27, s26, exec_lo
	s_or_b32 s24, s24, s27
	s_and_saveexec_b32 s0, s28
	s_cbranch_execz .LBB774_13
; %bb.15:                               ;   in Loop: Header=BB774_14 Depth=2
	s_add_nc_u64 s[14:15], s[14:15], -1
	v_add_nc_u64_e32 v[8:9], 8, v[8:9]
	s_cmp_eq_u64 s[14:15], 0
	v_add_nc_u64_e32 v[6:7], 8, v[6:7]
	s_cselect_b32 s25, -1, 0
	s_and_not1_b32 s23, s23, exec_lo
	s_and_b32 s25, s25, exec_lo
	s_and_not1_b32 s24, s24, exec_lo
	s_or_b32 s23, s23, s25
                                        ; implicit-def: $sgpr25
	s_branch .LBB774_13
.LBB774_16:                             ;   in Loop: Header=BB774_10 Depth=1
	s_or_b32 exec_lo, exec_lo, s21
	s_xor_b32 s21, s22, -1
	s_branch .LBB774_18
.LBB774_17:                             ;   in Loop: Header=BB774_10 Depth=1
	s_mov_b32 s21, -1
.LBB774_18:                             ;   in Loop: Header=BB774_10 Depth=1
	s_mov_b32 s0, 0
.LBB774_19:                             ;   in Loop: Header=BB774_10 Depth=1
	s_delay_alu instid0(SALU_CYCLE_1)
	s_and_not1_b32 vcc_lo, exec_lo, s0
	s_cbranch_vccnz .LBB774_9
; %bb.20:                               ;   in Loop: Header=BB774_10 Depth=1
	s_and_not1_b32 vcc_lo, exec_lo, s1
	s_cbranch_vccnz .LBB774_25
; %bb.21:                               ;   in Loop: Header=BB774_10 Depth=1
	s_wait_loadcnt 0x0
	v_mad_nc_u64_u32 v[6:7], s2, v4, s[10:11]
	s_mov_b32 s22, 0
	s_mov_b64 s[14:15], s[8:9]
                                        ; implicit-def: $sgpr21
                                        ; implicit-def: $sgpr23
                                        ; implicit-def: $sgpr24
                                        ; implicit-def: $sgpr25
	s_delay_alu instid0(VALU_DEP_1) | instskip(NEXT) | instid1(VALU_DEP_1)
	v_mad_u32 v4, s3, v4, v7
	v_mad_u32 v7, s2, v5, v4
	v_mov_b64_e32 v[4:5], v[0:1]
	s_branch .LBB774_23
.LBB774_22:                             ;   in Loop: Header=BB774_23 Depth=2
	s_or_b32 exec_lo, exec_lo, s0
	s_delay_alu instid0(SALU_CYCLE_1) | instskip(NEXT) | instid1(SALU_CYCLE_1)
	s_and_b32 s0, exec_lo, s23
	s_or_b32 s22, s0, s22
	s_and_not1_b32 s0, s25, exec_lo
	s_and_b32 s25, s26, exec_lo
	s_and_not1_b32 s21, s21, exec_lo
	s_and_b32 s26, s24, exec_lo
	s_or_b32 s25, s0, s25
	s_or_b32 s21, s21, s26
	s_and_not1_b32 exec_lo, exec_lo, s22
	s_cbranch_execz .LBB774_8
.LBB774_23:                             ;   Parent Loop BB774_10 Depth=1
                                        ; =>  This Inner Loop Header: Depth=2
	global_load_b64 v[8:9], v[6:7], off
	global_load_b64 v[14:15], v[4:5], off
	s_and_not1_b32 s24, s24, exec_lo
	s_or_b32 s23, s23, exec_lo
	s_wait_loadcnt 0x0
	v_cmp_ngt_f64_e32 vcc_lo, v[8:9], v[14:15]
	v_cmp_lt_f64_e64 s0, v[8:9], v[14:15]
	s_and_b32 s26, vcc_lo, s25
	s_xor_b32 s28, s0, vcc_lo
	s_or_b32 s26, s0, s26
	s_delay_alu instid0(SALU_CYCLE_1) | instskip(NEXT) | instid1(SALU_CYCLE_1)
	s_and_b32 s27, s26, exec_lo
	s_or_b32 s24, s24, s27
	s_and_saveexec_b32 s0, s28
	s_cbranch_execz .LBB774_22
; %bb.24:                               ;   in Loop: Header=BB774_23 Depth=2
	s_add_nc_u64 s[14:15], s[14:15], -1
	v_add_nc_u64_e32 v[6:7], 8, v[6:7]
	s_cmp_eq_u64 s[14:15], 0
	v_add_nc_u64_e32 v[4:5], 8, v[4:5]
	s_cselect_b32 s25, -1, 0
	s_and_not1_b32 s23, s23, exec_lo
	s_and_b32 s25, s25, exec_lo
	s_and_not1_b32 s24, s24, exec_lo
	s_or_b32 s23, s23, s25
                                        ; implicit-def: $sgpr25
	s_branch .LBB774_22
.LBB774_25:                             ;   in Loop: Header=BB774_10 Depth=1
	s_mov_b32 s21, 0
	s_branch .LBB774_9
.LBB774_26:
                                        ; implicit-def: $vgpr1
	s_cbranch_execnz .LBB774_30
	s_branch .LBB774_52
.LBB774_27:
	s_or_b32 exec_lo, exec_lo, s20
.LBB774_28:
	s_delay_alu instid0(VALU_DEP_1)
	v_add_nc_u32_e32 v1, v11, v10
	s_or_b32 s13, s13, exec_lo
.LBB774_29:
	s_or_b32 exec_lo, exec_lo, s19
	s_branch .LBB774_52
.LBB774_30:
	v_mov_b32_e32 v11, s12
	s_cmp_ge_u32 s17, s18
	s_cbranch_scc1 .LBB774_51
; %bb.31:
	s_wait_loadcnt 0x0
	v_mul_u64_e32 v[0:1], s[8:9], v[2:3]
	v_dual_mov_b32 v12, s18 :: v_dual_mov_b32 v11, s12
	v_cndmask_b32_e64 v13, 0, 1, s1
	s_lshl_b64 s[2:3], s[8:9], 3
	s_mov_b32 s14, 0
	s_delay_alu instid0(VALU_DEP_3)
	v_lshl_add_u64 v[0:1], v[0:1], 3, s[10:11]
	s_branch .LBB774_34
.LBB774_32:                             ;   in Loop: Header=BB774_34 Depth=1
	s_or_b32 exec_lo, exec_lo, s17
.LBB774_33:                             ;   in Loop: Header=BB774_34 Depth=1
	s_wait_loadcnt 0x0
	v_dual_add_nc_u32 v4, 1, v14 :: v_dual_cndmask_b32 v12, v14, v12, s15
	s_delay_alu instid0(VALU_DEP_1) | instskip(NEXT) | instid1(VALU_DEP_1)
	v_cndmask_b32_e64 v11, v11, v4, s15
	v_cmp_ge_u32_e32 vcc_lo, v11, v12
	s_or_b32 s14, vcc_lo, s14
	s_delay_alu instid0(SALU_CYCLE_1)
	s_and_not1_b32 exec_lo, exec_lo, s14
	s_cbranch_execz .LBB774_50
.LBB774_34:                             ; =>This Loop Header: Depth=1
                                        ;     Child Loop BB774_38 Depth 2
                                        ;     Child Loop BB774_47 Depth 2
	v_add_nc_u32_e32 v4, v11, v12
	v_cmp_ne_u32_e64 s0, 1, v13
	s_and_not1_b32 vcc_lo, exec_lo, s16
	s_mov_b32 s12, -1
                                        ; implicit-def: $sgpr15
	v_lshrrev_b32_e32 v14, 1, v4
	global_load_b64 v[4:5], v14, s[4:5] scale_offset
	s_cbranch_vccnz .LBB774_43
; %bb.35:                               ;   in Loop: Header=BB774_34 Depth=1
	s_and_b32 vcc_lo, exec_lo, s0
	s_cbranch_vccnz .LBB774_41
; %bb.36:                               ;   in Loop: Header=BB774_34 Depth=1
	s_wait_loadcnt 0x0
	v_mad_nc_u64_u32 v[6:7], s2, v4, s[10:11]
	v_mov_b64_e32 v[8:9], v[0:1]
	s_mov_b32 s15, 0
	s_mov_b64 s[12:13], s[8:9]
                                        ; implicit-def: $sgpr17
                                        ; implicit-def: $sgpr18
                                        ; implicit-def: $sgpr19
                                        ; implicit-def: $sgpr20
	s_delay_alu instid0(VALU_DEP_2) | instskip(NEXT) | instid1(VALU_DEP_1)
	v_mad_u32 v7, s3, v4, v7
	v_mad_u32 v7, s2, v5, v7
	s_branch .LBB774_38
.LBB774_37:                             ;   in Loop: Header=BB774_38 Depth=2
	s_or_b32 exec_lo, exec_lo, s0
	s_delay_alu instid0(SALU_CYCLE_1) | instskip(NEXT) | instid1(SALU_CYCLE_1)
	s_and_b32 s0, exec_lo, s18
	s_or_b32 s15, s0, s15
	s_and_not1_b32 s0, s20, exec_lo
	s_and_b32 s20, s21, exec_lo
	s_and_not1_b32 s17, s17, exec_lo
	s_and_b32 s21, s19, exec_lo
	s_or_b32 s20, s0, s20
	s_or_b32 s17, s17, s21
	s_and_not1_b32 exec_lo, exec_lo, s15
	s_cbranch_execz .LBB774_40
.LBB774_38:                             ;   Parent Loop BB774_34 Depth=1
                                        ; =>  This Inner Loop Header: Depth=2
	global_load_b64 v[16:17], v[8:9], off
	global_load_b64 v[18:19], v[6:7], off
	s_and_not1_b32 s19, s19, exec_lo
	s_or_b32 s18, s18, exec_lo
	s_wait_loadcnt 0x0
	v_cmp_ngt_f64_e32 vcc_lo, v[16:17], v[18:19]
	v_cmp_lt_f64_e64 s0, v[16:17], v[18:19]
	s_and_b32 s21, vcc_lo, s20
	s_xor_b32 s23, s0, vcc_lo
	s_or_b32 s21, s0, s21
	s_delay_alu instid0(SALU_CYCLE_1) | instskip(NEXT) | instid1(SALU_CYCLE_1)
	s_and_b32 s22, s21, exec_lo
	s_or_b32 s19, s19, s22
	s_and_saveexec_b32 s0, s23
	s_cbranch_execz .LBB774_37
; %bb.39:                               ;   in Loop: Header=BB774_38 Depth=2
	s_add_nc_u64 s[12:13], s[12:13], -1
	v_add_nc_u64_e32 v[8:9], 8, v[8:9]
	s_cmp_eq_u64 s[12:13], 0
	v_add_nc_u64_e32 v[6:7], 8, v[6:7]
	s_cselect_b32 s20, -1, 0
	s_and_not1_b32 s18, s18, exec_lo
	s_and_b32 s20, s20, exec_lo
	s_and_not1_b32 s19, s19, exec_lo
	s_or_b32 s18, s18, s20
                                        ; implicit-def: $sgpr20
	s_branch .LBB774_37
.LBB774_40:                             ;   in Loop: Header=BB774_34 Depth=1
	s_or_b32 exec_lo, exec_lo, s15
	s_xor_b32 s15, s17, -1
	s_branch .LBB774_42
.LBB774_41:                             ;   in Loop: Header=BB774_34 Depth=1
	s_mov_b32 s15, -1
.LBB774_42:                             ;   in Loop: Header=BB774_34 Depth=1
	s_mov_b32 s12, 0
.LBB774_43:                             ;   in Loop: Header=BB774_34 Depth=1
	s_delay_alu instid0(SALU_CYCLE_1)
	s_and_not1_b32 vcc_lo, exec_lo, s12
	s_cbranch_vccnz .LBB774_33
; %bb.44:                               ;   in Loop: Header=BB774_34 Depth=1
	s_and_not1_b32 vcc_lo, exec_lo, s1
	s_cbranch_vccnz .LBB774_49
; %bb.45:                               ;   in Loop: Header=BB774_34 Depth=1
	s_wait_loadcnt 0x0
	v_mad_nc_u64_u32 v[6:7], s2, v4, s[10:11]
	s_mov_b32 s17, 0
	s_mov_b64 s[12:13], s[8:9]
                                        ; implicit-def: $sgpr15
                                        ; implicit-def: $sgpr18
                                        ; implicit-def: $sgpr19
                                        ; implicit-def: $sgpr20
	s_delay_alu instid0(VALU_DEP_1) | instskip(NEXT) | instid1(VALU_DEP_1)
	v_mad_u32 v4, s3, v4, v7
	v_mad_u32 v7, s2, v5, v4
	v_mov_b64_e32 v[4:5], v[0:1]
	s_branch .LBB774_47
.LBB774_46:                             ;   in Loop: Header=BB774_47 Depth=2
	s_or_b32 exec_lo, exec_lo, s0
	s_delay_alu instid0(SALU_CYCLE_1) | instskip(NEXT) | instid1(SALU_CYCLE_1)
	s_and_b32 s0, exec_lo, s18
	s_or_b32 s17, s0, s17
	s_and_not1_b32 s0, s20, exec_lo
	s_and_b32 s20, s21, exec_lo
	s_and_not1_b32 s15, s15, exec_lo
	s_and_b32 s21, s19, exec_lo
	s_or_b32 s20, s0, s20
	s_or_b32 s15, s15, s21
	s_and_not1_b32 exec_lo, exec_lo, s17
	s_cbranch_execz .LBB774_32
.LBB774_47:                             ;   Parent Loop BB774_34 Depth=1
                                        ; =>  This Inner Loop Header: Depth=2
	global_load_b64 v[8:9], v[6:7], off
	global_load_b64 v[16:17], v[4:5], off
	s_and_not1_b32 s19, s19, exec_lo
	s_or_b32 s18, s18, exec_lo
	s_wait_loadcnt 0x0
	v_cmp_ngt_f64_e32 vcc_lo, v[8:9], v[16:17]
	v_cmp_lt_f64_e64 s0, v[8:9], v[16:17]
	s_and_b32 s21, vcc_lo, s20
	s_xor_b32 s23, s0, vcc_lo
	s_or_b32 s21, s0, s21
	s_delay_alu instid0(SALU_CYCLE_1) | instskip(NEXT) | instid1(SALU_CYCLE_1)
	s_and_b32 s22, s21, exec_lo
	s_or_b32 s19, s19, s22
	s_and_saveexec_b32 s0, s23
	s_cbranch_execz .LBB774_46
; %bb.48:                               ;   in Loop: Header=BB774_47 Depth=2
	s_add_nc_u64 s[12:13], s[12:13], -1
	v_add_nc_u64_e32 v[6:7], 8, v[6:7]
	s_cmp_eq_u64 s[12:13], 0
	v_add_nc_u64_e32 v[4:5], 8, v[4:5]
	s_cselect_b32 s20, -1, 0
	s_and_not1_b32 s18, s18, exec_lo
	s_and_b32 s20, s20, exec_lo
	s_and_not1_b32 s19, s19, exec_lo
	s_or_b32 s18, s18, s20
                                        ; implicit-def: $sgpr20
	s_branch .LBB774_46
.LBB774_49:                             ;   in Loop: Header=BB774_34 Depth=1
	s_mov_b32 s15, 0
	s_branch .LBB774_33
.LBB774_50:
	s_or_b32 exec_lo, exec_lo, s14
.LBB774_51:
	s_delay_alu instid0(VALU_DEP_1)
	v_add_nc_u32_e32 v1, v11, v10
	s_mov_b32 s13, -1
.LBB774_52:
	s_delay_alu instid0(SALU_CYCLE_1)
	s_and_b32 exec_lo, exec_lo, s13
	s_cbranch_execz .LBB774_54
; %bb.53:
	s_wait_loadcnt 0x0
	global_store_b64 v1, v[2:3], s[6:7] scale_offset
.LBB774_54:
	s_endpgm
	.section	.rodata,"a",@progbits
	.p2align	6, 0x0
	.amdhsa_kernel _ZN7rocprim17ROCPRIM_400000_NS6detail17trampoline_kernelINS0_14default_configENS1_38merge_sort_block_merge_config_selectorIlNS0_10empty_typeEEEZZNS1_27merge_sort_block_merge_implIS3_PlPS5_mZN2at6native12_GLOBAL__N_124unique_dim_cuda_templateIdEESt5tupleIJNSA_6TensorESF_SF_EERKSF_lbbbEUlllE_EE10hipError_tT0_T1_T2_jT3_P12ihipStream_tbPNSt15iterator_traitsISL_E10value_typeEPNSR_ISM_E10value_typeEPSN_NS1_7vsmem_tEENKUlT_SL_SM_SN_E_clIS8_S8_S9_S9_EESK_S10_SL_SM_SN_EUlS10_E1_NS1_11comp_targetILNS1_3genE0ELNS1_11target_archE4294967295ELNS1_3gpuE0ELNS1_3repE0EEENS1_36merge_oddeven_config_static_selectorELNS0_4arch9wavefront6targetE0EEEvSM_
		.amdhsa_group_segment_fixed_size 0
		.amdhsa_private_segment_fixed_size 0
		.amdhsa_kernarg_size 64
		.amdhsa_user_sgpr_count 2
		.amdhsa_user_sgpr_dispatch_ptr 0
		.amdhsa_user_sgpr_queue_ptr 0
		.amdhsa_user_sgpr_kernarg_segment_ptr 1
		.amdhsa_user_sgpr_dispatch_id 0
		.amdhsa_user_sgpr_kernarg_preload_length 0
		.amdhsa_user_sgpr_kernarg_preload_offset 0
		.amdhsa_user_sgpr_private_segment_size 0
		.amdhsa_wavefront_size32 1
		.amdhsa_uses_dynamic_stack 0
		.amdhsa_enable_private_segment 0
		.amdhsa_system_sgpr_workgroup_id_x 1
		.amdhsa_system_sgpr_workgroup_id_y 0
		.amdhsa_system_sgpr_workgroup_id_z 0
		.amdhsa_system_sgpr_workgroup_info 0
		.amdhsa_system_vgpr_workitem_id 0
		.amdhsa_next_free_vgpr 20
		.amdhsa_next_free_sgpr 29
		.amdhsa_named_barrier_count 0
		.amdhsa_reserve_vcc 1
		.amdhsa_float_round_mode_32 0
		.amdhsa_float_round_mode_16_64 0
		.amdhsa_float_denorm_mode_32 3
		.amdhsa_float_denorm_mode_16_64 3
		.amdhsa_fp16_overflow 0
		.amdhsa_memory_ordered 1
		.amdhsa_forward_progress 1
		.amdhsa_inst_pref_size 14
		.amdhsa_round_robin_scheduling 0
		.amdhsa_exception_fp_ieee_invalid_op 0
		.amdhsa_exception_fp_denorm_src 0
		.amdhsa_exception_fp_ieee_div_zero 0
		.amdhsa_exception_fp_ieee_overflow 0
		.amdhsa_exception_fp_ieee_underflow 0
		.amdhsa_exception_fp_ieee_inexact 0
		.amdhsa_exception_int_div_zero 0
	.end_amdhsa_kernel
	.section	.text._ZN7rocprim17ROCPRIM_400000_NS6detail17trampoline_kernelINS0_14default_configENS1_38merge_sort_block_merge_config_selectorIlNS0_10empty_typeEEEZZNS1_27merge_sort_block_merge_implIS3_PlPS5_mZN2at6native12_GLOBAL__N_124unique_dim_cuda_templateIdEESt5tupleIJNSA_6TensorESF_SF_EERKSF_lbbbEUlllE_EE10hipError_tT0_T1_T2_jT3_P12ihipStream_tbPNSt15iterator_traitsISL_E10value_typeEPNSR_ISM_E10value_typeEPSN_NS1_7vsmem_tEENKUlT_SL_SM_SN_E_clIS8_S8_S9_S9_EESK_S10_SL_SM_SN_EUlS10_E1_NS1_11comp_targetILNS1_3genE0ELNS1_11target_archE4294967295ELNS1_3gpuE0ELNS1_3repE0EEENS1_36merge_oddeven_config_static_selectorELNS0_4arch9wavefront6targetE0EEEvSM_,"axG",@progbits,_ZN7rocprim17ROCPRIM_400000_NS6detail17trampoline_kernelINS0_14default_configENS1_38merge_sort_block_merge_config_selectorIlNS0_10empty_typeEEEZZNS1_27merge_sort_block_merge_implIS3_PlPS5_mZN2at6native12_GLOBAL__N_124unique_dim_cuda_templateIdEESt5tupleIJNSA_6TensorESF_SF_EERKSF_lbbbEUlllE_EE10hipError_tT0_T1_T2_jT3_P12ihipStream_tbPNSt15iterator_traitsISL_E10value_typeEPNSR_ISM_E10value_typeEPSN_NS1_7vsmem_tEENKUlT_SL_SM_SN_E_clIS8_S8_S9_S9_EESK_S10_SL_SM_SN_EUlS10_E1_NS1_11comp_targetILNS1_3genE0ELNS1_11target_archE4294967295ELNS1_3gpuE0ELNS1_3repE0EEENS1_36merge_oddeven_config_static_selectorELNS0_4arch9wavefront6targetE0EEEvSM_,comdat
.Lfunc_end774:
	.size	_ZN7rocprim17ROCPRIM_400000_NS6detail17trampoline_kernelINS0_14default_configENS1_38merge_sort_block_merge_config_selectorIlNS0_10empty_typeEEEZZNS1_27merge_sort_block_merge_implIS3_PlPS5_mZN2at6native12_GLOBAL__N_124unique_dim_cuda_templateIdEESt5tupleIJNSA_6TensorESF_SF_EERKSF_lbbbEUlllE_EE10hipError_tT0_T1_T2_jT3_P12ihipStream_tbPNSt15iterator_traitsISL_E10value_typeEPNSR_ISM_E10value_typeEPSN_NS1_7vsmem_tEENKUlT_SL_SM_SN_E_clIS8_S8_S9_S9_EESK_S10_SL_SM_SN_EUlS10_E1_NS1_11comp_targetILNS1_3genE0ELNS1_11target_archE4294967295ELNS1_3gpuE0ELNS1_3repE0EEENS1_36merge_oddeven_config_static_selectorELNS0_4arch9wavefront6targetE0EEEvSM_, .Lfunc_end774-_ZN7rocprim17ROCPRIM_400000_NS6detail17trampoline_kernelINS0_14default_configENS1_38merge_sort_block_merge_config_selectorIlNS0_10empty_typeEEEZZNS1_27merge_sort_block_merge_implIS3_PlPS5_mZN2at6native12_GLOBAL__N_124unique_dim_cuda_templateIdEESt5tupleIJNSA_6TensorESF_SF_EERKSF_lbbbEUlllE_EE10hipError_tT0_T1_T2_jT3_P12ihipStream_tbPNSt15iterator_traitsISL_E10value_typeEPNSR_ISM_E10value_typeEPSN_NS1_7vsmem_tEENKUlT_SL_SM_SN_E_clIS8_S8_S9_S9_EESK_S10_SL_SM_SN_EUlS10_E1_NS1_11comp_targetILNS1_3genE0ELNS1_11target_archE4294967295ELNS1_3gpuE0ELNS1_3repE0EEENS1_36merge_oddeven_config_static_selectorELNS0_4arch9wavefront6targetE0EEEvSM_
                                        ; -- End function
	.set _ZN7rocprim17ROCPRIM_400000_NS6detail17trampoline_kernelINS0_14default_configENS1_38merge_sort_block_merge_config_selectorIlNS0_10empty_typeEEEZZNS1_27merge_sort_block_merge_implIS3_PlPS5_mZN2at6native12_GLOBAL__N_124unique_dim_cuda_templateIdEESt5tupleIJNSA_6TensorESF_SF_EERKSF_lbbbEUlllE_EE10hipError_tT0_T1_T2_jT3_P12ihipStream_tbPNSt15iterator_traitsISL_E10value_typeEPNSR_ISM_E10value_typeEPSN_NS1_7vsmem_tEENKUlT_SL_SM_SN_E_clIS8_S8_S9_S9_EESK_S10_SL_SM_SN_EUlS10_E1_NS1_11comp_targetILNS1_3genE0ELNS1_11target_archE4294967295ELNS1_3gpuE0ELNS1_3repE0EEENS1_36merge_oddeven_config_static_selectorELNS0_4arch9wavefront6targetE0EEEvSM_.num_vgpr, 20
	.set _ZN7rocprim17ROCPRIM_400000_NS6detail17trampoline_kernelINS0_14default_configENS1_38merge_sort_block_merge_config_selectorIlNS0_10empty_typeEEEZZNS1_27merge_sort_block_merge_implIS3_PlPS5_mZN2at6native12_GLOBAL__N_124unique_dim_cuda_templateIdEESt5tupleIJNSA_6TensorESF_SF_EERKSF_lbbbEUlllE_EE10hipError_tT0_T1_T2_jT3_P12ihipStream_tbPNSt15iterator_traitsISL_E10value_typeEPNSR_ISM_E10value_typeEPSN_NS1_7vsmem_tEENKUlT_SL_SM_SN_E_clIS8_S8_S9_S9_EESK_S10_SL_SM_SN_EUlS10_E1_NS1_11comp_targetILNS1_3genE0ELNS1_11target_archE4294967295ELNS1_3gpuE0ELNS1_3repE0EEENS1_36merge_oddeven_config_static_selectorELNS0_4arch9wavefront6targetE0EEEvSM_.num_agpr, 0
	.set _ZN7rocprim17ROCPRIM_400000_NS6detail17trampoline_kernelINS0_14default_configENS1_38merge_sort_block_merge_config_selectorIlNS0_10empty_typeEEEZZNS1_27merge_sort_block_merge_implIS3_PlPS5_mZN2at6native12_GLOBAL__N_124unique_dim_cuda_templateIdEESt5tupleIJNSA_6TensorESF_SF_EERKSF_lbbbEUlllE_EE10hipError_tT0_T1_T2_jT3_P12ihipStream_tbPNSt15iterator_traitsISL_E10value_typeEPNSR_ISM_E10value_typeEPSN_NS1_7vsmem_tEENKUlT_SL_SM_SN_E_clIS8_S8_S9_S9_EESK_S10_SL_SM_SN_EUlS10_E1_NS1_11comp_targetILNS1_3genE0ELNS1_11target_archE4294967295ELNS1_3gpuE0ELNS1_3repE0EEENS1_36merge_oddeven_config_static_selectorELNS0_4arch9wavefront6targetE0EEEvSM_.numbered_sgpr, 29
	.set _ZN7rocprim17ROCPRIM_400000_NS6detail17trampoline_kernelINS0_14default_configENS1_38merge_sort_block_merge_config_selectorIlNS0_10empty_typeEEEZZNS1_27merge_sort_block_merge_implIS3_PlPS5_mZN2at6native12_GLOBAL__N_124unique_dim_cuda_templateIdEESt5tupleIJNSA_6TensorESF_SF_EERKSF_lbbbEUlllE_EE10hipError_tT0_T1_T2_jT3_P12ihipStream_tbPNSt15iterator_traitsISL_E10value_typeEPNSR_ISM_E10value_typeEPSN_NS1_7vsmem_tEENKUlT_SL_SM_SN_E_clIS8_S8_S9_S9_EESK_S10_SL_SM_SN_EUlS10_E1_NS1_11comp_targetILNS1_3genE0ELNS1_11target_archE4294967295ELNS1_3gpuE0ELNS1_3repE0EEENS1_36merge_oddeven_config_static_selectorELNS0_4arch9wavefront6targetE0EEEvSM_.num_named_barrier, 0
	.set _ZN7rocprim17ROCPRIM_400000_NS6detail17trampoline_kernelINS0_14default_configENS1_38merge_sort_block_merge_config_selectorIlNS0_10empty_typeEEEZZNS1_27merge_sort_block_merge_implIS3_PlPS5_mZN2at6native12_GLOBAL__N_124unique_dim_cuda_templateIdEESt5tupleIJNSA_6TensorESF_SF_EERKSF_lbbbEUlllE_EE10hipError_tT0_T1_T2_jT3_P12ihipStream_tbPNSt15iterator_traitsISL_E10value_typeEPNSR_ISM_E10value_typeEPSN_NS1_7vsmem_tEENKUlT_SL_SM_SN_E_clIS8_S8_S9_S9_EESK_S10_SL_SM_SN_EUlS10_E1_NS1_11comp_targetILNS1_3genE0ELNS1_11target_archE4294967295ELNS1_3gpuE0ELNS1_3repE0EEENS1_36merge_oddeven_config_static_selectorELNS0_4arch9wavefront6targetE0EEEvSM_.private_seg_size, 0
	.set _ZN7rocprim17ROCPRIM_400000_NS6detail17trampoline_kernelINS0_14default_configENS1_38merge_sort_block_merge_config_selectorIlNS0_10empty_typeEEEZZNS1_27merge_sort_block_merge_implIS3_PlPS5_mZN2at6native12_GLOBAL__N_124unique_dim_cuda_templateIdEESt5tupleIJNSA_6TensorESF_SF_EERKSF_lbbbEUlllE_EE10hipError_tT0_T1_T2_jT3_P12ihipStream_tbPNSt15iterator_traitsISL_E10value_typeEPNSR_ISM_E10value_typeEPSN_NS1_7vsmem_tEENKUlT_SL_SM_SN_E_clIS8_S8_S9_S9_EESK_S10_SL_SM_SN_EUlS10_E1_NS1_11comp_targetILNS1_3genE0ELNS1_11target_archE4294967295ELNS1_3gpuE0ELNS1_3repE0EEENS1_36merge_oddeven_config_static_selectorELNS0_4arch9wavefront6targetE0EEEvSM_.uses_vcc, 1
	.set _ZN7rocprim17ROCPRIM_400000_NS6detail17trampoline_kernelINS0_14default_configENS1_38merge_sort_block_merge_config_selectorIlNS0_10empty_typeEEEZZNS1_27merge_sort_block_merge_implIS3_PlPS5_mZN2at6native12_GLOBAL__N_124unique_dim_cuda_templateIdEESt5tupleIJNSA_6TensorESF_SF_EERKSF_lbbbEUlllE_EE10hipError_tT0_T1_T2_jT3_P12ihipStream_tbPNSt15iterator_traitsISL_E10value_typeEPNSR_ISM_E10value_typeEPSN_NS1_7vsmem_tEENKUlT_SL_SM_SN_E_clIS8_S8_S9_S9_EESK_S10_SL_SM_SN_EUlS10_E1_NS1_11comp_targetILNS1_3genE0ELNS1_11target_archE4294967295ELNS1_3gpuE0ELNS1_3repE0EEENS1_36merge_oddeven_config_static_selectorELNS0_4arch9wavefront6targetE0EEEvSM_.uses_flat_scratch, 0
	.set _ZN7rocprim17ROCPRIM_400000_NS6detail17trampoline_kernelINS0_14default_configENS1_38merge_sort_block_merge_config_selectorIlNS0_10empty_typeEEEZZNS1_27merge_sort_block_merge_implIS3_PlPS5_mZN2at6native12_GLOBAL__N_124unique_dim_cuda_templateIdEESt5tupleIJNSA_6TensorESF_SF_EERKSF_lbbbEUlllE_EE10hipError_tT0_T1_T2_jT3_P12ihipStream_tbPNSt15iterator_traitsISL_E10value_typeEPNSR_ISM_E10value_typeEPSN_NS1_7vsmem_tEENKUlT_SL_SM_SN_E_clIS8_S8_S9_S9_EESK_S10_SL_SM_SN_EUlS10_E1_NS1_11comp_targetILNS1_3genE0ELNS1_11target_archE4294967295ELNS1_3gpuE0ELNS1_3repE0EEENS1_36merge_oddeven_config_static_selectorELNS0_4arch9wavefront6targetE0EEEvSM_.has_dyn_sized_stack, 0
	.set _ZN7rocprim17ROCPRIM_400000_NS6detail17trampoline_kernelINS0_14default_configENS1_38merge_sort_block_merge_config_selectorIlNS0_10empty_typeEEEZZNS1_27merge_sort_block_merge_implIS3_PlPS5_mZN2at6native12_GLOBAL__N_124unique_dim_cuda_templateIdEESt5tupleIJNSA_6TensorESF_SF_EERKSF_lbbbEUlllE_EE10hipError_tT0_T1_T2_jT3_P12ihipStream_tbPNSt15iterator_traitsISL_E10value_typeEPNSR_ISM_E10value_typeEPSN_NS1_7vsmem_tEENKUlT_SL_SM_SN_E_clIS8_S8_S9_S9_EESK_S10_SL_SM_SN_EUlS10_E1_NS1_11comp_targetILNS1_3genE0ELNS1_11target_archE4294967295ELNS1_3gpuE0ELNS1_3repE0EEENS1_36merge_oddeven_config_static_selectorELNS0_4arch9wavefront6targetE0EEEvSM_.has_recursion, 0
	.set _ZN7rocprim17ROCPRIM_400000_NS6detail17trampoline_kernelINS0_14default_configENS1_38merge_sort_block_merge_config_selectorIlNS0_10empty_typeEEEZZNS1_27merge_sort_block_merge_implIS3_PlPS5_mZN2at6native12_GLOBAL__N_124unique_dim_cuda_templateIdEESt5tupleIJNSA_6TensorESF_SF_EERKSF_lbbbEUlllE_EE10hipError_tT0_T1_T2_jT3_P12ihipStream_tbPNSt15iterator_traitsISL_E10value_typeEPNSR_ISM_E10value_typeEPSN_NS1_7vsmem_tEENKUlT_SL_SM_SN_E_clIS8_S8_S9_S9_EESK_S10_SL_SM_SN_EUlS10_E1_NS1_11comp_targetILNS1_3genE0ELNS1_11target_archE4294967295ELNS1_3gpuE0ELNS1_3repE0EEENS1_36merge_oddeven_config_static_selectorELNS0_4arch9wavefront6targetE0EEEvSM_.has_indirect_call, 0
	.section	.AMDGPU.csdata,"",@progbits
; Kernel info:
; codeLenInByte = 1672
; TotalNumSgprs: 31
; NumVgprs: 20
; ScratchSize: 0
; MemoryBound: 0
; FloatMode: 240
; IeeeMode: 1
; LDSByteSize: 0 bytes/workgroup (compile time only)
; SGPRBlocks: 0
; VGPRBlocks: 1
; NumSGPRsForWavesPerEU: 31
; NumVGPRsForWavesPerEU: 20
; NamedBarCnt: 0
; Occupancy: 16
; WaveLimiterHint : 0
; COMPUTE_PGM_RSRC2:SCRATCH_EN: 0
; COMPUTE_PGM_RSRC2:USER_SGPR: 2
; COMPUTE_PGM_RSRC2:TRAP_HANDLER: 0
; COMPUTE_PGM_RSRC2:TGID_X_EN: 1
; COMPUTE_PGM_RSRC2:TGID_Y_EN: 0
; COMPUTE_PGM_RSRC2:TGID_Z_EN: 0
; COMPUTE_PGM_RSRC2:TIDIG_COMP_CNT: 0
	.section	.text._ZN7rocprim17ROCPRIM_400000_NS6detail17trampoline_kernelINS0_14default_configENS1_38merge_sort_block_merge_config_selectorIlNS0_10empty_typeEEEZZNS1_27merge_sort_block_merge_implIS3_PlPS5_mZN2at6native12_GLOBAL__N_124unique_dim_cuda_templateIdEESt5tupleIJNSA_6TensorESF_SF_EERKSF_lbbbEUlllE_EE10hipError_tT0_T1_T2_jT3_P12ihipStream_tbPNSt15iterator_traitsISL_E10value_typeEPNSR_ISM_E10value_typeEPSN_NS1_7vsmem_tEENKUlT_SL_SM_SN_E_clIS8_S8_S9_S9_EESK_S10_SL_SM_SN_EUlS10_E1_NS1_11comp_targetILNS1_3genE10ELNS1_11target_archE1201ELNS1_3gpuE5ELNS1_3repE0EEENS1_36merge_oddeven_config_static_selectorELNS0_4arch9wavefront6targetE0EEEvSM_,"axG",@progbits,_ZN7rocprim17ROCPRIM_400000_NS6detail17trampoline_kernelINS0_14default_configENS1_38merge_sort_block_merge_config_selectorIlNS0_10empty_typeEEEZZNS1_27merge_sort_block_merge_implIS3_PlPS5_mZN2at6native12_GLOBAL__N_124unique_dim_cuda_templateIdEESt5tupleIJNSA_6TensorESF_SF_EERKSF_lbbbEUlllE_EE10hipError_tT0_T1_T2_jT3_P12ihipStream_tbPNSt15iterator_traitsISL_E10value_typeEPNSR_ISM_E10value_typeEPSN_NS1_7vsmem_tEENKUlT_SL_SM_SN_E_clIS8_S8_S9_S9_EESK_S10_SL_SM_SN_EUlS10_E1_NS1_11comp_targetILNS1_3genE10ELNS1_11target_archE1201ELNS1_3gpuE5ELNS1_3repE0EEENS1_36merge_oddeven_config_static_selectorELNS0_4arch9wavefront6targetE0EEEvSM_,comdat
	.globl	_ZN7rocprim17ROCPRIM_400000_NS6detail17trampoline_kernelINS0_14default_configENS1_38merge_sort_block_merge_config_selectorIlNS0_10empty_typeEEEZZNS1_27merge_sort_block_merge_implIS3_PlPS5_mZN2at6native12_GLOBAL__N_124unique_dim_cuda_templateIdEESt5tupleIJNSA_6TensorESF_SF_EERKSF_lbbbEUlllE_EE10hipError_tT0_T1_T2_jT3_P12ihipStream_tbPNSt15iterator_traitsISL_E10value_typeEPNSR_ISM_E10value_typeEPSN_NS1_7vsmem_tEENKUlT_SL_SM_SN_E_clIS8_S8_S9_S9_EESK_S10_SL_SM_SN_EUlS10_E1_NS1_11comp_targetILNS1_3genE10ELNS1_11target_archE1201ELNS1_3gpuE5ELNS1_3repE0EEENS1_36merge_oddeven_config_static_selectorELNS0_4arch9wavefront6targetE0EEEvSM_ ; -- Begin function _ZN7rocprim17ROCPRIM_400000_NS6detail17trampoline_kernelINS0_14default_configENS1_38merge_sort_block_merge_config_selectorIlNS0_10empty_typeEEEZZNS1_27merge_sort_block_merge_implIS3_PlPS5_mZN2at6native12_GLOBAL__N_124unique_dim_cuda_templateIdEESt5tupleIJNSA_6TensorESF_SF_EERKSF_lbbbEUlllE_EE10hipError_tT0_T1_T2_jT3_P12ihipStream_tbPNSt15iterator_traitsISL_E10value_typeEPNSR_ISM_E10value_typeEPSN_NS1_7vsmem_tEENKUlT_SL_SM_SN_E_clIS8_S8_S9_S9_EESK_S10_SL_SM_SN_EUlS10_E1_NS1_11comp_targetILNS1_3genE10ELNS1_11target_archE1201ELNS1_3gpuE5ELNS1_3repE0EEENS1_36merge_oddeven_config_static_selectorELNS0_4arch9wavefront6targetE0EEEvSM_
	.p2align	8
	.type	_ZN7rocprim17ROCPRIM_400000_NS6detail17trampoline_kernelINS0_14default_configENS1_38merge_sort_block_merge_config_selectorIlNS0_10empty_typeEEEZZNS1_27merge_sort_block_merge_implIS3_PlPS5_mZN2at6native12_GLOBAL__N_124unique_dim_cuda_templateIdEESt5tupleIJNSA_6TensorESF_SF_EERKSF_lbbbEUlllE_EE10hipError_tT0_T1_T2_jT3_P12ihipStream_tbPNSt15iterator_traitsISL_E10value_typeEPNSR_ISM_E10value_typeEPSN_NS1_7vsmem_tEENKUlT_SL_SM_SN_E_clIS8_S8_S9_S9_EESK_S10_SL_SM_SN_EUlS10_E1_NS1_11comp_targetILNS1_3genE10ELNS1_11target_archE1201ELNS1_3gpuE5ELNS1_3repE0EEENS1_36merge_oddeven_config_static_selectorELNS0_4arch9wavefront6targetE0EEEvSM_,@function
_ZN7rocprim17ROCPRIM_400000_NS6detail17trampoline_kernelINS0_14default_configENS1_38merge_sort_block_merge_config_selectorIlNS0_10empty_typeEEEZZNS1_27merge_sort_block_merge_implIS3_PlPS5_mZN2at6native12_GLOBAL__N_124unique_dim_cuda_templateIdEESt5tupleIJNSA_6TensorESF_SF_EERKSF_lbbbEUlllE_EE10hipError_tT0_T1_T2_jT3_P12ihipStream_tbPNSt15iterator_traitsISL_E10value_typeEPNSR_ISM_E10value_typeEPSN_NS1_7vsmem_tEENKUlT_SL_SM_SN_E_clIS8_S8_S9_S9_EESK_S10_SL_SM_SN_EUlS10_E1_NS1_11comp_targetILNS1_3genE10ELNS1_11target_archE1201ELNS1_3gpuE5ELNS1_3repE0EEENS1_36merge_oddeven_config_static_selectorELNS0_4arch9wavefront6targetE0EEEvSM_: ; @_ZN7rocprim17ROCPRIM_400000_NS6detail17trampoline_kernelINS0_14default_configENS1_38merge_sort_block_merge_config_selectorIlNS0_10empty_typeEEEZZNS1_27merge_sort_block_merge_implIS3_PlPS5_mZN2at6native12_GLOBAL__N_124unique_dim_cuda_templateIdEESt5tupleIJNSA_6TensorESF_SF_EERKSF_lbbbEUlllE_EE10hipError_tT0_T1_T2_jT3_P12ihipStream_tbPNSt15iterator_traitsISL_E10value_typeEPNSR_ISM_E10value_typeEPSN_NS1_7vsmem_tEENKUlT_SL_SM_SN_E_clIS8_S8_S9_S9_EESK_S10_SL_SM_SN_EUlS10_E1_NS1_11comp_targetILNS1_3genE10ELNS1_11target_archE1201ELNS1_3gpuE5ELNS1_3repE0EEENS1_36merge_oddeven_config_static_selectorELNS0_4arch9wavefront6targetE0EEEvSM_
; %bb.0:
	.section	.rodata,"a",@progbits
	.p2align	6, 0x0
	.amdhsa_kernel _ZN7rocprim17ROCPRIM_400000_NS6detail17trampoline_kernelINS0_14default_configENS1_38merge_sort_block_merge_config_selectorIlNS0_10empty_typeEEEZZNS1_27merge_sort_block_merge_implIS3_PlPS5_mZN2at6native12_GLOBAL__N_124unique_dim_cuda_templateIdEESt5tupleIJNSA_6TensorESF_SF_EERKSF_lbbbEUlllE_EE10hipError_tT0_T1_T2_jT3_P12ihipStream_tbPNSt15iterator_traitsISL_E10value_typeEPNSR_ISM_E10value_typeEPSN_NS1_7vsmem_tEENKUlT_SL_SM_SN_E_clIS8_S8_S9_S9_EESK_S10_SL_SM_SN_EUlS10_E1_NS1_11comp_targetILNS1_3genE10ELNS1_11target_archE1201ELNS1_3gpuE5ELNS1_3repE0EEENS1_36merge_oddeven_config_static_selectorELNS0_4arch9wavefront6targetE0EEEvSM_
		.amdhsa_group_segment_fixed_size 0
		.amdhsa_private_segment_fixed_size 0
		.amdhsa_kernarg_size 64
		.amdhsa_user_sgpr_count 2
		.amdhsa_user_sgpr_dispatch_ptr 0
		.amdhsa_user_sgpr_queue_ptr 0
		.amdhsa_user_sgpr_kernarg_segment_ptr 1
		.amdhsa_user_sgpr_dispatch_id 0
		.amdhsa_user_sgpr_kernarg_preload_length 0
		.amdhsa_user_sgpr_kernarg_preload_offset 0
		.amdhsa_user_sgpr_private_segment_size 0
		.amdhsa_wavefront_size32 1
		.amdhsa_uses_dynamic_stack 0
		.amdhsa_enable_private_segment 0
		.amdhsa_system_sgpr_workgroup_id_x 1
		.amdhsa_system_sgpr_workgroup_id_y 0
		.amdhsa_system_sgpr_workgroup_id_z 0
		.amdhsa_system_sgpr_workgroup_info 0
		.amdhsa_system_vgpr_workitem_id 0
		.amdhsa_next_free_vgpr 1
		.amdhsa_next_free_sgpr 1
		.amdhsa_named_barrier_count 0
		.amdhsa_reserve_vcc 0
		.amdhsa_float_round_mode_32 0
		.amdhsa_float_round_mode_16_64 0
		.amdhsa_float_denorm_mode_32 3
		.amdhsa_float_denorm_mode_16_64 3
		.amdhsa_fp16_overflow 0
		.amdhsa_memory_ordered 1
		.amdhsa_forward_progress 1
		.amdhsa_inst_pref_size 0
		.amdhsa_round_robin_scheduling 0
		.amdhsa_exception_fp_ieee_invalid_op 0
		.amdhsa_exception_fp_denorm_src 0
		.amdhsa_exception_fp_ieee_div_zero 0
		.amdhsa_exception_fp_ieee_overflow 0
		.amdhsa_exception_fp_ieee_underflow 0
		.amdhsa_exception_fp_ieee_inexact 0
		.amdhsa_exception_int_div_zero 0
	.end_amdhsa_kernel
	.section	.text._ZN7rocprim17ROCPRIM_400000_NS6detail17trampoline_kernelINS0_14default_configENS1_38merge_sort_block_merge_config_selectorIlNS0_10empty_typeEEEZZNS1_27merge_sort_block_merge_implIS3_PlPS5_mZN2at6native12_GLOBAL__N_124unique_dim_cuda_templateIdEESt5tupleIJNSA_6TensorESF_SF_EERKSF_lbbbEUlllE_EE10hipError_tT0_T1_T2_jT3_P12ihipStream_tbPNSt15iterator_traitsISL_E10value_typeEPNSR_ISM_E10value_typeEPSN_NS1_7vsmem_tEENKUlT_SL_SM_SN_E_clIS8_S8_S9_S9_EESK_S10_SL_SM_SN_EUlS10_E1_NS1_11comp_targetILNS1_3genE10ELNS1_11target_archE1201ELNS1_3gpuE5ELNS1_3repE0EEENS1_36merge_oddeven_config_static_selectorELNS0_4arch9wavefront6targetE0EEEvSM_,"axG",@progbits,_ZN7rocprim17ROCPRIM_400000_NS6detail17trampoline_kernelINS0_14default_configENS1_38merge_sort_block_merge_config_selectorIlNS0_10empty_typeEEEZZNS1_27merge_sort_block_merge_implIS3_PlPS5_mZN2at6native12_GLOBAL__N_124unique_dim_cuda_templateIdEESt5tupleIJNSA_6TensorESF_SF_EERKSF_lbbbEUlllE_EE10hipError_tT0_T1_T2_jT3_P12ihipStream_tbPNSt15iterator_traitsISL_E10value_typeEPNSR_ISM_E10value_typeEPSN_NS1_7vsmem_tEENKUlT_SL_SM_SN_E_clIS8_S8_S9_S9_EESK_S10_SL_SM_SN_EUlS10_E1_NS1_11comp_targetILNS1_3genE10ELNS1_11target_archE1201ELNS1_3gpuE5ELNS1_3repE0EEENS1_36merge_oddeven_config_static_selectorELNS0_4arch9wavefront6targetE0EEEvSM_,comdat
.Lfunc_end775:
	.size	_ZN7rocprim17ROCPRIM_400000_NS6detail17trampoline_kernelINS0_14default_configENS1_38merge_sort_block_merge_config_selectorIlNS0_10empty_typeEEEZZNS1_27merge_sort_block_merge_implIS3_PlPS5_mZN2at6native12_GLOBAL__N_124unique_dim_cuda_templateIdEESt5tupleIJNSA_6TensorESF_SF_EERKSF_lbbbEUlllE_EE10hipError_tT0_T1_T2_jT3_P12ihipStream_tbPNSt15iterator_traitsISL_E10value_typeEPNSR_ISM_E10value_typeEPSN_NS1_7vsmem_tEENKUlT_SL_SM_SN_E_clIS8_S8_S9_S9_EESK_S10_SL_SM_SN_EUlS10_E1_NS1_11comp_targetILNS1_3genE10ELNS1_11target_archE1201ELNS1_3gpuE5ELNS1_3repE0EEENS1_36merge_oddeven_config_static_selectorELNS0_4arch9wavefront6targetE0EEEvSM_, .Lfunc_end775-_ZN7rocprim17ROCPRIM_400000_NS6detail17trampoline_kernelINS0_14default_configENS1_38merge_sort_block_merge_config_selectorIlNS0_10empty_typeEEEZZNS1_27merge_sort_block_merge_implIS3_PlPS5_mZN2at6native12_GLOBAL__N_124unique_dim_cuda_templateIdEESt5tupleIJNSA_6TensorESF_SF_EERKSF_lbbbEUlllE_EE10hipError_tT0_T1_T2_jT3_P12ihipStream_tbPNSt15iterator_traitsISL_E10value_typeEPNSR_ISM_E10value_typeEPSN_NS1_7vsmem_tEENKUlT_SL_SM_SN_E_clIS8_S8_S9_S9_EESK_S10_SL_SM_SN_EUlS10_E1_NS1_11comp_targetILNS1_3genE10ELNS1_11target_archE1201ELNS1_3gpuE5ELNS1_3repE0EEENS1_36merge_oddeven_config_static_selectorELNS0_4arch9wavefront6targetE0EEEvSM_
                                        ; -- End function
	.set _ZN7rocprim17ROCPRIM_400000_NS6detail17trampoline_kernelINS0_14default_configENS1_38merge_sort_block_merge_config_selectorIlNS0_10empty_typeEEEZZNS1_27merge_sort_block_merge_implIS3_PlPS5_mZN2at6native12_GLOBAL__N_124unique_dim_cuda_templateIdEESt5tupleIJNSA_6TensorESF_SF_EERKSF_lbbbEUlllE_EE10hipError_tT0_T1_T2_jT3_P12ihipStream_tbPNSt15iterator_traitsISL_E10value_typeEPNSR_ISM_E10value_typeEPSN_NS1_7vsmem_tEENKUlT_SL_SM_SN_E_clIS8_S8_S9_S9_EESK_S10_SL_SM_SN_EUlS10_E1_NS1_11comp_targetILNS1_3genE10ELNS1_11target_archE1201ELNS1_3gpuE5ELNS1_3repE0EEENS1_36merge_oddeven_config_static_selectorELNS0_4arch9wavefront6targetE0EEEvSM_.num_vgpr, 0
	.set _ZN7rocprim17ROCPRIM_400000_NS6detail17trampoline_kernelINS0_14default_configENS1_38merge_sort_block_merge_config_selectorIlNS0_10empty_typeEEEZZNS1_27merge_sort_block_merge_implIS3_PlPS5_mZN2at6native12_GLOBAL__N_124unique_dim_cuda_templateIdEESt5tupleIJNSA_6TensorESF_SF_EERKSF_lbbbEUlllE_EE10hipError_tT0_T1_T2_jT3_P12ihipStream_tbPNSt15iterator_traitsISL_E10value_typeEPNSR_ISM_E10value_typeEPSN_NS1_7vsmem_tEENKUlT_SL_SM_SN_E_clIS8_S8_S9_S9_EESK_S10_SL_SM_SN_EUlS10_E1_NS1_11comp_targetILNS1_3genE10ELNS1_11target_archE1201ELNS1_3gpuE5ELNS1_3repE0EEENS1_36merge_oddeven_config_static_selectorELNS0_4arch9wavefront6targetE0EEEvSM_.num_agpr, 0
	.set _ZN7rocprim17ROCPRIM_400000_NS6detail17trampoline_kernelINS0_14default_configENS1_38merge_sort_block_merge_config_selectorIlNS0_10empty_typeEEEZZNS1_27merge_sort_block_merge_implIS3_PlPS5_mZN2at6native12_GLOBAL__N_124unique_dim_cuda_templateIdEESt5tupleIJNSA_6TensorESF_SF_EERKSF_lbbbEUlllE_EE10hipError_tT0_T1_T2_jT3_P12ihipStream_tbPNSt15iterator_traitsISL_E10value_typeEPNSR_ISM_E10value_typeEPSN_NS1_7vsmem_tEENKUlT_SL_SM_SN_E_clIS8_S8_S9_S9_EESK_S10_SL_SM_SN_EUlS10_E1_NS1_11comp_targetILNS1_3genE10ELNS1_11target_archE1201ELNS1_3gpuE5ELNS1_3repE0EEENS1_36merge_oddeven_config_static_selectorELNS0_4arch9wavefront6targetE0EEEvSM_.numbered_sgpr, 0
	.set _ZN7rocprim17ROCPRIM_400000_NS6detail17trampoline_kernelINS0_14default_configENS1_38merge_sort_block_merge_config_selectorIlNS0_10empty_typeEEEZZNS1_27merge_sort_block_merge_implIS3_PlPS5_mZN2at6native12_GLOBAL__N_124unique_dim_cuda_templateIdEESt5tupleIJNSA_6TensorESF_SF_EERKSF_lbbbEUlllE_EE10hipError_tT0_T1_T2_jT3_P12ihipStream_tbPNSt15iterator_traitsISL_E10value_typeEPNSR_ISM_E10value_typeEPSN_NS1_7vsmem_tEENKUlT_SL_SM_SN_E_clIS8_S8_S9_S9_EESK_S10_SL_SM_SN_EUlS10_E1_NS1_11comp_targetILNS1_3genE10ELNS1_11target_archE1201ELNS1_3gpuE5ELNS1_3repE0EEENS1_36merge_oddeven_config_static_selectorELNS0_4arch9wavefront6targetE0EEEvSM_.num_named_barrier, 0
	.set _ZN7rocprim17ROCPRIM_400000_NS6detail17trampoline_kernelINS0_14default_configENS1_38merge_sort_block_merge_config_selectorIlNS0_10empty_typeEEEZZNS1_27merge_sort_block_merge_implIS3_PlPS5_mZN2at6native12_GLOBAL__N_124unique_dim_cuda_templateIdEESt5tupleIJNSA_6TensorESF_SF_EERKSF_lbbbEUlllE_EE10hipError_tT0_T1_T2_jT3_P12ihipStream_tbPNSt15iterator_traitsISL_E10value_typeEPNSR_ISM_E10value_typeEPSN_NS1_7vsmem_tEENKUlT_SL_SM_SN_E_clIS8_S8_S9_S9_EESK_S10_SL_SM_SN_EUlS10_E1_NS1_11comp_targetILNS1_3genE10ELNS1_11target_archE1201ELNS1_3gpuE5ELNS1_3repE0EEENS1_36merge_oddeven_config_static_selectorELNS0_4arch9wavefront6targetE0EEEvSM_.private_seg_size, 0
	.set _ZN7rocprim17ROCPRIM_400000_NS6detail17trampoline_kernelINS0_14default_configENS1_38merge_sort_block_merge_config_selectorIlNS0_10empty_typeEEEZZNS1_27merge_sort_block_merge_implIS3_PlPS5_mZN2at6native12_GLOBAL__N_124unique_dim_cuda_templateIdEESt5tupleIJNSA_6TensorESF_SF_EERKSF_lbbbEUlllE_EE10hipError_tT0_T1_T2_jT3_P12ihipStream_tbPNSt15iterator_traitsISL_E10value_typeEPNSR_ISM_E10value_typeEPSN_NS1_7vsmem_tEENKUlT_SL_SM_SN_E_clIS8_S8_S9_S9_EESK_S10_SL_SM_SN_EUlS10_E1_NS1_11comp_targetILNS1_3genE10ELNS1_11target_archE1201ELNS1_3gpuE5ELNS1_3repE0EEENS1_36merge_oddeven_config_static_selectorELNS0_4arch9wavefront6targetE0EEEvSM_.uses_vcc, 0
	.set _ZN7rocprim17ROCPRIM_400000_NS6detail17trampoline_kernelINS0_14default_configENS1_38merge_sort_block_merge_config_selectorIlNS0_10empty_typeEEEZZNS1_27merge_sort_block_merge_implIS3_PlPS5_mZN2at6native12_GLOBAL__N_124unique_dim_cuda_templateIdEESt5tupleIJNSA_6TensorESF_SF_EERKSF_lbbbEUlllE_EE10hipError_tT0_T1_T2_jT3_P12ihipStream_tbPNSt15iterator_traitsISL_E10value_typeEPNSR_ISM_E10value_typeEPSN_NS1_7vsmem_tEENKUlT_SL_SM_SN_E_clIS8_S8_S9_S9_EESK_S10_SL_SM_SN_EUlS10_E1_NS1_11comp_targetILNS1_3genE10ELNS1_11target_archE1201ELNS1_3gpuE5ELNS1_3repE0EEENS1_36merge_oddeven_config_static_selectorELNS0_4arch9wavefront6targetE0EEEvSM_.uses_flat_scratch, 0
	.set _ZN7rocprim17ROCPRIM_400000_NS6detail17trampoline_kernelINS0_14default_configENS1_38merge_sort_block_merge_config_selectorIlNS0_10empty_typeEEEZZNS1_27merge_sort_block_merge_implIS3_PlPS5_mZN2at6native12_GLOBAL__N_124unique_dim_cuda_templateIdEESt5tupleIJNSA_6TensorESF_SF_EERKSF_lbbbEUlllE_EE10hipError_tT0_T1_T2_jT3_P12ihipStream_tbPNSt15iterator_traitsISL_E10value_typeEPNSR_ISM_E10value_typeEPSN_NS1_7vsmem_tEENKUlT_SL_SM_SN_E_clIS8_S8_S9_S9_EESK_S10_SL_SM_SN_EUlS10_E1_NS1_11comp_targetILNS1_3genE10ELNS1_11target_archE1201ELNS1_3gpuE5ELNS1_3repE0EEENS1_36merge_oddeven_config_static_selectorELNS0_4arch9wavefront6targetE0EEEvSM_.has_dyn_sized_stack, 0
	.set _ZN7rocprim17ROCPRIM_400000_NS6detail17trampoline_kernelINS0_14default_configENS1_38merge_sort_block_merge_config_selectorIlNS0_10empty_typeEEEZZNS1_27merge_sort_block_merge_implIS3_PlPS5_mZN2at6native12_GLOBAL__N_124unique_dim_cuda_templateIdEESt5tupleIJNSA_6TensorESF_SF_EERKSF_lbbbEUlllE_EE10hipError_tT0_T1_T2_jT3_P12ihipStream_tbPNSt15iterator_traitsISL_E10value_typeEPNSR_ISM_E10value_typeEPSN_NS1_7vsmem_tEENKUlT_SL_SM_SN_E_clIS8_S8_S9_S9_EESK_S10_SL_SM_SN_EUlS10_E1_NS1_11comp_targetILNS1_3genE10ELNS1_11target_archE1201ELNS1_3gpuE5ELNS1_3repE0EEENS1_36merge_oddeven_config_static_selectorELNS0_4arch9wavefront6targetE0EEEvSM_.has_recursion, 0
	.set _ZN7rocprim17ROCPRIM_400000_NS6detail17trampoline_kernelINS0_14default_configENS1_38merge_sort_block_merge_config_selectorIlNS0_10empty_typeEEEZZNS1_27merge_sort_block_merge_implIS3_PlPS5_mZN2at6native12_GLOBAL__N_124unique_dim_cuda_templateIdEESt5tupleIJNSA_6TensorESF_SF_EERKSF_lbbbEUlllE_EE10hipError_tT0_T1_T2_jT3_P12ihipStream_tbPNSt15iterator_traitsISL_E10value_typeEPNSR_ISM_E10value_typeEPSN_NS1_7vsmem_tEENKUlT_SL_SM_SN_E_clIS8_S8_S9_S9_EESK_S10_SL_SM_SN_EUlS10_E1_NS1_11comp_targetILNS1_3genE10ELNS1_11target_archE1201ELNS1_3gpuE5ELNS1_3repE0EEENS1_36merge_oddeven_config_static_selectorELNS0_4arch9wavefront6targetE0EEEvSM_.has_indirect_call, 0
	.section	.AMDGPU.csdata,"",@progbits
; Kernel info:
; codeLenInByte = 0
; TotalNumSgprs: 0
; NumVgprs: 0
; ScratchSize: 0
; MemoryBound: 0
; FloatMode: 240
; IeeeMode: 1
; LDSByteSize: 0 bytes/workgroup (compile time only)
; SGPRBlocks: 0
; VGPRBlocks: 0
; NumSGPRsForWavesPerEU: 1
; NumVGPRsForWavesPerEU: 1
; NamedBarCnt: 0
; Occupancy: 16
; WaveLimiterHint : 0
; COMPUTE_PGM_RSRC2:SCRATCH_EN: 0
; COMPUTE_PGM_RSRC2:USER_SGPR: 2
; COMPUTE_PGM_RSRC2:TRAP_HANDLER: 0
; COMPUTE_PGM_RSRC2:TGID_X_EN: 1
; COMPUTE_PGM_RSRC2:TGID_Y_EN: 0
; COMPUTE_PGM_RSRC2:TGID_Z_EN: 0
; COMPUTE_PGM_RSRC2:TIDIG_COMP_CNT: 0
	.section	.text._ZN7rocprim17ROCPRIM_400000_NS6detail17trampoline_kernelINS0_14default_configENS1_38merge_sort_block_merge_config_selectorIlNS0_10empty_typeEEEZZNS1_27merge_sort_block_merge_implIS3_PlPS5_mZN2at6native12_GLOBAL__N_124unique_dim_cuda_templateIdEESt5tupleIJNSA_6TensorESF_SF_EERKSF_lbbbEUlllE_EE10hipError_tT0_T1_T2_jT3_P12ihipStream_tbPNSt15iterator_traitsISL_E10value_typeEPNSR_ISM_E10value_typeEPSN_NS1_7vsmem_tEENKUlT_SL_SM_SN_E_clIS8_S8_S9_S9_EESK_S10_SL_SM_SN_EUlS10_E1_NS1_11comp_targetILNS1_3genE5ELNS1_11target_archE942ELNS1_3gpuE9ELNS1_3repE0EEENS1_36merge_oddeven_config_static_selectorELNS0_4arch9wavefront6targetE0EEEvSM_,"axG",@progbits,_ZN7rocprim17ROCPRIM_400000_NS6detail17trampoline_kernelINS0_14default_configENS1_38merge_sort_block_merge_config_selectorIlNS0_10empty_typeEEEZZNS1_27merge_sort_block_merge_implIS3_PlPS5_mZN2at6native12_GLOBAL__N_124unique_dim_cuda_templateIdEESt5tupleIJNSA_6TensorESF_SF_EERKSF_lbbbEUlllE_EE10hipError_tT0_T1_T2_jT3_P12ihipStream_tbPNSt15iterator_traitsISL_E10value_typeEPNSR_ISM_E10value_typeEPSN_NS1_7vsmem_tEENKUlT_SL_SM_SN_E_clIS8_S8_S9_S9_EESK_S10_SL_SM_SN_EUlS10_E1_NS1_11comp_targetILNS1_3genE5ELNS1_11target_archE942ELNS1_3gpuE9ELNS1_3repE0EEENS1_36merge_oddeven_config_static_selectorELNS0_4arch9wavefront6targetE0EEEvSM_,comdat
	.globl	_ZN7rocprim17ROCPRIM_400000_NS6detail17trampoline_kernelINS0_14default_configENS1_38merge_sort_block_merge_config_selectorIlNS0_10empty_typeEEEZZNS1_27merge_sort_block_merge_implIS3_PlPS5_mZN2at6native12_GLOBAL__N_124unique_dim_cuda_templateIdEESt5tupleIJNSA_6TensorESF_SF_EERKSF_lbbbEUlllE_EE10hipError_tT0_T1_T2_jT3_P12ihipStream_tbPNSt15iterator_traitsISL_E10value_typeEPNSR_ISM_E10value_typeEPSN_NS1_7vsmem_tEENKUlT_SL_SM_SN_E_clIS8_S8_S9_S9_EESK_S10_SL_SM_SN_EUlS10_E1_NS1_11comp_targetILNS1_3genE5ELNS1_11target_archE942ELNS1_3gpuE9ELNS1_3repE0EEENS1_36merge_oddeven_config_static_selectorELNS0_4arch9wavefront6targetE0EEEvSM_ ; -- Begin function _ZN7rocprim17ROCPRIM_400000_NS6detail17trampoline_kernelINS0_14default_configENS1_38merge_sort_block_merge_config_selectorIlNS0_10empty_typeEEEZZNS1_27merge_sort_block_merge_implIS3_PlPS5_mZN2at6native12_GLOBAL__N_124unique_dim_cuda_templateIdEESt5tupleIJNSA_6TensorESF_SF_EERKSF_lbbbEUlllE_EE10hipError_tT0_T1_T2_jT3_P12ihipStream_tbPNSt15iterator_traitsISL_E10value_typeEPNSR_ISM_E10value_typeEPSN_NS1_7vsmem_tEENKUlT_SL_SM_SN_E_clIS8_S8_S9_S9_EESK_S10_SL_SM_SN_EUlS10_E1_NS1_11comp_targetILNS1_3genE5ELNS1_11target_archE942ELNS1_3gpuE9ELNS1_3repE0EEENS1_36merge_oddeven_config_static_selectorELNS0_4arch9wavefront6targetE0EEEvSM_
	.p2align	8
	.type	_ZN7rocprim17ROCPRIM_400000_NS6detail17trampoline_kernelINS0_14default_configENS1_38merge_sort_block_merge_config_selectorIlNS0_10empty_typeEEEZZNS1_27merge_sort_block_merge_implIS3_PlPS5_mZN2at6native12_GLOBAL__N_124unique_dim_cuda_templateIdEESt5tupleIJNSA_6TensorESF_SF_EERKSF_lbbbEUlllE_EE10hipError_tT0_T1_T2_jT3_P12ihipStream_tbPNSt15iterator_traitsISL_E10value_typeEPNSR_ISM_E10value_typeEPSN_NS1_7vsmem_tEENKUlT_SL_SM_SN_E_clIS8_S8_S9_S9_EESK_S10_SL_SM_SN_EUlS10_E1_NS1_11comp_targetILNS1_3genE5ELNS1_11target_archE942ELNS1_3gpuE9ELNS1_3repE0EEENS1_36merge_oddeven_config_static_selectorELNS0_4arch9wavefront6targetE0EEEvSM_,@function
_ZN7rocprim17ROCPRIM_400000_NS6detail17trampoline_kernelINS0_14default_configENS1_38merge_sort_block_merge_config_selectorIlNS0_10empty_typeEEEZZNS1_27merge_sort_block_merge_implIS3_PlPS5_mZN2at6native12_GLOBAL__N_124unique_dim_cuda_templateIdEESt5tupleIJNSA_6TensorESF_SF_EERKSF_lbbbEUlllE_EE10hipError_tT0_T1_T2_jT3_P12ihipStream_tbPNSt15iterator_traitsISL_E10value_typeEPNSR_ISM_E10value_typeEPSN_NS1_7vsmem_tEENKUlT_SL_SM_SN_E_clIS8_S8_S9_S9_EESK_S10_SL_SM_SN_EUlS10_E1_NS1_11comp_targetILNS1_3genE5ELNS1_11target_archE942ELNS1_3gpuE9ELNS1_3repE0EEENS1_36merge_oddeven_config_static_selectorELNS0_4arch9wavefront6targetE0EEEvSM_: ; @_ZN7rocprim17ROCPRIM_400000_NS6detail17trampoline_kernelINS0_14default_configENS1_38merge_sort_block_merge_config_selectorIlNS0_10empty_typeEEEZZNS1_27merge_sort_block_merge_implIS3_PlPS5_mZN2at6native12_GLOBAL__N_124unique_dim_cuda_templateIdEESt5tupleIJNSA_6TensorESF_SF_EERKSF_lbbbEUlllE_EE10hipError_tT0_T1_T2_jT3_P12ihipStream_tbPNSt15iterator_traitsISL_E10value_typeEPNSR_ISM_E10value_typeEPSN_NS1_7vsmem_tEENKUlT_SL_SM_SN_E_clIS8_S8_S9_S9_EESK_S10_SL_SM_SN_EUlS10_E1_NS1_11comp_targetILNS1_3genE5ELNS1_11target_archE942ELNS1_3gpuE9ELNS1_3repE0EEENS1_36merge_oddeven_config_static_selectorELNS0_4arch9wavefront6targetE0EEEvSM_
; %bb.0:
	.section	.rodata,"a",@progbits
	.p2align	6, 0x0
	.amdhsa_kernel _ZN7rocprim17ROCPRIM_400000_NS6detail17trampoline_kernelINS0_14default_configENS1_38merge_sort_block_merge_config_selectorIlNS0_10empty_typeEEEZZNS1_27merge_sort_block_merge_implIS3_PlPS5_mZN2at6native12_GLOBAL__N_124unique_dim_cuda_templateIdEESt5tupleIJNSA_6TensorESF_SF_EERKSF_lbbbEUlllE_EE10hipError_tT0_T1_T2_jT3_P12ihipStream_tbPNSt15iterator_traitsISL_E10value_typeEPNSR_ISM_E10value_typeEPSN_NS1_7vsmem_tEENKUlT_SL_SM_SN_E_clIS8_S8_S9_S9_EESK_S10_SL_SM_SN_EUlS10_E1_NS1_11comp_targetILNS1_3genE5ELNS1_11target_archE942ELNS1_3gpuE9ELNS1_3repE0EEENS1_36merge_oddeven_config_static_selectorELNS0_4arch9wavefront6targetE0EEEvSM_
		.amdhsa_group_segment_fixed_size 0
		.amdhsa_private_segment_fixed_size 0
		.amdhsa_kernarg_size 64
		.amdhsa_user_sgpr_count 2
		.amdhsa_user_sgpr_dispatch_ptr 0
		.amdhsa_user_sgpr_queue_ptr 0
		.amdhsa_user_sgpr_kernarg_segment_ptr 1
		.amdhsa_user_sgpr_dispatch_id 0
		.amdhsa_user_sgpr_kernarg_preload_length 0
		.amdhsa_user_sgpr_kernarg_preload_offset 0
		.amdhsa_user_sgpr_private_segment_size 0
		.amdhsa_wavefront_size32 1
		.amdhsa_uses_dynamic_stack 0
		.amdhsa_enable_private_segment 0
		.amdhsa_system_sgpr_workgroup_id_x 1
		.amdhsa_system_sgpr_workgroup_id_y 0
		.amdhsa_system_sgpr_workgroup_id_z 0
		.amdhsa_system_sgpr_workgroup_info 0
		.amdhsa_system_vgpr_workitem_id 0
		.amdhsa_next_free_vgpr 1
		.amdhsa_next_free_sgpr 1
		.amdhsa_named_barrier_count 0
		.amdhsa_reserve_vcc 0
		.amdhsa_float_round_mode_32 0
		.amdhsa_float_round_mode_16_64 0
		.amdhsa_float_denorm_mode_32 3
		.amdhsa_float_denorm_mode_16_64 3
		.amdhsa_fp16_overflow 0
		.amdhsa_memory_ordered 1
		.amdhsa_forward_progress 1
		.amdhsa_inst_pref_size 0
		.amdhsa_round_robin_scheduling 0
		.amdhsa_exception_fp_ieee_invalid_op 0
		.amdhsa_exception_fp_denorm_src 0
		.amdhsa_exception_fp_ieee_div_zero 0
		.amdhsa_exception_fp_ieee_overflow 0
		.amdhsa_exception_fp_ieee_underflow 0
		.amdhsa_exception_fp_ieee_inexact 0
		.amdhsa_exception_int_div_zero 0
	.end_amdhsa_kernel
	.section	.text._ZN7rocprim17ROCPRIM_400000_NS6detail17trampoline_kernelINS0_14default_configENS1_38merge_sort_block_merge_config_selectorIlNS0_10empty_typeEEEZZNS1_27merge_sort_block_merge_implIS3_PlPS5_mZN2at6native12_GLOBAL__N_124unique_dim_cuda_templateIdEESt5tupleIJNSA_6TensorESF_SF_EERKSF_lbbbEUlllE_EE10hipError_tT0_T1_T2_jT3_P12ihipStream_tbPNSt15iterator_traitsISL_E10value_typeEPNSR_ISM_E10value_typeEPSN_NS1_7vsmem_tEENKUlT_SL_SM_SN_E_clIS8_S8_S9_S9_EESK_S10_SL_SM_SN_EUlS10_E1_NS1_11comp_targetILNS1_3genE5ELNS1_11target_archE942ELNS1_3gpuE9ELNS1_3repE0EEENS1_36merge_oddeven_config_static_selectorELNS0_4arch9wavefront6targetE0EEEvSM_,"axG",@progbits,_ZN7rocprim17ROCPRIM_400000_NS6detail17trampoline_kernelINS0_14default_configENS1_38merge_sort_block_merge_config_selectorIlNS0_10empty_typeEEEZZNS1_27merge_sort_block_merge_implIS3_PlPS5_mZN2at6native12_GLOBAL__N_124unique_dim_cuda_templateIdEESt5tupleIJNSA_6TensorESF_SF_EERKSF_lbbbEUlllE_EE10hipError_tT0_T1_T2_jT3_P12ihipStream_tbPNSt15iterator_traitsISL_E10value_typeEPNSR_ISM_E10value_typeEPSN_NS1_7vsmem_tEENKUlT_SL_SM_SN_E_clIS8_S8_S9_S9_EESK_S10_SL_SM_SN_EUlS10_E1_NS1_11comp_targetILNS1_3genE5ELNS1_11target_archE942ELNS1_3gpuE9ELNS1_3repE0EEENS1_36merge_oddeven_config_static_selectorELNS0_4arch9wavefront6targetE0EEEvSM_,comdat
.Lfunc_end776:
	.size	_ZN7rocprim17ROCPRIM_400000_NS6detail17trampoline_kernelINS0_14default_configENS1_38merge_sort_block_merge_config_selectorIlNS0_10empty_typeEEEZZNS1_27merge_sort_block_merge_implIS3_PlPS5_mZN2at6native12_GLOBAL__N_124unique_dim_cuda_templateIdEESt5tupleIJNSA_6TensorESF_SF_EERKSF_lbbbEUlllE_EE10hipError_tT0_T1_T2_jT3_P12ihipStream_tbPNSt15iterator_traitsISL_E10value_typeEPNSR_ISM_E10value_typeEPSN_NS1_7vsmem_tEENKUlT_SL_SM_SN_E_clIS8_S8_S9_S9_EESK_S10_SL_SM_SN_EUlS10_E1_NS1_11comp_targetILNS1_3genE5ELNS1_11target_archE942ELNS1_3gpuE9ELNS1_3repE0EEENS1_36merge_oddeven_config_static_selectorELNS0_4arch9wavefront6targetE0EEEvSM_, .Lfunc_end776-_ZN7rocprim17ROCPRIM_400000_NS6detail17trampoline_kernelINS0_14default_configENS1_38merge_sort_block_merge_config_selectorIlNS0_10empty_typeEEEZZNS1_27merge_sort_block_merge_implIS3_PlPS5_mZN2at6native12_GLOBAL__N_124unique_dim_cuda_templateIdEESt5tupleIJNSA_6TensorESF_SF_EERKSF_lbbbEUlllE_EE10hipError_tT0_T1_T2_jT3_P12ihipStream_tbPNSt15iterator_traitsISL_E10value_typeEPNSR_ISM_E10value_typeEPSN_NS1_7vsmem_tEENKUlT_SL_SM_SN_E_clIS8_S8_S9_S9_EESK_S10_SL_SM_SN_EUlS10_E1_NS1_11comp_targetILNS1_3genE5ELNS1_11target_archE942ELNS1_3gpuE9ELNS1_3repE0EEENS1_36merge_oddeven_config_static_selectorELNS0_4arch9wavefront6targetE0EEEvSM_
                                        ; -- End function
	.set _ZN7rocprim17ROCPRIM_400000_NS6detail17trampoline_kernelINS0_14default_configENS1_38merge_sort_block_merge_config_selectorIlNS0_10empty_typeEEEZZNS1_27merge_sort_block_merge_implIS3_PlPS5_mZN2at6native12_GLOBAL__N_124unique_dim_cuda_templateIdEESt5tupleIJNSA_6TensorESF_SF_EERKSF_lbbbEUlllE_EE10hipError_tT0_T1_T2_jT3_P12ihipStream_tbPNSt15iterator_traitsISL_E10value_typeEPNSR_ISM_E10value_typeEPSN_NS1_7vsmem_tEENKUlT_SL_SM_SN_E_clIS8_S8_S9_S9_EESK_S10_SL_SM_SN_EUlS10_E1_NS1_11comp_targetILNS1_3genE5ELNS1_11target_archE942ELNS1_3gpuE9ELNS1_3repE0EEENS1_36merge_oddeven_config_static_selectorELNS0_4arch9wavefront6targetE0EEEvSM_.num_vgpr, 0
	.set _ZN7rocprim17ROCPRIM_400000_NS6detail17trampoline_kernelINS0_14default_configENS1_38merge_sort_block_merge_config_selectorIlNS0_10empty_typeEEEZZNS1_27merge_sort_block_merge_implIS3_PlPS5_mZN2at6native12_GLOBAL__N_124unique_dim_cuda_templateIdEESt5tupleIJNSA_6TensorESF_SF_EERKSF_lbbbEUlllE_EE10hipError_tT0_T1_T2_jT3_P12ihipStream_tbPNSt15iterator_traitsISL_E10value_typeEPNSR_ISM_E10value_typeEPSN_NS1_7vsmem_tEENKUlT_SL_SM_SN_E_clIS8_S8_S9_S9_EESK_S10_SL_SM_SN_EUlS10_E1_NS1_11comp_targetILNS1_3genE5ELNS1_11target_archE942ELNS1_3gpuE9ELNS1_3repE0EEENS1_36merge_oddeven_config_static_selectorELNS0_4arch9wavefront6targetE0EEEvSM_.num_agpr, 0
	.set _ZN7rocprim17ROCPRIM_400000_NS6detail17trampoline_kernelINS0_14default_configENS1_38merge_sort_block_merge_config_selectorIlNS0_10empty_typeEEEZZNS1_27merge_sort_block_merge_implIS3_PlPS5_mZN2at6native12_GLOBAL__N_124unique_dim_cuda_templateIdEESt5tupleIJNSA_6TensorESF_SF_EERKSF_lbbbEUlllE_EE10hipError_tT0_T1_T2_jT3_P12ihipStream_tbPNSt15iterator_traitsISL_E10value_typeEPNSR_ISM_E10value_typeEPSN_NS1_7vsmem_tEENKUlT_SL_SM_SN_E_clIS8_S8_S9_S9_EESK_S10_SL_SM_SN_EUlS10_E1_NS1_11comp_targetILNS1_3genE5ELNS1_11target_archE942ELNS1_3gpuE9ELNS1_3repE0EEENS1_36merge_oddeven_config_static_selectorELNS0_4arch9wavefront6targetE0EEEvSM_.numbered_sgpr, 0
	.set _ZN7rocprim17ROCPRIM_400000_NS6detail17trampoline_kernelINS0_14default_configENS1_38merge_sort_block_merge_config_selectorIlNS0_10empty_typeEEEZZNS1_27merge_sort_block_merge_implIS3_PlPS5_mZN2at6native12_GLOBAL__N_124unique_dim_cuda_templateIdEESt5tupleIJNSA_6TensorESF_SF_EERKSF_lbbbEUlllE_EE10hipError_tT0_T1_T2_jT3_P12ihipStream_tbPNSt15iterator_traitsISL_E10value_typeEPNSR_ISM_E10value_typeEPSN_NS1_7vsmem_tEENKUlT_SL_SM_SN_E_clIS8_S8_S9_S9_EESK_S10_SL_SM_SN_EUlS10_E1_NS1_11comp_targetILNS1_3genE5ELNS1_11target_archE942ELNS1_3gpuE9ELNS1_3repE0EEENS1_36merge_oddeven_config_static_selectorELNS0_4arch9wavefront6targetE0EEEvSM_.num_named_barrier, 0
	.set _ZN7rocprim17ROCPRIM_400000_NS6detail17trampoline_kernelINS0_14default_configENS1_38merge_sort_block_merge_config_selectorIlNS0_10empty_typeEEEZZNS1_27merge_sort_block_merge_implIS3_PlPS5_mZN2at6native12_GLOBAL__N_124unique_dim_cuda_templateIdEESt5tupleIJNSA_6TensorESF_SF_EERKSF_lbbbEUlllE_EE10hipError_tT0_T1_T2_jT3_P12ihipStream_tbPNSt15iterator_traitsISL_E10value_typeEPNSR_ISM_E10value_typeEPSN_NS1_7vsmem_tEENKUlT_SL_SM_SN_E_clIS8_S8_S9_S9_EESK_S10_SL_SM_SN_EUlS10_E1_NS1_11comp_targetILNS1_3genE5ELNS1_11target_archE942ELNS1_3gpuE9ELNS1_3repE0EEENS1_36merge_oddeven_config_static_selectorELNS0_4arch9wavefront6targetE0EEEvSM_.private_seg_size, 0
	.set _ZN7rocprim17ROCPRIM_400000_NS6detail17trampoline_kernelINS0_14default_configENS1_38merge_sort_block_merge_config_selectorIlNS0_10empty_typeEEEZZNS1_27merge_sort_block_merge_implIS3_PlPS5_mZN2at6native12_GLOBAL__N_124unique_dim_cuda_templateIdEESt5tupleIJNSA_6TensorESF_SF_EERKSF_lbbbEUlllE_EE10hipError_tT0_T1_T2_jT3_P12ihipStream_tbPNSt15iterator_traitsISL_E10value_typeEPNSR_ISM_E10value_typeEPSN_NS1_7vsmem_tEENKUlT_SL_SM_SN_E_clIS8_S8_S9_S9_EESK_S10_SL_SM_SN_EUlS10_E1_NS1_11comp_targetILNS1_3genE5ELNS1_11target_archE942ELNS1_3gpuE9ELNS1_3repE0EEENS1_36merge_oddeven_config_static_selectorELNS0_4arch9wavefront6targetE0EEEvSM_.uses_vcc, 0
	.set _ZN7rocprim17ROCPRIM_400000_NS6detail17trampoline_kernelINS0_14default_configENS1_38merge_sort_block_merge_config_selectorIlNS0_10empty_typeEEEZZNS1_27merge_sort_block_merge_implIS3_PlPS5_mZN2at6native12_GLOBAL__N_124unique_dim_cuda_templateIdEESt5tupleIJNSA_6TensorESF_SF_EERKSF_lbbbEUlllE_EE10hipError_tT0_T1_T2_jT3_P12ihipStream_tbPNSt15iterator_traitsISL_E10value_typeEPNSR_ISM_E10value_typeEPSN_NS1_7vsmem_tEENKUlT_SL_SM_SN_E_clIS8_S8_S9_S9_EESK_S10_SL_SM_SN_EUlS10_E1_NS1_11comp_targetILNS1_3genE5ELNS1_11target_archE942ELNS1_3gpuE9ELNS1_3repE0EEENS1_36merge_oddeven_config_static_selectorELNS0_4arch9wavefront6targetE0EEEvSM_.uses_flat_scratch, 0
	.set _ZN7rocprim17ROCPRIM_400000_NS6detail17trampoline_kernelINS0_14default_configENS1_38merge_sort_block_merge_config_selectorIlNS0_10empty_typeEEEZZNS1_27merge_sort_block_merge_implIS3_PlPS5_mZN2at6native12_GLOBAL__N_124unique_dim_cuda_templateIdEESt5tupleIJNSA_6TensorESF_SF_EERKSF_lbbbEUlllE_EE10hipError_tT0_T1_T2_jT3_P12ihipStream_tbPNSt15iterator_traitsISL_E10value_typeEPNSR_ISM_E10value_typeEPSN_NS1_7vsmem_tEENKUlT_SL_SM_SN_E_clIS8_S8_S9_S9_EESK_S10_SL_SM_SN_EUlS10_E1_NS1_11comp_targetILNS1_3genE5ELNS1_11target_archE942ELNS1_3gpuE9ELNS1_3repE0EEENS1_36merge_oddeven_config_static_selectorELNS0_4arch9wavefront6targetE0EEEvSM_.has_dyn_sized_stack, 0
	.set _ZN7rocprim17ROCPRIM_400000_NS6detail17trampoline_kernelINS0_14default_configENS1_38merge_sort_block_merge_config_selectorIlNS0_10empty_typeEEEZZNS1_27merge_sort_block_merge_implIS3_PlPS5_mZN2at6native12_GLOBAL__N_124unique_dim_cuda_templateIdEESt5tupleIJNSA_6TensorESF_SF_EERKSF_lbbbEUlllE_EE10hipError_tT0_T1_T2_jT3_P12ihipStream_tbPNSt15iterator_traitsISL_E10value_typeEPNSR_ISM_E10value_typeEPSN_NS1_7vsmem_tEENKUlT_SL_SM_SN_E_clIS8_S8_S9_S9_EESK_S10_SL_SM_SN_EUlS10_E1_NS1_11comp_targetILNS1_3genE5ELNS1_11target_archE942ELNS1_3gpuE9ELNS1_3repE0EEENS1_36merge_oddeven_config_static_selectorELNS0_4arch9wavefront6targetE0EEEvSM_.has_recursion, 0
	.set _ZN7rocprim17ROCPRIM_400000_NS6detail17trampoline_kernelINS0_14default_configENS1_38merge_sort_block_merge_config_selectorIlNS0_10empty_typeEEEZZNS1_27merge_sort_block_merge_implIS3_PlPS5_mZN2at6native12_GLOBAL__N_124unique_dim_cuda_templateIdEESt5tupleIJNSA_6TensorESF_SF_EERKSF_lbbbEUlllE_EE10hipError_tT0_T1_T2_jT3_P12ihipStream_tbPNSt15iterator_traitsISL_E10value_typeEPNSR_ISM_E10value_typeEPSN_NS1_7vsmem_tEENKUlT_SL_SM_SN_E_clIS8_S8_S9_S9_EESK_S10_SL_SM_SN_EUlS10_E1_NS1_11comp_targetILNS1_3genE5ELNS1_11target_archE942ELNS1_3gpuE9ELNS1_3repE0EEENS1_36merge_oddeven_config_static_selectorELNS0_4arch9wavefront6targetE0EEEvSM_.has_indirect_call, 0
	.section	.AMDGPU.csdata,"",@progbits
; Kernel info:
; codeLenInByte = 0
; TotalNumSgprs: 0
; NumVgprs: 0
; ScratchSize: 0
; MemoryBound: 0
; FloatMode: 240
; IeeeMode: 1
; LDSByteSize: 0 bytes/workgroup (compile time only)
; SGPRBlocks: 0
; VGPRBlocks: 0
; NumSGPRsForWavesPerEU: 1
; NumVGPRsForWavesPerEU: 1
; NamedBarCnt: 0
; Occupancy: 16
; WaveLimiterHint : 0
; COMPUTE_PGM_RSRC2:SCRATCH_EN: 0
; COMPUTE_PGM_RSRC2:USER_SGPR: 2
; COMPUTE_PGM_RSRC2:TRAP_HANDLER: 0
; COMPUTE_PGM_RSRC2:TGID_X_EN: 1
; COMPUTE_PGM_RSRC2:TGID_Y_EN: 0
; COMPUTE_PGM_RSRC2:TGID_Z_EN: 0
; COMPUTE_PGM_RSRC2:TIDIG_COMP_CNT: 0
	.section	.text._ZN7rocprim17ROCPRIM_400000_NS6detail17trampoline_kernelINS0_14default_configENS1_38merge_sort_block_merge_config_selectorIlNS0_10empty_typeEEEZZNS1_27merge_sort_block_merge_implIS3_PlPS5_mZN2at6native12_GLOBAL__N_124unique_dim_cuda_templateIdEESt5tupleIJNSA_6TensorESF_SF_EERKSF_lbbbEUlllE_EE10hipError_tT0_T1_T2_jT3_P12ihipStream_tbPNSt15iterator_traitsISL_E10value_typeEPNSR_ISM_E10value_typeEPSN_NS1_7vsmem_tEENKUlT_SL_SM_SN_E_clIS8_S8_S9_S9_EESK_S10_SL_SM_SN_EUlS10_E1_NS1_11comp_targetILNS1_3genE4ELNS1_11target_archE910ELNS1_3gpuE8ELNS1_3repE0EEENS1_36merge_oddeven_config_static_selectorELNS0_4arch9wavefront6targetE0EEEvSM_,"axG",@progbits,_ZN7rocprim17ROCPRIM_400000_NS6detail17trampoline_kernelINS0_14default_configENS1_38merge_sort_block_merge_config_selectorIlNS0_10empty_typeEEEZZNS1_27merge_sort_block_merge_implIS3_PlPS5_mZN2at6native12_GLOBAL__N_124unique_dim_cuda_templateIdEESt5tupleIJNSA_6TensorESF_SF_EERKSF_lbbbEUlllE_EE10hipError_tT0_T1_T2_jT3_P12ihipStream_tbPNSt15iterator_traitsISL_E10value_typeEPNSR_ISM_E10value_typeEPSN_NS1_7vsmem_tEENKUlT_SL_SM_SN_E_clIS8_S8_S9_S9_EESK_S10_SL_SM_SN_EUlS10_E1_NS1_11comp_targetILNS1_3genE4ELNS1_11target_archE910ELNS1_3gpuE8ELNS1_3repE0EEENS1_36merge_oddeven_config_static_selectorELNS0_4arch9wavefront6targetE0EEEvSM_,comdat
	.globl	_ZN7rocprim17ROCPRIM_400000_NS6detail17trampoline_kernelINS0_14default_configENS1_38merge_sort_block_merge_config_selectorIlNS0_10empty_typeEEEZZNS1_27merge_sort_block_merge_implIS3_PlPS5_mZN2at6native12_GLOBAL__N_124unique_dim_cuda_templateIdEESt5tupleIJNSA_6TensorESF_SF_EERKSF_lbbbEUlllE_EE10hipError_tT0_T1_T2_jT3_P12ihipStream_tbPNSt15iterator_traitsISL_E10value_typeEPNSR_ISM_E10value_typeEPSN_NS1_7vsmem_tEENKUlT_SL_SM_SN_E_clIS8_S8_S9_S9_EESK_S10_SL_SM_SN_EUlS10_E1_NS1_11comp_targetILNS1_3genE4ELNS1_11target_archE910ELNS1_3gpuE8ELNS1_3repE0EEENS1_36merge_oddeven_config_static_selectorELNS0_4arch9wavefront6targetE0EEEvSM_ ; -- Begin function _ZN7rocprim17ROCPRIM_400000_NS6detail17trampoline_kernelINS0_14default_configENS1_38merge_sort_block_merge_config_selectorIlNS0_10empty_typeEEEZZNS1_27merge_sort_block_merge_implIS3_PlPS5_mZN2at6native12_GLOBAL__N_124unique_dim_cuda_templateIdEESt5tupleIJNSA_6TensorESF_SF_EERKSF_lbbbEUlllE_EE10hipError_tT0_T1_T2_jT3_P12ihipStream_tbPNSt15iterator_traitsISL_E10value_typeEPNSR_ISM_E10value_typeEPSN_NS1_7vsmem_tEENKUlT_SL_SM_SN_E_clIS8_S8_S9_S9_EESK_S10_SL_SM_SN_EUlS10_E1_NS1_11comp_targetILNS1_3genE4ELNS1_11target_archE910ELNS1_3gpuE8ELNS1_3repE0EEENS1_36merge_oddeven_config_static_selectorELNS0_4arch9wavefront6targetE0EEEvSM_
	.p2align	8
	.type	_ZN7rocprim17ROCPRIM_400000_NS6detail17trampoline_kernelINS0_14default_configENS1_38merge_sort_block_merge_config_selectorIlNS0_10empty_typeEEEZZNS1_27merge_sort_block_merge_implIS3_PlPS5_mZN2at6native12_GLOBAL__N_124unique_dim_cuda_templateIdEESt5tupleIJNSA_6TensorESF_SF_EERKSF_lbbbEUlllE_EE10hipError_tT0_T1_T2_jT3_P12ihipStream_tbPNSt15iterator_traitsISL_E10value_typeEPNSR_ISM_E10value_typeEPSN_NS1_7vsmem_tEENKUlT_SL_SM_SN_E_clIS8_S8_S9_S9_EESK_S10_SL_SM_SN_EUlS10_E1_NS1_11comp_targetILNS1_3genE4ELNS1_11target_archE910ELNS1_3gpuE8ELNS1_3repE0EEENS1_36merge_oddeven_config_static_selectorELNS0_4arch9wavefront6targetE0EEEvSM_,@function
_ZN7rocprim17ROCPRIM_400000_NS6detail17trampoline_kernelINS0_14default_configENS1_38merge_sort_block_merge_config_selectorIlNS0_10empty_typeEEEZZNS1_27merge_sort_block_merge_implIS3_PlPS5_mZN2at6native12_GLOBAL__N_124unique_dim_cuda_templateIdEESt5tupleIJNSA_6TensorESF_SF_EERKSF_lbbbEUlllE_EE10hipError_tT0_T1_T2_jT3_P12ihipStream_tbPNSt15iterator_traitsISL_E10value_typeEPNSR_ISM_E10value_typeEPSN_NS1_7vsmem_tEENKUlT_SL_SM_SN_E_clIS8_S8_S9_S9_EESK_S10_SL_SM_SN_EUlS10_E1_NS1_11comp_targetILNS1_3genE4ELNS1_11target_archE910ELNS1_3gpuE8ELNS1_3repE0EEENS1_36merge_oddeven_config_static_selectorELNS0_4arch9wavefront6targetE0EEEvSM_: ; @_ZN7rocprim17ROCPRIM_400000_NS6detail17trampoline_kernelINS0_14default_configENS1_38merge_sort_block_merge_config_selectorIlNS0_10empty_typeEEEZZNS1_27merge_sort_block_merge_implIS3_PlPS5_mZN2at6native12_GLOBAL__N_124unique_dim_cuda_templateIdEESt5tupleIJNSA_6TensorESF_SF_EERKSF_lbbbEUlllE_EE10hipError_tT0_T1_T2_jT3_P12ihipStream_tbPNSt15iterator_traitsISL_E10value_typeEPNSR_ISM_E10value_typeEPSN_NS1_7vsmem_tEENKUlT_SL_SM_SN_E_clIS8_S8_S9_S9_EESK_S10_SL_SM_SN_EUlS10_E1_NS1_11comp_targetILNS1_3genE4ELNS1_11target_archE910ELNS1_3gpuE8ELNS1_3repE0EEENS1_36merge_oddeven_config_static_selectorELNS0_4arch9wavefront6targetE0EEEvSM_
; %bb.0:
	.section	.rodata,"a",@progbits
	.p2align	6, 0x0
	.amdhsa_kernel _ZN7rocprim17ROCPRIM_400000_NS6detail17trampoline_kernelINS0_14default_configENS1_38merge_sort_block_merge_config_selectorIlNS0_10empty_typeEEEZZNS1_27merge_sort_block_merge_implIS3_PlPS5_mZN2at6native12_GLOBAL__N_124unique_dim_cuda_templateIdEESt5tupleIJNSA_6TensorESF_SF_EERKSF_lbbbEUlllE_EE10hipError_tT0_T1_T2_jT3_P12ihipStream_tbPNSt15iterator_traitsISL_E10value_typeEPNSR_ISM_E10value_typeEPSN_NS1_7vsmem_tEENKUlT_SL_SM_SN_E_clIS8_S8_S9_S9_EESK_S10_SL_SM_SN_EUlS10_E1_NS1_11comp_targetILNS1_3genE4ELNS1_11target_archE910ELNS1_3gpuE8ELNS1_3repE0EEENS1_36merge_oddeven_config_static_selectorELNS0_4arch9wavefront6targetE0EEEvSM_
		.amdhsa_group_segment_fixed_size 0
		.amdhsa_private_segment_fixed_size 0
		.amdhsa_kernarg_size 64
		.amdhsa_user_sgpr_count 2
		.amdhsa_user_sgpr_dispatch_ptr 0
		.amdhsa_user_sgpr_queue_ptr 0
		.amdhsa_user_sgpr_kernarg_segment_ptr 1
		.amdhsa_user_sgpr_dispatch_id 0
		.amdhsa_user_sgpr_kernarg_preload_length 0
		.amdhsa_user_sgpr_kernarg_preload_offset 0
		.amdhsa_user_sgpr_private_segment_size 0
		.amdhsa_wavefront_size32 1
		.amdhsa_uses_dynamic_stack 0
		.amdhsa_enable_private_segment 0
		.amdhsa_system_sgpr_workgroup_id_x 1
		.amdhsa_system_sgpr_workgroup_id_y 0
		.amdhsa_system_sgpr_workgroup_id_z 0
		.amdhsa_system_sgpr_workgroup_info 0
		.amdhsa_system_vgpr_workitem_id 0
		.amdhsa_next_free_vgpr 1
		.amdhsa_next_free_sgpr 1
		.amdhsa_named_barrier_count 0
		.amdhsa_reserve_vcc 0
		.amdhsa_float_round_mode_32 0
		.amdhsa_float_round_mode_16_64 0
		.amdhsa_float_denorm_mode_32 3
		.amdhsa_float_denorm_mode_16_64 3
		.amdhsa_fp16_overflow 0
		.amdhsa_memory_ordered 1
		.amdhsa_forward_progress 1
		.amdhsa_inst_pref_size 0
		.amdhsa_round_robin_scheduling 0
		.amdhsa_exception_fp_ieee_invalid_op 0
		.amdhsa_exception_fp_denorm_src 0
		.amdhsa_exception_fp_ieee_div_zero 0
		.amdhsa_exception_fp_ieee_overflow 0
		.amdhsa_exception_fp_ieee_underflow 0
		.amdhsa_exception_fp_ieee_inexact 0
		.amdhsa_exception_int_div_zero 0
	.end_amdhsa_kernel
	.section	.text._ZN7rocprim17ROCPRIM_400000_NS6detail17trampoline_kernelINS0_14default_configENS1_38merge_sort_block_merge_config_selectorIlNS0_10empty_typeEEEZZNS1_27merge_sort_block_merge_implIS3_PlPS5_mZN2at6native12_GLOBAL__N_124unique_dim_cuda_templateIdEESt5tupleIJNSA_6TensorESF_SF_EERKSF_lbbbEUlllE_EE10hipError_tT0_T1_T2_jT3_P12ihipStream_tbPNSt15iterator_traitsISL_E10value_typeEPNSR_ISM_E10value_typeEPSN_NS1_7vsmem_tEENKUlT_SL_SM_SN_E_clIS8_S8_S9_S9_EESK_S10_SL_SM_SN_EUlS10_E1_NS1_11comp_targetILNS1_3genE4ELNS1_11target_archE910ELNS1_3gpuE8ELNS1_3repE0EEENS1_36merge_oddeven_config_static_selectorELNS0_4arch9wavefront6targetE0EEEvSM_,"axG",@progbits,_ZN7rocprim17ROCPRIM_400000_NS6detail17trampoline_kernelINS0_14default_configENS1_38merge_sort_block_merge_config_selectorIlNS0_10empty_typeEEEZZNS1_27merge_sort_block_merge_implIS3_PlPS5_mZN2at6native12_GLOBAL__N_124unique_dim_cuda_templateIdEESt5tupleIJNSA_6TensorESF_SF_EERKSF_lbbbEUlllE_EE10hipError_tT0_T1_T2_jT3_P12ihipStream_tbPNSt15iterator_traitsISL_E10value_typeEPNSR_ISM_E10value_typeEPSN_NS1_7vsmem_tEENKUlT_SL_SM_SN_E_clIS8_S8_S9_S9_EESK_S10_SL_SM_SN_EUlS10_E1_NS1_11comp_targetILNS1_3genE4ELNS1_11target_archE910ELNS1_3gpuE8ELNS1_3repE0EEENS1_36merge_oddeven_config_static_selectorELNS0_4arch9wavefront6targetE0EEEvSM_,comdat
.Lfunc_end777:
	.size	_ZN7rocprim17ROCPRIM_400000_NS6detail17trampoline_kernelINS0_14default_configENS1_38merge_sort_block_merge_config_selectorIlNS0_10empty_typeEEEZZNS1_27merge_sort_block_merge_implIS3_PlPS5_mZN2at6native12_GLOBAL__N_124unique_dim_cuda_templateIdEESt5tupleIJNSA_6TensorESF_SF_EERKSF_lbbbEUlllE_EE10hipError_tT0_T1_T2_jT3_P12ihipStream_tbPNSt15iterator_traitsISL_E10value_typeEPNSR_ISM_E10value_typeEPSN_NS1_7vsmem_tEENKUlT_SL_SM_SN_E_clIS8_S8_S9_S9_EESK_S10_SL_SM_SN_EUlS10_E1_NS1_11comp_targetILNS1_3genE4ELNS1_11target_archE910ELNS1_3gpuE8ELNS1_3repE0EEENS1_36merge_oddeven_config_static_selectorELNS0_4arch9wavefront6targetE0EEEvSM_, .Lfunc_end777-_ZN7rocprim17ROCPRIM_400000_NS6detail17trampoline_kernelINS0_14default_configENS1_38merge_sort_block_merge_config_selectorIlNS0_10empty_typeEEEZZNS1_27merge_sort_block_merge_implIS3_PlPS5_mZN2at6native12_GLOBAL__N_124unique_dim_cuda_templateIdEESt5tupleIJNSA_6TensorESF_SF_EERKSF_lbbbEUlllE_EE10hipError_tT0_T1_T2_jT3_P12ihipStream_tbPNSt15iterator_traitsISL_E10value_typeEPNSR_ISM_E10value_typeEPSN_NS1_7vsmem_tEENKUlT_SL_SM_SN_E_clIS8_S8_S9_S9_EESK_S10_SL_SM_SN_EUlS10_E1_NS1_11comp_targetILNS1_3genE4ELNS1_11target_archE910ELNS1_3gpuE8ELNS1_3repE0EEENS1_36merge_oddeven_config_static_selectorELNS0_4arch9wavefront6targetE0EEEvSM_
                                        ; -- End function
	.set _ZN7rocprim17ROCPRIM_400000_NS6detail17trampoline_kernelINS0_14default_configENS1_38merge_sort_block_merge_config_selectorIlNS0_10empty_typeEEEZZNS1_27merge_sort_block_merge_implIS3_PlPS5_mZN2at6native12_GLOBAL__N_124unique_dim_cuda_templateIdEESt5tupleIJNSA_6TensorESF_SF_EERKSF_lbbbEUlllE_EE10hipError_tT0_T1_T2_jT3_P12ihipStream_tbPNSt15iterator_traitsISL_E10value_typeEPNSR_ISM_E10value_typeEPSN_NS1_7vsmem_tEENKUlT_SL_SM_SN_E_clIS8_S8_S9_S9_EESK_S10_SL_SM_SN_EUlS10_E1_NS1_11comp_targetILNS1_3genE4ELNS1_11target_archE910ELNS1_3gpuE8ELNS1_3repE0EEENS1_36merge_oddeven_config_static_selectorELNS0_4arch9wavefront6targetE0EEEvSM_.num_vgpr, 0
	.set _ZN7rocprim17ROCPRIM_400000_NS6detail17trampoline_kernelINS0_14default_configENS1_38merge_sort_block_merge_config_selectorIlNS0_10empty_typeEEEZZNS1_27merge_sort_block_merge_implIS3_PlPS5_mZN2at6native12_GLOBAL__N_124unique_dim_cuda_templateIdEESt5tupleIJNSA_6TensorESF_SF_EERKSF_lbbbEUlllE_EE10hipError_tT0_T1_T2_jT3_P12ihipStream_tbPNSt15iterator_traitsISL_E10value_typeEPNSR_ISM_E10value_typeEPSN_NS1_7vsmem_tEENKUlT_SL_SM_SN_E_clIS8_S8_S9_S9_EESK_S10_SL_SM_SN_EUlS10_E1_NS1_11comp_targetILNS1_3genE4ELNS1_11target_archE910ELNS1_3gpuE8ELNS1_3repE0EEENS1_36merge_oddeven_config_static_selectorELNS0_4arch9wavefront6targetE0EEEvSM_.num_agpr, 0
	.set _ZN7rocprim17ROCPRIM_400000_NS6detail17trampoline_kernelINS0_14default_configENS1_38merge_sort_block_merge_config_selectorIlNS0_10empty_typeEEEZZNS1_27merge_sort_block_merge_implIS3_PlPS5_mZN2at6native12_GLOBAL__N_124unique_dim_cuda_templateIdEESt5tupleIJNSA_6TensorESF_SF_EERKSF_lbbbEUlllE_EE10hipError_tT0_T1_T2_jT3_P12ihipStream_tbPNSt15iterator_traitsISL_E10value_typeEPNSR_ISM_E10value_typeEPSN_NS1_7vsmem_tEENKUlT_SL_SM_SN_E_clIS8_S8_S9_S9_EESK_S10_SL_SM_SN_EUlS10_E1_NS1_11comp_targetILNS1_3genE4ELNS1_11target_archE910ELNS1_3gpuE8ELNS1_3repE0EEENS1_36merge_oddeven_config_static_selectorELNS0_4arch9wavefront6targetE0EEEvSM_.numbered_sgpr, 0
	.set _ZN7rocprim17ROCPRIM_400000_NS6detail17trampoline_kernelINS0_14default_configENS1_38merge_sort_block_merge_config_selectorIlNS0_10empty_typeEEEZZNS1_27merge_sort_block_merge_implIS3_PlPS5_mZN2at6native12_GLOBAL__N_124unique_dim_cuda_templateIdEESt5tupleIJNSA_6TensorESF_SF_EERKSF_lbbbEUlllE_EE10hipError_tT0_T1_T2_jT3_P12ihipStream_tbPNSt15iterator_traitsISL_E10value_typeEPNSR_ISM_E10value_typeEPSN_NS1_7vsmem_tEENKUlT_SL_SM_SN_E_clIS8_S8_S9_S9_EESK_S10_SL_SM_SN_EUlS10_E1_NS1_11comp_targetILNS1_3genE4ELNS1_11target_archE910ELNS1_3gpuE8ELNS1_3repE0EEENS1_36merge_oddeven_config_static_selectorELNS0_4arch9wavefront6targetE0EEEvSM_.num_named_barrier, 0
	.set _ZN7rocprim17ROCPRIM_400000_NS6detail17trampoline_kernelINS0_14default_configENS1_38merge_sort_block_merge_config_selectorIlNS0_10empty_typeEEEZZNS1_27merge_sort_block_merge_implIS3_PlPS5_mZN2at6native12_GLOBAL__N_124unique_dim_cuda_templateIdEESt5tupleIJNSA_6TensorESF_SF_EERKSF_lbbbEUlllE_EE10hipError_tT0_T1_T2_jT3_P12ihipStream_tbPNSt15iterator_traitsISL_E10value_typeEPNSR_ISM_E10value_typeEPSN_NS1_7vsmem_tEENKUlT_SL_SM_SN_E_clIS8_S8_S9_S9_EESK_S10_SL_SM_SN_EUlS10_E1_NS1_11comp_targetILNS1_3genE4ELNS1_11target_archE910ELNS1_3gpuE8ELNS1_3repE0EEENS1_36merge_oddeven_config_static_selectorELNS0_4arch9wavefront6targetE0EEEvSM_.private_seg_size, 0
	.set _ZN7rocprim17ROCPRIM_400000_NS6detail17trampoline_kernelINS0_14default_configENS1_38merge_sort_block_merge_config_selectorIlNS0_10empty_typeEEEZZNS1_27merge_sort_block_merge_implIS3_PlPS5_mZN2at6native12_GLOBAL__N_124unique_dim_cuda_templateIdEESt5tupleIJNSA_6TensorESF_SF_EERKSF_lbbbEUlllE_EE10hipError_tT0_T1_T2_jT3_P12ihipStream_tbPNSt15iterator_traitsISL_E10value_typeEPNSR_ISM_E10value_typeEPSN_NS1_7vsmem_tEENKUlT_SL_SM_SN_E_clIS8_S8_S9_S9_EESK_S10_SL_SM_SN_EUlS10_E1_NS1_11comp_targetILNS1_3genE4ELNS1_11target_archE910ELNS1_3gpuE8ELNS1_3repE0EEENS1_36merge_oddeven_config_static_selectorELNS0_4arch9wavefront6targetE0EEEvSM_.uses_vcc, 0
	.set _ZN7rocprim17ROCPRIM_400000_NS6detail17trampoline_kernelINS0_14default_configENS1_38merge_sort_block_merge_config_selectorIlNS0_10empty_typeEEEZZNS1_27merge_sort_block_merge_implIS3_PlPS5_mZN2at6native12_GLOBAL__N_124unique_dim_cuda_templateIdEESt5tupleIJNSA_6TensorESF_SF_EERKSF_lbbbEUlllE_EE10hipError_tT0_T1_T2_jT3_P12ihipStream_tbPNSt15iterator_traitsISL_E10value_typeEPNSR_ISM_E10value_typeEPSN_NS1_7vsmem_tEENKUlT_SL_SM_SN_E_clIS8_S8_S9_S9_EESK_S10_SL_SM_SN_EUlS10_E1_NS1_11comp_targetILNS1_3genE4ELNS1_11target_archE910ELNS1_3gpuE8ELNS1_3repE0EEENS1_36merge_oddeven_config_static_selectorELNS0_4arch9wavefront6targetE0EEEvSM_.uses_flat_scratch, 0
	.set _ZN7rocprim17ROCPRIM_400000_NS6detail17trampoline_kernelINS0_14default_configENS1_38merge_sort_block_merge_config_selectorIlNS0_10empty_typeEEEZZNS1_27merge_sort_block_merge_implIS3_PlPS5_mZN2at6native12_GLOBAL__N_124unique_dim_cuda_templateIdEESt5tupleIJNSA_6TensorESF_SF_EERKSF_lbbbEUlllE_EE10hipError_tT0_T1_T2_jT3_P12ihipStream_tbPNSt15iterator_traitsISL_E10value_typeEPNSR_ISM_E10value_typeEPSN_NS1_7vsmem_tEENKUlT_SL_SM_SN_E_clIS8_S8_S9_S9_EESK_S10_SL_SM_SN_EUlS10_E1_NS1_11comp_targetILNS1_3genE4ELNS1_11target_archE910ELNS1_3gpuE8ELNS1_3repE0EEENS1_36merge_oddeven_config_static_selectorELNS0_4arch9wavefront6targetE0EEEvSM_.has_dyn_sized_stack, 0
	.set _ZN7rocprim17ROCPRIM_400000_NS6detail17trampoline_kernelINS0_14default_configENS1_38merge_sort_block_merge_config_selectorIlNS0_10empty_typeEEEZZNS1_27merge_sort_block_merge_implIS3_PlPS5_mZN2at6native12_GLOBAL__N_124unique_dim_cuda_templateIdEESt5tupleIJNSA_6TensorESF_SF_EERKSF_lbbbEUlllE_EE10hipError_tT0_T1_T2_jT3_P12ihipStream_tbPNSt15iterator_traitsISL_E10value_typeEPNSR_ISM_E10value_typeEPSN_NS1_7vsmem_tEENKUlT_SL_SM_SN_E_clIS8_S8_S9_S9_EESK_S10_SL_SM_SN_EUlS10_E1_NS1_11comp_targetILNS1_3genE4ELNS1_11target_archE910ELNS1_3gpuE8ELNS1_3repE0EEENS1_36merge_oddeven_config_static_selectorELNS0_4arch9wavefront6targetE0EEEvSM_.has_recursion, 0
	.set _ZN7rocprim17ROCPRIM_400000_NS6detail17trampoline_kernelINS0_14default_configENS1_38merge_sort_block_merge_config_selectorIlNS0_10empty_typeEEEZZNS1_27merge_sort_block_merge_implIS3_PlPS5_mZN2at6native12_GLOBAL__N_124unique_dim_cuda_templateIdEESt5tupleIJNSA_6TensorESF_SF_EERKSF_lbbbEUlllE_EE10hipError_tT0_T1_T2_jT3_P12ihipStream_tbPNSt15iterator_traitsISL_E10value_typeEPNSR_ISM_E10value_typeEPSN_NS1_7vsmem_tEENKUlT_SL_SM_SN_E_clIS8_S8_S9_S9_EESK_S10_SL_SM_SN_EUlS10_E1_NS1_11comp_targetILNS1_3genE4ELNS1_11target_archE910ELNS1_3gpuE8ELNS1_3repE0EEENS1_36merge_oddeven_config_static_selectorELNS0_4arch9wavefront6targetE0EEEvSM_.has_indirect_call, 0
	.section	.AMDGPU.csdata,"",@progbits
; Kernel info:
; codeLenInByte = 0
; TotalNumSgprs: 0
; NumVgprs: 0
; ScratchSize: 0
; MemoryBound: 0
; FloatMode: 240
; IeeeMode: 1
; LDSByteSize: 0 bytes/workgroup (compile time only)
; SGPRBlocks: 0
; VGPRBlocks: 0
; NumSGPRsForWavesPerEU: 1
; NumVGPRsForWavesPerEU: 1
; NamedBarCnt: 0
; Occupancy: 16
; WaveLimiterHint : 0
; COMPUTE_PGM_RSRC2:SCRATCH_EN: 0
; COMPUTE_PGM_RSRC2:USER_SGPR: 2
; COMPUTE_PGM_RSRC2:TRAP_HANDLER: 0
; COMPUTE_PGM_RSRC2:TGID_X_EN: 1
; COMPUTE_PGM_RSRC2:TGID_Y_EN: 0
; COMPUTE_PGM_RSRC2:TGID_Z_EN: 0
; COMPUTE_PGM_RSRC2:TIDIG_COMP_CNT: 0
	.section	.text._ZN7rocprim17ROCPRIM_400000_NS6detail17trampoline_kernelINS0_14default_configENS1_38merge_sort_block_merge_config_selectorIlNS0_10empty_typeEEEZZNS1_27merge_sort_block_merge_implIS3_PlPS5_mZN2at6native12_GLOBAL__N_124unique_dim_cuda_templateIdEESt5tupleIJNSA_6TensorESF_SF_EERKSF_lbbbEUlllE_EE10hipError_tT0_T1_T2_jT3_P12ihipStream_tbPNSt15iterator_traitsISL_E10value_typeEPNSR_ISM_E10value_typeEPSN_NS1_7vsmem_tEENKUlT_SL_SM_SN_E_clIS8_S8_S9_S9_EESK_S10_SL_SM_SN_EUlS10_E1_NS1_11comp_targetILNS1_3genE3ELNS1_11target_archE908ELNS1_3gpuE7ELNS1_3repE0EEENS1_36merge_oddeven_config_static_selectorELNS0_4arch9wavefront6targetE0EEEvSM_,"axG",@progbits,_ZN7rocprim17ROCPRIM_400000_NS6detail17trampoline_kernelINS0_14default_configENS1_38merge_sort_block_merge_config_selectorIlNS0_10empty_typeEEEZZNS1_27merge_sort_block_merge_implIS3_PlPS5_mZN2at6native12_GLOBAL__N_124unique_dim_cuda_templateIdEESt5tupleIJNSA_6TensorESF_SF_EERKSF_lbbbEUlllE_EE10hipError_tT0_T1_T2_jT3_P12ihipStream_tbPNSt15iterator_traitsISL_E10value_typeEPNSR_ISM_E10value_typeEPSN_NS1_7vsmem_tEENKUlT_SL_SM_SN_E_clIS8_S8_S9_S9_EESK_S10_SL_SM_SN_EUlS10_E1_NS1_11comp_targetILNS1_3genE3ELNS1_11target_archE908ELNS1_3gpuE7ELNS1_3repE0EEENS1_36merge_oddeven_config_static_selectorELNS0_4arch9wavefront6targetE0EEEvSM_,comdat
	.globl	_ZN7rocprim17ROCPRIM_400000_NS6detail17trampoline_kernelINS0_14default_configENS1_38merge_sort_block_merge_config_selectorIlNS0_10empty_typeEEEZZNS1_27merge_sort_block_merge_implIS3_PlPS5_mZN2at6native12_GLOBAL__N_124unique_dim_cuda_templateIdEESt5tupleIJNSA_6TensorESF_SF_EERKSF_lbbbEUlllE_EE10hipError_tT0_T1_T2_jT3_P12ihipStream_tbPNSt15iterator_traitsISL_E10value_typeEPNSR_ISM_E10value_typeEPSN_NS1_7vsmem_tEENKUlT_SL_SM_SN_E_clIS8_S8_S9_S9_EESK_S10_SL_SM_SN_EUlS10_E1_NS1_11comp_targetILNS1_3genE3ELNS1_11target_archE908ELNS1_3gpuE7ELNS1_3repE0EEENS1_36merge_oddeven_config_static_selectorELNS0_4arch9wavefront6targetE0EEEvSM_ ; -- Begin function _ZN7rocprim17ROCPRIM_400000_NS6detail17trampoline_kernelINS0_14default_configENS1_38merge_sort_block_merge_config_selectorIlNS0_10empty_typeEEEZZNS1_27merge_sort_block_merge_implIS3_PlPS5_mZN2at6native12_GLOBAL__N_124unique_dim_cuda_templateIdEESt5tupleIJNSA_6TensorESF_SF_EERKSF_lbbbEUlllE_EE10hipError_tT0_T1_T2_jT3_P12ihipStream_tbPNSt15iterator_traitsISL_E10value_typeEPNSR_ISM_E10value_typeEPSN_NS1_7vsmem_tEENKUlT_SL_SM_SN_E_clIS8_S8_S9_S9_EESK_S10_SL_SM_SN_EUlS10_E1_NS1_11comp_targetILNS1_3genE3ELNS1_11target_archE908ELNS1_3gpuE7ELNS1_3repE0EEENS1_36merge_oddeven_config_static_selectorELNS0_4arch9wavefront6targetE0EEEvSM_
	.p2align	8
	.type	_ZN7rocprim17ROCPRIM_400000_NS6detail17trampoline_kernelINS0_14default_configENS1_38merge_sort_block_merge_config_selectorIlNS0_10empty_typeEEEZZNS1_27merge_sort_block_merge_implIS3_PlPS5_mZN2at6native12_GLOBAL__N_124unique_dim_cuda_templateIdEESt5tupleIJNSA_6TensorESF_SF_EERKSF_lbbbEUlllE_EE10hipError_tT0_T1_T2_jT3_P12ihipStream_tbPNSt15iterator_traitsISL_E10value_typeEPNSR_ISM_E10value_typeEPSN_NS1_7vsmem_tEENKUlT_SL_SM_SN_E_clIS8_S8_S9_S9_EESK_S10_SL_SM_SN_EUlS10_E1_NS1_11comp_targetILNS1_3genE3ELNS1_11target_archE908ELNS1_3gpuE7ELNS1_3repE0EEENS1_36merge_oddeven_config_static_selectorELNS0_4arch9wavefront6targetE0EEEvSM_,@function
_ZN7rocprim17ROCPRIM_400000_NS6detail17trampoline_kernelINS0_14default_configENS1_38merge_sort_block_merge_config_selectorIlNS0_10empty_typeEEEZZNS1_27merge_sort_block_merge_implIS3_PlPS5_mZN2at6native12_GLOBAL__N_124unique_dim_cuda_templateIdEESt5tupleIJNSA_6TensorESF_SF_EERKSF_lbbbEUlllE_EE10hipError_tT0_T1_T2_jT3_P12ihipStream_tbPNSt15iterator_traitsISL_E10value_typeEPNSR_ISM_E10value_typeEPSN_NS1_7vsmem_tEENKUlT_SL_SM_SN_E_clIS8_S8_S9_S9_EESK_S10_SL_SM_SN_EUlS10_E1_NS1_11comp_targetILNS1_3genE3ELNS1_11target_archE908ELNS1_3gpuE7ELNS1_3repE0EEENS1_36merge_oddeven_config_static_selectorELNS0_4arch9wavefront6targetE0EEEvSM_: ; @_ZN7rocprim17ROCPRIM_400000_NS6detail17trampoline_kernelINS0_14default_configENS1_38merge_sort_block_merge_config_selectorIlNS0_10empty_typeEEEZZNS1_27merge_sort_block_merge_implIS3_PlPS5_mZN2at6native12_GLOBAL__N_124unique_dim_cuda_templateIdEESt5tupleIJNSA_6TensorESF_SF_EERKSF_lbbbEUlllE_EE10hipError_tT0_T1_T2_jT3_P12ihipStream_tbPNSt15iterator_traitsISL_E10value_typeEPNSR_ISM_E10value_typeEPSN_NS1_7vsmem_tEENKUlT_SL_SM_SN_E_clIS8_S8_S9_S9_EESK_S10_SL_SM_SN_EUlS10_E1_NS1_11comp_targetILNS1_3genE3ELNS1_11target_archE908ELNS1_3gpuE7ELNS1_3repE0EEENS1_36merge_oddeven_config_static_selectorELNS0_4arch9wavefront6targetE0EEEvSM_
; %bb.0:
	.section	.rodata,"a",@progbits
	.p2align	6, 0x0
	.amdhsa_kernel _ZN7rocprim17ROCPRIM_400000_NS6detail17trampoline_kernelINS0_14default_configENS1_38merge_sort_block_merge_config_selectorIlNS0_10empty_typeEEEZZNS1_27merge_sort_block_merge_implIS3_PlPS5_mZN2at6native12_GLOBAL__N_124unique_dim_cuda_templateIdEESt5tupleIJNSA_6TensorESF_SF_EERKSF_lbbbEUlllE_EE10hipError_tT0_T1_T2_jT3_P12ihipStream_tbPNSt15iterator_traitsISL_E10value_typeEPNSR_ISM_E10value_typeEPSN_NS1_7vsmem_tEENKUlT_SL_SM_SN_E_clIS8_S8_S9_S9_EESK_S10_SL_SM_SN_EUlS10_E1_NS1_11comp_targetILNS1_3genE3ELNS1_11target_archE908ELNS1_3gpuE7ELNS1_3repE0EEENS1_36merge_oddeven_config_static_selectorELNS0_4arch9wavefront6targetE0EEEvSM_
		.amdhsa_group_segment_fixed_size 0
		.amdhsa_private_segment_fixed_size 0
		.amdhsa_kernarg_size 64
		.amdhsa_user_sgpr_count 2
		.amdhsa_user_sgpr_dispatch_ptr 0
		.amdhsa_user_sgpr_queue_ptr 0
		.amdhsa_user_sgpr_kernarg_segment_ptr 1
		.amdhsa_user_sgpr_dispatch_id 0
		.amdhsa_user_sgpr_kernarg_preload_length 0
		.amdhsa_user_sgpr_kernarg_preload_offset 0
		.amdhsa_user_sgpr_private_segment_size 0
		.amdhsa_wavefront_size32 1
		.amdhsa_uses_dynamic_stack 0
		.amdhsa_enable_private_segment 0
		.amdhsa_system_sgpr_workgroup_id_x 1
		.amdhsa_system_sgpr_workgroup_id_y 0
		.amdhsa_system_sgpr_workgroup_id_z 0
		.amdhsa_system_sgpr_workgroup_info 0
		.amdhsa_system_vgpr_workitem_id 0
		.amdhsa_next_free_vgpr 1
		.amdhsa_next_free_sgpr 1
		.amdhsa_named_barrier_count 0
		.amdhsa_reserve_vcc 0
		.amdhsa_float_round_mode_32 0
		.amdhsa_float_round_mode_16_64 0
		.amdhsa_float_denorm_mode_32 3
		.amdhsa_float_denorm_mode_16_64 3
		.amdhsa_fp16_overflow 0
		.amdhsa_memory_ordered 1
		.amdhsa_forward_progress 1
		.amdhsa_inst_pref_size 0
		.amdhsa_round_robin_scheduling 0
		.amdhsa_exception_fp_ieee_invalid_op 0
		.amdhsa_exception_fp_denorm_src 0
		.amdhsa_exception_fp_ieee_div_zero 0
		.amdhsa_exception_fp_ieee_overflow 0
		.amdhsa_exception_fp_ieee_underflow 0
		.amdhsa_exception_fp_ieee_inexact 0
		.amdhsa_exception_int_div_zero 0
	.end_amdhsa_kernel
	.section	.text._ZN7rocprim17ROCPRIM_400000_NS6detail17trampoline_kernelINS0_14default_configENS1_38merge_sort_block_merge_config_selectorIlNS0_10empty_typeEEEZZNS1_27merge_sort_block_merge_implIS3_PlPS5_mZN2at6native12_GLOBAL__N_124unique_dim_cuda_templateIdEESt5tupleIJNSA_6TensorESF_SF_EERKSF_lbbbEUlllE_EE10hipError_tT0_T1_T2_jT3_P12ihipStream_tbPNSt15iterator_traitsISL_E10value_typeEPNSR_ISM_E10value_typeEPSN_NS1_7vsmem_tEENKUlT_SL_SM_SN_E_clIS8_S8_S9_S9_EESK_S10_SL_SM_SN_EUlS10_E1_NS1_11comp_targetILNS1_3genE3ELNS1_11target_archE908ELNS1_3gpuE7ELNS1_3repE0EEENS1_36merge_oddeven_config_static_selectorELNS0_4arch9wavefront6targetE0EEEvSM_,"axG",@progbits,_ZN7rocprim17ROCPRIM_400000_NS6detail17trampoline_kernelINS0_14default_configENS1_38merge_sort_block_merge_config_selectorIlNS0_10empty_typeEEEZZNS1_27merge_sort_block_merge_implIS3_PlPS5_mZN2at6native12_GLOBAL__N_124unique_dim_cuda_templateIdEESt5tupleIJNSA_6TensorESF_SF_EERKSF_lbbbEUlllE_EE10hipError_tT0_T1_T2_jT3_P12ihipStream_tbPNSt15iterator_traitsISL_E10value_typeEPNSR_ISM_E10value_typeEPSN_NS1_7vsmem_tEENKUlT_SL_SM_SN_E_clIS8_S8_S9_S9_EESK_S10_SL_SM_SN_EUlS10_E1_NS1_11comp_targetILNS1_3genE3ELNS1_11target_archE908ELNS1_3gpuE7ELNS1_3repE0EEENS1_36merge_oddeven_config_static_selectorELNS0_4arch9wavefront6targetE0EEEvSM_,comdat
.Lfunc_end778:
	.size	_ZN7rocprim17ROCPRIM_400000_NS6detail17trampoline_kernelINS0_14default_configENS1_38merge_sort_block_merge_config_selectorIlNS0_10empty_typeEEEZZNS1_27merge_sort_block_merge_implIS3_PlPS5_mZN2at6native12_GLOBAL__N_124unique_dim_cuda_templateIdEESt5tupleIJNSA_6TensorESF_SF_EERKSF_lbbbEUlllE_EE10hipError_tT0_T1_T2_jT3_P12ihipStream_tbPNSt15iterator_traitsISL_E10value_typeEPNSR_ISM_E10value_typeEPSN_NS1_7vsmem_tEENKUlT_SL_SM_SN_E_clIS8_S8_S9_S9_EESK_S10_SL_SM_SN_EUlS10_E1_NS1_11comp_targetILNS1_3genE3ELNS1_11target_archE908ELNS1_3gpuE7ELNS1_3repE0EEENS1_36merge_oddeven_config_static_selectorELNS0_4arch9wavefront6targetE0EEEvSM_, .Lfunc_end778-_ZN7rocprim17ROCPRIM_400000_NS6detail17trampoline_kernelINS0_14default_configENS1_38merge_sort_block_merge_config_selectorIlNS0_10empty_typeEEEZZNS1_27merge_sort_block_merge_implIS3_PlPS5_mZN2at6native12_GLOBAL__N_124unique_dim_cuda_templateIdEESt5tupleIJNSA_6TensorESF_SF_EERKSF_lbbbEUlllE_EE10hipError_tT0_T1_T2_jT3_P12ihipStream_tbPNSt15iterator_traitsISL_E10value_typeEPNSR_ISM_E10value_typeEPSN_NS1_7vsmem_tEENKUlT_SL_SM_SN_E_clIS8_S8_S9_S9_EESK_S10_SL_SM_SN_EUlS10_E1_NS1_11comp_targetILNS1_3genE3ELNS1_11target_archE908ELNS1_3gpuE7ELNS1_3repE0EEENS1_36merge_oddeven_config_static_selectorELNS0_4arch9wavefront6targetE0EEEvSM_
                                        ; -- End function
	.set _ZN7rocprim17ROCPRIM_400000_NS6detail17trampoline_kernelINS0_14default_configENS1_38merge_sort_block_merge_config_selectorIlNS0_10empty_typeEEEZZNS1_27merge_sort_block_merge_implIS3_PlPS5_mZN2at6native12_GLOBAL__N_124unique_dim_cuda_templateIdEESt5tupleIJNSA_6TensorESF_SF_EERKSF_lbbbEUlllE_EE10hipError_tT0_T1_T2_jT3_P12ihipStream_tbPNSt15iterator_traitsISL_E10value_typeEPNSR_ISM_E10value_typeEPSN_NS1_7vsmem_tEENKUlT_SL_SM_SN_E_clIS8_S8_S9_S9_EESK_S10_SL_SM_SN_EUlS10_E1_NS1_11comp_targetILNS1_3genE3ELNS1_11target_archE908ELNS1_3gpuE7ELNS1_3repE0EEENS1_36merge_oddeven_config_static_selectorELNS0_4arch9wavefront6targetE0EEEvSM_.num_vgpr, 0
	.set _ZN7rocprim17ROCPRIM_400000_NS6detail17trampoline_kernelINS0_14default_configENS1_38merge_sort_block_merge_config_selectorIlNS0_10empty_typeEEEZZNS1_27merge_sort_block_merge_implIS3_PlPS5_mZN2at6native12_GLOBAL__N_124unique_dim_cuda_templateIdEESt5tupleIJNSA_6TensorESF_SF_EERKSF_lbbbEUlllE_EE10hipError_tT0_T1_T2_jT3_P12ihipStream_tbPNSt15iterator_traitsISL_E10value_typeEPNSR_ISM_E10value_typeEPSN_NS1_7vsmem_tEENKUlT_SL_SM_SN_E_clIS8_S8_S9_S9_EESK_S10_SL_SM_SN_EUlS10_E1_NS1_11comp_targetILNS1_3genE3ELNS1_11target_archE908ELNS1_3gpuE7ELNS1_3repE0EEENS1_36merge_oddeven_config_static_selectorELNS0_4arch9wavefront6targetE0EEEvSM_.num_agpr, 0
	.set _ZN7rocprim17ROCPRIM_400000_NS6detail17trampoline_kernelINS0_14default_configENS1_38merge_sort_block_merge_config_selectorIlNS0_10empty_typeEEEZZNS1_27merge_sort_block_merge_implIS3_PlPS5_mZN2at6native12_GLOBAL__N_124unique_dim_cuda_templateIdEESt5tupleIJNSA_6TensorESF_SF_EERKSF_lbbbEUlllE_EE10hipError_tT0_T1_T2_jT3_P12ihipStream_tbPNSt15iterator_traitsISL_E10value_typeEPNSR_ISM_E10value_typeEPSN_NS1_7vsmem_tEENKUlT_SL_SM_SN_E_clIS8_S8_S9_S9_EESK_S10_SL_SM_SN_EUlS10_E1_NS1_11comp_targetILNS1_3genE3ELNS1_11target_archE908ELNS1_3gpuE7ELNS1_3repE0EEENS1_36merge_oddeven_config_static_selectorELNS0_4arch9wavefront6targetE0EEEvSM_.numbered_sgpr, 0
	.set _ZN7rocprim17ROCPRIM_400000_NS6detail17trampoline_kernelINS0_14default_configENS1_38merge_sort_block_merge_config_selectorIlNS0_10empty_typeEEEZZNS1_27merge_sort_block_merge_implIS3_PlPS5_mZN2at6native12_GLOBAL__N_124unique_dim_cuda_templateIdEESt5tupleIJNSA_6TensorESF_SF_EERKSF_lbbbEUlllE_EE10hipError_tT0_T1_T2_jT3_P12ihipStream_tbPNSt15iterator_traitsISL_E10value_typeEPNSR_ISM_E10value_typeEPSN_NS1_7vsmem_tEENKUlT_SL_SM_SN_E_clIS8_S8_S9_S9_EESK_S10_SL_SM_SN_EUlS10_E1_NS1_11comp_targetILNS1_3genE3ELNS1_11target_archE908ELNS1_3gpuE7ELNS1_3repE0EEENS1_36merge_oddeven_config_static_selectorELNS0_4arch9wavefront6targetE0EEEvSM_.num_named_barrier, 0
	.set _ZN7rocprim17ROCPRIM_400000_NS6detail17trampoline_kernelINS0_14default_configENS1_38merge_sort_block_merge_config_selectorIlNS0_10empty_typeEEEZZNS1_27merge_sort_block_merge_implIS3_PlPS5_mZN2at6native12_GLOBAL__N_124unique_dim_cuda_templateIdEESt5tupleIJNSA_6TensorESF_SF_EERKSF_lbbbEUlllE_EE10hipError_tT0_T1_T2_jT3_P12ihipStream_tbPNSt15iterator_traitsISL_E10value_typeEPNSR_ISM_E10value_typeEPSN_NS1_7vsmem_tEENKUlT_SL_SM_SN_E_clIS8_S8_S9_S9_EESK_S10_SL_SM_SN_EUlS10_E1_NS1_11comp_targetILNS1_3genE3ELNS1_11target_archE908ELNS1_3gpuE7ELNS1_3repE0EEENS1_36merge_oddeven_config_static_selectorELNS0_4arch9wavefront6targetE0EEEvSM_.private_seg_size, 0
	.set _ZN7rocprim17ROCPRIM_400000_NS6detail17trampoline_kernelINS0_14default_configENS1_38merge_sort_block_merge_config_selectorIlNS0_10empty_typeEEEZZNS1_27merge_sort_block_merge_implIS3_PlPS5_mZN2at6native12_GLOBAL__N_124unique_dim_cuda_templateIdEESt5tupleIJNSA_6TensorESF_SF_EERKSF_lbbbEUlllE_EE10hipError_tT0_T1_T2_jT3_P12ihipStream_tbPNSt15iterator_traitsISL_E10value_typeEPNSR_ISM_E10value_typeEPSN_NS1_7vsmem_tEENKUlT_SL_SM_SN_E_clIS8_S8_S9_S9_EESK_S10_SL_SM_SN_EUlS10_E1_NS1_11comp_targetILNS1_3genE3ELNS1_11target_archE908ELNS1_3gpuE7ELNS1_3repE0EEENS1_36merge_oddeven_config_static_selectorELNS0_4arch9wavefront6targetE0EEEvSM_.uses_vcc, 0
	.set _ZN7rocprim17ROCPRIM_400000_NS6detail17trampoline_kernelINS0_14default_configENS1_38merge_sort_block_merge_config_selectorIlNS0_10empty_typeEEEZZNS1_27merge_sort_block_merge_implIS3_PlPS5_mZN2at6native12_GLOBAL__N_124unique_dim_cuda_templateIdEESt5tupleIJNSA_6TensorESF_SF_EERKSF_lbbbEUlllE_EE10hipError_tT0_T1_T2_jT3_P12ihipStream_tbPNSt15iterator_traitsISL_E10value_typeEPNSR_ISM_E10value_typeEPSN_NS1_7vsmem_tEENKUlT_SL_SM_SN_E_clIS8_S8_S9_S9_EESK_S10_SL_SM_SN_EUlS10_E1_NS1_11comp_targetILNS1_3genE3ELNS1_11target_archE908ELNS1_3gpuE7ELNS1_3repE0EEENS1_36merge_oddeven_config_static_selectorELNS0_4arch9wavefront6targetE0EEEvSM_.uses_flat_scratch, 0
	.set _ZN7rocprim17ROCPRIM_400000_NS6detail17trampoline_kernelINS0_14default_configENS1_38merge_sort_block_merge_config_selectorIlNS0_10empty_typeEEEZZNS1_27merge_sort_block_merge_implIS3_PlPS5_mZN2at6native12_GLOBAL__N_124unique_dim_cuda_templateIdEESt5tupleIJNSA_6TensorESF_SF_EERKSF_lbbbEUlllE_EE10hipError_tT0_T1_T2_jT3_P12ihipStream_tbPNSt15iterator_traitsISL_E10value_typeEPNSR_ISM_E10value_typeEPSN_NS1_7vsmem_tEENKUlT_SL_SM_SN_E_clIS8_S8_S9_S9_EESK_S10_SL_SM_SN_EUlS10_E1_NS1_11comp_targetILNS1_3genE3ELNS1_11target_archE908ELNS1_3gpuE7ELNS1_3repE0EEENS1_36merge_oddeven_config_static_selectorELNS0_4arch9wavefront6targetE0EEEvSM_.has_dyn_sized_stack, 0
	.set _ZN7rocprim17ROCPRIM_400000_NS6detail17trampoline_kernelINS0_14default_configENS1_38merge_sort_block_merge_config_selectorIlNS0_10empty_typeEEEZZNS1_27merge_sort_block_merge_implIS3_PlPS5_mZN2at6native12_GLOBAL__N_124unique_dim_cuda_templateIdEESt5tupleIJNSA_6TensorESF_SF_EERKSF_lbbbEUlllE_EE10hipError_tT0_T1_T2_jT3_P12ihipStream_tbPNSt15iterator_traitsISL_E10value_typeEPNSR_ISM_E10value_typeEPSN_NS1_7vsmem_tEENKUlT_SL_SM_SN_E_clIS8_S8_S9_S9_EESK_S10_SL_SM_SN_EUlS10_E1_NS1_11comp_targetILNS1_3genE3ELNS1_11target_archE908ELNS1_3gpuE7ELNS1_3repE0EEENS1_36merge_oddeven_config_static_selectorELNS0_4arch9wavefront6targetE0EEEvSM_.has_recursion, 0
	.set _ZN7rocprim17ROCPRIM_400000_NS6detail17trampoline_kernelINS0_14default_configENS1_38merge_sort_block_merge_config_selectorIlNS0_10empty_typeEEEZZNS1_27merge_sort_block_merge_implIS3_PlPS5_mZN2at6native12_GLOBAL__N_124unique_dim_cuda_templateIdEESt5tupleIJNSA_6TensorESF_SF_EERKSF_lbbbEUlllE_EE10hipError_tT0_T1_T2_jT3_P12ihipStream_tbPNSt15iterator_traitsISL_E10value_typeEPNSR_ISM_E10value_typeEPSN_NS1_7vsmem_tEENKUlT_SL_SM_SN_E_clIS8_S8_S9_S9_EESK_S10_SL_SM_SN_EUlS10_E1_NS1_11comp_targetILNS1_3genE3ELNS1_11target_archE908ELNS1_3gpuE7ELNS1_3repE0EEENS1_36merge_oddeven_config_static_selectorELNS0_4arch9wavefront6targetE0EEEvSM_.has_indirect_call, 0
	.section	.AMDGPU.csdata,"",@progbits
; Kernel info:
; codeLenInByte = 0
; TotalNumSgprs: 0
; NumVgprs: 0
; ScratchSize: 0
; MemoryBound: 0
; FloatMode: 240
; IeeeMode: 1
; LDSByteSize: 0 bytes/workgroup (compile time only)
; SGPRBlocks: 0
; VGPRBlocks: 0
; NumSGPRsForWavesPerEU: 1
; NumVGPRsForWavesPerEU: 1
; NamedBarCnt: 0
; Occupancy: 16
; WaveLimiterHint : 0
; COMPUTE_PGM_RSRC2:SCRATCH_EN: 0
; COMPUTE_PGM_RSRC2:USER_SGPR: 2
; COMPUTE_PGM_RSRC2:TRAP_HANDLER: 0
; COMPUTE_PGM_RSRC2:TGID_X_EN: 1
; COMPUTE_PGM_RSRC2:TGID_Y_EN: 0
; COMPUTE_PGM_RSRC2:TGID_Z_EN: 0
; COMPUTE_PGM_RSRC2:TIDIG_COMP_CNT: 0
	.section	.text._ZN7rocprim17ROCPRIM_400000_NS6detail17trampoline_kernelINS0_14default_configENS1_38merge_sort_block_merge_config_selectorIlNS0_10empty_typeEEEZZNS1_27merge_sort_block_merge_implIS3_PlPS5_mZN2at6native12_GLOBAL__N_124unique_dim_cuda_templateIdEESt5tupleIJNSA_6TensorESF_SF_EERKSF_lbbbEUlllE_EE10hipError_tT0_T1_T2_jT3_P12ihipStream_tbPNSt15iterator_traitsISL_E10value_typeEPNSR_ISM_E10value_typeEPSN_NS1_7vsmem_tEENKUlT_SL_SM_SN_E_clIS8_S8_S9_S9_EESK_S10_SL_SM_SN_EUlS10_E1_NS1_11comp_targetILNS1_3genE2ELNS1_11target_archE906ELNS1_3gpuE6ELNS1_3repE0EEENS1_36merge_oddeven_config_static_selectorELNS0_4arch9wavefront6targetE0EEEvSM_,"axG",@progbits,_ZN7rocprim17ROCPRIM_400000_NS6detail17trampoline_kernelINS0_14default_configENS1_38merge_sort_block_merge_config_selectorIlNS0_10empty_typeEEEZZNS1_27merge_sort_block_merge_implIS3_PlPS5_mZN2at6native12_GLOBAL__N_124unique_dim_cuda_templateIdEESt5tupleIJNSA_6TensorESF_SF_EERKSF_lbbbEUlllE_EE10hipError_tT0_T1_T2_jT3_P12ihipStream_tbPNSt15iterator_traitsISL_E10value_typeEPNSR_ISM_E10value_typeEPSN_NS1_7vsmem_tEENKUlT_SL_SM_SN_E_clIS8_S8_S9_S9_EESK_S10_SL_SM_SN_EUlS10_E1_NS1_11comp_targetILNS1_3genE2ELNS1_11target_archE906ELNS1_3gpuE6ELNS1_3repE0EEENS1_36merge_oddeven_config_static_selectorELNS0_4arch9wavefront6targetE0EEEvSM_,comdat
	.globl	_ZN7rocprim17ROCPRIM_400000_NS6detail17trampoline_kernelINS0_14default_configENS1_38merge_sort_block_merge_config_selectorIlNS0_10empty_typeEEEZZNS1_27merge_sort_block_merge_implIS3_PlPS5_mZN2at6native12_GLOBAL__N_124unique_dim_cuda_templateIdEESt5tupleIJNSA_6TensorESF_SF_EERKSF_lbbbEUlllE_EE10hipError_tT0_T1_T2_jT3_P12ihipStream_tbPNSt15iterator_traitsISL_E10value_typeEPNSR_ISM_E10value_typeEPSN_NS1_7vsmem_tEENKUlT_SL_SM_SN_E_clIS8_S8_S9_S9_EESK_S10_SL_SM_SN_EUlS10_E1_NS1_11comp_targetILNS1_3genE2ELNS1_11target_archE906ELNS1_3gpuE6ELNS1_3repE0EEENS1_36merge_oddeven_config_static_selectorELNS0_4arch9wavefront6targetE0EEEvSM_ ; -- Begin function _ZN7rocprim17ROCPRIM_400000_NS6detail17trampoline_kernelINS0_14default_configENS1_38merge_sort_block_merge_config_selectorIlNS0_10empty_typeEEEZZNS1_27merge_sort_block_merge_implIS3_PlPS5_mZN2at6native12_GLOBAL__N_124unique_dim_cuda_templateIdEESt5tupleIJNSA_6TensorESF_SF_EERKSF_lbbbEUlllE_EE10hipError_tT0_T1_T2_jT3_P12ihipStream_tbPNSt15iterator_traitsISL_E10value_typeEPNSR_ISM_E10value_typeEPSN_NS1_7vsmem_tEENKUlT_SL_SM_SN_E_clIS8_S8_S9_S9_EESK_S10_SL_SM_SN_EUlS10_E1_NS1_11comp_targetILNS1_3genE2ELNS1_11target_archE906ELNS1_3gpuE6ELNS1_3repE0EEENS1_36merge_oddeven_config_static_selectorELNS0_4arch9wavefront6targetE0EEEvSM_
	.p2align	8
	.type	_ZN7rocprim17ROCPRIM_400000_NS6detail17trampoline_kernelINS0_14default_configENS1_38merge_sort_block_merge_config_selectorIlNS0_10empty_typeEEEZZNS1_27merge_sort_block_merge_implIS3_PlPS5_mZN2at6native12_GLOBAL__N_124unique_dim_cuda_templateIdEESt5tupleIJNSA_6TensorESF_SF_EERKSF_lbbbEUlllE_EE10hipError_tT0_T1_T2_jT3_P12ihipStream_tbPNSt15iterator_traitsISL_E10value_typeEPNSR_ISM_E10value_typeEPSN_NS1_7vsmem_tEENKUlT_SL_SM_SN_E_clIS8_S8_S9_S9_EESK_S10_SL_SM_SN_EUlS10_E1_NS1_11comp_targetILNS1_3genE2ELNS1_11target_archE906ELNS1_3gpuE6ELNS1_3repE0EEENS1_36merge_oddeven_config_static_selectorELNS0_4arch9wavefront6targetE0EEEvSM_,@function
_ZN7rocprim17ROCPRIM_400000_NS6detail17trampoline_kernelINS0_14default_configENS1_38merge_sort_block_merge_config_selectorIlNS0_10empty_typeEEEZZNS1_27merge_sort_block_merge_implIS3_PlPS5_mZN2at6native12_GLOBAL__N_124unique_dim_cuda_templateIdEESt5tupleIJNSA_6TensorESF_SF_EERKSF_lbbbEUlllE_EE10hipError_tT0_T1_T2_jT3_P12ihipStream_tbPNSt15iterator_traitsISL_E10value_typeEPNSR_ISM_E10value_typeEPSN_NS1_7vsmem_tEENKUlT_SL_SM_SN_E_clIS8_S8_S9_S9_EESK_S10_SL_SM_SN_EUlS10_E1_NS1_11comp_targetILNS1_3genE2ELNS1_11target_archE906ELNS1_3gpuE6ELNS1_3repE0EEENS1_36merge_oddeven_config_static_selectorELNS0_4arch9wavefront6targetE0EEEvSM_: ; @_ZN7rocprim17ROCPRIM_400000_NS6detail17trampoline_kernelINS0_14default_configENS1_38merge_sort_block_merge_config_selectorIlNS0_10empty_typeEEEZZNS1_27merge_sort_block_merge_implIS3_PlPS5_mZN2at6native12_GLOBAL__N_124unique_dim_cuda_templateIdEESt5tupleIJNSA_6TensorESF_SF_EERKSF_lbbbEUlllE_EE10hipError_tT0_T1_T2_jT3_P12ihipStream_tbPNSt15iterator_traitsISL_E10value_typeEPNSR_ISM_E10value_typeEPSN_NS1_7vsmem_tEENKUlT_SL_SM_SN_E_clIS8_S8_S9_S9_EESK_S10_SL_SM_SN_EUlS10_E1_NS1_11comp_targetILNS1_3genE2ELNS1_11target_archE906ELNS1_3gpuE6ELNS1_3repE0EEENS1_36merge_oddeven_config_static_selectorELNS0_4arch9wavefront6targetE0EEEvSM_
; %bb.0:
	.section	.rodata,"a",@progbits
	.p2align	6, 0x0
	.amdhsa_kernel _ZN7rocprim17ROCPRIM_400000_NS6detail17trampoline_kernelINS0_14default_configENS1_38merge_sort_block_merge_config_selectorIlNS0_10empty_typeEEEZZNS1_27merge_sort_block_merge_implIS3_PlPS5_mZN2at6native12_GLOBAL__N_124unique_dim_cuda_templateIdEESt5tupleIJNSA_6TensorESF_SF_EERKSF_lbbbEUlllE_EE10hipError_tT0_T1_T2_jT3_P12ihipStream_tbPNSt15iterator_traitsISL_E10value_typeEPNSR_ISM_E10value_typeEPSN_NS1_7vsmem_tEENKUlT_SL_SM_SN_E_clIS8_S8_S9_S9_EESK_S10_SL_SM_SN_EUlS10_E1_NS1_11comp_targetILNS1_3genE2ELNS1_11target_archE906ELNS1_3gpuE6ELNS1_3repE0EEENS1_36merge_oddeven_config_static_selectorELNS0_4arch9wavefront6targetE0EEEvSM_
		.amdhsa_group_segment_fixed_size 0
		.amdhsa_private_segment_fixed_size 0
		.amdhsa_kernarg_size 64
		.amdhsa_user_sgpr_count 2
		.amdhsa_user_sgpr_dispatch_ptr 0
		.amdhsa_user_sgpr_queue_ptr 0
		.amdhsa_user_sgpr_kernarg_segment_ptr 1
		.amdhsa_user_sgpr_dispatch_id 0
		.amdhsa_user_sgpr_kernarg_preload_length 0
		.amdhsa_user_sgpr_kernarg_preload_offset 0
		.amdhsa_user_sgpr_private_segment_size 0
		.amdhsa_wavefront_size32 1
		.amdhsa_uses_dynamic_stack 0
		.amdhsa_enable_private_segment 0
		.amdhsa_system_sgpr_workgroup_id_x 1
		.amdhsa_system_sgpr_workgroup_id_y 0
		.amdhsa_system_sgpr_workgroup_id_z 0
		.amdhsa_system_sgpr_workgroup_info 0
		.amdhsa_system_vgpr_workitem_id 0
		.amdhsa_next_free_vgpr 1
		.amdhsa_next_free_sgpr 1
		.amdhsa_named_barrier_count 0
		.amdhsa_reserve_vcc 0
		.amdhsa_float_round_mode_32 0
		.amdhsa_float_round_mode_16_64 0
		.amdhsa_float_denorm_mode_32 3
		.amdhsa_float_denorm_mode_16_64 3
		.amdhsa_fp16_overflow 0
		.amdhsa_memory_ordered 1
		.amdhsa_forward_progress 1
		.amdhsa_inst_pref_size 0
		.amdhsa_round_robin_scheduling 0
		.amdhsa_exception_fp_ieee_invalid_op 0
		.amdhsa_exception_fp_denorm_src 0
		.amdhsa_exception_fp_ieee_div_zero 0
		.amdhsa_exception_fp_ieee_overflow 0
		.amdhsa_exception_fp_ieee_underflow 0
		.amdhsa_exception_fp_ieee_inexact 0
		.amdhsa_exception_int_div_zero 0
	.end_amdhsa_kernel
	.section	.text._ZN7rocprim17ROCPRIM_400000_NS6detail17trampoline_kernelINS0_14default_configENS1_38merge_sort_block_merge_config_selectorIlNS0_10empty_typeEEEZZNS1_27merge_sort_block_merge_implIS3_PlPS5_mZN2at6native12_GLOBAL__N_124unique_dim_cuda_templateIdEESt5tupleIJNSA_6TensorESF_SF_EERKSF_lbbbEUlllE_EE10hipError_tT0_T1_T2_jT3_P12ihipStream_tbPNSt15iterator_traitsISL_E10value_typeEPNSR_ISM_E10value_typeEPSN_NS1_7vsmem_tEENKUlT_SL_SM_SN_E_clIS8_S8_S9_S9_EESK_S10_SL_SM_SN_EUlS10_E1_NS1_11comp_targetILNS1_3genE2ELNS1_11target_archE906ELNS1_3gpuE6ELNS1_3repE0EEENS1_36merge_oddeven_config_static_selectorELNS0_4arch9wavefront6targetE0EEEvSM_,"axG",@progbits,_ZN7rocprim17ROCPRIM_400000_NS6detail17trampoline_kernelINS0_14default_configENS1_38merge_sort_block_merge_config_selectorIlNS0_10empty_typeEEEZZNS1_27merge_sort_block_merge_implIS3_PlPS5_mZN2at6native12_GLOBAL__N_124unique_dim_cuda_templateIdEESt5tupleIJNSA_6TensorESF_SF_EERKSF_lbbbEUlllE_EE10hipError_tT0_T1_T2_jT3_P12ihipStream_tbPNSt15iterator_traitsISL_E10value_typeEPNSR_ISM_E10value_typeEPSN_NS1_7vsmem_tEENKUlT_SL_SM_SN_E_clIS8_S8_S9_S9_EESK_S10_SL_SM_SN_EUlS10_E1_NS1_11comp_targetILNS1_3genE2ELNS1_11target_archE906ELNS1_3gpuE6ELNS1_3repE0EEENS1_36merge_oddeven_config_static_selectorELNS0_4arch9wavefront6targetE0EEEvSM_,comdat
.Lfunc_end779:
	.size	_ZN7rocprim17ROCPRIM_400000_NS6detail17trampoline_kernelINS0_14default_configENS1_38merge_sort_block_merge_config_selectorIlNS0_10empty_typeEEEZZNS1_27merge_sort_block_merge_implIS3_PlPS5_mZN2at6native12_GLOBAL__N_124unique_dim_cuda_templateIdEESt5tupleIJNSA_6TensorESF_SF_EERKSF_lbbbEUlllE_EE10hipError_tT0_T1_T2_jT3_P12ihipStream_tbPNSt15iterator_traitsISL_E10value_typeEPNSR_ISM_E10value_typeEPSN_NS1_7vsmem_tEENKUlT_SL_SM_SN_E_clIS8_S8_S9_S9_EESK_S10_SL_SM_SN_EUlS10_E1_NS1_11comp_targetILNS1_3genE2ELNS1_11target_archE906ELNS1_3gpuE6ELNS1_3repE0EEENS1_36merge_oddeven_config_static_selectorELNS0_4arch9wavefront6targetE0EEEvSM_, .Lfunc_end779-_ZN7rocprim17ROCPRIM_400000_NS6detail17trampoline_kernelINS0_14default_configENS1_38merge_sort_block_merge_config_selectorIlNS0_10empty_typeEEEZZNS1_27merge_sort_block_merge_implIS3_PlPS5_mZN2at6native12_GLOBAL__N_124unique_dim_cuda_templateIdEESt5tupleIJNSA_6TensorESF_SF_EERKSF_lbbbEUlllE_EE10hipError_tT0_T1_T2_jT3_P12ihipStream_tbPNSt15iterator_traitsISL_E10value_typeEPNSR_ISM_E10value_typeEPSN_NS1_7vsmem_tEENKUlT_SL_SM_SN_E_clIS8_S8_S9_S9_EESK_S10_SL_SM_SN_EUlS10_E1_NS1_11comp_targetILNS1_3genE2ELNS1_11target_archE906ELNS1_3gpuE6ELNS1_3repE0EEENS1_36merge_oddeven_config_static_selectorELNS0_4arch9wavefront6targetE0EEEvSM_
                                        ; -- End function
	.set _ZN7rocprim17ROCPRIM_400000_NS6detail17trampoline_kernelINS0_14default_configENS1_38merge_sort_block_merge_config_selectorIlNS0_10empty_typeEEEZZNS1_27merge_sort_block_merge_implIS3_PlPS5_mZN2at6native12_GLOBAL__N_124unique_dim_cuda_templateIdEESt5tupleIJNSA_6TensorESF_SF_EERKSF_lbbbEUlllE_EE10hipError_tT0_T1_T2_jT3_P12ihipStream_tbPNSt15iterator_traitsISL_E10value_typeEPNSR_ISM_E10value_typeEPSN_NS1_7vsmem_tEENKUlT_SL_SM_SN_E_clIS8_S8_S9_S9_EESK_S10_SL_SM_SN_EUlS10_E1_NS1_11comp_targetILNS1_3genE2ELNS1_11target_archE906ELNS1_3gpuE6ELNS1_3repE0EEENS1_36merge_oddeven_config_static_selectorELNS0_4arch9wavefront6targetE0EEEvSM_.num_vgpr, 0
	.set _ZN7rocprim17ROCPRIM_400000_NS6detail17trampoline_kernelINS0_14default_configENS1_38merge_sort_block_merge_config_selectorIlNS0_10empty_typeEEEZZNS1_27merge_sort_block_merge_implIS3_PlPS5_mZN2at6native12_GLOBAL__N_124unique_dim_cuda_templateIdEESt5tupleIJNSA_6TensorESF_SF_EERKSF_lbbbEUlllE_EE10hipError_tT0_T1_T2_jT3_P12ihipStream_tbPNSt15iterator_traitsISL_E10value_typeEPNSR_ISM_E10value_typeEPSN_NS1_7vsmem_tEENKUlT_SL_SM_SN_E_clIS8_S8_S9_S9_EESK_S10_SL_SM_SN_EUlS10_E1_NS1_11comp_targetILNS1_3genE2ELNS1_11target_archE906ELNS1_3gpuE6ELNS1_3repE0EEENS1_36merge_oddeven_config_static_selectorELNS0_4arch9wavefront6targetE0EEEvSM_.num_agpr, 0
	.set _ZN7rocprim17ROCPRIM_400000_NS6detail17trampoline_kernelINS0_14default_configENS1_38merge_sort_block_merge_config_selectorIlNS0_10empty_typeEEEZZNS1_27merge_sort_block_merge_implIS3_PlPS5_mZN2at6native12_GLOBAL__N_124unique_dim_cuda_templateIdEESt5tupleIJNSA_6TensorESF_SF_EERKSF_lbbbEUlllE_EE10hipError_tT0_T1_T2_jT3_P12ihipStream_tbPNSt15iterator_traitsISL_E10value_typeEPNSR_ISM_E10value_typeEPSN_NS1_7vsmem_tEENKUlT_SL_SM_SN_E_clIS8_S8_S9_S9_EESK_S10_SL_SM_SN_EUlS10_E1_NS1_11comp_targetILNS1_3genE2ELNS1_11target_archE906ELNS1_3gpuE6ELNS1_3repE0EEENS1_36merge_oddeven_config_static_selectorELNS0_4arch9wavefront6targetE0EEEvSM_.numbered_sgpr, 0
	.set _ZN7rocprim17ROCPRIM_400000_NS6detail17trampoline_kernelINS0_14default_configENS1_38merge_sort_block_merge_config_selectorIlNS0_10empty_typeEEEZZNS1_27merge_sort_block_merge_implIS3_PlPS5_mZN2at6native12_GLOBAL__N_124unique_dim_cuda_templateIdEESt5tupleIJNSA_6TensorESF_SF_EERKSF_lbbbEUlllE_EE10hipError_tT0_T1_T2_jT3_P12ihipStream_tbPNSt15iterator_traitsISL_E10value_typeEPNSR_ISM_E10value_typeEPSN_NS1_7vsmem_tEENKUlT_SL_SM_SN_E_clIS8_S8_S9_S9_EESK_S10_SL_SM_SN_EUlS10_E1_NS1_11comp_targetILNS1_3genE2ELNS1_11target_archE906ELNS1_3gpuE6ELNS1_3repE0EEENS1_36merge_oddeven_config_static_selectorELNS0_4arch9wavefront6targetE0EEEvSM_.num_named_barrier, 0
	.set _ZN7rocprim17ROCPRIM_400000_NS6detail17trampoline_kernelINS0_14default_configENS1_38merge_sort_block_merge_config_selectorIlNS0_10empty_typeEEEZZNS1_27merge_sort_block_merge_implIS3_PlPS5_mZN2at6native12_GLOBAL__N_124unique_dim_cuda_templateIdEESt5tupleIJNSA_6TensorESF_SF_EERKSF_lbbbEUlllE_EE10hipError_tT0_T1_T2_jT3_P12ihipStream_tbPNSt15iterator_traitsISL_E10value_typeEPNSR_ISM_E10value_typeEPSN_NS1_7vsmem_tEENKUlT_SL_SM_SN_E_clIS8_S8_S9_S9_EESK_S10_SL_SM_SN_EUlS10_E1_NS1_11comp_targetILNS1_3genE2ELNS1_11target_archE906ELNS1_3gpuE6ELNS1_3repE0EEENS1_36merge_oddeven_config_static_selectorELNS0_4arch9wavefront6targetE0EEEvSM_.private_seg_size, 0
	.set _ZN7rocprim17ROCPRIM_400000_NS6detail17trampoline_kernelINS0_14default_configENS1_38merge_sort_block_merge_config_selectorIlNS0_10empty_typeEEEZZNS1_27merge_sort_block_merge_implIS3_PlPS5_mZN2at6native12_GLOBAL__N_124unique_dim_cuda_templateIdEESt5tupleIJNSA_6TensorESF_SF_EERKSF_lbbbEUlllE_EE10hipError_tT0_T1_T2_jT3_P12ihipStream_tbPNSt15iterator_traitsISL_E10value_typeEPNSR_ISM_E10value_typeEPSN_NS1_7vsmem_tEENKUlT_SL_SM_SN_E_clIS8_S8_S9_S9_EESK_S10_SL_SM_SN_EUlS10_E1_NS1_11comp_targetILNS1_3genE2ELNS1_11target_archE906ELNS1_3gpuE6ELNS1_3repE0EEENS1_36merge_oddeven_config_static_selectorELNS0_4arch9wavefront6targetE0EEEvSM_.uses_vcc, 0
	.set _ZN7rocprim17ROCPRIM_400000_NS6detail17trampoline_kernelINS0_14default_configENS1_38merge_sort_block_merge_config_selectorIlNS0_10empty_typeEEEZZNS1_27merge_sort_block_merge_implIS3_PlPS5_mZN2at6native12_GLOBAL__N_124unique_dim_cuda_templateIdEESt5tupleIJNSA_6TensorESF_SF_EERKSF_lbbbEUlllE_EE10hipError_tT0_T1_T2_jT3_P12ihipStream_tbPNSt15iterator_traitsISL_E10value_typeEPNSR_ISM_E10value_typeEPSN_NS1_7vsmem_tEENKUlT_SL_SM_SN_E_clIS8_S8_S9_S9_EESK_S10_SL_SM_SN_EUlS10_E1_NS1_11comp_targetILNS1_3genE2ELNS1_11target_archE906ELNS1_3gpuE6ELNS1_3repE0EEENS1_36merge_oddeven_config_static_selectorELNS0_4arch9wavefront6targetE0EEEvSM_.uses_flat_scratch, 0
	.set _ZN7rocprim17ROCPRIM_400000_NS6detail17trampoline_kernelINS0_14default_configENS1_38merge_sort_block_merge_config_selectorIlNS0_10empty_typeEEEZZNS1_27merge_sort_block_merge_implIS3_PlPS5_mZN2at6native12_GLOBAL__N_124unique_dim_cuda_templateIdEESt5tupleIJNSA_6TensorESF_SF_EERKSF_lbbbEUlllE_EE10hipError_tT0_T1_T2_jT3_P12ihipStream_tbPNSt15iterator_traitsISL_E10value_typeEPNSR_ISM_E10value_typeEPSN_NS1_7vsmem_tEENKUlT_SL_SM_SN_E_clIS8_S8_S9_S9_EESK_S10_SL_SM_SN_EUlS10_E1_NS1_11comp_targetILNS1_3genE2ELNS1_11target_archE906ELNS1_3gpuE6ELNS1_3repE0EEENS1_36merge_oddeven_config_static_selectorELNS0_4arch9wavefront6targetE0EEEvSM_.has_dyn_sized_stack, 0
	.set _ZN7rocprim17ROCPRIM_400000_NS6detail17trampoline_kernelINS0_14default_configENS1_38merge_sort_block_merge_config_selectorIlNS0_10empty_typeEEEZZNS1_27merge_sort_block_merge_implIS3_PlPS5_mZN2at6native12_GLOBAL__N_124unique_dim_cuda_templateIdEESt5tupleIJNSA_6TensorESF_SF_EERKSF_lbbbEUlllE_EE10hipError_tT0_T1_T2_jT3_P12ihipStream_tbPNSt15iterator_traitsISL_E10value_typeEPNSR_ISM_E10value_typeEPSN_NS1_7vsmem_tEENKUlT_SL_SM_SN_E_clIS8_S8_S9_S9_EESK_S10_SL_SM_SN_EUlS10_E1_NS1_11comp_targetILNS1_3genE2ELNS1_11target_archE906ELNS1_3gpuE6ELNS1_3repE0EEENS1_36merge_oddeven_config_static_selectorELNS0_4arch9wavefront6targetE0EEEvSM_.has_recursion, 0
	.set _ZN7rocprim17ROCPRIM_400000_NS6detail17trampoline_kernelINS0_14default_configENS1_38merge_sort_block_merge_config_selectorIlNS0_10empty_typeEEEZZNS1_27merge_sort_block_merge_implIS3_PlPS5_mZN2at6native12_GLOBAL__N_124unique_dim_cuda_templateIdEESt5tupleIJNSA_6TensorESF_SF_EERKSF_lbbbEUlllE_EE10hipError_tT0_T1_T2_jT3_P12ihipStream_tbPNSt15iterator_traitsISL_E10value_typeEPNSR_ISM_E10value_typeEPSN_NS1_7vsmem_tEENKUlT_SL_SM_SN_E_clIS8_S8_S9_S9_EESK_S10_SL_SM_SN_EUlS10_E1_NS1_11comp_targetILNS1_3genE2ELNS1_11target_archE906ELNS1_3gpuE6ELNS1_3repE0EEENS1_36merge_oddeven_config_static_selectorELNS0_4arch9wavefront6targetE0EEEvSM_.has_indirect_call, 0
	.section	.AMDGPU.csdata,"",@progbits
; Kernel info:
; codeLenInByte = 0
; TotalNumSgprs: 0
; NumVgprs: 0
; ScratchSize: 0
; MemoryBound: 0
; FloatMode: 240
; IeeeMode: 1
; LDSByteSize: 0 bytes/workgroup (compile time only)
; SGPRBlocks: 0
; VGPRBlocks: 0
; NumSGPRsForWavesPerEU: 1
; NumVGPRsForWavesPerEU: 1
; NamedBarCnt: 0
; Occupancy: 16
; WaveLimiterHint : 0
; COMPUTE_PGM_RSRC2:SCRATCH_EN: 0
; COMPUTE_PGM_RSRC2:USER_SGPR: 2
; COMPUTE_PGM_RSRC2:TRAP_HANDLER: 0
; COMPUTE_PGM_RSRC2:TGID_X_EN: 1
; COMPUTE_PGM_RSRC2:TGID_Y_EN: 0
; COMPUTE_PGM_RSRC2:TGID_Z_EN: 0
; COMPUTE_PGM_RSRC2:TIDIG_COMP_CNT: 0
	.section	.text._ZN7rocprim17ROCPRIM_400000_NS6detail17trampoline_kernelINS0_14default_configENS1_38merge_sort_block_merge_config_selectorIlNS0_10empty_typeEEEZZNS1_27merge_sort_block_merge_implIS3_PlPS5_mZN2at6native12_GLOBAL__N_124unique_dim_cuda_templateIdEESt5tupleIJNSA_6TensorESF_SF_EERKSF_lbbbEUlllE_EE10hipError_tT0_T1_T2_jT3_P12ihipStream_tbPNSt15iterator_traitsISL_E10value_typeEPNSR_ISM_E10value_typeEPSN_NS1_7vsmem_tEENKUlT_SL_SM_SN_E_clIS8_S8_S9_S9_EESK_S10_SL_SM_SN_EUlS10_E1_NS1_11comp_targetILNS1_3genE9ELNS1_11target_archE1100ELNS1_3gpuE3ELNS1_3repE0EEENS1_36merge_oddeven_config_static_selectorELNS0_4arch9wavefront6targetE0EEEvSM_,"axG",@progbits,_ZN7rocprim17ROCPRIM_400000_NS6detail17trampoline_kernelINS0_14default_configENS1_38merge_sort_block_merge_config_selectorIlNS0_10empty_typeEEEZZNS1_27merge_sort_block_merge_implIS3_PlPS5_mZN2at6native12_GLOBAL__N_124unique_dim_cuda_templateIdEESt5tupleIJNSA_6TensorESF_SF_EERKSF_lbbbEUlllE_EE10hipError_tT0_T1_T2_jT3_P12ihipStream_tbPNSt15iterator_traitsISL_E10value_typeEPNSR_ISM_E10value_typeEPSN_NS1_7vsmem_tEENKUlT_SL_SM_SN_E_clIS8_S8_S9_S9_EESK_S10_SL_SM_SN_EUlS10_E1_NS1_11comp_targetILNS1_3genE9ELNS1_11target_archE1100ELNS1_3gpuE3ELNS1_3repE0EEENS1_36merge_oddeven_config_static_selectorELNS0_4arch9wavefront6targetE0EEEvSM_,comdat
	.globl	_ZN7rocprim17ROCPRIM_400000_NS6detail17trampoline_kernelINS0_14default_configENS1_38merge_sort_block_merge_config_selectorIlNS0_10empty_typeEEEZZNS1_27merge_sort_block_merge_implIS3_PlPS5_mZN2at6native12_GLOBAL__N_124unique_dim_cuda_templateIdEESt5tupleIJNSA_6TensorESF_SF_EERKSF_lbbbEUlllE_EE10hipError_tT0_T1_T2_jT3_P12ihipStream_tbPNSt15iterator_traitsISL_E10value_typeEPNSR_ISM_E10value_typeEPSN_NS1_7vsmem_tEENKUlT_SL_SM_SN_E_clIS8_S8_S9_S9_EESK_S10_SL_SM_SN_EUlS10_E1_NS1_11comp_targetILNS1_3genE9ELNS1_11target_archE1100ELNS1_3gpuE3ELNS1_3repE0EEENS1_36merge_oddeven_config_static_selectorELNS0_4arch9wavefront6targetE0EEEvSM_ ; -- Begin function _ZN7rocprim17ROCPRIM_400000_NS6detail17trampoline_kernelINS0_14default_configENS1_38merge_sort_block_merge_config_selectorIlNS0_10empty_typeEEEZZNS1_27merge_sort_block_merge_implIS3_PlPS5_mZN2at6native12_GLOBAL__N_124unique_dim_cuda_templateIdEESt5tupleIJNSA_6TensorESF_SF_EERKSF_lbbbEUlllE_EE10hipError_tT0_T1_T2_jT3_P12ihipStream_tbPNSt15iterator_traitsISL_E10value_typeEPNSR_ISM_E10value_typeEPSN_NS1_7vsmem_tEENKUlT_SL_SM_SN_E_clIS8_S8_S9_S9_EESK_S10_SL_SM_SN_EUlS10_E1_NS1_11comp_targetILNS1_3genE9ELNS1_11target_archE1100ELNS1_3gpuE3ELNS1_3repE0EEENS1_36merge_oddeven_config_static_selectorELNS0_4arch9wavefront6targetE0EEEvSM_
	.p2align	8
	.type	_ZN7rocprim17ROCPRIM_400000_NS6detail17trampoline_kernelINS0_14default_configENS1_38merge_sort_block_merge_config_selectorIlNS0_10empty_typeEEEZZNS1_27merge_sort_block_merge_implIS3_PlPS5_mZN2at6native12_GLOBAL__N_124unique_dim_cuda_templateIdEESt5tupleIJNSA_6TensorESF_SF_EERKSF_lbbbEUlllE_EE10hipError_tT0_T1_T2_jT3_P12ihipStream_tbPNSt15iterator_traitsISL_E10value_typeEPNSR_ISM_E10value_typeEPSN_NS1_7vsmem_tEENKUlT_SL_SM_SN_E_clIS8_S8_S9_S9_EESK_S10_SL_SM_SN_EUlS10_E1_NS1_11comp_targetILNS1_3genE9ELNS1_11target_archE1100ELNS1_3gpuE3ELNS1_3repE0EEENS1_36merge_oddeven_config_static_selectorELNS0_4arch9wavefront6targetE0EEEvSM_,@function
_ZN7rocprim17ROCPRIM_400000_NS6detail17trampoline_kernelINS0_14default_configENS1_38merge_sort_block_merge_config_selectorIlNS0_10empty_typeEEEZZNS1_27merge_sort_block_merge_implIS3_PlPS5_mZN2at6native12_GLOBAL__N_124unique_dim_cuda_templateIdEESt5tupleIJNSA_6TensorESF_SF_EERKSF_lbbbEUlllE_EE10hipError_tT0_T1_T2_jT3_P12ihipStream_tbPNSt15iterator_traitsISL_E10value_typeEPNSR_ISM_E10value_typeEPSN_NS1_7vsmem_tEENKUlT_SL_SM_SN_E_clIS8_S8_S9_S9_EESK_S10_SL_SM_SN_EUlS10_E1_NS1_11comp_targetILNS1_3genE9ELNS1_11target_archE1100ELNS1_3gpuE3ELNS1_3repE0EEENS1_36merge_oddeven_config_static_selectorELNS0_4arch9wavefront6targetE0EEEvSM_: ; @_ZN7rocprim17ROCPRIM_400000_NS6detail17trampoline_kernelINS0_14default_configENS1_38merge_sort_block_merge_config_selectorIlNS0_10empty_typeEEEZZNS1_27merge_sort_block_merge_implIS3_PlPS5_mZN2at6native12_GLOBAL__N_124unique_dim_cuda_templateIdEESt5tupleIJNSA_6TensorESF_SF_EERKSF_lbbbEUlllE_EE10hipError_tT0_T1_T2_jT3_P12ihipStream_tbPNSt15iterator_traitsISL_E10value_typeEPNSR_ISM_E10value_typeEPSN_NS1_7vsmem_tEENKUlT_SL_SM_SN_E_clIS8_S8_S9_S9_EESK_S10_SL_SM_SN_EUlS10_E1_NS1_11comp_targetILNS1_3genE9ELNS1_11target_archE1100ELNS1_3gpuE3ELNS1_3repE0EEENS1_36merge_oddeven_config_static_selectorELNS0_4arch9wavefront6targetE0EEEvSM_
; %bb.0:
	.section	.rodata,"a",@progbits
	.p2align	6, 0x0
	.amdhsa_kernel _ZN7rocprim17ROCPRIM_400000_NS6detail17trampoline_kernelINS0_14default_configENS1_38merge_sort_block_merge_config_selectorIlNS0_10empty_typeEEEZZNS1_27merge_sort_block_merge_implIS3_PlPS5_mZN2at6native12_GLOBAL__N_124unique_dim_cuda_templateIdEESt5tupleIJNSA_6TensorESF_SF_EERKSF_lbbbEUlllE_EE10hipError_tT0_T1_T2_jT3_P12ihipStream_tbPNSt15iterator_traitsISL_E10value_typeEPNSR_ISM_E10value_typeEPSN_NS1_7vsmem_tEENKUlT_SL_SM_SN_E_clIS8_S8_S9_S9_EESK_S10_SL_SM_SN_EUlS10_E1_NS1_11comp_targetILNS1_3genE9ELNS1_11target_archE1100ELNS1_3gpuE3ELNS1_3repE0EEENS1_36merge_oddeven_config_static_selectorELNS0_4arch9wavefront6targetE0EEEvSM_
		.amdhsa_group_segment_fixed_size 0
		.amdhsa_private_segment_fixed_size 0
		.amdhsa_kernarg_size 64
		.amdhsa_user_sgpr_count 2
		.amdhsa_user_sgpr_dispatch_ptr 0
		.amdhsa_user_sgpr_queue_ptr 0
		.amdhsa_user_sgpr_kernarg_segment_ptr 1
		.amdhsa_user_sgpr_dispatch_id 0
		.amdhsa_user_sgpr_kernarg_preload_length 0
		.amdhsa_user_sgpr_kernarg_preload_offset 0
		.amdhsa_user_sgpr_private_segment_size 0
		.amdhsa_wavefront_size32 1
		.amdhsa_uses_dynamic_stack 0
		.amdhsa_enable_private_segment 0
		.amdhsa_system_sgpr_workgroup_id_x 1
		.amdhsa_system_sgpr_workgroup_id_y 0
		.amdhsa_system_sgpr_workgroup_id_z 0
		.amdhsa_system_sgpr_workgroup_info 0
		.amdhsa_system_vgpr_workitem_id 0
		.amdhsa_next_free_vgpr 1
		.amdhsa_next_free_sgpr 1
		.amdhsa_named_barrier_count 0
		.amdhsa_reserve_vcc 0
		.amdhsa_float_round_mode_32 0
		.amdhsa_float_round_mode_16_64 0
		.amdhsa_float_denorm_mode_32 3
		.amdhsa_float_denorm_mode_16_64 3
		.amdhsa_fp16_overflow 0
		.amdhsa_memory_ordered 1
		.amdhsa_forward_progress 1
		.amdhsa_inst_pref_size 0
		.amdhsa_round_robin_scheduling 0
		.amdhsa_exception_fp_ieee_invalid_op 0
		.amdhsa_exception_fp_denorm_src 0
		.amdhsa_exception_fp_ieee_div_zero 0
		.amdhsa_exception_fp_ieee_overflow 0
		.amdhsa_exception_fp_ieee_underflow 0
		.amdhsa_exception_fp_ieee_inexact 0
		.amdhsa_exception_int_div_zero 0
	.end_amdhsa_kernel
	.section	.text._ZN7rocprim17ROCPRIM_400000_NS6detail17trampoline_kernelINS0_14default_configENS1_38merge_sort_block_merge_config_selectorIlNS0_10empty_typeEEEZZNS1_27merge_sort_block_merge_implIS3_PlPS5_mZN2at6native12_GLOBAL__N_124unique_dim_cuda_templateIdEESt5tupleIJNSA_6TensorESF_SF_EERKSF_lbbbEUlllE_EE10hipError_tT0_T1_T2_jT3_P12ihipStream_tbPNSt15iterator_traitsISL_E10value_typeEPNSR_ISM_E10value_typeEPSN_NS1_7vsmem_tEENKUlT_SL_SM_SN_E_clIS8_S8_S9_S9_EESK_S10_SL_SM_SN_EUlS10_E1_NS1_11comp_targetILNS1_3genE9ELNS1_11target_archE1100ELNS1_3gpuE3ELNS1_3repE0EEENS1_36merge_oddeven_config_static_selectorELNS0_4arch9wavefront6targetE0EEEvSM_,"axG",@progbits,_ZN7rocprim17ROCPRIM_400000_NS6detail17trampoline_kernelINS0_14default_configENS1_38merge_sort_block_merge_config_selectorIlNS0_10empty_typeEEEZZNS1_27merge_sort_block_merge_implIS3_PlPS5_mZN2at6native12_GLOBAL__N_124unique_dim_cuda_templateIdEESt5tupleIJNSA_6TensorESF_SF_EERKSF_lbbbEUlllE_EE10hipError_tT0_T1_T2_jT3_P12ihipStream_tbPNSt15iterator_traitsISL_E10value_typeEPNSR_ISM_E10value_typeEPSN_NS1_7vsmem_tEENKUlT_SL_SM_SN_E_clIS8_S8_S9_S9_EESK_S10_SL_SM_SN_EUlS10_E1_NS1_11comp_targetILNS1_3genE9ELNS1_11target_archE1100ELNS1_3gpuE3ELNS1_3repE0EEENS1_36merge_oddeven_config_static_selectorELNS0_4arch9wavefront6targetE0EEEvSM_,comdat
.Lfunc_end780:
	.size	_ZN7rocprim17ROCPRIM_400000_NS6detail17trampoline_kernelINS0_14default_configENS1_38merge_sort_block_merge_config_selectorIlNS0_10empty_typeEEEZZNS1_27merge_sort_block_merge_implIS3_PlPS5_mZN2at6native12_GLOBAL__N_124unique_dim_cuda_templateIdEESt5tupleIJNSA_6TensorESF_SF_EERKSF_lbbbEUlllE_EE10hipError_tT0_T1_T2_jT3_P12ihipStream_tbPNSt15iterator_traitsISL_E10value_typeEPNSR_ISM_E10value_typeEPSN_NS1_7vsmem_tEENKUlT_SL_SM_SN_E_clIS8_S8_S9_S9_EESK_S10_SL_SM_SN_EUlS10_E1_NS1_11comp_targetILNS1_3genE9ELNS1_11target_archE1100ELNS1_3gpuE3ELNS1_3repE0EEENS1_36merge_oddeven_config_static_selectorELNS0_4arch9wavefront6targetE0EEEvSM_, .Lfunc_end780-_ZN7rocprim17ROCPRIM_400000_NS6detail17trampoline_kernelINS0_14default_configENS1_38merge_sort_block_merge_config_selectorIlNS0_10empty_typeEEEZZNS1_27merge_sort_block_merge_implIS3_PlPS5_mZN2at6native12_GLOBAL__N_124unique_dim_cuda_templateIdEESt5tupleIJNSA_6TensorESF_SF_EERKSF_lbbbEUlllE_EE10hipError_tT0_T1_T2_jT3_P12ihipStream_tbPNSt15iterator_traitsISL_E10value_typeEPNSR_ISM_E10value_typeEPSN_NS1_7vsmem_tEENKUlT_SL_SM_SN_E_clIS8_S8_S9_S9_EESK_S10_SL_SM_SN_EUlS10_E1_NS1_11comp_targetILNS1_3genE9ELNS1_11target_archE1100ELNS1_3gpuE3ELNS1_3repE0EEENS1_36merge_oddeven_config_static_selectorELNS0_4arch9wavefront6targetE0EEEvSM_
                                        ; -- End function
	.set _ZN7rocprim17ROCPRIM_400000_NS6detail17trampoline_kernelINS0_14default_configENS1_38merge_sort_block_merge_config_selectorIlNS0_10empty_typeEEEZZNS1_27merge_sort_block_merge_implIS3_PlPS5_mZN2at6native12_GLOBAL__N_124unique_dim_cuda_templateIdEESt5tupleIJNSA_6TensorESF_SF_EERKSF_lbbbEUlllE_EE10hipError_tT0_T1_T2_jT3_P12ihipStream_tbPNSt15iterator_traitsISL_E10value_typeEPNSR_ISM_E10value_typeEPSN_NS1_7vsmem_tEENKUlT_SL_SM_SN_E_clIS8_S8_S9_S9_EESK_S10_SL_SM_SN_EUlS10_E1_NS1_11comp_targetILNS1_3genE9ELNS1_11target_archE1100ELNS1_3gpuE3ELNS1_3repE0EEENS1_36merge_oddeven_config_static_selectorELNS0_4arch9wavefront6targetE0EEEvSM_.num_vgpr, 0
	.set _ZN7rocprim17ROCPRIM_400000_NS6detail17trampoline_kernelINS0_14default_configENS1_38merge_sort_block_merge_config_selectorIlNS0_10empty_typeEEEZZNS1_27merge_sort_block_merge_implIS3_PlPS5_mZN2at6native12_GLOBAL__N_124unique_dim_cuda_templateIdEESt5tupleIJNSA_6TensorESF_SF_EERKSF_lbbbEUlllE_EE10hipError_tT0_T1_T2_jT3_P12ihipStream_tbPNSt15iterator_traitsISL_E10value_typeEPNSR_ISM_E10value_typeEPSN_NS1_7vsmem_tEENKUlT_SL_SM_SN_E_clIS8_S8_S9_S9_EESK_S10_SL_SM_SN_EUlS10_E1_NS1_11comp_targetILNS1_3genE9ELNS1_11target_archE1100ELNS1_3gpuE3ELNS1_3repE0EEENS1_36merge_oddeven_config_static_selectorELNS0_4arch9wavefront6targetE0EEEvSM_.num_agpr, 0
	.set _ZN7rocprim17ROCPRIM_400000_NS6detail17trampoline_kernelINS0_14default_configENS1_38merge_sort_block_merge_config_selectorIlNS0_10empty_typeEEEZZNS1_27merge_sort_block_merge_implIS3_PlPS5_mZN2at6native12_GLOBAL__N_124unique_dim_cuda_templateIdEESt5tupleIJNSA_6TensorESF_SF_EERKSF_lbbbEUlllE_EE10hipError_tT0_T1_T2_jT3_P12ihipStream_tbPNSt15iterator_traitsISL_E10value_typeEPNSR_ISM_E10value_typeEPSN_NS1_7vsmem_tEENKUlT_SL_SM_SN_E_clIS8_S8_S9_S9_EESK_S10_SL_SM_SN_EUlS10_E1_NS1_11comp_targetILNS1_3genE9ELNS1_11target_archE1100ELNS1_3gpuE3ELNS1_3repE0EEENS1_36merge_oddeven_config_static_selectorELNS0_4arch9wavefront6targetE0EEEvSM_.numbered_sgpr, 0
	.set _ZN7rocprim17ROCPRIM_400000_NS6detail17trampoline_kernelINS0_14default_configENS1_38merge_sort_block_merge_config_selectorIlNS0_10empty_typeEEEZZNS1_27merge_sort_block_merge_implIS3_PlPS5_mZN2at6native12_GLOBAL__N_124unique_dim_cuda_templateIdEESt5tupleIJNSA_6TensorESF_SF_EERKSF_lbbbEUlllE_EE10hipError_tT0_T1_T2_jT3_P12ihipStream_tbPNSt15iterator_traitsISL_E10value_typeEPNSR_ISM_E10value_typeEPSN_NS1_7vsmem_tEENKUlT_SL_SM_SN_E_clIS8_S8_S9_S9_EESK_S10_SL_SM_SN_EUlS10_E1_NS1_11comp_targetILNS1_3genE9ELNS1_11target_archE1100ELNS1_3gpuE3ELNS1_3repE0EEENS1_36merge_oddeven_config_static_selectorELNS0_4arch9wavefront6targetE0EEEvSM_.num_named_barrier, 0
	.set _ZN7rocprim17ROCPRIM_400000_NS6detail17trampoline_kernelINS0_14default_configENS1_38merge_sort_block_merge_config_selectorIlNS0_10empty_typeEEEZZNS1_27merge_sort_block_merge_implIS3_PlPS5_mZN2at6native12_GLOBAL__N_124unique_dim_cuda_templateIdEESt5tupleIJNSA_6TensorESF_SF_EERKSF_lbbbEUlllE_EE10hipError_tT0_T1_T2_jT3_P12ihipStream_tbPNSt15iterator_traitsISL_E10value_typeEPNSR_ISM_E10value_typeEPSN_NS1_7vsmem_tEENKUlT_SL_SM_SN_E_clIS8_S8_S9_S9_EESK_S10_SL_SM_SN_EUlS10_E1_NS1_11comp_targetILNS1_3genE9ELNS1_11target_archE1100ELNS1_3gpuE3ELNS1_3repE0EEENS1_36merge_oddeven_config_static_selectorELNS0_4arch9wavefront6targetE0EEEvSM_.private_seg_size, 0
	.set _ZN7rocprim17ROCPRIM_400000_NS6detail17trampoline_kernelINS0_14default_configENS1_38merge_sort_block_merge_config_selectorIlNS0_10empty_typeEEEZZNS1_27merge_sort_block_merge_implIS3_PlPS5_mZN2at6native12_GLOBAL__N_124unique_dim_cuda_templateIdEESt5tupleIJNSA_6TensorESF_SF_EERKSF_lbbbEUlllE_EE10hipError_tT0_T1_T2_jT3_P12ihipStream_tbPNSt15iterator_traitsISL_E10value_typeEPNSR_ISM_E10value_typeEPSN_NS1_7vsmem_tEENKUlT_SL_SM_SN_E_clIS8_S8_S9_S9_EESK_S10_SL_SM_SN_EUlS10_E1_NS1_11comp_targetILNS1_3genE9ELNS1_11target_archE1100ELNS1_3gpuE3ELNS1_3repE0EEENS1_36merge_oddeven_config_static_selectorELNS0_4arch9wavefront6targetE0EEEvSM_.uses_vcc, 0
	.set _ZN7rocprim17ROCPRIM_400000_NS6detail17trampoline_kernelINS0_14default_configENS1_38merge_sort_block_merge_config_selectorIlNS0_10empty_typeEEEZZNS1_27merge_sort_block_merge_implIS3_PlPS5_mZN2at6native12_GLOBAL__N_124unique_dim_cuda_templateIdEESt5tupleIJNSA_6TensorESF_SF_EERKSF_lbbbEUlllE_EE10hipError_tT0_T1_T2_jT3_P12ihipStream_tbPNSt15iterator_traitsISL_E10value_typeEPNSR_ISM_E10value_typeEPSN_NS1_7vsmem_tEENKUlT_SL_SM_SN_E_clIS8_S8_S9_S9_EESK_S10_SL_SM_SN_EUlS10_E1_NS1_11comp_targetILNS1_3genE9ELNS1_11target_archE1100ELNS1_3gpuE3ELNS1_3repE0EEENS1_36merge_oddeven_config_static_selectorELNS0_4arch9wavefront6targetE0EEEvSM_.uses_flat_scratch, 0
	.set _ZN7rocprim17ROCPRIM_400000_NS6detail17trampoline_kernelINS0_14default_configENS1_38merge_sort_block_merge_config_selectorIlNS0_10empty_typeEEEZZNS1_27merge_sort_block_merge_implIS3_PlPS5_mZN2at6native12_GLOBAL__N_124unique_dim_cuda_templateIdEESt5tupleIJNSA_6TensorESF_SF_EERKSF_lbbbEUlllE_EE10hipError_tT0_T1_T2_jT3_P12ihipStream_tbPNSt15iterator_traitsISL_E10value_typeEPNSR_ISM_E10value_typeEPSN_NS1_7vsmem_tEENKUlT_SL_SM_SN_E_clIS8_S8_S9_S9_EESK_S10_SL_SM_SN_EUlS10_E1_NS1_11comp_targetILNS1_3genE9ELNS1_11target_archE1100ELNS1_3gpuE3ELNS1_3repE0EEENS1_36merge_oddeven_config_static_selectorELNS0_4arch9wavefront6targetE0EEEvSM_.has_dyn_sized_stack, 0
	.set _ZN7rocprim17ROCPRIM_400000_NS6detail17trampoline_kernelINS0_14default_configENS1_38merge_sort_block_merge_config_selectorIlNS0_10empty_typeEEEZZNS1_27merge_sort_block_merge_implIS3_PlPS5_mZN2at6native12_GLOBAL__N_124unique_dim_cuda_templateIdEESt5tupleIJNSA_6TensorESF_SF_EERKSF_lbbbEUlllE_EE10hipError_tT0_T1_T2_jT3_P12ihipStream_tbPNSt15iterator_traitsISL_E10value_typeEPNSR_ISM_E10value_typeEPSN_NS1_7vsmem_tEENKUlT_SL_SM_SN_E_clIS8_S8_S9_S9_EESK_S10_SL_SM_SN_EUlS10_E1_NS1_11comp_targetILNS1_3genE9ELNS1_11target_archE1100ELNS1_3gpuE3ELNS1_3repE0EEENS1_36merge_oddeven_config_static_selectorELNS0_4arch9wavefront6targetE0EEEvSM_.has_recursion, 0
	.set _ZN7rocprim17ROCPRIM_400000_NS6detail17trampoline_kernelINS0_14default_configENS1_38merge_sort_block_merge_config_selectorIlNS0_10empty_typeEEEZZNS1_27merge_sort_block_merge_implIS3_PlPS5_mZN2at6native12_GLOBAL__N_124unique_dim_cuda_templateIdEESt5tupleIJNSA_6TensorESF_SF_EERKSF_lbbbEUlllE_EE10hipError_tT0_T1_T2_jT3_P12ihipStream_tbPNSt15iterator_traitsISL_E10value_typeEPNSR_ISM_E10value_typeEPSN_NS1_7vsmem_tEENKUlT_SL_SM_SN_E_clIS8_S8_S9_S9_EESK_S10_SL_SM_SN_EUlS10_E1_NS1_11comp_targetILNS1_3genE9ELNS1_11target_archE1100ELNS1_3gpuE3ELNS1_3repE0EEENS1_36merge_oddeven_config_static_selectorELNS0_4arch9wavefront6targetE0EEEvSM_.has_indirect_call, 0
	.section	.AMDGPU.csdata,"",@progbits
; Kernel info:
; codeLenInByte = 0
; TotalNumSgprs: 0
; NumVgprs: 0
; ScratchSize: 0
; MemoryBound: 0
; FloatMode: 240
; IeeeMode: 1
; LDSByteSize: 0 bytes/workgroup (compile time only)
; SGPRBlocks: 0
; VGPRBlocks: 0
; NumSGPRsForWavesPerEU: 1
; NumVGPRsForWavesPerEU: 1
; NamedBarCnt: 0
; Occupancy: 16
; WaveLimiterHint : 0
; COMPUTE_PGM_RSRC2:SCRATCH_EN: 0
; COMPUTE_PGM_RSRC2:USER_SGPR: 2
; COMPUTE_PGM_RSRC2:TRAP_HANDLER: 0
; COMPUTE_PGM_RSRC2:TGID_X_EN: 1
; COMPUTE_PGM_RSRC2:TGID_Y_EN: 0
; COMPUTE_PGM_RSRC2:TGID_Z_EN: 0
; COMPUTE_PGM_RSRC2:TIDIG_COMP_CNT: 0
	.section	.text._ZN7rocprim17ROCPRIM_400000_NS6detail17trampoline_kernelINS0_14default_configENS1_38merge_sort_block_merge_config_selectorIlNS0_10empty_typeEEEZZNS1_27merge_sort_block_merge_implIS3_PlPS5_mZN2at6native12_GLOBAL__N_124unique_dim_cuda_templateIdEESt5tupleIJNSA_6TensorESF_SF_EERKSF_lbbbEUlllE_EE10hipError_tT0_T1_T2_jT3_P12ihipStream_tbPNSt15iterator_traitsISL_E10value_typeEPNSR_ISM_E10value_typeEPSN_NS1_7vsmem_tEENKUlT_SL_SM_SN_E_clIS8_S8_S9_S9_EESK_S10_SL_SM_SN_EUlS10_E1_NS1_11comp_targetILNS1_3genE8ELNS1_11target_archE1030ELNS1_3gpuE2ELNS1_3repE0EEENS1_36merge_oddeven_config_static_selectorELNS0_4arch9wavefront6targetE0EEEvSM_,"axG",@progbits,_ZN7rocprim17ROCPRIM_400000_NS6detail17trampoline_kernelINS0_14default_configENS1_38merge_sort_block_merge_config_selectorIlNS0_10empty_typeEEEZZNS1_27merge_sort_block_merge_implIS3_PlPS5_mZN2at6native12_GLOBAL__N_124unique_dim_cuda_templateIdEESt5tupleIJNSA_6TensorESF_SF_EERKSF_lbbbEUlllE_EE10hipError_tT0_T1_T2_jT3_P12ihipStream_tbPNSt15iterator_traitsISL_E10value_typeEPNSR_ISM_E10value_typeEPSN_NS1_7vsmem_tEENKUlT_SL_SM_SN_E_clIS8_S8_S9_S9_EESK_S10_SL_SM_SN_EUlS10_E1_NS1_11comp_targetILNS1_3genE8ELNS1_11target_archE1030ELNS1_3gpuE2ELNS1_3repE0EEENS1_36merge_oddeven_config_static_selectorELNS0_4arch9wavefront6targetE0EEEvSM_,comdat
	.globl	_ZN7rocprim17ROCPRIM_400000_NS6detail17trampoline_kernelINS0_14default_configENS1_38merge_sort_block_merge_config_selectorIlNS0_10empty_typeEEEZZNS1_27merge_sort_block_merge_implIS3_PlPS5_mZN2at6native12_GLOBAL__N_124unique_dim_cuda_templateIdEESt5tupleIJNSA_6TensorESF_SF_EERKSF_lbbbEUlllE_EE10hipError_tT0_T1_T2_jT3_P12ihipStream_tbPNSt15iterator_traitsISL_E10value_typeEPNSR_ISM_E10value_typeEPSN_NS1_7vsmem_tEENKUlT_SL_SM_SN_E_clIS8_S8_S9_S9_EESK_S10_SL_SM_SN_EUlS10_E1_NS1_11comp_targetILNS1_3genE8ELNS1_11target_archE1030ELNS1_3gpuE2ELNS1_3repE0EEENS1_36merge_oddeven_config_static_selectorELNS0_4arch9wavefront6targetE0EEEvSM_ ; -- Begin function _ZN7rocprim17ROCPRIM_400000_NS6detail17trampoline_kernelINS0_14default_configENS1_38merge_sort_block_merge_config_selectorIlNS0_10empty_typeEEEZZNS1_27merge_sort_block_merge_implIS3_PlPS5_mZN2at6native12_GLOBAL__N_124unique_dim_cuda_templateIdEESt5tupleIJNSA_6TensorESF_SF_EERKSF_lbbbEUlllE_EE10hipError_tT0_T1_T2_jT3_P12ihipStream_tbPNSt15iterator_traitsISL_E10value_typeEPNSR_ISM_E10value_typeEPSN_NS1_7vsmem_tEENKUlT_SL_SM_SN_E_clIS8_S8_S9_S9_EESK_S10_SL_SM_SN_EUlS10_E1_NS1_11comp_targetILNS1_3genE8ELNS1_11target_archE1030ELNS1_3gpuE2ELNS1_3repE0EEENS1_36merge_oddeven_config_static_selectorELNS0_4arch9wavefront6targetE0EEEvSM_
	.p2align	8
	.type	_ZN7rocprim17ROCPRIM_400000_NS6detail17trampoline_kernelINS0_14default_configENS1_38merge_sort_block_merge_config_selectorIlNS0_10empty_typeEEEZZNS1_27merge_sort_block_merge_implIS3_PlPS5_mZN2at6native12_GLOBAL__N_124unique_dim_cuda_templateIdEESt5tupleIJNSA_6TensorESF_SF_EERKSF_lbbbEUlllE_EE10hipError_tT0_T1_T2_jT3_P12ihipStream_tbPNSt15iterator_traitsISL_E10value_typeEPNSR_ISM_E10value_typeEPSN_NS1_7vsmem_tEENKUlT_SL_SM_SN_E_clIS8_S8_S9_S9_EESK_S10_SL_SM_SN_EUlS10_E1_NS1_11comp_targetILNS1_3genE8ELNS1_11target_archE1030ELNS1_3gpuE2ELNS1_3repE0EEENS1_36merge_oddeven_config_static_selectorELNS0_4arch9wavefront6targetE0EEEvSM_,@function
_ZN7rocprim17ROCPRIM_400000_NS6detail17trampoline_kernelINS0_14default_configENS1_38merge_sort_block_merge_config_selectorIlNS0_10empty_typeEEEZZNS1_27merge_sort_block_merge_implIS3_PlPS5_mZN2at6native12_GLOBAL__N_124unique_dim_cuda_templateIdEESt5tupleIJNSA_6TensorESF_SF_EERKSF_lbbbEUlllE_EE10hipError_tT0_T1_T2_jT3_P12ihipStream_tbPNSt15iterator_traitsISL_E10value_typeEPNSR_ISM_E10value_typeEPSN_NS1_7vsmem_tEENKUlT_SL_SM_SN_E_clIS8_S8_S9_S9_EESK_S10_SL_SM_SN_EUlS10_E1_NS1_11comp_targetILNS1_3genE8ELNS1_11target_archE1030ELNS1_3gpuE2ELNS1_3repE0EEENS1_36merge_oddeven_config_static_selectorELNS0_4arch9wavefront6targetE0EEEvSM_: ; @_ZN7rocprim17ROCPRIM_400000_NS6detail17trampoline_kernelINS0_14default_configENS1_38merge_sort_block_merge_config_selectorIlNS0_10empty_typeEEEZZNS1_27merge_sort_block_merge_implIS3_PlPS5_mZN2at6native12_GLOBAL__N_124unique_dim_cuda_templateIdEESt5tupleIJNSA_6TensorESF_SF_EERKSF_lbbbEUlllE_EE10hipError_tT0_T1_T2_jT3_P12ihipStream_tbPNSt15iterator_traitsISL_E10value_typeEPNSR_ISM_E10value_typeEPSN_NS1_7vsmem_tEENKUlT_SL_SM_SN_E_clIS8_S8_S9_S9_EESK_S10_SL_SM_SN_EUlS10_E1_NS1_11comp_targetILNS1_3genE8ELNS1_11target_archE1030ELNS1_3gpuE2ELNS1_3repE0EEENS1_36merge_oddeven_config_static_selectorELNS0_4arch9wavefront6targetE0EEEvSM_
; %bb.0:
	.section	.rodata,"a",@progbits
	.p2align	6, 0x0
	.amdhsa_kernel _ZN7rocprim17ROCPRIM_400000_NS6detail17trampoline_kernelINS0_14default_configENS1_38merge_sort_block_merge_config_selectorIlNS0_10empty_typeEEEZZNS1_27merge_sort_block_merge_implIS3_PlPS5_mZN2at6native12_GLOBAL__N_124unique_dim_cuda_templateIdEESt5tupleIJNSA_6TensorESF_SF_EERKSF_lbbbEUlllE_EE10hipError_tT0_T1_T2_jT3_P12ihipStream_tbPNSt15iterator_traitsISL_E10value_typeEPNSR_ISM_E10value_typeEPSN_NS1_7vsmem_tEENKUlT_SL_SM_SN_E_clIS8_S8_S9_S9_EESK_S10_SL_SM_SN_EUlS10_E1_NS1_11comp_targetILNS1_3genE8ELNS1_11target_archE1030ELNS1_3gpuE2ELNS1_3repE0EEENS1_36merge_oddeven_config_static_selectorELNS0_4arch9wavefront6targetE0EEEvSM_
		.amdhsa_group_segment_fixed_size 0
		.amdhsa_private_segment_fixed_size 0
		.amdhsa_kernarg_size 64
		.amdhsa_user_sgpr_count 2
		.amdhsa_user_sgpr_dispatch_ptr 0
		.amdhsa_user_sgpr_queue_ptr 0
		.amdhsa_user_sgpr_kernarg_segment_ptr 1
		.amdhsa_user_sgpr_dispatch_id 0
		.amdhsa_user_sgpr_kernarg_preload_length 0
		.amdhsa_user_sgpr_kernarg_preload_offset 0
		.amdhsa_user_sgpr_private_segment_size 0
		.amdhsa_wavefront_size32 1
		.amdhsa_uses_dynamic_stack 0
		.amdhsa_enable_private_segment 0
		.amdhsa_system_sgpr_workgroup_id_x 1
		.amdhsa_system_sgpr_workgroup_id_y 0
		.amdhsa_system_sgpr_workgroup_id_z 0
		.amdhsa_system_sgpr_workgroup_info 0
		.amdhsa_system_vgpr_workitem_id 0
		.amdhsa_next_free_vgpr 1
		.amdhsa_next_free_sgpr 1
		.amdhsa_named_barrier_count 0
		.amdhsa_reserve_vcc 0
		.amdhsa_float_round_mode_32 0
		.amdhsa_float_round_mode_16_64 0
		.amdhsa_float_denorm_mode_32 3
		.amdhsa_float_denorm_mode_16_64 3
		.amdhsa_fp16_overflow 0
		.amdhsa_memory_ordered 1
		.amdhsa_forward_progress 1
		.amdhsa_inst_pref_size 0
		.amdhsa_round_robin_scheduling 0
		.amdhsa_exception_fp_ieee_invalid_op 0
		.amdhsa_exception_fp_denorm_src 0
		.amdhsa_exception_fp_ieee_div_zero 0
		.amdhsa_exception_fp_ieee_overflow 0
		.amdhsa_exception_fp_ieee_underflow 0
		.amdhsa_exception_fp_ieee_inexact 0
		.amdhsa_exception_int_div_zero 0
	.end_amdhsa_kernel
	.section	.text._ZN7rocprim17ROCPRIM_400000_NS6detail17trampoline_kernelINS0_14default_configENS1_38merge_sort_block_merge_config_selectorIlNS0_10empty_typeEEEZZNS1_27merge_sort_block_merge_implIS3_PlPS5_mZN2at6native12_GLOBAL__N_124unique_dim_cuda_templateIdEESt5tupleIJNSA_6TensorESF_SF_EERKSF_lbbbEUlllE_EE10hipError_tT0_T1_T2_jT3_P12ihipStream_tbPNSt15iterator_traitsISL_E10value_typeEPNSR_ISM_E10value_typeEPSN_NS1_7vsmem_tEENKUlT_SL_SM_SN_E_clIS8_S8_S9_S9_EESK_S10_SL_SM_SN_EUlS10_E1_NS1_11comp_targetILNS1_3genE8ELNS1_11target_archE1030ELNS1_3gpuE2ELNS1_3repE0EEENS1_36merge_oddeven_config_static_selectorELNS0_4arch9wavefront6targetE0EEEvSM_,"axG",@progbits,_ZN7rocprim17ROCPRIM_400000_NS6detail17trampoline_kernelINS0_14default_configENS1_38merge_sort_block_merge_config_selectorIlNS0_10empty_typeEEEZZNS1_27merge_sort_block_merge_implIS3_PlPS5_mZN2at6native12_GLOBAL__N_124unique_dim_cuda_templateIdEESt5tupleIJNSA_6TensorESF_SF_EERKSF_lbbbEUlllE_EE10hipError_tT0_T1_T2_jT3_P12ihipStream_tbPNSt15iterator_traitsISL_E10value_typeEPNSR_ISM_E10value_typeEPSN_NS1_7vsmem_tEENKUlT_SL_SM_SN_E_clIS8_S8_S9_S9_EESK_S10_SL_SM_SN_EUlS10_E1_NS1_11comp_targetILNS1_3genE8ELNS1_11target_archE1030ELNS1_3gpuE2ELNS1_3repE0EEENS1_36merge_oddeven_config_static_selectorELNS0_4arch9wavefront6targetE0EEEvSM_,comdat
.Lfunc_end781:
	.size	_ZN7rocprim17ROCPRIM_400000_NS6detail17trampoline_kernelINS0_14default_configENS1_38merge_sort_block_merge_config_selectorIlNS0_10empty_typeEEEZZNS1_27merge_sort_block_merge_implIS3_PlPS5_mZN2at6native12_GLOBAL__N_124unique_dim_cuda_templateIdEESt5tupleIJNSA_6TensorESF_SF_EERKSF_lbbbEUlllE_EE10hipError_tT0_T1_T2_jT3_P12ihipStream_tbPNSt15iterator_traitsISL_E10value_typeEPNSR_ISM_E10value_typeEPSN_NS1_7vsmem_tEENKUlT_SL_SM_SN_E_clIS8_S8_S9_S9_EESK_S10_SL_SM_SN_EUlS10_E1_NS1_11comp_targetILNS1_3genE8ELNS1_11target_archE1030ELNS1_3gpuE2ELNS1_3repE0EEENS1_36merge_oddeven_config_static_selectorELNS0_4arch9wavefront6targetE0EEEvSM_, .Lfunc_end781-_ZN7rocprim17ROCPRIM_400000_NS6detail17trampoline_kernelINS0_14default_configENS1_38merge_sort_block_merge_config_selectorIlNS0_10empty_typeEEEZZNS1_27merge_sort_block_merge_implIS3_PlPS5_mZN2at6native12_GLOBAL__N_124unique_dim_cuda_templateIdEESt5tupleIJNSA_6TensorESF_SF_EERKSF_lbbbEUlllE_EE10hipError_tT0_T1_T2_jT3_P12ihipStream_tbPNSt15iterator_traitsISL_E10value_typeEPNSR_ISM_E10value_typeEPSN_NS1_7vsmem_tEENKUlT_SL_SM_SN_E_clIS8_S8_S9_S9_EESK_S10_SL_SM_SN_EUlS10_E1_NS1_11comp_targetILNS1_3genE8ELNS1_11target_archE1030ELNS1_3gpuE2ELNS1_3repE0EEENS1_36merge_oddeven_config_static_selectorELNS0_4arch9wavefront6targetE0EEEvSM_
                                        ; -- End function
	.set _ZN7rocprim17ROCPRIM_400000_NS6detail17trampoline_kernelINS0_14default_configENS1_38merge_sort_block_merge_config_selectorIlNS0_10empty_typeEEEZZNS1_27merge_sort_block_merge_implIS3_PlPS5_mZN2at6native12_GLOBAL__N_124unique_dim_cuda_templateIdEESt5tupleIJNSA_6TensorESF_SF_EERKSF_lbbbEUlllE_EE10hipError_tT0_T1_T2_jT3_P12ihipStream_tbPNSt15iterator_traitsISL_E10value_typeEPNSR_ISM_E10value_typeEPSN_NS1_7vsmem_tEENKUlT_SL_SM_SN_E_clIS8_S8_S9_S9_EESK_S10_SL_SM_SN_EUlS10_E1_NS1_11comp_targetILNS1_3genE8ELNS1_11target_archE1030ELNS1_3gpuE2ELNS1_3repE0EEENS1_36merge_oddeven_config_static_selectorELNS0_4arch9wavefront6targetE0EEEvSM_.num_vgpr, 0
	.set _ZN7rocprim17ROCPRIM_400000_NS6detail17trampoline_kernelINS0_14default_configENS1_38merge_sort_block_merge_config_selectorIlNS0_10empty_typeEEEZZNS1_27merge_sort_block_merge_implIS3_PlPS5_mZN2at6native12_GLOBAL__N_124unique_dim_cuda_templateIdEESt5tupleIJNSA_6TensorESF_SF_EERKSF_lbbbEUlllE_EE10hipError_tT0_T1_T2_jT3_P12ihipStream_tbPNSt15iterator_traitsISL_E10value_typeEPNSR_ISM_E10value_typeEPSN_NS1_7vsmem_tEENKUlT_SL_SM_SN_E_clIS8_S8_S9_S9_EESK_S10_SL_SM_SN_EUlS10_E1_NS1_11comp_targetILNS1_3genE8ELNS1_11target_archE1030ELNS1_3gpuE2ELNS1_3repE0EEENS1_36merge_oddeven_config_static_selectorELNS0_4arch9wavefront6targetE0EEEvSM_.num_agpr, 0
	.set _ZN7rocprim17ROCPRIM_400000_NS6detail17trampoline_kernelINS0_14default_configENS1_38merge_sort_block_merge_config_selectorIlNS0_10empty_typeEEEZZNS1_27merge_sort_block_merge_implIS3_PlPS5_mZN2at6native12_GLOBAL__N_124unique_dim_cuda_templateIdEESt5tupleIJNSA_6TensorESF_SF_EERKSF_lbbbEUlllE_EE10hipError_tT0_T1_T2_jT3_P12ihipStream_tbPNSt15iterator_traitsISL_E10value_typeEPNSR_ISM_E10value_typeEPSN_NS1_7vsmem_tEENKUlT_SL_SM_SN_E_clIS8_S8_S9_S9_EESK_S10_SL_SM_SN_EUlS10_E1_NS1_11comp_targetILNS1_3genE8ELNS1_11target_archE1030ELNS1_3gpuE2ELNS1_3repE0EEENS1_36merge_oddeven_config_static_selectorELNS0_4arch9wavefront6targetE0EEEvSM_.numbered_sgpr, 0
	.set _ZN7rocprim17ROCPRIM_400000_NS6detail17trampoline_kernelINS0_14default_configENS1_38merge_sort_block_merge_config_selectorIlNS0_10empty_typeEEEZZNS1_27merge_sort_block_merge_implIS3_PlPS5_mZN2at6native12_GLOBAL__N_124unique_dim_cuda_templateIdEESt5tupleIJNSA_6TensorESF_SF_EERKSF_lbbbEUlllE_EE10hipError_tT0_T1_T2_jT3_P12ihipStream_tbPNSt15iterator_traitsISL_E10value_typeEPNSR_ISM_E10value_typeEPSN_NS1_7vsmem_tEENKUlT_SL_SM_SN_E_clIS8_S8_S9_S9_EESK_S10_SL_SM_SN_EUlS10_E1_NS1_11comp_targetILNS1_3genE8ELNS1_11target_archE1030ELNS1_3gpuE2ELNS1_3repE0EEENS1_36merge_oddeven_config_static_selectorELNS0_4arch9wavefront6targetE0EEEvSM_.num_named_barrier, 0
	.set _ZN7rocprim17ROCPRIM_400000_NS6detail17trampoline_kernelINS0_14default_configENS1_38merge_sort_block_merge_config_selectorIlNS0_10empty_typeEEEZZNS1_27merge_sort_block_merge_implIS3_PlPS5_mZN2at6native12_GLOBAL__N_124unique_dim_cuda_templateIdEESt5tupleIJNSA_6TensorESF_SF_EERKSF_lbbbEUlllE_EE10hipError_tT0_T1_T2_jT3_P12ihipStream_tbPNSt15iterator_traitsISL_E10value_typeEPNSR_ISM_E10value_typeEPSN_NS1_7vsmem_tEENKUlT_SL_SM_SN_E_clIS8_S8_S9_S9_EESK_S10_SL_SM_SN_EUlS10_E1_NS1_11comp_targetILNS1_3genE8ELNS1_11target_archE1030ELNS1_3gpuE2ELNS1_3repE0EEENS1_36merge_oddeven_config_static_selectorELNS0_4arch9wavefront6targetE0EEEvSM_.private_seg_size, 0
	.set _ZN7rocprim17ROCPRIM_400000_NS6detail17trampoline_kernelINS0_14default_configENS1_38merge_sort_block_merge_config_selectorIlNS0_10empty_typeEEEZZNS1_27merge_sort_block_merge_implIS3_PlPS5_mZN2at6native12_GLOBAL__N_124unique_dim_cuda_templateIdEESt5tupleIJNSA_6TensorESF_SF_EERKSF_lbbbEUlllE_EE10hipError_tT0_T1_T2_jT3_P12ihipStream_tbPNSt15iterator_traitsISL_E10value_typeEPNSR_ISM_E10value_typeEPSN_NS1_7vsmem_tEENKUlT_SL_SM_SN_E_clIS8_S8_S9_S9_EESK_S10_SL_SM_SN_EUlS10_E1_NS1_11comp_targetILNS1_3genE8ELNS1_11target_archE1030ELNS1_3gpuE2ELNS1_3repE0EEENS1_36merge_oddeven_config_static_selectorELNS0_4arch9wavefront6targetE0EEEvSM_.uses_vcc, 0
	.set _ZN7rocprim17ROCPRIM_400000_NS6detail17trampoline_kernelINS0_14default_configENS1_38merge_sort_block_merge_config_selectorIlNS0_10empty_typeEEEZZNS1_27merge_sort_block_merge_implIS3_PlPS5_mZN2at6native12_GLOBAL__N_124unique_dim_cuda_templateIdEESt5tupleIJNSA_6TensorESF_SF_EERKSF_lbbbEUlllE_EE10hipError_tT0_T1_T2_jT3_P12ihipStream_tbPNSt15iterator_traitsISL_E10value_typeEPNSR_ISM_E10value_typeEPSN_NS1_7vsmem_tEENKUlT_SL_SM_SN_E_clIS8_S8_S9_S9_EESK_S10_SL_SM_SN_EUlS10_E1_NS1_11comp_targetILNS1_3genE8ELNS1_11target_archE1030ELNS1_3gpuE2ELNS1_3repE0EEENS1_36merge_oddeven_config_static_selectorELNS0_4arch9wavefront6targetE0EEEvSM_.uses_flat_scratch, 0
	.set _ZN7rocprim17ROCPRIM_400000_NS6detail17trampoline_kernelINS0_14default_configENS1_38merge_sort_block_merge_config_selectorIlNS0_10empty_typeEEEZZNS1_27merge_sort_block_merge_implIS3_PlPS5_mZN2at6native12_GLOBAL__N_124unique_dim_cuda_templateIdEESt5tupleIJNSA_6TensorESF_SF_EERKSF_lbbbEUlllE_EE10hipError_tT0_T1_T2_jT3_P12ihipStream_tbPNSt15iterator_traitsISL_E10value_typeEPNSR_ISM_E10value_typeEPSN_NS1_7vsmem_tEENKUlT_SL_SM_SN_E_clIS8_S8_S9_S9_EESK_S10_SL_SM_SN_EUlS10_E1_NS1_11comp_targetILNS1_3genE8ELNS1_11target_archE1030ELNS1_3gpuE2ELNS1_3repE0EEENS1_36merge_oddeven_config_static_selectorELNS0_4arch9wavefront6targetE0EEEvSM_.has_dyn_sized_stack, 0
	.set _ZN7rocprim17ROCPRIM_400000_NS6detail17trampoline_kernelINS0_14default_configENS1_38merge_sort_block_merge_config_selectorIlNS0_10empty_typeEEEZZNS1_27merge_sort_block_merge_implIS3_PlPS5_mZN2at6native12_GLOBAL__N_124unique_dim_cuda_templateIdEESt5tupleIJNSA_6TensorESF_SF_EERKSF_lbbbEUlllE_EE10hipError_tT0_T1_T2_jT3_P12ihipStream_tbPNSt15iterator_traitsISL_E10value_typeEPNSR_ISM_E10value_typeEPSN_NS1_7vsmem_tEENKUlT_SL_SM_SN_E_clIS8_S8_S9_S9_EESK_S10_SL_SM_SN_EUlS10_E1_NS1_11comp_targetILNS1_3genE8ELNS1_11target_archE1030ELNS1_3gpuE2ELNS1_3repE0EEENS1_36merge_oddeven_config_static_selectorELNS0_4arch9wavefront6targetE0EEEvSM_.has_recursion, 0
	.set _ZN7rocprim17ROCPRIM_400000_NS6detail17trampoline_kernelINS0_14default_configENS1_38merge_sort_block_merge_config_selectorIlNS0_10empty_typeEEEZZNS1_27merge_sort_block_merge_implIS3_PlPS5_mZN2at6native12_GLOBAL__N_124unique_dim_cuda_templateIdEESt5tupleIJNSA_6TensorESF_SF_EERKSF_lbbbEUlllE_EE10hipError_tT0_T1_T2_jT3_P12ihipStream_tbPNSt15iterator_traitsISL_E10value_typeEPNSR_ISM_E10value_typeEPSN_NS1_7vsmem_tEENKUlT_SL_SM_SN_E_clIS8_S8_S9_S9_EESK_S10_SL_SM_SN_EUlS10_E1_NS1_11comp_targetILNS1_3genE8ELNS1_11target_archE1030ELNS1_3gpuE2ELNS1_3repE0EEENS1_36merge_oddeven_config_static_selectorELNS0_4arch9wavefront6targetE0EEEvSM_.has_indirect_call, 0
	.section	.AMDGPU.csdata,"",@progbits
; Kernel info:
; codeLenInByte = 0
; TotalNumSgprs: 0
; NumVgprs: 0
; ScratchSize: 0
; MemoryBound: 0
; FloatMode: 240
; IeeeMode: 1
; LDSByteSize: 0 bytes/workgroup (compile time only)
; SGPRBlocks: 0
; VGPRBlocks: 0
; NumSGPRsForWavesPerEU: 1
; NumVGPRsForWavesPerEU: 1
; NamedBarCnt: 0
; Occupancy: 16
; WaveLimiterHint : 0
; COMPUTE_PGM_RSRC2:SCRATCH_EN: 0
; COMPUTE_PGM_RSRC2:USER_SGPR: 2
; COMPUTE_PGM_RSRC2:TRAP_HANDLER: 0
; COMPUTE_PGM_RSRC2:TGID_X_EN: 1
; COMPUTE_PGM_RSRC2:TGID_Y_EN: 0
; COMPUTE_PGM_RSRC2:TGID_Z_EN: 0
; COMPUTE_PGM_RSRC2:TIDIG_COMP_CNT: 0
	.section	.text._ZN7rocprim17ROCPRIM_400000_NS6detail17trampoline_kernelINS0_14default_configENS1_35adjacent_difference_config_selectorILb0ElEEZNS1_24adjacent_difference_implIS3_Lb0ELb0EPlS7_ZN2at6native12_GLOBAL__N_124unique_dim_cuda_templateIdEESt5tupleIJNS8_6TensorESD_SD_EERKSD_lbbbEUlllE1_EE10hipError_tPvRmT2_T3_mT4_P12ihipStream_tbEUlT_E_NS1_11comp_targetILNS1_3genE0ELNS1_11target_archE4294967295ELNS1_3gpuE0ELNS1_3repE0EEENS1_30default_config_static_selectorELNS0_4arch9wavefront6targetE0EEEvT1_,"axG",@progbits,_ZN7rocprim17ROCPRIM_400000_NS6detail17trampoline_kernelINS0_14default_configENS1_35adjacent_difference_config_selectorILb0ElEEZNS1_24adjacent_difference_implIS3_Lb0ELb0EPlS7_ZN2at6native12_GLOBAL__N_124unique_dim_cuda_templateIdEESt5tupleIJNS8_6TensorESD_SD_EERKSD_lbbbEUlllE1_EE10hipError_tPvRmT2_T3_mT4_P12ihipStream_tbEUlT_E_NS1_11comp_targetILNS1_3genE0ELNS1_11target_archE4294967295ELNS1_3gpuE0ELNS1_3repE0EEENS1_30default_config_static_selectorELNS0_4arch9wavefront6targetE0EEEvT1_,comdat
	.globl	_ZN7rocprim17ROCPRIM_400000_NS6detail17trampoline_kernelINS0_14default_configENS1_35adjacent_difference_config_selectorILb0ElEEZNS1_24adjacent_difference_implIS3_Lb0ELb0EPlS7_ZN2at6native12_GLOBAL__N_124unique_dim_cuda_templateIdEESt5tupleIJNS8_6TensorESD_SD_EERKSD_lbbbEUlllE1_EE10hipError_tPvRmT2_T3_mT4_P12ihipStream_tbEUlT_E_NS1_11comp_targetILNS1_3genE0ELNS1_11target_archE4294967295ELNS1_3gpuE0ELNS1_3repE0EEENS1_30default_config_static_selectorELNS0_4arch9wavefront6targetE0EEEvT1_ ; -- Begin function _ZN7rocprim17ROCPRIM_400000_NS6detail17trampoline_kernelINS0_14default_configENS1_35adjacent_difference_config_selectorILb0ElEEZNS1_24adjacent_difference_implIS3_Lb0ELb0EPlS7_ZN2at6native12_GLOBAL__N_124unique_dim_cuda_templateIdEESt5tupleIJNS8_6TensorESD_SD_EERKSD_lbbbEUlllE1_EE10hipError_tPvRmT2_T3_mT4_P12ihipStream_tbEUlT_E_NS1_11comp_targetILNS1_3genE0ELNS1_11target_archE4294967295ELNS1_3gpuE0ELNS1_3repE0EEENS1_30default_config_static_selectorELNS0_4arch9wavefront6targetE0EEEvT1_
	.p2align	8
	.type	_ZN7rocprim17ROCPRIM_400000_NS6detail17trampoline_kernelINS0_14default_configENS1_35adjacent_difference_config_selectorILb0ElEEZNS1_24adjacent_difference_implIS3_Lb0ELb0EPlS7_ZN2at6native12_GLOBAL__N_124unique_dim_cuda_templateIdEESt5tupleIJNS8_6TensorESD_SD_EERKSD_lbbbEUlllE1_EE10hipError_tPvRmT2_T3_mT4_P12ihipStream_tbEUlT_E_NS1_11comp_targetILNS1_3genE0ELNS1_11target_archE4294967295ELNS1_3gpuE0ELNS1_3repE0EEENS1_30default_config_static_selectorELNS0_4arch9wavefront6targetE0EEEvT1_,@function
_ZN7rocprim17ROCPRIM_400000_NS6detail17trampoline_kernelINS0_14default_configENS1_35adjacent_difference_config_selectorILb0ElEEZNS1_24adjacent_difference_implIS3_Lb0ELb0EPlS7_ZN2at6native12_GLOBAL__N_124unique_dim_cuda_templateIdEESt5tupleIJNS8_6TensorESD_SD_EERKSD_lbbbEUlllE1_EE10hipError_tPvRmT2_T3_mT4_P12ihipStream_tbEUlT_E_NS1_11comp_targetILNS1_3genE0ELNS1_11target_archE4294967295ELNS1_3gpuE0ELNS1_3repE0EEENS1_30default_config_static_selectorELNS0_4arch9wavefront6targetE0EEEvT1_: ; @_ZN7rocprim17ROCPRIM_400000_NS6detail17trampoline_kernelINS0_14default_configENS1_35adjacent_difference_config_selectorILb0ElEEZNS1_24adjacent_difference_implIS3_Lb0ELb0EPlS7_ZN2at6native12_GLOBAL__N_124unique_dim_cuda_templateIdEESt5tupleIJNS8_6TensorESD_SD_EERKSD_lbbbEUlllE1_EE10hipError_tPvRmT2_T3_mT4_P12ihipStream_tbEUlT_E_NS1_11comp_targetILNS1_3genE0ELNS1_11target_archE4294967295ELNS1_3gpuE0ELNS1_3repE0EEENS1_30default_config_static_selectorELNS0_4arch9wavefront6targetE0EEEvT1_
; %bb.0:
	s_load_b256 s[4:11], s[0:1], 0x0
	s_bfe_u32 s2, ttmp6, 0x4000c
	s_and_b32 s3, ttmp6, 15
	s_add_co_i32 s2, s2, 1
	s_getreg_b32 s12, hwreg(HW_REG_IB_STS2, 6, 4)
	s_mul_i32 s2, ttmp9, s2
	s_load_b64 s[16:17], s[0:1], 0x38
	s_add_co_i32 s3, s3, s2
	s_mov_b32 s23, 0
	s_delay_alu instid0(SALU_CYCLE_1)
	s_mov_b32 s19, s23
	s_wait_kmcnt 0x0
	s_lshl_b64 s[6:7], s[6:7], 3
	s_cmp_eq_u32 s12, 0
	s_add_nc_u64 s[4:5], s[4:5], s[6:7]
	s_cselect_b32 s18, ttmp9, s3
	s_and_b64 s[12:13], s[10:11], 0x7f
	s_lshr_b64 s[20:21], s[10:11], 7
	s_lshl_b32 s2, s18, 7
	s_cmp_lg_u64 s[12:13], 0
	s_load_b128 s[12:15], s[0:1], 0x20
	s_cselect_b32 s3, -1, 0
	s_add_nc_u64 s[18:19], s[16:17], s[18:19]
	v_cndmask_b32_e64 v1, 0, 1, s3
	s_delay_alu instid0(VALU_DEP_1) | instskip(SKIP_2) | instid1(SALU_CYCLE_1)
	v_readfirstlane_b32 s22, v1
	s_wait_xcnt 0x0
	s_add_nc_u64 s[0:1], s[20:21], s[22:23]
	s_add_nc_u64 s[16:17], s[0:1], -1
	s_delay_alu instid0(SALU_CYCLE_1)
	v_cmp_ge_u64_e64 s11, s[18:19], s[16:17]
	s_and_b32 vcc_lo, exec_lo, s11
	s_cbranch_vccz .LBB782_4
; %bb.1:
	s_lshl_b32 s3, s16, 7
	s_mov_b32 s20, exec_lo
	s_sub_co_i32 s3, s10, s3
                                        ; implicit-def: $vgpr2_vgpr3
	s_delay_alu instid0(SALU_CYCLE_1)
	v_cmpx_gt_u32_e64 s3, v0
	s_cbranch_execz .LBB782_3
; %bb.2:
	s_mov_b32 s3, 0
	s_delay_alu instid0(SALU_CYCLE_1) | instskip(NEXT) | instid1(SALU_CYCLE_1)
	s_lshl_b64 s[22:23], s[2:3], 3
	s_add_nc_u64 s[22:23], s[4:5], s[22:23]
	global_load_b64 v[2:3], v0, s[22:23] scale_offset
.LBB782_3:
	s_wait_xcnt 0x0
	s_or_b32 exec_lo, exec_lo, s20
	v_lshlrev_b32_e32 v1, 3, v0
	s_wait_loadcnt 0x0
	ds_store_b64 v1, v[2:3]
	s_wait_dscnt 0x0
	s_barrier_signal -1
	s_barrier_wait -1
	s_branch .LBB782_6
.LBB782_4:
                                        ; implicit-def: $vgpr1
	s_cbranch_execz .LBB782_6
; %bb.5:
	s_mov_b32 s3, 0
	v_lshlrev_b32_e32 v1, 3, v0
	s_lshl_b64 s[20:21], s[2:3], 3
	s_delay_alu instid0(SALU_CYCLE_1)
	s_add_nc_u64 s[20:21], s[4:5], s[20:21]
	global_load_b64 v[2:3], v0, s[20:21] scale_offset
	s_wait_loadcnt 0x0
	ds_store_b64 v1, v[2:3]
	s_wait_dscnt 0x0
	s_barrier_signal -1
	s_barrier_wait -1
.LBB782_6:
	ds_load_b64 v[2:3], v1
	s_cmp_eq_u64 s[18:19], 0
	s_wait_dscnt 0x0
	s_barrier_signal -1
	s_barrier_wait -1
	s_cbranch_scc1 .LBB782_15
; %bb.7:
	s_mov_b32 s3, 0
	s_delay_alu instid0(SALU_CYCLE_1) | instskip(SKIP_2) | instid1(SALU_CYCLE_1)
	s_lshl_b64 s[20:21], s[2:3], 3
	s_cmp_eq_u64 s[18:19], s[16:17]
	s_add_nc_u64 s[4:5], s[4:5], s[20:21]
	s_add_nc_u64 s[4:5], s[4:5], -8
	s_load_b64 s[4:5], s[4:5], 0x0
	s_cbranch_scc1 .LBB782_16
; %bb.8:
	s_wait_kmcnt 0x0
	v_mov_b64_e32 v[4:5], s[4:5]
	v_lshlrev_b32_e32 v1, 3, v0
	s_mov_b32 s3, exec_lo
	ds_store_b64 v1, v[2:3]
	s_wait_dscnt 0x0
	s_barrier_signal -1
	s_barrier_wait -1
	v_cmpx_ne_u32_e32 0, v0
; %bb.9:
	v_add_nc_u32_e32 v1, -8, v1
	ds_load_b64 v[4:5], v1
; %bb.10:
	s_or_b32 exec_lo, exec_lo, s3
	v_cmp_lt_i64_e64 s3, s[12:13], 1
	s_and_b32 vcc_lo, exec_lo, s3
	s_cbranch_vccnz .LBB782_18
; %bb.11:
	v_mul_u64_e32 v[6:7], s[12:13], v[2:3]
	s_wait_dscnt 0x0
	v_mul_u64_e32 v[4:5], s[12:13], v[4:5]
	s_mov_b32 s3, 0
	s_mov_b64 s[20:21], s[12:13]
                                        ; implicit-def: $sgpr17
	s_delay_alu instid0(VALU_DEP_2) | instskip(NEXT) | instid1(VALU_DEP_2)
	v_lshl_add_u64 v[6:7], v[6:7], 3, s[14:15]
	v_lshl_add_u64 v[8:9], v[4:5], 3, s[14:15]
	s_branch .LBB782_13
.LBB782_12:                             ;   in Loop: Header=BB782_13 Depth=1
	s_or_b32 exec_lo, exec_lo, s19
	s_delay_alu instid0(SALU_CYCLE_1) | instskip(NEXT) | instid1(SALU_CYCLE_1)
	s_and_b32 s19, exec_lo, s17
	s_or_b32 s3, s19, s3
	s_delay_alu instid0(SALU_CYCLE_1)
	s_and_not1_b32 exec_lo, exec_lo, s3
	s_cbranch_execz .LBB782_17
.LBB782_13:                             ; =>This Inner Loop Header: Depth=1
	global_load_b64 v[4:5], v[6:7], off
	global_load_b64 v[10:11], v[8:9], off
	s_or_b32 s17, s17, exec_lo
	s_wait_loadcnt 0x0
	v_cmp_eq_f64_e32 vcc_lo, v[4:5], v[10:11]
	v_mov_b64_e32 v[4:5], 1
	s_and_saveexec_b32 s19, vcc_lo
	s_cbranch_execz .LBB782_12
; %bb.14:                               ;   in Loop: Header=BB782_13 Depth=1
	s_add_nc_u64 s[20:21], s[20:21], -1
	v_add_nc_u64_e32 v[6:7], 8, v[6:7]
	s_cmp_eq_u64 s[20:21], 0
	v_add_nc_u64_e32 v[8:9], 8, v[8:9]
	v_mov_b64_e32 v[4:5], 0
	s_cselect_b32 s22, -1, 0
	s_and_not1_b32 s17, s17, exec_lo
	s_and_b32 s22, s22, exec_lo
	s_delay_alu instid0(SALU_CYCLE_1)
	s_or_b32 s17, s17, s22
	s_branch .LBB782_12
.LBB782_15:
                                        ; implicit-def: $vgpr4_vgpr5
	s_branch .LBB782_31
.LBB782_16:
                                        ; implicit-def: $vgpr4_vgpr5
	s_cbranch_execnz .LBB782_19
	s_branch .LBB782_30
.LBB782_17:
	s_or_b32 exec_lo, exec_lo, s3
	s_branch .LBB782_30
.LBB782_18:
	s_wait_dscnt 0x0
	v_mov_b64_e32 v[4:5], 0
	s_branch .LBB782_30
.LBB782_19:
	s_wait_kmcnt 0x0
	v_mov_b64_e32 v[6:7], s[4:5]
	v_lshlrev_b32_e32 v1, 3, v0
	s_mov_b32 s3, exec_lo
	ds_store_b64 v1, v[2:3]
	s_wait_dscnt 0x0
	s_barrier_signal -1
	s_barrier_wait -1
	v_cmpx_ne_u32_e32 0, v0
; %bb.20:
	v_add_nc_u32_e32 v1, -8, v1
	ds_load_b64 v[6:7], v1
; %bb.21:
	s_or_b32 exec_lo, exec_lo, s3
	s_lshl_b32 s3, s18, 7
	v_mov_b64_e32 v[4:5], v[2:3]
	s_sub_co_i32 s3, s10, s3
	s_delay_alu instid0(SALU_CYCLE_1)
	v_cmp_gt_u32_e32 vcc_lo, s3, v0
	s_and_saveexec_b32 s3, vcc_lo
	s_cbranch_execz .LBB782_29
; %bb.22:
	v_cmp_lt_i64_e64 s4, s[12:13], 1
	s_and_b32 vcc_lo, exec_lo, s4
	s_cbranch_vccnz .LBB782_28
; %bb.23:
	v_mul_u64_e32 v[4:5], s[12:13], v[2:3]
	s_wait_dscnt 0x0
	v_mul_u64_e32 v[8:9], s[12:13], v[6:7]
	s_mov_b32 s17, 0
	s_mov_b64 s[4:5], s[12:13]
                                        ; implicit-def: $sgpr18
	s_delay_alu instid0(VALU_DEP_2) | instskip(NEXT) | instid1(VALU_DEP_2)
	v_lshl_add_u64 v[6:7], v[4:5], 3, s[14:15]
	v_lshl_add_u64 v[8:9], v[8:9], 3, s[14:15]
	s_branch .LBB782_25
.LBB782_24:                             ;   in Loop: Header=BB782_25 Depth=1
	s_or_b32 exec_lo, exec_lo, s19
	s_delay_alu instid0(SALU_CYCLE_1) | instskip(NEXT) | instid1(SALU_CYCLE_1)
	s_and_b32 s19, exec_lo, s18
	s_or_b32 s17, s19, s17
	s_delay_alu instid0(SALU_CYCLE_1)
	s_and_not1_b32 exec_lo, exec_lo, s17
	s_cbranch_execz .LBB782_27
.LBB782_25:                             ; =>This Inner Loop Header: Depth=1
	global_load_b64 v[4:5], v[6:7], off
	global_load_b64 v[10:11], v[8:9], off
	s_or_b32 s18, s18, exec_lo
	s_wait_loadcnt 0x0
	v_cmp_eq_f64_e32 vcc_lo, v[4:5], v[10:11]
	v_mov_b64_e32 v[4:5], 1
	s_and_saveexec_b32 s19, vcc_lo
	s_cbranch_execz .LBB782_24
; %bb.26:                               ;   in Loop: Header=BB782_25 Depth=1
	s_add_nc_u64 s[4:5], s[4:5], -1
	v_add_nc_u64_e32 v[6:7], 8, v[6:7]
	s_cmp_eq_u64 s[4:5], 0
	v_add_nc_u64_e32 v[8:9], 8, v[8:9]
	v_mov_b64_e32 v[4:5], 0
	s_cselect_b32 s20, -1, 0
	s_and_not1_b32 s18, s18, exec_lo
	s_and_b32 s20, s20, exec_lo
	s_delay_alu instid0(SALU_CYCLE_1)
	s_or_b32 s18, s18, s20
	s_branch .LBB782_24
.LBB782_27:
	s_or_b32 exec_lo, exec_lo, s17
	s_branch .LBB782_29
.LBB782_28:
	v_mov_b64_e32 v[4:5], 0
.LBB782_29:
	s_or_b32 exec_lo, exec_lo, s3
.LBB782_30:
	s_cbranch_execnz .LBB782_51
.LBB782_31:
	s_cmp_eq_u64 s[0:1], 1
	v_cmp_ne_u32_e32 vcc_lo, 0, v0
	s_cbranch_scc1 .LBB782_38
; %bb.32:
	v_mov_b64_e32 v[4:5], v[2:3]
	v_lshlrev_b32_e32 v1, 3, v0
	s_mov_b32 s3, 0
	ds_store_b64 v1, v[2:3]
	s_wait_dscnt 0x0
	s_barrier_signal -1
	s_barrier_wait -1
	s_wait_kmcnt 0x0
	s_and_saveexec_b32 s4, vcc_lo
	s_cbranch_execz .LBB782_40
; %bb.33:
	v_cmp_lt_i64_e64 s0, s[12:13], 1
	s_and_b32 vcc_lo, exec_lo, s0
	s_cbranch_vccnz .LBB782_48
; %bb.34:
	v_add_nc_u32_e32 v1, -8, v1
	v_mul_u64_e32 v[6:7], s[12:13], v[2:3]
	s_mov_b32 s5, 0
	s_mov_b64 s[0:1], s[12:13]
                                        ; implicit-def: $sgpr17
	ds_load_b64 v[4:5], v1
	s_wait_dscnt 0x0
	v_mul_u64_e32 v[4:5], s[12:13], v[4:5]
	v_lshl_add_u64 v[6:7], v[6:7], 3, s[14:15]
	s_delay_alu instid0(VALU_DEP_2)
	v_lshl_add_u64 v[8:9], v[4:5], 3, s[14:15]
	s_branch .LBB782_36
.LBB782_35:                             ;   in Loop: Header=BB782_36 Depth=1
	s_or_b32 exec_lo, exec_lo, s18
	s_delay_alu instid0(SALU_CYCLE_1) | instskip(NEXT) | instid1(SALU_CYCLE_1)
	s_and_b32 s18, exec_lo, s17
	s_or_b32 s5, s18, s5
	s_delay_alu instid0(SALU_CYCLE_1)
	s_and_not1_b32 exec_lo, exec_lo, s5
	s_cbranch_execz .LBB782_39
.LBB782_36:                             ; =>This Inner Loop Header: Depth=1
	global_load_b64 v[4:5], v[6:7], off
	global_load_b64 v[10:11], v[8:9], off
	s_or_b32 s17, s17, exec_lo
	s_wait_loadcnt 0x0
	v_cmp_eq_f64_e32 vcc_lo, v[4:5], v[10:11]
	v_mov_b64_e32 v[4:5], 1
	s_and_saveexec_b32 s18, vcc_lo
	s_cbranch_execz .LBB782_35
; %bb.37:                               ;   in Loop: Header=BB782_36 Depth=1
	s_add_nc_u64 s[0:1], s[0:1], -1
	v_add_nc_u64_e32 v[6:7], 8, v[6:7]
	s_cmp_eq_u64 s[0:1], 0
	v_add_nc_u64_e32 v[8:9], 8, v[8:9]
	v_mov_b64_e32 v[4:5], 0
	s_cselect_b32 s19, -1, 0
	s_and_not1_b32 s17, s17, exec_lo
	s_and_b32 s19, s19, exec_lo
	s_delay_alu instid0(SALU_CYCLE_1)
	s_or_b32 s17, s17, s19
	s_branch .LBB782_35
.LBB782_38:
                                        ; implicit-def: $vgpr4_vgpr5
	s_branch .LBB782_41
.LBB782_39:
	s_or_b32 exec_lo, exec_lo, s5
.LBB782_40:
	s_delay_alu instid0(SALU_CYCLE_1) | instskip(NEXT) | instid1(SALU_CYCLE_1)
	s_or_b32 exec_lo, exec_lo, s4
	s_and_not1_b32 vcc_lo, exec_lo, s3
	s_cbranch_vccnz .LBB782_51
.LBB782_41:
	v_cmp_ne_u32_e32 vcc_lo, 0, v0
	v_cmp_gt_u32_e64 s0, s10, v0
	v_lshlrev_b32_e32 v1, 3, v0
	s_and_b32 s1, vcc_lo, s0
	ds_store_b64 v1, v[2:3]
	s_wait_dscnt 0x0
	s_barrier_signal -1
	s_barrier_wait -1
	s_and_saveexec_b32 s0, s1
	s_cbranch_execz .LBB782_50
; %bb.42:
	s_wait_kmcnt 0x0
	v_cmp_lt_i64_e64 s1, s[12:13], 1
	s_and_b32 vcc_lo, exec_lo, s1
	s_cbranch_vccnz .LBB782_49
; %bb.43:
	v_add_nc_u32_e32 v1, -8, v1
	v_mul_u64_e32 v[2:3], s[12:13], v[2:3]
	s_mov_b32 s1, 0
                                        ; implicit-def: $sgpr3
	ds_load_b64 v[4:5], v1
	s_wait_dscnt 0x0
	v_mul_u64_e32 v[6:7], s[12:13], v[4:5]
	v_lshl_add_u64 v[4:5], v[2:3], 3, s[14:15]
	s_delay_alu instid0(VALU_DEP_2)
	v_lshl_add_u64 v[6:7], v[6:7], 3, s[14:15]
	s_branch .LBB782_45
.LBB782_44:                             ;   in Loop: Header=BB782_45 Depth=1
	s_or_b32 exec_lo, exec_lo, s4
	s_delay_alu instid0(SALU_CYCLE_1) | instskip(NEXT) | instid1(SALU_CYCLE_1)
	s_and_b32 s4, exec_lo, s3
	s_or_b32 s1, s4, s1
	s_delay_alu instid0(SALU_CYCLE_1)
	s_and_not1_b32 exec_lo, exec_lo, s1
	s_cbranch_execz .LBB782_47
.LBB782_45:                             ; =>This Inner Loop Header: Depth=1
	global_load_b64 v[2:3], v[4:5], off
	global_load_b64 v[8:9], v[6:7], off
	s_or_b32 s3, s3, exec_lo
	s_wait_loadcnt 0x0
	v_cmp_eq_f64_e32 vcc_lo, v[2:3], v[8:9]
	v_mov_b64_e32 v[2:3], 1
	s_and_saveexec_b32 s4, vcc_lo
	s_cbranch_execz .LBB782_44
; %bb.46:                               ;   in Loop: Header=BB782_45 Depth=1
	s_add_nc_u64 s[12:13], s[12:13], -1
	v_add_nc_u64_e32 v[4:5], 8, v[4:5]
	s_cmp_eq_u64 s[12:13], 0
	v_add_nc_u64_e32 v[6:7], 8, v[6:7]
	v_mov_b64_e32 v[2:3], 0
	s_cselect_b32 s5, -1, 0
	s_and_not1_b32 s3, s3, exec_lo
	s_and_b32 s5, s5, exec_lo
	s_delay_alu instid0(SALU_CYCLE_1)
	s_or_b32 s3, s3, s5
	s_branch .LBB782_44
.LBB782_47:
	s_or_b32 exec_lo, exec_lo, s1
	s_branch .LBB782_50
.LBB782_48:
	v_mov_b64_e32 v[4:5], 0
	s_or_b32 exec_lo, exec_lo, s4
	s_delay_alu instid0(SALU_CYCLE_1)
	s_and_not1_b32 vcc_lo, exec_lo, s3
	s_cbranch_vccz .LBB782_41
	s_branch .LBB782_51
.LBB782_49:
	v_mov_b64_e32 v[2:3], 0
.LBB782_50:
	s_or_b32 exec_lo, exec_lo, s0
	s_delay_alu instid0(VALU_DEP_1)
	v_mov_b64_e32 v[4:5], v[2:3]
.LBB782_51:
	s_add_nc_u64 s[0:1], s[8:9], s[6:7]
	s_and_b32 vcc_lo, exec_lo, s11
	s_mov_b32 s3, -1
	s_wait_dscnt 0x0
	s_barrier_signal -1
	s_barrier_wait -1
	s_cbranch_vccnz .LBB782_54
; %bb.52:
	s_and_not1_b32 vcc_lo, exec_lo, s3
	s_cbranch_vccz .LBB782_57
.LBB782_53:
	s_endpgm
.LBB782_54:
	v_lshlrev_b32_e32 v1, 3, v0
	s_lshl_b32 s3, s16, 7
	s_wait_kmcnt 0x0
	s_mov_b32 s4, exec_lo
	s_sub_co_i32 s3, s10, s3
	ds_store_b64 v1, v[4:5]
	s_wait_dscnt 0x0
	s_barrier_signal -1
	s_barrier_wait -1
	v_cmpx_gt_u32_e64 s3, v0
	s_cbranch_execz .LBB782_56
; %bb.55:
	ds_load_b64 v[2:3], v1
	s_mov_b32 s3, 0
	s_delay_alu instid0(SALU_CYCLE_1) | instskip(NEXT) | instid1(SALU_CYCLE_1)
	s_lshl_b64 s[6:7], s[2:3], 3
	s_add_nc_u64 s[6:7], s[0:1], s[6:7]
	s_wait_dscnt 0x0
	global_store_b64 v0, v[2:3], s[6:7] scale_offset
.LBB782_56:
	s_wait_xcnt 0x0
	s_or_b32 exec_lo, exec_lo, s4
	s_cbranch_execnz .LBB782_53
.LBB782_57:
	v_lshlrev_b32_e32 v1, 3, v0
	s_mov_b32 s3, 0
	s_delay_alu instid0(SALU_CYCLE_1) | instskip(NEXT) | instid1(SALU_CYCLE_1)
	s_lshl_b64 s[2:3], s[2:3], 3
	s_add_nc_u64 s[0:1], s[0:1], s[2:3]
	ds_store_b64 v1, v[4:5]
	s_wait_storecnt_dscnt 0x0
	s_barrier_signal -1
	s_barrier_wait -1
	ds_load_b64 v[2:3], v1
	s_wait_dscnt 0x0
	global_store_b64 v0, v[2:3], s[0:1] scale_offset
	s_endpgm
	.section	.rodata,"a",@progbits
	.p2align	6, 0x0
	.amdhsa_kernel _ZN7rocprim17ROCPRIM_400000_NS6detail17trampoline_kernelINS0_14default_configENS1_35adjacent_difference_config_selectorILb0ElEEZNS1_24adjacent_difference_implIS3_Lb0ELb0EPlS7_ZN2at6native12_GLOBAL__N_124unique_dim_cuda_templateIdEESt5tupleIJNS8_6TensorESD_SD_EERKSD_lbbbEUlllE1_EE10hipError_tPvRmT2_T3_mT4_P12ihipStream_tbEUlT_E_NS1_11comp_targetILNS1_3genE0ELNS1_11target_archE4294967295ELNS1_3gpuE0ELNS1_3repE0EEENS1_30default_config_static_selectorELNS0_4arch9wavefront6targetE0EEEvT1_
		.amdhsa_group_segment_fixed_size 2048
		.amdhsa_private_segment_fixed_size 0
		.amdhsa_kernarg_size 64
		.amdhsa_user_sgpr_count 2
		.amdhsa_user_sgpr_dispatch_ptr 0
		.amdhsa_user_sgpr_queue_ptr 0
		.amdhsa_user_sgpr_kernarg_segment_ptr 1
		.amdhsa_user_sgpr_dispatch_id 0
		.amdhsa_user_sgpr_kernarg_preload_length 0
		.amdhsa_user_sgpr_kernarg_preload_offset 0
		.amdhsa_user_sgpr_private_segment_size 0
		.amdhsa_wavefront_size32 1
		.amdhsa_uses_dynamic_stack 0
		.amdhsa_enable_private_segment 0
		.amdhsa_system_sgpr_workgroup_id_x 1
		.amdhsa_system_sgpr_workgroup_id_y 0
		.amdhsa_system_sgpr_workgroup_id_z 0
		.amdhsa_system_sgpr_workgroup_info 0
		.amdhsa_system_vgpr_workitem_id 0
		.amdhsa_next_free_vgpr 12
		.amdhsa_next_free_sgpr 24
		.amdhsa_named_barrier_count 0
		.amdhsa_reserve_vcc 1
		.amdhsa_float_round_mode_32 0
		.amdhsa_float_round_mode_16_64 0
		.amdhsa_float_denorm_mode_32 3
		.amdhsa_float_denorm_mode_16_64 3
		.amdhsa_fp16_overflow 0
		.amdhsa_memory_ordered 1
		.amdhsa_forward_progress 1
		.amdhsa_inst_pref_size 14
		.amdhsa_round_robin_scheduling 0
		.amdhsa_exception_fp_ieee_invalid_op 0
		.amdhsa_exception_fp_denorm_src 0
		.amdhsa_exception_fp_ieee_div_zero 0
		.amdhsa_exception_fp_ieee_overflow 0
		.amdhsa_exception_fp_ieee_underflow 0
		.amdhsa_exception_fp_ieee_inexact 0
		.amdhsa_exception_int_div_zero 0
	.end_amdhsa_kernel
	.section	.text._ZN7rocprim17ROCPRIM_400000_NS6detail17trampoline_kernelINS0_14default_configENS1_35adjacent_difference_config_selectorILb0ElEEZNS1_24adjacent_difference_implIS3_Lb0ELb0EPlS7_ZN2at6native12_GLOBAL__N_124unique_dim_cuda_templateIdEESt5tupleIJNS8_6TensorESD_SD_EERKSD_lbbbEUlllE1_EE10hipError_tPvRmT2_T3_mT4_P12ihipStream_tbEUlT_E_NS1_11comp_targetILNS1_3genE0ELNS1_11target_archE4294967295ELNS1_3gpuE0ELNS1_3repE0EEENS1_30default_config_static_selectorELNS0_4arch9wavefront6targetE0EEEvT1_,"axG",@progbits,_ZN7rocprim17ROCPRIM_400000_NS6detail17trampoline_kernelINS0_14default_configENS1_35adjacent_difference_config_selectorILb0ElEEZNS1_24adjacent_difference_implIS3_Lb0ELb0EPlS7_ZN2at6native12_GLOBAL__N_124unique_dim_cuda_templateIdEESt5tupleIJNS8_6TensorESD_SD_EERKSD_lbbbEUlllE1_EE10hipError_tPvRmT2_T3_mT4_P12ihipStream_tbEUlT_E_NS1_11comp_targetILNS1_3genE0ELNS1_11target_archE4294967295ELNS1_3gpuE0ELNS1_3repE0EEENS1_30default_config_static_selectorELNS0_4arch9wavefront6targetE0EEEvT1_,comdat
.Lfunc_end782:
	.size	_ZN7rocprim17ROCPRIM_400000_NS6detail17trampoline_kernelINS0_14default_configENS1_35adjacent_difference_config_selectorILb0ElEEZNS1_24adjacent_difference_implIS3_Lb0ELb0EPlS7_ZN2at6native12_GLOBAL__N_124unique_dim_cuda_templateIdEESt5tupleIJNS8_6TensorESD_SD_EERKSD_lbbbEUlllE1_EE10hipError_tPvRmT2_T3_mT4_P12ihipStream_tbEUlT_E_NS1_11comp_targetILNS1_3genE0ELNS1_11target_archE4294967295ELNS1_3gpuE0ELNS1_3repE0EEENS1_30default_config_static_selectorELNS0_4arch9wavefront6targetE0EEEvT1_, .Lfunc_end782-_ZN7rocprim17ROCPRIM_400000_NS6detail17trampoline_kernelINS0_14default_configENS1_35adjacent_difference_config_selectorILb0ElEEZNS1_24adjacent_difference_implIS3_Lb0ELb0EPlS7_ZN2at6native12_GLOBAL__N_124unique_dim_cuda_templateIdEESt5tupleIJNS8_6TensorESD_SD_EERKSD_lbbbEUlllE1_EE10hipError_tPvRmT2_T3_mT4_P12ihipStream_tbEUlT_E_NS1_11comp_targetILNS1_3genE0ELNS1_11target_archE4294967295ELNS1_3gpuE0ELNS1_3repE0EEENS1_30default_config_static_selectorELNS0_4arch9wavefront6targetE0EEEvT1_
                                        ; -- End function
	.set _ZN7rocprim17ROCPRIM_400000_NS6detail17trampoline_kernelINS0_14default_configENS1_35adjacent_difference_config_selectorILb0ElEEZNS1_24adjacent_difference_implIS3_Lb0ELb0EPlS7_ZN2at6native12_GLOBAL__N_124unique_dim_cuda_templateIdEESt5tupleIJNS8_6TensorESD_SD_EERKSD_lbbbEUlllE1_EE10hipError_tPvRmT2_T3_mT4_P12ihipStream_tbEUlT_E_NS1_11comp_targetILNS1_3genE0ELNS1_11target_archE4294967295ELNS1_3gpuE0ELNS1_3repE0EEENS1_30default_config_static_selectorELNS0_4arch9wavefront6targetE0EEEvT1_.num_vgpr, 12
	.set _ZN7rocprim17ROCPRIM_400000_NS6detail17trampoline_kernelINS0_14default_configENS1_35adjacent_difference_config_selectorILb0ElEEZNS1_24adjacent_difference_implIS3_Lb0ELb0EPlS7_ZN2at6native12_GLOBAL__N_124unique_dim_cuda_templateIdEESt5tupleIJNS8_6TensorESD_SD_EERKSD_lbbbEUlllE1_EE10hipError_tPvRmT2_T3_mT4_P12ihipStream_tbEUlT_E_NS1_11comp_targetILNS1_3genE0ELNS1_11target_archE4294967295ELNS1_3gpuE0ELNS1_3repE0EEENS1_30default_config_static_selectorELNS0_4arch9wavefront6targetE0EEEvT1_.num_agpr, 0
	.set _ZN7rocprim17ROCPRIM_400000_NS6detail17trampoline_kernelINS0_14default_configENS1_35adjacent_difference_config_selectorILb0ElEEZNS1_24adjacent_difference_implIS3_Lb0ELb0EPlS7_ZN2at6native12_GLOBAL__N_124unique_dim_cuda_templateIdEESt5tupleIJNS8_6TensorESD_SD_EERKSD_lbbbEUlllE1_EE10hipError_tPvRmT2_T3_mT4_P12ihipStream_tbEUlT_E_NS1_11comp_targetILNS1_3genE0ELNS1_11target_archE4294967295ELNS1_3gpuE0ELNS1_3repE0EEENS1_30default_config_static_selectorELNS0_4arch9wavefront6targetE0EEEvT1_.numbered_sgpr, 24
	.set _ZN7rocprim17ROCPRIM_400000_NS6detail17trampoline_kernelINS0_14default_configENS1_35adjacent_difference_config_selectorILb0ElEEZNS1_24adjacent_difference_implIS3_Lb0ELb0EPlS7_ZN2at6native12_GLOBAL__N_124unique_dim_cuda_templateIdEESt5tupleIJNS8_6TensorESD_SD_EERKSD_lbbbEUlllE1_EE10hipError_tPvRmT2_T3_mT4_P12ihipStream_tbEUlT_E_NS1_11comp_targetILNS1_3genE0ELNS1_11target_archE4294967295ELNS1_3gpuE0ELNS1_3repE0EEENS1_30default_config_static_selectorELNS0_4arch9wavefront6targetE0EEEvT1_.num_named_barrier, 0
	.set _ZN7rocprim17ROCPRIM_400000_NS6detail17trampoline_kernelINS0_14default_configENS1_35adjacent_difference_config_selectorILb0ElEEZNS1_24adjacent_difference_implIS3_Lb0ELb0EPlS7_ZN2at6native12_GLOBAL__N_124unique_dim_cuda_templateIdEESt5tupleIJNS8_6TensorESD_SD_EERKSD_lbbbEUlllE1_EE10hipError_tPvRmT2_T3_mT4_P12ihipStream_tbEUlT_E_NS1_11comp_targetILNS1_3genE0ELNS1_11target_archE4294967295ELNS1_3gpuE0ELNS1_3repE0EEENS1_30default_config_static_selectorELNS0_4arch9wavefront6targetE0EEEvT1_.private_seg_size, 0
	.set _ZN7rocprim17ROCPRIM_400000_NS6detail17trampoline_kernelINS0_14default_configENS1_35adjacent_difference_config_selectorILb0ElEEZNS1_24adjacent_difference_implIS3_Lb0ELb0EPlS7_ZN2at6native12_GLOBAL__N_124unique_dim_cuda_templateIdEESt5tupleIJNS8_6TensorESD_SD_EERKSD_lbbbEUlllE1_EE10hipError_tPvRmT2_T3_mT4_P12ihipStream_tbEUlT_E_NS1_11comp_targetILNS1_3genE0ELNS1_11target_archE4294967295ELNS1_3gpuE0ELNS1_3repE0EEENS1_30default_config_static_selectorELNS0_4arch9wavefront6targetE0EEEvT1_.uses_vcc, 1
	.set _ZN7rocprim17ROCPRIM_400000_NS6detail17trampoline_kernelINS0_14default_configENS1_35adjacent_difference_config_selectorILb0ElEEZNS1_24adjacent_difference_implIS3_Lb0ELb0EPlS7_ZN2at6native12_GLOBAL__N_124unique_dim_cuda_templateIdEESt5tupleIJNS8_6TensorESD_SD_EERKSD_lbbbEUlllE1_EE10hipError_tPvRmT2_T3_mT4_P12ihipStream_tbEUlT_E_NS1_11comp_targetILNS1_3genE0ELNS1_11target_archE4294967295ELNS1_3gpuE0ELNS1_3repE0EEENS1_30default_config_static_selectorELNS0_4arch9wavefront6targetE0EEEvT1_.uses_flat_scratch, 0
	.set _ZN7rocprim17ROCPRIM_400000_NS6detail17trampoline_kernelINS0_14default_configENS1_35adjacent_difference_config_selectorILb0ElEEZNS1_24adjacent_difference_implIS3_Lb0ELb0EPlS7_ZN2at6native12_GLOBAL__N_124unique_dim_cuda_templateIdEESt5tupleIJNS8_6TensorESD_SD_EERKSD_lbbbEUlllE1_EE10hipError_tPvRmT2_T3_mT4_P12ihipStream_tbEUlT_E_NS1_11comp_targetILNS1_3genE0ELNS1_11target_archE4294967295ELNS1_3gpuE0ELNS1_3repE0EEENS1_30default_config_static_selectorELNS0_4arch9wavefront6targetE0EEEvT1_.has_dyn_sized_stack, 0
	.set _ZN7rocprim17ROCPRIM_400000_NS6detail17trampoline_kernelINS0_14default_configENS1_35adjacent_difference_config_selectorILb0ElEEZNS1_24adjacent_difference_implIS3_Lb0ELb0EPlS7_ZN2at6native12_GLOBAL__N_124unique_dim_cuda_templateIdEESt5tupleIJNS8_6TensorESD_SD_EERKSD_lbbbEUlllE1_EE10hipError_tPvRmT2_T3_mT4_P12ihipStream_tbEUlT_E_NS1_11comp_targetILNS1_3genE0ELNS1_11target_archE4294967295ELNS1_3gpuE0ELNS1_3repE0EEENS1_30default_config_static_selectorELNS0_4arch9wavefront6targetE0EEEvT1_.has_recursion, 0
	.set _ZN7rocprim17ROCPRIM_400000_NS6detail17trampoline_kernelINS0_14default_configENS1_35adjacent_difference_config_selectorILb0ElEEZNS1_24adjacent_difference_implIS3_Lb0ELb0EPlS7_ZN2at6native12_GLOBAL__N_124unique_dim_cuda_templateIdEESt5tupleIJNS8_6TensorESD_SD_EERKSD_lbbbEUlllE1_EE10hipError_tPvRmT2_T3_mT4_P12ihipStream_tbEUlT_E_NS1_11comp_targetILNS1_3genE0ELNS1_11target_archE4294967295ELNS1_3gpuE0ELNS1_3repE0EEENS1_30default_config_static_selectorELNS0_4arch9wavefront6targetE0EEEvT1_.has_indirect_call, 0
	.section	.AMDGPU.csdata,"",@progbits
; Kernel info:
; codeLenInByte = 1704
; TotalNumSgprs: 26
; NumVgprs: 12
; ScratchSize: 0
; MemoryBound: 0
; FloatMode: 240
; IeeeMode: 1
; LDSByteSize: 2048 bytes/workgroup (compile time only)
; SGPRBlocks: 0
; VGPRBlocks: 0
; NumSGPRsForWavesPerEU: 26
; NumVGPRsForWavesPerEU: 12
; NamedBarCnt: 0
; Occupancy: 16
; WaveLimiterHint : 0
; COMPUTE_PGM_RSRC2:SCRATCH_EN: 0
; COMPUTE_PGM_RSRC2:USER_SGPR: 2
; COMPUTE_PGM_RSRC2:TRAP_HANDLER: 0
; COMPUTE_PGM_RSRC2:TGID_X_EN: 1
; COMPUTE_PGM_RSRC2:TGID_Y_EN: 0
; COMPUTE_PGM_RSRC2:TGID_Z_EN: 0
; COMPUTE_PGM_RSRC2:TIDIG_COMP_CNT: 0
	.section	.text._ZN7rocprim17ROCPRIM_400000_NS6detail17trampoline_kernelINS0_14default_configENS1_35adjacent_difference_config_selectorILb0ElEEZNS1_24adjacent_difference_implIS3_Lb0ELb0EPlS7_ZN2at6native12_GLOBAL__N_124unique_dim_cuda_templateIdEESt5tupleIJNS8_6TensorESD_SD_EERKSD_lbbbEUlllE1_EE10hipError_tPvRmT2_T3_mT4_P12ihipStream_tbEUlT_E_NS1_11comp_targetILNS1_3genE10ELNS1_11target_archE1201ELNS1_3gpuE5ELNS1_3repE0EEENS1_30default_config_static_selectorELNS0_4arch9wavefront6targetE0EEEvT1_,"axG",@progbits,_ZN7rocprim17ROCPRIM_400000_NS6detail17trampoline_kernelINS0_14default_configENS1_35adjacent_difference_config_selectorILb0ElEEZNS1_24adjacent_difference_implIS3_Lb0ELb0EPlS7_ZN2at6native12_GLOBAL__N_124unique_dim_cuda_templateIdEESt5tupleIJNS8_6TensorESD_SD_EERKSD_lbbbEUlllE1_EE10hipError_tPvRmT2_T3_mT4_P12ihipStream_tbEUlT_E_NS1_11comp_targetILNS1_3genE10ELNS1_11target_archE1201ELNS1_3gpuE5ELNS1_3repE0EEENS1_30default_config_static_selectorELNS0_4arch9wavefront6targetE0EEEvT1_,comdat
	.globl	_ZN7rocprim17ROCPRIM_400000_NS6detail17trampoline_kernelINS0_14default_configENS1_35adjacent_difference_config_selectorILb0ElEEZNS1_24adjacent_difference_implIS3_Lb0ELb0EPlS7_ZN2at6native12_GLOBAL__N_124unique_dim_cuda_templateIdEESt5tupleIJNS8_6TensorESD_SD_EERKSD_lbbbEUlllE1_EE10hipError_tPvRmT2_T3_mT4_P12ihipStream_tbEUlT_E_NS1_11comp_targetILNS1_3genE10ELNS1_11target_archE1201ELNS1_3gpuE5ELNS1_3repE0EEENS1_30default_config_static_selectorELNS0_4arch9wavefront6targetE0EEEvT1_ ; -- Begin function _ZN7rocprim17ROCPRIM_400000_NS6detail17trampoline_kernelINS0_14default_configENS1_35adjacent_difference_config_selectorILb0ElEEZNS1_24adjacent_difference_implIS3_Lb0ELb0EPlS7_ZN2at6native12_GLOBAL__N_124unique_dim_cuda_templateIdEESt5tupleIJNS8_6TensorESD_SD_EERKSD_lbbbEUlllE1_EE10hipError_tPvRmT2_T3_mT4_P12ihipStream_tbEUlT_E_NS1_11comp_targetILNS1_3genE10ELNS1_11target_archE1201ELNS1_3gpuE5ELNS1_3repE0EEENS1_30default_config_static_selectorELNS0_4arch9wavefront6targetE0EEEvT1_
	.p2align	8
	.type	_ZN7rocprim17ROCPRIM_400000_NS6detail17trampoline_kernelINS0_14default_configENS1_35adjacent_difference_config_selectorILb0ElEEZNS1_24adjacent_difference_implIS3_Lb0ELb0EPlS7_ZN2at6native12_GLOBAL__N_124unique_dim_cuda_templateIdEESt5tupleIJNS8_6TensorESD_SD_EERKSD_lbbbEUlllE1_EE10hipError_tPvRmT2_T3_mT4_P12ihipStream_tbEUlT_E_NS1_11comp_targetILNS1_3genE10ELNS1_11target_archE1201ELNS1_3gpuE5ELNS1_3repE0EEENS1_30default_config_static_selectorELNS0_4arch9wavefront6targetE0EEEvT1_,@function
_ZN7rocprim17ROCPRIM_400000_NS6detail17trampoline_kernelINS0_14default_configENS1_35adjacent_difference_config_selectorILb0ElEEZNS1_24adjacent_difference_implIS3_Lb0ELb0EPlS7_ZN2at6native12_GLOBAL__N_124unique_dim_cuda_templateIdEESt5tupleIJNS8_6TensorESD_SD_EERKSD_lbbbEUlllE1_EE10hipError_tPvRmT2_T3_mT4_P12ihipStream_tbEUlT_E_NS1_11comp_targetILNS1_3genE10ELNS1_11target_archE1201ELNS1_3gpuE5ELNS1_3repE0EEENS1_30default_config_static_selectorELNS0_4arch9wavefront6targetE0EEEvT1_: ; @_ZN7rocprim17ROCPRIM_400000_NS6detail17trampoline_kernelINS0_14default_configENS1_35adjacent_difference_config_selectorILb0ElEEZNS1_24adjacent_difference_implIS3_Lb0ELb0EPlS7_ZN2at6native12_GLOBAL__N_124unique_dim_cuda_templateIdEESt5tupleIJNS8_6TensorESD_SD_EERKSD_lbbbEUlllE1_EE10hipError_tPvRmT2_T3_mT4_P12ihipStream_tbEUlT_E_NS1_11comp_targetILNS1_3genE10ELNS1_11target_archE1201ELNS1_3gpuE5ELNS1_3repE0EEENS1_30default_config_static_selectorELNS0_4arch9wavefront6targetE0EEEvT1_
; %bb.0:
	.section	.rodata,"a",@progbits
	.p2align	6, 0x0
	.amdhsa_kernel _ZN7rocprim17ROCPRIM_400000_NS6detail17trampoline_kernelINS0_14default_configENS1_35adjacent_difference_config_selectorILb0ElEEZNS1_24adjacent_difference_implIS3_Lb0ELb0EPlS7_ZN2at6native12_GLOBAL__N_124unique_dim_cuda_templateIdEESt5tupleIJNS8_6TensorESD_SD_EERKSD_lbbbEUlllE1_EE10hipError_tPvRmT2_T3_mT4_P12ihipStream_tbEUlT_E_NS1_11comp_targetILNS1_3genE10ELNS1_11target_archE1201ELNS1_3gpuE5ELNS1_3repE0EEENS1_30default_config_static_selectorELNS0_4arch9wavefront6targetE0EEEvT1_
		.amdhsa_group_segment_fixed_size 0
		.amdhsa_private_segment_fixed_size 0
		.amdhsa_kernarg_size 64
		.amdhsa_user_sgpr_count 2
		.amdhsa_user_sgpr_dispatch_ptr 0
		.amdhsa_user_sgpr_queue_ptr 0
		.amdhsa_user_sgpr_kernarg_segment_ptr 1
		.amdhsa_user_sgpr_dispatch_id 0
		.amdhsa_user_sgpr_kernarg_preload_length 0
		.amdhsa_user_sgpr_kernarg_preload_offset 0
		.amdhsa_user_sgpr_private_segment_size 0
		.amdhsa_wavefront_size32 1
		.amdhsa_uses_dynamic_stack 0
		.amdhsa_enable_private_segment 0
		.amdhsa_system_sgpr_workgroup_id_x 1
		.amdhsa_system_sgpr_workgroup_id_y 0
		.amdhsa_system_sgpr_workgroup_id_z 0
		.amdhsa_system_sgpr_workgroup_info 0
		.amdhsa_system_vgpr_workitem_id 0
		.amdhsa_next_free_vgpr 1
		.amdhsa_next_free_sgpr 1
		.amdhsa_named_barrier_count 0
		.amdhsa_reserve_vcc 0
		.amdhsa_float_round_mode_32 0
		.amdhsa_float_round_mode_16_64 0
		.amdhsa_float_denorm_mode_32 3
		.amdhsa_float_denorm_mode_16_64 3
		.amdhsa_fp16_overflow 0
		.amdhsa_memory_ordered 1
		.amdhsa_forward_progress 1
		.amdhsa_inst_pref_size 0
		.amdhsa_round_robin_scheduling 0
		.amdhsa_exception_fp_ieee_invalid_op 0
		.amdhsa_exception_fp_denorm_src 0
		.amdhsa_exception_fp_ieee_div_zero 0
		.amdhsa_exception_fp_ieee_overflow 0
		.amdhsa_exception_fp_ieee_underflow 0
		.amdhsa_exception_fp_ieee_inexact 0
		.amdhsa_exception_int_div_zero 0
	.end_amdhsa_kernel
	.section	.text._ZN7rocprim17ROCPRIM_400000_NS6detail17trampoline_kernelINS0_14default_configENS1_35adjacent_difference_config_selectorILb0ElEEZNS1_24adjacent_difference_implIS3_Lb0ELb0EPlS7_ZN2at6native12_GLOBAL__N_124unique_dim_cuda_templateIdEESt5tupleIJNS8_6TensorESD_SD_EERKSD_lbbbEUlllE1_EE10hipError_tPvRmT2_T3_mT4_P12ihipStream_tbEUlT_E_NS1_11comp_targetILNS1_3genE10ELNS1_11target_archE1201ELNS1_3gpuE5ELNS1_3repE0EEENS1_30default_config_static_selectorELNS0_4arch9wavefront6targetE0EEEvT1_,"axG",@progbits,_ZN7rocprim17ROCPRIM_400000_NS6detail17trampoline_kernelINS0_14default_configENS1_35adjacent_difference_config_selectorILb0ElEEZNS1_24adjacent_difference_implIS3_Lb0ELb0EPlS7_ZN2at6native12_GLOBAL__N_124unique_dim_cuda_templateIdEESt5tupleIJNS8_6TensorESD_SD_EERKSD_lbbbEUlllE1_EE10hipError_tPvRmT2_T3_mT4_P12ihipStream_tbEUlT_E_NS1_11comp_targetILNS1_3genE10ELNS1_11target_archE1201ELNS1_3gpuE5ELNS1_3repE0EEENS1_30default_config_static_selectorELNS0_4arch9wavefront6targetE0EEEvT1_,comdat
.Lfunc_end783:
	.size	_ZN7rocprim17ROCPRIM_400000_NS6detail17trampoline_kernelINS0_14default_configENS1_35adjacent_difference_config_selectorILb0ElEEZNS1_24adjacent_difference_implIS3_Lb0ELb0EPlS7_ZN2at6native12_GLOBAL__N_124unique_dim_cuda_templateIdEESt5tupleIJNS8_6TensorESD_SD_EERKSD_lbbbEUlllE1_EE10hipError_tPvRmT2_T3_mT4_P12ihipStream_tbEUlT_E_NS1_11comp_targetILNS1_3genE10ELNS1_11target_archE1201ELNS1_3gpuE5ELNS1_3repE0EEENS1_30default_config_static_selectorELNS0_4arch9wavefront6targetE0EEEvT1_, .Lfunc_end783-_ZN7rocprim17ROCPRIM_400000_NS6detail17trampoline_kernelINS0_14default_configENS1_35adjacent_difference_config_selectorILb0ElEEZNS1_24adjacent_difference_implIS3_Lb0ELb0EPlS7_ZN2at6native12_GLOBAL__N_124unique_dim_cuda_templateIdEESt5tupleIJNS8_6TensorESD_SD_EERKSD_lbbbEUlllE1_EE10hipError_tPvRmT2_T3_mT4_P12ihipStream_tbEUlT_E_NS1_11comp_targetILNS1_3genE10ELNS1_11target_archE1201ELNS1_3gpuE5ELNS1_3repE0EEENS1_30default_config_static_selectorELNS0_4arch9wavefront6targetE0EEEvT1_
                                        ; -- End function
	.set _ZN7rocprim17ROCPRIM_400000_NS6detail17trampoline_kernelINS0_14default_configENS1_35adjacent_difference_config_selectorILb0ElEEZNS1_24adjacent_difference_implIS3_Lb0ELb0EPlS7_ZN2at6native12_GLOBAL__N_124unique_dim_cuda_templateIdEESt5tupleIJNS8_6TensorESD_SD_EERKSD_lbbbEUlllE1_EE10hipError_tPvRmT2_T3_mT4_P12ihipStream_tbEUlT_E_NS1_11comp_targetILNS1_3genE10ELNS1_11target_archE1201ELNS1_3gpuE5ELNS1_3repE0EEENS1_30default_config_static_selectorELNS0_4arch9wavefront6targetE0EEEvT1_.num_vgpr, 0
	.set _ZN7rocprim17ROCPRIM_400000_NS6detail17trampoline_kernelINS0_14default_configENS1_35adjacent_difference_config_selectorILb0ElEEZNS1_24adjacent_difference_implIS3_Lb0ELb0EPlS7_ZN2at6native12_GLOBAL__N_124unique_dim_cuda_templateIdEESt5tupleIJNS8_6TensorESD_SD_EERKSD_lbbbEUlllE1_EE10hipError_tPvRmT2_T3_mT4_P12ihipStream_tbEUlT_E_NS1_11comp_targetILNS1_3genE10ELNS1_11target_archE1201ELNS1_3gpuE5ELNS1_3repE0EEENS1_30default_config_static_selectorELNS0_4arch9wavefront6targetE0EEEvT1_.num_agpr, 0
	.set _ZN7rocprim17ROCPRIM_400000_NS6detail17trampoline_kernelINS0_14default_configENS1_35adjacent_difference_config_selectorILb0ElEEZNS1_24adjacent_difference_implIS3_Lb0ELb0EPlS7_ZN2at6native12_GLOBAL__N_124unique_dim_cuda_templateIdEESt5tupleIJNS8_6TensorESD_SD_EERKSD_lbbbEUlllE1_EE10hipError_tPvRmT2_T3_mT4_P12ihipStream_tbEUlT_E_NS1_11comp_targetILNS1_3genE10ELNS1_11target_archE1201ELNS1_3gpuE5ELNS1_3repE0EEENS1_30default_config_static_selectorELNS0_4arch9wavefront6targetE0EEEvT1_.numbered_sgpr, 0
	.set _ZN7rocprim17ROCPRIM_400000_NS6detail17trampoline_kernelINS0_14default_configENS1_35adjacent_difference_config_selectorILb0ElEEZNS1_24adjacent_difference_implIS3_Lb0ELb0EPlS7_ZN2at6native12_GLOBAL__N_124unique_dim_cuda_templateIdEESt5tupleIJNS8_6TensorESD_SD_EERKSD_lbbbEUlllE1_EE10hipError_tPvRmT2_T3_mT4_P12ihipStream_tbEUlT_E_NS1_11comp_targetILNS1_3genE10ELNS1_11target_archE1201ELNS1_3gpuE5ELNS1_3repE0EEENS1_30default_config_static_selectorELNS0_4arch9wavefront6targetE0EEEvT1_.num_named_barrier, 0
	.set _ZN7rocprim17ROCPRIM_400000_NS6detail17trampoline_kernelINS0_14default_configENS1_35adjacent_difference_config_selectorILb0ElEEZNS1_24adjacent_difference_implIS3_Lb0ELb0EPlS7_ZN2at6native12_GLOBAL__N_124unique_dim_cuda_templateIdEESt5tupleIJNS8_6TensorESD_SD_EERKSD_lbbbEUlllE1_EE10hipError_tPvRmT2_T3_mT4_P12ihipStream_tbEUlT_E_NS1_11comp_targetILNS1_3genE10ELNS1_11target_archE1201ELNS1_3gpuE5ELNS1_3repE0EEENS1_30default_config_static_selectorELNS0_4arch9wavefront6targetE0EEEvT1_.private_seg_size, 0
	.set _ZN7rocprim17ROCPRIM_400000_NS6detail17trampoline_kernelINS0_14default_configENS1_35adjacent_difference_config_selectorILb0ElEEZNS1_24adjacent_difference_implIS3_Lb0ELb0EPlS7_ZN2at6native12_GLOBAL__N_124unique_dim_cuda_templateIdEESt5tupleIJNS8_6TensorESD_SD_EERKSD_lbbbEUlllE1_EE10hipError_tPvRmT2_T3_mT4_P12ihipStream_tbEUlT_E_NS1_11comp_targetILNS1_3genE10ELNS1_11target_archE1201ELNS1_3gpuE5ELNS1_3repE0EEENS1_30default_config_static_selectorELNS0_4arch9wavefront6targetE0EEEvT1_.uses_vcc, 0
	.set _ZN7rocprim17ROCPRIM_400000_NS6detail17trampoline_kernelINS0_14default_configENS1_35adjacent_difference_config_selectorILb0ElEEZNS1_24adjacent_difference_implIS3_Lb0ELb0EPlS7_ZN2at6native12_GLOBAL__N_124unique_dim_cuda_templateIdEESt5tupleIJNS8_6TensorESD_SD_EERKSD_lbbbEUlllE1_EE10hipError_tPvRmT2_T3_mT4_P12ihipStream_tbEUlT_E_NS1_11comp_targetILNS1_3genE10ELNS1_11target_archE1201ELNS1_3gpuE5ELNS1_3repE0EEENS1_30default_config_static_selectorELNS0_4arch9wavefront6targetE0EEEvT1_.uses_flat_scratch, 0
	.set _ZN7rocprim17ROCPRIM_400000_NS6detail17trampoline_kernelINS0_14default_configENS1_35adjacent_difference_config_selectorILb0ElEEZNS1_24adjacent_difference_implIS3_Lb0ELb0EPlS7_ZN2at6native12_GLOBAL__N_124unique_dim_cuda_templateIdEESt5tupleIJNS8_6TensorESD_SD_EERKSD_lbbbEUlllE1_EE10hipError_tPvRmT2_T3_mT4_P12ihipStream_tbEUlT_E_NS1_11comp_targetILNS1_3genE10ELNS1_11target_archE1201ELNS1_3gpuE5ELNS1_3repE0EEENS1_30default_config_static_selectorELNS0_4arch9wavefront6targetE0EEEvT1_.has_dyn_sized_stack, 0
	.set _ZN7rocprim17ROCPRIM_400000_NS6detail17trampoline_kernelINS0_14default_configENS1_35adjacent_difference_config_selectorILb0ElEEZNS1_24adjacent_difference_implIS3_Lb0ELb0EPlS7_ZN2at6native12_GLOBAL__N_124unique_dim_cuda_templateIdEESt5tupleIJNS8_6TensorESD_SD_EERKSD_lbbbEUlllE1_EE10hipError_tPvRmT2_T3_mT4_P12ihipStream_tbEUlT_E_NS1_11comp_targetILNS1_3genE10ELNS1_11target_archE1201ELNS1_3gpuE5ELNS1_3repE0EEENS1_30default_config_static_selectorELNS0_4arch9wavefront6targetE0EEEvT1_.has_recursion, 0
	.set _ZN7rocprim17ROCPRIM_400000_NS6detail17trampoline_kernelINS0_14default_configENS1_35adjacent_difference_config_selectorILb0ElEEZNS1_24adjacent_difference_implIS3_Lb0ELb0EPlS7_ZN2at6native12_GLOBAL__N_124unique_dim_cuda_templateIdEESt5tupleIJNS8_6TensorESD_SD_EERKSD_lbbbEUlllE1_EE10hipError_tPvRmT2_T3_mT4_P12ihipStream_tbEUlT_E_NS1_11comp_targetILNS1_3genE10ELNS1_11target_archE1201ELNS1_3gpuE5ELNS1_3repE0EEENS1_30default_config_static_selectorELNS0_4arch9wavefront6targetE0EEEvT1_.has_indirect_call, 0
	.section	.AMDGPU.csdata,"",@progbits
; Kernel info:
; codeLenInByte = 0
; TotalNumSgprs: 0
; NumVgprs: 0
; ScratchSize: 0
; MemoryBound: 0
; FloatMode: 240
; IeeeMode: 1
; LDSByteSize: 0 bytes/workgroup (compile time only)
; SGPRBlocks: 0
; VGPRBlocks: 0
; NumSGPRsForWavesPerEU: 1
; NumVGPRsForWavesPerEU: 1
; NamedBarCnt: 0
; Occupancy: 16
; WaveLimiterHint : 0
; COMPUTE_PGM_RSRC2:SCRATCH_EN: 0
; COMPUTE_PGM_RSRC2:USER_SGPR: 2
; COMPUTE_PGM_RSRC2:TRAP_HANDLER: 0
; COMPUTE_PGM_RSRC2:TGID_X_EN: 1
; COMPUTE_PGM_RSRC2:TGID_Y_EN: 0
; COMPUTE_PGM_RSRC2:TGID_Z_EN: 0
; COMPUTE_PGM_RSRC2:TIDIG_COMP_CNT: 0
	.section	.text._ZN7rocprim17ROCPRIM_400000_NS6detail17trampoline_kernelINS0_14default_configENS1_35adjacent_difference_config_selectorILb0ElEEZNS1_24adjacent_difference_implIS3_Lb0ELb0EPlS7_ZN2at6native12_GLOBAL__N_124unique_dim_cuda_templateIdEESt5tupleIJNS8_6TensorESD_SD_EERKSD_lbbbEUlllE1_EE10hipError_tPvRmT2_T3_mT4_P12ihipStream_tbEUlT_E_NS1_11comp_targetILNS1_3genE5ELNS1_11target_archE942ELNS1_3gpuE9ELNS1_3repE0EEENS1_30default_config_static_selectorELNS0_4arch9wavefront6targetE0EEEvT1_,"axG",@progbits,_ZN7rocprim17ROCPRIM_400000_NS6detail17trampoline_kernelINS0_14default_configENS1_35adjacent_difference_config_selectorILb0ElEEZNS1_24adjacent_difference_implIS3_Lb0ELb0EPlS7_ZN2at6native12_GLOBAL__N_124unique_dim_cuda_templateIdEESt5tupleIJNS8_6TensorESD_SD_EERKSD_lbbbEUlllE1_EE10hipError_tPvRmT2_T3_mT4_P12ihipStream_tbEUlT_E_NS1_11comp_targetILNS1_3genE5ELNS1_11target_archE942ELNS1_3gpuE9ELNS1_3repE0EEENS1_30default_config_static_selectorELNS0_4arch9wavefront6targetE0EEEvT1_,comdat
	.globl	_ZN7rocprim17ROCPRIM_400000_NS6detail17trampoline_kernelINS0_14default_configENS1_35adjacent_difference_config_selectorILb0ElEEZNS1_24adjacent_difference_implIS3_Lb0ELb0EPlS7_ZN2at6native12_GLOBAL__N_124unique_dim_cuda_templateIdEESt5tupleIJNS8_6TensorESD_SD_EERKSD_lbbbEUlllE1_EE10hipError_tPvRmT2_T3_mT4_P12ihipStream_tbEUlT_E_NS1_11comp_targetILNS1_3genE5ELNS1_11target_archE942ELNS1_3gpuE9ELNS1_3repE0EEENS1_30default_config_static_selectorELNS0_4arch9wavefront6targetE0EEEvT1_ ; -- Begin function _ZN7rocprim17ROCPRIM_400000_NS6detail17trampoline_kernelINS0_14default_configENS1_35adjacent_difference_config_selectorILb0ElEEZNS1_24adjacent_difference_implIS3_Lb0ELb0EPlS7_ZN2at6native12_GLOBAL__N_124unique_dim_cuda_templateIdEESt5tupleIJNS8_6TensorESD_SD_EERKSD_lbbbEUlllE1_EE10hipError_tPvRmT2_T3_mT4_P12ihipStream_tbEUlT_E_NS1_11comp_targetILNS1_3genE5ELNS1_11target_archE942ELNS1_3gpuE9ELNS1_3repE0EEENS1_30default_config_static_selectorELNS0_4arch9wavefront6targetE0EEEvT1_
	.p2align	8
	.type	_ZN7rocprim17ROCPRIM_400000_NS6detail17trampoline_kernelINS0_14default_configENS1_35adjacent_difference_config_selectorILb0ElEEZNS1_24adjacent_difference_implIS3_Lb0ELb0EPlS7_ZN2at6native12_GLOBAL__N_124unique_dim_cuda_templateIdEESt5tupleIJNS8_6TensorESD_SD_EERKSD_lbbbEUlllE1_EE10hipError_tPvRmT2_T3_mT4_P12ihipStream_tbEUlT_E_NS1_11comp_targetILNS1_3genE5ELNS1_11target_archE942ELNS1_3gpuE9ELNS1_3repE0EEENS1_30default_config_static_selectorELNS0_4arch9wavefront6targetE0EEEvT1_,@function
_ZN7rocprim17ROCPRIM_400000_NS6detail17trampoline_kernelINS0_14default_configENS1_35adjacent_difference_config_selectorILb0ElEEZNS1_24adjacent_difference_implIS3_Lb0ELb0EPlS7_ZN2at6native12_GLOBAL__N_124unique_dim_cuda_templateIdEESt5tupleIJNS8_6TensorESD_SD_EERKSD_lbbbEUlllE1_EE10hipError_tPvRmT2_T3_mT4_P12ihipStream_tbEUlT_E_NS1_11comp_targetILNS1_3genE5ELNS1_11target_archE942ELNS1_3gpuE9ELNS1_3repE0EEENS1_30default_config_static_selectorELNS0_4arch9wavefront6targetE0EEEvT1_: ; @_ZN7rocprim17ROCPRIM_400000_NS6detail17trampoline_kernelINS0_14default_configENS1_35adjacent_difference_config_selectorILb0ElEEZNS1_24adjacent_difference_implIS3_Lb0ELb0EPlS7_ZN2at6native12_GLOBAL__N_124unique_dim_cuda_templateIdEESt5tupleIJNS8_6TensorESD_SD_EERKSD_lbbbEUlllE1_EE10hipError_tPvRmT2_T3_mT4_P12ihipStream_tbEUlT_E_NS1_11comp_targetILNS1_3genE5ELNS1_11target_archE942ELNS1_3gpuE9ELNS1_3repE0EEENS1_30default_config_static_selectorELNS0_4arch9wavefront6targetE0EEEvT1_
; %bb.0:
	.section	.rodata,"a",@progbits
	.p2align	6, 0x0
	.amdhsa_kernel _ZN7rocprim17ROCPRIM_400000_NS6detail17trampoline_kernelINS0_14default_configENS1_35adjacent_difference_config_selectorILb0ElEEZNS1_24adjacent_difference_implIS3_Lb0ELb0EPlS7_ZN2at6native12_GLOBAL__N_124unique_dim_cuda_templateIdEESt5tupleIJNS8_6TensorESD_SD_EERKSD_lbbbEUlllE1_EE10hipError_tPvRmT2_T3_mT4_P12ihipStream_tbEUlT_E_NS1_11comp_targetILNS1_3genE5ELNS1_11target_archE942ELNS1_3gpuE9ELNS1_3repE0EEENS1_30default_config_static_selectorELNS0_4arch9wavefront6targetE0EEEvT1_
		.amdhsa_group_segment_fixed_size 0
		.amdhsa_private_segment_fixed_size 0
		.amdhsa_kernarg_size 64
		.amdhsa_user_sgpr_count 2
		.amdhsa_user_sgpr_dispatch_ptr 0
		.amdhsa_user_sgpr_queue_ptr 0
		.amdhsa_user_sgpr_kernarg_segment_ptr 1
		.amdhsa_user_sgpr_dispatch_id 0
		.amdhsa_user_sgpr_kernarg_preload_length 0
		.amdhsa_user_sgpr_kernarg_preload_offset 0
		.amdhsa_user_sgpr_private_segment_size 0
		.amdhsa_wavefront_size32 1
		.amdhsa_uses_dynamic_stack 0
		.amdhsa_enable_private_segment 0
		.amdhsa_system_sgpr_workgroup_id_x 1
		.amdhsa_system_sgpr_workgroup_id_y 0
		.amdhsa_system_sgpr_workgroup_id_z 0
		.amdhsa_system_sgpr_workgroup_info 0
		.amdhsa_system_vgpr_workitem_id 0
		.amdhsa_next_free_vgpr 1
		.amdhsa_next_free_sgpr 1
		.amdhsa_named_barrier_count 0
		.amdhsa_reserve_vcc 0
		.amdhsa_float_round_mode_32 0
		.amdhsa_float_round_mode_16_64 0
		.amdhsa_float_denorm_mode_32 3
		.amdhsa_float_denorm_mode_16_64 3
		.amdhsa_fp16_overflow 0
		.amdhsa_memory_ordered 1
		.amdhsa_forward_progress 1
		.amdhsa_inst_pref_size 0
		.amdhsa_round_robin_scheduling 0
		.amdhsa_exception_fp_ieee_invalid_op 0
		.amdhsa_exception_fp_denorm_src 0
		.amdhsa_exception_fp_ieee_div_zero 0
		.amdhsa_exception_fp_ieee_overflow 0
		.amdhsa_exception_fp_ieee_underflow 0
		.amdhsa_exception_fp_ieee_inexact 0
		.amdhsa_exception_int_div_zero 0
	.end_amdhsa_kernel
	.section	.text._ZN7rocprim17ROCPRIM_400000_NS6detail17trampoline_kernelINS0_14default_configENS1_35adjacent_difference_config_selectorILb0ElEEZNS1_24adjacent_difference_implIS3_Lb0ELb0EPlS7_ZN2at6native12_GLOBAL__N_124unique_dim_cuda_templateIdEESt5tupleIJNS8_6TensorESD_SD_EERKSD_lbbbEUlllE1_EE10hipError_tPvRmT2_T3_mT4_P12ihipStream_tbEUlT_E_NS1_11comp_targetILNS1_3genE5ELNS1_11target_archE942ELNS1_3gpuE9ELNS1_3repE0EEENS1_30default_config_static_selectorELNS0_4arch9wavefront6targetE0EEEvT1_,"axG",@progbits,_ZN7rocprim17ROCPRIM_400000_NS6detail17trampoline_kernelINS0_14default_configENS1_35adjacent_difference_config_selectorILb0ElEEZNS1_24adjacent_difference_implIS3_Lb0ELb0EPlS7_ZN2at6native12_GLOBAL__N_124unique_dim_cuda_templateIdEESt5tupleIJNS8_6TensorESD_SD_EERKSD_lbbbEUlllE1_EE10hipError_tPvRmT2_T3_mT4_P12ihipStream_tbEUlT_E_NS1_11comp_targetILNS1_3genE5ELNS1_11target_archE942ELNS1_3gpuE9ELNS1_3repE0EEENS1_30default_config_static_selectorELNS0_4arch9wavefront6targetE0EEEvT1_,comdat
.Lfunc_end784:
	.size	_ZN7rocprim17ROCPRIM_400000_NS6detail17trampoline_kernelINS0_14default_configENS1_35adjacent_difference_config_selectorILb0ElEEZNS1_24adjacent_difference_implIS3_Lb0ELb0EPlS7_ZN2at6native12_GLOBAL__N_124unique_dim_cuda_templateIdEESt5tupleIJNS8_6TensorESD_SD_EERKSD_lbbbEUlllE1_EE10hipError_tPvRmT2_T3_mT4_P12ihipStream_tbEUlT_E_NS1_11comp_targetILNS1_3genE5ELNS1_11target_archE942ELNS1_3gpuE9ELNS1_3repE0EEENS1_30default_config_static_selectorELNS0_4arch9wavefront6targetE0EEEvT1_, .Lfunc_end784-_ZN7rocprim17ROCPRIM_400000_NS6detail17trampoline_kernelINS0_14default_configENS1_35adjacent_difference_config_selectorILb0ElEEZNS1_24adjacent_difference_implIS3_Lb0ELb0EPlS7_ZN2at6native12_GLOBAL__N_124unique_dim_cuda_templateIdEESt5tupleIJNS8_6TensorESD_SD_EERKSD_lbbbEUlllE1_EE10hipError_tPvRmT2_T3_mT4_P12ihipStream_tbEUlT_E_NS1_11comp_targetILNS1_3genE5ELNS1_11target_archE942ELNS1_3gpuE9ELNS1_3repE0EEENS1_30default_config_static_selectorELNS0_4arch9wavefront6targetE0EEEvT1_
                                        ; -- End function
	.set _ZN7rocprim17ROCPRIM_400000_NS6detail17trampoline_kernelINS0_14default_configENS1_35adjacent_difference_config_selectorILb0ElEEZNS1_24adjacent_difference_implIS3_Lb0ELb0EPlS7_ZN2at6native12_GLOBAL__N_124unique_dim_cuda_templateIdEESt5tupleIJNS8_6TensorESD_SD_EERKSD_lbbbEUlllE1_EE10hipError_tPvRmT2_T3_mT4_P12ihipStream_tbEUlT_E_NS1_11comp_targetILNS1_3genE5ELNS1_11target_archE942ELNS1_3gpuE9ELNS1_3repE0EEENS1_30default_config_static_selectorELNS0_4arch9wavefront6targetE0EEEvT1_.num_vgpr, 0
	.set _ZN7rocprim17ROCPRIM_400000_NS6detail17trampoline_kernelINS0_14default_configENS1_35adjacent_difference_config_selectorILb0ElEEZNS1_24adjacent_difference_implIS3_Lb0ELb0EPlS7_ZN2at6native12_GLOBAL__N_124unique_dim_cuda_templateIdEESt5tupleIJNS8_6TensorESD_SD_EERKSD_lbbbEUlllE1_EE10hipError_tPvRmT2_T3_mT4_P12ihipStream_tbEUlT_E_NS1_11comp_targetILNS1_3genE5ELNS1_11target_archE942ELNS1_3gpuE9ELNS1_3repE0EEENS1_30default_config_static_selectorELNS0_4arch9wavefront6targetE0EEEvT1_.num_agpr, 0
	.set _ZN7rocprim17ROCPRIM_400000_NS6detail17trampoline_kernelINS0_14default_configENS1_35adjacent_difference_config_selectorILb0ElEEZNS1_24adjacent_difference_implIS3_Lb0ELb0EPlS7_ZN2at6native12_GLOBAL__N_124unique_dim_cuda_templateIdEESt5tupleIJNS8_6TensorESD_SD_EERKSD_lbbbEUlllE1_EE10hipError_tPvRmT2_T3_mT4_P12ihipStream_tbEUlT_E_NS1_11comp_targetILNS1_3genE5ELNS1_11target_archE942ELNS1_3gpuE9ELNS1_3repE0EEENS1_30default_config_static_selectorELNS0_4arch9wavefront6targetE0EEEvT1_.numbered_sgpr, 0
	.set _ZN7rocprim17ROCPRIM_400000_NS6detail17trampoline_kernelINS0_14default_configENS1_35adjacent_difference_config_selectorILb0ElEEZNS1_24adjacent_difference_implIS3_Lb0ELb0EPlS7_ZN2at6native12_GLOBAL__N_124unique_dim_cuda_templateIdEESt5tupleIJNS8_6TensorESD_SD_EERKSD_lbbbEUlllE1_EE10hipError_tPvRmT2_T3_mT4_P12ihipStream_tbEUlT_E_NS1_11comp_targetILNS1_3genE5ELNS1_11target_archE942ELNS1_3gpuE9ELNS1_3repE0EEENS1_30default_config_static_selectorELNS0_4arch9wavefront6targetE0EEEvT1_.num_named_barrier, 0
	.set _ZN7rocprim17ROCPRIM_400000_NS6detail17trampoline_kernelINS0_14default_configENS1_35adjacent_difference_config_selectorILb0ElEEZNS1_24adjacent_difference_implIS3_Lb0ELb0EPlS7_ZN2at6native12_GLOBAL__N_124unique_dim_cuda_templateIdEESt5tupleIJNS8_6TensorESD_SD_EERKSD_lbbbEUlllE1_EE10hipError_tPvRmT2_T3_mT4_P12ihipStream_tbEUlT_E_NS1_11comp_targetILNS1_3genE5ELNS1_11target_archE942ELNS1_3gpuE9ELNS1_3repE0EEENS1_30default_config_static_selectorELNS0_4arch9wavefront6targetE0EEEvT1_.private_seg_size, 0
	.set _ZN7rocprim17ROCPRIM_400000_NS6detail17trampoline_kernelINS0_14default_configENS1_35adjacent_difference_config_selectorILb0ElEEZNS1_24adjacent_difference_implIS3_Lb0ELb0EPlS7_ZN2at6native12_GLOBAL__N_124unique_dim_cuda_templateIdEESt5tupleIJNS8_6TensorESD_SD_EERKSD_lbbbEUlllE1_EE10hipError_tPvRmT2_T3_mT4_P12ihipStream_tbEUlT_E_NS1_11comp_targetILNS1_3genE5ELNS1_11target_archE942ELNS1_3gpuE9ELNS1_3repE0EEENS1_30default_config_static_selectorELNS0_4arch9wavefront6targetE0EEEvT1_.uses_vcc, 0
	.set _ZN7rocprim17ROCPRIM_400000_NS6detail17trampoline_kernelINS0_14default_configENS1_35adjacent_difference_config_selectorILb0ElEEZNS1_24adjacent_difference_implIS3_Lb0ELb0EPlS7_ZN2at6native12_GLOBAL__N_124unique_dim_cuda_templateIdEESt5tupleIJNS8_6TensorESD_SD_EERKSD_lbbbEUlllE1_EE10hipError_tPvRmT2_T3_mT4_P12ihipStream_tbEUlT_E_NS1_11comp_targetILNS1_3genE5ELNS1_11target_archE942ELNS1_3gpuE9ELNS1_3repE0EEENS1_30default_config_static_selectorELNS0_4arch9wavefront6targetE0EEEvT1_.uses_flat_scratch, 0
	.set _ZN7rocprim17ROCPRIM_400000_NS6detail17trampoline_kernelINS0_14default_configENS1_35adjacent_difference_config_selectorILb0ElEEZNS1_24adjacent_difference_implIS3_Lb0ELb0EPlS7_ZN2at6native12_GLOBAL__N_124unique_dim_cuda_templateIdEESt5tupleIJNS8_6TensorESD_SD_EERKSD_lbbbEUlllE1_EE10hipError_tPvRmT2_T3_mT4_P12ihipStream_tbEUlT_E_NS1_11comp_targetILNS1_3genE5ELNS1_11target_archE942ELNS1_3gpuE9ELNS1_3repE0EEENS1_30default_config_static_selectorELNS0_4arch9wavefront6targetE0EEEvT1_.has_dyn_sized_stack, 0
	.set _ZN7rocprim17ROCPRIM_400000_NS6detail17trampoline_kernelINS0_14default_configENS1_35adjacent_difference_config_selectorILb0ElEEZNS1_24adjacent_difference_implIS3_Lb0ELb0EPlS7_ZN2at6native12_GLOBAL__N_124unique_dim_cuda_templateIdEESt5tupleIJNS8_6TensorESD_SD_EERKSD_lbbbEUlllE1_EE10hipError_tPvRmT2_T3_mT4_P12ihipStream_tbEUlT_E_NS1_11comp_targetILNS1_3genE5ELNS1_11target_archE942ELNS1_3gpuE9ELNS1_3repE0EEENS1_30default_config_static_selectorELNS0_4arch9wavefront6targetE0EEEvT1_.has_recursion, 0
	.set _ZN7rocprim17ROCPRIM_400000_NS6detail17trampoline_kernelINS0_14default_configENS1_35adjacent_difference_config_selectorILb0ElEEZNS1_24adjacent_difference_implIS3_Lb0ELb0EPlS7_ZN2at6native12_GLOBAL__N_124unique_dim_cuda_templateIdEESt5tupleIJNS8_6TensorESD_SD_EERKSD_lbbbEUlllE1_EE10hipError_tPvRmT2_T3_mT4_P12ihipStream_tbEUlT_E_NS1_11comp_targetILNS1_3genE5ELNS1_11target_archE942ELNS1_3gpuE9ELNS1_3repE0EEENS1_30default_config_static_selectorELNS0_4arch9wavefront6targetE0EEEvT1_.has_indirect_call, 0
	.section	.AMDGPU.csdata,"",@progbits
; Kernel info:
; codeLenInByte = 0
; TotalNumSgprs: 0
; NumVgprs: 0
; ScratchSize: 0
; MemoryBound: 0
; FloatMode: 240
; IeeeMode: 1
; LDSByteSize: 0 bytes/workgroup (compile time only)
; SGPRBlocks: 0
; VGPRBlocks: 0
; NumSGPRsForWavesPerEU: 1
; NumVGPRsForWavesPerEU: 1
; NamedBarCnt: 0
; Occupancy: 16
; WaveLimiterHint : 0
; COMPUTE_PGM_RSRC2:SCRATCH_EN: 0
; COMPUTE_PGM_RSRC2:USER_SGPR: 2
; COMPUTE_PGM_RSRC2:TRAP_HANDLER: 0
; COMPUTE_PGM_RSRC2:TGID_X_EN: 1
; COMPUTE_PGM_RSRC2:TGID_Y_EN: 0
; COMPUTE_PGM_RSRC2:TGID_Z_EN: 0
; COMPUTE_PGM_RSRC2:TIDIG_COMP_CNT: 0
	.section	.text._ZN7rocprim17ROCPRIM_400000_NS6detail17trampoline_kernelINS0_14default_configENS1_35adjacent_difference_config_selectorILb0ElEEZNS1_24adjacent_difference_implIS3_Lb0ELb0EPlS7_ZN2at6native12_GLOBAL__N_124unique_dim_cuda_templateIdEESt5tupleIJNS8_6TensorESD_SD_EERKSD_lbbbEUlllE1_EE10hipError_tPvRmT2_T3_mT4_P12ihipStream_tbEUlT_E_NS1_11comp_targetILNS1_3genE4ELNS1_11target_archE910ELNS1_3gpuE8ELNS1_3repE0EEENS1_30default_config_static_selectorELNS0_4arch9wavefront6targetE0EEEvT1_,"axG",@progbits,_ZN7rocprim17ROCPRIM_400000_NS6detail17trampoline_kernelINS0_14default_configENS1_35adjacent_difference_config_selectorILb0ElEEZNS1_24adjacent_difference_implIS3_Lb0ELb0EPlS7_ZN2at6native12_GLOBAL__N_124unique_dim_cuda_templateIdEESt5tupleIJNS8_6TensorESD_SD_EERKSD_lbbbEUlllE1_EE10hipError_tPvRmT2_T3_mT4_P12ihipStream_tbEUlT_E_NS1_11comp_targetILNS1_3genE4ELNS1_11target_archE910ELNS1_3gpuE8ELNS1_3repE0EEENS1_30default_config_static_selectorELNS0_4arch9wavefront6targetE0EEEvT1_,comdat
	.globl	_ZN7rocprim17ROCPRIM_400000_NS6detail17trampoline_kernelINS0_14default_configENS1_35adjacent_difference_config_selectorILb0ElEEZNS1_24adjacent_difference_implIS3_Lb0ELb0EPlS7_ZN2at6native12_GLOBAL__N_124unique_dim_cuda_templateIdEESt5tupleIJNS8_6TensorESD_SD_EERKSD_lbbbEUlllE1_EE10hipError_tPvRmT2_T3_mT4_P12ihipStream_tbEUlT_E_NS1_11comp_targetILNS1_3genE4ELNS1_11target_archE910ELNS1_3gpuE8ELNS1_3repE0EEENS1_30default_config_static_selectorELNS0_4arch9wavefront6targetE0EEEvT1_ ; -- Begin function _ZN7rocprim17ROCPRIM_400000_NS6detail17trampoline_kernelINS0_14default_configENS1_35adjacent_difference_config_selectorILb0ElEEZNS1_24adjacent_difference_implIS3_Lb0ELb0EPlS7_ZN2at6native12_GLOBAL__N_124unique_dim_cuda_templateIdEESt5tupleIJNS8_6TensorESD_SD_EERKSD_lbbbEUlllE1_EE10hipError_tPvRmT2_T3_mT4_P12ihipStream_tbEUlT_E_NS1_11comp_targetILNS1_3genE4ELNS1_11target_archE910ELNS1_3gpuE8ELNS1_3repE0EEENS1_30default_config_static_selectorELNS0_4arch9wavefront6targetE0EEEvT1_
	.p2align	8
	.type	_ZN7rocprim17ROCPRIM_400000_NS6detail17trampoline_kernelINS0_14default_configENS1_35adjacent_difference_config_selectorILb0ElEEZNS1_24adjacent_difference_implIS3_Lb0ELb0EPlS7_ZN2at6native12_GLOBAL__N_124unique_dim_cuda_templateIdEESt5tupleIJNS8_6TensorESD_SD_EERKSD_lbbbEUlllE1_EE10hipError_tPvRmT2_T3_mT4_P12ihipStream_tbEUlT_E_NS1_11comp_targetILNS1_3genE4ELNS1_11target_archE910ELNS1_3gpuE8ELNS1_3repE0EEENS1_30default_config_static_selectorELNS0_4arch9wavefront6targetE0EEEvT1_,@function
_ZN7rocprim17ROCPRIM_400000_NS6detail17trampoline_kernelINS0_14default_configENS1_35adjacent_difference_config_selectorILb0ElEEZNS1_24adjacent_difference_implIS3_Lb0ELb0EPlS7_ZN2at6native12_GLOBAL__N_124unique_dim_cuda_templateIdEESt5tupleIJNS8_6TensorESD_SD_EERKSD_lbbbEUlllE1_EE10hipError_tPvRmT2_T3_mT4_P12ihipStream_tbEUlT_E_NS1_11comp_targetILNS1_3genE4ELNS1_11target_archE910ELNS1_3gpuE8ELNS1_3repE0EEENS1_30default_config_static_selectorELNS0_4arch9wavefront6targetE0EEEvT1_: ; @_ZN7rocprim17ROCPRIM_400000_NS6detail17trampoline_kernelINS0_14default_configENS1_35adjacent_difference_config_selectorILb0ElEEZNS1_24adjacent_difference_implIS3_Lb0ELb0EPlS7_ZN2at6native12_GLOBAL__N_124unique_dim_cuda_templateIdEESt5tupleIJNS8_6TensorESD_SD_EERKSD_lbbbEUlllE1_EE10hipError_tPvRmT2_T3_mT4_P12ihipStream_tbEUlT_E_NS1_11comp_targetILNS1_3genE4ELNS1_11target_archE910ELNS1_3gpuE8ELNS1_3repE0EEENS1_30default_config_static_selectorELNS0_4arch9wavefront6targetE0EEEvT1_
; %bb.0:
	.section	.rodata,"a",@progbits
	.p2align	6, 0x0
	.amdhsa_kernel _ZN7rocprim17ROCPRIM_400000_NS6detail17trampoline_kernelINS0_14default_configENS1_35adjacent_difference_config_selectorILb0ElEEZNS1_24adjacent_difference_implIS3_Lb0ELb0EPlS7_ZN2at6native12_GLOBAL__N_124unique_dim_cuda_templateIdEESt5tupleIJNS8_6TensorESD_SD_EERKSD_lbbbEUlllE1_EE10hipError_tPvRmT2_T3_mT4_P12ihipStream_tbEUlT_E_NS1_11comp_targetILNS1_3genE4ELNS1_11target_archE910ELNS1_3gpuE8ELNS1_3repE0EEENS1_30default_config_static_selectorELNS0_4arch9wavefront6targetE0EEEvT1_
		.amdhsa_group_segment_fixed_size 0
		.amdhsa_private_segment_fixed_size 0
		.amdhsa_kernarg_size 64
		.amdhsa_user_sgpr_count 2
		.amdhsa_user_sgpr_dispatch_ptr 0
		.amdhsa_user_sgpr_queue_ptr 0
		.amdhsa_user_sgpr_kernarg_segment_ptr 1
		.amdhsa_user_sgpr_dispatch_id 0
		.amdhsa_user_sgpr_kernarg_preload_length 0
		.amdhsa_user_sgpr_kernarg_preload_offset 0
		.amdhsa_user_sgpr_private_segment_size 0
		.amdhsa_wavefront_size32 1
		.amdhsa_uses_dynamic_stack 0
		.amdhsa_enable_private_segment 0
		.amdhsa_system_sgpr_workgroup_id_x 1
		.amdhsa_system_sgpr_workgroup_id_y 0
		.amdhsa_system_sgpr_workgroup_id_z 0
		.amdhsa_system_sgpr_workgroup_info 0
		.amdhsa_system_vgpr_workitem_id 0
		.amdhsa_next_free_vgpr 1
		.amdhsa_next_free_sgpr 1
		.amdhsa_named_barrier_count 0
		.amdhsa_reserve_vcc 0
		.amdhsa_float_round_mode_32 0
		.amdhsa_float_round_mode_16_64 0
		.amdhsa_float_denorm_mode_32 3
		.amdhsa_float_denorm_mode_16_64 3
		.amdhsa_fp16_overflow 0
		.amdhsa_memory_ordered 1
		.amdhsa_forward_progress 1
		.amdhsa_inst_pref_size 0
		.amdhsa_round_robin_scheduling 0
		.amdhsa_exception_fp_ieee_invalid_op 0
		.amdhsa_exception_fp_denorm_src 0
		.amdhsa_exception_fp_ieee_div_zero 0
		.amdhsa_exception_fp_ieee_overflow 0
		.amdhsa_exception_fp_ieee_underflow 0
		.amdhsa_exception_fp_ieee_inexact 0
		.amdhsa_exception_int_div_zero 0
	.end_amdhsa_kernel
	.section	.text._ZN7rocprim17ROCPRIM_400000_NS6detail17trampoline_kernelINS0_14default_configENS1_35adjacent_difference_config_selectorILb0ElEEZNS1_24adjacent_difference_implIS3_Lb0ELb0EPlS7_ZN2at6native12_GLOBAL__N_124unique_dim_cuda_templateIdEESt5tupleIJNS8_6TensorESD_SD_EERKSD_lbbbEUlllE1_EE10hipError_tPvRmT2_T3_mT4_P12ihipStream_tbEUlT_E_NS1_11comp_targetILNS1_3genE4ELNS1_11target_archE910ELNS1_3gpuE8ELNS1_3repE0EEENS1_30default_config_static_selectorELNS0_4arch9wavefront6targetE0EEEvT1_,"axG",@progbits,_ZN7rocprim17ROCPRIM_400000_NS6detail17trampoline_kernelINS0_14default_configENS1_35adjacent_difference_config_selectorILb0ElEEZNS1_24adjacent_difference_implIS3_Lb0ELb0EPlS7_ZN2at6native12_GLOBAL__N_124unique_dim_cuda_templateIdEESt5tupleIJNS8_6TensorESD_SD_EERKSD_lbbbEUlllE1_EE10hipError_tPvRmT2_T3_mT4_P12ihipStream_tbEUlT_E_NS1_11comp_targetILNS1_3genE4ELNS1_11target_archE910ELNS1_3gpuE8ELNS1_3repE0EEENS1_30default_config_static_selectorELNS0_4arch9wavefront6targetE0EEEvT1_,comdat
.Lfunc_end785:
	.size	_ZN7rocprim17ROCPRIM_400000_NS6detail17trampoline_kernelINS0_14default_configENS1_35adjacent_difference_config_selectorILb0ElEEZNS1_24adjacent_difference_implIS3_Lb0ELb0EPlS7_ZN2at6native12_GLOBAL__N_124unique_dim_cuda_templateIdEESt5tupleIJNS8_6TensorESD_SD_EERKSD_lbbbEUlllE1_EE10hipError_tPvRmT2_T3_mT4_P12ihipStream_tbEUlT_E_NS1_11comp_targetILNS1_3genE4ELNS1_11target_archE910ELNS1_3gpuE8ELNS1_3repE0EEENS1_30default_config_static_selectorELNS0_4arch9wavefront6targetE0EEEvT1_, .Lfunc_end785-_ZN7rocprim17ROCPRIM_400000_NS6detail17trampoline_kernelINS0_14default_configENS1_35adjacent_difference_config_selectorILb0ElEEZNS1_24adjacent_difference_implIS3_Lb0ELb0EPlS7_ZN2at6native12_GLOBAL__N_124unique_dim_cuda_templateIdEESt5tupleIJNS8_6TensorESD_SD_EERKSD_lbbbEUlllE1_EE10hipError_tPvRmT2_T3_mT4_P12ihipStream_tbEUlT_E_NS1_11comp_targetILNS1_3genE4ELNS1_11target_archE910ELNS1_3gpuE8ELNS1_3repE0EEENS1_30default_config_static_selectorELNS0_4arch9wavefront6targetE0EEEvT1_
                                        ; -- End function
	.set _ZN7rocprim17ROCPRIM_400000_NS6detail17trampoline_kernelINS0_14default_configENS1_35adjacent_difference_config_selectorILb0ElEEZNS1_24adjacent_difference_implIS3_Lb0ELb0EPlS7_ZN2at6native12_GLOBAL__N_124unique_dim_cuda_templateIdEESt5tupleIJNS8_6TensorESD_SD_EERKSD_lbbbEUlllE1_EE10hipError_tPvRmT2_T3_mT4_P12ihipStream_tbEUlT_E_NS1_11comp_targetILNS1_3genE4ELNS1_11target_archE910ELNS1_3gpuE8ELNS1_3repE0EEENS1_30default_config_static_selectorELNS0_4arch9wavefront6targetE0EEEvT1_.num_vgpr, 0
	.set _ZN7rocprim17ROCPRIM_400000_NS6detail17trampoline_kernelINS0_14default_configENS1_35adjacent_difference_config_selectorILb0ElEEZNS1_24adjacent_difference_implIS3_Lb0ELb0EPlS7_ZN2at6native12_GLOBAL__N_124unique_dim_cuda_templateIdEESt5tupleIJNS8_6TensorESD_SD_EERKSD_lbbbEUlllE1_EE10hipError_tPvRmT2_T3_mT4_P12ihipStream_tbEUlT_E_NS1_11comp_targetILNS1_3genE4ELNS1_11target_archE910ELNS1_3gpuE8ELNS1_3repE0EEENS1_30default_config_static_selectorELNS0_4arch9wavefront6targetE0EEEvT1_.num_agpr, 0
	.set _ZN7rocprim17ROCPRIM_400000_NS6detail17trampoline_kernelINS0_14default_configENS1_35adjacent_difference_config_selectorILb0ElEEZNS1_24adjacent_difference_implIS3_Lb0ELb0EPlS7_ZN2at6native12_GLOBAL__N_124unique_dim_cuda_templateIdEESt5tupleIJNS8_6TensorESD_SD_EERKSD_lbbbEUlllE1_EE10hipError_tPvRmT2_T3_mT4_P12ihipStream_tbEUlT_E_NS1_11comp_targetILNS1_3genE4ELNS1_11target_archE910ELNS1_3gpuE8ELNS1_3repE0EEENS1_30default_config_static_selectorELNS0_4arch9wavefront6targetE0EEEvT1_.numbered_sgpr, 0
	.set _ZN7rocprim17ROCPRIM_400000_NS6detail17trampoline_kernelINS0_14default_configENS1_35adjacent_difference_config_selectorILb0ElEEZNS1_24adjacent_difference_implIS3_Lb0ELb0EPlS7_ZN2at6native12_GLOBAL__N_124unique_dim_cuda_templateIdEESt5tupleIJNS8_6TensorESD_SD_EERKSD_lbbbEUlllE1_EE10hipError_tPvRmT2_T3_mT4_P12ihipStream_tbEUlT_E_NS1_11comp_targetILNS1_3genE4ELNS1_11target_archE910ELNS1_3gpuE8ELNS1_3repE0EEENS1_30default_config_static_selectorELNS0_4arch9wavefront6targetE0EEEvT1_.num_named_barrier, 0
	.set _ZN7rocprim17ROCPRIM_400000_NS6detail17trampoline_kernelINS0_14default_configENS1_35adjacent_difference_config_selectorILb0ElEEZNS1_24adjacent_difference_implIS3_Lb0ELb0EPlS7_ZN2at6native12_GLOBAL__N_124unique_dim_cuda_templateIdEESt5tupleIJNS8_6TensorESD_SD_EERKSD_lbbbEUlllE1_EE10hipError_tPvRmT2_T3_mT4_P12ihipStream_tbEUlT_E_NS1_11comp_targetILNS1_3genE4ELNS1_11target_archE910ELNS1_3gpuE8ELNS1_3repE0EEENS1_30default_config_static_selectorELNS0_4arch9wavefront6targetE0EEEvT1_.private_seg_size, 0
	.set _ZN7rocprim17ROCPRIM_400000_NS6detail17trampoline_kernelINS0_14default_configENS1_35adjacent_difference_config_selectorILb0ElEEZNS1_24adjacent_difference_implIS3_Lb0ELb0EPlS7_ZN2at6native12_GLOBAL__N_124unique_dim_cuda_templateIdEESt5tupleIJNS8_6TensorESD_SD_EERKSD_lbbbEUlllE1_EE10hipError_tPvRmT2_T3_mT4_P12ihipStream_tbEUlT_E_NS1_11comp_targetILNS1_3genE4ELNS1_11target_archE910ELNS1_3gpuE8ELNS1_3repE0EEENS1_30default_config_static_selectorELNS0_4arch9wavefront6targetE0EEEvT1_.uses_vcc, 0
	.set _ZN7rocprim17ROCPRIM_400000_NS6detail17trampoline_kernelINS0_14default_configENS1_35adjacent_difference_config_selectorILb0ElEEZNS1_24adjacent_difference_implIS3_Lb0ELb0EPlS7_ZN2at6native12_GLOBAL__N_124unique_dim_cuda_templateIdEESt5tupleIJNS8_6TensorESD_SD_EERKSD_lbbbEUlllE1_EE10hipError_tPvRmT2_T3_mT4_P12ihipStream_tbEUlT_E_NS1_11comp_targetILNS1_3genE4ELNS1_11target_archE910ELNS1_3gpuE8ELNS1_3repE0EEENS1_30default_config_static_selectorELNS0_4arch9wavefront6targetE0EEEvT1_.uses_flat_scratch, 0
	.set _ZN7rocprim17ROCPRIM_400000_NS6detail17trampoline_kernelINS0_14default_configENS1_35adjacent_difference_config_selectorILb0ElEEZNS1_24adjacent_difference_implIS3_Lb0ELb0EPlS7_ZN2at6native12_GLOBAL__N_124unique_dim_cuda_templateIdEESt5tupleIJNS8_6TensorESD_SD_EERKSD_lbbbEUlllE1_EE10hipError_tPvRmT2_T3_mT4_P12ihipStream_tbEUlT_E_NS1_11comp_targetILNS1_3genE4ELNS1_11target_archE910ELNS1_3gpuE8ELNS1_3repE0EEENS1_30default_config_static_selectorELNS0_4arch9wavefront6targetE0EEEvT1_.has_dyn_sized_stack, 0
	.set _ZN7rocprim17ROCPRIM_400000_NS6detail17trampoline_kernelINS0_14default_configENS1_35adjacent_difference_config_selectorILb0ElEEZNS1_24adjacent_difference_implIS3_Lb0ELb0EPlS7_ZN2at6native12_GLOBAL__N_124unique_dim_cuda_templateIdEESt5tupleIJNS8_6TensorESD_SD_EERKSD_lbbbEUlllE1_EE10hipError_tPvRmT2_T3_mT4_P12ihipStream_tbEUlT_E_NS1_11comp_targetILNS1_3genE4ELNS1_11target_archE910ELNS1_3gpuE8ELNS1_3repE0EEENS1_30default_config_static_selectorELNS0_4arch9wavefront6targetE0EEEvT1_.has_recursion, 0
	.set _ZN7rocprim17ROCPRIM_400000_NS6detail17trampoline_kernelINS0_14default_configENS1_35adjacent_difference_config_selectorILb0ElEEZNS1_24adjacent_difference_implIS3_Lb0ELb0EPlS7_ZN2at6native12_GLOBAL__N_124unique_dim_cuda_templateIdEESt5tupleIJNS8_6TensorESD_SD_EERKSD_lbbbEUlllE1_EE10hipError_tPvRmT2_T3_mT4_P12ihipStream_tbEUlT_E_NS1_11comp_targetILNS1_3genE4ELNS1_11target_archE910ELNS1_3gpuE8ELNS1_3repE0EEENS1_30default_config_static_selectorELNS0_4arch9wavefront6targetE0EEEvT1_.has_indirect_call, 0
	.section	.AMDGPU.csdata,"",@progbits
; Kernel info:
; codeLenInByte = 0
; TotalNumSgprs: 0
; NumVgprs: 0
; ScratchSize: 0
; MemoryBound: 0
; FloatMode: 240
; IeeeMode: 1
; LDSByteSize: 0 bytes/workgroup (compile time only)
; SGPRBlocks: 0
; VGPRBlocks: 0
; NumSGPRsForWavesPerEU: 1
; NumVGPRsForWavesPerEU: 1
; NamedBarCnt: 0
; Occupancy: 16
; WaveLimiterHint : 0
; COMPUTE_PGM_RSRC2:SCRATCH_EN: 0
; COMPUTE_PGM_RSRC2:USER_SGPR: 2
; COMPUTE_PGM_RSRC2:TRAP_HANDLER: 0
; COMPUTE_PGM_RSRC2:TGID_X_EN: 1
; COMPUTE_PGM_RSRC2:TGID_Y_EN: 0
; COMPUTE_PGM_RSRC2:TGID_Z_EN: 0
; COMPUTE_PGM_RSRC2:TIDIG_COMP_CNT: 0
	.section	.text._ZN7rocprim17ROCPRIM_400000_NS6detail17trampoline_kernelINS0_14default_configENS1_35adjacent_difference_config_selectorILb0ElEEZNS1_24adjacent_difference_implIS3_Lb0ELb0EPlS7_ZN2at6native12_GLOBAL__N_124unique_dim_cuda_templateIdEESt5tupleIJNS8_6TensorESD_SD_EERKSD_lbbbEUlllE1_EE10hipError_tPvRmT2_T3_mT4_P12ihipStream_tbEUlT_E_NS1_11comp_targetILNS1_3genE3ELNS1_11target_archE908ELNS1_3gpuE7ELNS1_3repE0EEENS1_30default_config_static_selectorELNS0_4arch9wavefront6targetE0EEEvT1_,"axG",@progbits,_ZN7rocprim17ROCPRIM_400000_NS6detail17trampoline_kernelINS0_14default_configENS1_35adjacent_difference_config_selectorILb0ElEEZNS1_24adjacent_difference_implIS3_Lb0ELb0EPlS7_ZN2at6native12_GLOBAL__N_124unique_dim_cuda_templateIdEESt5tupleIJNS8_6TensorESD_SD_EERKSD_lbbbEUlllE1_EE10hipError_tPvRmT2_T3_mT4_P12ihipStream_tbEUlT_E_NS1_11comp_targetILNS1_3genE3ELNS1_11target_archE908ELNS1_3gpuE7ELNS1_3repE0EEENS1_30default_config_static_selectorELNS0_4arch9wavefront6targetE0EEEvT1_,comdat
	.globl	_ZN7rocprim17ROCPRIM_400000_NS6detail17trampoline_kernelINS0_14default_configENS1_35adjacent_difference_config_selectorILb0ElEEZNS1_24adjacent_difference_implIS3_Lb0ELb0EPlS7_ZN2at6native12_GLOBAL__N_124unique_dim_cuda_templateIdEESt5tupleIJNS8_6TensorESD_SD_EERKSD_lbbbEUlllE1_EE10hipError_tPvRmT2_T3_mT4_P12ihipStream_tbEUlT_E_NS1_11comp_targetILNS1_3genE3ELNS1_11target_archE908ELNS1_3gpuE7ELNS1_3repE0EEENS1_30default_config_static_selectorELNS0_4arch9wavefront6targetE0EEEvT1_ ; -- Begin function _ZN7rocprim17ROCPRIM_400000_NS6detail17trampoline_kernelINS0_14default_configENS1_35adjacent_difference_config_selectorILb0ElEEZNS1_24adjacent_difference_implIS3_Lb0ELb0EPlS7_ZN2at6native12_GLOBAL__N_124unique_dim_cuda_templateIdEESt5tupleIJNS8_6TensorESD_SD_EERKSD_lbbbEUlllE1_EE10hipError_tPvRmT2_T3_mT4_P12ihipStream_tbEUlT_E_NS1_11comp_targetILNS1_3genE3ELNS1_11target_archE908ELNS1_3gpuE7ELNS1_3repE0EEENS1_30default_config_static_selectorELNS0_4arch9wavefront6targetE0EEEvT1_
	.p2align	8
	.type	_ZN7rocprim17ROCPRIM_400000_NS6detail17trampoline_kernelINS0_14default_configENS1_35adjacent_difference_config_selectorILb0ElEEZNS1_24adjacent_difference_implIS3_Lb0ELb0EPlS7_ZN2at6native12_GLOBAL__N_124unique_dim_cuda_templateIdEESt5tupleIJNS8_6TensorESD_SD_EERKSD_lbbbEUlllE1_EE10hipError_tPvRmT2_T3_mT4_P12ihipStream_tbEUlT_E_NS1_11comp_targetILNS1_3genE3ELNS1_11target_archE908ELNS1_3gpuE7ELNS1_3repE0EEENS1_30default_config_static_selectorELNS0_4arch9wavefront6targetE0EEEvT1_,@function
_ZN7rocprim17ROCPRIM_400000_NS6detail17trampoline_kernelINS0_14default_configENS1_35adjacent_difference_config_selectorILb0ElEEZNS1_24adjacent_difference_implIS3_Lb0ELb0EPlS7_ZN2at6native12_GLOBAL__N_124unique_dim_cuda_templateIdEESt5tupleIJNS8_6TensorESD_SD_EERKSD_lbbbEUlllE1_EE10hipError_tPvRmT2_T3_mT4_P12ihipStream_tbEUlT_E_NS1_11comp_targetILNS1_3genE3ELNS1_11target_archE908ELNS1_3gpuE7ELNS1_3repE0EEENS1_30default_config_static_selectorELNS0_4arch9wavefront6targetE0EEEvT1_: ; @_ZN7rocprim17ROCPRIM_400000_NS6detail17trampoline_kernelINS0_14default_configENS1_35adjacent_difference_config_selectorILb0ElEEZNS1_24adjacent_difference_implIS3_Lb0ELb0EPlS7_ZN2at6native12_GLOBAL__N_124unique_dim_cuda_templateIdEESt5tupleIJNS8_6TensorESD_SD_EERKSD_lbbbEUlllE1_EE10hipError_tPvRmT2_T3_mT4_P12ihipStream_tbEUlT_E_NS1_11comp_targetILNS1_3genE3ELNS1_11target_archE908ELNS1_3gpuE7ELNS1_3repE0EEENS1_30default_config_static_selectorELNS0_4arch9wavefront6targetE0EEEvT1_
; %bb.0:
	.section	.rodata,"a",@progbits
	.p2align	6, 0x0
	.amdhsa_kernel _ZN7rocprim17ROCPRIM_400000_NS6detail17trampoline_kernelINS0_14default_configENS1_35adjacent_difference_config_selectorILb0ElEEZNS1_24adjacent_difference_implIS3_Lb0ELb0EPlS7_ZN2at6native12_GLOBAL__N_124unique_dim_cuda_templateIdEESt5tupleIJNS8_6TensorESD_SD_EERKSD_lbbbEUlllE1_EE10hipError_tPvRmT2_T3_mT4_P12ihipStream_tbEUlT_E_NS1_11comp_targetILNS1_3genE3ELNS1_11target_archE908ELNS1_3gpuE7ELNS1_3repE0EEENS1_30default_config_static_selectorELNS0_4arch9wavefront6targetE0EEEvT1_
		.amdhsa_group_segment_fixed_size 0
		.amdhsa_private_segment_fixed_size 0
		.amdhsa_kernarg_size 64
		.amdhsa_user_sgpr_count 2
		.amdhsa_user_sgpr_dispatch_ptr 0
		.amdhsa_user_sgpr_queue_ptr 0
		.amdhsa_user_sgpr_kernarg_segment_ptr 1
		.amdhsa_user_sgpr_dispatch_id 0
		.amdhsa_user_sgpr_kernarg_preload_length 0
		.amdhsa_user_sgpr_kernarg_preload_offset 0
		.amdhsa_user_sgpr_private_segment_size 0
		.amdhsa_wavefront_size32 1
		.amdhsa_uses_dynamic_stack 0
		.amdhsa_enable_private_segment 0
		.amdhsa_system_sgpr_workgroup_id_x 1
		.amdhsa_system_sgpr_workgroup_id_y 0
		.amdhsa_system_sgpr_workgroup_id_z 0
		.amdhsa_system_sgpr_workgroup_info 0
		.amdhsa_system_vgpr_workitem_id 0
		.amdhsa_next_free_vgpr 1
		.amdhsa_next_free_sgpr 1
		.amdhsa_named_barrier_count 0
		.amdhsa_reserve_vcc 0
		.amdhsa_float_round_mode_32 0
		.amdhsa_float_round_mode_16_64 0
		.amdhsa_float_denorm_mode_32 3
		.amdhsa_float_denorm_mode_16_64 3
		.amdhsa_fp16_overflow 0
		.amdhsa_memory_ordered 1
		.amdhsa_forward_progress 1
		.amdhsa_inst_pref_size 0
		.amdhsa_round_robin_scheduling 0
		.amdhsa_exception_fp_ieee_invalid_op 0
		.amdhsa_exception_fp_denorm_src 0
		.amdhsa_exception_fp_ieee_div_zero 0
		.amdhsa_exception_fp_ieee_overflow 0
		.amdhsa_exception_fp_ieee_underflow 0
		.amdhsa_exception_fp_ieee_inexact 0
		.amdhsa_exception_int_div_zero 0
	.end_amdhsa_kernel
	.section	.text._ZN7rocprim17ROCPRIM_400000_NS6detail17trampoline_kernelINS0_14default_configENS1_35adjacent_difference_config_selectorILb0ElEEZNS1_24adjacent_difference_implIS3_Lb0ELb0EPlS7_ZN2at6native12_GLOBAL__N_124unique_dim_cuda_templateIdEESt5tupleIJNS8_6TensorESD_SD_EERKSD_lbbbEUlllE1_EE10hipError_tPvRmT2_T3_mT4_P12ihipStream_tbEUlT_E_NS1_11comp_targetILNS1_3genE3ELNS1_11target_archE908ELNS1_3gpuE7ELNS1_3repE0EEENS1_30default_config_static_selectorELNS0_4arch9wavefront6targetE0EEEvT1_,"axG",@progbits,_ZN7rocprim17ROCPRIM_400000_NS6detail17trampoline_kernelINS0_14default_configENS1_35adjacent_difference_config_selectorILb0ElEEZNS1_24adjacent_difference_implIS3_Lb0ELb0EPlS7_ZN2at6native12_GLOBAL__N_124unique_dim_cuda_templateIdEESt5tupleIJNS8_6TensorESD_SD_EERKSD_lbbbEUlllE1_EE10hipError_tPvRmT2_T3_mT4_P12ihipStream_tbEUlT_E_NS1_11comp_targetILNS1_3genE3ELNS1_11target_archE908ELNS1_3gpuE7ELNS1_3repE0EEENS1_30default_config_static_selectorELNS0_4arch9wavefront6targetE0EEEvT1_,comdat
.Lfunc_end786:
	.size	_ZN7rocprim17ROCPRIM_400000_NS6detail17trampoline_kernelINS0_14default_configENS1_35adjacent_difference_config_selectorILb0ElEEZNS1_24adjacent_difference_implIS3_Lb0ELb0EPlS7_ZN2at6native12_GLOBAL__N_124unique_dim_cuda_templateIdEESt5tupleIJNS8_6TensorESD_SD_EERKSD_lbbbEUlllE1_EE10hipError_tPvRmT2_T3_mT4_P12ihipStream_tbEUlT_E_NS1_11comp_targetILNS1_3genE3ELNS1_11target_archE908ELNS1_3gpuE7ELNS1_3repE0EEENS1_30default_config_static_selectorELNS0_4arch9wavefront6targetE0EEEvT1_, .Lfunc_end786-_ZN7rocprim17ROCPRIM_400000_NS6detail17trampoline_kernelINS0_14default_configENS1_35adjacent_difference_config_selectorILb0ElEEZNS1_24adjacent_difference_implIS3_Lb0ELb0EPlS7_ZN2at6native12_GLOBAL__N_124unique_dim_cuda_templateIdEESt5tupleIJNS8_6TensorESD_SD_EERKSD_lbbbEUlllE1_EE10hipError_tPvRmT2_T3_mT4_P12ihipStream_tbEUlT_E_NS1_11comp_targetILNS1_3genE3ELNS1_11target_archE908ELNS1_3gpuE7ELNS1_3repE0EEENS1_30default_config_static_selectorELNS0_4arch9wavefront6targetE0EEEvT1_
                                        ; -- End function
	.set _ZN7rocprim17ROCPRIM_400000_NS6detail17trampoline_kernelINS0_14default_configENS1_35adjacent_difference_config_selectorILb0ElEEZNS1_24adjacent_difference_implIS3_Lb0ELb0EPlS7_ZN2at6native12_GLOBAL__N_124unique_dim_cuda_templateIdEESt5tupleIJNS8_6TensorESD_SD_EERKSD_lbbbEUlllE1_EE10hipError_tPvRmT2_T3_mT4_P12ihipStream_tbEUlT_E_NS1_11comp_targetILNS1_3genE3ELNS1_11target_archE908ELNS1_3gpuE7ELNS1_3repE0EEENS1_30default_config_static_selectorELNS0_4arch9wavefront6targetE0EEEvT1_.num_vgpr, 0
	.set _ZN7rocprim17ROCPRIM_400000_NS6detail17trampoline_kernelINS0_14default_configENS1_35adjacent_difference_config_selectorILb0ElEEZNS1_24adjacent_difference_implIS3_Lb0ELb0EPlS7_ZN2at6native12_GLOBAL__N_124unique_dim_cuda_templateIdEESt5tupleIJNS8_6TensorESD_SD_EERKSD_lbbbEUlllE1_EE10hipError_tPvRmT2_T3_mT4_P12ihipStream_tbEUlT_E_NS1_11comp_targetILNS1_3genE3ELNS1_11target_archE908ELNS1_3gpuE7ELNS1_3repE0EEENS1_30default_config_static_selectorELNS0_4arch9wavefront6targetE0EEEvT1_.num_agpr, 0
	.set _ZN7rocprim17ROCPRIM_400000_NS6detail17trampoline_kernelINS0_14default_configENS1_35adjacent_difference_config_selectorILb0ElEEZNS1_24adjacent_difference_implIS3_Lb0ELb0EPlS7_ZN2at6native12_GLOBAL__N_124unique_dim_cuda_templateIdEESt5tupleIJNS8_6TensorESD_SD_EERKSD_lbbbEUlllE1_EE10hipError_tPvRmT2_T3_mT4_P12ihipStream_tbEUlT_E_NS1_11comp_targetILNS1_3genE3ELNS1_11target_archE908ELNS1_3gpuE7ELNS1_3repE0EEENS1_30default_config_static_selectorELNS0_4arch9wavefront6targetE0EEEvT1_.numbered_sgpr, 0
	.set _ZN7rocprim17ROCPRIM_400000_NS6detail17trampoline_kernelINS0_14default_configENS1_35adjacent_difference_config_selectorILb0ElEEZNS1_24adjacent_difference_implIS3_Lb0ELb0EPlS7_ZN2at6native12_GLOBAL__N_124unique_dim_cuda_templateIdEESt5tupleIJNS8_6TensorESD_SD_EERKSD_lbbbEUlllE1_EE10hipError_tPvRmT2_T3_mT4_P12ihipStream_tbEUlT_E_NS1_11comp_targetILNS1_3genE3ELNS1_11target_archE908ELNS1_3gpuE7ELNS1_3repE0EEENS1_30default_config_static_selectorELNS0_4arch9wavefront6targetE0EEEvT1_.num_named_barrier, 0
	.set _ZN7rocprim17ROCPRIM_400000_NS6detail17trampoline_kernelINS0_14default_configENS1_35adjacent_difference_config_selectorILb0ElEEZNS1_24adjacent_difference_implIS3_Lb0ELb0EPlS7_ZN2at6native12_GLOBAL__N_124unique_dim_cuda_templateIdEESt5tupleIJNS8_6TensorESD_SD_EERKSD_lbbbEUlllE1_EE10hipError_tPvRmT2_T3_mT4_P12ihipStream_tbEUlT_E_NS1_11comp_targetILNS1_3genE3ELNS1_11target_archE908ELNS1_3gpuE7ELNS1_3repE0EEENS1_30default_config_static_selectorELNS0_4arch9wavefront6targetE0EEEvT1_.private_seg_size, 0
	.set _ZN7rocprim17ROCPRIM_400000_NS6detail17trampoline_kernelINS0_14default_configENS1_35adjacent_difference_config_selectorILb0ElEEZNS1_24adjacent_difference_implIS3_Lb0ELb0EPlS7_ZN2at6native12_GLOBAL__N_124unique_dim_cuda_templateIdEESt5tupleIJNS8_6TensorESD_SD_EERKSD_lbbbEUlllE1_EE10hipError_tPvRmT2_T3_mT4_P12ihipStream_tbEUlT_E_NS1_11comp_targetILNS1_3genE3ELNS1_11target_archE908ELNS1_3gpuE7ELNS1_3repE0EEENS1_30default_config_static_selectorELNS0_4arch9wavefront6targetE0EEEvT1_.uses_vcc, 0
	.set _ZN7rocprim17ROCPRIM_400000_NS6detail17trampoline_kernelINS0_14default_configENS1_35adjacent_difference_config_selectorILb0ElEEZNS1_24adjacent_difference_implIS3_Lb0ELb0EPlS7_ZN2at6native12_GLOBAL__N_124unique_dim_cuda_templateIdEESt5tupleIJNS8_6TensorESD_SD_EERKSD_lbbbEUlllE1_EE10hipError_tPvRmT2_T3_mT4_P12ihipStream_tbEUlT_E_NS1_11comp_targetILNS1_3genE3ELNS1_11target_archE908ELNS1_3gpuE7ELNS1_3repE0EEENS1_30default_config_static_selectorELNS0_4arch9wavefront6targetE0EEEvT1_.uses_flat_scratch, 0
	.set _ZN7rocprim17ROCPRIM_400000_NS6detail17trampoline_kernelINS0_14default_configENS1_35adjacent_difference_config_selectorILb0ElEEZNS1_24adjacent_difference_implIS3_Lb0ELb0EPlS7_ZN2at6native12_GLOBAL__N_124unique_dim_cuda_templateIdEESt5tupleIJNS8_6TensorESD_SD_EERKSD_lbbbEUlllE1_EE10hipError_tPvRmT2_T3_mT4_P12ihipStream_tbEUlT_E_NS1_11comp_targetILNS1_3genE3ELNS1_11target_archE908ELNS1_3gpuE7ELNS1_3repE0EEENS1_30default_config_static_selectorELNS0_4arch9wavefront6targetE0EEEvT1_.has_dyn_sized_stack, 0
	.set _ZN7rocprim17ROCPRIM_400000_NS6detail17trampoline_kernelINS0_14default_configENS1_35adjacent_difference_config_selectorILb0ElEEZNS1_24adjacent_difference_implIS3_Lb0ELb0EPlS7_ZN2at6native12_GLOBAL__N_124unique_dim_cuda_templateIdEESt5tupleIJNS8_6TensorESD_SD_EERKSD_lbbbEUlllE1_EE10hipError_tPvRmT2_T3_mT4_P12ihipStream_tbEUlT_E_NS1_11comp_targetILNS1_3genE3ELNS1_11target_archE908ELNS1_3gpuE7ELNS1_3repE0EEENS1_30default_config_static_selectorELNS0_4arch9wavefront6targetE0EEEvT1_.has_recursion, 0
	.set _ZN7rocprim17ROCPRIM_400000_NS6detail17trampoline_kernelINS0_14default_configENS1_35adjacent_difference_config_selectorILb0ElEEZNS1_24adjacent_difference_implIS3_Lb0ELb0EPlS7_ZN2at6native12_GLOBAL__N_124unique_dim_cuda_templateIdEESt5tupleIJNS8_6TensorESD_SD_EERKSD_lbbbEUlllE1_EE10hipError_tPvRmT2_T3_mT4_P12ihipStream_tbEUlT_E_NS1_11comp_targetILNS1_3genE3ELNS1_11target_archE908ELNS1_3gpuE7ELNS1_3repE0EEENS1_30default_config_static_selectorELNS0_4arch9wavefront6targetE0EEEvT1_.has_indirect_call, 0
	.section	.AMDGPU.csdata,"",@progbits
; Kernel info:
; codeLenInByte = 0
; TotalNumSgprs: 0
; NumVgprs: 0
; ScratchSize: 0
; MemoryBound: 0
; FloatMode: 240
; IeeeMode: 1
; LDSByteSize: 0 bytes/workgroup (compile time only)
; SGPRBlocks: 0
; VGPRBlocks: 0
; NumSGPRsForWavesPerEU: 1
; NumVGPRsForWavesPerEU: 1
; NamedBarCnt: 0
; Occupancy: 16
; WaveLimiterHint : 0
; COMPUTE_PGM_RSRC2:SCRATCH_EN: 0
; COMPUTE_PGM_RSRC2:USER_SGPR: 2
; COMPUTE_PGM_RSRC2:TRAP_HANDLER: 0
; COMPUTE_PGM_RSRC2:TGID_X_EN: 1
; COMPUTE_PGM_RSRC2:TGID_Y_EN: 0
; COMPUTE_PGM_RSRC2:TGID_Z_EN: 0
; COMPUTE_PGM_RSRC2:TIDIG_COMP_CNT: 0
	.section	.text._ZN7rocprim17ROCPRIM_400000_NS6detail17trampoline_kernelINS0_14default_configENS1_35adjacent_difference_config_selectorILb0ElEEZNS1_24adjacent_difference_implIS3_Lb0ELb0EPlS7_ZN2at6native12_GLOBAL__N_124unique_dim_cuda_templateIdEESt5tupleIJNS8_6TensorESD_SD_EERKSD_lbbbEUlllE1_EE10hipError_tPvRmT2_T3_mT4_P12ihipStream_tbEUlT_E_NS1_11comp_targetILNS1_3genE2ELNS1_11target_archE906ELNS1_3gpuE6ELNS1_3repE0EEENS1_30default_config_static_selectorELNS0_4arch9wavefront6targetE0EEEvT1_,"axG",@progbits,_ZN7rocprim17ROCPRIM_400000_NS6detail17trampoline_kernelINS0_14default_configENS1_35adjacent_difference_config_selectorILb0ElEEZNS1_24adjacent_difference_implIS3_Lb0ELb0EPlS7_ZN2at6native12_GLOBAL__N_124unique_dim_cuda_templateIdEESt5tupleIJNS8_6TensorESD_SD_EERKSD_lbbbEUlllE1_EE10hipError_tPvRmT2_T3_mT4_P12ihipStream_tbEUlT_E_NS1_11comp_targetILNS1_3genE2ELNS1_11target_archE906ELNS1_3gpuE6ELNS1_3repE0EEENS1_30default_config_static_selectorELNS0_4arch9wavefront6targetE0EEEvT1_,comdat
	.globl	_ZN7rocprim17ROCPRIM_400000_NS6detail17trampoline_kernelINS0_14default_configENS1_35adjacent_difference_config_selectorILb0ElEEZNS1_24adjacent_difference_implIS3_Lb0ELb0EPlS7_ZN2at6native12_GLOBAL__N_124unique_dim_cuda_templateIdEESt5tupleIJNS8_6TensorESD_SD_EERKSD_lbbbEUlllE1_EE10hipError_tPvRmT2_T3_mT4_P12ihipStream_tbEUlT_E_NS1_11comp_targetILNS1_3genE2ELNS1_11target_archE906ELNS1_3gpuE6ELNS1_3repE0EEENS1_30default_config_static_selectorELNS0_4arch9wavefront6targetE0EEEvT1_ ; -- Begin function _ZN7rocprim17ROCPRIM_400000_NS6detail17trampoline_kernelINS0_14default_configENS1_35adjacent_difference_config_selectorILb0ElEEZNS1_24adjacent_difference_implIS3_Lb0ELb0EPlS7_ZN2at6native12_GLOBAL__N_124unique_dim_cuda_templateIdEESt5tupleIJNS8_6TensorESD_SD_EERKSD_lbbbEUlllE1_EE10hipError_tPvRmT2_T3_mT4_P12ihipStream_tbEUlT_E_NS1_11comp_targetILNS1_3genE2ELNS1_11target_archE906ELNS1_3gpuE6ELNS1_3repE0EEENS1_30default_config_static_selectorELNS0_4arch9wavefront6targetE0EEEvT1_
	.p2align	8
	.type	_ZN7rocprim17ROCPRIM_400000_NS6detail17trampoline_kernelINS0_14default_configENS1_35adjacent_difference_config_selectorILb0ElEEZNS1_24adjacent_difference_implIS3_Lb0ELb0EPlS7_ZN2at6native12_GLOBAL__N_124unique_dim_cuda_templateIdEESt5tupleIJNS8_6TensorESD_SD_EERKSD_lbbbEUlllE1_EE10hipError_tPvRmT2_T3_mT4_P12ihipStream_tbEUlT_E_NS1_11comp_targetILNS1_3genE2ELNS1_11target_archE906ELNS1_3gpuE6ELNS1_3repE0EEENS1_30default_config_static_selectorELNS0_4arch9wavefront6targetE0EEEvT1_,@function
_ZN7rocprim17ROCPRIM_400000_NS6detail17trampoline_kernelINS0_14default_configENS1_35adjacent_difference_config_selectorILb0ElEEZNS1_24adjacent_difference_implIS3_Lb0ELb0EPlS7_ZN2at6native12_GLOBAL__N_124unique_dim_cuda_templateIdEESt5tupleIJNS8_6TensorESD_SD_EERKSD_lbbbEUlllE1_EE10hipError_tPvRmT2_T3_mT4_P12ihipStream_tbEUlT_E_NS1_11comp_targetILNS1_3genE2ELNS1_11target_archE906ELNS1_3gpuE6ELNS1_3repE0EEENS1_30default_config_static_selectorELNS0_4arch9wavefront6targetE0EEEvT1_: ; @_ZN7rocprim17ROCPRIM_400000_NS6detail17trampoline_kernelINS0_14default_configENS1_35adjacent_difference_config_selectorILb0ElEEZNS1_24adjacent_difference_implIS3_Lb0ELb0EPlS7_ZN2at6native12_GLOBAL__N_124unique_dim_cuda_templateIdEESt5tupleIJNS8_6TensorESD_SD_EERKSD_lbbbEUlllE1_EE10hipError_tPvRmT2_T3_mT4_P12ihipStream_tbEUlT_E_NS1_11comp_targetILNS1_3genE2ELNS1_11target_archE906ELNS1_3gpuE6ELNS1_3repE0EEENS1_30default_config_static_selectorELNS0_4arch9wavefront6targetE0EEEvT1_
; %bb.0:
	.section	.rodata,"a",@progbits
	.p2align	6, 0x0
	.amdhsa_kernel _ZN7rocprim17ROCPRIM_400000_NS6detail17trampoline_kernelINS0_14default_configENS1_35adjacent_difference_config_selectorILb0ElEEZNS1_24adjacent_difference_implIS3_Lb0ELb0EPlS7_ZN2at6native12_GLOBAL__N_124unique_dim_cuda_templateIdEESt5tupleIJNS8_6TensorESD_SD_EERKSD_lbbbEUlllE1_EE10hipError_tPvRmT2_T3_mT4_P12ihipStream_tbEUlT_E_NS1_11comp_targetILNS1_3genE2ELNS1_11target_archE906ELNS1_3gpuE6ELNS1_3repE0EEENS1_30default_config_static_selectorELNS0_4arch9wavefront6targetE0EEEvT1_
		.amdhsa_group_segment_fixed_size 0
		.amdhsa_private_segment_fixed_size 0
		.amdhsa_kernarg_size 64
		.amdhsa_user_sgpr_count 2
		.amdhsa_user_sgpr_dispatch_ptr 0
		.amdhsa_user_sgpr_queue_ptr 0
		.amdhsa_user_sgpr_kernarg_segment_ptr 1
		.amdhsa_user_sgpr_dispatch_id 0
		.amdhsa_user_sgpr_kernarg_preload_length 0
		.amdhsa_user_sgpr_kernarg_preload_offset 0
		.amdhsa_user_sgpr_private_segment_size 0
		.amdhsa_wavefront_size32 1
		.amdhsa_uses_dynamic_stack 0
		.amdhsa_enable_private_segment 0
		.amdhsa_system_sgpr_workgroup_id_x 1
		.amdhsa_system_sgpr_workgroup_id_y 0
		.amdhsa_system_sgpr_workgroup_id_z 0
		.amdhsa_system_sgpr_workgroup_info 0
		.amdhsa_system_vgpr_workitem_id 0
		.amdhsa_next_free_vgpr 1
		.amdhsa_next_free_sgpr 1
		.amdhsa_named_barrier_count 0
		.amdhsa_reserve_vcc 0
		.amdhsa_float_round_mode_32 0
		.amdhsa_float_round_mode_16_64 0
		.amdhsa_float_denorm_mode_32 3
		.amdhsa_float_denorm_mode_16_64 3
		.amdhsa_fp16_overflow 0
		.amdhsa_memory_ordered 1
		.amdhsa_forward_progress 1
		.amdhsa_inst_pref_size 0
		.amdhsa_round_robin_scheduling 0
		.amdhsa_exception_fp_ieee_invalid_op 0
		.amdhsa_exception_fp_denorm_src 0
		.amdhsa_exception_fp_ieee_div_zero 0
		.amdhsa_exception_fp_ieee_overflow 0
		.amdhsa_exception_fp_ieee_underflow 0
		.amdhsa_exception_fp_ieee_inexact 0
		.amdhsa_exception_int_div_zero 0
	.end_amdhsa_kernel
	.section	.text._ZN7rocprim17ROCPRIM_400000_NS6detail17trampoline_kernelINS0_14default_configENS1_35adjacent_difference_config_selectorILb0ElEEZNS1_24adjacent_difference_implIS3_Lb0ELb0EPlS7_ZN2at6native12_GLOBAL__N_124unique_dim_cuda_templateIdEESt5tupleIJNS8_6TensorESD_SD_EERKSD_lbbbEUlllE1_EE10hipError_tPvRmT2_T3_mT4_P12ihipStream_tbEUlT_E_NS1_11comp_targetILNS1_3genE2ELNS1_11target_archE906ELNS1_3gpuE6ELNS1_3repE0EEENS1_30default_config_static_selectorELNS0_4arch9wavefront6targetE0EEEvT1_,"axG",@progbits,_ZN7rocprim17ROCPRIM_400000_NS6detail17trampoline_kernelINS0_14default_configENS1_35adjacent_difference_config_selectorILb0ElEEZNS1_24adjacent_difference_implIS3_Lb0ELb0EPlS7_ZN2at6native12_GLOBAL__N_124unique_dim_cuda_templateIdEESt5tupleIJNS8_6TensorESD_SD_EERKSD_lbbbEUlllE1_EE10hipError_tPvRmT2_T3_mT4_P12ihipStream_tbEUlT_E_NS1_11comp_targetILNS1_3genE2ELNS1_11target_archE906ELNS1_3gpuE6ELNS1_3repE0EEENS1_30default_config_static_selectorELNS0_4arch9wavefront6targetE0EEEvT1_,comdat
.Lfunc_end787:
	.size	_ZN7rocprim17ROCPRIM_400000_NS6detail17trampoline_kernelINS0_14default_configENS1_35adjacent_difference_config_selectorILb0ElEEZNS1_24adjacent_difference_implIS3_Lb0ELb0EPlS7_ZN2at6native12_GLOBAL__N_124unique_dim_cuda_templateIdEESt5tupleIJNS8_6TensorESD_SD_EERKSD_lbbbEUlllE1_EE10hipError_tPvRmT2_T3_mT4_P12ihipStream_tbEUlT_E_NS1_11comp_targetILNS1_3genE2ELNS1_11target_archE906ELNS1_3gpuE6ELNS1_3repE0EEENS1_30default_config_static_selectorELNS0_4arch9wavefront6targetE0EEEvT1_, .Lfunc_end787-_ZN7rocprim17ROCPRIM_400000_NS6detail17trampoline_kernelINS0_14default_configENS1_35adjacent_difference_config_selectorILb0ElEEZNS1_24adjacent_difference_implIS3_Lb0ELb0EPlS7_ZN2at6native12_GLOBAL__N_124unique_dim_cuda_templateIdEESt5tupleIJNS8_6TensorESD_SD_EERKSD_lbbbEUlllE1_EE10hipError_tPvRmT2_T3_mT4_P12ihipStream_tbEUlT_E_NS1_11comp_targetILNS1_3genE2ELNS1_11target_archE906ELNS1_3gpuE6ELNS1_3repE0EEENS1_30default_config_static_selectorELNS0_4arch9wavefront6targetE0EEEvT1_
                                        ; -- End function
	.set _ZN7rocprim17ROCPRIM_400000_NS6detail17trampoline_kernelINS0_14default_configENS1_35adjacent_difference_config_selectorILb0ElEEZNS1_24adjacent_difference_implIS3_Lb0ELb0EPlS7_ZN2at6native12_GLOBAL__N_124unique_dim_cuda_templateIdEESt5tupleIJNS8_6TensorESD_SD_EERKSD_lbbbEUlllE1_EE10hipError_tPvRmT2_T3_mT4_P12ihipStream_tbEUlT_E_NS1_11comp_targetILNS1_3genE2ELNS1_11target_archE906ELNS1_3gpuE6ELNS1_3repE0EEENS1_30default_config_static_selectorELNS0_4arch9wavefront6targetE0EEEvT1_.num_vgpr, 0
	.set _ZN7rocprim17ROCPRIM_400000_NS6detail17trampoline_kernelINS0_14default_configENS1_35adjacent_difference_config_selectorILb0ElEEZNS1_24adjacent_difference_implIS3_Lb0ELb0EPlS7_ZN2at6native12_GLOBAL__N_124unique_dim_cuda_templateIdEESt5tupleIJNS8_6TensorESD_SD_EERKSD_lbbbEUlllE1_EE10hipError_tPvRmT2_T3_mT4_P12ihipStream_tbEUlT_E_NS1_11comp_targetILNS1_3genE2ELNS1_11target_archE906ELNS1_3gpuE6ELNS1_3repE0EEENS1_30default_config_static_selectorELNS0_4arch9wavefront6targetE0EEEvT1_.num_agpr, 0
	.set _ZN7rocprim17ROCPRIM_400000_NS6detail17trampoline_kernelINS0_14default_configENS1_35adjacent_difference_config_selectorILb0ElEEZNS1_24adjacent_difference_implIS3_Lb0ELb0EPlS7_ZN2at6native12_GLOBAL__N_124unique_dim_cuda_templateIdEESt5tupleIJNS8_6TensorESD_SD_EERKSD_lbbbEUlllE1_EE10hipError_tPvRmT2_T3_mT4_P12ihipStream_tbEUlT_E_NS1_11comp_targetILNS1_3genE2ELNS1_11target_archE906ELNS1_3gpuE6ELNS1_3repE0EEENS1_30default_config_static_selectorELNS0_4arch9wavefront6targetE0EEEvT1_.numbered_sgpr, 0
	.set _ZN7rocprim17ROCPRIM_400000_NS6detail17trampoline_kernelINS0_14default_configENS1_35adjacent_difference_config_selectorILb0ElEEZNS1_24adjacent_difference_implIS3_Lb0ELb0EPlS7_ZN2at6native12_GLOBAL__N_124unique_dim_cuda_templateIdEESt5tupleIJNS8_6TensorESD_SD_EERKSD_lbbbEUlllE1_EE10hipError_tPvRmT2_T3_mT4_P12ihipStream_tbEUlT_E_NS1_11comp_targetILNS1_3genE2ELNS1_11target_archE906ELNS1_3gpuE6ELNS1_3repE0EEENS1_30default_config_static_selectorELNS0_4arch9wavefront6targetE0EEEvT1_.num_named_barrier, 0
	.set _ZN7rocprim17ROCPRIM_400000_NS6detail17trampoline_kernelINS0_14default_configENS1_35adjacent_difference_config_selectorILb0ElEEZNS1_24adjacent_difference_implIS3_Lb0ELb0EPlS7_ZN2at6native12_GLOBAL__N_124unique_dim_cuda_templateIdEESt5tupleIJNS8_6TensorESD_SD_EERKSD_lbbbEUlllE1_EE10hipError_tPvRmT2_T3_mT4_P12ihipStream_tbEUlT_E_NS1_11comp_targetILNS1_3genE2ELNS1_11target_archE906ELNS1_3gpuE6ELNS1_3repE0EEENS1_30default_config_static_selectorELNS0_4arch9wavefront6targetE0EEEvT1_.private_seg_size, 0
	.set _ZN7rocprim17ROCPRIM_400000_NS6detail17trampoline_kernelINS0_14default_configENS1_35adjacent_difference_config_selectorILb0ElEEZNS1_24adjacent_difference_implIS3_Lb0ELb0EPlS7_ZN2at6native12_GLOBAL__N_124unique_dim_cuda_templateIdEESt5tupleIJNS8_6TensorESD_SD_EERKSD_lbbbEUlllE1_EE10hipError_tPvRmT2_T3_mT4_P12ihipStream_tbEUlT_E_NS1_11comp_targetILNS1_3genE2ELNS1_11target_archE906ELNS1_3gpuE6ELNS1_3repE0EEENS1_30default_config_static_selectorELNS0_4arch9wavefront6targetE0EEEvT1_.uses_vcc, 0
	.set _ZN7rocprim17ROCPRIM_400000_NS6detail17trampoline_kernelINS0_14default_configENS1_35adjacent_difference_config_selectorILb0ElEEZNS1_24adjacent_difference_implIS3_Lb0ELb0EPlS7_ZN2at6native12_GLOBAL__N_124unique_dim_cuda_templateIdEESt5tupleIJNS8_6TensorESD_SD_EERKSD_lbbbEUlllE1_EE10hipError_tPvRmT2_T3_mT4_P12ihipStream_tbEUlT_E_NS1_11comp_targetILNS1_3genE2ELNS1_11target_archE906ELNS1_3gpuE6ELNS1_3repE0EEENS1_30default_config_static_selectorELNS0_4arch9wavefront6targetE0EEEvT1_.uses_flat_scratch, 0
	.set _ZN7rocprim17ROCPRIM_400000_NS6detail17trampoline_kernelINS0_14default_configENS1_35adjacent_difference_config_selectorILb0ElEEZNS1_24adjacent_difference_implIS3_Lb0ELb0EPlS7_ZN2at6native12_GLOBAL__N_124unique_dim_cuda_templateIdEESt5tupleIJNS8_6TensorESD_SD_EERKSD_lbbbEUlllE1_EE10hipError_tPvRmT2_T3_mT4_P12ihipStream_tbEUlT_E_NS1_11comp_targetILNS1_3genE2ELNS1_11target_archE906ELNS1_3gpuE6ELNS1_3repE0EEENS1_30default_config_static_selectorELNS0_4arch9wavefront6targetE0EEEvT1_.has_dyn_sized_stack, 0
	.set _ZN7rocprim17ROCPRIM_400000_NS6detail17trampoline_kernelINS0_14default_configENS1_35adjacent_difference_config_selectorILb0ElEEZNS1_24adjacent_difference_implIS3_Lb0ELb0EPlS7_ZN2at6native12_GLOBAL__N_124unique_dim_cuda_templateIdEESt5tupleIJNS8_6TensorESD_SD_EERKSD_lbbbEUlllE1_EE10hipError_tPvRmT2_T3_mT4_P12ihipStream_tbEUlT_E_NS1_11comp_targetILNS1_3genE2ELNS1_11target_archE906ELNS1_3gpuE6ELNS1_3repE0EEENS1_30default_config_static_selectorELNS0_4arch9wavefront6targetE0EEEvT1_.has_recursion, 0
	.set _ZN7rocprim17ROCPRIM_400000_NS6detail17trampoline_kernelINS0_14default_configENS1_35adjacent_difference_config_selectorILb0ElEEZNS1_24adjacent_difference_implIS3_Lb0ELb0EPlS7_ZN2at6native12_GLOBAL__N_124unique_dim_cuda_templateIdEESt5tupleIJNS8_6TensorESD_SD_EERKSD_lbbbEUlllE1_EE10hipError_tPvRmT2_T3_mT4_P12ihipStream_tbEUlT_E_NS1_11comp_targetILNS1_3genE2ELNS1_11target_archE906ELNS1_3gpuE6ELNS1_3repE0EEENS1_30default_config_static_selectorELNS0_4arch9wavefront6targetE0EEEvT1_.has_indirect_call, 0
	.section	.AMDGPU.csdata,"",@progbits
; Kernel info:
; codeLenInByte = 0
; TotalNumSgprs: 0
; NumVgprs: 0
; ScratchSize: 0
; MemoryBound: 0
; FloatMode: 240
; IeeeMode: 1
; LDSByteSize: 0 bytes/workgroup (compile time only)
; SGPRBlocks: 0
; VGPRBlocks: 0
; NumSGPRsForWavesPerEU: 1
; NumVGPRsForWavesPerEU: 1
; NamedBarCnt: 0
; Occupancy: 16
; WaveLimiterHint : 0
; COMPUTE_PGM_RSRC2:SCRATCH_EN: 0
; COMPUTE_PGM_RSRC2:USER_SGPR: 2
; COMPUTE_PGM_RSRC2:TRAP_HANDLER: 0
; COMPUTE_PGM_RSRC2:TGID_X_EN: 1
; COMPUTE_PGM_RSRC2:TGID_Y_EN: 0
; COMPUTE_PGM_RSRC2:TGID_Z_EN: 0
; COMPUTE_PGM_RSRC2:TIDIG_COMP_CNT: 0
	.section	.text._ZN7rocprim17ROCPRIM_400000_NS6detail17trampoline_kernelINS0_14default_configENS1_35adjacent_difference_config_selectorILb0ElEEZNS1_24adjacent_difference_implIS3_Lb0ELb0EPlS7_ZN2at6native12_GLOBAL__N_124unique_dim_cuda_templateIdEESt5tupleIJNS8_6TensorESD_SD_EERKSD_lbbbEUlllE1_EE10hipError_tPvRmT2_T3_mT4_P12ihipStream_tbEUlT_E_NS1_11comp_targetILNS1_3genE9ELNS1_11target_archE1100ELNS1_3gpuE3ELNS1_3repE0EEENS1_30default_config_static_selectorELNS0_4arch9wavefront6targetE0EEEvT1_,"axG",@progbits,_ZN7rocprim17ROCPRIM_400000_NS6detail17trampoline_kernelINS0_14default_configENS1_35adjacent_difference_config_selectorILb0ElEEZNS1_24adjacent_difference_implIS3_Lb0ELb0EPlS7_ZN2at6native12_GLOBAL__N_124unique_dim_cuda_templateIdEESt5tupleIJNS8_6TensorESD_SD_EERKSD_lbbbEUlllE1_EE10hipError_tPvRmT2_T3_mT4_P12ihipStream_tbEUlT_E_NS1_11comp_targetILNS1_3genE9ELNS1_11target_archE1100ELNS1_3gpuE3ELNS1_3repE0EEENS1_30default_config_static_selectorELNS0_4arch9wavefront6targetE0EEEvT1_,comdat
	.globl	_ZN7rocprim17ROCPRIM_400000_NS6detail17trampoline_kernelINS0_14default_configENS1_35adjacent_difference_config_selectorILb0ElEEZNS1_24adjacent_difference_implIS3_Lb0ELb0EPlS7_ZN2at6native12_GLOBAL__N_124unique_dim_cuda_templateIdEESt5tupleIJNS8_6TensorESD_SD_EERKSD_lbbbEUlllE1_EE10hipError_tPvRmT2_T3_mT4_P12ihipStream_tbEUlT_E_NS1_11comp_targetILNS1_3genE9ELNS1_11target_archE1100ELNS1_3gpuE3ELNS1_3repE0EEENS1_30default_config_static_selectorELNS0_4arch9wavefront6targetE0EEEvT1_ ; -- Begin function _ZN7rocprim17ROCPRIM_400000_NS6detail17trampoline_kernelINS0_14default_configENS1_35adjacent_difference_config_selectorILb0ElEEZNS1_24adjacent_difference_implIS3_Lb0ELb0EPlS7_ZN2at6native12_GLOBAL__N_124unique_dim_cuda_templateIdEESt5tupleIJNS8_6TensorESD_SD_EERKSD_lbbbEUlllE1_EE10hipError_tPvRmT2_T3_mT4_P12ihipStream_tbEUlT_E_NS1_11comp_targetILNS1_3genE9ELNS1_11target_archE1100ELNS1_3gpuE3ELNS1_3repE0EEENS1_30default_config_static_selectorELNS0_4arch9wavefront6targetE0EEEvT1_
	.p2align	8
	.type	_ZN7rocprim17ROCPRIM_400000_NS6detail17trampoline_kernelINS0_14default_configENS1_35adjacent_difference_config_selectorILb0ElEEZNS1_24adjacent_difference_implIS3_Lb0ELb0EPlS7_ZN2at6native12_GLOBAL__N_124unique_dim_cuda_templateIdEESt5tupleIJNS8_6TensorESD_SD_EERKSD_lbbbEUlllE1_EE10hipError_tPvRmT2_T3_mT4_P12ihipStream_tbEUlT_E_NS1_11comp_targetILNS1_3genE9ELNS1_11target_archE1100ELNS1_3gpuE3ELNS1_3repE0EEENS1_30default_config_static_selectorELNS0_4arch9wavefront6targetE0EEEvT1_,@function
_ZN7rocprim17ROCPRIM_400000_NS6detail17trampoline_kernelINS0_14default_configENS1_35adjacent_difference_config_selectorILb0ElEEZNS1_24adjacent_difference_implIS3_Lb0ELb0EPlS7_ZN2at6native12_GLOBAL__N_124unique_dim_cuda_templateIdEESt5tupleIJNS8_6TensorESD_SD_EERKSD_lbbbEUlllE1_EE10hipError_tPvRmT2_T3_mT4_P12ihipStream_tbEUlT_E_NS1_11comp_targetILNS1_3genE9ELNS1_11target_archE1100ELNS1_3gpuE3ELNS1_3repE0EEENS1_30default_config_static_selectorELNS0_4arch9wavefront6targetE0EEEvT1_: ; @_ZN7rocprim17ROCPRIM_400000_NS6detail17trampoline_kernelINS0_14default_configENS1_35adjacent_difference_config_selectorILb0ElEEZNS1_24adjacent_difference_implIS3_Lb0ELb0EPlS7_ZN2at6native12_GLOBAL__N_124unique_dim_cuda_templateIdEESt5tupleIJNS8_6TensorESD_SD_EERKSD_lbbbEUlllE1_EE10hipError_tPvRmT2_T3_mT4_P12ihipStream_tbEUlT_E_NS1_11comp_targetILNS1_3genE9ELNS1_11target_archE1100ELNS1_3gpuE3ELNS1_3repE0EEENS1_30default_config_static_selectorELNS0_4arch9wavefront6targetE0EEEvT1_
; %bb.0:
	.section	.rodata,"a",@progbits
	.p2align	6, 0x0
	.amdhsa_kernel _ZN7rocprim17ROCPRIM_400000_NS6detail17trampoline_kernelINS0_14default_configENS1_35adjacent_difference_config_selectorILb0ElEEZNS1_24adjacent_difference_implIS3_Lb0ELb0EPlS7_ZN2at6native12_GLOBAL__N_124unique_dim_cuda_templateIdEESt5tupleIJNS8_6TensorESD_SD_EERKSD_lbbbEUlllE1_EE10hipError_tPvRmT2_T3_mT4_P12ihipStream_tbEUlT_E_NS1_11comp_targetILNS1_3genE9ELNS1_11target_archE1100ELNS1_3gpuE3ELNS1_3repE0EEENS1_30default_config_static_selectorELNS0_4arch9wavefront6targetE0EEEvT1_
		.amdhsa_group_segment_fixed_size 0
		.amdhsa_private_segment_fixed_size 0
		.amdhsa_kernarg_size 64
		.amdhsa_user_sgpr_count 2
		.amdhsa_user_sgpr_dispatch_ptr 0
		.amdhsa_user_sgpr_queue_ptr 0
		.amdhsa_user_sgpr_kernarg_segment_ptr 1
		.amdhsa_user_sgpr_dispatch_id 0
		.amdhsa_user_sgpr_kernarg_preload_length 0
		.amdhsa_user_sgpr_kernarg_preload_offset 0
		.amdhsa_user_sgpr_private_segment_size 0
		.amdhsa_wavefront_size32 1
		.amdhsa_uses_dynamic_stack 0
		.amdhsa_enable_private_segment 0
		.amdhsa_system_sgpr_workgroup_id_x 1
		.amdhsa_system_sgpr_workgroup_id_y 0
		.amdhsa_system_sgpr_workgroup_id_z 0
		.amdhsa_system_sgpr_workgroup_info 0
		.amdhsa_system_vgpr_workitem_id 0
		.amdhsa_next_free_vgpr 1
		.amdhsa_next_free_sgpr 1
		.amdhsa_named_barrier_count 0
		.amdhsa_reserve_vcc 0
		.amdhsa_float_round_mode_32 0
		.amdhsa_float_round_mode_16_64 0
		.amdhsa_float_denorm_mode_32 3
		.amdhsa_float_denorm_mode_16_64 3
		.amdhsa_fp16_overflow 0
		.amdhsa_memory_ordered 1
		.amdhsa_forward_progress 1
		.amdhsa_inst_pref_size 0
		.amdhsa_round_robin_scheduling 0
		.amdhsa_exception_fp_ieee_invalid_op 0
		.amdhsa_exception_fp_denorm_src 0
		.amdhsa_exception_fp_ieee_div_zero 0
		.amdhsa_exception_fp_ieee_overflow 0
		.amdhsa_exception_fp_ieee_underflow 0
		.amdhsa_exception_fp_ieee_inexact 0
		.amdhsa_exception_int_div_zero 0
	.end_amdhsa_kernel
	.section	.text._ZN7rocprim17ROCPRIM_400000_NS6detail17trampoline_kernelINS0_14default_configENS1_35adjacent_difference_config_selectorILb0ElEEZNS1_24adjacent_difference_implIS3_Lb0ELb0EPlS7_ZN2at6native12_GLOBAL__N_124unique_dim_cuda_templateIdEESt5tupleIJNS8_6TensorESD_SD_EERKSD_lbbbEUlllE1_EE10hipError_tPvRmT2_T3_mT4_P12ihipStream_tbEUlT_E_NS1_11comp_targetILNS1_3genE9ELNS1_11target_archE1100ELNS1_3gpuE3ELNS1_3repE0EEENS1_30default_config_static_selectorELNS0_4arch9wavefront6targetE0EEEvT1_,"axG",@progbits,_ZN7rocprim17ROCPRIM_400000_NS6detail17trampoline_kernelINS0_14default_configENS1_35adjacent_difference_config_selectorILb0ElEEZNS1_24adjacent_difference_implIS3_Lb0ELb0EPlS7_ZN2at6native12_GLOBAL__N_124unique_dim_cuda_templateIdEESt5tupleIJNS8_6TensorESD_SD_EERKSD_lbbbEUlllE1_EE10hipError_tPvRmT2_T3_mT4_P12ihipStream_tbEUlT_E_NS1_11comp_targetILNS1_3genE9ELNS1_11target_archE1100ELNS1_3gpuE3ELNS1_3repE0EEENS1_30default_config_static_selectorELNS0_4arch9wavefront6targetE0EEEvT1_,comdat
.Lfunc_end788:
	.size	_ZN7rocprim17ROCPRIM_400000_NS6detail17trampoline_kernelINS0_14default_configENS1_35adjacent_difference_config_selectorILb0ElEEZNS1_24adjacent_difference_implIS3_Lb0ELb0EPlS7_ZN2at6native12_GLOBAL__N_124unique_dim_cuda_templateIdEESt5tupleIJNS8_6TensorESD_SD_EERKSD_lbbbEUlllE1_EE10hipError_tPvRmT2_T3_mT4_P12ihipStream_tbEUlT_E_NS1_11comp_targetILNS1_3genE9ELNS1_11target_archE1100ELNS1_3gpuE3ELNS1_3repE0EEENS1_30default_config_static_selectorELNS0_4arch9wavefront6targetE0EEEvT1_, .Lfunc_end788-_ZN7rocprim17ROCPRIM_400000_NS6detail17trampoline_kernelINS0_14default_configENS1_35adjacent_difference_config_selectorILb0ElEEZNS1_24adjacent_difference_implIS3_Lb0ELb0EPlS7_ZN2at6native12_GLOBAL__N_124unique_dim_cuda_templateIdEESt5tupleIJNS8_6TensorESD_SD_EERKSD_lbbbEUlllE1_EE10hipError_tPvRmT2_T3_mT4_P12ihipStream_tbEUlT_E_NS1_11comp_targetILNS1_3genE9ELNS1_11target_archE1100ELNS1_3gpuE3ELNS1_3repE0EEENS1_30default_config_static_selectorELNS0_4arch9wavefront6targetE0EEEvT1_
                                        ; -- End function
	.set _ZN7rocprim17ROCPRIM_400000_NS6detail17trampoline_kernelINS0_14default_configENS1_35adjacent_difference_config_selectorILb0ElEEZNS1_24adjacent_difference_implIS3_Lb0ELb0EPlS7_ZN2at6native12_GLOBAL__N_124unique_dim_cuda_templateIdEESt5tupleIJNS8_6TensorESD_SD_EERKSD_lbbbEUlllE1_EE10hipError_tPvRmT2_T3_mT4_P12ihipStream_tbEUlT_E_NS1_11comp_targetILNS1_3genE9ELNS1_11target_archE1100ELNS1_3gpuE3ELNS1_3repE0EEENS1_30default_config_static_selectorELNS0_4arch9wavefront6targetE0EEEvT1_.num_vgpr, 0
	.set _ZN7rocprim17ROCPRIM_400000_NS6detail17trampoline_kernelINS0_14default_configENS1_35adjacent_difference_config_selectorILb0ElEEZNS1_24adjacent_difference_implIS3_Lb0ELb0EPlS7_ZN2at6native12_GLOBAL__N_124unique_dim_cuda_templateIdEESt5tupleIJNS8_6TensorESD_SD_EERKSD_lbbbEUlllE1_EE10hipError_tPvRmT2_T3_mT4_P12ihipStream_tbEUlT_E_NS1_11comp_targetILNS1_3genE9ELNS1_11target_archE1100ELNS1_3gpuE3ELNS1_3repE0EEENS1_30default_config_static_selectorELNS0_4arch9wavefront6targetE0EEEvT1_.num_agpr, 0
	.set _ZN7rocprim17ROCPRIM_400000_NS6detail17trampoline_kernelINS0_14default_configENS1_35adjacent_difference_config_selectorILb0ElEEZNS1_24adjacent_difference_implIS3_Lb0ELb0EPlS7_ZN2at6native12_GLOBAL__N_124unique_dim_cuda_templateIdEESt5tupleIJNS8_6TensorESD_SD_EERKSD_lbbbEUlllE1_EE10hipError_tPvRmT2_T3_mT4_P12ihipStream_tbEUlT_E_NS1_11comp_targetILNS1_3genE9ELNS1_11target_archE1100ELNS1_3gpuE3ELNS1_3repE0EEENS1_30default_config_static_selectorELNS0_4arch9wavefront6targetE0EEEvT1_.numbered_sgpr, 0
	.set _ZN7rocprim17ROCPRIM_400000_NS6detail17trampoline_kernelINS0_14default_configENS1_35adjacent_difference_config_selectorILb0ElEEZNS1_24adjacent_difference_implIS3_Lb0ELb0EPlS7_ZN2at6native12_GLOBAL__N_124unique_dim_cuda_templateIdEESt5tupleIJNS8_6TensorESD_SD_EERKSD_lbbbEUlllE1_EE10hipError_tPvRmT2_T3_mT4_P12ihipStream_tbEUlT_E_NS1_11comp_targetILNS1_3genE9ELNS1_11target_archE1100ELNS1_3gpuE3ELNS1_3repE0EEENS1_30default_config_static_selectorELNS0_4arch9wavefront6targetE0EEEvT1_.num_named_barrier, 0
	.set _ZN7rocprim17ROCPRIM_400000_NS6detail17trampoline_kernelINS0_14default_configENS1_35adjacent_difference_config_selectorILb0ElEEZNS1_24adjacent_difference_implIS3_Lb0ELb0EPlS7_ZN2at6native12_GLOBAL__N_124unique_dim_cuda_templateIdEESt5tupleIJNS8_6TensorESD_SD_EERKSD_lbbbEUlllE1_EE10hipError_tPvRmT2_T3_mT4_P12ihipStream_tbEUlT_E_NS1_11comp_targetILNS1_3genE9ELNS1_11target_archE1100ELNS1_3gpuE3ELNS1_3repE0EEENS1_30default_config_static_selectorELNS0_4arch9wavefront6targetE0EEEvT1_.private_seg_size, 0
	.set _ZN7rocprim17ROCPRIM_400000_NS6detail17trampoline_kernelINS0_14default_configENS1_35adjacent_difference_config_selectorILb0ElEEZNS1_24adjacent_difference_implIS3_Lb0ELb0EPlS7_ZN2at6native12_GLOBAL__N_124unique_dim_cuda_templateIdEESt5tupleIJNS8_6TensorESD_SD_EERKSD_lbbbEUlllE1_EE10hipError_tPvRmT2_T3_mT4_P12ihipStream_tbEUlT_E_NS1_11comp_targetILNS1_3genE9ELNS1_11target_archE1100ELNS1_3gpuE3ELNS1_3repE0EEENS1_30default_config_static_selectorELNS0_4arch9wavefront6targetE0EEEvT1_.uses_vcc, 0
	.set _ZN7rocprim17ROCPRIM_400000_NS6detail17trampoline_kernelINS0_14default_configENS1_35adjacent_difference_config_selectorILb0ElEEZNS1_24adjacent_difference_implIS3_Lb0ELb0EPlS7_ZN2at6native12_GLOBAL__N_124unique_dim_cuda_templateIdEESt5tupleIJNS8_6TensorESD_SD_EERKSD_lbbbEUlllE1_EE10hipError_tPvRmT2_T3_mT4_P12ihipStream_tbEUlT_E_NS1_11comp_targetILNS1_3genE9ELNS1_11target_archE1100ELNS1_3gpuE3ELNS1_3repE0EEENS1_30default_config_static_selectorELNS0_4arch9wavefront6targetE0EEEvT1_.uses_flat_scratch, 0
	.set _ZN7rocprim17ROCPRIM_400000_NS6detail17trampoline_kernelINS0_14default_configENS1_35adjacent_difference_config_selectorILb0ElEEZNS1_24adjacent_difference_implIS3_Lb0ELb0EPlS7_ZN2at6native12_GLOBAL__N_124unique_dim_cuda_templateIdEESt5tupleIJNS8_6TensorESD_SD_EERKSD_lbbbEUlllE1_EE10hipError_tPvRmT2_T3_mT4_P12ihipStream_tbEUlT_E_NS1_11comp_targetILNS1_3genE9ELNS1_11target_archE1100ELNS1_3gpuE3ELNS1_3repE0EEENS1_30default_config_static_selectorELNS0_4arch9wavefront6targetE0EEEvT1_.has_dyn_sized_stack, 0
	.set _ZN7rocprim17ROCPRIM_400000_NS6detail17trampoline_kernelINS0_14default_configENS1_35adjacent_difference_config_selectorILb0ElEEZNS1_24adjacent_difference_implIS3_Lb0ELb0EPlS7_ZN2at6native12_GLOBAL__N_124unique_dim_cuda_templateIdEESt5tupleIJNS8_6TensorESD_SD_EERKSD_lbbbEUlllE1_EE10hipError_tPvRmT2_T3_mT4_P12ihipStream_tbEUlT_E_NS1_11comp_targetILNS1_3genE9ELNS1_11target_archE1100ELNS1_3gpuE3ELNS1_3repE0EEENS1_30default_config_static_selectorELNS0_4arch9wavefront6targetE0EEEvT1_.has_recursion, 0
	.set _ZN7rocprim17ROCPRIM_400000_NS6detail17trampoline_kernelINS0_14default_configENS1_35adjacent_difference_config_selectorILb0ElEEZNS1_24adjacent_difference_implIS3_Lb0ELb0EPlS7_ZN2at6native12_GLOBAL__N_124unique_dim_cuda_templateIdEESt5tupleIJNS8_6TensorESD_SD_EERKSD_lbbbEUlllE1_EE10hipError_tPvRmT2_T3_mT4_P12ihipStream_tbEUlT_E_NS1_11comp_targetILNS1_3genE9ELNS1_11target_archE1100ELNS1_3gpuE3ELNS1_3repE0EEENS1_30default_config_static_selectorELNS0_4arch9wavefront6targetE0EEEvT1_.has_indirect_call, 0
	.section	.AMDGPU.csdata,"",@progbits
; Kernel info:
; codeLenInByte = 0
; TotalNumSgprs: 0
; NumVgprs: 0
; ScratchSize: 0
; MemoryBound: 0
; FloatMode: 240
; IeeeMode: 1
; LDSByteSize: 0 bytes/workgroup (compile time only)
; SGPRBlocks: 0
; VGPRBlocks: 0
; NumSGPRsForWavesPerEU: 1
; NumVGPRsForWavesPerEU: 1
; NamedBarCnt: 0
; Occupancy: 16
; WaveLimiterHint : 0
; COMPUTE_PGM_RSRC2:SCRATCH_EN: 0
; COMPUTE_PGM_RSRC2:USER_SGPR: 2
; COMPUTE_PGM_RSRC2:TRAP_HANDLER: 0
; COMPUTE_PGM_RSRC2:TGID_X_EN: 1
; COMPUTE_PGM_RSRC2:TGID_Y_EN: 0
; COMPUTE_PGM_RSRC2:TGID_Z_EN: 0
; COMPUTE_PGM_RSRC2:TIDIG_COMP_CNT: 0
	.section	.text._ZN7rocprim17ROCPRIM_400000_NS6detail17trampoline_kernelINS0_14default_configENS1_35adjacent_difference_config_selectorILb0ElEEZNS1_24adjacent_difference_implIS3_Lb0ELb0EPlS7_ZN2at6native12_GLOBAL__N_124unique_dim_cuda_templateIdEESt5tupleIJNS8_6TensorESD_SD_EERKSD_lbbbEUlllE1_EE10hipError_tPvRmT2_T3_mT4_P12ihipStream_tbEUlT_E_NS1_11comp_targetILNS1_3genE8ELNS1_11target_archE1030ELNS1_3gpuE2ELNS1_3repE0EEENS1_30default_config_static_selectorELNS0_4arch9wavefront6targetE0EEEvT1_,"axG",@progbits,_ZN7rocprim17ROCPRIM_400000_NS6detail17trampoline_kernelINS0_14default_configENS1_35adjacent_difference_config_selectorILb0ElEEZNS1_24adjacent_difference_implIS3_Lb0ELb0EPlS7_ZN2at6native12_GLOBAL__N_124unique_dim_cuda_templateIdEESt5tupleIJNS8_6TensorESD_SD_EERKSD_lbbbEUlllE1_EE10hipError_tPvRmT2_T3_mT4_P12ihipStream_tbEUlT_E_NS1_11comp_targetILNS1_3genE8ELNS1_11target_archE1030ELNS1_3gpuE2ELNS1_3repE0EEENS1_30default_config_static_selectorELNS0_4arch9wavefront6targetE0EEEvT1_,comdat
	.globl	_ZN7rocprim17ROCPRIM_400000_NS6detail17trampoline_kernelINS0_14default_configENS1_35adjacent_difference_config_selectorILb0ElEEZNS1_24adjacent_difference_implIS3_Lb0ELb0EPlS7_ZN2at6native12_GLOBAL__N_124unique_dim_cuda_templateIdEESt5tupleIJNS8_6TensorESD_SD_EERKSD_lbbbEUlllE1_EE10hipError_tPvRmT2_T3_mT4_P12ihipStream_tbEUlT_E_NS1_11comp_targetILNS1_3genE8ELNS1_11target_archE1030ELNS1_3gpuE2ELNS1_3repE0EEENS1_30default_config_static_selectorELNS0_4arch9wavefront6targetE0EEEvT1_ ; -- Begin function _ZN7rocprim17ROCPRIM_400000_NS6detail17trampoline_kernelINS0_14default_configENS1_35adjacent_difference_config_selectorILb0ElEEZNS1_24adjacent_difference_implIS3_Lb0ELb0EPlS7_ZN2at6native12_GLOBAL__N_124unique_dim_cuda_templateIdEESt5tupleIJNS8_6TensorESD_SD_EERKSD_lbbbEUlllE1_EE10hipError_tPvRmT2_T3_mT4_P12ihipStream_tbEUlT_E_NS1_11comp_targetILNS1_3genE8ELNS1_11target_archE1030ELNS1_3gpuE2ELNS1_3repE0EEENS1_30default_config_static_selectorELNS0_4arch9wavefront6targetE0EEEvT1_
	.p2align	8
	.type	_ZN7rocprim17ROCPRIM_400000_NS6detail17trampoline_kernelINS0_14default_configENS1_35adjacent_difference_config_selectorILb0ElEEZNS1_24adjacent_difference_implIS3_Lb0ELb0EPlS7_ZN2at6native12_GLOBAL__N_124unique_dim_cuda_templateIdEESt5tupleIJNS8_6TensorESD_SD_EERKSD_lbbbEUlllE1_EE10hipError_tPvRmT2_T3_mT4_P12ihipStream_tbEUlT_E_NS1_11comp_targetILNS1_3genE8ELNS1_11target_archE1030ELNS1_3gpuE2ELNS1_3repE0EEENS1_30default_config_static_selectorELNS0_4arch9wavefront6targetE0EEEvT1_,@function
_ZN7rocprim17ROCPRIM_400000_NS6detail17trampoline_kernelINS0_14default_configENS1_35adjacent_difference_config_selectorILb0ElEEZNS1_24adjacent_difference_implIS3_Lb0ELb0EPlS7_ZN2at6native12_GLOBAL__N_124unique_dim_cuda_templateIdEESt5tupleIJNS8_6TensorESD_SD_EERKSD_lbbbEUlllE1_EE10hipError_tPvRmT2_T3_mT4_P12ihipStream_tbEUlT_E_NS1_11comp_targetILNS1_3genE8ELNS1_11target_archE1030ELNS1_3gpuE2ELNS1_3repE0EEENS1_30default_config_static_selectorELNS0_4arch9wavefront6targetE0EEEvT1_: ; @_ZN7rocprim17ROCPRIM_400000_NS6detail17trampoline_kernelINS0_14default_configENS1_35adjacent_difference_config_selectorILb0ElEEZNS1_24adjacent_difference_implIS3_Lb0ELb0EPlS7_ZN2at6native12_GLOBAL__N_124unique_dim_cuda_templateIdEESt5tupleIJNS8_6TensorESD_SD_EERKSD_lbbbEUlllE1_EE10hipError_tPvRmT2_T3_mT4_P12ihipStream_tbEUlT_E_NS1_11comp_targetILNS1_3genE8ELNS1_11target_archE1030ELNS1_3gpuE2ELNS1_3repE0EEENS1_30default_config_static_selectorELNS0_4arch9wavefront6targetE0EEEvT1_
; %bb.0:
	.section	.rodata,"a",@progbits
	.p2align	6, 0x0
	.amdhsa_kernel _ZN7rocprim17ROCPRIM_400000_NS6detail17trampoline_kernelINS0_14default_configENS1_35adjacent_difference_config_selectorILb0ElEEZNS1_24adjacent_difference_implIS3_Lb0ELb0EPlS7_ZN2at6native12_GLOBAL__N_124unique_dim_cuda_templateIdEESt5tupleIJNS8_6TensorESD_SD_EERKSD_lbbbEUlllE1_EE10hipError_tPvRmT2_T3_mT4_P12ihipStream_tbEUlT_E_NS1_11comp_targetILNS1_3genE8ELNS1_11target_archE1030ELNS1_3gpuE2ELNS1_3repE0EEENS1_30default_config_static_selectorELNS0_4arch9wavefront6targetE0EEEvT1_
		.amdhsa_group_segment_fixed_size 0
		.amdhsa_private_segment_fixed_size 0
		.amdhsa_kernarg_size 64
		.amdhsa_user_sgpr_count 2
		.amdhsa_user_sgpr_dispatch_ptr 0
		.amdhsa_user_sgpr_queue_ptr 0
		.amdhsa_user_sgpr_kernarg_segment_ptr 1
		.amdhsa_user_sgpr_dispatch_id 0
		.amdhsa_user_sgpr_kernarg_preload_length 0
		.amdhsa_user_sgpr_kernarg_preload_offset 0
		.amdhsa_user_sgpr_private_segment_size 0
		.amdhsa_wavefront_size32 1
		.amdhsa_uses_dynamic_stack 0
		.amdhsa_enable_private_segment 0
		.amdhsa_system_sgpr_workgroup_id_x 1
		.amdhsa_system_sgpr_workgroup_id_y 0
		.amdhsa_system_sgpr_workgroup_id_z 0
		.amdhsa_system_sgpr_workgroup_info 0
		.amdhsa_system_vgpr_workitem_id 0
		.amdhsa_next_free_vgpr 1
		.amdhsa_next_free_sgpr 1
		.amdhsa_named_barrier_count 0
		.amdhsa_reserve_vcc 0
		.amdhsa_float_round_mode_32 0
		.amdhsa_float_round_mode_16_64 0
		.amdhsa_float_denorm_mode_32 3
		.amdhsa_float_denorm_mode_16_64 3
		.amdhsa_fp16_overflow 0
		.amdhsa_memory_ordered 1
		.amdhsa_forward_progress 1
		.amdhsa_inst_pref_size 0
		.amdhsa_round_robin_scheduling 0
		.amdhsa_exception_fp_ieee_invalid_op 0
		.amdhsa_exception_fp_denorm_src 0
		.amdhsa_exception_fp_ieee_div_zero 0
		.amdhsa_exception_fp_ieee_overflow 0
		.amdhsa_exception_fp_ieee_underflow 0
		.amdhsa_exception_fp_ieee_inexact 0
		.amdhsa_exception_int_div_zero 0
	.end_amdhsa_kernel
	.section	.text._ZN7rocprim17ROCPRIM_400000_NS6detail17trampoline_kernelINS0_14default_configENS1_35adjacent_difference_config_selectorILb0ElEEZNS1_24adjacent_difference_implIS3_Lb0ELb0EPlS7_ZN2at6native12_GLOBAL__N_124unique_dim_cuda_templateIdEESt5tupleIJNS8_6TensorESD_SD_EERKSD_lbbbEUlllE1_EE10hipError_tPvRmT2_T3_mT4_P12ihipStream_tbEUlT_E_NS1_11comp_targetILNS1_3genE8ELNS1_11target_archE1030ELNS1_3gpuE2ELNS1_3repE0EEENS1_30default_config_static_selectorELNS0_4arch9wavefront6targetE0EEEvT1_,"axG",@progbits,_ZN7rocprim17ROCPRIM_400000_NS6detail17trampoline_kernelINS0_14default_configENS1_35adjacent_difference_config_selectorILb0ElEEZNS1_24adjacent_difference_implIS3_Lb0ELb0EPlS7_ZN2at6native12_GLOBAL__N_124unique_dim_cuda_templateIdEESt5tupleIJNS8_6TensorESD_SD_EERKSD_lbbbEUlllE1_EE10hipError_tPvRmT2_T3_mT4_P12ihipStream_tbEUlT_E_NS1_11comp_targetILNS1_3genE8ELNS1_11target_archE1030ELNS1_3gpuE2ELNS1_3repE0EEENS1_30default_config_static_selectorELNS0_4arch9wavefront6targetE0EEEvT1_,comdat
.Lfunc_end789:
	.size	_ZN7rocprim17ROCPRIM_400000_NS6detail17trampoline_kernelINS0_14default_configENS1_35adjacent_difference_config_selectorILb0ElEEZNS1_24adjacent_difference_implIS3_Lb0ELb0EPlS7_ZN2at6native12_GLOBAL__N_124unique_dim_cuda_templateIdEESt5tupleIJNS8_6TensorESD_SD_EERKSD_lbbbEUlllE1_EE10hipError_tPvRmT2_T3_mT4_P12ihipStream_tbEUlT_E_NS1_11comp_targetILNS1_3genE8ELNS1_11target_archE1030ELNS1_3gpuE2ELNS1_3repE0EEENS1_30default_config_static_selectorELNS0_4arch9wavefront6targetE0EEEvT1_, .Lfunc_end789-_ZN7rocprim17ROCPRIM_400000_NS6detail17trampoline_kernelINS0_14default_configENS1_35adjacent_difference_config_selectorILb0ElEEZNS1_24adjacent_difference_implIS3_Lb0ELb0EPlS7_ZN2at6native12_GLOBAL__N_124unique_dim_cuda_templateIdEESt5tupleIJNS8_6TensorESD_SD_EERKSD_lbbbEUlllE1_EE10hipError_tPvRmT2_T3_mT4_P12ihipStream_tbEUlT_E_NS1_11comp_targetILNS1_3genE8ELNS1_11target_archE1030ELNS1_3gpuE2ELNS1_3repE0EEENS1_30default_config_static_selectorELNS0_4arch9wavefront6targetE0EEEvT1_
                                        ; -- End function
	.set _ZN7rocprim17ROCPRIM_400000_NS6detail17trampoline_kernelINS0_14default_configENS1_35adjacent_difference_config_selectorILb0ElEEZNS1_24adjacent_difference_implIS3_Lb0ELb0EPlS7_ZN2at6native12_GLOBAL__N_124unique_dim_cuda_templateIdEESt5tupleIJNS8_6TensorESD_SD_EERKSD_lbbbEUlllE1_EE10hipError_tPvRmT2_T3_mT4_P12ihipStream_tbEUlT_E_NS1_11comp_targetILNS1_3genE8ELNS1_11target_archE1030ELNS1_3gpuE2ELNS1_3repE0EEENS1_30default_config_static_selectorELNS0_4arch9wavefront6targetE0EEEvT1_.num_vgpr, 0
	.set _ZN7rocprim17ROCPRIM_400000_NS6detail17trampoline_kernelINS0_14default_configENS1_35adjacent_difference_config_selectorILb0ElEEZNS1_24adjacent_difference_implIS3_Lb0ELb0EPlS7_ZN2at6native12_GLOBAL__N_124unique_dim_cuda_templateIdEESt5tupleIJNS8_6TensorESD_SD_EERKSD_lbbbEUlllE1_EE10hipError_tPvRmT2_T3_mT4_P12ihipStream_tbEUlT_E_NS1_11comp_targetILNS1_3genE8ELNS1_11target_archE1030ELNS1_3gpuE2ELNS1_3repE0EEENS1_30default_config_static_selectorELNS0_4arch9wavefront6targetE0EEEvT1_.num_agpr, 0
	.set _ZN7rocprim17ROCPRIM_400000_NS6detail17trampoline_kernelINS0_14default_configENS1_35adjacent_difference_config_selectorILb0ElEEZNS1_24adjacent_difference_implIS3_Lb0ELb0EPlS7_ZN2at6native12_GLOBAL__N_124unique_dim_cuda_templateIdEESt5tupleIJNS8_6TensorESD_SD_EERKSD_lbbbEUlllE1_EE10hipError_tPvRmT2_T3_mT4_P12ihipStream_tbEUlT_E_NS1_11comp_targetILNS1_3genE8ELNS1_11target_archE1030ELNS1_3gpuE2ELNS1_3repE0EEENS1_30default_config_static_selectorELNS0_4arch9wavefront6targetE0EEEvT1_.numbered_sgpr, 0
	.set _ZN7rocprim17ROCPRIM_400000_NS6detail17trampoline_kernelINS0_14default_configENS1_35adjacent_difference_config_selectorILb0ElEEZNS1_24adjacent_difference_implIS3_Lb0ELb0EPlS7_ZN2at6native12_GLOBAL__N_124unique_dim_cuda_templateIdEESt5tupleIJNS8_6TensorESD_SD_EERKSD_lbbbEUlllE1_EE10hipError_tPvRmT2_T3_mT4_P12ihipStream_tbEUlT_E_NS1_11comp_targetILNS1_3genE8ELNS1_11target_archE1030ELNS1_3gpuE2ELNS1_3repE0EEENS1_30default_config_static_selectorELNS0_4arch9wavefront6targetE0EEEvT1_.num_named_barrier, 0
	.set _ZN7rocprim17ROCPRIM_400000_NS6detail17trampoline_kernelINS0_14default_configENS1_35adjacent_difference_config_selectorILb0ElEEZNS1_24adjacent_difference_implIS3_Lb0ELb0EPlS7_ZN2at6native12_GLOBAL__N_124unique_dim_cuda_templateIdEESt5tupleIJNS8_6TensorESD_SD_EERKSD_lbbbEUlllE1_EE10hipError_tPvRmT2_T3_mT4_P12ihipStream_tbEUlT_E_NS1_11comp_targetILNS1_3genE8ELNS1_11target_archE1030ELNS1_3gpuE2ELNS1_3repE0EEENS1_30default_config_static_selectorELNS0_4arch9wavefront6targetE0EEEvT1_.private_seg_size, 0
	.set _ZN7rocprim17ROCPRIM_400000_NS6detail17trampoline_kernelINS0_14default_configENS1_35adjacent_difference_config_selectorILb0ElEEZNS1_24adjacent_difference_implIS3_Lb0ELb0EPlS7_ZN2at6native12_GLOBAL__N_124unique_dim_cuda_templateIdEESt5tupleIJNS8_6TensorESD_SD_EERKSD_lbbbEUlllE1_EE10hipError_tPvRmT2_T3_mT4_P12ihipStream_tbEUlT_E_NS1_11comp_targetILNS1_3genE8ELNS1_11target_archE1030ELNS1_3gpuE2ELNS1_3repE0EEENS1_30default_config_static_selectorELNS0_4arch9wavefront6targetE0EEEvT1_.uses_vcc, 0
	.set _ZN7rocprim17ROCPRIM_400000_NS6detail17trampoline_kernelINS0_14default_configENS1_35adjacent_difference_config_selectorILb0ElEEZNS1_24adjacent_difference_implIS3_Lb0ELb0EPlS7_ZN2at6native12_GLOBAL__N_124unique_dim_cuda_templateIdEESt5tupleIJNS8_6TensorESD_SD_EERKSD_lbbbEUlllE1_EE10hipError_tPvRmT2_T3_mT4_P12ihipStream_tbEUlT_E_NS1_11comp_targetILNS1_3genE8ELNS1_11target_archE1030ELNS1_3gpuE2ELNS1_3repE0EEENS1_30default_config_static_selectorELNS0_4arch9wavefront6targetE0EEEvT1_.uses_flat_scratch, 0
	.set _ZN7rocprim17ROCPRIM_400000_NS6detail17trampoline_kernelINS0_14default_configENS1_35adjacent_difference_config_selectorILb0ElEEZNS1_24adjacent_difference_implIS3_Lb0ELb0EPlS7_ZN2at6native12_GLOBAL__N_124unique_dim_cuda_templateIdEESt5tupleIJNS8_6TensorESD_SD_EERKSD_lbbbEUlllE1_EE10hipError_tPvRmT2_T3_mT4_P12ihipStream_tbEUlT_E_NS1_11comp_targetILNS1_3genE8ELNS1_11target_archE1030ELNS1_3gpuE2ELNS1_3repE0EEENS1_30default_config_static_selectorELNS0_4arch9wavefront6targetE0EEEvT1_.has_dyn_sized_stack, 0
	.set _ZN7rocprim17ROCPRIM_400000_NS6detail17trampoline_kernelINS0_14default_configENS1_35adjacent_difference_config_selectorILb0ElEEZNS1_24adjacent_difference_implIS3_Lb0ELb0EPlS7_ZN2at6native12_GLOBAL__N_124unique_dim_cuda_templateIdEESt5tupleIJNS8_6TensorESD_SD_EERKSD_lbbbEUlllE1_EE10hipError_tPvRmT2_T3_mT4_P12ihipStream_tbEUlT_E_NS1_11comp_targetILNS1_3genE8ELNS1_11target_archE1030ELNS1_3gpuE2ELNS1_3repE0EEENS1_30default_config_static_selectorELNS0_4arch9wavefront6targetE0EEEvT1_.has_recursion, 0
	.set _ZN7rocprim17ROCPRIM_400000_NS6detail17trampoline_kernelINS0_14default_configENS1_35adjacent_difference_config_selectorILb0ElEEZNS1_24adjacent_difference_implIS3_Lb0ELb0EPlS7_ZN2at6native12_GLOBAL__N_124unique_dim_cuda_templateIdEESt5tupleIJNS8_6TensorESD_SD_EERKSD_lbbbEUlllE1_EE10hipError_tPvRmT2_T3_mT4_P12ihipStream_tbEUlT_E_NS1_11comp_targetILNS1_3genE8ELNS1_11target_archE1030ELNS1_3gpuE2ELNS1_3repE0EEENS1_30default_config_static_selectorELNS0_4arch9wavefront6targetE0EEEvT1_.has_indirect_call, 0
	.section	.AMDGPU.csdata,"",@progbits
; Kernel info:
; codeLenInByte = 0
; TotalNumSgprs: 0
; NumVgprs: 0
; ScratchSize: 0
; MemoryBound: 0
; FloatMode: 240
; IeeeMode: 1
; LDSByteSize: 0 bytes/workgroup (compile time only)
; SGPRBlocks: 0
; VGPRBlocks: 0
; NumSGPRsForWavesPerEU: 1
; NumVGPRsForWavesPerEU: 1
; NamedBarCnt: 0
; Occupancy: 16
; WaveLimiterHint : 0
; COMPUTE_PGM_RSRC2:SCRATCH_EN: 0
; COMPUTE_PGM_RSRC2:USER_SGPR: 2
; COMPUTE_PGM_RSRC2:TRAP_HANDLER: 0
; COMPUTE_PGM_RSRC2:TGID_X_EN: 1
; COMPUTE_PGM_RSRC2:TGID_Y_EN: 0
; COMPUTE_PGM_RSRC2:TGID_Z_EN: 0
; COMPUTE_PGM_RSRC2:TIDIG_COMP_CNT: 0
	.section	.text._ZN7rocprim17ROCPRIM_400000_NS6detail17trampoline_kernelINS0_14default_configENS1_25transform_config_selectorIlLb0EEEZNS1_14transform_implILb0ES3_S5_NS0_18transform_iteratorINS0_17counting_iteratorImlEEZNS1_24adjacent_difference_implIS3_Lb1ELb0EPlSB_ZN2at6native12_GLOBAL__N_124unique_dim_cuda_templateIdEESt5tupleIJNSC_6TensorESH_SH_EERKSH_lbbbEUlllE1_EE10hipError_tPvRmT2_T3_mT4_P12ihipStream_tbEUlmE_lEESB_NS0_8identityIvEEEESM_SP_SQ_mSR_ST_bEUlT_E_NS1_11comp_targetILNS1_3genE0ELNS1_11target_archE4294967295ELNS1_3gpuE0ELNS1_3repE0EEENS1_30default_config_static_selectorELNS0_4arch9wavefront6targetE0EEEvT1_,"axG",@progbits,_ZN7rocprim17ROCPRIM_400000_NS6detail17trampoline_kernelINS0_14default_configENS1_25transform_config_selectorIlLb0EEEZNS1_14transform_implILb0ES3_S5_NS0_18transform_iteratorINS0_17counting_iteratorImlEEZNS1_24adjacent_difference_implIS3_Lb1ELb0EPlSB_ZN2at6native12_GLOBAL__N_124unique_dim_cuda_templateIdEESt5tupleIJNSC_6TensorESH_SH_EERKSH_lbbbEUlllE1_EE10hipError_tPvRmT2_T3_mT4_P12ihipStream_tbEUlmE_lEESB_NS0_8identityIvEEEESM_SP_SQ_mSR_ST_bEUlT_E_NS1_11comp_targetILNS1_3genE0ELNS1_11target_archE4294967295ELNS1_3gpuE0ELNS1_3repE0EEENS1_30default_config_static_selectorELNS0_4arch9wavefront6targetE0EEEvT1_,comdat
	.globl	_ZN7rocprim17ROCPRIM_400000_NS6detail17trampoline_kernelINS0_14default_configENS1_25transform_config_selectorIlLb0EEEZNS1_14transform_implILb0ES3_S5_NS0_18transform_iteratorINS0_17counting_iteratorImlEEZNS1_24adjacent_difference_implIS3_Lb1ELb0EPlSB_ZN2at6native12_GLOBAL__N_124unique_dim_cuda_templateIdEESt5tupleIJNSC_6TensorESH_SH_EERKSH_lbbbEUlllE1_EE10hipError_tPvRmT2_T3_mT4_P12ihipStream_tbEUlmE_lEESB_NS0_8identityIvEEEESM_SP_SQ_mSR_ST_bEUlT_E_NS1_11comp_targetILNS1_3genE0ELNS1_11target_archE4294967295ELNS1_3gpuE0ELNS1_3repE0EEENS1_30default_config_static_selectorELNS0_4arch9wavefront6targetE0EEEvT1_ ; -- Begin function _ZN7rocprim17ROCPRIM_400000_NS6detail17trampoline_kernelINS0_14default_configENS1_25transform_config_selectorIlLb0EEEZNS1_14transform_implILb0ES3_S5_NS0_18transform_iteratorINS0_17counting_iteratorImlEEZNS1_24adjacent_difference_implIS3_Lb1ELb0EPlSB_ZN2at6native12_GLOBAL__N_124unique_dim_cuda_templateIdEESt5tupleIJNSC_6TensorESH_SH_EERKSH_lbbbEUlllE1_EE10hipError_tPvRmT2_T3_mT4_P12ihipStream_tbEUlmE_lEESB_NS0_8identityIvEEEESM_SP_SQ_mSR_ST_bEUlT_E_NS1_11comp_targetILNS1_3genE0ELNS1_11target_archE4294967295ELNS1_3gpuE0ELNS1_3repE0EEENS1_30default_config_static_selectorELNS0_4arch9wavefront6targetE0EEEvT1_
	.p2align	8
	.type	_ZN7rocprim17ROCPRIM_400000_NS6detail17trampoline_kernelINS0_14default_configENS1_25transform_config_selectorIlLb0EEEZNS1_14transform_implILb0ES3_S5_NS0_18transform_iteratorINS0_17counting_iteratorImlEEZNS1_24adjacent_difference_implIS3_Lb1ELb0EPlSB_ZN2at6native12_GLOBAL__N_124unique_dim_cuda_templateIdEESt5tupleIJNSC_6TensorESH_SH_EERKSH_lbbbEUlllE1_EE10hipError_tPvRmT2_T3_mT4_P12ihipStream_tbEUlmE_lEESB_NS0_8identityIvEEEESM_SP_SQ_mSR_ST_bEUlT_E_NS1_11comp_targetILNS1_3genE0ELNS1_11target_archE4294967295ELNS1_3gpuE0ELNS1_3repE0EEENS1_30default_config_static_selectorELNS0_4arch9wavefront6targetE0EEEvT1_,@function
_ZN7rocprim17ROCPRIM_400000_NS6detail17trampoline_kernelINS0_14default_configENS1_25transform_config_selectorIlLb0EEEZNS1_14transform_implILb0ES3_S5_NS0_18transform_iteratorINS0_17counting_iteratorImlEEZNS1_24adjacent_difference_implIS3_Lb1ELb0EPlSB_ZN2at6native12_GLOBAL__N_124unique_dim_cuda_templateIdEESt5tupleIJNSC_6TensorESH_SH_EERKSH_lbbbEUlllE1_EE10hipError_tPvRmT2_T3_mT4_P12ihipStream_tbEUlmE_lEESB_NS0_8identityIvEEEESM_SP_SQ_mSR_ST_bEUlT_E_NS1_11comp_targetILNS1_3genE0ELNS1_11target_archE4294967295ELNS1_3gpuE0ELNS1_3repE0EEENS1_30default_config_static_selectorELNS0_4arch9wavefront6targetE0EEEvT1_: ; @_ZN7rocprim17ROCPRIM_400000_NS6detail17trampoline_kernelINS0_14default_configENS1_25transform_config_selectorIlLb0EEEZNS1_14transform_implILb0ES3_S5_NS0_18transform_iteratorINS0_17counting_iteratorImlEEZNS1_24adjacent_difference_implIS3_Lb1ELb0EPlSB_ZN2at6native12_GLOBAL__N_124unique_dim_cuda_templateIdEESt5tupleIJNSC_6TensorESH_SH_EERKSH_lbbbEUlllE1_EE10hipError_tPvRmT2_T3_mT4_P12ihipStream_tbEUlmE_lEESB_NS0_8identityIvEEEESM_SP_SQ_mSR_ST_bEUlT_E_NS1_11comp_targetILNS1_3genE0ELNS1_11target_archE4294967295ELNS1_3gpuE0ELNS1_3repE0EEENS1_30default_config_static_selectorELNS0_4arch9wavefront6targetE0EEEvT1_
; %bb.0:
	s_clause 0x1
	s_load_b32 s2, s[0:1], 0x38
	s_load_b32 s3, s[0:1], 0x20
	s_bfe_u32 s4, ttmp6, 0x4000c
	s_and_b32 s5, ttmp6, 15
	s_add_co_i32 s4, s4, 1
	s_getreg_b32 s6, hwreg(HW_REG_IB_STS2, 6, 4)
	s_mul_i32 s4, ttmp9, s4
	s_delay_alu instid0(SALU_CYCLE_1)
	s_add_co_i32 s5, s5, s4
	s_cmp_eq_u32 s6, 0
	s_cselect_b32 s4, ttmp9, s5
	s_wait_kmcnt 0x0
	s_add_co_i32 s5, s2, -1
	s_lshl_b32 s2, s4, 7
	s_cmp_lg_u32 s4, s5
	s_cselect_b32 s4, -1, 0
	s_sub_co_i32 s3, s3, s2
	s_delay_alu instid0(SALU_CYCLE_1) | instskip(SKIP_2) | instid1(SALU_CYCLE_1)
	v_cmp_gt_u32_e32 vcc_lo, s3, v0
	s_mov_b32 s3, 0
	s_or_b32 s4, s4, vcc_lo
	s_and_saveexec_b32 s5, s4
	s_cbranch_execz .LBB790_2
; %bb.1:
	s_clause 0x3
	s_load_b64 s[8:9], s[0:1], 0x18
	s_load_b128 s[4:7], s[0:1], 0x0
	s_load_b32 s10, s[0:1], 0x10
	s_load_b64 s[12:13], s[0:1], 0x28
	v_mov_b32_e32 v1, 0
	s_mov_b32 s11, s3
	s_wait_kmcnt 0x0
	s_add_nc_u64 s[0:1], s[4:5], s[8:9]
	s_delay_alu instid0(SALU_CYCLE_1) | instskip(SKIP_3) | instid1(SALU_CYCLE_1)
	s_add_nc_u64 s[0:1], s[0:1], s[2:3]
	s_lshl_b64 s[2:3], s[2:3], 3
	v_add_nc_u64_e32 v[2:3], s[0:1], v[0:1]
	s_lshl_b64 s[0:1], s[8:9], 3
	s_add_nc_u64 s[0:1], s[12:13], s[0:1]
	s_delay_alu instid0(SALU_CYCLE_1) | instskip(NEXT) | instid1(VALU_DEP_1)
	s_add_nc_u64 s[0:1], s[0:1], s[2:3]
	v_mul_u64_e32 v[2:3], s[10:11], v[2:3]
	s_delay_alu instid0(VALU_DEP_1)
	v_lshl_add_u64 v[2:3], v[2:3], 3, s[6:7]
	global_load_b64 v[2:3], v[2:3], off
	s_wait_loadcnt 0x0
	global_store_b64 v0, v[2:3], s[0:1] scale_offset
.LBB790_2:
	s_endpgm
	.section	.rodata,"a",@progbits
	.p2align	6, 0x0
	.amdhsa_kernel _ZN7rocprim17ROCPRIM_400000_NS6detail17trampoline_kernelINS0_14default_configENS1_25transform_config_selectorIlLb0EEEZNS1_14transform_implILb0ES3_S5_NS0_18transform_iteratorINS0_17counting_iteratorImlEEZNS1_24adjacent_difference_implIS3_Lb1ELb0EPlSB_ZN2at6native12_GLOBAL__N_124unique_dim_cuda_templateIdEESt5tupleIJNSC_6TensorESH_SH_EERKSH_lbbbEUlllE1_EE10hipError_tPvRmT2_T3_mT4_P12ihipStream_tbEUlmE_lEESB_NS0_8identityIvEEEESM_SP_SQ_mSR_ST_bEUlT_E_NS1_11comp_targetILNS1_3genE0ELNS1_11target_archE4294967295ELNS1_3gpuE0ELNS1_3repE0EEENS1_30default_config_static_selectorELNS0_4arch9wavefront6targetE0EEEvT1_
		.amdhsa_group_segment_fixed_size 0
		.amdhsa_private_segment_fixed_size 0
		.amdhsa_kernarg_size 312
		.amdhsa_user_sgpr_count 2
		.amdhsa_user_sgpr_dispatch_ptr 0
		.amdhsa_user_sgpr_queue_ptr 0
		.amdhsa_user_sgpr_kernarg_segment_ptr 1
		.amdhsa_user_sgpr_dispatch_id 0
		.amdhsa_user_sgpr_kernarg_preload_length 0
		.amdhsa_user_sgpr_kernarg_preload_offset 0
		.amdhsa_user_sgpr_private_segment_size 0
		.amdhsa_wavefront_size32 1
		.amdhsa_uses_dynamic_stack 0
		.amdhsa_enable_private_segment 0
		.amdhsa_system_sgpr_workgroup_id_x 1
		.amdhsa_system_sgpr_workgroup_id_y 0
		.amdhsa_system_sgpr_workgroup_id_z 0
		.amdhsa_system_sgpr_workgroup_info 0
		.amdhsa_system_vgpr_workitem_id 0
		.amdhsa_next_free_vgpr 4
		.amdhsa_next_free_sgpr 14
		.amdhsa_named_barrier_count 0
		.amdhsa_reserve_vcc 1
		.amdhsa_float_round_mode_32 0
		.amdhsa_float_round_mode_16_64 0
		.amdhsa_float_denorm_mode_32 3
		.amdhsa_float_denorm_mode_16_64 3
		.amdhsa_fp16_overflow 0
		.amdhsa_memory_ordered 1
		.amdhsa_forward_progress 1
		.amdhsa_inst_pref_size 2
		.amdhsa_round_robin_scheduling 0
		.amdhsa_exception_fp_ieee_invalid_op 0
		.amdhsa_exception_fp_denorm_src 0
		.amdhsa_exception_fp_ieee_div_zero 0
		.amdhsa_exception_fp_ieee_overflow 0
		.amdhsa_exception_fp_ieee_underflow 0
		.amdhsa_exception_fp_ieee_inexact 0
		.amdhsa_exception_int_div_zero 0
	.end_amdhsa_kernel
	.section	.text._ZN7rocprim17ROCPRIM_400000_NS6detail17trampoline_kernelINS0_14default_configENS1_25transform_config_selectorIlLb0EEEZNS1_14transform_implILb0ES3_S5_NS0_18transform_iteratorINS0_17counting_iteratorImlEEZNS1_24adjacent_difference_implIS3_Lb1ELb0EPlSB_ZN2at6native12_GLOBAL__N_124unique_dim_cuda_templateIdEESt5tupleIJNSC_6TensorESH_SH_EERKSH_lbbbEUlllE1_EE10hipError_tPvRmT2_T3_mT4_P12ihipStream_tbEUlmE_lEESB_NS0_8identityIvEEEESM_SP_SQ_mSR_ST_bEUlT_E_NS1_11comp_targetILNS1_3genE0ELNS1_11target_archE4294967295ELNS1_3gpuE0ELNS1_3repE0EEENS1_30default_config_static_selectorELNS0_4arch9wavefront6targetE0EEEvT1_,"axG",@progbits,_ZN7rocprim17ROCPRIM_400000_NS6detail17trampoline_kernelINS0_14default_configENS1_25transform_config_selectorIlLb0EEEZNS1_14transform_implILb0ES3_S5_NS0_18transform_iteratorINS0_17counting_iteratorImlEEZNS1_24adjacent_difference_implIS3_Lb1ELb0EPlSB_ZN2at6native12_GLOBAL__N_124unique_dim_cuda_templateIdEESt5tupleIJNSC_6TensorESH_SH_EERKSH_lbbbEUlllE1_EE10hipError_tPvRmT2_T3_mT4_P12ihipStream_tbEUlmE_lEESB_NS0_8identityIvEEEESM_SP_SQ_mSR_ST_bEUlT_E_NS1_11comp_targetILNS1_3genE0ELNS1_11target_archE4294967295ELNS1_3gpuE0ELNS1_3repE0EEENS1_30default_config_static_selectorELNS0_4arch9wavefront6targetE0EEEvT1_,comdat
.Lfunc_end790:
	.size	_ZN7rocprim17ROCPRIM_400000_NS6detail17trampoline_kernelINS0_14default_configENS1_25transform_config_selectorIlLb0EEEZNS1_14transform_implILb0ES3_S5_NS0_18transform_iteratorINS0_17counting_iteratorImlEEZNS1_24adjacent_difference_implIS3_Lb1ELb0EPlSB_ZN2at6native12_GLOBAL__N_124unique_dim_cuda_templateIdEESt5tupleIJNSC_6TensorESH_SH_EERKSH_lbbbEUlllE1_EE10hipError_tPvRmT2_T3_mT4_P12ihipStream_tbEUlmE_lEESB_NS0_8identityIvEEEESM_SP_SQ_mSR_ST_bEUlT_E_NS1_11comp_targetILNS1_3genE0ELNS1_11target_archE4294967295ELNS1_3gpuE0ELNS1_3repE0EEENS1_30default_config_static_selectorELNS0_4arch9wavefront6targetE0EEEvT1_, .Lfunc_end790-_ZN7rocprim17ROCPRIM_400000_NS6detail17trampoline_kernelINS0_14default_configENS1_25transform_config_selectorIlLb0EEEZNS1_14transform_implILb0ES3_S5_NS0_18transform_iteratorINS0_17counting_iteratorImlEEZNS1_24adjacent_difference_implIS3_Lb1ELb0EPlSB_ZN2at6native12_GLOBAL__N_124unique_dim_cuda_templateIdEESt5tupleIJNSC_6TensorESH_SH_EERKSH_lbbbEUlllE1_EE10hipError_tPvRmT2_T3_mT4_P12ihipStream_tbEUlmE_lEESB_NS0_8identityIvEEEESM_SP_SQ_mSR_ST_bEUlT_E_NS1_11comp_targetILNS1_3genE0ELNS1_11target_archE4294967295ELNS1_3gpuE0ELNS1_3repE0EEENS1_30default_config_static_selectorELNS0_4arch9wavefront6targetE0EEEvT1_
                                        ; -- End function
	.set _ZN7rocprim17ROCPRIM_400000_NS6detail17trampoline_kernelINS0_14default_configENS1_25transform_config_selectorIlLb0EEEZNS1_14transform_implILb0ES3_S5_NS0_18transform_iteratorINS0_17counting_iteratorImlEEZNS1_24adjacent_difference_implIS3_Lb1ELb0EPlSB_ZN2at6native12_GLOBAL__N_124unique_dim_cuda_templateIdEESt5tupleIJNSC_6TensorESH_SH_EERKSH_lbbbEUlllE1_EE10hipError_tPvRmT2_T3_mT4_P12ihipStream_tbEUlmE_lEESB_NS0_8identityIvEEEESM_SP_SQ_mSR_ST_bEUlT_E_NS1_11comp_targetILNS1_3genE0ELNS1_11target_archE4294967295ELNS1_3gpuE0ELNS1_3repE0EEENS1_30default_config_static_selectorELNS0_4arch9wavefront6targetE0EEEvT1_.num_vgpr, 4
	.set _ZN7rocprim17ROCPRIM_400000_NS6detail17trampoline_kernelINS0_14default_configENS1_25transform_config_selectorIlLb0EEEZNS1_14transform_implILb0ES3_S5_NS0_18transform_iteratorINS0_17counting_iteratorImlEEZNS1_24adjacent_difference_implIS3_Lb1ELb0EPlSB_ZN2at6native12_GLOBAL__N_124unique_dim_cuda_templateIdEESt5tupleIJNSC_6TensorESH_SH_EERKSH_lbbbEUlllE1_EE10hipError_tPvRmT2_T3_mT4_P12ihipStream_tbEUlmE_lEESB_NS0_8identityIvEEEESM_SP_SQ_mSR_ST_bEUlT_E_NS1_11comp_targetILNS1_3genE0ELNS1_11target_archE4294967295ELNS1_3gpuE0ELNS1_3repE0EEENS1_30default_config_static_selectorELNS0_4arch9wavefront6targetE0EEEvT1_.num_agpr, 0
	.set _ZN7rocprim17ROCPRIM_400000_NS6detail17trampoline_kernelINS0_14default_configENS1_25transform_config_selectorIlLb0EEEZNS1_14transform_implILb0ES3_S5_NS0_18transform_iteratorINS0_17counting_iteratorImlEEZNS1_24adjacent_difference_implIS3_Lb1ELb0EPlSB_ZN2at6native12_GLOBAL__N_124unique_dim_cuda_templateIdEESt5tupleIJNSC_6TensorESH_SH_EERKSH_lbbbEUlllE1_EE10hipError_tPvRmT2_T3_mT4_P12ihipStream_tbEUlmE_lEESB_NS0_8identityIvEEEESM_SP_SQ_mSR_ST_bEUlT_E_NS1_11comp_targetILNS1_3genE0ELNS1_11target_archE4294967295ELNS1_3gpuE0ELNS1_3repE0EEENS1_30default_config_static_selectorELNS0_4arch9wavefront6targetE0EEEvT1_.numbered_sgpr, 14
	.set _ZN7rocprim17ROCPRIM_400000_NS6detail17trampoline_kernelINS0_14default_configENS1_25transform_config_selectorIlLb0EEEZNS1_14transform_implILb0ES3_S5_NS0_18transform_iteratorINS0_17counting_iteratorImlEEZNS1_24adjacent_difference_implIS3_Lb1ELb0EPlSB_ZN2at6native12_GLOBAL__N_124unique_dim_cuda_templateIdEESt5tupleIJNSC_6TensorESH_SH_EERKSH_lbbbEUlllE1_EE10hipError_tPvRmT2_T3_mT4_P12ihipStream_tbEUlmE_lEESB_NS0_8identityIvEEEESM_SP_SQ_mSR_ST_bEUlT_E_NS1_11comp_targetILNS1_3genE0ELNS1_11target_archE4294967295ELNS1_3gpuE0ELNS1_3repE0EEENS1_30default_config_static_selectorELNS0_4arch9wavefront6targetE0EEEvT1_.num_named_barrier, 0
	.set _ZN7rocprim17ROCPRIM_400000_NS6detail17trampoline_kernelINS0_14default_configENS1_25transform_config_selectorIlLb0EEEZNS1_14transform_implILb0ES3_S5_NS0_18transform_iteratorINS0_17counting_iteratorImlEEZNS1_24adjacent_difference_implIS3_Lb1ELb0EPlSB_ZN2at6native12_GLOBAL__N_124unique_dim_cuda_templateIdEESt5tupleIJNSC_6TensorESH_SH_EERKSH_lbbbEUlllE1_EE10hipError_tPvRmT2_T3_mT4_P12ihipStream_tbEUlmE_lEESB_NS0_8identityIvEEEESM_SP_SQ_mSR_ST_bEUlT_E_NS1_11comp_targetILNS1_3genE0ELNS1_11target_archE4294967295ELNS1_3gpuE0ELNS1_3repE0EEENS1_30default_config_static_selectorELNS0_4arch9wavefront6targetE0EEEvT1_.private_seg_size, 0
	.set _ZN7rocprim17ROCPRIM_400000_NS6detail17trampoline_kernelINS0_14default_configENS1_25transform_config_selectorIlLb0EEEZNS1_14transform_implILb0ES3_S5_NS0_18transform_iteratorINS0_17counting_iteratorImlEEZNS1_24adjacent_difference_implIS3_Lb1ELb0EPlSB_ZN2at6native12_GLOBAL__N_124unique_dim_cuda_templateIdEESt5tupleIJNSC_6TensorESH_SH_EERKSH_lbbbEUlllE1_EE10hipError_tPvRmT2_T3_mT4_P12ihipStream_tbEUlmE_lEESB_NS0_8identityIvEEEESM_SP_SQ_mSR_ST_bEUlT_E_NS1_11comp_targetILNS1_3genE0ELNS1_11target_archE4294967295ELNS1_3gpuE0ELNS1_3repE0EEENS1_30default_config_static_selectorELNS0_4arch9wavefront6targetE0EEEvT1_.uses_vcc, 1
	.set _ZN7rocprim17ROCPRIM_400000_NS6detail17trampoline_kernelINS0_14default_configENS1_25transform_config_selectorIlLb0EEEZNS1_14transform_implILb0ES3_S5_NS0_18transform_iteratorINS0_17counting_iteratorImlEEZNS1_24adjacent_difference_implIS3_Lb1ELb0EPlSB_ZN2at6native12_GLOBAL__N_124unique_dim_cuda_templateIdEESt5tupleIJNSC_6TensorESH_SH_EERKSH_lbbbEUlllE1_EE10hipError_tPvRmT2_T3_mT4_P12ihipStream_tbEUlmE_lEESB_NS0_8identityIvEEEESM_SP_SQ_mSR_ST_bEUlT_E_NS1_11comp_targetILNS1_3genE0ELNS1_11target_archE4294967295ELNS1_3gpuE0ELNS1_3repE0EEENS1_30default_config_static_selectorELNS0_4arch9wavefront6targetE0EEEvT1_.uses_flat_scratch, 0
	.set _ZN7rocprim17ROCPRIM_400000_NS6detail17trampoline_kernelINS0_14default_configENS1_25transform_config_selectorIlLb0EEEZNS1_14transform_implILb0ES3_S5_NS0_18transform_iteratorINS0_17counting_iteratorImlEEZNS1_24adjacent_difference_implIS3_Lb1ELb0EPlSB_ZN2at6native12_GLOBAL__N_124unique_dim_cuda_templateIdEESt5tupleIJNSC_6TensorESH_SH_EERKSH_lbbbEUlllE1_EE10hipError_tPvRmT2_T3_mT4_P12ihipStream_tbEUlmE_lEESB_NS0_8identityIvEEEESM_SP_SQ_mSR_ST_bEUlT_E_NS1_11comp_targetILNS1_3genE0ELNS1_11target_archE4294967295ELNS1_3gpuE0ELNS1_3repE0EEENS1_30default_config_static_selectorELNS0_4arch9wavefront6targetE0EEEvT1_.has_dyn_sized_stack, 0
	.set _ZN7rocprim17ROCPRIM_400000_NS6detail17trampoline_kernelINS0_14default_configENS1_25transform_config_selectorIlLb0EEEZNS1_14transform_implILb0ES3_S5_NS0_18transform_iteratorINS0_17counting_iteratorImlEEZNS1_24adjacent_difference_implIS3_Lb1ELb0EPlSB_ZN2at6native12_GLOBAL__N_124unique_dim_cuda_templateIdEESt5tupleIJNSC_6TensorESH_SH_EERKSH_lbbbEUlllE1_EE10hipError_tPvRmT2_T3_mT4_P12ihipStream_tbEUlmE_lEESB_NS0_8identityIvEEEESM_SP_SQ_mSR_ST_bEUlT_E_NS1_11comp_targetILNS1_3genE0ELNS1_11target_archE4294967295ELNS1_3gpuE0ELNS1_3repE0EEENS1_30default_config_static_selectorELNS0_4arch9wavefront6targetE0EEEvT1_.has_recursion, 0
	.set _ZN7rocprim17ROCPRIM_400000_NS6detail17trampoline_kernelINS0_14default_configENS1_25transform_config_selectorIlLb0EEEZNS1_14transform_implILb0ES3_S5_NS0_18transform_iteratorINS0_17counting_iteratorImlEEZNS1_24adjacent_difference_implIS3_Lb1ELb0EPlSB_ZN2at6native12_GLOBAL__N_124unique_dim_cuda_templateIdEESt5tupleIJNSC_6TensorESH_SH_EERKSH_lbbbEUlllE1_EE10hipError_tPvRmT2_T3_mT4_P12ihipStream_tbEUlmE_lEESB_NS0_8identityIvEEEESM_SP_SQ_mSR_ST_bEUlT_E_NS1_11comp_targetILNS1_3genE0ELNS1_11target_archE4294967295ELNS1_3gpuE0ELNS1_3repE0EEENS1_30default_config_static_selectorELNS0_4arch9wavefront6targetE0EEEvT1_.has_indirect_call, 0
	.section	.AMDGPU.csdata,"",@progbits
; Kernel info:
; codeLenInByte = 240
; TotalNumSgprs: 16
; NumVgprs: 4
; ScratchSize: 0
; MemoryBound: 0
; FloatMode: 240
; IeeeMode: 1
; LDSByteSize: 0 bytes/workgroup (compile time only)
; SGPRBlocks: 0
; VGPRBlocks: 0
; NumSGPRsForWavesPerEU: 16
; NumVGPRsForWavesPerEU: 4
; NamedBarCnt: 0
; Occupancy: 16
; WaveLimiterHint : 0
; COMPUTE_PGM_RSRC2:SCRATCH_EN: 0
; COMPUTE_PGM_RSRC2:USER_SGPR: 2
; COMPUTE_PGM_RSRC2:TRAP_HANDLER: 0
; COMPUTE_PGM_RSRC2:TGID_X_EN: 1
; COMPUTE_PGM_RSRC2:TGID_Y_EN: 0
; COMPUTE_PGM_RSRC2:TGID_Z_EN: 0
; COMPUTE_PGM_RSRC2:TIDIG_COMP_CNT: 0
	.section	.text._ZN7rocprim17ROCPRIM_400000_NS6detail17trampoline_kernelINS0_14default_configENS1_25transform_config_selectorIlLb0EEEZNS1_14transform_implILb0ES3_S5_NS0_18transform_iteratorINS0_17counting_iteratorImlEEZNS1_24adjacent_difference_implIS3_Lb1ELb0EPlSB_ZN2at6native12_GLOBAL__N_124unique_dim_cuda_templateIdEESt5tupleIJNSC_6TensorESH_SH_EERKSH_lbbbEUlllE1_EE10hipError_tPvRmT2_T3_mT4_P12ihipStream_tbEUlmE_lEESB_NS0_8identityIvEEEESM_SP_SQ_mSR_ST_bEUlT_E_NS1_11comp_targetILNS1_3genE5ELNS1_11target_archE942ELNS1_3gpuE9ELNS1_3repE0EEENS1_30default_config_static_selectorELNS0_4arch9wavefront6targetE0EEEvT1_,"axG",@progbits,_ZN7rocprim17ROCPRIM_400000_NS6detail17trampoline_kernelINS0_14default_configENS1_25transform_config_selectorIlLb0EEEZNS1_14transform_implILb0ES3_S5_NS0_18transform_iteratorINS0_17counting_iteratorImlEEZNS1_24adjacent_difference_implIS3_Lb1ELb0EPlSB_ZN2at6native12_GLOBAL__N_124unique_dim_cuda_templateIdEESt5tupleIJNSC_6TensorESH_SH_EERKSH_lbbbEUlllE1_EE10hipError_tPvRmT2_T3_mT4_P12ihipStream_tbEUlmE_lEESB_NS0_8identityIvEEEESM_SP_SQ_mSR_ST_bEUlT_E_NS1_11comp_targetILNS1_3genE5ELNS1_11target_archE942ELNS1_3gpuE9ELNS1_3repE0EEENS1_30default_config_static_selectorELNS0_4arch9wavefront6targetE0EEEvT1_,comdat
	.globl	_ZN7rocprim17ROCPRIM_400000_NS6detail17trampoline_kernelINS0_14default_configENS1_25transform_config_selectorIlLb0EEEZNS1_14transform_implILb0ES3_S5_NS0_18transform_iteratorINS0_17counting_iteratorImlEEZNS1_24adjacent_difference_implIS3_Lb1ELb0EPlSB_ZN2at6native12_GLOBAL__N_124unique_dim_cuda_templateIdEESt5tupleIJNSC_6TensorESH_SH_EERKSH_lbbbEUlllE1_EE10hipError_tPvRmT2_T3_mT4_P12ihipStream_tbEUlmE_lEESB_NS0_8identityIvEEEESM_SP_SQ_mSR_ST_bEUlT_E_NS1_11comp_targetILNS1_3genE5ELNS1_11target_archE942ELNS1_3gpuE9ELNS1_3repE0EEENS1_30default_config_static_selectorELNS0_4arch9wavefront6targetE0EEEvT1_ ; -- Begin function _ZN7rocprim17ROCPRIM_400000_NS6detail17trampoline_kernelINS0_14default_configENS1_25transform_config_selectorIlLb0EEEZNS1_14transform_implILb0ES3_S5_NS0_18transform_iteratorINS0_17counting_iteratorImlEEZNS1_24adjacent_difference_implIS3_Lb1ELb0EPlSB_ZN2at6native12_GLOBAL__N_124unique_dim_cuda_templateIdEESt5tupleIJNSC_6TensorESH_SH_EERKSH_lbbbEUlllE1_EE10hipError_tPvRmT2_T3_mT4_P12ihipStream_tbEUlmE_lEESB_NS0_8identityIvEEEESM_SP_SQ_mSR_ST_bEUlT_E_NS1_11comp_targetILNS1_3genE5ELNS1_11target_archE942ELNS1_3gpuE9ELNS1_3repE0EEENS1_30default_config_static_selectorELNS0_4arch9wavefront6targetE0EEEvT1_
	.p2align	8
	.type	_ZN7rocprim17ROCPRIM_400000_NS6detail17trampoline_kernelINS0_14default_configENS1_25transform_config_selectorIlLb0EEEZNS1_14transform_implILb0ES3_S5_NS0_18transform_iteratorINS0_17counting_iteratorImlEEZNS1_24adjacent_difference_implIS3_Lb1ELb0EPlSB_ZN2at6native12_GLOBAL__N_124unique_dim_cuda_templateIdEESt5tupleIJNSC_6TensorESH_SH_EERKSH_lbbbEUlllE1_EE10hipError_tPvRmT2_T3_mT4_P12ihipStream_tbEUlmE_lEESB_NS0_8identityIvEEEESM_SP_SQ_mSR_ST_bEUlT_E_NS1_11comp_targetILNS1_3genE5ELNS1_11target_archE942ELNS1_3gpuE9ELNS1_3repE0EEENS1_30default_config_static_selectorELNS0_4arch9wavefront6targetE0EEEvT1_,@function
_ZN7rocprim17ROCPRIM_400000_NS6detail17trampoline_kernelINS0_14default_configENS1_25transform_config_selectorIlLb0EEEZNS1_14transform_implILb0ES3_S5_NS0_18transform_iteratorINS0_17counting_iteratorImlEEZNS1_24adjacent_difference_implIS3_Lb1ELb0EPlSB_ZN2at6native12_GLOBAL__N_124unique_dim_cuda_templateIdEESt5tupleIJNSC_6TensorESH_SH_EERKSH_lbbbEUlllE1_EE10hipError_tPvRmT2_T3_mT4_P12ihipStream_tbEUlmE_lEESB_NS0_8identityIvEEEESM_SP_SQ_mSR_ST_bEUlT_E_NS1_11comp_targetILNS1_3genE5ELNS1_11target_archE942ELNS1_3gpuE9ELNS1_3repE0EEENS1_30default_config_static_selectorELNS0_4arch9wavefront6targetE0EEEvT1_: ; @_ZN7rocprim17ROCPRIM_400000_NS6detail17trampoline_kernelINS0_14default_configENS1_25transform_config_selectorIlLb0EEEZNS1_14transform_implILb0ES3_S5_NS0_18transform_iteratorINS0_17counting_iteratorImlEEZNS1_24adjacent_difference_implIS3_Lb1ELb0EPlSB_ZN2at6native12_GLOBAL__N_124unique_dim_cuda_templateIdEESt5tupleIJNSC_6TensorESH_SH_EERKSH_lbbbEUlllE1_EE10hipError_tPvRmT2_T3_mT4_P12ihipStream_tbEUlmE_lEESB_NS0_8identityIvEEEESM_SP_SQ_mSR_ST_bEUlT_E_NS1_11comp_targetILNS1_3genE5ELNS1_11target_archE942ELNS1_3gpuE9ELNS1_3repE0EEENS1_30default_config_static_selectorELNS0_4arch9wavefront6targetE0EEEvT1_
; %bb.0:
	.section	.rodata,"a",@progbits
	.p2align	6, 0x0
	.amdhsa_kernel _ZN7rocprim17ROCPRIM_400000_NS6detail17trampoline_kernelINS0_14default_configENS1_25transform_config_selectorIlLb0EEEZNS1_14transform_implILb0ES3_S5_NS0_18transform_iteratorINS0_17counting_iteratorImlEEZNS1_24adjacent_difference_implIS3_Lb1ELb0EPlSB_ZN2at6native12_GLOBAL__N_124unique_dim_cuda_templateIdEESt5tupleIJNSC_6TensorESH_SH_EERKSH_lbbbEUlllE1_EE10hipError_tPvRmT2_T3_mT4_P12ihipStream_tbEUlmE_lEESB_NS0_8identityIvEEEESM_SP_SQ_mSR_ST_bEUlT_E_NS1_11comp_targetILNS1_3genE5ELNS1_11target_archE942ELNS1_3gpuE9ELNS1_3repE0EEENS1_30default_config_static_selectorELNS0_4arch9wavefront6targetE0EEEvT1_
		.amdhsa_group_segment_fixed_size 0
		.amdhsa_private_segment_fixed_size 0
		.amdhsa_kernarg_size 56
		.amdhsa_user_sgpr_count 2
		.amdhsa_user_sgpr_dispatch_ptr 0
		.amdhsa_user_sgpr_queue_ptr 0
		.amdhsa_user_sgpr_kernarg_segment_ptr 1
		.amdhsa_user_sgpr_dispatch_id 0
		.amdhsa_user_sgpr_kernarg_preload_length 0
		.amdhsa_user_sgpr_kernarg_preload_offset 0
		.amdhsa_user_sgpr_private_segment_size 0
		.amdhsa_wavefront_size32 1
		.amdhsa_uses_dynamic_stack 0
		.amdhsa_enable_private_segment 0
		.amdhsa_system_sgpr_workgroup_id_x 1
		.amdhsa_system_sgpr_workgroup_id_y 0
		.amdhsa_system_sgpr_workgroup_id_z 0
		.amdhsa_system_sgpr_workgroup_info 0
		.amdhsa_system_vgpr_workitem_id 0
		.amdhsa_next_free_vgpr 1
		.amdhsa_next_free_sgpr 1
		.amdhsa_named_barrier_count 0
		.amdhsa_reserve_vcc 0
		.amdhsa_float_round_mode_32 0
		.amdhsa_float_round_mode_16_64 0
		.amdhsa_float_denorm_mode_32 3
		.amdhsa_float_denorm_mode_16_64 3
		.amdhsa_fp16_overflow 0
		.amdhsa_memory_ordered 1
		.amdhsa_forward_progress 1
		.amdhsa_inst_pref_size 0
		.amdhsa_round_robin_scheduling 0
		.amdhsa_exception_fp_ieee_invalid_op 0
		.amdhsa_exception_fp_denorm_src 0
		.amdhsa_exception_fp_ieee_div_zero 0
		.amdhsa_exception_fp_ieee_overflow 0
		.amdhsa_exception_fp_ieee_underflow 0
		.amdhsa_exception_fp_ieee_inexact 0
		.amdhsa_exception_int_div_zero 0
	.end_amdhsa_kernel
	.section	.text._ZN7rocprim17ROCPRIM_400000_NS6detail17trampoline_kernelINS0_14default_configENS1_25transform_config_selectorIlLb0EEEZNS1_14transform_implILb0ES3_S5_NS0_18transform_iteratorINS0_17counting_iteratorImlEEZNS1_24adjacent_difference_implIS3_Lb1ELb0EPlSB_ZN2at6native12_GLOBAL__N_124unique_dim_cuda_templateIdEESt5tupleIJNSC_6TensorESH_SH_EERKSH_lbbbEUlllE1_EE10hipError_tPvRmT2_T3_mT4_P12ihipStream_tbEUlmE_lEESB_NS0_8identityIvEEEESM_SP_SQ_mSR_ST_bEUlT_E_NS1_11comp_targetILNS1_3genE5ELNS1_11target_archE942ELNS1_3gpuE9ELNS1_3repE0EEENS1_30default_config_static_selectorELNS0_4arch9wavefront6targetE0EEEvT1_,"axG",@progbits,_ZN7rocprim17ROCPRIM_400000_NS6detail17trampoline_kernelINS0_14default_configENS1_25transform_config_selectorIlLb0EEEZNS1_14transform_implILb0ES3_S5_NS0_18transform_iteratorINS0_17counting_iteratorImlEEZNS1_24adjacent_difference_implIS3_Lb1ELb0EPlSB_ZN2at6native12_GLOBAL__N_124unique_dim_cuda_templateIdEESt5tupleIJNSC_6TensorESH_SH_EERKSH_lbbbEUlllE1_EE10hipError_tPvRmT2_T3_mT4_P12ihipStream_tbEUlmE_lEESB_NS0_8identityIvEEEESM_SP_SQ_mSR_ST_bEUlT_E_NS1_11comp_targetILNS1_3genE5ELNS1_11target_archE942ELNS1_3gpuE9ELNS1_3repE0EEENS1_30default_config_static_selectorELNS0_4arch9wavefront6targetE0EEEvT1_,comdat
.Lfunc_end791:
	.size	_ZN7rocprim17ROCPRIM_400000_NS6detail17trampoline_kernelINS0_14default_configENS1_25transform_config_selectorIlLb0EEEZNS1_14transform_implILb0ES3_S5_NS0_18transform_iteratorINS0_17counting_iteratorImlEEZNS1_24adjacent_difference_implIS3_Lb1ELb0EPlSB_ZN2at6native12_GLOBAL__N_124unique_dim_cuda_templateIdEESt5tupleIJNSC_6TensorESH_SH_EERKSH_lbbbEUlllE1_EE10hipError_tPvRmT2_T3_mT4_P12ihipStream_tbEUlmE_lEESB_NS0_8identityIvEEEESM_SP_SQ_mSR_ST_bEUlT_E_NS1_11comp_targetILNS1_3genE5ELNS1_11target_archE942ELNS1_3gpuE9ELNS1_3repE0EEENS1_30default_config_static_selectorELNS0_4arch9wavefront6targetE0EEEvT1_, .Lfunc_end791-_ZN7rocprim17ROCPRIM_400000_NS6detail17trampoline_kernelINS0_14default_configENS1_25transform_config_selectorIlLb0EEEZNS1_14transform_implILb0ES3_S5_NS0_18transform_iteratorINS0_17counting_iteratorImlEEZNS1_24adjacent_difference_implIS3_Lb1ELb0EPlSB_ZN2at6native12_GLOBAL__N_124unique_dim_cuda_templateIdEESt5tupleIJNSC_6TensorESH_SH_EERKSH_lbbbEUlllE1_EE10hipError_tPvRmT2_T3_mT4_P12ihipStream_tbEUlmE_lEESB_NS0_8identityIvEEEESM_SP_SQ_mSR_ST_bEUlT_E_NS1_11comp_targetILNS1_3genE5ELNS1_11target_archE942ELNS1_3gpuE9ELNS1_3repE0EEENS1_30default_config_static_selectorELNS0_4arch9wavefront6targetE0EEEvT1_
                                        ; -- End function
	.set _ZN7rocprim17ROCPRIM_400000_NS6detail17trampoline_kernelINS0_14default_configENS1_25transform_config_selectorIlLb0EEEZNS1_14transform_implILb0ES3_S5_NS0_18transform_iteratorINS0_17counting_iteratorImlEEZNS1_24adjacent_difference_implIS3_Lb1ELb0EPlSB_ZN2at6native12_GLOBAL__N_124unique_dim_cuda_templateIdEESt5tupleIJNSC_6TensorESH_SH_EERKSH_lbbbEUlllE1_EE10hipError_tPvRmT2_T3_mT4_P12ihipStream_tbEUlmE_lEESB_NS0_8identityIvEEEESM_SP_SQ_mSR_ST_bEUlT_E_NS1_11comp_targetILNS1_3genE5ELNS1_11target_archE942ELNS1_3gpuE9ELNS1_3repE0EEENS1_30default_config_static_selectorELNS0_4arch9wavefront6targetE0EEEvT1_.num_vgpr, 0
	.set _ZN7rocprim17ROCPRIM_400000_NS6detail17trampoline_kernelINS0_14default_configENS1_25transform_config_selectorIlLb0EEEZNS1_14transform_implILb0ES3_S5_NS0_18transform_iteratorINS0_17counting_iteratorImlEEZNS1_24adjacent_difference_implIS3_Lb1ELb0EPlSB_ZN2at6native12_GLOBAL__N_124unique_dim_cuda_templateIdEESt5tupleIJNSC_6TensorESH_SH_EERKSH_lbbbEUlllE1_EE10hipError_tPvRmT2_T3_mT4_P12ihipStream_tbEUlmE_lEESB_NS0_8identityIvEEEESM_SP_SQ_mSR_ST_bEUlT_E_NS1_11comp_targetILNS1_3genE5ELNS1_11target_archE942ELNS1_3gpuE9ELNS1_3repE0EEENS1_30default_config_static_selectorELNS0_4arch9wavefront6targetE0EEEvT1_.num_agpr, 0
	.set _ZN7rocprim17ROCPRIM_400000_NS6detail17trampoline_kernelINS0_14default_configENS1_25transform_config_selectorIlLb0EEEZNS1_14transform_implILb0ES3_S5_NS0_18transform_iteratorINS0_17counting_iteratorImlEEZNS1_24adjacent_difference_implIS3_Lb1ELb0EPlSB_ZN2at6native12_GLOBAL__N_124unique_dim_cuda_templateIdEESt5tupleIJNSC_6TensorESH_SH_EERKSH_lbbbEUlllE1_EE10hipError_tPvRmT2_T3_mT4_P12ihipStream_tbEUlmE_lEESB_NS0_8identityIvEEEESM_SP_SQ_mSR_ST_bEUlT_E_NS1_11comp_targetILNS1_3genE5ELNS1_11target_archE942ELNS1_3gpuE9ELNS1_3repE0EEENS1_30default_config_static_selectorELNS0_4arch9wavefront6targetE0EEEvT1_.numbered_sgpr, 0
	.set _ZN7rocprim17ROCPRIM_400000_NS6detail17trampoline_kernelINS0_14default_configENS1_25transform_config_selectorIlLb0EEEZNS1_14transform_implILb0ES3_S5_NS0_18transform_iteratorINS0_17counting_iteratorImlEEZNS1_24adjacent_difference_implIS3_Lb1ELb0EPlSB_ZN2at6native12_GLOBAL__N_124unique_dim_cuda_templateIdEESt5tupleIJNSC_6TensorESH_SH_EERKSH_lbbbEUlllE1_EE10hipError_tPvRmT2_T3_mT4_P12ihipStream_tbEUlmE_lEESB_NS0_8identityIvEEEESM_SP_SQ_mSR_ST_bEUlT_E_NS1_11comp_targetILNS1_3genE5ELNS1_11target_archE942ELNS1_3gpuE9ELNS1_3repE0EEENS1_30default_config_static_selectorELNS0_4arch9wavefront6targetE0EEEvT1_.num_named_barrier, 0
	.set _ZN7rocprim17ROCPRIM_400000_NS6detail17trampoline_kernelINS0_14default_configENS1_25transform_config_selectorIlLb0EEEZNS1_14transform_implILb0ES3_S5_NS0_18transform_iteratorINS0_17counting_iteratorImlEEZNS1_24adjacent_difference_implIS3_Lb1ELb0EPlSB_ZN2at6native12_GLOBAL__N_124unique_dim_cuda_templateIdEESt5tupleIJNSC_6TensorESH_SH_EERKSH_lbbbEUlllE1_EE10hipError_tPvRmT2_T3_mT4_P12ihipStream_tbEUlmE_lEESB_NS0_8identityIvEEEESM_SP_SQ_mSR_ST_bEUlT_E_NS1_11comp_targetILNS1_3genE5ELNS1_11target_archE942ELNS1_3gpuE9ELNS1_3repE0EEENS1_30default_config_static_selectorELNS0_4arch9wavefront6targetE0EEEvT1_.private_seg_size, 0
	.set _ZN7rocprim17ROCPRIM_400000_NS6detail17trampoline_kernelINS0_14default_configENS1_25transform_config_selectorIlLb0EEEZNS1_14transform_implILb0ES3_S5_NS0_18transform_iteratorINS0_17counting_iteratorImlEEZNS1_24adjacent_difference_implIS3_Lb1ELb0EPlSB_ZN2at6native12_GLOBAL__N_124unique_dim_cuda_templateIdEESt5tupleIJNSC_6TensorESH_SH_EERKSH_lbbbEUlllE1_EE10hipError_tPvRmT2_T3_mT4_P12ihipStream_tbEUlmE_lEESB_NS0_8identityIvEEEESM_SP_SQ_mSR_ST_bEUlT_E_NS1_11comp_targetILNS1_3genE5ELNS1_11target_archE942ELNS1_3gpuE9ELNS1_3repE0EEENS1_30default_config_static_selectorELNS0_4arch9wavefront6targetE0EEEvT1_.uses_vcc, 0
	.set _ZN7rocprim17ROCPRIM_400000_NS6detail17trampoline_kernelINS0_14default_configENS1_25transform_config_selectorIlLb0EEEZNS1_14transform_implILb0ES3_S5_NS0_18transform_iteratorINS0_17counting_iteratorImlEEZNS1_24adjacent_difference_implIS3_Lb1ELb0EPlSB_ZN2at6native12_GLOBAL__N_124unique_dim_cuda_templateIdEESt5tupleIJNSC_6TensorESH_SH_EERKSH_lbbbEUlllE1_EE10hipError_tPvRmT2_T3_mT4_P12ihipStream_tbEUlmE_lEESB_NS0_8identityIvEEEESM_SP_SQ_mSR_ST_bEUlT_E_NS1_11comp_targetILNS1_3genE5ELNS1_11target_archE942ELNS1_3gpuE9ELNS1_3repE0EEENS1_30default_config_static_selectorELNS0_4arch9wavefront6targetE0EEEvT1_.uses_flat_scratch, 0
	.set _ZN7rocprim17ROCPRIM_400000_NS6detail17trampoline_kernelINS0_14default_configENS1_25transform_config_selectorIlLb0EEEZNS1_14transform_implILb0ES3_S5_NS0_18transform_iteratorINS0_17counting_iteratorImlEEZNS1_24adjacent_difference_implIS3_Lb1ELb0EPlSB_ZN2at6native12_GLOBAL__N_124unique_dim_cuda_templateIdEESt5tupleIJNSC_6TensorESH_SH_EERKSH_lbbbEUlllE1_EE10hipError_tPvRmT2_T3_mT4_P12ihipStream_tbEUlmE_lEESB_NS0_8identityIvEEEESM_SP_SQ_mSR_ST_bEUlT_E_NS1_11comp_targetILNS1_3genE5ELNS1_11target_archE942ELNS1_3gpuE9ELNS1_3repE0EEENS1_30default_config_static_selectorELNS0_4arch9wavefront6targetE0EEEvT1_.has_dyn_sized_stack, 0
	.set _ZN7rocprim17ROCPRIM_400000_NS6detail17trampoline_kernelINS0_14default_configENS1_25transform_config_selectorIlLb0EEEZNS1_14transform_implILb0ES3_S5_NS0_18transform_iteratorINS0_17counting_iteratorImlEEZNS1_24adjacent_difference_implIS3_Lb1ELb0EPlSB_ZN2at6native12_GLOBAL__N_124unique_dim_cuda_templateIdEESt5tupleIJNSC_6TensorESH_SH_EERKSH_lbbbEUlllE1_EE10hipError_tPvRmT2_T3_mT4_P12ihipStream_tbEUlmE_lEESB_NS0_8identityIvEEEESM_SP_SQ_mSR_ST_bEUlT_E_NS1_11comp_targetILNS1_3genE5ELNS1_11target_archE942ELNS1_3gpuE9ELNS1_3repE0EEENS1_30default_config_static_selectorELNS0_4arch9wavefront6targetE0EEEvT1_.has_recursion, 0
	.set _ZN7rocprim17ROCPRIM_400000_NS6detail17trampoline_kernelINS0_14default_configENS1_25transform_config_selectorIlLb0EEEZNS1_14transform_implILb0ES3_S5_NS0_18transform_iteratorINS0_17counting_iteratorImlEEZNS1_24adjacent_difference_implIS3_Lb1ELb0EPlSB_ZN2at6native12_GLOBAL__N_124unique_dim_cuda_templateIdEESt5tupleIJNSC_6TensorESH_SH_EERKSH_lbbbEUlllE1_EE10hipError_tPvRmT2_T3_mT4_P12ihipStream_tbEUlmE_lEESB_NS0_8identityIvEEEESM_SP_SQ_mSR_ST_bEUlT_E_NS1_11comp_targetILNS1_3genE5ELNS1_11target_archE942ELNS1_3gpuE9ELNS1_3repE0EEENS1_30default_config_static_selectorELNS0_4arch9wavefront6targetE0EEEvT1_.has_indirect_call, 0
	.section	.AMDGPU.csdata,"",@progbits
; Kernel info:
; codeLenInByte = 0
; TotalNumSgprs: 0
; NumVgprs: 0
; ScratchSize: 0
; MemoryBound: 0
; FloatMode: 240
; IeeeMode: 1
; LDSByteSize: 0 bytes/workgroup (compile time only)
; SGPRBlocks: 0
; VGPRBlocks: 0
; NumSGPRsForWavesPerEU: 1
; NumVGPRsForWavesPerEU: 1
; NamedBarCnt: 0
; Occupancy: 16
; WaveLimiterHint : 0
; COMPUTE_PGM_RSRC2:SCRATCH_EN: 0
; COMPUTE_PGM_RSRC2:USER_SGPR: 2
; COMPUTE_PGM_RSRC2:TRAP_HANDLER: 0
; COMPUTE_PGM_RSRC2:TGID_X_EN: 1
; COMPUTE_PGM_RSRC2:TGID_Y_EN: 0
; COMPUTE_PGM_RSRC2:TGID_Z_EN: 0
; COMPUTE_PGM_RSRC2:TIDIG_COMP_CNT: 0
	.section	.text._ZN7rocprim17ROCPRIM_400000_NS6detail17trampoline_kernelINS0_14default_configENS1_25transform_config_selectorIlLb0EEEZNS1_14transform_implILb0ES3_S5_NS0_18transform_iteratorINS0_17counting_iteratorImlEEZNS1_24adjacent_difference_implIS3_Lb1ELb0EPlSB_ZN2at6native12_GLOBAL__N_124unique_dim_cuda_templateIdEESt5tupleIJNSC_6TensorESH_SH_EERKSH_lbbbEUlllE1_EE10hipError_tPvRmT2_T3_mT4_P12ihipStream_tbEUlmE_lEESB_NS0_8identityIvEEEESM_SP_SQ_mSR_ST_bEUlT_E_NS1_11comp_targetILNS1_3genE4ELNS1_11target_archE910ELNS1_3gpuE8ELNS1_3repE0EEENS1_30default_config_static_selectorELNS0_4arch9wavefront6targetE0EEEvT1_,"axG",@progbits,_ZN7rocprim17ROCPRIM_400000_NS6detail17trampoline_kernelINS0_14default_configENS1_25transform_config_selectorIlLb0EEEZNS1_14transform_implILb0ES3_S5_NS0_18transform_iteratorINS0_17counting_iteratorImlEEZNS1_24adjacent_difference_implIS3_Lb1ELb0EPlSB_ZN2at6native12_GLOBAL__N_124unique_dim_cuda_templateIdEESt5tupleIJNSC_6TensorESH_SH_EERKSH_lbbbEUlllE1_EE10hipError_tPvRmT2_T3_mT4_P12ihipStream_tbEUlmE_lEESB_NS0_8identityIvEEEESM_SP_SQ_mSR_ST_bEUlT_E_NS1_11comp_targetILNS1_3genE4ELNS1_11target_archE910ELNS1_3gpuE8ELNS1_3repE0EEENS1_30default_config_static_selectorELNS0_4arch9wavefront6targetE0EEEvT1_,comdat
	.globl	_ZN7rocprim17ROCPRIM_400000_NS6detail17trampoline_kernelINS0_14default_configENS1_25transform_config_selectorIlLb0EEEZNS1_14transform_implILb0ES3_S5_NS0_18transform_iteratorINS0_17counting_iteratorImlEEZNS1_24adjacent_difference_implIS3_Lb1ELb0EPlSB_ZN2at6native12_GLOBAL__N_124unique_dim_cuda_templateIdEESt5tupleIJNSC_6TensorESH_SH_EERKSH_lbbbEUlllE1_EE10hipError_tPvRmT2_T3_mT4_P12ihipStream_tbEUlmE_lEESB_NS0_8identityIvEEEESM_SP_SQ_mSR_ST_bEUlT_E_NS1_11comp_targetILNS1_3genE4ELNS1_11target_archE910ELNS1_3gpuE8ELNS1_3repE0EEENS1_30default_config_static_selectorELNS0_4arch9wavefront6targetE0EEEvT1_ ; -- Begin function _ZN7rocprim17ROCPRIM_400000_NS6detail17trampoline_kernelINS0_14default_configENS1_25transform_config_selectorIlLb0EEEZNS1_14transform_implILb0ES3_S5_NS0_18transform_iteratorINS0_17counting_iteratorImlEEZNS1_24adjacent_difference_implIS3_Lb1ELb0EPlSB_ZN2at6native12_GLOBAL__N_124unique_dim_cuda_templateIdEESt5tupleIJNSC_6TensorESH_SH_EERKSH_lbbbEUlllE1_EE10hipError_tPvRmT2_T3_mT4_P12ihipStream_tbEUlmE_lEESB_NS0_8identityIvEEEESM_SP_SQ_mSR_ST_bEUlT_E_NS1_11comp_targetILNS1_3genE4ELNS1_11target_archE910ELNS1_3gpuE8ELNS1_3repE0EEENS1_30default_config_static_selectorELNS0_4arch9wavefront6targetE0EEEvT1_
	.p2align	8
	.type	_ZN7rocprim17ROCPRIM_400000_NS6detail17trampoline_kernelINS0_14default_configENS1_25transform_config_selectorIlLb0EEEZNS1_14transform_implILb0ES3_S5_NS0_18transform_iteratorINS0_17counting_iteratorImlEEZNS1_24adjacent_difference_implIS3_Lb1ELb0EPlSB_ZN2at6native12_GLOBAL__N_124unique_dim_cuda_templateIdEESt5tupleIJNSC_6TensorESH_SH_EERKSH_lbbbEUlllE1_EE10hipError_tPvRmT2_T3_mT4_P12ihipStream_tbEUlmE_lEESB_NS0_8identityIvEEEESM_SP_SQ_mSR_ST_bEUlT_E_NS1_11comp_targetILNS1_3genE4ELNS1_11target_archE910ELNS1_3gpuE8ELNS1_3repE0EEENS1_30default_config_static_selectorELNS0_4arch9wavefront6targetE0EEEvT1_,@function
_ZN7rocprim17ROCPRIM_400000_NS6detail17trampoline_kernelINS0_14default_configENS1_25transform_config_selectorIlLb0EEEZNS1_14transform_implILb0ES3_S5_NS0_18transform_iteratorINS0_17counting_iteratorImlEEZNS1_24adjacent_difference_implIS3_Lb1ELb0EPlSB_ZN2at6native12_GLOBAL__N_124unique_dim_cuda_templateIdEESt5tupleIJNSC_6TensorESH_SH_EERKSH_lbbbEUlllE1_EE10hipError_tPvRmT2_T3_mT4_P12ihipStream_tbEUlmE_lEESB_NS0_8identityIvEEEESM_SP_SQ_mSR_ST_bEUlT_E_NS1_11comp_targetILNS1_3genE4ELNS1_11target_archE910ELNS1_3gpuE8ELNS1_3repE0EEENS1_30default_config_static_selectorELNS0_4arch9wavefront6targetE0EEEvT1_: ; @_ZN7rocprim17ROCPRIM_400000_NS6detail17trampoline_kernelINS0_14default_configENS1_25transform_config_selectorIlLb0EEEZNS1_14transform_implILb0ES3_S5_NS0_18transform_iteratorINS0_17counting_iteratorImlEEZNS1_24adjacent_difference_implIS3_Lb1ELb0EPlSB_ZN2at6native12_GLOBAL__N_124unique_dim_cuda_templateIdEESt5tupleIJNSC_6TensorESH_SH_EERKSH_lbbbEUlllE1_EE10hipError_tPvRmT2_T3_mT4_P12ihipStream_tbEUlmE_lEESB_NS0_8identityIvEEEESM_SP_SQ_mSR_ST_bEUlT_E_NS1_11comp_targetILNS1_3genE4ELNS1_11target_archE910ELNS1_3gpuE8ELNS1_3repE0EEENS1_30default_config_static_selectorELNS0_4arch9wavefront6targetE0EEEvT1_
; %bb.0:
	.section	.rodata,"a",@progbits
	.p2align	6, 0x0
	.amdhsa_kernel _ZN7rocprim17ROCPRIM_400000_NS6detail17trampoline_kernelINS0_14default_configENS1_25transform_config_selectorIlLb0EEEZNS1_14transform_implILb0ES3_S5_NS0_18transform_iteratorINS0_17counting_iteratorImlEEZNS1_24adjacent_difference_implIS3_Lb1ELb0EPlSB_ZN2at6native12_GLOBAL__N_124unique_dim_cuda_templateIdEESt5tupleIJNSC_6TensorESH_SH_EERKSH_lbbbEUlllE1_EE10hipError_tPvRmT2_T3_mT4_P12ihipStream_tbEUlmE_lEESB_NS0_8identityIvEEEESM_SP_SQ_mSR_ST_bEUlT_E_NS1_11comp_targetILNS1_3genE4ELNS1_11target_archE910ELNS1_3gpuE8ELNS1_3repE0EEENS1_30default_config_static_selectorELNS0_4arch9wavefront6targetE0EEEvT1_
		.amdhsa_group_segment_fixed_size 0
		.amdhsa_private_segment_fixed_size 0
		.amdhsa_kernarg_size 56
		.amdhsa_user_sgpr_count 2
		.amdhsa_user_sgpr_dispatch_ptr 0
		.amdhsa_user_sgpr_queue_ptr 0
		.amdhsa_user_sgpr_kernarg_segment_ptr 1
		.amdhsa_user_sgpr_dispatch_id 0
		.amdhsa_user_sgpr_kernarg_preload_length 0
		.amdhsa_user_sgpr_kernarg_preload_offset 0
		.amdhsa_user_sgpr_private_segment_size 0
		.amdhsa_wavefront_size32 1
		.amdhsa_uses_dynamic_stack 0
		.amdhsa_enable_private_segment 0
		.amdhsa_system_sgpr_workgroup_id_x 1
		.amdhsa_system_sgpr_workgroup_id_y 0
		.amdhsa_system_sgpr_workgroup_id_z 0
		.amdhsa_system_sgpr_workgroup_info 0
		.amdhsa_system_vgpr_workitem_id 0
		.amdhsa_next_free_vgpr 1
		.amdhsa_next_free_sgpr 1
		.amdhsa_named_barrier_count 0
		.amdhsa_reserve_vcc 0
		.amdhsa_float_round_mode_32 0
		.amdhsa_float_round_mode_16_64 0
		.amdhsa_float_denorm_mode_32 3
		.amdhsa_float_denorm_mode_16_64 3
		.amdhsa_fp16_overflow 0
		.amdhsa_memory_ordered 1
		.amdhsa_forward_progress 1
		.amdhsa_inst_pref_size 0
		.amdhsa_round_robin_scheduling 0
		.amdhsa_exception_fp_ieee_invalid_op 0
		.amdhsa_exception_fp_denorm_src 0
		.amdhsa_exception_fp_ieee_div_zero 0
		.amdhsa_exception_fp_ieee_overflow 0
		.amdhsa_exception_fp_ieee_underflow 0
		.amdhsa_exception_fp_ieee_inexact 0
		.amdhsa_exception_int_div_zero 0
	.end_amdhsa_kernel
	.section	.text._ZN7rocprim17ROCPRIM_400000_NS6detail17trampoline_kernelINS0_14default_configENS1_25transform_config_selectorIlLb0EEEZNS1_14transform_implILb0ES3_S5_NS0_18transform_iteratorINS0_17counting_iteratorImlEEZNS1_24adjacent_difference_implIS3_Lb1ELb0EPlSB_ZN2at6native12_GLOBAL__N_124unique_dim_cuda_templateIdEESt5tupleIJNSC_6TensorESH_SH_EERKSH_lbbbEUlllE1_EE10hipError_tPvRmT2_T3_mT4_P12ihipStream_tbEUlmE_lEESB_NS0_8identityIvEEEESM_SP_SQ_mSR_ST_bEUlT_E_NS1_11comp_targetILNS1_3genE4ELNS1_11target_archE910ELNS1_3gpuE8ELNS1_3repE0EEENS1_30default_config_static_selectorELNS0_4arch9wavefront6targetE0EEEvT1_,"axG",@progbits,_ZN7rocprim17ROCPRIM_400000_NS6detail17trampoline_kernelINS0_14default_configENS1_25transform_config_selectorIlLb0EEEZNS1_14transform_implILb0ES3_S5_NS0_18transform_iteratorINS0_17counting_iteratorImlEEZNS1_24adjacent_difference_implIS3_Lb1ELb0EPlSB_ZN2at6native12_GLOBAL__N_124unique_dim_cuda_templateIdEESt5tupleIJNSC_6TensorESH_SH_EERKSH_lbbbEUlllE1_EE10hipError_tPvRmT2_T3_mT4_P12ihipStream_tbEUlmE_lEESB_NS0_8identityIvEEEESM_SP_SQ_mSR_ST_bEUlT_E_NS1_11comp_targetILNS1_3genE4ELNS1_11target_archE910ELNS1_3gpuE8ELNS1_3repE0EEENS1_30default_config_static_selectorELNS0_4arch9wavefront6targetE0EEEvT1_,comdat
.Lfunc_end792:
	.size	_ZN7rocprim17ROCPRIM_400000_NS6detail17trampoline_kernelINS0_14default_configENS1_25transform_config_selectorIlLb0EEEZNS1_14transform_implILb0ES3_S5_NS0_18transform_iteratorINS0_17counting_iteratorImlEEZNS1_24adjacent_difference_implIS3_Lb1ELb0EPlSB_ZN2at6native12_GLOBAL__N_124unique_dim_cuda_templateIdEESt5tupleIJNSC_6TensorESH_SH_EERKSH_lbbbEUlllE1_EE10hipError_tPvRmT2_T3_mT4_P12ihipStream_tbEUlmE_lEESB_NS0_8identityIvEEEESM_SP_SQ_mSR_ST_bEUlT_E_NS1_11comp_targetILNS1_3genE4ELNS1_11target_archE910ELNS1_3gpuE8ELNS1_3repE0EEENS1_30default_config_static_selectorELNS0_4arch9wavefront6targetE0EEEvT1_, .Lfunc_end792-_ZN7rocprim17ROCPRIM_400000_NS6detail17trampoline_kernelINS0_14default_configENS1_25transform_config_selectorIlLb0EEEZNS1_14transform_implILb0ES3_S5_NS0_18transform_iteratorINS0_17counting_iteratorImlEEZNS1_24adjacent_difference_implIS3_Lb1ELb0EPlSB_ZN2at6native12_GLOBAL__N_124unique_dim_cuda_templateIdEESt5tupleIJNSC_6TensorESH_SH_EERKSH_lbbbEUlllE1_EE10hipError_tPvRmT2_T3_mT4_P12ihipStream_tbEUlmE_lEESB_NS0_8identityIvEEEESM_SP_SQ_mSR_ST_bEUlT_E_NS1_11comp_targetILNS1_3genE4ELNS1_11target_archE910ELNS1_3gpuE8ELNS1_3repE0EEENS1_30default_config_static_selectorELNS0_4arch9wavefront6targetE0EEEvT1_
                                        ; -- End function
	.set _ZN7rocprim17ROCPRIM_400000_NS6detail17trampoline_kernelINS0_14default_configENS1_25transform_config_selectorIlLb0EEEZNS1_14transform_implILb0ES3_S5_NS0_18transform_iteratorINS0_17counting_iteratorImlEEZNS1_24adjacent_difference_implIS3_Lb1ELb0EPlSB_ZN2at6native12_GLOBAL__N_124unique_dim_cuda_templateIdEESt5tupleIJNSC_6TensorESH_SH_EERKSH_lbbbEUlllE1_EE10hipError_tPvRmT2_T3_mT4_P12ihipStream_tbEUlmE_lEESB_NS0_8identityIvEEEESM_SP_SQ_mSR_ST_bEUlT_E_NS1_11comp_targetILNS1_3genE4ELNS1_11target_archE910ELNS1_3gpuE8ELNS1_3repE0EEENS1_30default_config_static_selectorELNS0_4arch9wavefront6targetE0EEEvT1_.num_vgpr, 0
	.set _ZN7rocprim17ROCPRIM_400000_NS6detail17trampoline_kernelINS0_14default_configENS1_25transform_config_selectorIlLb0EEEZNS1_14transform_implILb0ES3_S5_NS0_18transform_iteratorINS0_17counting_iteratorImlEEZNS1_24adjacent_difference_implIS3_Lb1ELb0EPlSB_ZN2at6native12_GLOBAL__N_124unique_dim_cuda_templateIdEESt5tupleIJNSC_6TensorESH_SH_EERKSH_lbbbEUlllE1_EE10hipError_tPvRmT2_T3_mT4_P12ihipStream_tbEUlmE_lEESB_NS0_8identityIvEEEESM_SP_SQ_mSR_ST_bEUlT_E_NS1_11comp_targetILNS1_3genE4ELNS1_11target_archE910ELNS1_3gpuE8ELNS1_3repE0EEENS1_30default_config_static_selectorELNS0_4arch9wavefront6targetE0EEEvT1_.num_agpr, 0
	.set _ZN7rocprim17ROCPRIM_400000_NS6detail17trampoline_kernelINS0_14default_configENS1_25transform_config_selectorIlLb0EEEZNS1_14transform_implILb0ES3_S5_NS0_18transform_iteratorINS0_17counting_iteratorImlEEZNS1_24adjacent_difference_implIS3_Lb1ELb0EPlSB_ZN2at6native12_GLOBAL__N_124unique_dim_cuda_templateIdEESt5tupleIJNSC_6TensorESH_SH_EERKSH_lbbbEUlllE1_EE10hipError_tPvRmT2_T3_mT4_P12ihipStream_tbEUlmE_lEESB_NS0_8identityIvEEEESM_SP_SQ_mSR_ST_bEUlT_E_NS1_11comp_targetILNS1_3genE4ELNS1_11target_archE910ELNS1_3gpuE8ELNS1_3repE0EEENS1_30default_config_static_selectorELNS0_4arch9wavefront6targetE0EEEvT1_.numbered_sgpr, 0
	.set _ZN7rocprim17ROCPRIM_400000_NS6detail17trampoline_kernelINS0_14default_configENS1_25transform_config_selectorIlLb0EEEZNS1_14transform_implILb0ES3_S5_NS0_18transform_iteratorINS0_17counting_iteratorImlEEZNS1_24adjacent_difference_implIS3_Lb1ELb0EPlSB_ZN2at6native12_GLOBAL__N_124unique_dim_cuda_templateIdEESt5tupleIJNSC_6TensorESH_SH_EERKSH_lbbbEUlllE1_EE10hipError_tPvRmT2_T3_mT4_P12ihipStream_tbEUlmE_lEESB_NS0_8identityIvEEEESM_SP_SQ_mSR_ST_bEUlT_E_NS1_11comp_targetILNS1_3genE4ELNS1_11target_archE910ELNS1_3gpuE8ELNS1_3repE0EEENS1_30default_config_static_selectorELNS0_4arch9wavefront6targetE0EEEvT1_.num_named_barrier, 0
	.set _ZN7rocprim17ROCPRIM_400000_NS6detail17trampoline_kernelINS0_14default_configENS1_25transform_config_selectorIlLb0EEEZNS1_14transform_implILb0ES3_S5_NS0_18transform_iteratorINS0_17counting_iteratorImlEEZNS1_24adjacent_difference_implIS3_Lb1ELb0EPlSB_ZN2at6native12_GLOBAL__N_124unique_dim_cuda_templateIdEESt5tupleIJNSC_6TensorESH_SH_EERKSH_lbbbEUlllE1_EE10hipError_tPvRmT2_T3_mT4_P12ihipStream_tbEUlmE_lEESB_NS0_8identityIvEEEESM_SP_SQ_mSR_ST_bEUlT_E_NS1_11comp_targetILNS1_3genE4ELNS1_11target_archE910ELNS1_3gpuE8ELNS1_3repE0EEENS1_30default_config_static_selectorELNS0_4arch9wavefront6targetE0EEEvT1_.private_seg_size, 0
	.set _ZN7rocprim17ROCPRIM_400000_NS6detail17trampoline_kernelINS0_14default_configENS1_25transform_config_selectorIlLb0EEEZNS1_14transform_implILb0ES3_S5_NS0_18transform_iteratorINS0_17counting_iteratorImlEEZNS1_24adjacent_difference_implIS3_Lb1ELb0EPlSB_ZN2at6native12_GLOBAL__N_124unique_dim_cuda_templateIdEESt5tupleIJNSC_6TensorESH_SH_EERKSH_lbbbEUlllE1_EE10hipError_tPvRmT2_T3_mT4_P12ihipStream_tbEUlmE_lEESB_NS0_8identityIvEEEESM_SP_SQ_mSR_ST_bEUlT_E_NS1_11comp_targetILNS1_3genE4ELNS1_11target_archE910ELNS1_3gpuE8ELNS1_3repE0EEENS1_30default_config_static_selectorELNS0_4arch9wavefront6targetE0EEEvT1_.uses_vcc, 0
	.set _ZN7rocprim17ROCPRIM_400000_NS6detail17trampoline_kernelINS0_14default_configENS1_25transform_config_selectorIlLb0EEEZNS1_14transform_implILb0ES3_S5_NS0_18transform_iteratorINS0_17counting_iteratorImlEEZNS1_24adjacent_difference_implIS3_Lb1ELb0EPlSB_ZN2at6native12_GLOBAL__N_124unique_dim_cuda_templateIdEESt5tupleIJNSC_6TensorESH_SH_EERKSH_lbbbEUlllE1_EE10hipError_tPvRmT2_T3_mT4_P12ihipStream_tbEUlmE_lEESB_NS0_8identityIvEEEESM_SP_SQ_mSR_ST_bEUlT_E_NS1_11comp_targetILNS1_3genE4ELNS1_11target_archE910ELNS1_3gpuE8ELNS1_3repE0EEENS1_30default_config_static_selectorELNS0_4arch9wavefront6targetE0EEEvT1_.uses_flat_scratch, 0
	.set _ZN7rocprim17ROCPRIM_400000_NS6detail17trampoline_kernelINS0_14default_configENS1_25transform_config_selectorIlLb0EEEZNS1_14transform_implILb0ES3_S5_NS0_18transform_iteratorINS0_17counting_iteratorImlEEZNS1_24adjacent_difference_implIS3_Lb1ELb0EPlSB_ZN2at6native12_GLOBAL__N_124unique_dim_cuda_templateIdEESt5tupleIJNSC_6TensorESH_SH_EERKSH_lbbbEUlllE1_EE10hipError_tPvRmT2_T3_mT4_P12ihipStream_tbEUlmE_lEESB_NS0_8identityIvEEEESM_SP_SQ_mSR_ST_bEUlT_E_NS1_11comp_targetILNS1_3genE4ELNS1_11target_archE910ELNS1_3gpuE8ELNS1_3repE0EEENS1_30default_config_static_selectorELNS0_4arch9wavefront6targetE0EEEvT1_.has_dyn_sized_stack, 0
	.set _ZN7rocprim17ROCPRIM_400000_NS6detail17trampoline_kernelINS0_14default_configENS1_25transform_config_selectorIlLb0EEEZNS1_14transform_implILb0ES3_S5_NS0_18transform_iteratorINS0_17counting_iteratorImlEEZNS1_24adjacent_difference_implIS3_Lb1ELb0EPlSB_ZN2at6native12_GLOBAL__N_124unique_dim_cuda_templateIdEESt5tupleIJNSC_6TensorESH_SH_EERKSH_lbbbEUlllE1_EE10hipError_tPvRmT2_T3_mT4_P12ihipStream_tbEUlmE_lEESB_NS0_8identityIvEEEESM_SP_SQ_mSR_ST_bEUlT_E_NS1_11comp_targetILNS1_3genE4ELNS1_11target_archE910ELNS1_3gpuE8ELNS1_3repE0EEENS1_30default_config_static_selectorELNS0_4arch9wavefront6targetE0EEEvT1_.has_recursion, 0
	.set _ZN7rocprim17ROCPRIM_400000_NS6detail17trampoline_kernelINS0_14default_configENS1_25transform_config_selectorIlLb0EEEZNS1_14transform_implILb0ES3_S5_NS0_18transform_iteratorINS0_17counting_iteratorImlEEZNS1_24adjacent_difference_implIS3_Lb1ELb0EPlSB_ZN2at6native12_GLOBAL__N_124unique_dim_cuda_templateIdEESt5tupleIJNSC_6TensorESH_SH_EERKSH_lbbbEUlllE1_EE10hipError_tPvRmT2_T3_mT4_P12ihipStream_tbEUlmE_lEESB_NS0_8identityIvEEEESM_SP_SQ_mSR_ST_bEUlT_E_NS1_11comp_targetILNS1_3genE4ELNS1_11target_archE910ELNS1_3gpuE8ELNS1_3repE0EEENS1_30default_config_static_selectorELNS0_4arch9wavefront6targetE0EEEvT1_.has_indirect_call, 0
	.section	.AMDGPU.csdata,"",@progbits
; Kernel info:
; codeLenInByte = 0
; TotalNumSgprs: 0
; NumVgprs: 0
; ScratchSize: 0
; MemoryBound: 0
; FloatMode: 240
; IeeeMode: 1
; LDSByteSize: 0 bytes/workgroup (compile time only)
; SGPRBlocks: 0
; VGPRBlocks: 0
; NumSGPRsForWavesPerEU: 1
; NumVGPRsForWavesPerEU: 1
; NamedBarCnt: 0
; Occupancy: 16
; WaveLimiterHint : 0
; COMPUTE_PGM_RSRC2:SCRATCH_EN: 0
; COMPUTE_PGM_RSRC2:USER_SGPR: 2
; COMPUTE_PGM_RSRC2:TRAP_HANDLER: 0
; COMPUTE_PGM_RSRC2:TGID_X_EN: 1
; COMPUTE_PGM_RSRC2:TGID_Y_EN: 0
; COMPUTE_PGM_RSRC2:TGID_Z_EN: 0
; COMPUTE_PGM_RSRC2:TIDIG_COMP_CNT: 0
	.section	.text._ZN7rocprim17ROCPRIM_400000_NS6detail17trampoline_kernelINS0_14default_configENS1_25transform_config_selectorIlLb0EEEZNS1_14transform_implILb0ES3_S5_NS0_18transform_iteratorINS0_17counting_iteratorImlEEZNS1_24adjacent_difference_implIS3_Lb1ELb0EPlSB_ZN2at6native12_GLOBAL__N_124unique_dim_cuda_templateIdEESt5tupleIJNSC_6TensorESH_SH_EERKSH_lbbbEUlllE1_EE10hipError_tPvRmT2_T3_mT4_P12ihipStream_tbEUlmE_lEESB_NS0_8identityIvEEEESM_SP_SQ_mSR_ST_bEUlT_E_NS1_11comp_targetILNS1_3genE3ELNS1_11target_archE908ELNS1_3gpuE7ELNS1_3repE0EEENS1_30default_config_static_selectorELNS0_4arch9wavefront6targetE0EEEvT1_,"axG",@progbits,_ZN7rocprim17ROCPRIM_400000_NS6detail17trampoline_kernelINS0_14default_configENS1_25transform_config_selectorIlLb0EEEZNS1_14transform_implILb0ES3_S5_NS0_18transform_iteratorINS0_17counting_iteratorImlEEZNS1_24adjacent_difference_implIS3_Lb1ELb0EPlSB_ZN2at6native12_GLOBAL__N_124unique_dim_cuda_templateIdEESt5tupleIJNSC_6TensorESH_SH_EERKSH_lbbbEUlllE1_EE10hipError_tPvRmT2_T3_mT4_P12ihipStream_tbEUlmE_lEESB_NS0_8identityIvEEEESM_SP_SQ_mSR_ST_bEUlT_E_NS1_11comp_targetILNS1_3genE3ELNS1_11target_archE908ELNS1_3gpuE7ELNS1_3repE0EEENS1_30default_config_static_selectorELNS0_4arch9wavefront6targetE0EEEvT1_,comdat
	.globl	_ZN7rocprim17ROCPRIM_400000_NS6detail17trampoline_kernelINS0_14default_configENS1_25transform_config_selectorIlLb0EEEZNS1_14transform_implILb0ES3_S5_NS0_18transform_iteratorINS0_17counting_iteratorImlEEZNS1_24adjacent_difference_implIS3_Lb1ELb0EPlSB_ZN2at6native12_GLOBAL__N_124unique_dim_cuda_templateIdEESt5tupleIJNSC_6TensorESH_SH_EERKSH_lbbbEUlllE1_EE10hipError_tPvRmT2_T3_mT4_P12ihipStream_tbEUlmE_lEESB_NS0_8identityIvEEEESM_SP_SQ_mSR_ST_bEUlT_E_NS1_11comp_targetILNS1_3genE3ELNS1_11target_archE908ELNS1_3gpuE7ELNS1_3repE0EEENS1_30default_config_static_selectorELNS0_4arch9wavefront6targetE0EEEvT1_ ; -- Begin function _ZN7rocprim17ROCPRIM_400000_NS6detail17trampoline_kernelINS0_14default_configENS1_25transform_config_selectorIlLb0EEEZNS1_14transform_implILb0ES3_S5_NS0_18transform_iteratorINS0_17counting_iteratorImlEEZNS1_24adjacent_difference_implIS3_Lb1ELb0EPlSB_ZN2at6native12_GLOBAL__N_124unique_dim_cuda_templateIdEESt5tupleIJNSC_6TensorESH_SH_EERKSH_lbbbEUlllE1_EE10hipError_tPvRmT2_T3_mT4_P12ihipStream_tbEUlmE_lEESB_NS0_8identityIvEEEESM_SP_SQ_mSR_ST_bEUlT_E_NS1_11comp_targetILNS1_3genE3ELNS1_11target_archE908ELNS1_3gpuE7ELNS1_3repE0EEENS1_30default_config_static_selectorELNS0_4arch9wavefront6targetE0EEEvT1_
	.p2align	8
	.type	_ZN7rocprim17ROCPRIM_400000_NS6detail17trampoline_kernelINS0_14default_configENS1_25transform_config_selectorIlLb0EEEZNS1_14transform_implILb0ES3_S5_NS0_18transform_iteratorINS0_17counting_iteratorImlEEZNS1_24adjacent_difference_implIS3_Lb1ELb0EPlSB_ZN2at6native12_GLOBAL__N_124unique_dim_cuda_templateIdEESt5tupleIJNSC_6TensorESH_SH_EERKSH_lbbbEUlllE1_EE10hipError_tPvRmT2_T3_mT4_P12ihipStream_tbEUlmE_lEESB_NS0_8identityIvEEEESM_SP_SQ_mSR_ST_bEUlT_E_NS1_11comp_targetILNS1_3genE3ELNS1_11target_archE908ELNS1_3gpuE7ELNS1_3repE0EEENS1_30default_config_static_selectorELNS0_4arch9wavefront6targetE0EEEvT1_,@function
_ZN7rocprim17ROCPRIM_400000_NS6detail17trampoline_kernelINS0_14default_configENS1_25transform_config_selectorIlLb0EEEZNS1_14transform_implILb0ES3_S5_NS0_18transform_iteratorINS0_17counting_iteratorImlEEZNS1_24adjacent_difference_implIS3_Lb1ELb0EPlSB_ZN2at6native12_GLOBAL__N_124unique_dim_cuda_templateIdEESt5tupleIJNSC_6TensorESH_SH_EERKSH_lbbbEUlllE1_EE10hipError_tPvRmT2_T3_mT4_P12ihipStream_tbEUlmE_lEESB_NS0_8identityIvEEEESM_SP_SQ_mSR_ST_bEUlT_E_NS1_11comp_targetILNS1_3genE3ELNS1_11target_archE908ELNS1_3gpuE7ELNS1_3repE0EEENS1_30default_config_static_selectorELNS0_4arch9wavefront6targetE0EEEvT1_: ; @_ZN7rocprim17ROCPRIM_400000_NS6detail17trampoline_kernelINS0_14default_configENS1_25transform_config_selectorIlLb0EEEZNS1_14transform_implILb0ES3_S5_NS0_18transform_iteratorINS0_17counting_iteratorImlEEZNS1_24adjacent_difference_implIS3_Lb1ELb0EPlSB_ZN2at6native12_GLOBAL__N_124unique_dim_cuda_templateIdEESt5tupleIJNSC_6TensorESH_SH_EERKSH_lbbbEUlllE1_EE10hipError_tPvRmT2_T3_mT4_P12ihipStream_tbEUlmE_lEESB_NS0_8identityIvEEEESM_SP_SQ_mSR_ST_bEUlT_E_NS1_11comp_targetILNS1_3genE3ELNS1_11target_archE908ELNS1_3gpuE7ELNS1_3repE0EEENS1_30default_config_static_selectorELNS0_4arch9wavefront6targetE0EEEvT1_
; %bb.0:
	.section	.rodata,"a",@progbits
	.p2align	6, 0x0
	.amdhsa_kernel _ZN7rocprim17ROCPRIM_400000_NS6detail17trampoline_kernelINS0_14default_configENS1_25transform_config_selectorIlLb0EEEZNS1_14transform_implILb0ES3_S5_NS0_18transform_iteratorINS0_17counting_iteratorImlEEZNS1_24adjacent_difference_implIS3_Lb1ELb0EPlSB_ZN2at6native12_GLOBAL__N_124unique_dim_cuda_templateIdEESt5tupleIJNSC_6TensorESH_SH_EERKSH_lbbbEUlllE1_EE10hipError_tPvRmT2_T3_mT4_P12ihipStream_tbEUlmE_lEESB_NS0_8identityIvEEEESM_SP_SQ_mSR_ST_bEUlT_E_NS1_11comp_targetILNS1_3genE3ELNS1_11target_archE908ELNS1_3gpuE7ELNS1_3repE0EEENS1_30default_config_static_selectorELNS0_4arch9wavefront6targetE0EEEvT1_
		.amdhsa_group_segment_fixed_size 0
		.amdhsa_private_segment_fixed_size 0
		.amdhsa_kernarg_size 56
		.amdhsa_user_sgpr_count 2
		.amdhsa_user_sgpr_dispatch_ptr 0
		.amdhsa_user_sgpr_queue_ptr 0
		.amdhsa_user_sgpr_kernarg_segment_ptr 1
		.amdhsa_user_sgpr_dispatch_id 0
		.amdhsa_user_sgpr_kernarg_preload_length 0
		.amdhsa_user_sgpr_kernarg_preload_offset 0
		.amdhsa_user_sgpr_private_segment_size 0
		.amdhsa_wavefront_size32 1
		.amdhsa_uses_dynamic_stack 0
		.amdhsa_enable_private_segment 0
		.amdhsa_system_sgpr_workgroup_id_x 1
		.amdhsa_system_sgpr_workgroup_id_y 0
		.amdhsa_system_sgpr_workgroup_id_z 0
		.amdhsa_system_sgpr_workgroup_info 0
		.amdhsa_system_vgpr_workitem_id 0
		.amdhsa_next_free_vgpr 1
		.amdhsa_next_free_sgpr 1
		.amdhsa_named_barrier_count 0
		.amdhsa_reserve_vcc 0
		.amdhsa_float_round_mode_32 0
		.amdhsa_float_round_mode_16_64 0
		.amdhsa_float_denorm_mode_32 3
		.amdhsa_float_denorm_mode_16_64 3
		.amdhsa_fp16_overflow 0
		.amdhsa_memory_ordered 1
		.amdhsa_forward_progress 1
		.amdhsa_inst_pref_size 0
		.amdhsa_round_robin_scheduling 0
		.amdhsa_exception_fp_ieee_invalid_op 0
		.amdhsa_exception_fp_denorm_src 0
		.amdhsa_exception_fp_ieee_div_zero 0
		.amdhsa_exception_fp_ieee_overflow 0
		.amdhsa_exception_fp_ieee_underflow 0
		.amdhsa_exception_fp_ieee_inexact 0
		.amdhsa_exception_int_div_zero 0
	.end_amdhsa_kernel
	.section	.text._ZN7rocprim17ROCPRIM_400000_NS6detail17trampoline_kernelINS0_14default_configENS1_25transform_config_selectorIlLb0EEEZNS1_14transform_implILb0ES3_S5_NS0_18transform_iteratorINS0_17counting_iteratorImlEEZNS1_24adjacent_difference_implIS3_Lb1ELb0EPlSB_ZN2at6native12_GLOBAL__N_124unique_dim_cuda_templateIdEESt5tupleIJNSC_6TensorESH_SH_EERKSH_lbbbEUlllE1_EE10hipError_tPvRmT2_T3_mT4_P12ihipStream_tbEUlmE_lEESB_NS0_8identityIvEEEESM_SP_SQ_mSR_ST_bEUlT_E_NS1_11comp_targetILNS1_3genE3ELNS1_11target_archE908ELNS1_3gpuE7ELNS1_3repE0EEENS1_30default_config_static_selectorELNS0_4arch9wavefront6targetE0EEEvT1_,"axG",@progbits,_ZN7rocprim17ROCPRIM_400000_NS6detail17trampoline_kernelINS0_14default_configENS1_25transform_config_selectorIlLb0EEEZNS1_14transform_implILb0ES3_S5_NS0_18transform_iteratorINS0_17counting_iteratorImlEEZNS1_24adjacent_difference_implIS3_Lb1ELb0EPlSB_ZN2at6native12_GLOBAL__N_124unique_dim_cuda_templateIdEESt5tupleIJNSC_6TensorESH_SH_EERKSH_lbbbEUlllE1_EE10hipError_tPvRmT2_T3_mT4_P12ihipStream_tbEUlmE_lEESB_NS0_8identityIvEEEESM_SP_SQ_mSR_ST_bEUlT_E_NS1_11comp_targetILNS1_3genE3ELNS1_11target_archE908ELNS1_3gpuE7ELNS1_3repE0EEENS1_30default_config_static_selectorELNS0_4arch9wavefront6targetE0EEEvT1_,comdat
.Lfunc_end793:
	.size	_ZN7rocprim17ROCPRIM_400000_NS6detail17trampoline_kernelINS0_14default_configENS1_25transform_config_selectorIlLb0EEEZNS1_14transform_implILb0ES3_S5_NS0_18transform_iteratorINS0_17counting_iteratorImlEEZNS1_24adjacent_difference_implIS3_Lb1ELb0EPlSB_ZN2at6native12_GLOBAL__N_124unique_dim_cuda_templateIdEESt5tupleIJNSC_6TensorESH_SH_EERKSH_lbbbEUlllE1_EE10hipError_tPvRmT2_T3_mT4_P12ihipStream_tbEUlmE_lEESB_NS0_8identityIvEEEESM_SP_SQ_mSR_ST_bEUlT_E_NS1_11comp_targetILNS1_3genE3ELNS1_11target_archE908ELNS1_3gpuE7ELNS1_3repE0EEENS1_30default_config_static_selectorELNS0_4arch9wavefront6targetE0EEEvT1_, .Lfunc_end793-_ZN7rocprim17ROCPRIM_400000_NS6detail17trampoline_kernelINS0_14default_configENS1_25transform_config_selectorIlLb0EEEZNS1_14transform_implILb0ES3_S5_NS0_18transform_iteratorINS0_17counting_iteratorImlEEZNS1_24adjacent_difference_implIS3_Lb1ELb0EPlSB_ZN2at6native12_GLOBAL__N_124unique_dim_cuda_templateIdEESt5tupleIJNSC_6TensorESH_SH_EERKSH_lbbbEUlllE1_EE10hipError_tPvRmT2_T3_mT4_P12ihipStream_tbEUlmE_lEESB_NS0_8identityIvEEEESM_SP_SQ_mSR_ST_bEUlT_E_NS1_11comp_targetILNS1_3genE3ELNS1_11target_archE908ELNS1_3gpuE7ELNS1_3repE0EEENS1_30default_config_static_selectorELNS0_4arch9wavefront6targetE0EEEvT1_
                                        ; -- End function
	.set _ZN7rocprim17ROCPRIM_400000_NS6detail17trampoline_kernelINS0_14default_configENS1_25transform_config_selectorIlLb0EEEZNS1_14transform_implILb0ES3_S5_NS0_18transform_iteratorINS0_17counting_iteratorImlEEZNS1_24adjacent_difference_implIS3_Lb1ELb0EPlSB_ZN2at6native12_GLOBAL__N_124unique_dim_cuda_templateIdEESt5tupleIJNSC_6TensorESH_SH_EERKSH_lbbbEUlllE1_EE10hipError_tPvRmT2_T3_mT4_P12ihipStream_tbEUlmE_lEESB_NS0_8identityIvEEEESM_SP_SQ_mSR_ST_bEUlT_E_NS1_11comp_targetILNS1_3genE3ELNS1_11target_archE908ELNS1_3gpuE7ELNS1_3repE0EEENS1_30default_config_static_selectorELNS0_4arch9wavefront6targetE0EEEvT1_.num_vgpr, 0
	.set _ZN7rocprim17ROCPRIM_400000_NS6detail17trampoline_kernelINS0_14default_configENS1_25transform_config_selectorIlLb0EEEZNS1_14transform_implILb0ES3_S5_NS0_18transform_iteratorINS0_17counting_iteratorImlEEZNS1_24adjacent_difference_implIS3_Lb1ELb0EPlSB_ZN2at6native12_GLOBAL__N_124unique_dim_cuda_templateIdEESt5tupleIJNSC_6TensorESH_SH_EERKSH_lbbbEUlllE1_EE10hipError_tPvRmT2_T3_mT4_P12ihipStream_tbEUlmE_lEESB_NS0_8identityIvEEEESM_SP_SQ_mSR_ST_bEUlT_E_NS1_11comp_targetILNS1_3genE3ELNS1_11target_archE908ELNS1_3gpuE7ELNS1_3repE0EEENS1_30default_config_static_selectorELNS0_4arch9wavefront6targetE0EEEvT1_.num_agpr, 0
	.set _ZN7rocprim17ROCPRIM_400000_NS6detail17trampoline_kernelINS0_14default_configENS1_25transform_config_selectorIlLb0EEEZNS1_14transform_implILb0ES3_S5_NS0_18transform_iteratorINS0_17counting_iteratorImlEEZNS1_24adjacent_difference_implIS3_Lb1ELb0EPlSB_ZN2at6native12_GLOBAL__N_124unique_dim_cuda_templateIdEESt5tupleIJNSC_6TensorESH_SH_EERKSH_lbbbEUlllE1_EE10hipError_tPvRmT2_T3_mT4_P12ihipStream_tbEUlmE_lEESB_NS0_8identityIvEEEESM_SP_SQ_mSR_ST_bEUlT_E_NS1_11comp_targetILNS1_3genE3ELNS1_11target_archE908ELNS1_3gpuE7ELNS1_3repE0EEENS1_30default_config_static_selectorELNS0_4arch9wavefront6targetE0EEEvT1_.numbered_sgpr, 0
	.set _ZN7rocprim17ROCPRIM_400000_NS6detail17trampoline_kernelINS0_14default_configENS1_25transform_config_selectorIlLb0EEEZNS1_14transform_implILb0ES3_S5_NS0_18transform_iteratorINS0_17counting_iteratorImlEEZNS1_24adjacent_difference_implIS3_Lb1ELb0EPlSB_ZN2at6native12_GLOBAL__N_124unique_dim_cuda_templateIdEESt5tupleIJNSC_6TensorESH_SH_EERKSH_lbbbEUlllE1_EE10hipError_tPvRmT2_T3_mT4_P12ihipStream_tbEUlmE_lEESB_NS0_8identityIvEEEESM_SP_SQ_mSR_ST_bEUlT_E_NS1_11comp_targetILNS1_3genE3ELNS1_11target_archE908ELNS1_3gpuE7ELNS1_3repE0EEENS1_30default_config_static_selectorELNS0_4arch9wavefront6targetE0EEEvT1_.num_named_barrier, 0
	.set _ZN7rocprim17ROCPRIM_400000_NS6detail17trampoline_kernelINS0_14default_configENS1_25transform_config_selectorIlLb0EEEZNS1_14transform_implILb0ES3_S5_NS0_18transform_iteratorINS0_17counting_iteratorImlEEZNS1_24adjacent_difference_implIS3_Lb1ELb0EPlSB_ZN2at6native12_GLOBAL__N_124unique_dim_cuda_templateIdEESt5tupleIJNSC_6TensorESH_SH_EERKSH_lbbbEUlllE1_EE10hipError_tPvRmT2_T3_mT4_P12ihipStream_tbEUlmE_lEESB_NS0_8identityIvEEEESM_SP_SQ_mSR_ST_bEUlT_E_NS1_11comp_targetILNS1_3genE3ELNS1_11target_archE908ELNS1_3gpuE7ELNS1_3repE0EEENS1_30default_config_static_selectorELNS0_4arch9wavefront6targetE0EEEvT1_.private_seg_size, 0
	.set _ZN7rocprim17ROCPRIM_400000_NS6detail17trampoline_kernelINS0_14default_configENS1_25transform_config_selectorIlLb0EEEZNS1_14transform_implILb0ES3_S5_NS0_18transform_iteratorINS0_17counting_iteratorImlEEZNS1_24adjacent_difference_implIS3_Lb1ELb0EPlSB_ZN2at6native12_GLOBAL__N_124unique_dim_cuda_templateIdEESt5tupleIJNSC_6TensorESH_SH_EERKSH_lbbbEUlllE1_EE10hipError_tPvRmT2_T3_mT4_P12ihipStream_tbEUlmE_lEESB_NS0_8identityIvEEEESM_SP_SQ_mSR_ST_bEUlT_E_NS1_11comp_targetILNS1_3genE3ELNS1_11target_archE908ELNS1_3gpuE7ELNS1_3repE0EEENS1_30default_config_static_selectorELNS0_4arch9wavefront6targetE0EEEvT1_.uses_vcc, 0
	.set _ZN7rocprim17ROCPRIM_400000_NS6detail17trampoline_kernelINS0_14default_configENS1_25transform_config_selectorIlLb0EEEZNS1_14transform_implILb0ES3_S5_NS0_18transform_iteratorINS0_17counting_iteratorImlEEZNS1_24adjacent_difference_implIS3_Lb1ELb0EPlSB_ZN2at6native12_GLOBAL__N_124unique_dim_cuda_templateIdEESt5tupleIJNSC_6TensorESH_SH_EERKSH_lbbbEUlllE1_EE10hipError_tPvRmT2_T3_mT4_P12ihipStream_tbEUlmE_lEESB_NS0_8identityIvEEEESM_SP_SQ_mSR_ST_bEUlT_E_NS1_11comp_targetILNS1_3genE3ELNS1_11target_archE908ELNS1_3gpuE7ELNS1_3repE0EEENS1_30default_config_static_selectorELNS0_4arch9wavefront6targetE0EEEvT1_.uses_flat_scratch, 0
	.set _ZN7rocprim17ROCPRIM_400000_NS6detail17trampoline_kernelINS0_14default_configENS1_25transform_config_selectorIlLb0EEEZNS1_14transform_implILb0ES3_S5_NS0_18transform_iteratorINS0_17counting_iteratorImlEEZNS1_24adjacent_difference_implIS3_Lb1ELb0EPlSB_ZN2at6native12_GLOBAL__N_124unique_dim_cuda_templateIdEESt5tupleIJNSC_6TensorESH_SH_EERKSH_lbbbEUlllE1_EE10hipError_tPvRmT2_T3_mT4_P12ihipStream_tbEUlmE_lEESB_NS0_8identityIvEEEESM_SP_SQ_mSR_ST_bEUlT_E_NS1_11comp_targetILNS1_3genE3ELNS1_11target_archE908ELNS1_3gpuE7ELNS1_3repE0EEENS1_30default_config_static_selectorELNS0_4arch9wavefront6targetE0EEEvT1_.has_dyn_sized_stack, 0
	.set _ZN7rocprim17ROCPRIM_400000_NS6detail17trampoline_kernelINS0_14default_configENS1_25transform_config_selectorIlLb0EEEZNS1_14transform_implILb0ES3_S5_NS0_18transform_iteratorINS0_17counting_iteratorImlEEZNS1_24adjacent_difference_implIS3_Lb1ELb0EPlSB_ZN2at6native12_GLOBAL__N_124unique_dim_cuda_templateIdEESt5tupleIJNSC_6TensorESH_SH_EERKSH_lbbbEUlllE1_EE10hipError_tPvRmT2_T3_mT4_P12ihipStream_tbEUlmE_lEESB_NS0_8identityIvEEEESM_SP_SQ_mSR_ST_bEUlT_E_NS1_11comp_targetILNS1_3genE3ELNS1_11target_archE908ELNS1_3gpuE7ELNS1_3repE0EEENS1_30default_config_static_selectorELNS0_4arch9wavefront6targetE0EEEvT1_.has_recursion, 0
	.set _ZN7rocprim17ROCPRIM_400000_NS6detail17trampoline_kernelINS0_14default_configENS1_25transform_config_selectorIlLb0EEEZNS1_14transform_implILb0ES3_S5_NS0_18transform_iteratorINS0_17counting_iteratorImlEEZNS1_24adjacent_difference_implIS3_Lb1ELb0EPlSB_ZN2at6native12_GLOBAL__N_124unique_dim_cuda_templateIdEESt5tupleIJNSC_6TensorESH_SH_EERKSH_lbbbEUlllE1_EE10hipError_tPvRmT2_T3_mT4_P12ihipStream_tbEUlmE_lEESB_NS0_8identityIvEEEESM_SP_SQ_mSR_ST_bEUlT_E_NS1_11comp_targetILNS1_3genE3ELNS1_11target_archE908ELNS1_3gpuE7ELNS1_3repE0EEENS1_30default_config_static_selectorELNS0_4arch9wavefront6targetE0EEEvT1_.has_indirect_call, 0
	.section	.AMDGPU.csdata,"",@progbits
; Kernel info:
; codeLenInByte = 0
; TotalNumSgprs: 0
; NumVgprs: 0
; ScratchSize: 0
; MemoryBound: 0
; FloatMode: 240
; IeeeMode: 1
; LDSByteSize: 0 bytes/workgroup (compile time only)
; SGPRBlocks: 0
; VGPRBlocks: 0
; NumSGPRsForWavesPerEU: 1
; NumVGPRsForWavesPerEU: 1
; NamedBarCnt: 0
; Occupancy: 16
; WaveLimiterHint : 0
; COMPUTE_PGM_RSRC2:SCRATCH_EN: 0
; COMPUTE_PGM_RSRC2:USER_SGPR: 2
; COMPUTE_PGM_RSRC2:TRAP_HANDLER: 0
; COMPUTE_PGM_RSRC2:TGID_X_EN: 1
; COMPUTE_PGM_RSRC2:TGID_Y_EN: 0
; COMPUTE_PGM_RSRC2:TGID_Z_EN: 0
; COMPUTE_PGM_RSRC2:TIDIG_COMP_CNT: 0
	.section	.text._ZN7rocprim17ROCPRIM_400000_NS6detail17trampoline_kernelINS0_14default_configENS1_25transform_config_selectorIlLb0EEEZNS1_14transform_implILb0ES3_S5_NS0_18transform_iteratorINS0_17counting_iteratorImlEEZNS1_24adjacent_difference_implIS3_Lb1ELb0EPlSB_ZN2at6native12_GLOBAL__N_124unique_dim_cuda_templateIdEESt5tupleIJNSC_6TensorESH_SH_EERKSH_lbbbEUlllE1_EE10hipError_tPvRmT2_T3_mT4_P12ihipStream_tbEUlmE_lEESB_NS0_8identityIvEEEESM_SP_SQ_mSR_ST_bEUlT_E_NS1_11comp_targetILNS1_3genE2ELNS1_11target_archE906ELNS1_3gpuE6ELNS1_3repE0EEENS1_30default_config_static_selectorELNS0_4arch9wavefront6targetE0EEEvT1_,"axG",@progbits,_ZN7rocprim17ROCPRIM_400000_NS6detail17trampoline_kernelINS0_14default_configENS1_25transform_config_selectorIlLb0EEEZNS1_14transform_implILb0ES3_S5_NS0_18transform_iteratorINS0_17counting_iteratorImlEEZNS1_24adjacent_difference_implIS3_Lb1ELb0EPlSB_ZN2at6native12_GLOBAL__N_124unique_dim_cuda_templateIdEESt5tupleIJNSC_6TensorESH_SH_EERKSH_lbbbEUlllE1_EE10hipError_tPvRmT2_T3_mT4_P12ihipStream_tbEUlmE_lEESB_NS0_8identityIvEEEESM_SP_SQ_mSR_ST_bEUlT_E_NS1_11comp_targetILNS1_3genE2ELNS1_11target_archE906ELNS1_3gpuE6ELNS1_3repE0EEENS1_30default_config_static_selectorELNS0_4arch9wavefront6targetE0EEEvT1_,comdat
	.globl	_ZN7rocprim17ROCPRIM_400000_NS6detail17trampoline_kernelINS0_14default_configENS1_25transform_config_selectorIlLb0EEEZNS1_14transform_implILb0ES3_S5_NS0_18transform_iteratorINS0_17counting_iteratorImlEEZNS1_24adjacent_difference_implIS3_Lb1ELb0EPlSB_ZN2at6native12_GLOBAL__N_124unique_dim_cuda_templateIdEESt5tupleIJNSC_6TensorESH_SH_EERKSH_lbbbEUlllE1_EE10hipError_tPvRmT2_T3_mT4_P12ihipStream_tbEUlmE_lEESB_NS0_8identityIvEEEESM_SP_SQ_mSR_ST_bEUlT_E_NS1_11comp_targetILNS1_3genE2ELNS1_11target_archE906ELNS1_3gpuE6ELNS1_3repE0EEENS1_30default_config_static_selectorELNS0_4arch9wavefront6targetE0EEEvT1_ ; -- Begin function _ZN7rocprim17ROCPRIM_400000_NS6detail17trampoline_kernelINS0_14default_configENS1_25transform_config_selectorIlLb0EEEZNS1_14transform_implILb0ES3_S5_NS0_18transform_iteratorINS0_17counting_iteratorImlEEZNS1_24adjacent_difference_implIS3_Lb1ELb0EPlSB_ZN2at6native12_GLOBAL__N_124unique_dim_cuda_templateIdEESt5tupleIJNSC_6TensorESH_SH_EERKSH_lbbbEUlllE1_EE10hipError_tPvRmT2_T3_mT4_P12ihipStream_tbEUlmE_lEESB_NS0_8identityIvEEEESM_SP_SQ_mSR_ST_bEUlT_E_NS1_11comp_targetILNS1_3genE2ELNS1_11target_archE906ELNS1_3gpuE6ELNS1_3repE0EEENS1_30default_config_static_selectorELNS0_4arch9wavefront6targetE0EEEvT1_
	.p2align	8
	.type	_ZN7rocprim17ROCPRIM_400000_NS6detail17trampoline_kernelINS0_14default_configENS1_25transform_config_selectorIlLb0EEEZNS1_14transform_implILb0ES3_S5_NS0_18transform_iteratorINS0_17counting_iteratorImlEEZNS1_24adjacent_difference_implIS3_Lb1ELb0EPlSB_ZN2at6native12_GLOBAL__N_124unique_dim_cuda_templateIdEESt5tupleIJNSC_6TensorESH_SH_EERKSH_lbbbEUlllE1_EE10hipError_tPvRmT2_T3_mT4_P12ihipStream_tbEUlmE_lEESB_NS0_8identityIvEEEESM_SP_SQ_mSR_ST_bEUlT_E_NS1_11comp_targetILNS1_3genE2ELNS1_11target_archE906ELNS1_3gpuE6ELNS1_3repE0EEENS1_30default_config_static_selectorELNS0_4arch9wavefront6targetE0EEEvT1_,@function
_ZN7rocprim17ROCPRIM_400000_NS6detail17trampoline_kernelINS0_14default_configENS1_25transform_config_selectorIlLb0EEEZNS1_14transform_implILb0ES3_S5_NS0_18transform_iteratorINS0_17counting_iteratorImlEEZNS1_24adjacent_difference_implIS3_Lb1ELb0EPlSB_ZN2at6native12_GLOBAL__N_124unique_dim_cuda_templateIdEESt5tupleIJNSC_6TensorESH_SH_EERKSH_lbbbEUlllE1_EE10hipError_tPvRmT2_T3_mT4_P12ihipStream_tbEUlmE_lEESB_NS0_8identityIvEEEESM_SP_SQ_mSR_ST_bEUlT_E_NS1_11comp_targetILNS1_3genE2ELNS1_11target_archE906ELNS1_3gpuE6ELNS1_3repE0EEENS1_30default_config_static_selectorELNS0_4arch9wavefront6targetE0EEEvT1_: ; @_ZN7rocprim17ROCPRIM_400000_NS6detail17trampoline_kernelINS0_14default_configENS1_25transform_config_selectorIlLb0EEEZNS1_14transform_implILb0ES3_S5_NS0_18transform_iteratorINS0_17counting_iteratorImlEEZNS1_24adjacent_difference_implIS3_Lb1ELb0EPlSB_ZN2at6native12_GLOBAL__N_124unique_dim_cuda_templateIdEESt5tupleIJNSC_6TensorESH_SH_EERKSH_lbbbEUlllE1_EE10hipError_tPvRmT2_T3_mT4_P12ihipStream_tbEUlmE_lEESB_NS0_8identityIvEEEESM_SP_SQ_mSR_ST_bEUlT_E_NS1_11comp_targetILNS1_3genE2ELNS1_11target_archE906ELNS1_3gpuE6ELNS1_3repE0EEENS1_30default_config_static_selectorELNS0_4arch9wavefront6targetE0EEEvT1_
; %bb.0:
	.section	.rodata,"a",@progbits
	.p2align	6, 0x0
	.amdhsa_kernel _ZN7rocprim17ROCPRIM_400000_NS6detail17trampoline_kernelINS0_14default_configENS1_25transform_config_selectorIlLb0EEEZNS1_14transform_implILb0ES3_S5_NS0_18transform_iteratorINS0_17counting_iteratorImlEEZNS1_24adjacent_difference_implIS3_Lb1ELb0EPlSB_ZN2at6native12_GLOBAL__N_124unique_dim_cuda_templateIdEESt5tupleIJNSC_6TensorESH_SH_EERKSH_lbbbEUlllE1_EE10hipError_tPvRmT2_T3_mT4_P12ihipStream_tbEUlmE_lEESB_NS0_8identityIvEEEESM_SP_SQ_mSR_ST_bEUlT_E_NS1_11comp_targetILNS1_3genE2ELNS1_11target_archE906ELNS1_3gpuE6ELNS1_3repE0EEENS1_30default_config_static_selectorELNS0_4arch9wavefront6targetE0EEEvT1_
		.amdhsa_group_segment_fixed_size 0
		.amdhsa_private_segment_fixed_size 0
		.amdhsa_kernarg_size 56
		.amdhsa_user_sgpr_count 2
		.amdhsa_user_sgpr_dispatch_ptr 0
		.amdhsa_user_sgpr_queue_ptr 0
		.amdhsa_user_sgpr_kernarg_segment_ptr 1
		.amdhsa_user_sgpr_dispatch_id 0
		.amdhsa_user_sgpr_kernarg_preload_length 0
		.amdhsa_user_sgpr_kernarg_preload_offset 0
		.amdhsa_user_sgpr_private_segment_size 0
		.amdhsa_wavefront_size32 1
		.amdhsa_uses_dynamic_stack 0
		.amdhsa_enable_private_segment 0
		.amdhsa_system_sgpr_workgroup_id_x 1
		.amdhsa_system_sgpr_workgroup_id_y 0
		.amdhsa_system_sgpr_workgroup_id_z 0
		.amdhsa_system_sgpr_workgroup_info 0
		.amdhsa_system_vgpr_workitem_id 0
		.amdhsa_next_free_vgpr 1
		.amdhsa_next_free_sgpr 1
		.amdhsa_named_barrier_count 0
		.amdhsa_reserve_vcc 0
		.amdhsa_float_round_mode_32 0
		.amdhsa_float_round_mode_16_64 0
		.amdhsa_float_denorm_mode_32 3
		.amdhsa_float_denorm_mode_16_64 3
		.amdhsa_fp16_overflow 0
		.amdhsa_memory_ordered 1
		.amdhsa_forward_progress 1
		.amdhsa_inst_pref_size 0
		.amdhsa_round_robin_scheduling 0
		.amdhsa_exception_fp_ieee_invalid_op 0
		.amdhsa_exception_fp_denorm_src 0
		.amdhsa_exception_fp_ieee_div_zero 0
		.amdhsa_exception_fp_ieee_overflow 0
		.amdhsa_exception_fp_ieee_underflow 0
		.amdhsa_exception_fp_ieee_inexact 0
		.amdhsa_exception_int_div_zero 0
	.end_amdhsa_kernel
	.section	.text._ZN7rocprim17ROCPRIM_400000_NS6detail17trampoline_kernelINS0_14default_configENS1_25transform_config_selectorIlLb0EEEZNS1_14transform_implILb0ES3_S5_NS0_18transform_iteratorINS0_17counting_iteratorImlEEZNS1_24adjacent_difference_implIS3_Lb1ELb0EPlSB_ZN2at6native12_GLOBAL__N_124unique_dim_cuda_templateIdEESt5tupleIJNSC_6TensorESH_SH_EERKSH_lbbbEUlllE1_EE10hipError_tPvRmT2_T3_mT4_P12ihipStream_tbEUlmE_lEESB_NS0_8identityIvEEEESM_SP_SQ_mSR_ST_bEUlT_E_NS1_11comp_targetILNS1_3genE2ELNS1_11target_archE906ELNS1_3gpuE6ELNS1_3repE0EEENS1_30default_config_static_selectorELNS0_4arch9wavefront6targetE0EEEvT1_,"axG",@progbits,_ZN7rocprim17ROCPRIM_400000_NS6detail17trampoline_kernelINS0_14default_configENS1_25transform_config_selectorIlLb0EEEZNS1_14transform_implILb0ES3_S5_NS0_18transform_iteratorINS0_17counting_iteratorImlEEZNS1_24adjacent_difference_implIS3_Lb1ELb0EPlSB_ZN2at6native12_GLOBAL__N_124unique_dim_cuda_templateIdEESt5tupleIJNSC_6TensorESH_SH_EERKSH_lbbbEUlllE1_EE10hipError_tPvRmT2_T3_mT4_P12ihipStream_tbEUlmE_lEESB_NS0_8identityIvEEEESM_SP_SQ_mSR_ST_bEUlT_E_NS1_11comp_targetILNS1_3genE2ELNS1_11target_archE906ELNS1_3gpuE6ELNS1_3repE0EEENS1_30default_config_static_selectorELNS0_4arch9wavefront6targetE0EEEvT1_,comdat
.Lfunc_end794:
	.size	_ZN7rocprim17ROCPRIM_400000_NS6detail17trampoline_kernelINS0_14default_configENS1_25transform_config_selectorIlLb0EEEZNS1_14transform_implILb0ES3_S5_NS0_18transform_iteratorINS0_17counting_iteratorImlEEZNS1_24adjacent_difference_implIS3_Lb1ELb0EPlSB_ZN2at6native12_GLOBAL__N_124unique_dim_cuda_templateIdEESt5tupleIJNSC_6TensorESH_SH_EERKSH_lbbbEUlllE1_EE10hipError_tPvRmT2_T3_mT4_P12ihipStream_tbEUlmE_lEESB_NS0_8identityIvEEEESM_SP_SQ_mSR_ST_bEUlT_E_NS1_11comp_targetILNS1_3genE2ELNS1_11target_archE906ELNS1_3gpuE6ELNS1_3repE0EEENS1_30default_config_static_selectorELNS0_4arch9wavefront6targetE0EEEvT1_, .Lfunc_end794-_ZN7rocprim17ROCPRIM_400000_NS6detail17trampoline_kernelINS0_14default_configENS1_25transform_config_selectorIlLb0EEEZNS1_14transform_implILb0ES3_S5_NS0_18transform_iteratorINS0_17counting_iteratorImlEEZNS1_24adjacent_difference_implIS3_Lb1ELb0EPlSB_ZN2at6native12_GLOBAL__N_124unique_dim_cuda_templateIdEESt5tupleIJNSC_6TensorESH_SH_EERKSH_lbbbEUlllE1_EE10hipError_tPvRmT2_T3_mT4_P12ihipStream_tbEUlmE_lEESB_NS0_8identityIvEEEESM_SP_SQ_mSR_ST_bEUlT_E_NS1_11comp_targetILNS1_3genE2ELNS1_11target_archE906ELNS1_3gpuE6ELNS1_3repE0EEENS1_30default_config_static_selectorELNS0_4arch9wavefront6targetE0EEEvT1_
                                        ; -- End function
	.set _ZN7rocprim17ROCPRIM_400000_NS6detail17trampoline_kernelINS0_14default_configENS1_25transform_config_selectorIlLb0EEEZNS1_14transform_implILb0ES3_S5_NS0_18transform_iteratorINS0_17counting_iteratorImlEEZNS1_24adjacent_difference_implIS3_Lb1ELb0EPlSB_ZN2at6native12_GLOBAL__N_124unique_dim_cuda_templateIdEESt5tupleIJNSC_6TensorESH_SH_EERKSH_lbbbEUlllE1_EE10hipError_tPvRmT2_T3_mT4_P12ihipStream_tbEUlmE_lEESB_NS0_8identityIvEEEESM_SP_SQ_mSR_ST_bEUlT_E_NS1_11comp_targetILNS1_3genE2ELNS1_11target_archE906ELNS1_3gpuE6ELNS1_3repE0EEENS1_30default_config_static_selectorELNS0_4arch9wavefront6targetE0EEEvT1_.num_vgpr, 0
	.set _ZN7rocprim17ROCPRIM_400000_NS6detail17trampoline_kernelINS0_14default_configENS1_25transform_config_selectorIlLb0EEEZNS1_14transform_implILb0ES3_S5_NS0_18transform_iteratorINS0_17counting_iteratorImlEEZNS1_24adjacent_difference_implIS3_Lb1ELb0EPlSB_ZN2at6native12_GLOBAL__N_124unique_dim_cuda_templateIdEESt5tupleIJNSC_6TensorESH_SH_EERKSH_lbbbEUlllE1_EE10hipError_tPvRmT2_T3_mT4_P12ihipStream_tbEUlmE_lEESB_NS0_8identityIvEEEESM_SP_SQ_mSR_ST_bEUlT_E_NS1_11comp_targetILNS1_3genE2ELNS1_11target_archE906ELNS1_3gpuE6ELNS1_3repE0EEENS1_30default_config_static_selectorELNS0_4arch9wavefront6targetE0EEEvT1_.num_agpr, 0
	.set _ZN7rocprim17ROCPRIM_400000_NS6detail17trampoline_kernelINS0_14default_configENS1_25transform_config_selectorIlLb0EEEZNS1_14transform_implILb0ES3_S5_NS0_18transform_iteratorINS0_17counting_iteratorImlEEZNS1_24adjacent_difference_implIS3_Lb1ELb0EPlSB_ZN2at6native12_GLOBAL__N_124unique_dim_cuda_templateIdEESt5tupleIJNSC_6TensorESH_SH_EERKSH_lbbbEUlllE1_EE10hipError_tPvRmT2_T3_mT4_P12ihipStream_tbEUlmE_lEESB_NS0_8identityIvEEEESM_SP_SQ_mSR_ST_bEUlT_E_NS1_11comp_targetILNS1_3genE2ELNS1_11target_archE906ELNS1_3gpuE6ELNS1_3repE0EEENS1_30default_config_static_selectorELNS0_4arch9wavefront6targetE0EEEvT1_.numbered_sgpr, 0
	.set _ZN7rocprim17ROCPRIM_400000_NS6detail17trampoline_kernelINS0_14default_configENS1_25transform_config_selectorIlLb0EEEZNS1_14transform_implILb0ES3_S5_NS0_18transform_iteratorINS0_17counting_iteratorImlEEZNS1_24adjacent_difference_implIS3_Lb1ELb0EPlSB_ZN2at6native12_GLOBAL__N_124unique_dim_cuda_templateIdEESt5tupleIJNSC_6TensorESH_SH_EERKSH_lbbbEUlllE1_EE10hipError_tPvRmT2_T3_mT4_P12ihipStream_tbEUlmE_lEESB_NS0_8identityIvEEEESM_SP_SQ_mSR_ST_bEUlT_E_NS1_11comp_targetILNS1_3genE2ELNS1_11target_archE906ELNS1_3gpuE6ELNS1_3repE0EEENS1_30default_config_static_selectorELNS0_4arch9wavefront6targetE0EEEvT1_.num_named_barrier, 0
	.set _ZN7rocprim17ROCPRIM_400000_NS6detail17trampoline_kernelINS0_14default_configENS1_25transform_config_selectorIlLb0EEEZNS1_14transform_implILb0ES3_S5_NS0_18transform_iteratorINS0_17counting_iteratorImlEEZNS1_24adjacent_difference_implIS3_Lb1ELb0EPlSB_ZN2at6native12_GLOBAL__N_124unique_dim_cuda_templateIdEESt5tupleIJNSC_6TensorESH_SH_EERKSH_lbbbEUlllE1_EE10hipError_tPvRmT2_T3_mT4_P12ihipStream_tbEUlmE_lEESB_NS0_8identityIvEEEESM_SP_SQ_mSR_ST_bEUlT_E_NS1_11comp_targetILNS1_3genE2ELNS1_11target_archE906ELNS1_3gpuE6ELNS1_3repE0EEENS1_30default_config_static_selectorELNS0_4arch9wavefront6targetE0EEEvT1_.private_seg_size, 0
	.set _ZN7rocprim17ROCPRIM_400000_NS6detail17trampoline_kernelINS0_14default_configENS1_25transform_config_selectorIlLb0EEEZNS1_14transform_implILb0ES3_S5_NS0_18transform_iteratorINS0_17counting_iteratorImlEEZNS1_24adjacent_difference_implIS3_Lb1ELb0EPlSB_ZN2at6native12_GLOBAL__N_124unique_dim_cuda_templateIdEESt5tupleIJNSC_6TensorESH_SH_EERKSH_lbbbEUlllE1_EE10hipError_tPvRmT2_T3_mT4_P12ihipStream_tbEUlmE_lEESB_NS0_8identityIvEEEESM_SP_SQ_mSR_ST_bEUlT_E_NS1_11comp_targetILNS1_3genE2ELNS1_11target_archE906ELNS1_3gpuE6ELNS1_3repE0EEENS1_30default_config_static_selectorELNS0_4arch9wavefront6targetE0EEEvT1_.uses_vcc, 0
	.set _ZN7rocprim17ROCPRIM_400000_NS6detail17trampoline_kernelINS0_14default_configENS1_25transform_config_selectorIlLb0EEEZNS1_14transform_implILb0ES3_S5_NS0_18transform_iteratorINS0_17counting_iteratorImlEEZNS1_24adjacent_difference_implIS3_Lb1ELb0EPlSB_ZN2at6native12_GLOBAL__N_124unique_dim_cuda_templateIdEESt5tupleIJNSC_6TensorESH_SH_EERKSH_lbbbEUlllE1_EE10hipError_tPvRmT2_T3_mT4_P12ihipStream_tbEUlmE_lEESB_NS0_8identityIvEEEESM_SP_SQ_mSR_ST_bEUlT_E_NS1_11comp_targetILNS1_3genE2ELNS1_11target_archE906ELNS1_3gpuE6ELNS1_3repE0EEENS1_30default_config_static_selectorELNS0_4arch9wavefront6targetE0EEEvT1_.uses_flat_scratch, 0
	.set _ZN7rocprim17ROCPRIM_400000_NS6detail17trampoline_kernelINS0_14default_configENS1_25transform_config_selectorIlLb0EEEZNS1_14transform_implILb0ES3_S5_NS0_18transform_iteratorINS0_17counting_iteratorImlEEZNS1_24adjacent_difference_implIS3_Lb1ELb0EPlSB_ZN2at6native12_GLOBAL__N_124unique_dim_cuda_templateIdEESt5tupleIJNSC_6TensorESH_SH_EERKSH_lbbbEUlllE1_EE10hipError_tPvRmT2_T3_mT4_P12ihipStream_tbEUlmE_lEESB_NS0_8identityIvEEEESM_SP_SQ_mSR_ST_bEUlT_E_NS1_11comp_targetILNS1_3genE2ELNS1_11target_archE906ELNS1_3gpuE6ELNS1_3repE0EEENS1_30default_config_static_selectorELNS0_4arch9wavefront6targetE0EEEvT1_.has_dyn_sized_stack, 0
	.set _ZN7rocprim17ROCPRIM_400000_NS6detail17trampoline_kernelINS0_14default_configENS1_25transform_config_selectorIlLb0EEEZNS1_14transform_implILb0ES3_S5_NS0_18transform_iteratorINS0_17counting_iteratorImlEEZNS1_24adjacent_difference_implIS3_Lb1ELb0EPlSB_ZN2at6native12_GLOBAL__N_124unique_dim_cuda_templateIdEESt5tupleIJNSC_6TensorESH_SH_EERKSH_lbbbEUlllE1_EE10hipError_tPvRmT2_T3_mT4_P12ihipStream_tbEUlmE_lEESB_NS0_8identityIvEEEESM_SP_SQ_mSR_ST_bEUlT_E_NS1_11comp_targetILNS1_3genE2ELNS1_11target_archE906ELNS1_3gpuE6ELNS1_3repE0EEENS1_30default_config_static_selectorELNS0_4arch9wavefront6targetE0EEEvT1_.has_recursion, 0
	.set _ZN7rocprim17ROCPRIM_400000_NS6detail17trampoline_kernelINS0_14default_configENS1_25transform_config_selectorIlLb0EEEZNS1_14transform_implILb0ES3_S5_NS0_18transform_iteratorINS0_17counting_iteratorImlEEZNS1_24adjacent_difference_implIS3_Lb1ELb0EPlSB_ZN2at6native12_GLOBAL__N_124unique_dim_cuda_templateIdEESt5tupleIJNSC_6TensorESH_SH_EERKSH_lbbbEUlllE1_EE10hipError_tPvRmT2_T3_mT4_P12ihipStream_tbEUlmE_lEESB_NS0_8identityIvEEEESM_SP_SQ_mSR_ST_bEUlT_E_NS1_11comp_targetILNS1_3genE2ELNS1_11target_archE906ELNS1_3gpuE6ELNS1_3repE0EEENS1_30default_config_static_selectorELNS0_4arch9wavefront6targetE0EEEvT1_.has_indirect_call, 0
	.section	.AMDGPU.csdata,"",@progbits
; Kernel info:
; codeLenInByte = 0
; TotalNumSgprs: 0
; NumVgprs: 0
; ScratchSize: 0
; MemoryBound: 0
; FloatMode: 240
; IeeeMode: 1
; LDSByteSize: 0 bytes/workgroup (compile time only)
; SGPRBlocks: 0
; VGPRBlocks: 0
; NumSGPRsForWavesPerEU: 1
; NumVGPRsForWavesPerEU: 1
; NamedBarCnt: 0
; Occupancy: 16
; WaveLimiterHint : 0
; COMPUTE_PGM_RSRC2:SCRATCH_EN: 0
; COMPUTE_PGM_RSRC2:USER_SGPR: 2
; COMPUTE_PGM_RSRC2:TRAP_HANDLER: 0
; COMPUTE_PGM_RSRC2:TGID_X_EN: 1
; COMPUTE_PGM_RSRC2:TGID_Y_EN: 0
; COMPUTE_PGM_RSRC2:TGID_Z_EN: 0
; COMPUTE_PGM_RSRC2:TIDIG_COMP_CNT: 0
	.section	.text._ZN7rocprim17ROCPRIM_400000_NS6detail17trampoline_kernelINS0_14default_configENS1_25transform_config_selectorIlLb0EEEZNS1_14transform_implILb0ES3_S5_NS0_18transform_iteratorINS0_17counting_iteratorImlEEZNS1_24adjacent_difference_implIS3_Lb1ELb0EPlSB_ZN2at6native12_GLOBAL__N_124unique_dim_cuda_templateIdEESt5tupleIJNSC_6TensorESH_SH_EERKSH_lbbbEUlllE1_EE10hipError_tPvRmT2_T3_mT4_P12ihipStream_tbEUlmE_lEESB_NS0_8identityIvEEEESM_SP_SQ_mSR_ST_bEUlT_E_NS1_11comp_targetILNS1_3genE10ELNS1_11target_archE1201ELNS1_3gpuE5ELNS1_3repE0EEENS1_30default_config_static_selectorELNS0_4arch9wavefront6targetE0EEEvT1_,"axG",@progbits,_ZN7rocprim17ROCPRIM_400000_NS6detail17trampoline_kernelINS0_14default_configENS1_25transform_config_selectorIlLb0EEEZNS1_14transform_implILb0ES3_S5_NS0_18transform_iteratorINS0_17counting_iteratorImlEEZNS1_24adjacent_difference_implIS3_Lb1ELb0EPlSB_ZN2at6native12_GLOBAL__N_124unique_dim_cuda_templateIdEESt5tupleIJNSC_6TensorESH_SH_EERKSH_lbbbEUlllE1_EE10hipError_tPvRmT2_T3_mT4_P12ihipStream_tbEUlmE_lEESB_NS0_8identityIvEEEESM_SP_SQ_mSR_ST_bEUlT_E_NS1_11comp_targetILNS1_3genE10ELNS1_11target_archE1201ELNS1_3gpuE5ELNS1_3repE0EEENS1_30default_config_static_selectorELNS0_4arch9wavefront6targetE0EEEvT1_,comdat
	.globl	_ZN7rocprim17ROCPRIM_400000_NS6detail17trampoline_kernelINS0_14default_configENS1_25transform_config_selectorIlLb0EEEZNS1_14transform_implILb0ES3_S5_NS0_18transform_iteratorINS0_17counting_iteratorImlEEZNS1_24adjacent_difference_implIS3_Lb1ELb0EPlSB_ZN2at6native12_GLOBAL__N_124unique_dim_cuda_templateIdEESt5tupleIJNSC_6TensorESH_SH_EERKSH_lbbbEUlllE1_EE10hipError_tPvRmT2_T3_mT4_P12ihipStream_tbEUlmE_lEESB_NS0_8identityIvEEEESM_SP_SQ_mSR_ST_bEUlT_E_NS1_11comp_targetILNS1_3genE10ELNS1_11target_archE1201ELNS1_3gpuE5ELNS1_3repE0EEENS1_30default_config_static_selectorELNS0_4arch9wavefront6targetE0EEEvT1_ ; -- Begin function _ZN7rocprim17ROCPRIM_400000_NS6detail17trampoline_kernelINS0_14default_configENS1_25transform_config_selectorIlLb0EEEZNS1_14transform_implILb0ES3_S5_NS0_18transform_iteratorINS0_17counting_iteratorImlEEZNS1_24adjacent_difference_implIS3_Lb1ELb0EPlSB_ZN2at6native12_GLOBAL__N_124unique_dim_cuda_templateIdEESt5tupleIJNSC_6TensorESH_SH_EERKSH_lbbbEUlllE1_EE10hipError_tPvRmT2_T3_mT4_P12ihipStream_tbEUlmE_lEESB_NS0_8identityIvEEEESM_SP_SQ_mSR_ST_bEUlT_E_NS1_11comp_targetILNS1_3genE10ELNS1_11target_archE1201ELNS1_3gpuE5ELNS1_3repE0EEENS1_30default_config_static_selectorELNS0_4arch9wavefront6targetE0EEEvT1_
	.p2align	8
	.type	_ZN7rocprim17ROCPRIM_400000_NS6detail17trampoline_kernelINS0_14default_configENS1_25transform_config_selectorIlLb0EEEZNS1_14transform_implILb0ES3_S5_NS0_18transform_iteratorINS0_17counting_iteratorImlEEZNS1_24adjacent_difference_implIS3_Lb1ELb0EPlSB_ZN2at6native12_GLOBAL__N_124unique_dim_cuda_templateIdEESt5tupleIJNSC_6TensorESH_SH_EERKSH_lbbbEUlllE1_EE10hipError_tPvRmT2_T3_mT4_P12ihipStream_tbEUlmE_lEESB_NS0_8identityIvEEEESM_SP_SQ_mSR_ST_bEUlT_E_NS1_11comp_targetILNS1_3genE10ELNS1_11target_archE1201ELNS1_3gpuE5ELNS1_3repE0EEENS1_30default_config_static_selectorELNS0_4arch9wavefront6targetE0EEEvT1_,@function
_ZN7rocprim17ROCPRIM_400000_NS6detail17trampoline_kernelINS0_14default_configENS1_25transform_config_selectorIlLb0EEEZNS1_14transform_implILb0ES3_S5_NS0_18transform_iteratorINS0_17counting_iteratorImlEEZNS1_24adjacent_difference_implIS3_Lb1ELb0EPlSB_ZN2at6native12_GLOBAL__N_124unique_dim_cuda_templateIdEESt5tupleIJNSC_6TensorESH_SH_EERKSH_lbbbEUlllE1_EE10hipError_tPvRmT2_T3_mT4_P12ihipStream_tbEUlmE_lEESB_NS0_8identityIvEEEESM_SP_SQ_mSR_ST_bEUlT_E_NS1_11comp_targetILNS1_3genE10ELNS1_11target_archE1201ELNS1_3gpuE5ELNS1_3repE0EEENS1_30default_config_static_selectorELNS0_4arch9wavefront6targetE0EEEvT1_: ; @_ZN7rocprim17ROCPRIM_400000_NS6detail17trampoline_kernelINS0_14default_configENS1_25transform_config_selectorIlLb0EEEZNS1_14transform_implILb0ES3_S5_NS0_18transform_iteratorINS0_17counting_iteratorImlEEZNS1_24adjacent_difference_implIS3_Lb1ELb0EPlSB_ZN2at6native12_GLOBAL__N_124unique_dim_cuda_templateIdEESt5tupleIJNSC_6TensorESH_SH_EERKSH_lbbbEUlllE1_EE10hipError_tPvRmT2_T3_mT4_P12ihipStream_tbEUlmE_lEESB_NS0_8identityIvEEEESM_SP_SQ_mSR_ST_bEUlT_E_NS1_11comp_targetILNS1_3genE10ELNS1_11target_archE1201ELNS1_3gpuE5ELNS1_3repE0EEENS1_30default_config_static_selectorELNS0_4arch9wavefront6targetE0EEEvT1_
; %bb.0:
	.section	.rodata,"a",@progbits
	.p2align	6, 0x0
	.amdhsa_kernel _ZN7rocprim17ROCPRIM_400000_NS6detail17trampoline_kernelINS0_14default_configENS1_25transform_config_selectorIlLb0EEEZNS1_14transform_implILb0ES3_S5_NS0_18transform_iteratorINS0_17counting_iteratorImlEEZNS1_24adjacent_difference_implIS3_Lb1ELb0EPlSB_ZN2at6native12_GLOBAL__N_124unique_dim_cuda_templateIdEESt5tupleIJNSC_6TensorESH_SH_EERKSH_lbbbEUlllE1_EE10hipError_tPvRmT2_T3_mT4_P12ihipStream_tbEUlmE_lEESB_NS0_8identityIvEEEESM_SP_SQ_mSR_ST_bEUlT_E_NS1_11comp_targetILNS1_3genE10ELNS1_11target_archE1201ELNS1_3gpuE5ELNS1_3repE0EEENS1_30default_config_static_selectorELNS0_4arch9wavefront6targetE0EEEvT1_
		.amdhsa_group_segment_fixed_size 0
		.amdhsa_private_segment_fixed_size 0
		.amdhsa_kernarg_size 56
		.amdhsa_user_sgpr_count 2
		.amdhsa_user_sgpr_dispatch_ptr 0
		.amdhsa_user_sgpr_queue_ptr 0
		.amdhsa_user_sgpr_kernarg_segment_ptr 1
		.amdhsa_user_sgpr_dispatch_id 0
		.amdhsa_user_sgpr_kernarg_preload_length 0
		.amdhsa_user_sgpr_kernarg_preload_offset 0
		.amdhsa_user_sgpr_private_segment_size 0
		.amdhsa_wavefront_size32 1
		.amdhsa_uses_dynamic_stack 0
		.amdhsa_enable_private_segment 0
		.amdhsa_system_sgpr_workgroup_id_x 1
		.amdhsa_system_sgpr_workgroup_id_y 0
		.amdhsa_system_sgpr_workgroup_id_z 0
		.amdhsa_system_sgpr_workgroup_info 0
		.amdhsa_system_vgpr_workitem_id 0
		.amdhsa_next_free_vgpr 1
		.amdhsa_next_free_sgpr 1
		.amdhsa_named_barrier_count 0
		.amdhsa_reserve_vcc 0
		.amdhsa_float_round_mode_32 0
		.amdhsa_float_round_mode_16_64 0
		.amdhsa_float_denorm_mode_32 3
		.amdhsa_float_denorm_mode_16_64 3
		.amdhsa_fp16_overflow 0
		.amdhsa_memory_ordered 1
		.amdhsa_forward_progress 1
		.amdhsa_inst_pref_size 0
		.amdhsa_round_robin_scheduling 0
		.amdhsa_exception_fp_ieee_invalid_op 0
		.amdhsa_exception_fp_denorm_src 0
		.amdhsa_exception_fp_ieee_div_zero 0
		.amdhsa_exception_fp_ieee_overflow 0
		.amdhsa_exception_fp_ieee_underflow 0
		.amdhsa_exception_fp_ieee_inexact 0
		.amdhsa_exception_int_div_zero 0
	.end_amdhsa_kernel
	.section	.text._ZN7rocprim17ROCPRIM_400000_NS6detail17trampoline_kernelINS0_14default_configENS1_25transform_config_selectorIlLb0EEEZNS1_14transform_implILb0ES3_S5_NS0_18transform_iteratorINS0_17counting_iteratorImlEEZNS1_24adjacent_difference_implIS3_Lb1ELb0EPlSB_ZN2at6native12_GLOBAL__N_124unique_dim_cuda_templateIdEESt5tupleIJNSC_6TensorESH_SH_EERKSH_lbbbEUlllE1_EE10hipError_tPvRmT2_T3_mT4_P12ihipStream_tbEUlmE_lEESB_NS0_8identityIvEEEESM_SP_SQ_mSR_ST_bEUlT_E_NS1_11comp_targetILNS1_3genE10ELNS1_11target_archE1201ELNS1_3gpuE5ELNS1_3repE0EEENS1_30default_config_static_selectorELNS0_4arch9wavefront6targetE0EEEvT1_,"axG",@progbits,_ZN7rocprim17ROCPRIM_400000_NS6detail17trampoline_kernelINS0_14default_configENS1_25transform_config_selectorIlLb0EEEZNS1_14transform_implILb0ES3_S5_NS0_18transform_iteratorINS0_17counting_iteratorImlEEZNS1_24adjacent_difference_implIS3_Lb1ELb0EPlSB_ZN2at6native12_GLOBAL__N_124unique_dim_cuda_templateIdEESt5tupleIJNSC_6TensorESH_SH_EERKSH_lbbbEUlllE1_EE10hipError_tPvRmT2_T3_mT4_P12ihipStream_tbEUlmE_lEESB_NS0_8identityIvEEEESM_SP_SQ_mSR_ST_bEUlT_E_NS1_11comp_targetILNS1_3genE10ELNS1_11target_archE1201ELNS1_3gpuE5ELNS1_3repE0EEENS1_30default_config_static_selectorELNS0_4arch9wavefront6targetE0EEEvT1_,comdat
.Lfunc_end795:
	.size	_ZN7rocprim17ROCPRIM_400000_NS6detail17trampoline_kernelINS0_14default_configENS1_25transform_config_selectorIlLb0EEEZNS1_14transform_implILb0ES3_S5_NS0_18transform_iteratorINS0_17counting_iteratorImlEEZNS1_24adjacent_difference_implIS3_Lb1ELb0EPlSB_ZN2at6native12_GLOBAL__N_124unique_dim_cuda_templateIdEESt5tupleIJNSC_6TensorESH_SH_EERKSH_lbbbEUlllE1_EE10hipError_tPvRmT2_T3_mT4_P12ihipStream_tbEUlmE_lEESB_NS0_8identityIvEEEESM_SP_SQ_mSR_ST_bEUlT_E_NS1_11comp_targetILNS1_3genE10ELNS1_11target_archE1201ELNS1_3gpuE5ELNS1_3repE0EEENS1_30default_config_static_selectorELNS0_4arch9wavefront6targetE0EEEvT1_, .Lfunc_end795-_ZN7rocprim17ROCPRIM_400000_NS6detail17trampoline_kernelINS0_14default_configENS1_25transform_config_selectorIlLb0EEEZNS1_14transform_implILb0ES3_S5_NS0_18transform_iteratorINS0_17counting_iteratorImlEEZNS1_24adjacent_difference_implIS3_Lb1ELb0EPlSB_ZN2at6native12_GLOBAL__N_124unique_dim_cuda_templateIdEESt5tupleIJNSC_6TensorESH_SH_EERKSH_lbbbEUlllE1_EE10hipError_tPvRmT2_T3_mT4_P12ihipStream_tbEUlmE_lEESB_NS0_8identityIvEEEESM_SP_SQ_mSR_ST_bEUlT_E_NS1_11comp_targetILNS1_3genE10ELNS1_11target_archE1201ELNS1_3gpuE5ELNS1_3repE0EEENS1_30default_config_static_selectorELNS0_4arch9wavefront6targetE0EEEvT1_
                                        ; -- End function
	.set _ZN7rocprim17ROCPRIM_400000_NS6detail17trampoline_kernelINS0_14default_configENS1_25transform_config_selectorIlLb0EEEZNS1_14transform_implILb0ES3_S5_NS0_18transform_iteratorINS0_17counting_iteratorImlEEZNS1_24adjacent_difference_implIS3_Lb1ELb0EPlSB_ZN2at6native12_GLOBAL__N_124unique_dim_cuda_templateIdEESt5tupleIJNSC_6TensorESH_SH_EERKSH_lbbbEUlllE1_EE10hipError_tPvRmT2_T3_mT4_P12ihipStream_tbEUlmE_lEESB_NS0_8identityIvEEEESM_SP_SQ_mSR_ST_bEUlT_E_NS1_11comp_targetILNS1_3genE10ELNS1_11target_archE1201ELNS1_3gpuE5ELNS1_3repE0EEENS1_30default_config_static_selectorELNS0_4arch9wavefront6targetE0EEEvT1_.num_vgpr, 0
	.set _ZN7rocprim17ROCPRIM_400000_NS6detail17trampoline_kernelINS0_14default_configENS1_25transform_config_selectorIlLb0EEEZNS1_14transform_implILb0ES3_S5_NS0_18transform_iteratorINS0_17counting_iteratorImlEEZNS1_24adjacent_difference_implIS3_Lb1ELb0EPlSB_ZN2at6native12_GLOBAL__N_124unique_dim_cuda_templateIdEESt5tupleIJNSC_6TensorESH_SH_EERKSH_lbbbEUlllE1_EE10hipError_tPvRmT2_T3_mT4_P12ihipStream_tbEUlmE_lEESB_NS0_8identityIvEEEESM_SP_SQ_mSR_ST_bEUlT_E_NS1_11comp_targetILNS1_3genE10ELNS1_11target_archE1201ELNS1_3gpuE5ELNS1_3repE0EEENS1_30default_config_static_selectorELNS0_4arch9wavefront6targetE0EEEvT1_.num_agpr, 0
	.set _ZN7rocprim17ROCPRIM_400000_NS6detail17trampoline_kernelINS0_14default_configENS1_25transform_config_selectorIlLb0EEEZNS1_14transform_implILb0ES3_S5_NS0_18transform_iteratorINS0_17counting_iteratorImlEEZNS1_24adjacent_difference_implIS3_Lb1ELb0EPlSB_ZN2at6native12_GLOBAL__N_124unique_dim_cuda_templateIdEESt5tupleIJNSC_6TensorESH_SH_EERKSH_lbbbEUlllE1_EE10hipError_tPvRmT2_T3_mT4_P12ihipStream_tbEUlmE_lEESB_NS0_8identityIvEEEESM_SP_SQ_mSR_ST_bEUlT_E_NS1_11comp_targetILNS1_3genE10ELNS1_11target_archE1201ELNS1_3gpuE5ELNS1_3repE0EEENS1_30default_config_static_selectorELNS0_4arch9wavefront6targetE0EEEvT1_.numbered_sgpr, 0
	.set _ZN7rocprim17ROCPRIM_400000_NS6detail17trampoline_kernelINS0_14default_configENS1_25transform_config_selectorIlLb0EEEZNS1_14transform_implILb0ES3_S5_NS0_18transform_iteratorINS0_17counting_iteratorImlEEZNS1_24adjacent_difference_implIS3_Lb1ELb0EPlSB_ZN2at6native12_GLOBAL__N_124unique_dim_cuda_templateIdEESt5tupleIJNSC_6TensorESH_SH_EERKSH_lbbbEUlllE1_EE10hipError_tPvRmT2_T3_mT4_P12ihipStream_tbEUlmE_lEESB_NS0_8identityIvEEEESM_SP_SQ_mSR_ST_bEUlT_E_NS1_11comp_targetILNS1_3genE10ELNS1_11target_archE1201ELNS1_3gpuE5ELNS1_3repE0EEENS1_30default_config_static_selectorELNS0_4arch9wavefront6targetE0EEEvT1_.num_named_barrier, 0
	.set _ZN7rocprim17ROCPRIM_400000_NS6detail17trampoline_kernelINS0_14default_configENS1_25transform_config_selectorIlLb0EEEZNS1_14transform_implILb0ES3_S5_NS0_18transform_iteratorINS0_17counting_iteratorImlEEZNS1_24adjacent_difference_implIS3_Lb1ELb0EPlSB_ZN2at6native12_GLOBAL__N_124unique_dim_cuda_templateIdEESt5tupleIJNSC_6TensorESH_SH_EERKSH_lbbbEUlllE1_EE10hipError_tPvRmT2_T3_mT4_P12ihipStream_tbEUlmE_lEESB_NS0_8identityIvEEEESM_SP_SQ_mSR_ST_bEUlT_E_NS1_11comp_targetILNS1_3genE10ELNS1_11target_archE1201ELNS1_3gpuE5ELNS1_3repE0EEENS1_30default_config_static_selectorELNS0_4arch9wavefront6targetE0EEEvT1_.private_seg_size, 0
	.set _ZN7rocprim17ROCPRIM_400000_NS6detail17trampoline_kernelINS0_14default_configENS1_25transform_config_selectorIlLb0EEEZNS1_14transform_implILb0ES3_S5_NS0_18transform_iteratorINS0_17counting_iteratorImlEEZNS1_24adjacent_difference_implIS3_Lb1ELb0EPlSB_ZN2at6native12_GLOBAL__N_124unique_dim_cuda_templateIdEESt5tupleIJNSC_6TensorESH_SH_EERKSH_lbbbEUlllE1_EE10hipError_tPvRmT2_T3_mT4_P12ihipStream_tbEUlmE_lEESB_NS0_8identityIvEEEESM_SP_SQ_mSR_ST_bEUlT_E_NS1_11comp_targetILNS1_3genE10ELNS1_11target_archE1201ELNS1_3gpuE5ELNS1_3repE0EEENS1_30default_config_static_selectorELNS0_4arch9wavefront6targetE0EEEvT1_.uses_vcc, 0
	.set _ZN7rocprim17ROCPRIM_400000_NS6detail17trampoline_kernelINS0_14default_configENS1_25transform_config_selectorIlLb0EEEZNS1_14transform_implILb0ES3_S5_NS0_18transform_iteratorINS0_17counting_iteratorImlEEZNS1_24adjacent_difference_implIS3_Lb1ELb0EPlSB_ZN2at6native12_GLOBAL__N_124unique_dim_cuda_templateIdEESt5tupleIJNSC_6TensorESH_SH_EERKSH_lbbbEUlllE1_EE10hipError_tPvRmT2_T3_mT4_P12ihipStream_tbEUlmE_lEESB_NS0_8identityIvEEEESM_SP_SQ_mSR_ST_bEUlT_E_NS1_11comp_targetILNS1_3genE10ELNS1_11target_archE1201ELNS1_3gpuE5ELNS1_3repE0EEENS1_30default_config_static_selectorELNS0_4arch9wavefront6targetE0EEEvT1_.uses_flat_scratch, 0
	.set _ZN7rocprim17ROCPRIM_400000_NS6detail17trampoline_kernelINS0_14default_configENS1_25transform_config_selectorIlLb0EEEZNS1_14transform_implILb0ES3_S5_NS0_18transform_iteratorINS0_17counting_iteratorImlEEZNS1_24adjacent_difference_implIS3_Lb1ELb0EPlSB_ZN2at6native12_GLOBAL__N_124unique_dim_cuda_templateIdEESt5tupleIJNSC_6TensorESH_SH_EERKSH_lbbbEUlllE1_EE10hipError_tPvRmT2_T3_mT4_P12ihipStream_tbEUlmE_lEESB_NS0_8identityIvEEEESM_SP_SQ_mSR_ST_bEUlT_E_NS1_11comp_targetILNS1_3genE10ELNS1_11target_archE1201ELNS1_3gpuE5ELNS1_3repE0EEENS1_30default_config_static_selectorELNS0_4arch9wavefront6targetE0EEEvT1_.has_dyn_sized_stack, 0
	.set _ZN7rocprim17ROCPRIM_400000_NS6detail17trampoline_kernelINS0_14default_configENS1_25transform_config_selectorIlLb0EEEZNS1_14transform_implILb0ES3_S5_NS0_18transform_iteratorINS0_17counting_iteratorImlEEZNS1_24adjacent_difference_implIS3_Lb1ELb0EPlSB_ZN2at6native12_GLOBAL__N_124unique_dim_cuda_templateIdEESt5tupleIJNSC_6TensorESH_SH_EERKSH_lbbbEUlllE1_EE10hipError_tPvRmT2_T3_mT4_P12ihipStream_tbEUlmE_lEESB_NS0_8identityIvEEEESM_SP_SQ_mSR_ST_bEUlT_E_NS1_11comp_targetILNS1_3genE10ELNS1_11target_archE1201ELNS1_3gpuE5ELNS1_3repE0EEENS1_30default_config_static_selectorELNS0_4arch9wavefront6targetE0EEEvT1_.has_recursion, 0
	.set _ZN7rocprim17ROCPRIM_400000_NS6detail17trampoline_kernelINS0_14default_configENS1_25transform_config_selectorIlLb0EEEZNS1_14transform_implILb0ES3_S5_NS0_18transform_iteratorINS0_17counting_iteratorImlEEZNS1_24adjacent_difference_implIS3_Lb1ELb0EPlSB_ZN2at6native12_GLOBAL__N_124unique_dim_cuda_templateIdEESt5tupleIJNSC_6TensorESH_SH_EERKSH_lbbbEUlllE1_EE10hipError_tPvRmT2_T3_mT4_P12ihipStream_tbEUlmE_lEESB_NS0_8identityIvEEEESM_SP_SQ_mSR_ST_bEUlT_E_NS1_11comp_targetILNS1_3genE10ELNS1_11target_archE1201ELNS1_3gpuE5ELNS1_3repE0EEENS1_30default_config_static_selectorELNS0_4arch9wavefront6targetE0EEEvT1_.has_indirect_call, 0
	.section	.AMDGPU.csdata,"",@progbits
; Kernel info:
; codeLenInByte = 0
; TotalNumSgprs: 0
; NumVgprs: 0
; ScratchSize: 0
; MemoryBound: 0
; FloatMode: 240
; IeeeMode: 1
; LDSByteSize: 0 bytes/workgroup (compile time only)
; SGPRBlocks: 0
; VGPRBlocks: 0
; NumSGPRsForWavesPerEU: 1
; NumVGPRsForWavesPerEU: 1
; NamedBarCnt: 0
; Occupancy: 16
; WaveLimiterHint : 0
; COMPUTE_PGM_RSRC2:SCRATCH_EN: 0
; COMPUTE_PGM_RSRC2:USER_SGPR: 2
; COMPUTE_PGM_RSRC2:TRAP_HANDLER: 0
; COMPUTE_PGM_RSRC2:TGID_X_EN: 1
; COMPUTE_PGM_RSRC2:TGID_Y_EN: 0
; COMPUTE_PGM_RSRC2:TGID_Z_EN: 0
; COMPUTE_PGM_RSRC2:TIDIG_COMP_CNT: 0
	.section	.text._ZN7rocprim17ROCPRIM_400000_NS6detail17trampoline_kernelINS0_14default_configENS1_25transform_config_selectorIlLb0EEEZNS1_14transform_implILb0ES3_S5_NS0_18transform_iteratorINS0_17counting_iteratorImlEEZNS1_24adjacent_difference_implIS3_Lb1ELb0EPlSB_ZN2at6native12_GLOBAL__N_124unique_dim_cuda_templateIdEESt5tupleIJNSC_6TensorESH_SH_EERKSH_lbbbEUlllE1_EE10hipError_tPvRmT2_T3_mT4_P12ihipStream_tbEUlmE_lEESB_NS0_8identityIvEEEESM_SP_SQ_mSR_ST_bEUlT_E_NS1_11comp_targetILNS1_3genE10ELNS1_11target_archE1200ELNS1_3gpuE4ELNS1_3repE0EEENS1_30default_config_static_selectorELNS0_4arch9wavefront6targetE0EEEvT1_,"axG",@progbits,_ZN7rocprim17ROCPRIM_400000_NS6detail17trampoline_kernelINS0_14default_configENS1_25transform_config_selectorIlLb0EEEZNS1_14transform_implILb0ES3_S5_NS0_18transform_iteratorINS0_17counting_iteratorImlEEZNS1_24adjacent_difference_implIS3_Lb1ELb0EPlSB_ZN2at6native12_GLOBAL__N_124unique_dim_cuda_templateIdEESt5tupleIJNSC_6TensorESH_SH_EERKSH_lbbbEUlllE1_EE10hipError_tPvRmT2_T3_mT4_P12ihipStream_tbEUlmE_lEESB_NS0_8identityIvEEEESM_SP_SQ_mSR_ST_bEUlT_E_NS1_11comp_targetILNS1_3genE10ELNS1_11target_archE1200ELNS1_3gpuE4ELNS1_3repE0EEENS1_30default_config_static_selectorELNS0_4arch9wavefront6targetE0EEEvT1_,comdat
	.globl	_ZN7rocprim17ROCPRIM_400000_NS6detail17trampoline_kernelINS0_14default_configENS1_25transform_config_selectorIlLb0EEEZNS1_14transform_implILb0ES3_S5_NS0_18transform_iteratorINS0_17counting_iteratorImlEEZNS1_24adjacent_difference_implIS3_Lb1ELb0EPlSB_ZN2at6native12_GLOBAL__N_124unique_dim_cuda_templateIdEESt5tupleIJNSC_6TensorESH_SH_EERKSH_lbbbEUlllE1_EE10hipError_tPvRmT2_T3_mT4_P12ihipStream_tbEUlmE_lEESB_NS0_8identityIvEEEESM_SP_SQ_mSR_ST_bEUlT_E_NS1_11comp_targetILNS1_3genE10ELNS1_11target_archE1200ELNS1_3gpuE4ELNS1_3repE0EEENS1_30default_config_static_selectorELNS0_4arch9wavefront6targetE0EEEvT1_ ; -- Begin function _ZN7rocprim17ROCPRIM_400000_NS6detail17trampoline_kernelINS0_14default_configENS1_25transform_config_selectorIlLb0EEEZNS1_14transform_implILb0ES3_S5_NS0_18transform_iteratorINS0_17counting_iteratorImlEEZNS1_24adjacent_difference_implIS3_Lb1ELb0EPlSB_ZN2at6native12_GLOBAL__N_124unique_dim_cuda_templateIdEESt5tupleIJNSC_6TensorESH_SH_EERKSH_lbbbEUlllE1_EE10hipError_tPvRmT2_T3_mT4_P12ihipStream_tbEUlmE_lEESB_NS0_8identityIvEEEESM_SP_SQ_mSR_ST_bEUlT_E_NS1_11comp_targetILNS1_3genE10ELNS1_11target_archE1200ELNS1_3gpuE4ELNS1_3repE0EEENS1_30default_config_static_selectorELNS0_4arch9wavefront6targetE0EEEvT1_
	.p2align	8
	.type	_ZN7rocprim17ROCPRIM_400000_NS6detail17trampoline_kernelINS0_14default_configENS1_25transform_config_selectorIlLb0EEEZNS1_14transform_implILb0ES3_S5_NS0_18transform_iteratorINS0_17counting_iteratorImlEEZNS1_24adjacent_difference_implIS3_Lb1ELb0EPlSB_ZN2at6native12_GLOBAL__N_124unique_dim_cuda_templateIdEESt5tupleIJNSC_6TensorESH_SH_EERKSH_lbbbEUlllE1_EE10hipError_tPvRmT2_T3_mT4_P12ihipStream_tbEUlmE_lEESB_NS0_8identityIvEEEESM_SP_SQ_mSR_ST_bEUlT_E_NS1_11comp_targetILNS1_3genE10ELNS1_11target_archE1200ELNS1_3gpuE4ELNS1_3repE0EEENS1_30default_config_static_selectorELNS0_4arch9wavefront6targetE0EEEvT1_,@function
_ZN7rocprim17ROCPRIM_400000_NS6detail17trampoline_kernelINS0_14default_configENS1_25transform_config_selectorIlLb0EEEZNS1_14transform_implILb0ES3_S5_NS0_18transform_iteratorINS0_17counting_iteratorImlEEZNS1_24adjacent_difference_implIS3_Lb1ELb0EPlSB_ZN2at6native12_GLOBAL__N_124unique_dim_cuda_templateIdEESt5tupleIJNSC_6TensorESH_SH_EERKSH_lbbbEUlllE1_EE10hipError_tPvRmT2_T3_mT4_P12ihipStream_tbEUlmE_lEESB_NS0_8identityIvEEEESM_SP_SQ_mSR_ST_bEUlT_E_NS1_11comp_targetILNS1_3genE10ELNS1_11target_archE1200ELNS1_3gpuE4ELNS1_3repE0EEENS1_30default_config_static_selectorELNS0_4arch9wavefront6targetE0EEEvT1_: ; @_ZN7rocprim17ROCPRIM_400000_NS6detail17trampoline_kernelINS0_14default_configENS1_25transform_config_selectorIlLb0EEEZNS1_14transform_implILb0ES3_S5_NS0_18transform_iteratorINS0_17counting_iteratorImlEEZNS1_24adjacent_difference_implIS3_Lb1ELb0EPlSB_ZN2at6native12_GLOBAL__N_124unique_dim_cuda_templateIdEESt5tupleIJNSC_6TensorESH_SH_EERKSH_lbbbEUlllE1_EE10hipError_tPvRmT2_T3_mT4_P12ihipStream_tbEUlmE_lEESB_NS0_8identityIvEEEESM_SP_SQ_mSR_ST_bEUlT_E_NS1_11comp_targetILNS1_3genE10ELNS1_11target_archE1200ELNS1_3gpuE4ELNS1_3repE0EEENS1_30default_config_static_selectorELNS0_4arch9wavefront6targetE0EEEvT1_
; %bb.0:
	.section	.rodata,"a",@progbits
	.p2align	6, 0x0
	.amdhsa_kernel _ZN7rocprim17ROCPRIM_400000_NS6detail17trampoline_kernelINS0_14default_configENS1_25transform_config_selectorIlLb0EEEZNS1_14transform_implILb0ES3_S5_NS0_18transform_iteratorINS0_17counting_iteratorImlEEZNS1_24adjacent_difference_implIS3_Lb1ELb0EPlSB_ZN2at6native12_GLOBAL__N_124unique_dim_cuda_templateIdEESt5tupleIJNSC_6TensorESH_SH_EERKSH_lbbbEUlllE1_EE10hipError_tPvRmT2_T3_mT4_P12ihipStream_tbEUlmE_lEESB_NS0_8identityIvEEEESM_SP_SQ_mSR_ST_bEUlT_E_NS1_11comp_targetILNS1_3genE10ELNS1_11target_archE1200ELNS1_3gpuE4ELNS1_3repE0EEENS1_30default_config_static_selectorELNS0_4arch9wavefront6targetE0EEEvT1_
		.amdhsa_group_segment_fixed_size 0
		.amdhsa_private_segment_fixed_size 0
		.amdhsa_kernarg_size 56
		.amdhsa_user_sgpr_count 2
		.amdhsa_user_sgpr_dispatch_ptr 0
		.amdhsa_user_sgpr_queue_ptr 0
		.amdhsa_user_sgpr_kernarg_segment_ptr 1
		.amdhsa_user_sgpr_dispatch_id 0
		.amdhsa_user_sgpr_kernarg_preload_length 0
		.amdhsa_user_sgpr_kernarg_preload_offset 0
		.amdhsa_user_sgpr_private_segment_size 0
		.amdhsa_wavefront_size32 1
		.amdhsa_uses_dynamic_stack 0
		.amdhsa_enable_private_segment 0
		.amdhsa_system_sgpr_workgroup_id_x 1
		.amdhsa_system_sgpr_workgroup_id_y 0
		.amdhsa_system_sgpr_workgroup_id_z 0
		.amdhsa_system_sgpr_workgroup_info 0
		.amdhsa_system_vgpr_workitem_id 0
		.amdhsa_next_free_vgpr 1
		.amdhsa_next_free_sgpr 1
		.amdhsa_named_barrier_count 0
		.amdhsa_reserve_vcc 0
		.amdhsa_float_round_mode_32 0
		.amdhsa_float_round_mode_16_64 0
		.amdhsa_float_denorm_mode_32 3
		.amdhsa_float_denorm_mode_16_64 3
		.amdhsa_fp16_overflow 0
		.amdhsa_memory_ordered 1
		.amdhsa_forward_progress 1
		.amdhsa_inst_pref_size 0
		.amdhsa_round_robin_scheduling 0
		.amdhsa_exception_fp_ieee_invalid_op 0
		.amdhsa_exception_fp_denorm_src 0
		.amdhsa_exception_fp_ieee_div_zero 0
		.amdhsa_exception_fp_ieee_overflow 0
		.amdhsa_exception_fp_ieee_underflow 0
		.amdhsa_exception_fp_ieee_inexact 0
		.amdhsa_exception_int_div_zero 0
	.end_amdhsa_kernel
	.section	.text._ZN7rocprim17ROCPRIM_400000_NS6detail17trampoline_kernelINS0_14default_configENS1_25transform_config_selectorIlLb0EEEZNS1_14transform_implILb0ES3_S5_NS0_18transform_iteratorINS0_17counting_iteratorImlEEZNS1_24adjacent_difference_implIS3_Lb1ELb0EPlSB_ZN2at6native12_GLOBAL__N_124unique_dim_cuda_templateIdEESt5tupleIJNSC_6TensorESH_SH_EERKSH_lbbbEUlllE1_EE10hipError_tPvRmT2_T3_mT4_P12ihipStream_tbEUlmE_lEESB_NS0_8identityIvEEEESM_SP_SQ_mSR_ST_bEUlT_E_NS1_11comp_targetILNS1_3genE10ELNS1_11target_archE1200ELNS1_3gpuE4ELNS1_3repE0EEENS1_30default_config_static_selectorELNS0_4arch9wavefront6targetE0EEEvT1_,"axG",@progbits,_ZN7rocprim17ROCPRIM_400000_NS6detail17trampoline_kernelINS0_14default_configENS1_25transform_config_selectorIlLb0EEEZNS1_14transform_implILb0ES3_S5_NS0_18transform_iteratorINS0_17counting_iteratorImlEEZNS1_24adjacent_difference_implIS3_Lb1ELb0EPlSB_ZN2at6native12_GLOBAL__N_124unique_dim_cuda_templateIdEESt5tupleIJNSC_6TensorESH_SH_EERKSH_lbbbEUlllE1_EE10hipError_tPvRmT2_T3_mT4_P12ihipStream_tbEUlmE_lEESB_NS0_8identityIvEEEESM_SP_SQ_mSR_ST_bEUlT_E_NS1_11comp_targetILNS1_3genE10ELNS1_11target_archE1200ELNS1_3gpuE4ELNS1_3repE0EEENS1_30default_config_static_selectorELNS0_4arch9wavefront6targetE0EEEvT1_,comdat
.Lfunc_end796:
	.size	_ZN7rocprim17ROCPRIM_400000_NS6detail17trampoline_kernelINS0_14default_configENS1_25transform_config_selectorIlLb0EEEZNS1_14transform_implILb0ES3_S5_NS0_18transform_iteratorINS0_17counting_iteratorImlEEZNS1_24adjacent_difference_implIS3_Lb1ELb0EPlSB_ZN2at6native12_GLOBAL__N_124unique_dim_cuda_templateIdEESt5tupleIJNSC_6TensorESH_SH_EERKSH_lbbbEUlllE1_EE10hipError_tPvRmT2_T3_mT4_P12ihipStream_tbEUlmE_lEESB_NS0_8identityIvEEEESM_SP_SQ_mSR_ST_bEUlT_E_NS1_11comp_targetILNS1_3genE10ELNS1_11target_archE1200ELNS1_3gpuE4ELNS1_3repE0EEENS1_30default_config_static_selectorELNS0_4arch9wavefront6targetE0EEEvT1_, .Lfunc_end796-_ZN7rocprim17ROCPRIM_400000_NS6detail17trampoline_kernelINS0_14default_configENS1_25transform_config_selectorIlLb0EEEZNS1_14transform_implILb0ES3_S5_NS0_18transform_iteratorINS0_17counting_iteratorImlEEZNS1_24adjacent_difference_implIS3_Lb1ELb0EPlSB_ZN2at6native12_GLOBAL__N_124unique_dim_cuda_templateIdEESt5tupleIJNSC_6TensorESH_SH_EERKSH_lbbbEUlllE1_EE10hipError_tPvRmT2_T3_mT4_P12ihipStream_tbEUlmE_lEESB_NS0_8identityIvEEEESM_SP_SQ_mSR_ST_bEUlT_E_NS1_11comp_targetILNS1_3genE10ELNS1_11target_archE1200ELNS1_3gpuE4ELNS1_3repE0EEENS1_30default_config_static_selectorELNS0_4arch9wavefront6targetE0EEEvT1_
                                        ; -- End function
	.set _ZN7rocprim17ROCPRIM_400000_NS6detail17trampoline_kernelINS0_14default_configENS1_25transform_config_selectorIlLb0EEEZNS1_14transform_implILb0ES3_S5_NS0_18transform_iteratorINS0_17counting_iteratorImlEEZNS1_24adjacent_difference_implIS3_Lb1ELb0EPlSB_ZN2at6native12_GLOBAL__N_124unique_dim_cuda_templateIdEESt5tupleIJNSC_6TensorESH_SH_EERKSH_lbbbEUlllE1_EE10hipError_tPvRmT2_T3_mT4_P12ihipStream_tbEUlmE_lEESB_NS0_8identityIvEEEESM_SP_SQ_mSR_ST_bEUlT_E_NS1_11comp_targetILNS1_3genE10ELNS1_11target_archE1200ELNS1_3gpuE4ELNS1_3repE0EEENS1_30default_config_static_selectorELNS0_4arch9wavefront6targetE0EEEvT1_.num_vgpr, 0
	.set _ZN7rocprim17ROCPRIM_400000_NS6detail17trampoline_kernelINS0_14default_configENS1_25transform_config_selectorIlLb0EEEZNS1_14transform_implILb0ES3_S5_NS0_18transform_iteratorINS0_17counting_iteratorImlEEZNS1_24adjacent_difference_implIS3_Lb1ELb0EPlSB_ZN2at6native12_GLOBAL__N_124unique_dim_cuda_templateIdEESt5tupleIJNSC_6TensorESH_SH_EERKSH_lbbbEUlllE1_EE10hipError_tPvRmT2_T3_mT4_P12ihipStream_tbEUlmE_lEESB_NS0_8identityIvEEEESM_SP_SQ_mSR_ST_bEUlT_E_NS1_11comp_targetILNS1_3genE10ELNS1_11target_archE1200ELNS1_3gpuE4ELNS1_3repE0EEENS1_30default_config_static_selectorELNS0_4arch9wavefront6targetE0EEEvT1_.num_agpr, 0
	.set _ZN7rocprim17ROCPRIM_400000_NS6detail17trampoline_kernelINS0_14default_configENS1_25transform_config_selectorIlLb0EEEZNS1_14transform_implILb0ES3_S5_NS0_18transform_iteratorINS0_17counting_iteratorImlEEZNS1_24adjacent_difference_implIS3_Lb1ELb0EPlSB_ZN2at6native12_GLOBAL__N_124unique_dim_cuda_templateIdEESt5tupleIJNSC_6TensorESH_SH_EERKSH_lbbbEUlllE1_EE10hipError_tPvRmT2_T3_mT4_P12ihipStream_tbEUlmE_lEESB_NS0_8identityIvEEEESM_SP_SQ_mSR_ST_bEUlT_E_NS1_11comp_targetILNS1_3genE10ELNS1_11target_archE1200ELNS1_3gpuE4ELNS1_3repE0EEENS1_30default_config_static_selectorELNS0_4arch9wavefront6targetE0EEEvT1_.numbered_sgpr, 0
	.set _ZN7rocprim17ROCPRIM_400000_NS6detail17trampoline_kernelINS0_14default_configENS1_25transform_config_selectorIlLb0EEEZNS1_14transform_implILb0ES3_S5_NS0_18transform_iteratorINS0_17counting_iteratorImlEEZNS1_24adjacent_difference_implIS3_Lb1ELb0EPlSB_ZN2at6native12_GLOBAL__N_124unique_dim_cuda_templateIdEESt5tupleIJNSC_6TensorESH_SH_EERKSH_lbbbEUlllE1_EE10hipError_tPvRmT2_T3_mT4_P12ihipStream_tbEUlmE_lEESB_NS0_8identityIvEEEESM_SP_SQ_mSR_ST_bEUlT_E_NS1_11comp_targetILNS1_3genE10ELNS1_11target_archE1200ELNS1_3gpuE4ELNS1_3repE0EEENS1_30default_config_static_selectorELNS0_4arch9wavefront6targetE0EEEvT1_.num_named_barrier, 0
	.set _ZN7rocprim17ROCPRIM_400000_NS6detail17trampoline_kernelINS0_14default_configENS1_25transform_config_selectorIlLb0EEEZNS1_14transform_implILb0ES3_S5_NS0_18transform_iteratorINS0_17counting_iteratorImlEEZNS1_24adjacent_difference_implIS3_Lb1ELb0EPlSB_ZN2at6native12_GLOBAL__N_124unique_dim_cuda_templateIdEESt5tupleIJNSC_6TensorESH_SH_EERKSH_lbbbEUlllE1_EE10hipError_tPvRmT2_T3_mT4_P12ihipStream_tbEUlmE_lEESB_NS0_8identityIvEEEESM_SP_SQ_mSR_ST_bEUlT_E_NS1_11comp_targetILNS1_3genE10ELNS1_11target_archE1200ELNS1_3gpuE4ELNS1_3repE0EEENS1_30default_config_static_selectorELNS0_4arch9wavefront6targetE0EEEvT1_.private_seg_size, 0
	.set _ZN7rocprim17ROCPRIM_400000_NS6detail17trampoline_kernelINS0_14default_configENS1_25transform_config_selectorIlLb0EEEZNS1_14transform_implILb0ES3_S5_NS0_18transform_iteratorINS0_17counting_iteratorImlEEZNS1_24adjacent_difference_implIS3_Lb1ELb0EPlSB_ZN2at6native12_GLOBAL__N_124unique_dim_cuda_templateIdEESt5tupleIJNSC_6TensorESH_SH_EERKSH_lbbbEUlllE1_EE10hipError_tPvRmT2_T3_mT4_P12ihipStream_tbEUlmE_lEESB_NS0_8identityIvEEEESM_SP_SQ_mSR_ST_bEUlT_E_NS1_11comp_targetILNS1_3genE10ELNS1_11target_archE1200ELNS1_3gpuE4ELNS1_3repE0EEENS1_30default_config_static_selectorELNS0_4arch9wavefront6targetE0EEEvT1_.uses_vcc, 0
	.set _ZN7rocprim17ROCPRIM_400000_NS6detail17trampoline_kernelINS0_14default_configENS1_25transform_config_selectorIlLb0EEEZNS1_14transform_implILb0ES3_S5_NS0_18transform_iteratorINS0_17counting_iteratorImlEEZNS1_24adjacent_difference_implIS3_Lb1ELb0EPlSB_ZN2at6native12_GLOBAL__N_124unique_dim_cuda_templateIdEESt5tupleIJNSC_6TensorESH_SH_EERKSH_lbbbEUlllE1_EE10hipError_tPvRmT2_T3_mT4_P12ihipStream_tbEUlmE_lEESB_NS0_8identityIvEEEESM_SP_SQ_mSR_ST_bEUlT_E_NS1_11comp_targetILNS1_3genE10ELNS1_11target_archE1200ELNS1_3gpuE4ELNS1_3repE0EEENS1_30default_config_static_selectorELNS0_4arch9wavefront6targetE0EEEvT1_.uses_flat_scratch, 0
	.set _ZN7rocprim17ROCPRIM_400000_NS6detail17trampoline_kernelINS0_14default_configENS1_25transform_config_selectorIlLb0EEEZNS1_14transform_implILb0ES3_S5_NS0_18transform_iteratorINS0_17counting_iteratorImlEEZNS1_24adjacent_difference_implIS3_Lb1ELb0EPlSB_ZN2at6native12_GLOBAL__N_124unique_dim_cuda_templateIdEESt5tupleIJNSC_6TensorESH_SH_EERKSH_lbbbEUlllE1_EE10hipError_tPvRmT2_T3_mT4_P12ihipStream_tbEUlmE_lEESB_NS0_8identityIvEEEESM_SP_SQ_mSR_ST_bEUlT_E_NS1_11comp_targetILNS1_3genE10ELNS1_11target_archE1200ELNS1_3gpuE4ELNS1_3repE0EEENS1_30default_config_static_selectorELNS0_4arch9wavefront6targetE0EEEvT1_.has_dyn_sized_stack, 0
	.set _ZN7rocprim17ROCPRIM_400000_NS6detail17trampoline_kernelINS0_14default_configENS1_25transform_config_selectorIlLb0EEEZNS1_14transform_implILb0ES3_S5_NS0_18transform_iteratorINS0_17counting_iteratorImlEEZNS1_24adjacent_difference_implIS3_Lb1ELb0EPlSB_ZN2at6native12_GLOBAL__N_124unique_dim_cuda_templateIdEESt5tupleIJNSC_6TensorESH_SH_EERKSH_lbbbEUlllE1_EE10hipError_tPvRmT2_T3_mT4_P12ihipStream_tbEUlmE_lEESB_NS0_8identityIvEEEESM_SP_SQ_mSR_ST_bEUlT_E_NS1_11comp_targetILNS1_3genE10ELNS1_11target_archE1200ELNS1_3gpuE4ELNS1_3repE0EEENS1_30default_config_static_selectorELNS0_4arch9wavefront6targetE0EEEvT1_.has_recursion, 0
	.set _ZN7rocprim17ROCPRIM_400000_NS6detail17trampoline_kernelINS0_14default_configENS1_25transform_config_selectorIlLb0EEEZNS1_14transform_implILb0ES3_S5_NS0_18transform_iteratorINS0_17counting_iteratorImlEEZNS1_24adjacent_difference_implIS3_Lb1ELb0EPlSB_ZN2at6native12_GLOBAL__N_124unique_dim_cuda_templateIdEESt5tupleIJNSC_6TensorESH_SH_EERKSH_lbbbEUlllE1_EE10hipError_tPvRmT2_T3_mT4_P12ihipStream_tbEUlmE_lEESB_NS0_8identityIvEEEESM_SP_SQ_mSR_ST_bEUlT_E_NS1_11comp_targetILNS1_3genE10ELNS1_11target_archE1200ELNS1_3gpuE4ELNS1_3repE0EEENS1_30default_config_static_selectorELNS0_4arch9wavefront6targetE0EEEvT1_.has_indirect_call, 0
	.section	.AMDGPU.csdata,"",@progbits
; Kernel info:
; codeLenInByte = 0
; TotalNumSgprs: 0
; NumVgprs: 0
; ScratchSize: 0
; MemoryBound: 0
; FloatMode: 240
; IeeeMode: 1
; LDSByteSize: 0 bytes/workgroup (compile time only)
; SGPRBlocks: 0
; VGPRBlocks: 0
; NumSGPRsForWavesPerEU: 1
; NumVGPRsForWavesPerEU: 1
; NamedBarCnt: 0
; Occupancy: 16
; WaveLimiterHint : 0
; COMPUTE_PGM_RSRC2:SCRATCH_EN: 0
; COMPUTE_PGM_RSRC2:USER_SGPR: 2
; COMPUTE_PGM_RSRC2:TRAP_HANDLER: 0
; COMPUTE_PGM_RSRC2:TGID_X_EN: 1
; COMPUTE_PGM_RSRC2:TGID_Y_EN: 0
; COMPUTE_PGM_RSRC2:TGID_Z_EN: 0
; COMPUTE_PGM_RSRC2:TIDIG_COMP_CNT: 0
	.section	.text._ZN7rocprim17ROCPRIM_400000_NS6detail17trampoline_kernelINS0_14default_configENS1_25transform_config_selectorIlLb0EEEZNS1_14transform_implILb0ES3_S5_NS0_18transform_iteratorINS0_17counting_iteratorImlEEZNS1_24adjacent_difference_implIS3_Lb1ELb0EPlSB_ZN2at6native12_GLOBAL__N_124unique_dim_cuda_templateIdEESt5tupleIJNSC_6TensorESH_SH_EERKSH_lbbbEUlllE1_EE10hipError_tPvRmT2_T3_mT4_P12ihipStream_tbEUlmE_lEESB_NS0_8identityIvEEEESM_SP_SQ_mSR_ST_bEUlT_E_NS1_11comp_targetILNS1_3genE9ELNS1_11target_archE1100ELNS1_3gpuE3ELNS1_3repE0EEENS1_30default_config_static_selectorELNS0_4arch9wavefront6targetE0EEEvT1_,"axG",@progbits,_ZN7rocprim17ROCPRIM_400000_NS6detail17trampoline_kernelINS0_14default_configENS1_25transform_config_selectorIlLb0EEEZNS1_14transform_implILb0ES3_S5_NS0_18transform_iteratorINS0_17counting_iteratorImlEEZNS1_24adjacent_difference_implIS3_Lb1ELb0EPlSB_ZN2at6native12_GLOBAL__N_124unique_dim_cuda_templateIdEESt5tupleIJNSC_6TensorESH_SH_EERKSH_lbbbEUlllE1_EE10hipError_tPvRmT2_T3_mT4_P12ihipStream_tbEUlmE_lEESB_NS0_8identityIvEEEESM_SP_SQ_mSR_ST_bEUlT_E_NS1_11comp_targetILNS1_3genE9ELNS1_11target_archE1100ELNS1_3gpuE3ELNS1_3repE0EEENS1_30default_config_static_selectorELNS0_4arch9wavefront6targetE0EEEvT1_,comdat
	.globl	_ZN7rocprim17ROCPRIM_400000_NS6detail17trampoline_kernelINS0_14default_configENS1_25transform_config_selectorIlLb0EEEZNS1_14transform_implILb0ES3_S5_NS0_18transform_iteratorINS0_17counting_iteratorImlEEZNS1_24adjacent_difference_implIS3_Lb1ELb0EPlSB_ZN2at6native12_GLOBAL__N_124unique_dim_cuda_templateIdEESt5tupleIJNSC_6TensorESH_SH_EERKSH_lbbbEUlllE1_EE10hipError_tPvRmT2_T3_mT4_P12ihipStream_tbEUlmE_lEESB_NS0_8identityIvEEEESM_SP_SQ_mSR_ST_bEUlT_E_NS1_11comp_targetILNS1_3genE9ELNS1_11target_archE1100ELNS1_3gpuE3ELNS1_3repE0EEENS1_30default_config_static_selectorELNS0_4arch9wavefront6targetE0EEEvT1_ ; -- Begin function _ZN7rocprim17ROCPRIM_400000_NS6detail17trampoline_kernelINS0_14default_configENS1_25transform_config_selectorIlLb0EEEZNS1_14transform_implILb0ES3_S5_NS0_18transform_iteratorINS0_17counting_iteratorImlEEZNS1_24adjacent_difference_implIS3_Lb1ELb0EPlSB_ZN2at6native12_GLOBAL__N_124unique_dim_cuda_templateIdEESt5tupleIJNSC_6TensorESH_SH_EERKSH_lbbbEUlllE1_EE10hipError_tPvRmT2_T3_mT4_P12ihipStream_tbEUlmE_lEESB_NS0_8identityIvEEEESM_SP_SQ_mSR_ST_bEUlT_E_NS1_11comp_targetILNS1_3genE9ELNS1_11target_archE1100ELNS1_3gpuE3ELNS1_3repE0EEENS1_30default_config_static_selectorELNS0_4arch9wavefront6targetE0EEEvT1_
	.p2align	8
	.type	_ZN7rocprim17ROCPRIM_400000_NS6detail17trampoline_kernelINS0_14default_configENS1_25transform_config_selectorIlLb0EEEZNS1_14transform_implILb0ES3_S5_NS0_18transform_iteratorINS0_17counting_iteratorImlEEZNS1_24adjacent_difference_implIS3_Lb1ELb0EPlSB_ZN2at6native12_GLOBAL__N_124unique_dim_cuda_templateIdEESt5tupleIJNSC_6TensorESH_SH_EERKSH_lbbbEUlllE1_EE10hipError_tPvRmT2_T3_mT4_P12ihipStream_tbEUlmE_lEESB_NS0_8identityIvEEEESM_SP_SQ_mSR_ST_bEUlT_E_NS1_11comp_targetILNS1_3genE9ELNS1_11target_archE1100ELNS1_3gpuE3ELNS1_3repE0EEENS1_30default_config_static_selectorELNS0_4arch9wavefront6targetE0EEEvT1_,@function
_ZN7rocprim17ROCPRIM_400000_NS6detail17trampoline_kernelINS0_14default_configENS1_25transform_config_selectorIlLb0EEEZNS1_14transform_implILb0ES3_S5_NS0_18transform_iteratorINS0_17counting_iteratorImlEEZNS1_24adjacent_difference_implIS3_Lb1ELb0EPlSB_ZN2at6native12_GLOBAL__N_124unique_dim_cuda_templateIdEESt5tupleIJNSC_6TensorESH_SH_EERKSH_lbbbEUlllE1_EE10hipError_tPvRmT2_T3_mT4_P12ihipStream_tbEUlmE_lEESB_NS0_8identityIvEEEESM_SP_SQ_mSR_ST_bEUlT_E_NS1_11comp_targetILNS1_3genE9ELNS1_11target_archE1100ELNS1_3gpuE3ELNS1_3repE0EEENS1_30default_config_static_selectorELNS0_4arch9wavefront6targetE0EEEvT1_: ; @_ZN7rocprim17ROCPRIM_400000_NS6detail17trampoline_kernelINS0_14default_configENS1_25transform_config_selectorIlLb0EEEZNS1_14transform_implILb0ES3_S5_NS0_18transform_iteratorINS0_17counting_iteratorImlEEZNS1_24adjacent_difference_implIS3_Lb1ELb0EPlSB_ZN2at6native12_GLOBAL__N_124unique_dim_cuda_templateIdEESt5tupleIJNSC_6TensorESH_SH_EERKSH_lbbbEUlllE1_EE10hipError_tPvRmT2_T3_mT4_P12ihipStream_tbEUlmE_lEESB_NS0_8identityIvEEEESM_SP_SQ_mSR_ST_bEUlT_E_NS1_11comp_targetILNS1_3genE9ELNS1_11target_archE1100ELNS1_3gpuE3ELNS1_3repE0EEENS1_30default_config_static_selectorELNS0_4arch9wavefront6targetE0EEEvT1_
; %bb.0:
	.section	.rodata,"a",@progbits
	.p2align	6, 0x0
	.amdhsa_kernel _ZN7rocprim17ROCPRIM_400000_NS6detail17trampoline_kernelINS0_14default_configENS1_25transform_config_selectorIlLb0EEEZNS1_14transform_implILb0ES3_S5_NS0_18transform_iteratorINS0_17counting_iteratorImlEEZNS1_24adjacent_difference_implIS3_Lb1ELb0EPlSB_ZN2at6native12_GLOBAL__N_124unique_dim_cuda_templateIdEESt5tupleIJNSC_6TensorESH_SH_EERKSH_lbbbEUlllE1_EE10hipError_tPvRmT2_T3_mT4_P12ihipStream_tbEUlmE_lEESB_NS0_8identityIvEEEESM_SP_SQ_mSR_ST_bEUlT_E_NS1_11comp_targetILNS1_3genE9ELNS1_11target_archE1100ELNS1_3gpuE3ELNS1_3repE0EEENS1_30default_config_static_selectorELNS0_4arch9wavefront6targetE0EEEvT1_
		.amdhsa_group_segment_fixed_size 0
		.amdhsa_private_segment_fixed_size 0
		.amdhsa_kernarg_size 56
		.amdhsa_user_sgpr_count 2
		.amdhsa_user_sgpr_dispatch_ptr 0
		.amdhsa_user_sgpr_queue_ptr 0
		.amdhsa_user_sgpr_kernarg_segment_ptr 1
		.amdhsa_user_sgpr_dispatch_id 0
		.amdhsa_user_sgpr_kernarg_preload_length 0
		.amdhsa_user_sgpr_kernarg_preload_offset 0
		.amdhsa_user_sgpr_private_segment_size 0
		.amdhsa_wavefront_size32 1
		.amdhsa_uses_dynamic_stack 0
		.amdhsa_enable_private_segment 0
		.amdhsa_system_sgpr_workgroup_id_x 1
		.amdhsa_system_sgpr_workgroup_id_y 0
		.amdhsa_system_sgpr_workgroup_id_z 0
		.amdhsa_system_sgpr_workgroup_info 0
		.amdhsa_system_vgpr_workitem_id 0
		.amdhsa_next_free_vgpr 1
		.amdhsa_next_free_sgpr 1
		.amdhsa_named_barrier_count 0
		.amdhsa_reserve_vcc 0
		.amdhsa_float_round_mode_32 0
		.amdhsa_float_round_mode_16_64 0
		.amdhsa_float_denorm_mode_32 3
		.amdhsa_float_denorm_mode_16_64 3
		.amdhsa_fp16_overflow 0
		.amdhsa_memory_ordered 1
		.amdhsa_forward_progress 1
		.amdhsa_inst_pref_size 0
		.amdhsa_round_robin_scheduling 0
		.amdhsa_exception_fp_ieee_invalid_op 0
		.amdhsa_exception_fp_denorm_src 0
		.amdhsa_exception_fp_ieee_div_zero 0
		.amdhsa_exception_fp_ieee_overflow 0
		.amdhsa_exception_fp_ieee_underflow 0
		.amdhsa_exception_fp_ieee_inexact 0
		.amdhsa_exception_int_div_zero 0
	.end_amdhsa_kernel
	.section	.text._ZN7rocprim17ROCPRIM_400000_NS6detail17trampoline_kernelINS0_14default_configENS1_25transform_config_selectorIlLb0EEEZNS1_14transform_implILb0ES3_S5_NS0_18transform_iteratorINS0_17counting_iteratorImlEEZNS1_24adjacent_difference_implIS3_Lb1ELb0EPlSB_ZN2at6native12_GLOBAL__N_124unique_dim_cuda_templateIdEESt5tupleIJNSC_6TensorESH_SH_EERKSH_lbbbEUlllE1_EE10hipError_tPvRmT2_T3_mT4_P12ihipStream_tbEUlmE_lEESB_NS0_8identityIvEEEESM_SP_SQ_mSR_ST_bEUlT_E_NS1_11comp_targetILNS1_3genE9ELNS1_11target_archE1100ELNS1_3gpuE3ELNS1_3repE0EEENS1_30default_config_static_selectorELNS0_4arch9wavefront6targetE0EEEvT1_,"axG",@progbits,_ZN7rocprim17ROCPRIM_400000_NS6detail17trampoline_kernelINS0_14default_configENS1_25transform_config_selectorIlLb0EEEZNS1_14transform_implILb0ES3_S5_NS0_18transform_iteratorINS0_17counting_iteratorImlEEZNS1_24adjacent_difference_implIS3_Lb1ELb0EPlSB_ZN2at6native12_GLOBAL__N_124unique_dim_cuda_templateIdEESt5tupleIJNSC_6TensorESH_SH_EERKSH_lbbbEUlllE1_EE10hipError_tPvRmT2_T3_mT4_P12ihipStream_tbEUlmE_lEESB_NS0_8identityIvEEEESM_SP_SQ_mSR_ST_bEUlT_E_NS1_11comp_targetILNS1_3genE9ELNS1_11target_archE1100ELNS1_3gpuE3ELNS1_3repE0EEENS1_30default_config_static_selectorELNS0_4arch9wavefront6targetE0EEEvT1_,comdat
.Lfunc_end797:
	.size	_ZN7rocprim17ROCPRIM_400000_NS6detail17trampoline_kernelINS0_14default_configENS1_25transform_config_selectorIlLb0EEEZNS1_14transform_implILb0ES3_S5_NS0_18transform_iteratorINS0_17counting_iteratorImlEEZNS1_24adjacent_difference_implIS3_Lb1ELb0EPlSB_ZN2at6native12_GLOBAL__N_124unique_dim_cuda_templateIdEESt5tupleIJNSC_6TensorESH_SH_EERKSH_lbbbEUlllE1_EE10hipError_tPvRmT2_T3_mT4_P12ihipStream_tbEUlmE_lEESB_NS0_8identityIvEEEESM_SP_SQ_mSR_ST_bEUlT_E_NS1_11comp_targetILNS1_3genE9ELNS1_11target_archE1100ELNS1_3gpuE3ELNS1_3repE0EEENS1_30default_config_static_selectorELNS0_4arch9wavefront6targetE0EEEvT1_, .Lfunc_end797-_ZN7rocprim17ROCPRIM_400000_NS6detail17trampoline_kernelINS0_14default_configENS1_25transform_config_selectorIlLb0EEEZNS1_14transform_implILb0ES3_S5_NS0_18transform_iteratorINS0_17counting_iteratorImlEEZNS1_24adjacent_difference_implIS3_Lb1ELb0EPlSB_ZN2at6native12_GLOBAL__N_124unique_dim_cuda_templateIdEESt5tupleIJNSC_6TensorESH_SH_EERKSH_lbbbEUlllE1_EE10hipError_tPvRmT2_T3_mT4_P12ihipStream_tbEUlmE_lEESB_NS0_8identityIvEEEESM_SP_SQ_mSR_ST_bEUlT_E_NS1_11comp_targetILNS1_3genE9ELNS1_11target_archE1100ELNS1_3gpuE3ELNS1_3repE0EEENS1_30default_config_static_selectorELNS0_4arch9wavefront6targetE0EEEvT1_
                                        ; -- End function
	.set _ZN7rocprim17ROCPRIM_400000_NS6detail17trampoline_kernelINS0_14default_configENS1_25transform_config_selectorIlLb0EEEZNS1_14transform_implILb0ES3_S5_NS0_18transform_iteratorINS0_17counting_iteratorImlEEZNS1_24adjacent_difference_implIS3_Lb1ELb0EPlSB_ZN2at6native12_GLOBAL__N_124unique_dim_cuda_templateIdEESt5tupleIJNSC_6TensorESH_SH_EERKSH_lbbbEUlllE1_EE10hipError_tPvRmT2_T3_mT4_P12ihipStream_tbEUlmE_lEESB_NS0_8identityIvEEEESM_SP_SQ_mSR_ST_bEUlT_E_NS1_11comp_targetILNS1_3genE9ELNS1_11target_archE1100ELNS1_3gpuE3ELNS1_3repE0EEENS1_30default_config_static_selectorELNS0_4arch9wavefront6targetE0EEEvT1_.num_vgpr, 0
	.set _ZN7rocprim17ROCPRIM_400000_NS6detail17trampoline_kernelINS0_14default_configENS1_25transform_config_selectorIlLb0EEEZNS1_14transform_implILb0ES3_S5_NS0_18transform_iteratorINS0_17counting_iteratorImlEEZNS1_24adjacent_difference_implIS3_Lb1ELb0EPlSB_ZN2at6native12_GLOBAL__N_124unique_dim_cuda_templateIdEESt5tupleIJNSC_6TensorESH_SH_EERKSH_lbbbEUlllE1_EE10hipError_tPvRmT2_T3_mT4_P12ihipStream_tbEUlmE_lEESB_NS0_8identityIvEEEESM_SP_SQ_mSR_ST_bEUlT_E_NS1_11comp_targetILNS1_3genE9ELNS1_11target_archE1100ELNS1_3gpuE3ELNS1_3repE0EEENS1_30default_config_static_selectorELNS0_4arch9wavefront6targetE0EEEvT1_.num_agpr, 0
	.set _ZN7rocprim17ROCPRIM_400000_NS6detail17trampoline_kernelINS0_14default_configENS1_25transform_config_selectorIlLb0EEEZNS1_14transform_implILb0ES3_S5_NS0_18transform_iteratorINS0_17counting_iteratorImlEEZNS1_24adjacent_difference_implIS3_Lb1ELb0EPlSB_ZN2at6native12_GLOBAL__N_124unique_dim_cuda_templateIdEESt5tupleIJNSC_6TensorESH_SH_EERKSH_lbbbEUlllE1_EE10hipError_tPvRmT2_T3_mT4_P12ihipStream_tbEUlmE_lEESB_NS0_8identityIvEEEESM_SP_SQ_mSR_ST_bEUlT_E_NS1_11comp_targetILNS1_3genE9ELNS1_11target_archE1100ELNS1_3gpuE3ELNS1_3repE0EEENS1_30default_config_static_selectorELNS0_4arch9wavefront6targetE0EEEvT1_.numbered_sgpr, 0
	.set _ZN7rocprim17ROCPRIM_400000_NS6detail17trampoline_kernelINS0_14default_configENS1_25transform_config_selectorIlLb0EEEZNS1_14transform_implILb0ES3_S5_NS0_18transform_iteratorINS0_17counting_iteratorImlEEZNS1_24adjacent_difference_implIS3_Lb1ELb0EPlSB_ZN2at6native12_GLOBAL__N_124unique_dim_cuda_templateIdEESt5tupleIJNSC_6TensorESH_SH_EERKSH_lbbbEUlllE1_EE10hipError_tPvRmT2_T3_mT4_P12ihipStream_tbEUlmE_lEESB_NS0_8identityIvEEEESM_SP_SQ_mSR_ST_bEUlT_E_NS1_11comp_targetILNS1_3genE9ELNS1_11target_archE1100ELNS1_3gpuE3ELNS1_3repE0EEENS1_30default_config_static_selectorELNS0_4arch9wavefront6targetE0EEEvT1_.num_named_barrier, 0
	.set _ZN7rocprim17ROCPRIM_400000_NS6detail17trampoline_kernelINS0_14default_configENS1_25transform_config_selectorIlLb0EEEZNS1_14transform_implILb0ES3_S5_NS0_18transform_iteratorINS0_17counting_iteratorImlEEZNS1_24adjacent_difference_implIS3_Lb1ELb0EPlSB_ZN2at6native12_GLOBAL__N_124unique_dim_cuda_templateIdEESt5tupleIJNSC_6TensorESH_SH_EERKSH_lbbbEUlllE1_EE10hipError_tPvRmT2_T3_mT4_P12ihipStream_tbEUlmE_lEESB_NS0_8identityIvEEEESM_SP_SQ_mSR_ST_bEUlT_E_NS1_11comp_targetILNS1_3genE9ELNS1_11target_archE1100ELNS1_3gpuE3ELNS1_3repE0EEENS1_30default_config_static_selectorELNS0_4arch9wavefront6targetE0EEEvT1_.private_seg_size, 0
	.set _ZN7rocprim17ROCPRIM_400000_NS6detail17trampoline_kernelINS0_14default_configENS1_25transform_config_selectorIlLb0EEEZNS1_14transform_implILb0ES3_S5_NS0_18transform_iteratorINS0_17counting_iteratorImlEEZNS1_24adjacent_difference_implIS3_Lb1ELb0EPlSB_ZN2at6native12_GLOBAL__N_124unique_dim_cuda_templateIdEESt5tupleIJNSC_6TensorESH_SH_EERKSH_lbbbEUlllE1_EE10hipError_tPvRmT2_T3_mT4_P12ihipStream_tbEUlmE_lEESB_NS0_8identityIvEEEESM_SP_SQ_mSR_ST_bEUlT_E_NS1_11comp_targetILNS1_3genE9ELNS1_11target_archE1100ELNS1_3gpuE3ELNS1_3repE0EEENS1_30default_config_static_selectorELNS0_4arch9wavefront6targetE0EEEvT1_.uses_vcc, 0
	.set _ZN7rocprim17ROCPRIM_400000_NS6detail17trampoline_kernelINS0_14default_configENS1_25transform_config_selectorIlLb0EEEZNS1_14transform_implILb0ES3_S5_NS0_18transform_iteratorINS0_17counting_iteratorImlEEZNS1_24adjacent_difference_implIS3_Lb1ELb0EPlSB_ZN2at6native12_GLOBAL__N_124unique_dim_cuda_templateIdEESt5tupleIJNSC_6TensorESH_SH_EERKSH_lbbbEUlllE1_EE10hipError_tPvRmT2_T3_mT4_P12ihipStream_tbEUlmE_lEESB_NS0_8identityIvEEEESM_SP_SQ_mSR_ST_bEUlT_E_NS1_11comp_targetILNS1_3genE9ELNS1_11target_archE1100ELNS1_3gpuE3ELNS1_3repE0EEENS1_30default_config_static_selectorELNS0_4arch9wavefront6targetE0EEEvT1_.uses_flat_scratch, 0
	.set _ZN7rocprim17ROCPRIM_400000_NS6detail17trampoline_kernelINS0_14default_configENS1_25transform_config_selectorIlLb0EEEZNS1_14transform_implILb0ES3_S5_NS0_18transform_iteratorINS0_17counting_iteratorImlEEZNS1_24adjacent_difference_implIS3_Lb1ELb0EPlSB_ZN2at6native12_GLOBAL__N_124unique_dim_cuda_templateIdEESt5tupleIJNSC_6TensorESH_SH_EERKSH_lbbbEUlllE1_EE10hipError_tPvRmT2_T3_mT4_P12ihipStream_tbEUlmE_lEESB_NS0_8identityIvEEEESM_SP_SQ_mSR_ST_bEUlT_E_NS1_11comp_targetILNS1_3genE9ELNS1_11target_archE1100ELNS1_3gpuE3ELNS1_3repE0EEENS1_30default_config_static_selectorELNS0_4arch9wavefront6targetE0EEEvT1_.has_dyn_sized_stack, 0
	.set _ZN7rocprim17ROCPRIM_400000_NS6detail17trampoline_kernelINS0_14default_configENS1_25transform_config_selectorIlLb0EEEZNS1_14transform_implILb0ES3_S5_NS0_18transform_iteratorINS0_17counting_iteratorImlEEZNS1_24adjacent_difference_implIS3_Lb1ELb0EPlSB_ZN2at6native12_GLOBAL__N_124unique_dim_cuda_templateIdEESt5tupleIJNSC_6TensorESH_SH_EERKSH_lbbbEUlllE1_EE10hipError_tPvRmT2_T3_mT4_P12ihipStream_tbEUlmE_lEESB_NS0_8identityIvEEEESM_SP_SQ_mSR_ST_bEUlT_E_NS1_11comp_targetILNS1_3genE9ELNS1_11target_archE1100ELNS1_3gpuE3ELNS1_3repE0EEENS1_30default_config_static_selectorELNS0_4arch9wavefront6targetE0EEEvT1_.has_recursion, 0
	.set _ZN7rocprim17ROCPRIM_400000_NS6detail17trampoline_kernelINS0_14default_configENS1_25transform_config_selectorIlLb0EEEZNS1_14transform_implILb0ES3_S5_NS0_18transform_iteratorINS0_17counting_iteratorImlEEZNS1_24adjacent_difference_implIS3_Lb1ELb0EPlSB_ZN2at6native12_GLOBAL__N_124unique_dim_cuda_templateIdEESt5tupleIJNSC_6TensorESH_SH_EERKSH_lbbbEUlllE1_EE10hipError_tPvRmT2_T3_mT4_P12ihipStream_tbEUlmE_lEESB_NS0_8identityIvEEEESM_SP_SQ_mSR_ST_bEUlT_E_NS1_11comp_targetILNS1_3genE9ELNS1_11target_archE1100ELNS1_3gpuE3ELNS1_3repE0EEENS1_30default_config_static_selectorELNS0_4arch9wavefront6targetE0EEEvT1_.has_indirect_call, 0
	.section	.AMDGPU.csdata,"",@progbits
; Kernel info:
; codeLenInByte = 0
; TotalNumSgprs: 0
; NumVgprs: 0
; ScratchSize: 0
; MemoryBound: 0
; FloatMode: 240
; IeeeMode: 1
; LDSByteSize: 0 bytes/workgroup (compile time only)
; SGPRBlocks: 0
; VGPRBlocks: 0
; NumSGPRsForWavesPerEU: 1
; NumVGPRsForWavesPerEU: 1
; NamedBarCnt: 0
; Occupancy: 16
; WaveLimiterHint : 0
; COMPUTE_PGM_RSRC2:SCRATCH_EN: 0
; COMPUTE_PGM_RSRC2:USER_SGPR: 2
; COMPUTE_PGM_RSRC2:TRAP_HANDLER: 0
; COMPUTE_PGM_RSRC2:TGID_X_EN: 1
; COMPUTE_PGM_RSRC2:TGID_Y_EN: 0
; COMPUTE_PGM_RSRC2:TGID_Z_EN: 0
; COMPUTE_PGM_RSRC2:TIDIG_COMP_CNT: 0
	.section	.text._ZN7rocprim17ROCPRIM_400000_NS6detail17trampoline_kernelINS0_14default_configENS1_25transform_config_selectorIlLb0EEEZNS1_14transform_implILb0ES3_S5_NS0_18transform_iteratorINS0_17counting_iteratorImlEEZNS1_24adjacent_difference_implIS3_Lb1ELb0EPlSB_ZN2at6native12_GLOBAL__N_124unique_dim_cuda_templateIdEESt5tupleIJNSC_6TensorESH_SH_EERKSH_lbbbEUlllE1_EE10hipError_tPvRmT2_T3_mT4_P12ihipStream_tbEUlmE_lEESB_NS0_8identityIvEEEESM_SP_SQ_mSR_ST_bEUlT_E_NS1_11comp_targetILNS1_3genE8ELNS1_11target_archE1030ELNS1_3gpuE2ELNS1_3repE0EEENS1_30default_config_static_selectorELNS0_4arch9wavefront6targetE0EEEvT1_,"axG",@progbits,_ZN7rocprim17ROCPRIM_400000_NS6detail17trampoline_kernelINS0_14default_configENS1_25transform_config_selectorIlLb0EEEZNS1_14transform_implILb0ES3_S5_NS0_18transform_iteratorINS0_17counting_iteratorImlEEZNS1_24adjacent_difference_implIS3_Lb1ELb0EPlSB_ZN2at6native12_GLOBAL__N_124unique_dim_cuda_templateIdEESt5tupleIJNSC_6TensorESH_SH_EERKSH_lbbbEUlllE1_EE10hipError_tPvRmT2_T3_mT4_P12ihipStream_tbEUlmE_lEESB_NS0_8identityIvEEEESM_SP_SQ_mSR_ST_bEUlT_E_NS1_11comp_targetILNS1_3genE8ELNS1_11target_archE1030ELNS1_3gpuE2ELNS1_3repE0EEENS1_30default_config_static_selectorELNS0_4arch9wavefront6targetE0EEEvT1_,comdat
	.globl	_ZN7rocprim17ROCPRIM_400000_NS6detail17trampoline_kernelINS0_14default_configENS1_25transform_config_selectorIlLb0EEEZNS1_14transform_implILb0ES3_S5_NS0_18transform_iteratorINS0_17counting_iteratorImlEEZNS1_24adjacent_difference_implIS3_Lb1ELb0EPlSB_ZN2at6native12_GLOBAL__N_124unique_dim_cuda_templateIdEESt5tupleIJNSC_6TensorESH_SH_EERKSH_lbbbEUlllE1_EE10hipError_tPvRmT2_T3_mT4_P12ihipStream_tbEUlmE_lEESB_NS0_8identityIvEEEESM_SP_SQ_mSR_ST_bEUlT_E_NS1_11comp_targetILNS1_3genE8ELNS1_11target_archE1030ELNS1_3gpuE2ELNS1_3repE0EEENS1_30default_config_static_selectorELNS0_4arch9wavefront6targetE0EEEvT1_ ; -- Begin function _ZN7rocprim17ROCPRIM_400000_NS6detail17trampoline_kernelINS0_14default_configENS1_25transform_config_selectorIlLb0EEEZNS1_14transform_implILb0ES3_S5_NS0_18transform_iteratorINS0_17counting_iteratorImlEEZNS1_24adjacent_difference_implIS3_Lb1ELb0EPlSB_ZN2at6native12_GLOBAL__N_124unique_dim_cuda_templateIdEESt5tupleIJNSC_6TensorESH_SH_EERKSH_lbbbEUlllE1_EE10hipError_tPvRmT2_T3_mT4_P12ihipStream_tbEUlmE_lEESB_NS0_8identityIvEEEESM_SP_SQ_mSR_ST_bEUlT_E_NS1_11comp_targetILNS1_3genE8ELNS1_11target_archE1030ELNS1_3gpuE2ELNS1_3repE0EEENS1_30default_config_static_selectorELNS0_4arch9wavefront6targetE0EEEvT1_
	.p2align	8
	.type	_ZN7rocprim17ROCPRIM_400000_NS6detail17trampoline_kernelINS0_14default_configENS1_25transform_config_selectorIlLb0EEEZNS1_14transform_implILb0ES3_S5_NS0_18transform_iteratorINS0_17counting_iteratorImlEEZNS1_24adjacent_difference_implIS3_Lb1ELb0EPlSB_ZN2at6native12_GLOBAL__N_124unique_dim_cuda_templateIdEESt5tupleIJNSC_6TensorESH_SH_EERKSH_lbbbEUlllE1_EE10hipError_tPvRmT2_T3_mT4_P12ihipStream_tbEUlmE_lEESB_NS0_8identityIvEEEESM_SP_SQ_mSR_ST_bEUlT_E_NS1_11comp_targetILNS1_3genE8ELNS1_11target_archE1030ELNS1_3gpuE2ELNS1_3repE0EEENS1_30default_config_static_selectorELNS0_4arch9wavefront6targetE0EEEvT1_,@function
_ZN7rocprim17ROCPRIM_400000_NS6detail17trampoline_kernelINS0_14default_configENS1_25transform_config_selectorIlLb0EEEZNS1_14transform_implILb0ES3_S5_NS0_18transform_iteratorINS0_17counting_iteratorImlEEZNS1_24adjacent_difference_implIS3_Lb1ELb0EPlSB_ZN2at6native12_GLOBAL__N_124unique_dim_cuda_templateIdEESt5tupleIJNSC_6TensorESH_SH_EERKSH_lbbbEUlllE1_EE10hipError_tPvRmT2_T3_mT4_P12ihipStream_tbEUlmE_lEESB_NS0_8identityIvEEEESM_SP_SQ_mSR_ST_bEUlT_E_NS1_11comp_targetILNS1_3genE8ELNS1_11target_archE1030ELNS1_3gpuE2ELNS1_3repE0EEENS1_30default_config_static_selectorELNS0_4arch9wavefront6targetE0EEEvT1_: ; @_ZN7rocprim17ROCPRIM_400000_NS6detail17trampoline_kernelINS0_14default_configENS1_25transform_config_selectorIlLb0EEEZNS1_14transform_implILb0ES3_S5_NS0_18transform_iteratorINS0_17counting_iteratorImlEEZNS1_24adjacent_difference_implIS3_Lb1ELb0EPlSB_ZN2at6native12_GLOBAL__N_124unique_dim_cuda_templateIdEESt5tupleIJNSC_6TensorESH_SH_EERKSH_lbbbEUlllE1_EE10hipError_tPvRmT2_T3_mT4_P12ihipStream_tbEUlmE_lEESB_NS0_8identityIvEEEESM_SP_SQ_mSR_ST_bEUlT_E_NS1_11comp_targetILNS1_3genE8ELNS1_11target_archE1030ELNS1_3gpuE2ELNS1_3repE0EEENS1_30default_config_static_selectorELNS0_4arch9wavefront6targetE0EEEvT1_
; %bb.0:
	.section	.rodata,"a",@progbits
	.p2align	6, 0x0
	.amdhsa_kernel _ZN7rocprim17ROCPRIM_400000_NS6detail17trampoline_kernelINS0_14default_configENS1_25transform_config_selectorIlLb0EEEZNS1_14transform_implILb0ES3_S5_NS0_18transform_iteratorINS0_17counting_iteratorImlEEZNS1_24adjacent_difference_implIS3_Lb1ELb0EPlSB_ZN2at6native12_GLOBAL__N_124unique_dim_cuda_templateIdEESt5tupleIJNSC_6TensorESH_SH_EERKSH_lbbbEUlllE1_EE10hipError_tPvRmT2_T3_mT4_P12ihipStream_tbEUlmE_lEESB_NS0_8identityIvEEEESM_SP_SQ_mSR_ST_bEUlT_E_NS1_11comp_targetILNS1_3genE8ELNS1_11target_archE1030ELNS1_3gpuE2ELNS1_3repE0EEENS1_30default_config_static_selectorELNS0_4arch9wavefront6targetE0EEEvT1_
		.amdhsa_group_segment_fixed_size 0
		.amdhsa_private_segment_fixed_size 0
		.amdhsa_kernarg_size 56
		.amdhsa_user_sgpr_count 2
		.amdhsa_user_sgpr_dispatch_ptr 0
		.amdhsa_user_sgpr_queue_ptr 0
		.amdhsa_user_sgpr_kernarg_segment_ptr 1
		.amdhsa_user_sgpr_dispatch_id 0
		.amdhsa_user_sgpr_kernarg_preload_length 0
		.amdhsa_user_sgpr_kernarg_preload_offset 0
		.amdhsa_user_sgpr_private_segment_size 0
		.amdhsa_wavefront_size32 1
		.amdhsa_uses_dynamic_stack 0
		.amdhsa_enable_private_segment 0
		.amdhsa_system_sgpr_workgroup_id_x 1
		.amdhsa_system_sgpr_workgroup_id_y 0
		.amdhsa_system_sgpr_workgroup_id_z 0
		.amdhsa_system_sgpr_workgroup_info 0
		.amdhsa_system_vgpr_workitem_id 0
		.amdhsa_next_free_vgpr 1
		.amdhsa_next_free_sgpr 1
		.amdhsa_named_barrier_count 0
		.amdhsa_reserve_vcc 0
		.amdhsa_float_round_mode_32 0
		.amdhsa_float_round_mode_16_64 0
		.amdhsa_float_denorm_mode_32 3
		.amdhsa_float_denorm_mode_16_64 3
		.amdhsa_fp16_overflow 0
		.amdhsa_memory_ordered 1
		.amdhsa_forward_progress 1
		.amdhsa_inst_pref_size 0
		.amdhsa_round_robin_scheduling 0
		.amdhsa_exception_fp_ieee_invalid_op 0
		.amdhsa_exception_fp_denorm_src 0
		.amdhsa_exception_fp_ieee_div_zero 0
		.amdhsa_exception_fp_ieee_overflow 0
		.amdhsa_exception_fp_ieee_underflow 0
		.amdhsa_exception_fp_ieee_inexact 0
		.amdhsa_exception_int_div_zero 0
	.end_amdhsa_kernel
	.section	.text._ZN7rocprim17ROCPRIM_400000_NS6detail17trampoline_kernelINS0_14default_configENS1_25transform_config_selectorIlLb0EEEZNS1_14transform_implILb0ES3_S5_NS0_18transform_iteratorINS0_17counting_iteratorImlEEZNS1_24adjacent_difference_implIS3_Lb1ELb0EPlSB_ZN2at6native12_GLOBAL__N_124unique_dim_cuda_templateIdEESt5tupleIJNSC_6TensorESH_SH_EERKSH_lbbbEUlllE1_EE10hipError_tPvRmT2_T3_mT4_P12ihipStream_tbEUlmE_lEESB_NS0_8identityIvEEEESM_SP_SQ_mSR_ST_bEUlT_E_NS1_11comp_targetILNS1_3genE8ELNS1_11target_archE1030ELNS1_3gpuE2ELNS1_3repE0EEENS1_30default_config_static_selectorELNS0_4arch9wavefront6targetE0EEEvT1_,"axG",@progbits,_ZN7rocprim17ROCPRIM_400000_NS6detail17trampoline_kernelINS0_14default_configENS1_25transform_config_selectorIlLb0EEEZNS1_14transform_implILb0ES3_S5_NS0_18transform_iteratorINS0_17counting_iteratorImlEEZNS1_24adjacent_difference_implIS3_Lb1ELb0EPlSB_ZN2at6native12_GLOBAL__N_124unique_dim_cuda_templateIdEESt5tupleIJNSC_6TensorESH_SH_EERKSH_lbbbEUlllE1_EE10hipError_tPvRmT2_T3_mT4_P12ihipStream_tbEUlmE_lEESB_NS0_8identityIvEEEESM_SP_SQ_mSR_ST_bEUlT_E_NS1_11comp_targetILNS1_3genE8ELNS1_11target_archE1030ELNS1_3gpuE2ELNS1_3repE0EEENS1_30default_config_static_selectorELNS0_4arch9wavefront6targetE0EEEvT1_,comdat
.Lfunc_end798:
	.size	_ZN7rocprim17ROCPRIM_400000_NS6detail17trampoline_kernelINS0_14default_configENS1_25transform_config_selectorIlLb0EEEZNS1_14transform_implILb0ES3_S5_NS0_18transform_iteratorINS0_17counting_iteratorImlEEZNS1_24adjacent_difference_implIS3_Lb1ELb0EPlSB_ZN2at6native12_GLOBAL__N_124unique_dim_cuda_templateIdEESt5tupleIJNSC_6TensorESH_SH_EERKSH_lbbbEUlllE1_EE10hipError_tPvRmT2_T3_mT4_P12ihipStream_tbEUlmE_lEESB_NS0_8identityIvEEEESM_SP_SQ_mSR_ST_bEUlT_E_NS1_11comp_targetILNS1_3genE8ELNS1_11target_archE1030ELNS1_3gpuE2ELNS1_3repE0EEENS1_30default_config_static_selectorELNS0_4arch9wavefront6targetE0EEEvT1_, .Lfunc_end798-_ZN7rocprim17ROCPRIM_400000_NS6detail17trampoline_kernelINS0_14default_configENS1_25transform_config_selectorIlLb0EEEZNS1_14transform_implILb0ES3_S5_NS0_18transform_iteratorINS0_17counting_iteratorImlEEZNS1_24adjacent_difference_implIS3_Lb1ELb0EPlSB_ZN2at6native12_GLOBAL__N_124unique_dim_cuda_templateIdEESt5tupleIJNSC_6TensorESH_SH_EERKSH_lbbbEUlllE1_EE10hipError_tPvRmT2_T3_mT4_P12ihipStream_tbEUlmE_lEESB_NS0_8identityIvEEEESM_SP_SQ_mSR_ST_bEUlT_E_NS1_11comp_targetILNS1_3genE8ELNS1_11target_archE1030ELNS1_3gpuE2ELNS1_3repE0EEENS1_30default_config_static_selectorELNS0_4arch9wavefront6targetE0EEEvT1_
                                        ; -- End function
	.set _ZN7rocprim17ROCPRIM_400000_NS6detail17trampoline_kernelINS0_14default_configENS1_25transform_config_selectorIlLb0EEEZNS1_14transform_implILb0ES3_S5_NS0_18transform_iteratorINS0_17counting_iteratorImlEEZNS1_24adjacent_difference_implIS3_Lb1ELb0EPlSB_ZN2at6native12_GLOBAL__N_124unique_dim_cuda_templateIdEESt5tupleIJNSC_6TensorESH_SH_EERKSH_lbbbEUlllE1_EE10hipError_tPvRmT2_T3_mT4_P12ihipStream_tbEUlmE_lEESB_NS0_8identityIvEEEESM_SP_SQ_mSR_ST_bEUlT_E_NS1_11comp_targetILNS1_3genE8ELNS1_11target_archE1030ELNS1_3gpuE2ELNS1_3repE0EEENS1_30default_config_static_selectorELNS0_4arch9wavefront6targetE0EEEvT1_.num_vgpr, 0
	.set _ZN7rocprim17ROCPRIM_400000_NS6detail17trampoline_kernelINS0_14default_configENS1_25transform_config_selectorIlLb0EEEZNS1_14transform_implILb0ES3_S5_NS0_18transform_iteratorINS0_17counting_iteratorImlEEZNS1_24adjacent_difference_implIS3_Lb1ELb0EPlSB_ZN2at6native12_GLOBAL__N_124unique_dim_cuda_templateIdEESt5tupleIJNSC_6TensorESH_SH_EERKSH_lbbbEUlllE1_EE10hipError_tPvRmT2_T3_mT4_P12ihipStream_tbEUlmE_lEESB_NS0_8identityIvEEEESM_SP_SQ_mSR_ST_bEUlT_E_NS1_11comp_targetILNS1_3genE8ELNS1_11target_archE1030ELNS1_3gpuE2ELNS1_3repE0EEENS1_30default_config_static_selectorELNS0_4arch9wavefront6targetE0EEEvT1_.num_agpr, 0
	.set _ZN7rocprim17ROCPRIM_400000_NS6detail17trampoline_kernelINS0_14default_configENS1_25transform_config_selectorIlLb0EEEZNS1_14transform_implILb0ES3_S5_NS0_18transform_iteratorINS0_17counting_iteratorImlEEZNS1_24adjacent_difference_implIS3_Lb1ELb0EPlSB_ZN2at6native12_GLOBAL__N_124unique_dim_cuda_templateIdEESt5tupleIJNSC_6TensorESH_SH_EERKSH_lbbbEUlllE1_EE10hipError_tPvRmT2_T3_mT4_P12ihipStream_tbEUlmE_lEESB_NS0_8identityIvEEEESM_SP_SQ_mSR_ST_bEUlT_E_NS1_11comp_targetILNS1_3genE8ELNS1_11target_archE1030ELNS1_3gpuE2ELNS1_3repE0EEENS1_30default_config_static_selectorELNS0_4arch9wavefront6targetE0EEEvT1_.numbered_sgpr, 0
	.set _ZN7rocprim17ROCPRIM_400000_NS6detail17trampoline_kernelINS0_14default_configENS1_25transform_config_selectorIlLb0EEEZNS1_14transform_implILb0ES3_S5_NS0_18transform_iteratorINS0_17counting_iteratorImlEEZNS1_24adjacent_difference_implIS3_Lb1ELb0EPlSB_ZN2at6native12_GLOBAL__N_124unique_dim_cuda_templateIdEESt5tupleIJNSC_6TensorESH_SH_EERKSH_lbbbEUlllE1_EE10hipError_tPvRmT2_T3_mT4_P12ihipStream_tbEUlmE_lEESB_NS0_8identityIvEEEESM_SP_SQ_mSR_ST_bEUlT_E_NS1_11comp_targetILNS1_3genE8ELNS1_11target_archE1030ELNS1_3gpuE2ELNS1_3repE0EEENS1_30default_config_static_selectorELNS0_4arch9wavefront6targetE0EEEvT1_.num_named_barrier, 0
	.set _ZN7rocprim17ROCPRIM_400000_NS6detail17trampoline_kernelINS0_14default_configENS1_25transform_config_selectorIlLb0EEEZNS1_14transform_implILb0ES3_S5_NS0_18transform_iteratorINS0_17counting_iteratorImlEEZNS1_24adjacent_difference_implIS3_Lb1ELb0EPlSB_ZN2at6native12_GLOBAL__N_124unique_dim_cuda_templateIdEESt5tupleIJNSC_6TensorESH_SH_EERKSH_lbbbEUlllE1_EE10hipError_tPvRmT2_T3_mT4_P12ihipStream_tbEUlmE_lEESB_NS0_8identityIvEEEESM_SP_SQ_mSR_ST_bEUlT_E_NS1_11comp_targetILNS1_3genE8ELNS1_11target_archE1030ELNS1_3gpuE2ELNS1_3repE0EEENS1_30default_config_static_selectorELNS0_4arch9wavefront6targetE0EEEvT1_.private_seg_size, 0
	.set _ZN7rocprim17ROCPRIM_400000_NS6detail17trampoline_kernelINS0_14default_configENS1_25transform_config_selectorIlLb0EEEZNS1_14transform_implILb0ES3_S5_NS0_18transform_iteratorINS0_17counting_iteratorImlEEZNS1_24adjacent_difference_implIS3_Lb1ELb0EPlSB_ZN2at6native12_GLOBAL__N_124unique_dim_cuda_templateIdEESt5tupleIJNSC_6TensorESH_SH_EERKSH_lbbbEUlllE1_EE10hipError_tPvRmT2_T3_mT4_P12ihipStream_tbEUlmE_lEESB_NS0_8identityIvEEEESM_SP_SQ_mSR_ST_bEUlT_E_NS1_11comp_targetILNS1_3genE8ELNS1_11target_archE1030ELNS1_3gpuE2ELNS1_3repE0EEENS1_30default_config_static_selectorELNS0_4arch9wavefront6targetE0EEEvT1_.uses_vcc, 0
	.set _ZN7rocprim17ROCPRIM_400000_NS6detail17trampoline_kernelINS0_14default_configENS1_25transform_config_selectorIlLb0EEEZNS1_14transform_implILb0ES3_S5_NS0_18transform_iteratorINS0_17counting_iteratorImlEEZNS1_24adjacent_difference_implIS3_Lb1ELb0EPlSB_ZN2at6native12_GLOBAL__N_124unique_dim_cuda_templateIdEESt5tupleIJNSC_6TensorESH_SH_EERKSH_lbbbEUlllE1_EE10hipError_tPvRmT2_T3_mT4_P12ihipStream_tbEUlmE_lEESB_NS0_8identityIvEEEESM_SP_SQ_mSR_ST_bEUlT_E_NS1_11comp_targetILNS1_3genE8ELNS1_11target_archE1030ELNS1_3gpuE2ELNS1_3repE0EEENS1_30default_config_static_selectorELNS0_4arch9wavefront6targetE0EEEvT1_.uses_flat_scratch, 0
	.set _ZN7rocprim17ROCPRIM_400000_NS6detail17trampoline_kernelINS0_14default_configENS1_25transform_config_selectorIlLb0EEEZNS1_14transform_implILb0ES3_S5_NS0_18transform_iteratorINS0_17counting_iteratorImlEEZNS1_24adjacent_difference_implIS3_Lb1ELb0EPlSB_ZN2at6native12_GLOBAL__N_124unique_dim_cuda_templateIdEESt5tupleIJNSC_6TensorESH_SH_EERKSH_lbbbEUlllE1_EE10hipError_tPvRmT2_T3_mT4_P12ihipStream_tbEUlmE_lEESB_NS0_8identityIvEEEESM_SP_SQ_mSR_ST_bEUlT_E_NS1_11comp_targetILNS1_3genE8ELNS1_11target_archE1030ELNS1_3gpuE2ELNS1_3repE0EEENS1_30default_config_static_selectorELNS0_4arch9wavefront6targetE0EEEvT1_.has_dyn_sized_stack, 0
	.set _ZN7rocprim17ROCPRIM_400000_NS6detail17trampoline_kernelINS0_14default_configENS1_25transform_config_selectorIlLb0EEEZNS1_14transform_implILb0ES3_S5_NS0_18transform_iteratorINS0_17counting_iteratorImlEEZNS1_24adjacent_difference_implIS3_Lb1ELb0EPlSB_ZN2at6native12_GLOBAL__N_124unique_dim_cuda_templateIdEESt5tupleIJNSC_6TensorESH_SH_EERKSH_lbbbEUlllE1_EE10hipError_tPvRmT2_T3_mT4_P12ihipStream_tbEUlmE_lEESB_NS0_8identityIvEEEESM_SP_SQ_mSR_ST_bEUlT_E_NS1_11comp_targetILNS1_3genE8ELNS1_11target_archE1030ELNS1_3gpuE2ELNS1_3repE0EEENS1_30default_config_static_selectorELNS0_4arch9wavefront6targetE0EEEvT1_.has_recursion, 0
	.set _ZN7rocprim17ROCPRIM_400000_NS6detail17trampoline_kernelINS0_14default_configENS1_25transform_config_selectorIlLb0EEEZNS1_14transform_implILb0ES3_S5_NS0_18transform_iteratorINS0_17counting_iteratorImlEEZNS1_24adjacent_difference_implIS3_Lb1ELb0EPlSB_ZN2at6native12_GLOBAL__N_124unique_dim_cuda_templateIdEESt5tupleIJNSC_6TensorESH_SH_EERKSH_lbbbEUlllE1_EE10hipError_tPvRmT2_T3_mT4_P12ihipStream_tbEUlmE_lEESB_NS0_8identityIvEEEESM_SP_SQ_mSR_ST_bEUlT_E_NS1_11comp_targetILNS1_3genE8ELNS1_11target_archE1030ELNS1_3gpuE2ELNS1_3repE0EEENS1_30default_config_static_selectorELNS0_4arch9wavefront6targetE0EEEvT1_.has_indirect_call, 0
	.section	.AMDGPU.csdata,"",@progbits
; Kernel info:
; codeLenInByte = 0
; TotalNumSgprs: 0
; NumVgprs: 0
; ScratchSize: 0
; MemoryBound: 0
; FloatMode: 240
; IeeeMode: 1
; LDSByteSize: 0 bytes/workgroup (compile time only)
; SGPRBlocks: 0
; VGPRBlocks: 0
; NumSGPRsForWavesPerEU: 1
; NumVGPRsForWavesPerEU: 1
; NamedBarCnt: 0
; Occupancy: 16
; WaveLimiterHint : 0
; COMPUTE_PGM_RSRC2:SCRATCH_EN: 0
; COMPUTE_PGM_RSRC2:USER_SGPR: 2
; COMPUTE_PGM_RSRC2:TRAP_HANDLER: 0
; COMPUTE_PGM_RSRC2:TGID_X_EN: 1
; COMPUTE_PGM_RSRC2:TGID_Y_EN: 0
; COMPUTE_PGM_RSRC2:TGID_Z_EN: 0
; COMPUTE_PGM_RSRC2:TIDIG_COMP_CNT: 0
	.section	.text._ZN7rocprim17ROCPRIM_400000_NS6detail17trampoline_kernelINS0_14default_configENS1_35adjacent_difference_config_selectorILb1ElEEZNS1_24adjacent_difference_implIS3_Lb1ELb0EPlS7_ZN2at6native12_GLOBAL__N_124unique_dim_cuda_templateIdEESt5tupleIJNS8_6TensorESD_SD_EERKSD_lbbbEUlllE1_EE10hipError_tPvRmT2_T3_mT4_P12ihipStream_tbEUlT_E_NS1_11comp_targetILNS1_3genE0ELNS1_11target_archE4294967295ELNS1_3gpuE0ELNS1_3repE0EEENS1_30default_config_static_selectorELNS0_4arch9wavefront6targetE0EEEvT1_,"axG",@progbits,_ZN7rocprim17ROCPRIM_400000_NS6detail17trampoline_kernelINS0_14default_configENS1_35adjacent_difference_config_selectorILb1ElEEZNS1_24adjacent_difference_implIS3_Lb1ELb0EPlS7_ZN2at6native12_GLOBAL__N_124unique_dim_cuda_templateIdEESt5tupleIJNS8_6TensorESD_SD_EERKSD_lbbbEUlllE1_EE10hipError_tPvRmT2_T3_mT4_P12ihipStream_tbEUlT_E_NS1_11comp_targetILNS1_3genE0ELNS1_11target_archE4294967295ELNS1_3gpuE0ELNS1_3repE0EEENS1_30default_config_static_selectorELNS0_4arch9wavefront6targetE0EEEvT1_,comdat
	.globl	_ZN7rocprim17ROCPRIM_400000_NS6detail17trampoline_kernelINS0_14default_configENS1_35adjacent_difference_config_selectorILb1ElEEZNS1_24adjacent_difference_implIS3_Lb1ELb0EPlS7_ZN2at6native12_GLOBAL__N_124unique_dim_cuda_templateIdEESt5tupleIJNS8_6TensorESD_SD_EERKSD_lbbbEUlllE1_EE10hipError_tPvRmT2_T3_mT4_P12ihipStream_tbEUlT_E_NS1_11comp_targetILNS1_3genE0ELNS1_11target_archE4294967295ELNS1_3gpuE0ELNS1_3repE0EEENS1_30default_config_static_selectorELNS0_4arch9wavefront6targetE0EEEvT1_ ; -- Begin function _ZN7rocprim17ROCPRIM_400000_NS6detail17trampoline_kernelINS0_14default_configENS1_35adjacent_difference_config_selectorILb1ElEEZNS1_24adjacent_difference_implIS3_Lb1ELb0EPlS7_ZN2at6native12_GLOBAL__N_124unique_dim_cuda_templateIdEESt5tupleIJNS8_6TensorESD_SD_EERKSD_lbbbEUlllE1_EE10hipError_tPvRmT2_T3_mT4_P12ihipStream_tbEUlT_E_NS1_11comp_targetILNS1_3genE0ELNS1_11target_archE4294967295ELNS1_3gpuE0ELNS1_3repE0EEENS1_30default_config_static_selectorELNS0_4arch9wavefront6targetE0EEEvT1_
	.p2align	8
	.type	_ZN7rocprim17ROCPRIM_400000_NS6detail17trampoline_kernelINS0_14default_configENS1_35adjacent_difference_config_selectorILb1ElEEZNS1_24adjacent_difference_implIS3_Lb1ELb0EPlS7_ZN2at6native12_GLOBAL__N_124unique_dim_cuda_templateIdEESt5tupleIJNS8_6TensorESD_SD_EERKSD_lbbbEUlllE1_EE10hipError_tPvRmT2_T3_mT4_P12ihipStream_tbEUlT_E_NS1_11comp_targetILNS1_3genE0ELNS1_11target_archE4294967295ELNS1_3gpuE0ELNS1_3repE0EEENS1_30default_config_static_selectorELNS0_4arch9wavefront6targetE0EEEvT1_,@function
_ZN7rocprim17ROCPRIM_400000_NS6detail17trampoline_kernelINS0_14default_configENS1_35adjacent_difference_config_selectorILb1ElEEZNS1_24adjacent_difference_implIS3_Lb1ELb0EPlS7_ZN2at6native12_GLOBAL__N_124unique_dim_cuda_templateIdEESt5tupleIJNS8_6TensorESD_SD_EERKSD_lbbbEUlllE1_EE10hipError_tPvRmT2_T3_mT4_P12ihipStream_tbEUlT_E_NS1_11comp_targetILNS1_3genE0ELNS1_11target_archE4294967295ELNS1_3gpuE0ELNS1_3repE0EEENS1_30default_config_static_selectorELNS0_4arch9wavefront6targetE0EEEvT1_: ; @_ZN7rocprim17ROCPRIM_400000_NS6detail17trampoline_kernelINS0_14default_configENS1_35adjacent_difference_config_selectorILb1ElEEZNS1_24adjacent_difference_implIS3_Lb1ELb0EPlS7_ZN2at6native12_GLOBAL__N_124unique_dim_cuda_templateIdEESt5tupleIJNS8_6TensorESD_SD_EERKSD_lbbbEUlllE1_EE10hipError_tPvRmT2_T3_mT4_P12ihipStream_tbEUlT_E_NS1_11comp_targetILNS1_3genE0ELNS1_11target_archE4294967295ELNS1_3gpuE0ELNS1_3repE0EEENS1_30default_config_static_selectorELNS0_4arch9wavefront6targetE0EEEvT1_
; %bb.0:
	s_load_b512 s[4:19], s[0:1], 0x0
	s_wait_xcnt 0x0
	s_bfe_u32 s0, ttmp6, 0x4000c
	s_and_b32 s1, ttmp6, 15
	s_add_co_i32 s0, s0, 1
	s_getreg_b32 s2, hwreg(HW_REG_IB_STS2, 6, 4)
	s_mul_i32 s0, ttmp9, s0
	s_mov_b32 s25, 0
	s_add_co_i32 s1, s1, s0
	s_wait_kmcnt 0x0
	s_lshl_b64 s[20:21], s[6:7], 3
	s_cmp_eq_u32 s2, 0
	s_add_nc_u64 s[4:5], s[4:5], s[20:21]
	s_cselect_b32 s3, ttmp9, s1
	s_and_b64 s[6:7], s[10:11], 0x3ff
	s_lshr_b64 s[0:1], s[10:11], 10
	s_lshl_b32 s2, s3, 10
	s_cmp_lg_u64 s[6:7], 0
	s_cselect_b32 s6, -1, 0
	s_delay_alu instid0(SALU_CYCLE_1) | instskip(NEXT) | instid1(VALU_DEP_1)
	v_cndmask_b32_e64 v1, 0, 1, s6
	v_readfirstlane_b32 s24, v1
	s_add_nc_u64 s[0:1], s[0:1], s[24:25]
	s_mov_b32 s24, s3
	s_add_nc_u64 s[6:7], s[0:1], -1
	s_add_nc_u64 s[22:23], s[18:19], s[24:25]
	s_mov_b32 s3, -1
	v_cmp_ge_u64_e64 s11, s[22:23], s[6:7]
	s_and_b32 vcc_lo, exec_lo, s11
	s_cbranch_vccz .LBB799_6
; %bb.1:
	v_mov_b32_e32 v2, 0
	s_lshl_b32 s3, s6, 10
	s_delay_alu instid0(SALU_CYCLE_1) | instskip(SKIP_1) | instid1(VALU_DEP_1)
	s_sub_co_i32 s28, s10, s3
	s_mov_b32 s3, s25
	v_dual_mov_b32 v3, v2 :: v_dual_mov_b32 v4, v2
	v_mov_b32_e32 v5, v2
	s_lshl_b64 s[26:27], s[2:3], 3
	s_mov_b32 s3, exec_lo
	s_add_nc_u64 s[26:27], s[4:5], s[26:27]
	v_cmpx_gt_u32_e64 s28, v0
	s_cbranch_execz .LBB799_3
; %bb.2:
	global_load_b64 v[4:5], v0, s[26:27] scale_offset
	v_dual_mov_b32 v6, v2 :: v_dual_mov_b32 v7, v2
	s_wait_loadcnt 0x0
	v_mov_b64_e32 v[2:3], v[4:5]
	s_delay_alu instid0(VALU_DEP_2)
	v_mov_b64_e32 v[4:5], v[6:7]
.LBB799_3:
	s_or_b32 exec_lo, exec_lo, s3
	v_or_b32_e32 v1, 0x200, v0
	s_mov_b32 s3, exec_lo
	s_delay_alu instid0(VALU_DEP_1)
	v_cmpx_gt_u32_e64 s28, v1
	s_cbranch_execz .LBB799_5
; %bb.4:
	global_load_b64 v[4:5], v0, s[26:27] offset:4096 scale_offset
.LBB799_5:
	s_wait_xcnt 0x0
	s_or_b32 exec_lo, exec_lo, s3
	v_dual_lshrrev_b32 v6, 2, v0 :: v_dual_lshrrev_b32 v1, 2, v1
	v_lshlrev_b32_e32 v7, 3, v0
	s_mov_b32 s3, 0
	s_delay_alu instid0(VALU_DEP_2) | instskip(NEXT) | instid1(VALU_DEP_3)
	v_and_b32_e32 v6, 0x78, v6
	v_and_b32_e32 v1, 0xf8, v1
	s_delay_alu instid0(VALU_DEP_1)
	v_dual_add_nc_u32 v6, v6, v7 :: v_dual_add_nc_u32 v1, v1, v7
	ds_store_b64 v6, v[2:3]
	s_wait_loadcnt 0x0
	ds_store_b64 v1, v[4:5] offset:4096
	s_wait_dscnt 0x0
	s_barrier_signal -1
	s_barrier_wait -1
.LBB799_6:
	s_and_b32 vcc_lo, exec_lo, s3
	s_cbranch_vccz .LBB799_8
; %bb.7:
	s_mov_b32 s3, 0
	v_or_b32_e32 v1, 0x200, v0
	s_lshl_b64 s[26:27], s[2:3], 3
	v_lshrrev_b32_e32 v6, 2, v0
	s_add_nc_u64 s[4:5], s[4:5], s[26:27]
	v_lshlrev_b32_e32 v7, 3, v0
	s_clause 0x1
	global_load_b64 v[2:3], v0, s[4:5] scale_offset
	global_load_b64 v[4:5], v0, s[4:5] offset:4096 scale_offset
	v_lshrrev_b32_e32 v1, 2, v1
	v_and_b32_e32 v6, 0x78, v6
	s_delay_alu instid0(VALU_DEP_2) | instskip(NEXT) | instid1(VALU_DEP_1)
	v_and_b32_e32 v1, 0xf8, v1
	v_dual_add_nc_u32 v6, v6, v7 :: v_dual_add_nc_u32 v1, v1, v7
	s_wait_loadcnt 0x1
	ds_store_b64 v6, v[2:3]
	s_wait_loadcnt 0x0
	ds_store_b64 v1, v[4:5] offset:4096
	s_wait_dscnt 0x0
	s_barrier_signal -1
	s_barrier_wait -1
.LBB799_8:
	v_lshrrev_b32_e32 v1, 1, v0
	s_cmp_eq_u64 s[22:23], 0
	s_delay_alu instid0(VALU_DEP_1) | instskip(NEXT) | instid1(VALU_DEP_1)
	v_and_b32_e32 v1, 0xf8, v1
	v_lshl_add_u32 v1, v0, 4, v1
	ds_load_2addr_b64 v[2:5], v1 offset1:1
	s_wait_dscnt 0x0
	s_barrier_signal -1
	s_barrier_wait -1
	s_cbranch_scc1 .LBB799_15
; %bb.9:
	s_lshl_b64 s[4:5], s[18:19], 3
	s_delay_alu instid0(SALU_CYCLE_1) | instskip(SKIP_3) | instid1(SALU_CYCLE_1)
	s_add_nc_u64 s[4:5], s[16:17], s[4:5]
	s_lshl_b64 s[16:17], s[24:25], 3
	s_cmp_eq_u64 s[22:23], s[6:7]
	s_add_nc_u64 s[4:5], s[4:5], s[16:17]
	s_add_nc_u64 s[4:5], s[4:5], -8
	s_load_b64 s[4:5], s[4:5], 0x0
	s_cbranch_scc1 .LBB799_16
; %bb.10:
	v_cmp_lt_i64_e64 s7, s[12:13], 1
	v_mov_b64_e32 v[8:9], 0
	v_cmp_gt_i64_e64 s3, s[12:13], 0
	v_lshlrev_b32_e32 v12, 3, v0
	s_and_b32 vcc_lo, exec_lo, s7
	ds_store_b64 v12, v[4:5]
	s_cbranch_vccnz .LBB799_18
; %bb.11:
	v_mul_u64_e32 v[6:7], s[12:13], v[4:5]
	v_mul_u64_e32 v[8:9], s[12:13], v[2:3]
	s_mov_b32 s7, 0
	s_mov_b64 s[16:17], s[12:13]
                                        ; implicit-def: $sgpr18
	s_delay_alu instid0(VALU_DEP_2) | instskip(NEXT) | instid1(VALU_DEP_2)
	v_lshl_add_u64 v[6:7], v[6:7], 3, s[14:15]
	v_lshl_add_u64 v[10:11], v[8:9], 3, s[14:15]
	s_branch .LBB799_13
.LBB799_12:                             ;   in Loop: Header=BB799_13 Depth=1
	s_or_b32 exec_lo, exec_lo, s19
	s_delay_alu instid0(SALU_CYCLE_1) | instskip(NEXT) | instid1(SALU_CYCLE_1)
	s_and_b32 s19, exec_lo, s18
	s_or_b32 s7, s19, s7
	s_delay_alu instid0(SALU_CYCLE_1)
	s_and_not1_b32 exec_lo, exec_lo, s7
	s_cbranch_execz .LBB799_17
.LBB799_13:                             ; =>This Inner Loop Header: Depth=1
	global_load_b64 v[8:9], v[6:7], off
	global_load_b64 v[14:15], v[10:11], off
	s_or_b32 s18, s18, exec_lo
	s_wait_loadcnt 0x0
	v_cmp_eq_f64_e32 vcc_lo, v[8:9], v[14:15]
	v_mov_b64_e32 v[8:9], 1
	s_and_saveexec_b32 s19, vcc_lo
	s_cbranch_execz .LBB799_12
; %bb.14:                               ;   in Loop: Header=BB799_13 Depth=1
	s_add_nc_u64 s[16:17], s[16:17], -1
	v_add_nc_u64_e32 v[6:7], 8, v[6:7]
	s_cmp_eq_u64 s[16:17], 0
	v_add_nc_u64_e32 v[10:11], 8, v[10:11]
	v_mov_b64_e32 v[8:9], 0
	s_cselect_b32 s23, -1, 0
	s_and_not1_b32 s18, s18, exec_lo
	s_and_b32 s23, s23, exec_lo
	s_delay_alu instid0(SALU_CYCLE_1)
	s_or_b32 s18, s18, s23
	s_branch .LBB799_12
.LBB799_15:
                                        ; implicit-def: $vgpr8_vgpr9
                                        ; implicit-def: $vgpr6_vgpr7
	s_branch .LBB799_47
.LBB799_16:
                                        ; implicit-def: $vgpr8_vgpr9
                                        ; implicit-def: $vgpr6_vgpr7
	s_cbranch_execnz .LBB799_27
	s_branch .LBB799_46
.LBB799_17:
	s_or_b32 exec_lo, exec_lo, s7
.LBB799_18:
	s_wait_kmcnt 0x0
	v_mov_b64_e32 v[6:7], s[4:5]
	s_mov_b32 s7, exec_lo
	s_wait_dscnt 0x0
	s_barrier_signal -1
	s_barrier_wait -1
	v_cmpx_ne_u32_e32 0, v0
; %bb.19:
	v_add_nc_u32_e32 v6, -8, v12
	ds_load_b64 v[6:7], v6
; %bb.20:
	s_or_b32 exec_lo, exec_lo, s7
	s_delay_alu instid0(SALU_CYCLE_1)
	s_and_not1_b32 vcc_lo, exec_lo, s3
	s_cbranch_vccnz .LBB799_26
; %bb.21:
	v_mul_u64_e32 v[10:11], s[12:13], v[2:3]
	s_wait_dscnt 0x0
	v_mul_u64_e32 v[6:7], s[12:13], v[6:7]
	s_mov_b32 s3, 0
	s_mov_b64 s[16:17], s[12:13]
                                        ; implicit-def: $sgpr7
	s_delay_alu instid0(VALU_DEP_2) | instskip(NEXT) | instid1(VALU_DEP_2)
	v_lshl_add_u64 v[10:11], v[10:11], 3, s[14:15]
	v_lshl_add_u64 v[12:13], v[6:7], 3, s[14:15]
	s_branch .LBB799_23
.LBB799_22:                             ;   in Loop: Header=BB799_23 Depth=1
	s_or_b32 exec_lo, exec_lo, s18
	s_delay_alu instid0(SALU_CYCLE_1) | instskip(NEXT) | instid1(SALU_CYCLE_1)
	s_and_b32 s18, exec_lo, s7
	s_or_b32 s3, s18, s3
	s_delay_alu instid0(SALU_CYCLE_1)
	s_and_not1_b32 exec_lo, exec_lo, s3
	s_cbranch_execz .LBB799_25
.LBB799_23:                             ; =>This Inner Loop Header: Depth=1
	global_load_b64 v[6:7], v[10:11], off
	global_load_b64 v[14:15], v[12:13], off
	s_or_b32 s7, s7, exec_lo
	s_wait_loadcnt 0x0
	v_cmp_eq_f64_e32 vcc_lo, v[6:7], v[14:15]
	v_mov_b64_e32 v[6:7], 1
	s_and_saveexec_b32 s18, vcc_lo
	s_cbranch_execz .LBB799_22
; %bb.24:                               ;   in Loop: Header=BB799_23 Depth=1
	s_add_nc_u64 s[16:17], s[16:17], -1
	v_add_nc_u64_e32 v[10:11], 8, v[10:11]
	s_cmp_eq_u64 s[16:17], 0
	v_add_nc_u64_e32 v[12:13], 8, v[12:13]
	v_mov_b64_e32 v[6:7], 0
	s_cselect_b32 s19, -1, 0
	s_and_not1_b32 s7, s7, exec_lo
	s_and_b32 s19, s19, exec_lo
	s_delay_alu instid0(SALU_CYCLE_1)
	s_or_b32 s7, s7, s19
	s_branch .LBB799_22
.LBB799_25:
	s_or_b32 exec_lo, exec_lo, s3
	s_branch .LBB799_46
.LBB799_26:
	s_wait_dscnt 0x0
	v_mov_b64_e32 v[6:7], 0
	s_branch .LBB799_46
.LBB799_27:
	v_dual_lshlrev_b32 v12, 1, v0 :: v_dual_lshlrev_b32 v13, 3, v0
	v_mov_b64_e32 v[8:9], v[4:5]
	s_lshl_b32 s3, s22, 10
	s_mov_b32 s7, exec_lo
	s_delay_alu instid0(VALU_DEP_2)
	v_or_b32_e32 v10, 1, v12
	s_sub_co_i32 s3, s10, s3
	v_mov_b64_e32 v[6:7], v[2:3]
	ds_store_b64 v13, v[4:5]
	v_cmpx_gt_u32_e64 s3, v10
	s_cbranch_execz .LBB799_35
; %bb.28:
	v_cmp_lt_i64_e64 s16, s[12:13], 1
	s_and_b32 vcc_lo, exec_lo, s16
	s_cbranch_vccnz .LBB799_34
; %bb.29:
	v_mul_u64_e32 v[6:7], s[12:13], v[4:5]
	v_mul_u64_e32 v[8:9], s[12:13], v[2:3]
	s_mov_b32 s18, 0
	s_mov_b64 s[16:17], s[12:13]
                                        ; implicit-def: $sgpr19
	s_delay_alu instid0(VALU_DEP_2) | instskip(NEXT) | instid1(VALU_DEP_2)
	v_lshl_add_u64 v[6:7], v[6:7], 3, s[14:15]
	v_lshl_add_u64 v[10:11], v[8:9], 3, s[14:15]
	s_branch .LBB799_31
.LBB799_30:                             ;   in Loop: Header=BB799_31 Depth=1
	s_or_b32 exec_lo, exec_lo, s22
	s_delay_alu instid0(SALU_CYCLE_1) | instskip(NEXT) | instid1(SALU_CYCLE_1)
	s_and_b32 s22, exec_lo, s19
	s_or_b32 s18, s22, s18
	s_delay_alu instid0(SALU_CYCLE_1)
	s_and_not1_b32 exec_lo, exec_lo, s18
	s_cbranch_execz .LBB799_33
.LBB799_31:                             ; =>This Inner Loop Header: Depth=1
	global_load_b64 v[8:9], v[6:7], off
	global_load_b64 v[14:15], v[10:11], off
	s_or_b32 s19, s19, exec_lo
	s_wait_loadcnt 0x0
	v_cmp_eq_f64_e32 vcc_lo, v[8:9], v[14:15]
	v_mov_b64_e32 v[8:9], 1
	s_and_saveexec_b32 s22, vcc_lo
	s_cbranch_execz .LBB799_30
; %bb.32:                               ;   in Loop: Header=BB799_31 Depth=1
	s_add_nc_u64 s[16:17], s[16:17], -1
	v_add_nc_u64_e32 v[6:7], 8, v[6:7]
	s_cmp_eq_u64 s[16:17], 0
	v_add_nc_u64_e32 v[10:11], 8, v[10:11]
	s_cselect_b32 s23, -1, 0
	s_and_not1_b32 s19, s19, exec_lo
	s_and_b32 s23, s23, exec_lo
	v_mov_b64_e32 v[8:9], 0
	s_or_b32 s19, s19, s23
	s_branch .LBB799_30
.LBB799_33:
	s_or_b32 exec_lo, exec_lo, s18
	s_branch .LBB799_35
.LBB799_34:
	v_mov_b64_e32 v[8:9], 0
.LBB799_35:
	s_or_b32 exec_lo, exec_lo, s7
	s_wait_kmcnt 0x0
	v_mov_b64_e32 v[10:11], s[4:5]
	s_mov_b32 s4, exec_lo
	s_wait_dscnt 0x0
	s_barrier_signal -1
	s_barrier_wait -1
	v_cmpx_ne_u32_e32 0, v0
; %bb.36:
	v_add_nc_u32_e32 v6, -8, v13
	ds_load_b64 v[10:11], v6
; %bb.37:
	s_or_b32 exec_lo, exec_lo, s4
	v_mov_b64_e32 v[6:7], v[2:3]
	v_cmp_gt_u32_e32 vcc_lo, s3, v12
	s_and_saveexec_b32 s3, vcc_lo
	s_cbranch_execz .LBB799_45
; %bb.38:
	v_cmp_lt_i64_e64 s4, s[12:13], 1
	s_and_b32 vcc_lo, exec_lo, s4
	s_cbranch_vccnz .LBB799_44
; %bb.39:
	v_mul_u64_e32 v[6:7], s[12:13], v[2:3]
	s_wait_dscnt 0x0
	v_mul_u64_e32 v[12:13], s[12:13], v[10:11]
	s_mov_b32 s7, 0
	s_mov_b64 s[4:5], s[12:13]
                                        ; implicit-def: $sgpr16
	s_delay_alu instid0(VALU_DEP_2) | instskip(NEXT) | instid1(VALU_DEP_2)
	v_lshl_add_u64 v[10:11], v[6:7], 3, s[14:15]
	v_lshl_add_u64 v[12:13], v[12:13], 3, s[14:15]
	s_branch .LBB799_41
.LBB799_40:                             ;   in Loop: Header=BB799_41 Depth=1
	s_or_b32 exec_lo, exec_lo, s17
	s_delay_alu instid0(SALU_CYCLE_1) | instskip(NEXT) | instid1(SALU_CYCLE_1)
	s_and_b32 s17, exec_lo, s16
	s_or_b32 s7, s17, s7
	s_delay_alu instid0(SALU_CYCLE_1)
	s_and_not1_b32 exec_lo, exec_lo, s7
	s_cbranch_execz .LBB799_43
.LBB799_41:                             ; =>This Inner Loop Header: Depth=1
	global_load_b64 v[6:7], v[10:11], off
	global_load_b64 v[14:15], v[12:13], off
	s_or_b32 s16, s16, exec_lo
	s_wait_loadcnt 0x0
	v_cmp_eq_f64_e32 vcc_lo, v[6:7], v[14:15]
	v_mov_b64_e32 v[6:7], 1
	s_and_saveexec_b32 s17, vcc_lo
	s_cbranch_execz .LBB799_40
; %bb.42:                               ;   in Loop: Header=BB799_41 Depth=1
	s_add_nc_u64 s[4:5], s[4:5], -1
	v_add_nc_u64_e32 v[10:11], 8, v[10:11]
	s_cmp_eq_u64 s[4:5], 0
	v_add_nc_u64_e32 v[12:13], 8, v[12:13]
	v_mov_b64_e32 v[6:7], 0
	s_cselect_b32 s18, -1, 0
	s_and_not1_b32 s16, s16, exec_lo
	s_and_b32 s18, s18, exec_lo
	s_delay_alu instid0(SALU_CYCLE_1)
	s_or_b32 s16, s16, s18
	s_branch .LBB799_40
.LBB799_43:
	s_or_b32 exec_lo, exec_lo, s7
	s_branch .LBB799_45
.LBB799_44:
	v_mov_b64_e32 v[6:7], 0
.LBB799_45:
	s_or_b32 exec_lo, exec_lo, s3
.LBB799_46:
	s_cbranch_execnz .LBB799_81
.LBB799_47:
	s_cmp_eq_u64 s[0:1], 1
	s_cbranch_scc1 .LBB799_53
; %bb.48:
	v_cmp_lt_i64_e64 s0, s[12:13], 1
	v_mov_b64_e32 v[8:9], 0
	s_wait_kmcnt 0x0
	v_cmp_gt_i64_e64 s4, s[12:13], 0
	v_lshlrev_b32_e32 v12, 3, v0
	s_and_b32 vcc_lo, exec_lo, s0
	ds_store_b64 v12, v[4:5]
	s_cbranch_vccnz .LBB799_55
; %bb.49:
	v_mul_u64_e32 v[6:7], s[12:13], v[4:5]
	v_mul_u64_e32 v[8:9], s[12:13], v[2:3]
	s_mov_b32 s3, 0
	s_mov_b64 s[0:1], s[12:13]
                                        ; implicit-def: $sgpr5
	s_delay_alu instid0(VALU_DEP_2) | instskip(SKIP_1) | instid1(VALU_DEP_2)
	v_lshl_add_u64 v[6:7], v[6:7], 3, s[14:15]
	s_wait_dscnt 0x1
	v_lshl_add_u64 v[10:11], v[8:9], 3, s[14:15]
	s_branch .LBB799_51
.LBB799_50:                             ;   in Loop: Header=BB799_51 Depth=1
	s_or_b32 exec_lo, exec_lo, s7
	s_delay_alu instid0(SALU_CYCLE_1) | instskip(NEXT) | instid1(SALU_CYCLE_1)
	s_and_b32 s7, exec_lo, s5
	s_or_b32 s3, s7, s3
	s_delay_alu instid0(SALU_CYCLE_1)
	s_and_not1_b32 exec_lo, exec_lo, s3
	s_cbranch_execz .LBB799_54
.LBB799_51:                             ; =>This Inner Loop Header: Depth=1
	global_load_b64 v[8:9], v[6:7], off
	global_load_b64 v[14:15], v[10:11], off
	s_or_b32 s5, s5, exec_lo
	s_wait_loadcnt 0x0
	v_cmp_eq_f64_e32 vcc_lo, v[8:9], v[14:15]
	v_mov_b64_e32 v[8:9], 1
	s_and_saveexec_b32 s7, vcc_lo
	s_cbranch_execz .LBB799_50
; %bb.52:                               ;   in Loop: Header=BB799_51 Depth=1
	s_add_nc_u64 s[0:1], s[0:1], -1
	v_add_nc_u64_e32 v[6:7], 8, v[6:7]
	s_cmp_eq_u64 s[0:1], 0
	v_add_nc_u64_e32 v[10:11], 8, v[10:11]
	v_mov_b64_e32 v[8:9], 0
	s_cselect_b32 s16, -1, 0
	s_and_not1_b32 s5, s5, exec_lo
	s_and_b32 s16, s16, exec_lo
	s_delay_alu instid0(SALU_CYCLE_1)
	s_or_b32 s5, s5, s16
	s_branch .LBB799_50
.LBB799_53:
                                        ; implicit-def: $vgpr8_vgpr9
                                        ; implicit-def: $vgpr6_vgpr7
	s_cbranch_execnz .LBB799_63
	s_branch .LBB799_81
.LBB799_54:
	s_or_b32 exec_lo, exec_lo, s3
.LBB799_55:
	v_mov_b64_e32 v[6:7], v[2:3]
	s_mov_b32 s3, 0
	s_mov_b32 s5, exec_lo
	s_wait_dscnt 0x0
	s_barrier_signal -1
	s_barrier_wait -1
	v_cmpx_ne_u32_e32 0, v0
	s_cbranch_execz .LBB799_62
; %bb.56:
	s_and_not1_b32 vcc_lo, exec_lo, s4
	s_cbranch_vccnz .LBB799_70
; %bb.57:
	v_add_nc_u32_e32 v6, -8, v12
	v_mul_u64_e32 v[10:11], s[12:13], v[2:3]
	s_mov_b32 s4, 0
	s_mov_b64 s[0:1], s[12:13]
                                        ; implicit-def: $sgpr7
	ds_load_b64 v[6:7], v6
	s_wait_dscnt 0x0
	v_mul_u64_e32 v[6:7], s[12:13], v[6:7]
	v_lshl_add_u64 v[10:11], v[10:11], 3, s[14:15]
	s_delay_alu instid0(VALU_DEP_2)
	v_lshl_add_u64 v[12:13], v[6:7], 3, s[14:15]
	s_branch .LBB799_59
.LBB799_58:                             ;   in Loop: Header=BB799_59 Depth=1
	s_or_b32 exec_lo, exec_lo, s16
	s_delay_alu instid0(SALU_CYCLE_1) | instskip(NEXT) | instid1(SALU_CYCLE_1)
	s_and_b32 s16, exec_lo, s7
	s_or_b32 s4, s16, s4
	s_delay_alu instid0(SALU_CYCLE_1)
	s_and_not1_b32 exec_lo, exec_lo, s4
	s_cbranch_execz .LBB799_61
.LBB799_59:                             ; =>This Inner Loop Header: Depth=1
	global_load_b64 v[6:7], v[10:11], off
	global_load_b64 v[14:15], v[12:13], off
	s_or_b32 s7, s7, exec_lo
	s_wait_loadcnt 0x0
	v_cmp_eq_f64_e32 vcc_lo, v[6:7], v[14:15]
	v_mov_b64_e32 v[6:7], 1
	s_and_saveexec_b32 s16, vcc_lo
	s_cbranch_execz .LBB799_58
; %bb.60:                               ;   in Loop: Header=BB799_59 Depth=1
	s_add_nc_u64 s[0:1], s[0:1], -1
	v_add_nc_u64_e32 v[10:11], 8, v[10:11]
	s_cmp_eq_u64 s[0:1], 0
	v_add_nc_u64_e32 v[12:13], 8, v[12:13]
	v_mov_b64_e32 v[6:7], 0
	s_cselect_b32 s17, -1, 0
	s_and_not1_b32 s7, s7, exec_lo
	s_and_b32 s17, s17, exec_lo
	s_delay_alu instid0(SALU_CYCLE_1)
	s_or_b32 s7, s7, s17
	s_branch .LBB799_58
.LBB799_61:
	s_or_b32 exec_lo, exec_lo, s4
.LBB799_62:
	s_delay_alu instid0(SALU_CYCLE_1) | instskip(NEXT) | instid1(SALU_CYCLE_1)
	s_or_b32 exec_lo, exec_lo, s5
	s_and_b32 vcc_lo, exec_lo, s3
	s_cbranch_vccz .LBB799_81
.LBB799_63:
	s_wait_dscnt 0x0
	v_dual_lshlrev_b32 v11, 1, v0 :: v_dual_lshlrev_b32 v10, 3, v0
	v_mov_b64_e32 v[8:9], v[4:5]
	s_mov_b32 s3, exec_lo
	v_mov_b64_e32 v[6:7], v[2:3]
	s_delay_alu instid0(VALU_DEP_3)
	v_or_b32_e32 v12, 1, v11
	ds_store_b64 v10, v[4:5]
	v_cmpx_gt_u32_e64 s10, v12
	s_cbranch_execz .LBB799_72
; %bb.64:
	v_cmp_lt_i64_e64 s0, s[12:13], 1
	s_and_b32 vcc_lo, exec_lo, s0
	s_cbranch_vccnz .LBB799_71
; %bb.65:
	v_mul_u64_e32 v[4:5], s[12:13], v[4:5]
	v_mul_u64_e32 v[6:7], s[12:13], v[2:3]
	s_wait_kmcnt 0x0
	s_mov_b32 s4, 0
	s_mov_b64 s[0:1], s[12:13]
                                        ; implicit-def: $sgpr5
	s_delay_alu instid0(VALU_DEP_2) | instskip(NEXT) | instid1(VALU_DEP_2)
	v_lshl_add_u64 v[4:5], v[4:5], 3, s[14:15]
	v_lshl_add_u64 v[6:7], v[6:7], 3, s[14:15]
	s_branch .LBB799_67
.LBB799_66:                             ;   in Loop: Header=BB799_67 Depth=1
	s_or_b32 exec_lo, exec_lo, s7
	s_delay_alu instid0(SALU_CYCLE_1) | instskip(NEXT) | instid1(SALU_CYCLE_1)
	s_and_b32 s7, exec_lo, s5
	s_or_b32 s4, s7, s4
	s_delay_alu instid0(SALU_CYCLE_1)
	s_and_not1_b32 exec_lo, exec_lo, s4
	s_cbranch_execz .LBB799_69
.LBB799_67:                             ; =>This Inner Loop Header: Depth=1
	global_load_b64 v[8:9], v[4:5], off
	global_load_b64 v[12:13], v[6:7], off
	s_or_b32 s5, s5, exec_lo
	s_wait_loadcnt 0x0
	v_cmp_eq_f64_e32 vcc_lo, v[8:9], v[12:13]
	v_mov_b64_e32 v[8:9], 1
	s_and_saveexec_b32 s7, vcc_lo
	s_cbranch_execz .LBB799_66
; %bb.68:                               ;   in Loop: Header=BB799_67 Depth=1
	s_add_nc_u64 s[0:1], s[0:1], -1
	v_add_nc_u64_e32 v[4:5], 8, v[4:5]
	s_cmp_eq_u64 s[0:1], 0
	v_add_nc_u64_e32 v[6:7], 8, v[6:7]
	s_cselect_b32 s16, -1, 0
	s_and_not1_b32 s5, s5, exec_lo
	s_and_b32 s16, s16, exec_lo
	v_mov_b64_e32 v[8:9], 0
	s_or_b32 s5, s5, s16
	s_branch .LBB799_66
.LBB799_69:
	s_or_b32 exec_lo, exec_lo, s4
	s_branch .LBB799_72
.LBB799_70:
	v_mov_b64_e32 v[6:7], 0
	s_or_b32 exec_lo, exec_lo, s5
	s_delay_alu instid0(SALU_CYCLE_1)
	s_and_b32 vcc_lo, exec_lo, s3
	s_cbranch_vccnz .LBB799_63
	s_branch .LBB799_81
.LBB799_71:
	v_mov_b64_e32 v[8:9], 0
.LBB799_72:
	s_or_b32 exec_lo, exec_lo, s3
	v_cmp_ne_u32_e32 vcc_lo, 0, v0
	v_cmp_gt_u32_e64 s0, s10, v11
	s_wait_dscnt 0x0
	s_barrier_signal -1
	s_barrier_wait -1
	s_and_b32 s1, vcc_lo, s0
	s_delay_alu instid0(SALU_CYCLE_1)
	s_and_saveexec_b32 s0, s1
	s_cbranch_execz .LBB799_80
; %bb.73:
	v_cmp_lt_i64_e64 s1, s[12:13], 1
	s_and_b32 vcc_lo, exec_lo, s1
	s_cbranch_vccnz .LBB799_79
; %bb.74:
	v_add_nc_u32_e32 v4, -8, v10
	v_mul_u64_e32 v[2:3], s[12:13], v[2:3]
	s_mov_b32 s1, 0
                                        ; implicit-def: $sgpr3
	ds_load_b64 v[4:5], v4
	s_wait_dscnt 0x0
	v_mul_u64_e32 v[6:7], s[12:13], v[4:5]
	v_lshl_add_u64 v[4:5], v[2:3], 3, s[14:15]
	s_delay_alu instid0(VALU_DEP_2)
	v_lshl_add_u64 v[6:7], v[6:7], 3, s[14:15]
	s_branch .LBB799_76
.LBB799_75:                             ;   in Loop: Header=BB799_76 Depth=1
	s_or_b32 exec_lo, exec_lo, s4
	s_delay_alu instid0(SALU_CYCLE_1) | instskip(NEXT) | instid1(SALU_CYCLE_1)
	s_and_b32 s4, exec_lo, s3
	s_or_b32 s1, s4, s1
	s_delay_alu instid0(SALU_CYCLE_1)
	s_and_not1_b32 exec_lo, exec_lo, s1
	s_cbranch_execz .LBB799_78
.LBB799_76:                             ; =>This Inner Loop Header: Depth=1
	global_load_b64 v[2:3], v[4:5], off
	global_load_b64 v[10:11], v[6:7], off
	s_or_b32 s3, s3, exec_lo
	s_wait_loadcnt 0x0
	v_cmp_eq_f64_e32 vcc_lo, v[2:3], v[10:11]
	v_mov_b64_e32 v[2:3], 1
	s_wait_kmcnt 0x0
	s_and_saveexec_b32 s4, vcc_lo
	s_cbranch_execz .LBB799_75
; %bb.77:                               ;   in Loop: Header=BB799_76 Depth=1
	s_add_nc_u64 s[12:13], s[12:13], -1
	v_add_nc_u64_e32 v[4:5], 8, v[4:5]
	s_cmp_eq_u64 s[12:13], 0
	v_add_nc_u64_e32 v[6:7], 8, v[6:7]
	v_mov_b64_e32 v[2:3], 0
	s_cselect_b32 s5, -1, 0
	s_and_not1_b32 s3, s3, exec_lo
	s_and_b32 s5, s5, exec_lo
	s_delay_alu instid0(SALU_CYCLE_1)
	s_or_b32 s3, s3, s5
	s_branch .LBB799_75
.LBB799_78:
	s_or_b32 exec_lo, exec_lo, s1
	s_branch .LBB799_80
.LBB799_79:
	v_mov_b64_e32 v[2:3], 0
.LBB799_80:
	s_or_b32 exec_lo, exec_lo, s0
	s_delay_alu instid0(VALU_DEP_1)
	v_mov_b64_e32 v[6:7], v[2:3]
.LBB799_81:
	s_add_nc_u64 s[0:1], s[8:9], s[20:21]
	s_and_b32 vcc_lo, exec_lo, s11
	s_wait_dscnt 0x0
	s_barrier_signal -1
	s_barrier_wait -1
	s_cbranch_vccz .LBB799_85
; %bb.82:
	v_or_b32_e32 v10, 0x200, v0
	ds_store_2addr_b64 v1, v[6:7], v[8:9] offset1:1
	s_wait_dscnt 0x0
	s_barrier_signal -1
	s_barrier_wait -1
	v_dual_lshrrev_b32 v2, 2, v10 :: v_dual_lshlrev_b32 v4, 3, v0
	s_mov_b32 s3, 0
	s_lshl_b32 s8, s6, 10
	s_delay_alu instid0(VALU_DEP_1)
	v_and_b32_e32 v2, 0xf8, v2
	s_wait_kmcnt 0x0
	s_lshl_b64 s[4:5], s[2:3], 3
	v_mov_b32_e32 v5, 0
	s_add_nc_u64 s[6:7], s[0:1], s[4:5]
	s_sub_co_i32 s4, s10, s8
	v_add_nc_u32_e32 v2, v2, v4
	s_mov_b32 s5, exec_lo
	v_add_nc_u64_e32 v[4:5], s[6:7], v[4:5]
	ds_load_b64 v[2:3], v2 offset:4096
	v_cmpx_gt_u32_e64 s4, v0
	s_cbranch_execz .LBB799_84
; %bb.83:
	v_lshrrev_b32_e32 v11, 2, v0
	s_delay_alu instid0(VALU_DEP_1) | instskip(NEXT) | instid1(VALU_DEP_1)
	v_and_b32_e32 v11, 0x78, v11
	v_lshl_add_u32 v11, v0, 3, v11
	ds_load_b64 v[12:13], v11
	s_wait_dscnt 0x0
	global_store_b64 v[4:5], v[12:13], off
.LBB799_84:
	s_wait_xcnt 0x0
	s_or_b32 exec_lo, exec_lo, s5
	v_cmp_gt_u32_e64 s4, s4, v10
	s_and_b32 vcc_lo, exec_lo, s3
	s_cbranch_vccnz .LBB799_86
	s_branch .LBB799_87
.LBB799_85:
	s_wait_kmcnt 0x0
	s_mov_b32 s4, 0
                                        ; implicit-def: $vgpr2_vgpr3
                                        ; implicit-def: $vgpr4_vgpr5
	s_cbranch_execz .LBB799_87
.LBB799_86:
	s_wait_dscnt 0x0
	v_or_b32_e32 v2, 0x200, v0
	v_dual_lshrrev_b32 v3, 2, v0 :: v_dual_lshlrev_b32 v4, 3, v0
	v_mov_b32_e32 v5, 0
	ds_store_2addr_b64 v1, v[6:7], v[8:9] offset1:1
	v_lshrrev_b32_e32 v2, 2, v2
	v_and_b32_e32 v3, 0x78, v3
	s_wait_storecnt_dscnt 0x0
	s_barrier_signal -1
	s_barrier_wait -1
	v_and_b32_e32 v2, 0xf8, v2
	v_add_nc_u32_e32 v1, v3, v4
	s_mov_b32 s3, 0
	s_or_b32 s4, s4, exec_lo
	s_delay_alu instid0(VALU_DEP_2) | instskip(SKIP_4) | instid1(SALU_CYCLE_1)
	v_add_nc_u32_e32 v2, v2, v4
	s_lshl_b64 s[2:3], s[2:3], 3
	ds_load_b64 v[6:7], v1
	ds_load_b64 v[2:3], v2 offset:4096
	s_add_nc_u64 s[0:1], s[0:1], s[2:3]
	v_add_nc_u64_e32 v[4:5], s[0:1], v[4:5]
	s_wait_dscnt 0x1
	global_store_b64 v0, v[6:7], s[0:1] scale_offset
.LBB799_87:
	s_wait_xcnt 0x0
	s_and_saveexec_b32 s0, s4
	s_cbranch_execnz .LBB799_89
; %bb.88:
	s_endpgm
.LBB799_89:
	s_wait_dscnt 0x0
	global_store_b64 v[4:5], v[2:3], off offset:4096
	s_endpgm
	.section	.rodata,"a",@progbits
	.p2align	6, 0x0
	.amdhsa_kernel _ZN7rocprim17ROCPRIM_400000_NS6detail17trampoline_kernelINS0_14default_configENS1_35adjacent_difference_config_selectorILb1ElEEZNS1_24adjacent_difference_implIS3_Lb1ELb0EPlS7_ZN2at6native12_GLOBAL__N_124unique_dim_cuda_templateIdEESt5tupleIJNS8_6TensorESD_SD_EERKSD_lbbbEUlllE1_EE10hipError_tPvRmT2_T3_mT4_P12ihipStream_tbEUlT_E_NS1_11comp_targetILNS1_3genE0ELNS1_11target_archE4294967295ELNS1_3gpuE0ELNS1_3repE0EEENS1_30default_config_static_selectorELNS0_4arch9wavefront6targetE0EEEvT1_
		.amdhsa_group_segment_fixed_size 8448
		.amdhsa_private_segment_fixed_size 0
		.amdhsa_kernarg_size 64
		.amdhsa_user_sgpr_count 2
		.amdhsa_user_sgpr_dispatch_ptr 0
		.amdhsa_user_sgpr_queue_ptr 0
		.amdhsa_user_sgpr_kernarg_segment_ptr 1
		.amdhsa_user_sgpr_dispatch_id 0
		.amdhsa_user_sgpr_kernarg_preload_length 0
		.amdhsa_user_sgpr_kernarg_preload_offset 0
		.amdhsa_user_sgpr_private_segment_size 0
		.amdhsa_wavefront_size32 1
		.amdhsa_uses_dynamic_stack 0
		.amdhsa_enable_private_segment 0
		.amdhsa_system_sgpr_workgroup_id_x 1
		.amdhsa_system_sgpr_workgroup_id_y 0
		.amdhsa_system_sgpr_workgroup_id_z 0
		.amdhsa_system_sgpr_workgroup_info 0
		.amdhsa_system_vgpr_workitem_id 0
		.amdhsa_next_free_vgpr 16
		.amdhsa_next_free_sgpr 29
		.amdhsa_named_barrier_count 0
		.amdhsa_reserve_vcc 1
		.amdhsa_float_round_mode_32 0
		.amdhsa_float_round_mode_16_64 0
		.amdhsa_float_denorm_mode_32 3
		.amdhsa_float_denorm_mode_16_64 3
		.amdhsa_fp16_overflow 0
		.amdhsa_memory_ordered 1
		.amdhsa_forward_progress 1
		.amdhsa_inst_pref_size 24
		.amdhsa_round_robin_scheduling 0
		.amdhsa_exception_fp_ieee_invalid_op 0
		.amdhsa_exception_fp_denorm_src 0
		.amdhsa_exception_fp_ieee_div_zero 0
		.amdhsa_exception_fp_ieee_overflow 0
		.amdhsa_exception_fp_ieee_underflow 0
		.amdhsa_exception_fp_ieee_inexact 0
		.amdhsa_exception_int_div_zero 0
	.end_amdhsa_kernel
	.section	.text._ZN7rocprim17ROCPRIM_400000_NS6detail17trampoline_kernelINS0_14default_configENS1_35adjacent_difference_config_selectorILb1ElEEZNS1_24adjacent_difference_implIS3_Lb1ELb0EPlS7_ZN2at6native12_GLOBAL__N_124unique_dim_cuda_templateIdEESt5tupleIJNS8_6TensorESD_SD_EERKSD_lbbbEUlllE1_EE10hipError_tPvRmT2_T3_mT4_P12ihipStream_tbEUlT_E_NS1_11comp_targetILNS1_3genE0ELNS1_11target_archE4294967295ELNS1_3gpuE0ELNS1_3repE0EEENS1_30default_config_static_selectorELNS0_4arch9wavefront6targetE0EEEvT1_,"axG",@progbits,_ZN7rocprim17ROCPRIM_400000_NS6detail17trampoline_kernelINS0_14default_configENS1_35adjacent_difference_config_selectorILb1ElEEZNS1_24adjacent_difference_implIS3_Lb1ELb0EPlS7_ZN2at6native12_GLOBAL__N_124unique_dim_cuda_templateIdEESt5tupleIJNS8_6TensorESD_SD_EERKSD_lbbbEUlllE1_EE10hipError_tPvRmT2_T3_mT4_P12ihipStream_tbEUlT_E_NS1_11comp_targetILNS1_3genE0ELNS1_11target_archE4294967295ELNS1_3gpuE0ELNS1_3repE0EEENS1_30default_config_static_selectorELNS0_4arch9wavefront6targetE0EEEvT1_,comdat
.Lfunc_end799:
	.size	_ZN7rocprim17ROCPRIM_400000_NS6detail17trampoline_kernelINS0_14default_configENS1_35adjacent_difference_config_selectorILb1ElEEZNS1_24adjacent_difference_implIS3_Lb1ELb0EPlS7_ZN2at6native12_GLOBAL__N_124unique_dim_cuda_templateIdEESt5tupleIJNS8_6TensorESD_SD_EERKSD_lbbbEUlllE1_EE10hipError_tPvRmT2_T3_mT4_P12ihipStream_tbEUlT_E_NS1_11comp_targetILNS1_3genE0ELNS1_11target_archE4294967295ELNS1_3gpuE0ELNS1_3repE0EEENS1_30default_config_static_selectorELNS0_4arch9wavefront6targetE0EEEvT1_, .Lfunc_end799-_ZN7rocprim17ROCPRIM_400000_NS6detail17trampoline_kernelINS0_14default_configENS1_35adjacent_difference_config_selectorILb1ElEEZNS1_24adjacent_difference_implIS3_Lb1ELb0EPlS7_ZN2at6native12_GLOBAL__N_124unique_dim_cuda_templateIdEESt5tupleIJNS8_6TensorESD_SD_EERKSD_lbbbEUlllE1_EE10hipError_tPvRmT2_T3_mT4_P12ihipStream_tbEUlT_E_NS1_11comp_targetILNS1_3genE0ELNS1_11target_archE4294967295ELNS1_3gpuE0ELNS1_3repE0EEENS1_30default_config_static_selectorELNS0_4arch9wavefront6targetE0EEEvT1_
                                        ; -- End function
	.set _ZN7rocprim17ROCPRIM_400000_NS6detail17trampoline_kernelINS0_14default_configENS1_35adjacent_difference_config_selectorILb1ElEEZNS1_24adjacent_difference_implIS3_Lb1ELb0EPlS7_ZN2at6native12_GLOBAL__N_124unique_dim_cuda_templateIdEESt5tupleIJNS8_6TensorESD_SD_EERKSD_lbbbEUlllE1_EE10hipError_tPvRmT2_T3_mT4_P12ihipStream_tbEUlT_E_NS1_11comp_targetILNS1_3genE0ELNS1_11target_archE4294967295ELNS1_3gpuE0ELNS1_3repE0EEENS1_30default_config_static_selectorELNS0_4arch9wavefront6targetE0EEEvT1_.num_vgpr, 16
	.set _ZN7rocprim17ROCPRIM_400000_NS6detail17trampoline_kernelINS0_14default_configENS1_35adjacent_difference_config_selectorILb1ElEEZNS1_24adjacent_difference_implIS3_Lb1ELb0EPlS7_ZN2at6native12_GLOBAL__N_124unique_dim_cuda_templateIdEESt5tupleIJNS8_6TensorESD_SD_EERKSD_lbbbEUlllE1_EE10hipError_tPvRmT2_T3_mT4_P12ihipStream_tbEUlT_E_NS1_11comp_targetILNS1_3genE0ELNS1_11target_archE4294967295ELNS1_3gpuE0ELNS1_3repE0EEENS1_30default_config_static_selectorELNS0_4arch9wavefront6targetE0EEEvT1_.num_agpr, 0
	.set _ZN7rocprim17ROCPRIM_400000_NS6detail17trampoline_kernelINS0_14default_configENS1_35adjacent_difference_config_selectorILb1ElEEZNS1_24adjacent_difference_implIS3_Lb1ELb0EPlS7_ZN2at6native12_GLOBAL__N_124unique_dim_cuda_templateIdEESt5tupleIJNS8_6TensorESD_SD_EERKSD_lbbbEUlllE1_EE10hipError_tPvRmT2_T3_mT4_P12ihipStream_tbEUlT_E_NS1_11comp_targetILNS1_3genE0ELNS1_11target_archE4294967295ELNS1_3gpuE0ELNS1_3repE0EEENS1_30default_config_static_selectorELNS0_4arch9wavefront6targetE0EEEvT1_.numbered_sgpr, 29
	.set _ZN7rocprim17ROCPRIM_400000_NS6detail17trampoline_kernelINS0_14default_configENS1_35adjacent_difference_config_selectorILb1ElEEZNS1_24adjacent_difference_implIS3_Lb1ELb0EPlS7_ZN2at6native12_GLOBAL__N_124unique_dim_cuda_templateIdEESt5tupleIJNS8_6TensorESD_SD_EERKSD_lbbbEUlllE1_EE10hipError_tPvRmT2_T3_mT4_P12ihipStream_tbEUlT_E_NS1_11comp_targetILNS1_3genE0ELNS1_11target_archE4294967295ELNS1_3gpuE0ELNS1_3repE0EEENS1_30default_config_static_selectorELNS0_4arch9wavefront6targetE0EEEvT1_.num_named_barrier, 0
	.set _ZN7rocprim17ROCPRIM_400000_NS6detail17trampoline_kernelINS0_14default_configENS1_35adjacent_difference_config_selectorILb1ElEEZNS1_24adjacent_difference_implIS3_Lb1ELb0EPlS7_ZN2at6native12_GLOBAL__N_124unique_dim_cuda_templateIdEESt5tupleIJNS8_6TensorESD_SD_EERKSD_lbbbEUlllE1_EE10hipError_tPvRmT2_T3_mT4_P12ihipStream_tbEUlT_E_NS1_11comp_targetILNS1_3genE0ELNS1_11target_archE4294967295ELNS1_3gpuE0ELNS1_3repE0EEENS1_30default_config_static_selectorELNS0_4arch9wavefront6targetE0EEEvT1_.private_seg_size, 0
	.set _ZN7rocprim17ROCPRIM_400000_NS6detail17trampoline_kernelINS0_14default_configENS1_35adjacent_difference_config_selectorILb1ElEEZNS1_24adjacent_difference_implIS3_Lb1ELb0EPlS7_ZN2at6native12_GLOBAL__N_124unique_dim_cuda_templateIdEESt5tupleIJNS8_6TensorESD_SD_EERKSD_lbbbEUlllE1_EE10hipError_tPvRmT2_T3_mT4_P12ihipStream_tbEUlT_E_NS1_11comp_targetILNS1_3genE0ELNS1_11target_archE4294967295ELNS1_3gpuE0ELNS1_3repE0EEENS1_30default_config_static_selectorELNS0_4arch9wavefront6targetE0EEEvT1_.uses_vcc, 1
	.set _ZN7rocprim17ROCPRIM_400000_NS6detail17trampoline_kernelINS0_14default_configENS1_35adjacent_difference_config_selectorILb1ElEEZNS1_24adjacent_difference_implIS3_Lb1ELb0EPlS7_ZN2at6native12_GLOBAL__N_124unique_dim_cuda_templateIdEESt5tupleIJNS8_6TensorESD_SD_EERKSD_lbbbEUlllE1_EE10hipError_tPvRmT2_T3_mT4_P12ihipStream_tbEUlT_E_NS1_11comp_targetILNS1_3genE0ELNS1_11target_archE4294967295ELNS1_3gpuE0ELNS1_3repE0EEENS1_30default_config_static_selectorELNS0_4arch9wavefront6targetE0EEEvT1_.uses_flat_scratch, 0
	.set _ZN7rocprim17ROCPRIM_400000_NS6detail17trampoline_kernelINS0_14default_configENS1_35adjacent_difference_config_selectorILb1ElEEZNS1_24adjacent_difference_implIS3_Lb1ELb0EPlS7_ZN2at6native12_GLOBAL__N_124unique_dim_cuda_templateIdEESt5tupleIJNS8_6TensorESD_SD_EERKSD_lbbbEUlllE1_EE10hipError_tPvRmT2_T3_mT4_P12ihipStream_tbEUlT_E_NS1_11comp_targetILNS1_3genE0ELNS1_11target_archE4294967295ELNS1_3gpuE0ELNS1_3repE0EEENS1_30default_config_static_selectorELNS0_4arch9wavefront6targetE0EEEvT1_.has_dyn_sized_stack, 0
	.set _ZN7rocprim17ROCPRIM_400000_NS6detail17trampoline_kernelINS0_14default_configENS1_35adjacent_difference_config_selectorILb1ElEEZNS1_24adjacent_difference_implIS3_Lb1ELb0EPlS7_ZN2at6native12_GLOBAL__N_124unique_dim_cuda_templateIdEESt5tupleIJNS8_6TensorESD_SD_EERKSD_lbbbEUlllE1_EE10hipError_tPvRmT2_T3_mT4_P12ihipStream_tbEUlT_E_NS1_11comp_targetILNS1_3genE0ELNS1_11target_archE4294967295ELNS1_3gpuE0ELNS1_3repE0EEENS1_30default_config_static_selectorELNS0_4arch9wavefront6targetE0EEEvT1_.has_recursion, 0
	.set _ZN7rocprim17ROCPRIM_400000_NS6detail17trampoline_kernelINS0_14default_configENS1_35adjacent_difference_config_selectorILb1ElEEZNS1_24adjacent_difference_implIS3_Lb1ELb0EPlS7_ZN2at6native12_GLOBAL__N_124unique_dim_cuda_templateIdEESt5tupleIJNS8_6TensorESD_SD_EERKSD_lbbbEUlllE1_EE10hipError_tPvRmT2_T3_mT4_P12ihipStream_tbEUlT_E_NS1_11comp_targetILNS1_3genE0ELNS1_11target_archE4294967295ELNS1_3gpuE0ELNS1_3repE0EEENS1_30default_config_static_selectorELNS0_4arch9wavefront6targetE0EEEvT1_.has_indirect_call, 0
	.section	.AMDGPU.csdata,"",@progbits
; Kernel info:
; codeLenInByte = 2948
; TotalNumSgprs: 31
; NumVgprs: 16
; ScratchSize: 0
; MemoryBound: 0
; FloatMode: 240
; IeeeMode: 1
; LDSByteSize: 8448 bytes/workgroup (compile time only)
; SGPRBlocks: 0
; VGPRBlocks: 0
; NumSGPRsForWavesPerEU: 31
; NumVGPRsForWavesPerEU: 16
; NamedBarCnt: 0
; Occupancy: 16
; WaveLimiterHint : 1
; COMPUTE_PGM_RSRC2:SCRATCH_EN: 0
; COMPUTE_PGM_RSRC2:USER_SGPR: 2
; COMPUTE_PGM_RSRC2:TRAP_HANDLER: 0
; COMPUTE_PGM_RSRC2:TGID_X_EN: 1
; COMPUTE_PGM_RSRC2:TGID_Y_EN: 0
; COMPUTE_PGM_RSRC2:TGID_Z_EN: 0
; COMPUTE_PGM_RSRC2:TIDIG_COMP_CNT: 0
	.section	.text._ZN7rocprim17ROCPRIM_400000_NS6detail17trampoline_kernelINS0_14default_configENS1_35adjacent_difference_config_selectorILb1ElEEZNS1_24adjacent_difference_implIS3_Lb1ELb0EPlS7_ZN2at6native12_GLOBAL__N_124unique_dim_cuda_templateIdEESt5tupleIJNS8_6TensorESD_SD_EERKSD_lbbbEUlllE1_EE10hipError_tPvRmT2_T3_mT4_P12ihipStream_tbEUlT_E_NS1_11comp_targetILNS1_3genE10ELNS1_11target_archE1201ELNS1_3gpuE5ELNS1_3repE0EEENS1_30default_config_static_selectorELNS0_4arch9wavefront6targetE0EEEvT1_,"axG",@progbits,_ZN7rocprim17ROCPRIM_400000_NS6detail17trampoline_kernelINS0_14default_configENS1_35adjacent_difference_config_selectorILb1ElEEZNS1_24adjacent_difference_implIS3_Lb1ELb0EPlS7_ZN2at6native12_GLOBAL__N_124unique_dim_cuda_templateIdEESt5tupleIJNS8_6TensorESD_SD_EERKSD_lbbbEUlllE1_EE10hipError_tPvRmT2_T3_mT4_P12ihipStream_tbEUlT_E_NS1_11comp_targetILNS1_3genE10ELNS1_11target_archE1201ELNS1_3gpuE5ELNS1_3repE0EEENS1_30default_config_static_selectorELNS0_4arch9wavefront6targetE0EEEvT1_,comdat
	.globl	_ZN7rocprim17ROCPRIM_400000_NS6detail17trampoline_kernelINS0_14default_configENS1_35adjacent_difference_config_selectorILb1ElEEZNS1_24adjacent_difference_implIS3_Lb1ELb0EPlS7_ZN2at6native12_GLOBAL__N_124unique_dim_cuda_templateIdEESt5tupleIJNS8_6TensorESD_SD_EERKSD_lbbbEUlllE1_EE10hipError_tPvRmT2_T3_mT4_P12ihipStream_tbEUlT_E_NS1_11comp_targetILNS1_3genE10ELNS1_11target_archE1201ELNS1_3gpuE5ELNS1_3repE0EEENS1_30default_config_static_selectorELNS0_4arch9wavefront6targetE0EEEvT1_ ; -- Begin function _ZN7rocprim17ROCPRIM_400000_NS6detail17trampoline_kernelINS0_14default_configENS1_35adjacent_difference_config_selectorILb1ElEEZNS1_24adjacent_difference_implIS3_Lb1ELb0EPlS7_ZN2at6native12_GLOBAL__N_124unique_dim_cuda_templateIdEESt5tupleIJNS8_6TensorESD_SD_EERKSD_lbbbEUlllE1_EE10hipError_tPvRmT2_T3_mT4_P12ihipStream_tbEUlT_E_NS1_11comp_targetILNS1_3genE10ELNS1_11target_archE1201ELNS1_3gpuE5ELNS1_3repE0EEENS1_30default_config_static_selectorELNS0_4arch9wavefront6targetE0EEEvT1_
	.p2align	8
	.type	_ZN7rocprim17ROCPRIM_400000_NS6detail17trampoline_kernelINS0_14default_configENS1_35adjacent_difference_config_selectorILb1ElEEZNS1_24adjacent_difference_implIS3_Lb1ELb0EPlS7_ZN2at6native12_GLOBAL__N_124unique_dim_cuda_templateIdEESt5tupleIJNS8_6TensorESD_SD_EERKSD_lbbbEUlllE1_EE10hipError_tPvRmT2_T3_mT4_P12ihipStream_tbEUlT_E_NS1_11comp_targetILNS1_3genE10ELNS1_11target_archE1201ELNS1_3gpuE5ELNS1_3repE0EEENS1_30default_config_static_selectorELNS0_4arch9wavefront6targetE0EEEvT1_,@function
_ZN7rocprim17ROCPRIM_400000_NS6detail17trampoline_kernelINS0_14default_configENS1_35adjacent_difference_config_selectorILb1ElEEZNS1_24adjacent_difference_implIS3_Lb1ELb0EPlS7_ZN2at6native12_GLOBAL__N_124unique_dim_cuda_templateIdEESt5tupleIJNS8_6TensorESD_SD_EERKSD_lbbbEUlllE1_EE10hipError_tPvRmT2_T3_mT4_P12ihipStream_tbEUlT_E_NS1_11comp_targetILNS1_3genE10ELNS1_11target_archE1201ELNS1_3gpuE5ELNS1_3repE0EEENS1_30default_config_static_selectorELNS0_4arch9wavefront6targetE0EEEvT1_: ; @_ZN7rocprim17ROCPRIM_400000_NS6detail17trampoline_kernelINS0_14default_configENS1_35adjacent_difference_config_selectorILb1ElEEZNS1_24adjacent_difference_implIS3_Lb1ELb0EPlS7_ZN2at6native12_GLOBAL__N_124unique_dim_cuda_templateIdEESt5tupleIJNS8_6TensorESD_SD_EERKSD_lbbbEUlllE1_EE10hipError_tPvRmT2_T3_mT4_P12ihipStream_tbEUlT_E_NS1_11comp_targetILNS1_3genE10ELNS1_11target_archE1201ELNS1_3gpuE5ELNS1_3repE0EEENS1_30default_config_static_selectorELNS0_4arch9wavefront6targetE0EEEvT1_
; %bb.0:
	.section	.rodata,"a",@progbits
	.p2align	6, 0x0
	.amdhsa_kernel _ZN7rocprim17ROCPRIM_400000_NS6detail17trampoline_kernelINS0_14default_configENS1_35adjacent_difference_config_selectorILb1ElEEZNS1_24adjacent_difference_implIS3_Lb1ELb0EPlS7_ZN2at6native12_GLOBAL__N_124unique_dim_cuda_templateIdEESt5tupleIJNS8_6TensorESD_SD_EERKSD_lbbbEUlllE1_EE10hipError_tPvRmT2_T3_mT4_P12ihipStream_tbEUlT_E_NS1_11comp_targetILNS1_3genE10ELNS1_11target_archE1201ELNS1_3gpuE5ELNS1_3repE0EEENS1_30default_config_static_selectorELNS0_4arch9wavefront6targetE0EEEvT1_
		.amdhsa_group_segment_fixed_size 0
		.amdhsa_private_segment_fixed_size 0
		.amdhsa_kernarg_size 64
		.amdhsa_user_sgpr_count 2
		.amdhsa_user_sgpr_dispatch_ptr 0
		.amdhsa_user_sgpr_queue_ptr 0
		.amdhsa_user_sgpr_kernarg_segment_ptr 1
		.amdhsa_user_sgpr_dispatch_id 0
		.amdhsa_user_sgpr_kernarg_preload_length 0
		.amdhsa_user_sgpr_kernarg_preload_offset 0
		.amdhsa_user_sgpr_private_segment_size 0
		.amdhsa_wavefront_size32 1
		.amdhsa_uses_dynamic_stack 0
		.amdhsa_enable_private_segment 0
		.amdhsa_system_sgpr_workgroup_id_x 1
		.amdhsa_system_sgpr_workgroup_id_y 0
		.amdhsa_system_sgpr_workgroup_id_z 0
		.amdhsa_system_sgpr_workgroup_info 0
		.amdhsa_system_vgpr_workitem_id 0
		.amdhsa_next_free_vgpr 1
		.amdhsa_next_free_sgpr 1
		.amdhsa_named_barrier_count 0
		.amdhsa_reserve_vcc 0
		.amdhsa_float_round_mode_32 0
		.amdhsa_float_round_mode_16_64 0
		.amdhsa_float_denorm_mode_32 3
		.amdhsa_float_denorm_mode_16_64 3
		.amdhsa_fp16_overflow 0
		.amdhsa_memory_ordered 1
		.amdhsa_forward_progress 1
		.amdhsa_inst_pref_size 0
		.amdhsa_round_robin_scheduling 0
		.amdhsa_exception_fp_ieee_invalid_op 0
		.amdhsa_exception_fp_denorm_src 0
		.amdhsa_exception_fp_ieee_div_zero 0
		.amdhsa_exception_fp_ieee_overflow 0
		.amdhsa_exception_fp_ieee_underflow 0
		.amdhsa_exception_fp_ieee_inexact 0
		.amdhsa_exception_int_div_zero 0
	.end_amdhsa_kernel
	.section	.text._ZN7rocprim17ROCPRIM_400000_NS6detail17trampoline_kernelINS0_14default_configENS1_35adjacent_difference_config_selectorILb1ElEEZNS1_24adjacent_difference_implIS3_Lb1ELb0EPlS7_ZN2at6native12_GLOBAL__N_124unique_dim_cuda_templateIdEESt5tupleIJNS8_6TensorESD_SD_EERKSD_lbbbEUlllE1_EE10hipError_tPvRmT2_T3_mT4_P12ihipStream_tbEUlT_E_NS1_11comp_targetILNS1_3genE10ELNS1_11target_archE1201ELNS1_3gpuE5ELNS1_3repE0EEENS1_30default_config_static_selectorELNS0_4arch9wavefront6targetE0EEEvT1_,"axG",@progbits,_ZN7rocprim17ROCPRIM_400000_NS6detail17trampoline_kernelINS0_14default_configENS1_35adjacent_difference_config_selectorILb1ElEEZNS1_24adjacent_difference_implIS3_Lb1ELb0EPlS7_ZN2at6native12_GLOBAL__N_124unique_dim_cuda_templateIdEESt5tupleIJNS8_6TensorESD_SD_EERKSD_lbbbEUlllE1_EE10hipError_tPvRmT2_T3_mT4_P12ihipStream_tbEUlT_E_NS1_11comp_targetILNS1_3genE10ELNS1_11target_archE1201ELNS1_3gpuE5ELNS1_3repE0EEENS1_30default_config_static_selectorELNS0_4arch9wavefront6targetE0EEEvT1_,comdat
.Lfunc_end800:
	.size	_ZN7rocprim17ROCPRIM_400000_NS6detail17trampoline_kernelINS0_14default_configENS1_35adjacent_difference_config_selectorILb1ElEEZNS1_24adjacent_difference_implIS3_Lb1ELb0EPlS7_ZN2at6native12_GLOBAL__N_124unique_dim_cuda_templateIdEESt5tupleIJNS8_6TensorESD_SD_EERKSD_lbbbEUlllE1_EE10hipError_tPvRmT2_T3_mT4_P12ihipStream_tbEUlT_E_NS1_11comp_targetILNS1_3genE10ELNS1_11target_archE1201ELNS1_3gpuE5ELNS1_3repE0EEENS1_30default_config_static_selectorELNS0_4arch9wavefront6targetE0EEEvT1_, .Lfunc_end800-_ZN7rocprim17ROCPRIM_400000_NS6detail17trampoline_kernelINS0_14default_configENS1_35adjacent_difference_config_selectorILb1ElEEZNS1_24adjacent_difference_implIS3_Lb1ELb0EPlS7_ZN2at6native12_GLOBAL__N_124unique_dim_cuda_templateIdEESt5tupleIJNS8_6TensorESD_SD_EERKSD_lbbbEUlllE1_EE10hipError_tPvRmT2_T3_mT4_P12ihipStream_tbEUlT_E_NS1_11comp_targetILNS1_3genE10ELNS1_11target_archE1201ELNS1_3gpuE5ELNS1_3repE0EEENS1_30default_config_static_selectorELNS0_4arch9wavefront6targetE0EEEvT1_
                                        ; -- End function
	.set _ZN7rocprim17ROCPRIM_400000_NS6detail17trampoline_kernelINS0_14default_configENS1_35adjacent_difference_config_selectorILb1ElEEZNS1_24adjacent_difference_implIS3_Lb1ELb0EPlS7_ZN2at6native12_GLOBAL__N_124unique_dim_cuda_templateIdEESt5tupleIJNS8_6TensorESD_SD_EERKSD_lbbbEUlllE1_EE10hipError_tPvRmT2_T3_mT4_P12ihipStream_tbEUlT_E_NS1_11comp_targetILNS1_3genE10ELNS1_11target_archE1201ELNS1_3gpuE5ELNS1_3repE0EEENS1_30default_config_static_selectorELNS0_4arch9wavefront6targetE0EEEvT1_.num_vgpr, 0
	.set _ZN7rocprim17ROCPRIM_400000_NS6detail17trampoline_kernelINS0_14default_configENS1_35adjacent_difference_config_selectorILb1ElEEZNS1_24adjacent_difference_implIS3_Lb1ELb0EPlS7_ZN2at6native12_GLOBAL__N_124unique_dim_cuda_templateIdEESt5tupleIJNS8_6TensorESD_SD_EERKSD_lbbbEUlllE1_EE10hipError_tPvRmT2_T3_mT4_P12ihipStream_tbEUlT_E_NS1_11comp_targetILNS1_3genE10ELNS1_11target_archE1201ELNS1_3gpuE5ELNS1_3repE0EEENS1_30default_config_static_selectorELNS0_4arch9wavefront6targetE0EEEvT1_.num_agpr, 0
	.set _ZN7rocprim17ROCPRIM_400000_NS6detail17trampoline_kernelINS0_14default_configENS1_35adjacent_difference_config_selectorILb1ElEEZNS1_24adjacent_difference_implIS3_Lb1ELb0EPlS7_ZN2at6native12_GLOBAL__N_124unique_dim_cuda_templateIdEESt5tupleIJNS8_6TensorESD_SD_EERKSD_lbbbEUlllE1_EE10hipError_tPvRmT2_T3_mT4_P12ihipStream_tbEUlT_E_NS1_11comp_targetILNS1_3genE10ELNS1_11target_archE1201ELNS1_3gpuE5ELNS1_3repE0EEENS1_30default_config_static_selectorELNS0_4arch9wavefront6targetE0EEEvT1_.numbered_sgpr, 0
	.set _ZN7rocprim17ROCPRIM_400000_NS6detail17trampoline_kernelINS0_14default_configENS1_35adjacent_difference_config_selectorILb1ElEEZNS1_24adjacent_difference_implIS3_Lb1ELb0EPlS7_ZN2at6native12_GLOBAL__N_124unique_dim_cuda_templateIdEESt5tupleIJNS8_6TensorESD_SD_EERKSD_lbbbEUlllE1_EE10hipError_tPvRmT2_T3_mT4_P12ihipStream_tbEUlT_E_NS1_11comp_targetILNS1_3genE10ELNS1_11target_archE1201ELNS1_3gpuE5ELNS1_3repE0EEENS1_30default_config_static_selectorELNS0_4arch9wavefront6targetE0EEEvT1_.num_named_barrier, 0
	.set _ZN7rocprim17ROCPRIM_400000_NS6detail17trampoline_kernelINS0_14default_configENS1_35adjacent_difference_config_selectorILb1ElEEZNS1_24adjacent_difference_implIS3_Lb1ELb0EPlS7_ZN2at6native12_GLOBAL__N_124unique_dim_cuda_templateIdEESt5tupleIJNS8_6TensorESD_SD_EERKSD_lbbbEUlllE1_EE10hipError_tPvRmT2_T3_mT4_P12ihipStream_tbEUlT_E_NS1_11comp_targetILNS1_3genE10ELNS1_11target_archE1201ELNS1_3gpuE5ELNS1_3repE0EEENS1_30default_config_static_selectorELNS0_4arch9wavefront6targetE0EEEvT1_.private_seg_size, 0
	.set _ZN7rocprim17ROCPRIM_400000_NS6detail17trampoline_kernelINS0_14default_configENS1_35adjacent_difference_config_selectorILb1ElEEZNS1_24adjacent_difference_implIS3_Lb1ELb0EPlS7_ZN2at6native12_GLOBAL__N_124unique_dim_cuda_templateIdEESt5tupleIJNS8_6TensorESD_SD_EERKSD_lbbbEUlllE1_EE10hipError_tPvRmT2_T3_mT4_P12ihipStream_tbEUlT_E_NS1_11comp_targetILNS1_3genE10ELNS1_11target_archE1201ELNS1_3gpuE5ELNS1_3repE0EEENS1_30default_config_static_selectorELNS0_4arch9wavefront6targetE0EEEvT1_.uses_vcc, 0
	.set _ZN7rocprim17ROCPRIM_400000_NS6detail17trampoline_kernelINS0_14default_configENS1_35adjacent_difference_config_selectorILb1ElEEZNS1_24adjacent_difference_implIS3_Lb1ELb0EPlS7_ZN2at6native12_GLOBAL__N_124unique_dim_cuda_templateIdEESt5tupleIJNS8_6TensorESD_SD_EERKSD_lbbbEUlllE1_EE10hipError_tPvRmT2_T3_mT4_P12ihipStream_tbEUlT_E_NS1_11comp_targetILNS1_3genE10ELNS1_11target_archE1201ELNS1_3gpuE5ELNS1_3repE0EEENS1_30default_config_static_selectorELNS0_4arch9wavefront6targetE0EEEvT1_.uses_flat_scratch, 0
	.set _ZN7rocprim17ROCPRIM_400000_NS6detail17trampoline_kernelINS0_14default_configENS1_35adjacent_difference_config_selectorILb1ElEEZNS1_24adjacent_difference_implIS3_Lb1ELb0EPlS7_ZN2at6native12_GLOBAL__N_124unique_dim_cuda_templateIdEESt5tupleIJNS8_6TensorESD_SD_EERKSD_lbbbEUlllE1_EE10hipError_tPvRmT2_T3_mT4_P12ihipStream_tbEUlT_E_NS1_11comp_targetILNS1_3genE10ELNS1_11target_archE1201ELNS1_3gpuE5ELNS1_3repE0EEENS1_30default_config_static_selectorELNS0_4arch9wavefront6targetE0EEEvT1_.has_dyn_sized_stack, 0
	.set _ZN7rocprim17ROCPRIM_400000_NS6detail17trampoline_kernelINS0_14default_configENS1_35adjacent_difference_config_selectorILb1ElEEZNS1_24adjacent_difference_implIS3_Lb1ELb0EPlS7_ZN2at6native12_GLOBAL__N_124unique_dim_cuda_templateIdEESt5tupleIJNS8_6TensorESD_SD_EERKSD_lbbbEUlllE1_EE10hipError_tPvRmT2_T3_mT4_P12ihipStream_tbEUlT_E_NS1_11comp_targetILNS1_3genE10ELNS1_11target_archE1201ELNS1_3gpuE5ELNS1_3repE0EEENS1_30default_config_static_selectorELNS0_4arch9wavefront6targetE0EEEvT1_.has_recursion, 0
	.set _ZN7rocprim17ROCPRIM_400000_NS6detail17trampoline_kernelINS0_14default_configENS1_35adjacent_difference_config_selectorILb1ElEEZNS1_24adjacent_difference_implIS3_Lb1ELb0EPlS7_ZN2at6native12_GLOBAL__N_124unique_dim_cuda_templateIdEESt5tupleIJNS8_6TensorESD_SD_EERKSD_lbbbEUlllE1_EE10hipError_tPvRmT2_T3_mT4_P12ihipStream_tbEUlT_E_NS1_11comp_targetILNS1_3genE10ELNS1_11target_archE1201ELNS1_3gpuE5ELNS1_3repE0EEENS1_30default_config_static_selectorELNS0_4arch9wavefront6targetE0EEEvT1_.has_indirect_call, 0
	.section	.AMDGPU.csdata,"",@progbits
; Kernel info:
; codeLenInByte = 0
; TotalNumSgprs: 0
; NumVgprs: 0
; ScratchSize: 0
; MemoryBound: 0
; FloatMode: 240
; IeeeMode: 1
; LDSByteSize: 0 bytes/workgroup (compile time only)
; SGPRBlocks: 0
; VGPRBlocks: 0
; NumSGPRsForWavesPerEU: 1
; NumVGPRsForWavesPerEU: 1
; NamedBarCnt: 0
; Occupancy: 16
; WaveLimiterHint : 0
; COMPUTE_PGM_RSRC2:SCRATCH_EN: 0
; COMPUTE_PGM_RSRC2:USER_SGPR: 2
; COMPUTE_PGM_RSRC2:TRAP_HANDLER: 0
; COMPUTE_PGM_RSRC2:TGID_X_EN: 1
; COMPUTE_PGM_RSRC2:TGID_Y_EN: 0
; COMPUTE_PGM_RSRC2:TGID_Z_EN: 0
; COMPUTE_PGM_RSRC2:TIDIG_COMP_CNT: 0
	.section	.text._ZN7rocprim17ROCPRIM_400000_NS6detail17trampoline_kernelINS0_14default_configENS1_35adjacent_difference_config_selectorILb1ElEEZNS1_24adjacent_difference_implIS3_Lb1ELb0EPlS7_ZN2at6native12_GLOBAL__N_124unique_dim_cuda_templateIdEESt5tupleIJNS8_6TensorESD_SD_EERKSD_lbbbEUlllE1_EE10hipError_tPvRmT2_T3_mT4_P12ihipStream_tbEUlT_E_NS1_11comp_targetILNS1_3genE5ELNS1_11target_archE942ELNS1_3gpuE9ELNS1_3repE0EEENS1_30default_config_static_selectorELNS0_4arch9wavefront6targetE0EEEvT1_,"axG",@progbits,_ZN7rocprim17ROCPRIM_400000_NS6detail17trampoline_kernelINS0_14default_configENS1_35adjacent_difference_config_selectorILb1ElEEZNS1_24adjacent_difference_implIS3_Lb1ELb0EPlS7_ZN2at6native12_GLOBAL__N_124unique_dim_cuda_templateIdEESt5tupleIJNS8_6TensorESD_SD_EERKSD_lbbbEUlllE1_EE10hipError_tPvRmT2_T3_mT4_P12ihipStream_tbEUlT_E_NS1_11comp_targetILNS1_3genE5ELNS1_11target_archE942ELNS1_3gpuE9ELNS1_3repE0EEENS1_30default_config_static_selectorELNS0_4arch9wavefront6targetE0EEEvT1_,comdat
	.globl	_ZN7rocprim17ROCPRIM_400000_NS6detail17trampoline_kernelINS0_14default_configENS1_35adjacent_difference_config_selectorILb1ElEEZNS1_24adjacent_difference_implIS3_Lb1ELb0EPlS7_ZN2at6native12_GLOBAL__N_124unique_dim_cuda_templateIdEESt5tupleIJNS8_6TensorESD_SD_EERKSD_lbbbEUlllE1_EE10hipError_tPvRmT2_T3_mT4_P12ihipStream_tbEUlT_E_NS1_11comp_targetILNS1_3genE5ELNS1_11target_archE942ELNS1_3gpuE9ELNS1_3repE0EEENS1_30default_config_static_selectorELNS0_4arch9wavefront6targetE0EEEvT1_ ; -- Begin function _ZN7rocprim17ROCPRIM_400000_NS6detail17trampoline_kernelINS0_14default_configENS1_35adjacent_difference_config_selectorILb1ElEEZNS1_24adjacent_difference_implIS3_Lb1ELb0EPlS7_ZN2at6native12_GLOBAL__N_124unique_dim_cuda_templateIdEESt5tupleIJNS8_6TensorESD_SD_EERKSD_lbbbEUlllE1_EE10hipError_tPvRmT2_T3_mT4_P12ihipStream_tbEUlT_E_NS1_11comp_targetILNS1_3genE5ELNS1_11target_archE942ELNS1_3gpuE9ELNS1_3repE0EEENS1_30default_config_static_selectorELNS0_4arch9wavefront6targetE0EEEvT1_
	.p2align	8
	.type	_ZN7rocprim17ROCPRIM_400000_NS6detail17trampoline_kernelINS0_14default_configENS1_35adjacent_difference_config_selectorILb1ElEEZNS1_24adjacent_difference_implIS3_Lb1ELb0EPlS7_ZN2at6native12_GLOBAL__N_124unique_dim_cuda_templateIdEESt5tupleIJNS8_6TensorESD_SD_EERKSD_lbbbEUlllE1_EE10hipError_tPvRmT2_T3_mT4_P12ihipStream_tbEUlT_E_NS1_11comp_targetILNS1_3genE5ELNS1_11target_archE942ELNS1_3gpuE9ELNS1_3repE0EEENS1_30default_config_static_selectorELNS0_4arch9wavefront6targetE0EEEvT1_,@function
_ZN7rocprim17ROCPRIM_400000_NS6detail17trampoline_kernelINS0_14default_configENS1_35adjacent_difference_config_selectorILb1ElEEZNS1_24adjacent_difference_implIS3_Lb1ELb0EPlS7_ZN2at6native12_GLOBAL__N_124unique_dim_cuda_templateIdEESt5tupleIJNS8_6TensorESD_SD_EERKSD_lbbbEUlllE1_EE10hipError_tPvRmT2_T3_mT4_P12ihipStream_tbEUlT_E_NS1_11comp_targetILNS1_3genE5ELNS1_11target_archE942ELNS1_3gpuE9ELNS1_3repE0EEENS1_30default_config_static_selectorELNS0_4arch9wavefront6targetE0EEEvT1_: ; @_ZN7rocprim17ROCPRIM_400000_NS6detail17trampoline_kernelINS0_14default_configENS1_35adjacent_difference_config_selectorILb1ElEEZNS1_24adjacent_difference_implIS3_Lb1ELb0EPlS7_ZN2at6native12_GLOBAL__N_124unique_dim_cuda_templateIdEESt5tupleIJNS8_6TensorESD_SD_EERKSD_lbbbEUlllE1_EE10hipError_tPvRmT2_T3_mT4_P12ihipStream_tbEUlT_E_NS1_11comp_targetILNS1_3genE5ELNS1_11target_archE942ELNS1_3gpuE9ELNS1_3repE0EEENS1_30default_config_static_selectorELNS0_4arch9wavefront6targetE0EEEvT1_
; %bb.0:
	.section	.rodata,"a",@progbits
	.p2align	6, 0x0
	.amdhsa_kernel _ZN7rocprim17ROCPRIM_400000_NS6detail17trampoline_kernelINS0_14default_configENS1_35adjacent_difference_config_selectorILb1ElEEZNS1_24adjacent_difference_implIS3_Lb1ELb0EPlS7_ZN2at6native12_GLOBAL__N_124unique_dim_cuda_templateIdEESt5tupleIJNS8_6TensorESD_SD_EERKSD_lbbbEUlllE1_EE10hipError_tPvRmT2_T3_mT4_P12ihipStream_tbEUlT_E_NS1_11comp_targetILNS1_3genE5ELNS1_11target_archE942ELNS1_3gpuE9ELNS1_3repE0EEENS1_30default_config_static_selectorELNS0_4arch9wavefront6targetE0EEEvT1_
		.amdhsa_group_segment_fixed_size 0
		.amdhsa_private_segment_fixed_size 0
		.amdhsa_kernarg_size 64
		.amdhsa_user_sgpr_count 2
		.amdhsa_user_sgpr_dispatch_ptr 0
		.amdhsa_user_sgpr_queue_ptr 0
		.amdhsa_user_sgpr_kernarg_segment_ptr 1
		.amdhsa_user_sgpr_dispatch_id 0
		.amdhsa_user_sgpr_kernarg_preload_length 0
		.amdhsa_user_sgpr_kernarg_preload_offset 0
		.amdhsa_user_sgpr_private_segment_size 0
		.amdhsa_wavefront_size32 1
		.amdhsa_uses_dynamic_stack 0
		.amdhsa_enable_private_segment 0
		.amdhsa_system_sgpr_workgroup_id_x 1
		.amdhsa_system_sgpr_workgroup_id_y 0
		.amdhsa_system_sgpr_workgroup_id_z 0
		.amdhsa_system_sgpr_workgroup_info 0
		.amdhsa_system_vgpr_workitem_id 0
		.amdhsa_next_free_vgpr 1
		.amdhsa_next_free_sgpr 1
		.amdhsa_named_barrier_count 0
		.amdhsa_reserve_vcc 0
		.amdhsa_float_round_mode_32 0
		.amdhsa_float_round_mode_16_64 0
		.amdhsa_float_denorm_mode_32 3
		.amdhsa_float_denorm_mode_16_64 3
		.amdhsa_fp16_overflow 0
		.amdhsa_memory_ordered 1
		.amdhsa_forward_progress 1
		.amdhsa_inst_pref_size 0
		.amdhsa_round_robin_scheduling 0
		.amdhsa_exception_fp_ieee_invalid_op 0
		.amdhsa_exception_fp_denorm_src 0
		.amdhsa_exception_fp_ieee_div_zero 0
		.amdhsa_exception_fp_ieee_overflow 0
		.amdhsa_exception_fp_ieee_underflow 0
		.amdhsa_exception_fp_ieee_inexact 0
		.amdhsa_exception_int_div_zero 0
	.end_amdhsa_kernel
	.section	.text._ZN7rocprim17ROCPRIM_400000_NS6detail17trampoline_kernelINS0_14default_configENS1_35adjacent_difference_config_selectorILb1ElEEZNS1_24adjacent_difference_implIS3_Lb1ELb0EPlS7_ZN2at6native12_GLOBAL__N_124unique_dim_cuda_templateIdEESt5tupleIJNS8_6TensorESD_SD_EERKSD_lbbbEUlllE1_EE10hipError_tPvRmT2_T3_mT4_P12ihipStream_tbEUlT_E_NS1_11comp_targetILNS1_3genE5ELNS1_11target_archE942ELNS1_3gpuE9ELNS1_3repE0EEENS1_30default_config_static_selectorELNS0_4arch9wavefront6targetE0EEEvT1_,"axG",@progbits,_ZN7rocprim17ROCPRIM_400000_NS6detail17trampoline_kernelINS0_14default_configENS1_35adjacent_difference_config_selectorILb1ElEEZNS1_24adjacent_difference_implIS3_Lb1ELb0EPlS7_ZN2at6native12_GLOBAL__N_124unique_dim_cuda_templateIdEESt5tupleIJNS8_6TensorESD_SD_EERKSD_lbbbEUlllE1_EE10hipError_tPvRmT2_T3_mT4_P12ihipStream_tbEUlT_E_NS1_11comp_targetILNS1_3genE5ELNS1_11target_archE942ELNS1_3gpuE9ELNS1_3repE0EEENS1_30default_config_static_selectorELNS0_4arch9wavefront6targetE0EEEvT1_,comdat
.Lfunc_end801:
	.size	_ZN7rocprim17ROCPRIM_400000_NS6detail17trampoline_kernelINS0_14default_configENS1_35adjacent_difference_config_selectorILb1ElEEZNS1_24adjacent_difference_implIS3_Lb1ELb0EPlS7_ZN2at6native12_GLOBAL__N_124unique_dim_cuda_templateIdEESt5tupleIJNS8_6TensorESD_SD_EERKSD_lbbbEUlllE1_EE10hipError_tPvRmT2_T3_mT4_P12ihipStream_tbEUlT_E_NS1_11comp_targetILNS1_3genE5ELNS1_11target_archE942ELNS1_3gpuE9ELNS1_3repE0EEENS1_30default_config_static_selectorELNS0_4arch9wavefront6targetE0EEEvT1_, .Lfunc_end801-_ZN7rocprim17ROCPRIM_400000_NS6detail17trampoline_kernelINS0_14default_configENS1_35adjacent_difference_config_selectorILb1ElEEZNS1_24adjacent_difference_implIS3_Lb1ELb0EPlS7_ZN2at6native12_GLOBAL__N_124unique_dim_cuda_templateIdEESt5tupleIJNS8_6TensorESD_SD_EERKSD_lbbbEUlllE1_EE10hipError_tPvRmT2_T3_mT4_P12ihipStream_tbEUlT_E_NS1_11comp_targetILNS1_3genE5ELNS1_11target_archE942ELNS1_3gpuE9ELNS1_3repE0EEENS1_30default_config_static_selectorELNS0_4arch9wavefront6targetE0EEEvT1_
                                        ; -- End function
	.set _ZN7rocprim17ROCPRIM_400000_NS6detail17trampoline_kernelINS0_14default_configENS1_35adjacent_difference_config_selectorILb1ElEEZNS1_24adjacent_difference_implIS3_Lb1ELb0EPlS7_ZN2at6native12_GLOBAL__N_124unique_dim_cuda_templateIdEESt5tupleIJNS8_6TensorESD_SD_EERKSD_lbbbEUlllE1_EE10hipError_tPvRmT2_T3_mT4_P12ihipStream_tbEUlT_E_NS1_11comp_targetILNS1_3genE5ELNS1_11target_archE942ELNS1_3gpuE9ELNS1_3repE0EEENS1_30default_config_static_selectorELNS0_4arch9wavefront6targetE0EEEvT1_.num_vgpr, 0
	.set _ZN7rocprim17ROCPRIM_400000_NS6detail17trampoline_kernelINS0_14default_configENS1_35adjacent_difference_config_selectorILb1ElEEZNS1_24adjacent_difference_implIS3_Lb1ELb0EPlS7_ZN2at6native12_GLOBAL__N_124unique_dim_cuda_templateIdEESt5tupleIJNS8_6TensorESD_SD_EERKSD_lbbbEUlllE1_EE10hipError_tPvRmT2_T3_mT4_P12ihipStream_tbEUlT_E_NS1_11comp_targetILNS1_3genE5ELNS1_11target_archE942ELNS1_3gpuE9ELNS1_3repE0EEENS1_30default_config_static_selectorELNS0_4arch9wavefront6targetE0EEEvT1_.num_agpr, 0
	.set _ZN7rocprim17ROCPRIM_400000_NS6detail17trampoline_kernelINS0_14default_configENS1_35adjacent_difference_config_selectorILb1ElEEZNS1_24adjacent_difference_implIS3_Lb1ELb0EPlS7_ZN2at6native12_GLOBAL__N_124unique_dim_cuda_templateIdEESt5tupleIJNS8_6TensorESD_SD_EERKSD_lbbbEUlllE1_EE10hipError_tPvRmT2_T3_mT4_P12ihipStream_tbEUlT_E_NS1_11comp_targetILNS1_3genE5ELNS1_11target_archE942ELNS1_3gpuE9ELNS1_3repE0EEENS1_30default_config_static_selectorELNS0_4arch9wavefront6targetE0EEEvT1_.numbered_sgpr, 0
	.set _ZN7rocprim17ROCPRIM_400000_NS6detail17trampoline_kernelINS0_14default_configENS1_35adjacent_difference_config_selectorILb1ElEEZNS1_24adjacent_difference_implIS3_Lb1ELb0EPlS7_ZN2at6native12_GLOBAL__N_124unique_dim_cuda_templateIdEESt5tupleIJNS8_6TensorESD_SD_EERKSD_lbbbEUlllE1_EE10hipError_tPvRmT2_T3_mT4_P12ihipStream_tbEUlT_E_NS1_11comp_targetILNS1_3genE5ELNS1_11target_archE942ELNS1_3gpuE9ELNS1_3repE0EEENS1_30default_config_static_selectorELNS0_4arch9wavefront6targetE0EEEvT1_.num_named_barrier, 0
	.set _ZN7rocprim17ROCPRIM_400000_NS6detail17trampoline_kernelINS0_14default_configENS1_35adjacent_difference_config_selectorILb1ElEEZNS1_24adjacent_difference_implIS3_Lb1ELb0EPlS7_ZN2at6native12_GLOBAL__N_124unique_dim_cuda_templateIdEESt5tupleIJNS8_6TensorESD_SD_EERKSD_lbbbEUlllE1_EE10hipError_tPvRmT2_T3_mT4_P12ihipStream_tbEUlT_E_NS1_11comp_targetILNS1_3genE5ELNS1_11target_archE942ELNS1_3gpuE9ELNS1_3repE0EEENS1_30default_config_static_selectorELNS0_4arch9wavefront6targetE0EEEvT1_.private_seg_size, 0
	.set _ZN7rocprim17ROCPRIM_400000_NS6detail17trampoline_kernelINS0_14default_configENS1_35adjacent_difference_config_selectorILb1ElEEZNS1_24adjacent_difference_implIS3_Lb1ELb0EPlS7_ZN2at6native12_GLOBAL__N_124unique_dim_cuda_templateIdEESt5tupleIJNS8_6TensorESD_SD_EERKSD_lbbbEUlllE1_EE10hipError_tPvRmT2_T3_mT4_P12ihipStream_tbEUlT_E_NS1_11comp_targetILNS1_3genE5ELNS1_11target_archE942ELNS1_3gpuE9ELNS1_3repE0EEENS1_30default_config_static_selectorELNS0_4arch9wavefront6targetE0EEEvT1_.uses_vcc, 0
	.set _ZN7rocprim17ROCPRIM_400000_NS6detail17trampoline_kernelINS0_14default_configENS1_35adjacent_difference_config_selectorILb1ElEEZNS1_24adjacent_difference_implIS3_Lb1ELb0EPlS7_ZN2at6native12_GLOBAL__N_124unique_dim_cuda_templateIdEESt5tupleIJNS8_6TensorESD_SD_EERKSD_lbbbEUlllE1_EE10hipError_tPvRmT2_T3_mT4_P12ihipStream_tbEUlT_E_NS1_11comp_targetILNS1_3genE5ELNS1_11target_archE942ELNS1_3gpuE9ELNS1_3repE0EEENS1_30default_config_static_selectorELNS0_4arch9wavefront6targetE0EEEvT1_.uses_flat_scratch, 0
	.set _ZN7rocprim17ROCPRIM_400000_NS6detail17trampoline_kernelINS0_14default_configENS1_35adjacent_difference_config_selectorILb1ElEEZNS1_24adjacent_difference_implIS3_Lb1ELb0EPlS7_ZN2at6native12_GLOBAL__N_124unique_dim_cuda_templateIdEESt5tupleIJNS8_6TensorESD_SD_EERKSD_lbbbEUlllE1_EE10hipError_tPvRmT2_T3_mT4_P12ihipStream_tbEUlT_E_NS1_11comp_targetILNS1_3genE5ELNS1_11target_archE942ELNS1_3gpuE9ELNS1_3repE0EEENS1_30default_config_static_selectorELNS0_4arch9wavefront6targetE0EEEvT1_.has_dyn_sized_stack, 0
	.set _ZN7rocprim17ROCPRIM_400000_NS6detail17trampoline_kernelINS0_14default_configENS1_35adjacent_difference_config_selectorILb1ElEEZNS1_24adjacent_difference_implIS3_Lb1ELb0EPlS7_ZN2at6native12_GLOBAL__N_124unique_dim_cuda_templateIdEESt5tupleIJNS8_6TensorESD_SD_EERKSD_lbbbEUlllE1_EE10hipError_tPvRmT2_T3_mT4_P12ihipStream_tbEUlT_E_NS1_11comp_targetILNS1_3genE5ELNS1_11target_archE942ELNS1_3gpuE9ELNS1_3repE0EEENS1_30default_config_static_selectorELNS0_4arch9wavefront6targetE0EEEvT1_.has_recursion, 0
	.set _ZN7rocprim17ROCPRIM_400000_NS6detail17trampoline_kernelINS0_14default_configENS1_35adjacent_difference_config_selectorILb1ElEEZNS1_24adjacent_difference_implIS3_Lb1ELb0EPlS7_ZN2at6native12_GLOBAL__N_124unique_dim_cuda_templateIdEESt5tupleIJNS8_6TensorESD_SD_EERKSD_lbbbEUlllE1_EE10hipError_tPvRmT2_T3_mT4_P12ihipStream_tbEUlT_E_NS1_11comp_targetILNS1_3genE5ELNS1_11target_archE942ELNS1_3gpuE9ELNS1_3repE0EEENS1_30default_config_static_selectorELNS0_4arch9wavefront6targetE0EEEvT1_.has_indirect_call, 0
	.section	.AMDGPU.csdata,"",@progbits
; Kernel info:
; codeLenInByte = 0
; TotalNumSgprs: 0
; NumVgprs: 0
; ScratchSize: 0
; MemoryBound: 0
; FloatMode: 240
; IeeeMode: 1
; LDSByteSize: 0 bytes/workgroup (compile time only)
; SGPRBlocks: 0
; VGPRBlocks: 0
; NumSGPRsForWavesPerEU: 1
; NumVGPRsForWavesPerEU: 1
; NamedBarCnt: 0
; Occupancy: 16
; WaveLimiterHint : 0
; COMPUTE_PGM_RSRC2:SCRATCH_EN: 0
; COMPUTE_PGM_RSRC2:USER_SGPR: 2
; COMPUTE_PGM_RSRC2:TRAP_HANDLER: 0
; COMPUTE_PGM_RSRC2:TGID_X_EN: 1
; COMPUTE_PGM_RSRC2:TGID_Y_EN: 0
; COMPUTE_PGM_RSRC2:TGID_Z_EN: 0
; COMPUTE_PGM_RSRC2:TIDIG_COMP_CNT: 0
	.section	.text._ZN7rocprim17ROCPRIM_400000_NS6detail17trampoline_kernelINS0_14default_configENS1_35adjacent_difference_config_selectorILb1ElEEZNS1_24adjacent_difference_implIS3_Lb1ELb0EPlS7_ZN2at6native12_GLOBAL__N_124unique_dim_cuda_templateIdEESt5tupleIJNS8_6TensorESD_SD_EERKSD_lbbbEUlllE1_EE10hipError_tPvRmT2_T3_mT4_P12ihipStream_tbEUlT_E_NS1_11comp_targetILNS1_3genE4ELNS1_11target_archE910ELNS1_3gpuE8ELNS1_3repE0EEENS1_30default_config_static_selectorELNS0_4arch9wavefront6targetE0EEEvT1_,"axG",@progbits,_ZN7rocprim17ROCPRIM_400000_NS6detail17trampoline_kernelINS0_14default_configENS1_35adjacent_difference_config_selectorILb1ElEEZNS1_24adjacent_difference_implIS3_Lb1ELb0EPlS7_ZN2at6native12_GLOBAL__N_124unique_dim_cuda_templateIdEESt5tupleIJNS8_6TensorESD_SD_EERKSD_lbbbEUlllE1_EE10hipError_tPvRmT2_T3_mT4_P12ihipStream_tbEUlT_E_NS1_11comp_targetILNS1_3genE4ELNS1_11target_archE910ELNS1_3gpuE8ELNS1_3repE0EEENS1_30default_config_static_selectorELNS0_4arch9wavefront6targetE0EEEvT1_,comdat
	.globl	_ZN7rocprim17ROCPRIM_400000_NS6detail17trampoline_kernelINS0_14default_configENS1_35adjacent_difference_config_selectorILb1ElEEZNS1_24adjacent_difference_implIS3_Lb1ELb0EPlS7_ZN2at6native12_GLOBAL__N_124unique_dim_cuda_templateIdEESt5tupleIJNS8_6TensorESD_SD_EERKSD_lbbbEUlllE1_EE10hipError_tPvRmT2_T3_mT4_P12ihipStream_tbEUlT_E_NS1_11comp_targetILNS1_3genE4ELNS1_11target_archE910ELNS1_3gpuE8ELNS1_3repE0EEENS1_30default_config_static_selectorELNS0_4arch9wavefront6targetE0EEEvT1_ ; -- Begin function _ZN7rocprim17ROCPRIM_400000_NS6detail17trampoline_kernelINS0_14default_configENS1_35adjacent_difference_config_selectorILb1ElEEZNS1_24adjacent_difference_implIS3_Lb1ELb0EPlS7_ZN2at6native12_GLOBAL__N_124unique_dim_cuda_templateIdEESt5tupleIJNS8_6TensorESD_SD_EERKSD_lbbbEUlllE1_EE10hipError_tPvRmT2_T3_mT4_P12ihipStream_tbEUlT_E_NS1_11comp_targetILNS1_3genE4ELNS1_11target_archE910ELNS1_3gpuE8ELNS1_3repE0EEENS1_30default_config_static_selectorELNS0_4arch9wavefront6targetE0EEEvT1_
	.p2align	8
	.type	_ZN7rocprim17ROCPRIM_400000_NS6detail17trampoline_kernelINS0_14default_configENS1_35adjacent_difference_config_selectorILb1ElEEZNS1_24adjacent_difference_implIS3_Lb1ELb0EPlS7_ZN2at6native12_GLOBAL__N_124unique_dim_cuda_templateIdEESt5tupleIJNS8_6TensorESD_SD_EERKSD_lbbbEUlllE1_EE10hipError_tPvRmT2_T3_mT4_P12ihipStream_tbEUlT_E_NS1_11comp_targetILNS1_3genE4ELNS1_11target_archE910ELNS1_3gpuE8ELNS1_3repE0EEENS1_30default_config_static_selectorELNS0_4arch9wavefront6targetE0EEEvT1_,@function
_ZN7rocprim17ROCPRIM_400000_NS6detail17trampoline_kernelINS0_14default_configENS1_35adjacent_difference_config_selectorILb1ElEEZNS1_24adjacent_difference_implIS3_Lb1ELb0EPlS7_ZN2at6native12_GLOBAL__N_124unique_dim_cuda_templateIdEESt5tupleIJNS8_6TensorESD_SD_EERKSD_lbbbEUlllE1_EE10hipError_tPvRmT2_T3_mT4_P12ihipStream_tbEUlT_E_NS1_11comp_targetILNS1_3genE4ELNS1_11target_archE910ELNS1_3gpuE8ELNS1_3repE0EEENS1_30default_config_static_selectorELNS0_4arch9wavefront6targetE0EEEvT1_: ; @_ZN7rocprim17ROCPRIM_400000_NS6detail17trampoline_kernelINS0_14default_configENS1_35adjacent_difference_config_selectorILb1ElEEZNS1_24adjacent_difference_implIS3_Lb1ELb0EPlS7_ZN2at6native12_GLOBAL__N_124unique_dim_cuda_templateIdEESt5tupleIJNS8_6TensorESD_SD_EERKSD_lbbbEUlllE1_EE10hipError_tPvRmT2_T3_mT4_P12ihipStream_tbEUlT_E_NS1_11comp_targetILNS1_3genE4ELNS1_11target_archE910ELNS1_3gpuE8ELNS1_3repE0EEENS1_30default_config_static_selectorELNS0_4arch9wavefront6targetE0EEEvT1_
; %bb.0:
	.section	.rodata,"a",@progbits
	.p2align	6, 0x0
	.amdhsa_kernel _ZN7rocprim17ROCPRIM_400000_NS6detail17trampoline_kernelINS0_14default_configENS1_35adjacent_difference_config_selectorILb1ElEEZNS1_24adjacent_difference_implIS3_Lb1ELb0EPlS7_ZN2at6native12_GLOBAL__N_124unique_dim_cuda_templateIdEESt5tupleIJNS8_6TensorESD_SD_EERKSD_lbbbEUlllE1_EE10hipError_tPvRmT2_T3_mT4_P12ihipStream_tbEUlT_E_NS1_11comp_targetILNS1_3genE4ELNS1_11target_archE910ELNS1_3gpuE8ELNS1_3repE0EEENS1_30default_config_static_selectorELNS0_4arch9wavefront6targetE0EEEvT1_
		.amdhsa_group_segment_fixed_size 0
		.amdhsa_private_segment_fixed_size 0
		.amdhsa_kernarg_size 64
		.amdhsa_user_sgpr_count 2
		.amdhsa_user_sgpr_dispatch_ptr 0
		.amdhsa_user_sgpr_queue_ptr 0
		.amdhsa_user_sgpr_kernarg_segment_ptr 1
		.amdhsa_user_sgpr_dispatch_id 0
		.amdhsa_user_sgpr_kernarg_preload_length 0
		.amdhsa_user_sgpr_kernarg_preload_offset 0
		.amdhsa_user_sgpr_private_segment_size 0
		.amdhsa_wavefront_size32 1
		.amdhsa_uses_dynamic_stack 0
		.amdhsa_enable_private_segment 0
		.amdhsa_system_sgpr_workgroup_id_x 1
		.amdhsa_system_sgpr_workgroup_id_y 0
		.amdhsa_system_sgpr_workgroup_id_z 0
		.amdhsa_system_sgpr_workgroup_info 0
		.amdhsa_system_vgpr_workitem_id 0
		.amdhsa_next_free_vgpr 1
		.amdhsa_next_free_sgpr 1
		.amdhsa_named_barrier_count 0
		.amdhsa_reserve_vcc 0
		.amdhsa_float_round_mode_32 0
		.amdhsa_float_round_mode_16_64 0
		.amdhsa_float_denorm_mode_32 3
		.amdhsa_float_denorm_mode_16_64 3
		.amdhsa_fp16_overflow 0
		.amdhsa_memory_ordered 1
		.amdhsa_forward_progress 1
		.amdhsa_inst_pref_size 0
		.amdhsa_round_robin_scheduling 0
		.amdhsa_exception_fp_ieee_invalid_op 0
		.amdhsa_exception_fp_denorm_src 0
		.amdhsa_exception_fp_ieee_div_zero 0
		.amdhsa_exception_fp_ieee_overflow 0
		.amdhsa_exception_fp_ieee_underflow 0
		.amdhsa_exception_fp_ieee_inexact 0
		.amdhsa_exception_int_div_zero 0
	.end_amdhsa_kernel
	.section	.text._ZN7rocprim17ROCPRIM_400000_NS6detail17trampoline_kernelINS0_14default_configENS1_35adjacent_difference_config_selectorILb1ElEEZNS1_24adjacent_difference_implIS3_Lb1ELb0EPlS7_ZN2at6native12_GLOBAL__N_124unique_dim_cuda_templateIdEESt5tupleIJNS8_6TensorESD_SD_EERKSD_lbbbEUlllE1_EE10hipError_tPvRmT2_T3_mT4_P12ihipStream_tbEUlT_E_NS1_11comp_targetILNS1_3genE4ELNS1_11target_archE910ELNS1_3gpuE8ELNS1_3repE0EEENS1_30default_config_static_selectorELNS0_4arch9wavefront6targetE0EEEvT1_,"axG",@progbits,_ZN7rocprim17ROCPRIM_400000_NS6detail17trampoline_kernelINS0_14default_configENS1_35adjacent_difference_config_selectorILb1ElEEZNS1_24adjacent_difference_implIS3_Lb1ELb0EPlS7_ZN2at6native12_GLOBAL__N_124unique_dim_cuda_templateIdEESt5tupleIJNS8_6TensorESD_SD_EERKSD_lbbbEUlllE1_EE10hipError_tPvRmT2_T3_mT4_P12ihipStream_tbEUlT_E_NS1_11comp_targetILNS1_3genE4ELNS1_11target_archE910ELNS1_3gpuE8ELNS1_3repE0EEENS1_30default_config_static_selectorELNS0_4arch9wavefront6targetE0EEEvT1_,comdat
.Lfunc_end802:
	.size	_ZN7rocprim17ROCPRIM_400000_NS6detail17trampoline_kernelINS0_14default_configENS1_35adjacent_difference_config_selectorILb1ElEEZNS1_24adjacent_difference_implIS3_Lb1ELb0EPlS7_ZN2at6native12_GLOBAL__N_124unique_dim_cuda_templateIdEESt5tupleIJNS8_6TensorESD_SD_EERKSD_lbbbEUlllE1_EE10hipError_tPvRmT2_T3_mT4_P12ihipStream_tbEUlT_E_NS1_11comp_targetILNS1_3genE4ELNS1_11target_archE910ELNS1_3gpuE8ELNS1_3repE0EEENS1_30default_config_static_selectorELNS0_4arch9wavefront6targetE0EEEvT1_, .Lfunc_end802-_ZN7rocprim17ROCPRIM_400000_NS6detail17trampoline_kernelINS0_14default_configENS1_35adjacent_difference_config_selectorILb1ElEEZNS1_24adjacent_difference_implIS3_Lb1ELb0EPlS7_ZN2at6native12_GLOBAL__N_124unique_dim_cuda_templateIdEESt5tupleIJNS8_6TensorESD_SD_EERKSD_lbbbEUlllE1_EE10hipError_tPvRmT2_T3_mT4_P12ihipStream_tbEUlT_E_NS1_11comp_targetILNS1_3genE4ELNS1_11target_archE910ELNS1_3gpuE8ELNS1_3repE0EEENS1_30default_config_static_selectorELNS0_4arch9wavefront6targetE0EEEvT1_
                                        ; -- End function
	.set _ZN7rocprim17ROCPRIM_400000_NS6detail17trampoline_kernelINS0_14default_configENS1_35adjacent_difference_config_selectorILb1ElEEZNS1_24adjacent_difference_implIS3_Lb1ELb0EPlS7_ZN2at6native12_GLOBAL__N_124unique_dim_cuda_templateIdEESt5tupleIJNS8_6TensorESD_SD_EERKSD_lbbbEUlllE1_EE10hipError_tPvRmT2_T3_mT4_P12ihipStream_tbEUlT_E_NS1_11comp_targetILNS1_3genE4ELNS1_11target_archE910ELNS1_3gpuE8ELNS1_3repE0EEENS1_30default_config_static_selectorELNS0_4arch9wavefront6targetE0EEEvT1_.num_vgpr, 0
	.set _ZN7rocprim17ROCPRIM_400000_NS6detail17trampoline_kernelINS0_14default_configENS1_35adjacent_difference_config_selectorILb1ElEEZNS1_24adjacent_difference_implIS3_Lb1ELb0EPlS7_ZN2at6native12_GLOBAL__N_124unique_dim_cuda_templateIdEESt5tupleIJNS8_6TensorESD_SD_EERKSD_lbbbEUlllE1_EE10hipError_tPvRmT2_T3_mT4_P12ihipStream_tbEUlT_E_NS1_11comp_targetILNS1_3genE4ELNS1_11target_archE910ELNS1_3gpuE8ELNS1_3repE0EEENS1_30default_config_static_selectorELNS0_4arch9wavefront6targetE0EEEvT1_.num_agpr, 0
	.set _ZN7rocprim17ROCPRIM_400000_NS6detail17trampoline_kernelINS0_14default_configENS1_35adjacent_difference_config_selectorILb1ElEEZNS1_24adjacent_difference_implIS3_Lb1ELb0EPlS7_ZN2at6native12_GLOBAL__N_124unique_dim_cuda_templateIdEESt5tupleIJNS8_6TensorESD_SD_EERKSD_lbbbEUlllE1_EE10hipError_tPvRmT2_T3_mT4_P12ihipStream_tbEUlT_E_NS1_11comp_targetILNS1_3genE4ELNS1_11target_archE910ELNS1_3gpuE8ELNS1_3repE0EEENS1_30default_config_static_selectorELNS0_4arch9wavefront6targetE0EEEvT1_.numbered_sgpr, 0
	.set _ZN7rocprim17ROCPRIM_400000_NS6detail17trampoline_kernelINS0_14default_configENS1_35adjacent_difference_config_selectorILb1ElEEZNS1_24adjacent_difference_implIS3_Lb1ELb0EPlS7_ZN2at6native12_GLOBAL__N_124unique_dim_cuda_templateIdEESt5tupleIJNS8_6TensorESD_SD_EERKSD_lbbbEUlllE1_EE10hipError_tPvRmT2_T3_mT4_P12ihipStream_tbEUlT_E_NS1_11comp_targetILNS1_3genE4ELNS1_11target_archE910ELNS1_3gpuE8ELNS1_3repE0EEENS1_30default_config_static_selectorELNS0_4arch9wavefront6targetE0EEEvT1_.num_named_barrier, 0
	.set _ZN7rocprim17ROCPRIM_400000_NS6detail17trampoline_kernelINS0_14default_configENS1_35adjacent_difference_config_selectorILb1ElEEZNS1_24adjacent_difference_implIS3_Lb1ELb0EPlS7_ZN2at6native12_GLOBAL__N_124unique_dim_cuda_templateIdEESt5tupleIJNS8_6TensorESD_SD_EERKSD_lbbbEUlllE1_EE10hipError_tPvRmT2_T3_mT4_P12ihipStream_tbEUlT_E_NS1_11comp_targetILNS1_3genE4ELNS1_11target_archE910ELNS1_3gpuE8ELNS1_3repE0EEENS1_30default_config_static_selectorELNS0_4arch9wavefront6targetE0EEEvT1_.private_seg_size, 0
	.set _ZN7rocprim17ROCPRIM_400000_NS6detail17trampoline_kernelINS0_14default_configENS1_35adjacent_difference_config_selectorILb1ElEEZNS1_24adjacent_difference_implIS3_Lb1ELb0EPlS7_ZN2at6native12_GLOBAL__N_124unique_dim_cuda_templateIdEESt5tupleIJNS8_6TensorESD_SD_EERKSD_lbbbEUlllE1_EE10hipError_tPvRmT2_T3_mT4_P12ihipStream_tbEUlT_E_NS1_11comp_targetILNS1_3genE4ELNS1_11target_archE910ELNS1_3gpuE8ELNS1_3repE0EEENS1_30default_config_static_selectorELNS0_4arch9wavefront6targetE0EEEvT1_.uses_vcc, 0
	.set _ZN7rocprim17ROCPRIM_400000_NS6detail17trampoline_kernelINS0_14default_configENS1_35adjacent_difference_config_selectorILb1ElEEZNS1_24adjacent_difference_implIS3_Lb1ELb0EPlS7_ZN2at6native12_GLOBAL__N_124unique_dim_cuda_templateIdEESt5tupleIJNS8_6TensorESD_SD_EERKSD_lbbbEUlllE1_EE10hipError_tPvRmT2_T3_mT4_P12ihipStream_tbEUlT_E_NS1_11comp_targetILNS1_3genE4ELNS1_11target_archE910ELNS1_3gpuE8ELNS1_3repE0EEENS1_30default_config_static_selectorELNS0_4arch9wavefront6targetE0EEEvT1_.uses_flat_scratch, 0
	.set _ZN7rocprim17ROCPRIM_400000_NS6detail17trampoline_kernelINS0_14default_configENS1_35adjacent_difference_config_selectorILb1ElEEZNS1_24adjacent_difference_implIS3_Lb1ELb0EPlS7_ZN2at6native12_GLOBAL__N_124unique_dim_cuda_templateIdEESt5tupleIJNS8_6TensorESD_SD_EERKSD_lbbbEUlllE1_EE10hipError_tPvRmT2_T3_mT4_P12ihipStream_tbEUlT_E_NS1_11comp_targetILNS1_3genE4ELNS1_11target_archE910ELNS1_3gpuE8ELNS1_3repE0EEENS1_30default_config_static_selectorELNS0_4arch9wavefront6targetE0EEEvT1_.has_dyn_sized_stack, 0
	.set _ZN7rocprim17ROCPRIM_400000_NS6detail17trampoline_kernelINS0_14default_configENS1_35adjacent_difference_config_selectorILb1ElEEZNS1_24adjacent_difference_implIS3_Lb1ELb0EPlS7_ZN2at6native12_GLOBAL__N_124unique_dim_cuda_templateIdEESt5tupleIJNS8_6TensorESD_SD_EERKSD_lbbbEUlllE1_EE10hipError_tPvRmT2_T3_mT4_P12ihipStream_tbEUlT_E_NS1_11comp_targetILNS1_3genE4ELNS1_11target_archE910ELNS1_3gpuE8ELNS1_3repE0EEENS1_30default_config_static_selectorELNS0_4arch9wavefront6targetE0EEEvT1_.has_recursion, 0
	.set _ZN7rocprim17ROCPRIM_400000_NS6detail17trampoline_kernelINS0_14default_configENS1_35adjacent_difference_config_selectorILb1ElEEZNS1_24adjacent_difference_implIS3_Lb1ELb0EPlS7_ZN2at6native12_GLOBAL__N_124unique_dim_cuda_templateIdEESt5tupleIJNS8_6TensorESD_SD_EERKSD_lbbbEUlllE1_EE10hipError_tPvRmT2_T3_mT4_P12ihipStream_tbEUlT_E_NS1_11comp_targetILNS1_3genE4ELNS1_11target_archE910ELNS1_3gpuE8ELNS1_3repE0EEENS1_30default_config_static_selectorELNS0_4arch9wavefront6targetE0EEEvT1_.has_indirect_call, 0
	.section	.AMDGPU.csdata,"",@progbits
; Kernel info:
; codeLenInByte = 0
; TotalNumSgprs: 0
; NumVgprs: 0
; ScratchSize: 0
; MemoryBound: 0
; FloatMode: 240
; IeeeMode: 1
; LDSByteSize: 0 bytes/workgroup (compile time only)
; SGPRBlocks: 0
; VGPRBlocks: 0
; NumSGPRsForWavesPerEU: 1
; NumVGPRsForWavesPerEU: 1
; NamedBarCnt: 0
; Occupancy: 16
; WaveLimiterHint : 0
; COMPUTE_PGM_RSRC2:SCRATCH_EN: 0
; COMPUTE_PGM_RSRC2:USER_SGPR: 2
; COMPUTE_PGM_RSRC2:TRAP_HANDLER: 0
; COMPUTE_PGM_RSRC2:TGID_X_EN: 1
; COMPUTE_PGM_RSRC2:TGID_Y_EN: 0
; COMPUTE_PGM_RSRC2:TGID_Z_EN: 0
; COMPUTE_PGM_RSRC2:TIDIG_COMP_CNT: 0
	.section	.text._ZN7rocprim17ROCPRIM_400000_NS6detail17trampoline_kernelINS0_14default_configENS1_35adjacent_difference_config_selectorILb1ElEEZNS1_24adjacent_difference_implIS3_Lb1ELb0EPlS7_ZN2at6native12_GLOBAL__N_124unique_dim_cuda_templateIdEESt5tupleIJNS8_6TensorESD_SD_EERKSD_lbbbEUlllE1_EE10hipError_tPvRmT2_T3_mT4_P12ihipStream_tbEUlT_E_NS1_11comp_targetILNS1_3genE3ELNS1_11target_archE908ELNS1_3gpuE7ELNS1_3repE0EEENS1_30default_config_static_selectorELNS0_4arch9wavefront6targetE0EEEvT1_,"axG",@progbits,_ZN7rocprim17ROCPRIM_400000_NS6detail17trampoline_kernelINS0_14default_configENS1_35adjacent_difference_config_selectorILb1ElEEZNS1_24adjacent_difference_implIS3_Lb1ELb0EPlS7_ZN2at6native12_GLOBAL__N_124unique_dim_cuda_templateIdEESt5tupleIJNS8_6TensorESD_SD_EERKSD_lbbbEUlllE1_EE10hipError_tPvRmT2_T3_mT4_P12ihipStream_tbEUlT_E_NS1_11comp_targetILNS1_3genE3ELNS1_11target_archE908ELNS1_3gpuE7ELNS1_3repE0EEENS1_30default_config_static_selectorELNS0_4arch9wavefront6targetE0EEEvT1_,comdat
	.globl	_ZN7rocprim17ROCPRIM_400000_NS6detail17trampoline_kernelINS0_14default_configENS1_35adjacent_difference_config_selectorILb1ElEEZNS1_24adjacent_difference_implIS3_Lb1ELb0EPlS7_ZN2at6native12_GLOBAL__N_124unique_dim_cuda_templateIdEESt5tupleIJNS8_6TensorESD_SD_EERKSD_lbbbEUlllE1_EE10hipError_tPvRmT2_T3_mT4_P12ihipStream_tbEUlT_E_NS1_11comp_targetILNS1_3genE3ELNS1_11target_archE908ELNS1_3gpuE7ELNS1_3repE0EEENS1_30default_config_static_selectorELNS0_4arch9wavefront6targetE0EEEvT1_ ; -- Begin function _ZN7rocprim17ROCPRIM_400000_NS6detail17trampoline_kernelINS0_14default_configENS1_35adjacent_difference_config_selectorILb1ElEEZNS1_24adjacent_difference_implIS3_Lb1ELb0EPlS7_ZN2at6native12_GLOBAL__N_124unique_dim_cuda_templateIdEESt5tupleIJNS8_6TensorESD_SD_EERKSD_lbbbEUlllE1_EE10hipError_tPvRmT2_T3_mT4_P12ihipStream_tbEUlT_E_NS1_11comp_targetILNS1_3genE3ELNS1_11target_archE908ELNS1_3gpuE7ELNS1_3repE0EEENS1_30default_config_static_selectorELNS0_4arch9wavefront6targetE0EEEvT1_
	.p2align	8
	.type	_ZN7rocprim17ROCPRIM_400000_NS6detail17trampoline_kernelINS0_14default_configENS1_35adjacent_difference_config_selectorILb1ElEEZNS1_24adjacent_difference_implIS3_Lb1ELb0EPlS7_ZN2at6native12_GLOBAL__N_124unique_dim_cuda_templateIdEESt5tupleIJNS8_6TensorESD_SD_EERKSD_lbbbEUlllE1_EE10hipError_tPvRmT2_T3_mT4_P12ihipStream_tbEUlT_E_NS1_11comp_targetILNS1_3genE3ELNS1_11target_archE908ELNS1_3gpuE7ELNS1_3repE0EEENS1_30default_config_static_selectorELNS0_4arch9wavefront6targetE0EEEvT1_,@function
_ZN7rocprim17ROCPRIM_400000_NS6detail17trampoline_kernelINS0_14default_configENS1_35adjacent_difference_config_selectorILb1ElEEZNS1_24adjacent_difference_implIS3_Lb1ELb0EPlS7_ZN2at6native12_GLOBAL__N_124unique_dim_cuda_templateIdEESt5tupleIJNS8_6TensorESD_SD_EERKSD_lbbbEUlllE1_EE10hipError_tPvRmT2_T3_mT4_P12ihipStream_tbEUlT_E_NS1_11comp_targetILNS1_3genE3ELNS1_11target_archE908ELNS1_3gpuE7ELNS1_3repE0EEENS1_30default_config_static_selectorELNS0_4arch9wavefront6targetE0EEEvT1_: ; @_ZN7rocprim17ROCPRIM_400000_NS6detail17trampoline_kernelINS0_14default_configENS1_35adjacent_difference_config_selectorILb1ElEEZNS1_24adjacent_difference_implIS3_Lb1ELb0EPlS7_ZN2at6native12_GLOBAL__N_124unique_dim_cuda_templateIdEESt5tupleIJNS8_6TensorESD_SD_EERKSD_lbbbEUlllE1_EE10hipError_tPvRmT2_T3_mT4_P12ihipStream_tbEUlT_E_NS1_11comp_targetILNS1_3genE3ELNS1_11target_archE908ELNS1_3gpuE7ELNS1_3repE0EEENS1_30default_config_static_selectorELNS0_4arch9wavefront6targetE0EEEvT1_
; %bb.0:
	.section	.rodata,"a",@progbits
	.p2align	6, 0x0
	.amdhsa_kernel _ZN7rocprim17ROCPRIM_400000_NS6detail17trampoline_kernelINS0_14default_configENS1_35adjacent_difference_config_selectorILb1ElEEZNS1_24adjacent_difference_implIS3_Lb1ELb0EPlS7_ZN2at6native12_GLOBAL__N_124unique_dim_cuda_templateIdEESt5tupleIJNS8_6TensorESD_SD_EERKSD_lbbbEUlllE1_EE10hipError_tPvRmT2_T3_mT4_P12ihipStream_tbEUlT_E_NS1_11comp_targetILNS1_3genE3ELNS1_11target_archE908ELNS1_3gpuE7ELNS1_3repE0EEENS1_30default_config_static_selectorELNS0_4arch9wavefront6targetE0EEEvT1_
		.amdhsa_group_segment_fixed_size 0
		.amdhsa_private_segment_fixed_size 0
		.amdhsa_kernarg_size 64
		.amdhsa_user_sgpr_count 2
		.amdhsa_user_sgpr_dispatch_ptr 0
		.amdhsa_user_sgpr_queue_ptr 0
		.amdhsa_user_sgpr_kernarg_segment_ptr 1
		.amdhsa_user_sgpr_dispatch_id 0
		.amdhsa_user_sgpr_kernarg_preload_length 0
		.amdhsa_user_sgpr_kernarg_preload_offset 0
		.amdhsa_user_sgpr_private_segment_size 0
		.amdhsa_wavefront_size32 1
		.amdhsa_uses_dynamic_stack 0
		.amdhsa_enable_private_segment 0
		.amdhsa_system_sgpr_workgroup_id_x 1
		.amdhsa_system_sgpr_workgroup_id_y 0
		.amdhsa_system_sgpr_workgroup_id_z 0
		.amdhsa_system_sgpr_workgroup_info 0
		.amdhsa_system_vgpr_workitem_id 0
		.amdhsa_next_free_vgpr 1
		.amdhsa_next_free_sgpr 1
		.amdhsa_named_barrier_count 0
		.amdhsa_reserve_vcc 0
		.amdhsa_float_round_mode_32 0
		.amdhsa_float_round_mode_16_64 0
		.amdhsa_float_denorm_mode_32 3
		.amdhsa_float_denorm_mode_16_64 3
		.amdhsa_fp16_overflow 0
		.amdhsa_memory_ordered 1
		.amdhsa_forward_progress 1
		.amdhsa_inst_pref_size 0
		.amdhsa_round_robin_scheduling 0
		.amdhsa_exception_fp_ieee_invalid_op 0
		.amdhsa_exception_fp_denorm_src 0
		.amdhsa_exception_fp_ieee_div_zero 0
		.amdhsa_exception_fp_ieee_overflow 0
		.amdhsa_exception_fp_ieee_underflow 0
		.amdhsa_exception_fp_ieee_inexact 0
		.amdhsa_exception_int_div_zero 0
	.end_amdhsa_kernel
	.section	.text._ZN7rocprim17ROCPRIM_400000_NS6detail17trampoline_kernelINS0_14default_configENS1_35adjacent_difference_config_selectorILb1ElEEZNS1_24adjacent_difference_implIS3_Lb1ELb0EPlS7_ZN2at6native12_GLOBAL__N_124unique_dim_cuda_templateIdEESt5tupleIJNS8_6TensorESD_SD_EERKSD_lbbbEUlllE1_EE10hipError_tPvRmT2_T3_mT4_P12ihipStream_tbEUlT_E_NS1_11comp_targetILNS1_3genE3ELNS1_11target_archE908ELNS1_3gpuE7ELNS1_3repE0EEENS1_30default_config_static_selectorELNS0_4arch9wavefront6targetE0EEEvT1_,"axG",@progbits,_ZN7rocprim17ROCPRIM_400000_NS6detail17trampoline_kernelINS0_14default_configENS1_35adjacent_difference_config_selectorILb1ElEEZNS1_24adjacent_difference_implIS3_Lb1ELb0EPlS7_ZN2at6native12_GLOBAL__N_124unique_dim_cuda_templateIdEESt5tupleIJNS8_6TensorESD_SD_EERKSD_lbbbEUlllE1_EE10hipError_tPvRmT2_T3_mT4_P12ihipStream_tbEUlT_E_NS1_11comp_targetILNS1_3genE3ELNS1_11target_archE908ELNS1_3gpuE7ELNS1_3repE0EEENS1_30default_config_static_selectorELNS0_4arch9wavefront6targetE0EEEvT1_,comdat
.Lfunc_end803:
	.size	_ZN7rocprim17ROCPRIM_400000_NS6detail17trampoline_kernelINS0_14default_configENS1_35adjacent_difference_config_selectorILb1ElEEZNS1_24adjacent_difference_implIS3_Lb1ELb0EPlS7_ZN2at6native12_GLOBAL__N_124unique_dim_cuda_templateIdEESt5tupleIJNS8_6TensorESD_SD_EERKSD_lbbbEUlllE1_EE10hipError_tPvRmT2_T3_mT4_P12ihipStream_tbEUlT_E_NS1_11comp_targetILNS1_3genE3ELNS1_11target_archE908ELNS1_3gpuE7ELNS1_3repE0EEENS1_30default_config_static_selectorELNS0_4arch9wavefront6targetE0EEEvT1_, .Lfunc_end803-_ZN7rocprim17ROCPRIM_400000_NS6detail17trampoline_kernelINS0_14default_configENS1_35adjacent_difference_config_selectorILb1ElEEZNS1_24adjacent_difference_implIS3_Lb1ELb0EPlS7_ZN2at6native12_GLOBAL__N_124unique_dim_cuda_templateIdEESt5tupleIJNS8_6TensorESD_SD_EERKSD_lbbbEUlllE1_EE10hipError_tPvRmT2_T3_mT4_P12ihipStream_tbEUlT_E_NS1_11comp_targetILNS1_3genE3ELNS1_11target_archE908ELNS1_3gpuE7ELNS1_3repE0EEENS1_30default_config_static_selectorELNS0_4arch9wavefront6targetE0EEEvT1_
                                        ; -- End function
	.set _ZN7rocprim17ROCPRIM_400000_NS6detail17trampoline_kernelINS0_14default_configENS1_35adjacent_difference_config_selectorILb1ElEEZNS1_24adjacent_difference_implIS3_Lb1ELb0EPlS7_ZN2at6native12_GLOBAL__N_124unique_dim_cuda_templateIdEESt5tupleIJNS8_6TensorESD_SD_EERKSD_lbbbEUlllE1_EE10hipError_tPvRmT2_T3_mT4_P12ihipStream_tbEUlT_E_NS1_11comp_targetILNS1_3genE3ELNS1_11target_archE908ELNS1_3gpuE7ELNS1_3repE0EEENS1_30default_config_static_selectorELNS0_4arch9wavefront6targetE0EEEvT1_.num_vgpr, 0
	.set _ZN7rocprim17ROCPRIM_400000_NS6detail17trampoline_kernelINS0_14default_configENS1_35adjacent_difference_config_selectorILb1ElEEZNS1_24adjacent_difference_implIS3_Lb1ELb0EPlS7_ZN2at6native12_GLOBAL__N_124unique_dim_cuda_templateIdEESt5tupleIJNS8_6TensorESD_SD_EERKSD_lbbbEUlllE1_EE10hipError_tPvRmT2_T3_mT4_P12ihipStream_tbEUlT_E_NS1_11comp_targetILNS1_3genE3ELNS1_11target_archE908ELNS1_3gpuE7ELNS1_3repE0EEENS1_30default_config_static_selectorELNS0_4arch9wavefront6targetE0EEEvT1_.num_agpr, 0
	.set _ZN7rocprim17ROCPRIM_400000_NS6detail17trampoline_kernelINS0_14default_configENS1_35adjacent_difference_config_selectorILb1ElEEZNS1_24adjacent_difference_implIS3_Lb1ELb0EPlS7_ZN2at6native12_GLOBAL__N_124unique_dim_cuda_templateIdEESt5tupleIJNS8_6TensorESD_SD_EERKSD_lbbbEUlllE1_EE10hipError_tPvRmT2_T3_mT4_P12ihipStream_tbEUlT_E_NS1_11comp_targetILNS1_3genE3ELNS1_11target_archE908ELNS1_3gpuE7ELNS1_3repE0EEENS1_30default_config_static_selectorELNS0_4arch9wavefront6targetE0EEEvT1_.numbered_sgpr, 0
	.set _ZN7rocprim17ROCPRIM_400000_NS6detail17trampoline_kernelINS0_14default_configENS1_35adjacent_difference_config_selectorILb1ElEEZNS1_24adjacent_difference_implIS3_Lb1ELb0EPlS7_ZN2at6native12_GLOBAL__N_124unique_dim_cuda_templateIdEESt5tupleIJNS8_6TensorESD_SD_EERKSD_lbbbEUlllE1_EE10hipError_tPvRmT2_T3_mT4_P12ihipStream_tbEUlT_E_NS1_11comp_targetILNS1_3genE3ELNS1_11target_archE908ELNS1_3gpuE7ELNS1_3repE0EEENS1_30default_config_static_selectorELNS0_4arch9wavefront6targetE0EEEvT1_.num_named_barrier, 0
	.set _ZN7rocprim17ROCPRIM_400000_NS6detail17trampoline_kernelINS0_14default_configENS1_35adjacent_difference_config_selectorILb1ElEEZNS1_24adjacent_difference_implIS3_Lb1ELb0EPlS7_ZN2at6native12_GLOBAL__N_124unique_dim_cuda_templateIdEESt5tupleIJNS8_6TensorESD_SD_EERKSD_lbbbEUlllE1_EE10hipError_tPvRmT2_T3_mT4_P12ihipStream_tbEUlT_E_NS1_11comp_targetILNS1_3genE3ELNS1_11target_archE908ELNS1_3gpuE7ELNS1_3repE0EEENS1_30default_config_static_selectorELNS0_4arch9wavefront6targetE0EEEvT1_.private_seg_size, 0
	.set _ZN7rocprim17ROCPRIM_400000_NS6detail17trampoline_kernelINS0_14default_configENS1_35adjacent_difference_config_selectorILb1ElEEZNS1_24adjacent_difference_implIS3_Lb1ELb0EPlS7_ZN2at6native12_GLOBAL__N_124unique_dim_cuda_templateIdEESt5tupleIJNS8_6TensorESD_SD_EERKSD_lbbbEUlllE1_EE10hipError_tPvRmT2_T3_mT4_P12ihipStream_tbEUlT_E_NS1_11comp_targetILNS1_3genE3ELNS1_11target_archE908ELNS1_3gpuE7ELNS1_3repE0EEENS1_30default_config_static_selectorELNS0_4arch9wavefront6targetE0EEEvT1_.uses_vcc, 0
	.set _ZN7rocprim17ROCPRIM_400000_NS6detail17trampoline_kernelINS0_14default_configENS1_35adjacent_difference_config_selectorILb1ElEEZNS1_24adjacent_difference_implIS3_Lb1ELb0EPlS7_ZN2at6native12_GLOBAL__N_124unique_dim_cuda_templateIdEESt5tupleIJNS8_6TensorESD_SD_EERKSD_lbbbEUlllE1_EE10hipError_tPvRmT2_T3_mT4_P12ihipStream_tbEUlT_E_NS1_11comp_targetILNS1_3genE3ELNS1_11target_archE908ELNS1_3gpuE7ELNS1_3repE0EEENS1_30default_config_static_selectorELNS0_4arch9wavefront6targetE0EEEvT1_.uses_flat_scratch, 0
	.set _ZN7rocprim17ROCPRIM_400000_NS6detail17trampoline_kernelINS0_14default_configENS1_35adjacent_difference_config_selectorILb1ElEEZNS1_24adjacent_difference_implIS3_Lb1ELb0EPlS7_ZN2at6native12_GLOBAL__N_124unique_dim_cuda_templateIdEESt5tupleIJNS8_6TensorESD_SD_EERKSD_lbbbEUlllE1_EE10hipError_tPvRmT2_T3_mT4_P12ihipStream_tbEUlT_E_NS1_11comp_targetILNS1_3genE3ELNS1_11target_archE908ELNS1_3gpuE7ELNS1_3repE0EEENS1_30default_config_static_selectorELNS0_4arch9wavefront6targetE0EEEvT1_.has_dyn_sized_stack, 0
	.set _ZN7rocprim17ROCPRIM_400000_NS6detail17trampoline_kernelINS0_14default_configENS1_35adjacent_difference_config_selectorILb1ElEEZNS1_24adjacent_difference_implIS3_Lb1ELb0EPlS7_ZN2at6native12_GLOBAL__N_124unique_dim_cuda_templateIdEESt5tupleIJNS8_6TensorESD_SD_EERKSD_lbbbEUlllE1_EE10hipError_tPvRmT2_T3_mT4_P12ihipStream_tbEUlT_E_NS1_11comp_targetILNS1_3genE3ELNS1_11target_archE908ELNS1_3gpuE7ELNS1_3repE0EEENS1_30default_config_static_selectorELNS0_4arch9wavefront6targetE0EEEvT1_.has_recursion, 0
	.set _ZN7rocprim17ROCPRIM_400000_NS6detail17trampoline_kernelINS0_14default_configENS1_35adjacent_difference_config_selectorILb1ElEEZNS1_24adjacent_difference_implIS3_Lb1ELb0EPlS7_ZN2at6native12_GLOBAL__N_124unique_dim_cuda_templateIdEESt5tupleIJNS8_6TensorESD_SD_EERKSD_lbbbEUlllE1_EE10hipError_tPvRmT2_T3_mT4_P12ihipStream_tbEUlT_E_NS1_11comp_targetILNS1_3genE3ELNS1_11target_archE908ELNS1_3gpuE7ELNS1_3repE0EEENS1_30default_config_static_selectorELNS0_4arch9wavefront6targetE0EEEvT1_.has_indirect_call, 0
	.section	.AMDGPU.csdata,"",@progbits
; Kernel info:
; codeLenInByte = 0
; TotalNumSgprs: 0
; NumVgprs: 0
; ScratchSize: 0
; MemoryBound: 0
; FloatMode: 240
; IeeeMode: 1
; LDSByteSize: 0 bytes/workgroup (compile time only)
; SGPRBlocks: 0
; VGPRBlocks: 0
; NumSGPRsForWavesPerEU: 1
; NumVGPRsForWavesPerEU: 1
; NamedBarCnt: 0
; Occupancy: 16
; WaveLimiterHint : 0
; COMPUTE_PGM_RSRC2:SCRATCH_EN: 0
; COMPUTE_PGM_RSRC2:USER_SGPR: 2
; COMPUTE_PGM_RSRC2:TRAP_HANDLER: 0
; COMPUTE_PGM_RSRC2:TGID_X_EN: 1
; COMPUTE_PGM_RSRC2:TGID_Y_EN: 0
; COMPUTE_PGM_RSRC2:TGID_Z_EN: 0
; COMPUTE_PGM_RSRC2:TIDIG_COMP_CNT: 0
	.section	.text._ZN7rocprim17ROCPRIM_400000_NS6detail17trampoline_kernelINS0_14default_configENS1_35adjacent_difference_config_selectorILb1ElEEZNS1_24adjacent_difference_implIS3_Lb1ELb0EPlS7_ZN2at6native12_GLOBAL__N_124unique_dim_cuda_templateIdEESt5tupleIJNS8_6TensorESD_SD_EERKSD_lbbbEUlllE1_EE10hipError_tPvRmT2_T3_mT4_P12ihipStream_tbEUlT_E_NS1_11comp_targetILNS1_3genE2ELNS1_11target_archE906ELNS1_3gpuE6ELNS1_3repE0EEENS1_30default_config_static_selectorELNS0_4arch9wavefront6targetE0EEEvT1_,"axG",@progbits,_ZN7rocprim17ROCPRIM_400000_NS6detail17trampoline_kernelINS0_14default_configENS1_35adjacent_difference_config_selectorILb1ElEEZNS1_24adjacent_difference_implIS3_Lb1ELb0EPlS7_ZN2at6native12_GLOBAL__N_124unique_dim_cuda_templateIdEESt5tupleIJNS8_6TensorESD_SD_EERKSD_lbbbEUlllE1_EE10hipError_tPvRmT2_T3_mT4_P12ihipStream_tbEUlT_E_NS1_11comp_targetILNS1_3genE2ELNS1_11target_archE906ELNS1_3gpuE6ELNS1_3repE0EEENS1_30default_config_static_selectorELNS0_4arch9wavefront6targetE0EEEvT1_,comdat
	.globl	_ZN7rocprim17ROCPRIM_400000_NS6detail17trampoline_kernelINS0_14default_configENS1_35adjacent_difference_config_selectorILb1ElEEZNS1_24adjacent_difference_implIS3_Lb1ELb0EPlS7_ZN2at6native12_GLOBAL__N_124unique_dim_cuda_templateIdEESt5tupleIJNS8_6TensorESD_SD_EERKSD_lbbbEUlllE1_EE10hipError_tPvRmT2_T3_mT4_P12ihipStream_tbEUlT_E_NS1_11comp_targetILNS1_3genE2ELNS1_11target_archE906ELNS1_3gpuE6ELNS1_3repE0EEENS1_30default_config_static_selectorELNS0_4arch9wavefront6targetE0EEEvT1_ ; -- Begin function _ZN7rocprim17ROCPRIM_400000_NS6detail17trampoline_kernelINS0_14default_configENS1_35adjacent_difference_config_selectorILb1ElEEZNS1_24adjacent_difference_implIS3_Lb1ELb0EPlS7_ZN2at6native12_GLOBAL__N_124unique_dim_cuda_templateIdEESt5tupleIJNS8_6TensorESD_SD_EERKSD_lbbbEUlllE1_EE10hipError_tPvRmT2_T3_mT4_P12ihipStream_tbEUlT_E_NS1_11comp_targetILNS1_3genE2ELNS1_11target_archE906ELNS1_3gpuE6ELNS1_3repE0EEENS1_30default_config_static_selectorELNS0_4arch9wavefront6targetE0EEEvT1_
	.p2align	8
	.type	_ZN7rocprim17ROCPRIM_400000_NS6detail17trampoline_kernelINS0_14default_configENS1_35adjacent_difference_config_selectorILb1ElEEZNS1_24adjacent_difference_implIS3_Lb1ELb0EPlS7_ZN2at6native12_GLOBAL__N_124unique_dim_cuda_templateIdEESt5tupleIJNS8_6TensorESD_SD_EERKSD_lbbbEUlllE1_EE10hipError_tPvRmT2_T3_mT4_P12ihipStream_tbEUlT_E_NS1_11comp_targetILNS1_3genE2ELNS1_11target_archE906ELNS1_3gpuE6ELNS1_3repE0EEENS1_30default_config_static_selectorELNS0_4arch9wavefront6targetE0EEEvT1_,@function
_ZN7rocprim17ROCPRIM_400000_NS6detail17trampoline_kernelINS0_14default_configENS1_35adjacent_difference_config_selectorILb1ElEEZNS1_24adjacent_difference_implIS3_Lb1ELb0EPlS7_ZN2at6native12_GLOBAL__N_124unique_dim_cuda_templateIdEESt5tupleIJNS8_6TensorESD_SD_EERKSD_lbbbEUlllE1_EE10hipError_tPvRmT2_T3_mT4_P12ihipStream_tbEUlT_E_NS1_11comp_targetILNS1_3genE2ELNS1_11target_archE906ELNS1_3gpuE6ELNS1_3repE0EEENS1_30default_config_static_selectorELNS0_4arch9wavefront6targetE0EEEvT1_: ; @_ZN7rocprim17ROCPRIM_400000_NS6detail17trampoline_kernelINS0_14default_configENS1_35adjacent_difference_config_selectorILb1ElEEZNS1_24adjacent_difference_implIS3_Lb1ELb0EPlS7_ZN2at6native12_GLOBAL__N_124unique_dim_cuda_templateIdEESt5tupleIJNS8_6TensorESD_SD_EERKSD_lbbbEUlllE1_EE10hipError_tPvRmT2_T3_mT4_P12ihipStream_tbEUlT_E_NS1_11comp_targetILNS1_3genE2ELNS1_11target_archE906ELNS1_3gpuE6ELNS1_3repE0EEENS1_30default_config_static_selectorELNS0_4arch9wavefront6targetE0EEEvT1_
; %bb.0:
	.section	.rodata,"a",@progbits
	.p2align	6, 0x0
	.amdhsa_kernel _ZN7rocprim17ROCPRIM_400000_NS6detail17trampoline_kernelINS0_14default_configENS1_35adjacent_difference_config_selectorILb1ElEEZNS1_24adjacent_difference_implIS3_Lb1ELb0EPlS7_ZN2at6native12_GLOBAL__N_124unique_dim_cuda_templateIdEESt5tupleIJNS8_6TensorESD_SD_EERKSD_lbbbEUlllE1_EE10hipError_tPvRmT2_T3_mT4_P12ihipStream_tbEUlT_E_NS1_11comp_targetILNS1_3genE2ELNS1_11target_archE906ELNS1_3gpuE6ELNS1_3repE0EEENS1_30default_config_static_selectorELNS0_4arch9wavefront6targetE0EEEvT1_
		.amdhsa_group_segment_fixed_size 0
		.amdhsa_private_segment_fixed_size 0
		.amdhsa_kernarg_size 64
		.amdhsa_user_sgpr_count 2
		.amdhsa_user_sgpr_dispatch_ptr 0
		.amdhsa_user_sgpr_queue_ptr 0
		.amdhsa_user_sgpr_kernarg_segment_ptr 1
		.amdhsa_user_sgpr_dispatch_id 0
		.amdhsa_user_sgpr_kernarg_preload_length 0
		.amdhsa_user_sgpr_kernarg_preload_offset 0
		.amdhsa_user_sgpr_private_segment_size 0
		.amdhsa_wavefront_size32 1
		.amdhsa_uses_dynamic_stack 0
		.amdhsa_enable_private_segment 0
		.amdhsa_system_sgpr_workgroup_id_x 1
		.amdhsa_system_sgpr_workgroup_id_y 0
		.amdhsa_system_sgpr_workgroup_id_z 0
		.amdhsa_system_sgpr_workgroup_info 0
		.amdhsa_system_vgpr_workitem_id 0
		.amdhsa_next_free_vgpr 1
		.amdhsa_next_free_sgpr 1
		.amdhsa_named_barrier_count 0
		.amdhsa_reserve_vcc 0
		.amdhsa_float_round_mode_32 0
		.amdhsa_float_round_mode_16_64 0
		.amdhsa_float_denorm_mode_32 3
		.amdhsa_float_denorm_mode_16_64 3
		.amdhsa_fp16_overflow 0
		.amdhsa_memory_ordered 1
		.amdhsa_forward_progress 1
		.amdhsa_inst_pref_size 0
		.amdhsa_round_robin_scheduling 0
		.amdhsa_exception_fp_ieee_invalid_op 0
		.amdhsa_exception_fp_denorm_src 0
		.amdhsa_exception_fp_ieee_div_zero 0
		.amdhsa_exception_fp_ieee_overflow 0
		.amdhsa_exception_fp_ieee_underflow 0
		.amdhsa_exception_fp_ieee_inexact 0
		.amdhsa_exception_int_div_zero 0
	.end_amdhsa_kernel
	.section	.text._ZN7rocprim17ROCPRIM_400000_NS6detail17trampoline_kernelINS0_14default_configENS1_35adjacent_difference_config_selectorILb1ElEEZNS1_24adjacent_difference_implIS3_Lb1ELb0EPlS7_ZN2at6native12_GLOBAL__N_124unique_dim_cuda_templateIdEESt5tupleIJNS8_6TensorESD_SD_EERKSD_lbbbEUlllE1_EE10hipError_tPvRmT2_T3_mT4_P12ihipStream_tbEUlT_E_NS1_11comp_targetILNS1_3genE2ELNS1_11target_archE906ELNS1_3gpuE6ELNS1_3repE0EEENS1_30default_config_static_selectorELNS0_4arch9wavefront6targetE0EEEvT1_,"axG",@progbits,_ZN7rocprim17ROCPRIM_400000_NS6detail17trampoline_kernelINS0_14default_configENS1_35adjacent_difference_config_selectorILb1ElEEZNS1_24adjacent_difference_implIS3_Lb1ELb0EPlS7_ZN2at6native12_GLOBAL__N_124unique_dim_cuda_templateIdEESt5tupleIJNS8_6TensorESD_SD_EERKSD_lbbbEUlllE1_EE10hipError_tPvRmT2_T3_mT4_P12ihipStream_tbEUlT_E_NS1_11comp_targetILNS1_3genE2ELNS1_11target_archE906ELNS1_3gpuE6ELNS1_3repE0EEENS1_30default_config_static_selectorELNS0_4arch9wavefront6targetE0EEEvT1_,comdat
.Lfunc_end804:
	.size	_ZN7rocprim17ROCPRIM_400000_NS6detail17trampoline_kernelINS0_14default_configENS1_35adjacent_difference_config_selectorILb1ElEEZNS1_24adjacent_difference_implIS3_Lb1ELb0EPlS7_ZN2at6native12_GLOBAL__N_124unique_dim_cuda_templateIdEESt5tupleIJNS8_6TensorESD_SD_EERKSD_lbbbEUlllE1_EE10hipError_tPvRmT2_T3_mT4_P12ihipStream_tbEUlT_E_NS1_11comp_targetILNS1_3genE2ELNS1_11target_archE906ELNS1_3gpuE6ELNS1_3repE0EEENS1_30default_config_static_selectorELNS0_4arch9wavefront6targetE0EEEvT1_, .Lfunc_end804-_ZN7rocprim17ROCPRIM_400000_NS6detail17trampoline_kernelINS0_14default_configENS1_35adjacent_difference_config_selectorILb1ElEEZNS1_24adjacent_difference_implIS3_Lb1ELb0EPlS7_ZN2at6native12_GLOBAL__N_124unique_dim_cuda_templateIdEESt5tupleIJNS8_6TensorESD_SD_EERKSD_lbbbEUlllE1_EE10hipError_tPvRmT2_T3_mT4_P12ihipStream_tbEUlT_E_NS1_11comp_targetILNS1_3genE2ELNS1_11target_archE906ELNS1_3gpuE6ELNS1_3repE0EEENS1_30default_config_static_selectorELNS0_4arch9wavefront6targetE0EEEvT1_
                                        ; -- End function
	.set _ZN7rocprim17ROCPRIM_400000_NS6detail17trampoline_kernelINS0_14default_configENS1_35adjacent_difference_config_selectorILb1ElEEZNS1_24adjacent_difference_implIS3_Lb1ELb0EPlS7_ZN2at6native12_GLOBAL__N_124unique_dim_cuda_templateIdEESt5tupleIJNS8_6TensorESD_SD_EERKSD_lbbbEUlllE1_EE10hipError_tPvRmT2_T3_mT4_P12ihipStream_tbEUlT_E_NS1_11comp_targetILNS1_3genE2ELNS1_11target_archE906ELNS1_3gpuE6ELNS1_3repE0EEENS1_30default_config_static_selectorELNS0_4arch9wavefront6targetE0EEEvT1_.num_vgpr, 0
	.set _ZN7rocprim17ROCPRIM_400000_NS6detail17trampoline_kernelINS0_14default_configENS1_35adjacent_difference_config_selectorILb1ElEEZNS1_24adjacent_difference_implIS3_Lb1ELb0EPlS7_ZN2at6native12_GLOBAL__N_124unique_dim_cuda_templateIdEESt5tupleIJNS8_6TensorESD_SD_EERKSD_lbbbEUlllE1_EE10hipError_tPvRmT2_T3_mT4_P12ihipStream_tbEUlT_E_NS1_11comp_targetILNS1_3genE2ELNS1_11target_archE906ELNS1_3gpuE6ELNS1_3repE0EEENS1_30default_config_static_selectorELNS0_4arch9wavefront6targetE0EEEvT1_.num_agpr, 0
	.set _ZN7rocprim17ROCPRIM_400000_NS6detail17trampoline_kernelINS0_14default_configENS1_35adjacent_difference_config_selectorILb1ElEEZNS1_24adjacent_difference_implIS3_Lb1ELb0EPlS7_ZN2at6native12_GLOBAL__N_124unique_dim_cuda_templateIdEESt5tupleIJNS8_6TensorESD_SD_EERKSD_lbbbEUlllE1_EE10hipError_tPvRmT2_T3_mT4_P12ihipStream_tbEUlT_E_NS1_11comp_targetILNS1_3genE2ELNS1_11target_archE906ELNS1_3gpuE6ELNS1_3repE0EEENS1_30default_config_static_selectorELNS0_4arch9wavefront6targetE0EEEvT1_.numbered_sgpr, 0
	.set _ZN7rocprim17ROCPRIM_400000_NS6detail17trampoline_kernelINS0_14default_configENS1_35adjacent_difference_config_selectorILb1ElEEZNS1_24adjacent_difference_implIS3_Lb1ELb0EPlS7_ZN2at6native12_GLOBAL__N_124unique_dim_cuda_templateIdEESt5tupleIJNS8_6TensorESD_SD_EERKSD_lbbbEUlllE1_EE10hipError_tPvRmT2_T3_mT4_P12ihipStream_tbEUlT_E_NS1_11comp_targetILNS1_3genE2ELNS1_11target_archE906ELNS1_3gpuE6ELNS1_3repE0EEENS1_30default_config_static_selectorELNS0_4arch9wavefront6targetE0EEEvT1_.num_named_barrier, 0
	.set _ZN7rocprim17ROCPRIM_400000_NS6detail17trampoline_kernelINS0_14default_configENS1_35adjacent_difference_config_selectorILb1ElEEZNS1_24adjacent_difference_implIS3_Lb1ELb0EPlS7_ZN2at6native12_GLOBAL__N_124unique_dim_cuda_templateIdEESt5tupleIJNS8_6TensorESD_SD_EERKSD_lbbbEUlllE1_EE10hipError_tPvRmT2_T3_mT4_P12ihipStream_tbEUlT_E_NS1_11comp_targetILNS1_3genE2ELNS1_11target_archE906ELNS1_3gpuE6ELNS1_3repE0EEENS1_30default_config_static_selectorELNS0_4arch9wavefront6targetE0EEEvT1_.private_seg_size, 0
	.set _ZN7rocprim17ROCPRIM_400000_NS6detail17trampoline_kernelINS0_14default_configENS1_35adjacent_difference_config_selectorILb1ElEEZNS1_24adjacent_difference_implIS3_Lb1ELb0EPlS7_ZN2at6native12_GLOBAL__N_124unique_dim_cuda_templateIdEESt5tupleIJNS8_6TensorESD_SD_EERKSD_lbbbEUlllE1_EE10hipError_tPvRmT2_T3_mT4_P12ihipStream_tbEUlT_E_NS1_11comp_targetILNS1_3genE2ELNS1_11target_archE906ELNS1_3gpuE6ELNS1_3repE0EEENS1_30default_config_static_selectorELNS0_4arch9wavefront6targetE0EEEvT1_.uses_vcc, 0
	.set _ZN7rocprim17ROCPRIM_400000_NS6detail17trampoline_kernelINS0_14default_configENS1_35adjacent_difference_config_selectorILb1ElEEZNS1_24adjacent_difference_implIS3_Lb1ELb0EPlS7_ZN2at6native12_GLOBAL__N_124unique_dim_cuda_templateIdEESt5tupleIJNS8_6TensorESD_SD_EERKSD_lbbbEUlllE1_EE10hipError_tPvRmT2_T3_mT4_P12ihipStream_tbEUlT_E_NS1_11comp_targetILNS1_3genE2ELNS1_11target_archE906ELNS1_3gpuE6ELNS1_3repE0EEENS1_30default_config_static_selectorELNS0_4arch9wavefront6targetE0EEEvT1_.uses_flat_scratch, 0
	.set _ZN7rocprim17ROCPRIM_400000_NS6detail17trampoline_kernelINS0_14default_configENS1_35adjacent_difference_config_selectorILb1ElEEZNS1_24adjacent_difference_implIS3_Lb1ELb0EPlS7_ZN2at6native12_GLOBAL__N_124unique_dim_cuda_templateIdEESt5tupleIJNS8_6TensorESD_SD_EERKSD_lbbbEUlllE1_EE10hipError_tPvRmT2_T3_mT4_P12ihipStream_tbEUlT_E_NS1_11comp_targetILNS1_3genE2ELNS1_11target_archE906ELNS1_3gpuE6ELNS1_3repE0EEENS1_30default_config_static_selectorELNS0_4arch9wavefront6targetE0EEEvT1_.has_dyn_sized_stack, 0
	.set _ZN7rocprim17ROCPRIM_400000_NS6detail17trampoline_kernelINS0_14default_configENS1_35adjacent_difference_config_selectorILb1ElEEZNS1_24adjacent_difference_implIS3_Lb1ELb0EPlS7_ZN2at6native12_GLOBAL__N_124unique_dim_cuda_templateIdEESt5tupleIJNS8_6TensorESD_SD_EERKSD_lbbbEUlllE1_EE10hipError_tPvRmT2_T3_mT4_P12ihipStream_tbEUlT_E_NS1_11comp_targetILNS1_3genE2ELNS1_11target_archE906ELNS1_3gpuE6ELNS1_3repE0EEENS1_30default_config_static_selectorELNS0_4arch9wavefront6targetE0EEEvT1_.has_recursion, 0
	.set _ZN7rocprim17ROCPRIM_400000_NS6detail17trampoline_kernelINS0_14default_configENS1_35adjacent_difference_config_selectorILb1ElEEZNS1_24adjacent_difference_implIS3_Lb1ELb0EPlS7_ZN2at6native12_GLOBAL__N_124unique_dim_cuda_templateIdEESt5tupleIJNS8_6TensorESD_SD_EERKSD_lbbbEUlllE1_EE10hipError_tPvRmT2_T3_mT4_P12ihipStream_tbEUlT_E_NS1_11comp_targetILNS1_3genE2ELNS1_11target_archE906ELNS1_3gpuE6ELNS1_3repE0EEENS1_30default_config_static_selectorELNS0_4arch9wavefront6targetE0EEEvT1_.has_indirect_call, 0
	.section	.AMDGPU.csdata,"",@progbits
; Kernel info:
; codeLenInByte = 0
; TotalNumSgprs: 0
; NumVgprs: 0
; ScratchSize: 0
; MemoryBound: 0
; FloatMode: 240
; IeeeMode: 1
; LDSByteSize: 0 bytes/workgroup (compile time only)
; SGPRBlocks: 0
; VGPRBlocks: 0
; NumSGPRsForWavesPerEU: 1
; NumVGPRsForWavesPerEU: 1
; NamedBarCnt: 0
; Occupancy: 16
; WaveLimiterHint : 0
; COMPUTE_PGM_RSRC2:SCRATCH_EN: 0
; COMPUTE_PGM_RSRC2:USER_SGPR: 2
; COMPUTE_PGM_RSRC2:TRAP_HANDLER: 0
; COMPUTE_PGM_RSRC2:TGID_X_EN: 1
; COMPUTE_PGM_RSRC2:TGID_Y_EN: 0
; COMPUTE_PGM_RSRC2:TGID_Z_EN: 0
; COMPUTE_PGM_RSRC2:TIDIG_COMP_CNT: 0
	.section	.text._ZN7rocprim17ROCPRIM_400000_NS6detail17trampoline_kernelINS0_14default_configENS1_35adjacent_difference_config_selectorILb1ElEEZNS1_24adjacent_difference_implIS3_Lb1ELb0EPlS7_ZN2at6native12_GLOBAL__N_124unique_dim_cuda_templateIdEESt5tupleIJNS8_6TensorESD_SD_EERKSD_lbbbEUlllE1_EE10hipError_tPvRmT2_T3_mT4_P12ihipStream_tbEUlT_E_NS1_11comp_targetILNS1_3genE9ELNS1_11target_archE1100ELNS1_3gpuE3ELNS1_3repE0EEENS1_30default_config_static_selectorELNS0_4arch9wavefront6targetE0EEEvT1_,"axG",@progbits,_ZN7rocprim17ROCPRIM_400000_NS6detail17trampoline_kernelINS0_14default_configENS1_35adjacent_difference_config_selectorILb1ElEEZNS1_24adjacent_difference_implIS3_Lb1ELb0EPlS7_ZN2at6native12_GLOBAL__N_124unique_dim_cuda_templateIdEESt5tupleIJNS8_6TensorESD_SD_EERKSD_lbbbEUlllE1_EE10hipError_tPvRmT2_T3_mT4_P12ihipStream_tbEUlT_E_NS1_11comp_targetILNS1_3genE9ELNS1_11target_archE1100ELNS1_3gpuE3ELNS1_3repE0EEENS1_30default_config_static_selectorELNS0_4arch9wavefront6targetE0EEEvT1_,comdat
	.globl	_ZN7rocprim17ROCPRIM_400000_NS6detail17trampoline_kernelINS0_14default_configENS1_35adjacent_difference_config_selectorILb1ElEEZNS1_24adjacent_difference_implIS3_Lb1ELb0EPlS7_ZN2at6native12_GLOBAL__N_124unique_dim_cuda_templateIdEESt5tupleIJNS8_6TensorESD_SD_EERKSD_lbbbEUlllE1_EE10hipError_tPvRmT2_T3_mT4_P12ihipStream_tbEUlT_E_NS1_11comp_targetILNS1_3genE9ELNS1_11target_archE1100ELNS1_3gpuE3ELNS1_3repE0EEENS1_30default_config_static_selectorELNS0_4arch9wavefront6targetE0EEEvT1_ ; -- Begin function _ZN7rocprim17ROCPRIM_400000_NS6detail17trampoline_kernelINS0_14default_configENS1_35adjacent_difference_config_selectorILb1ElEEZNS1_24adjacent_difference_implIS3_Lb1ELb0EPlS7_ZN2at6native12_GLOBAL__N_124unique_dim_cuda_templateIdEESt5tupleIJNS8_6TensorESD_SD_EERKSD_lbbbEUlllE1_EE10hipError_tPvRmT2_T3_mT4_P12ihipStream_tbEUlT_E_NS1_11comp_targetILNS1_3genE9ELNS1_11target_archE1100ELNS1_3gpuE3ELNS1_3repE0EEENS1_30default_config_static_selectorELNS0_4arch9wavefront6targetE0EEEvT1_
	.p2align	8
	.type	_ZN7rocprim17ROCPRIM_400000_NS6detail17trampoline_kernelINS0_14default_configENS1_35adjacent_difference_config_selectorILb1ElEEZNS1_24adjacent_difference_implIS3_Lb1ELb0EPlS7_ZN2at6native12_GLOBAL__N_124unique_dim_cuda_templateIdEESt5tupleIJNS8_6TensorESD_SD_EERKSD_lbbbEUlllE1_EE10hipError_tPvRmT2_T3_mT4_P12ihipStream_tbEUlT_E_NS1_11comp_targetILNS1_3genE9ELNS1_11target_archE1100ELNS1_3gpuE3ELNS1_3repE0EEENS1_30default_config_static_selectorELNS0_4arch9wavefront6targetE0EEEvT1_,@function
_ZN7rocprim17ROCPRIM_400000_NS6detail17trampoline_kernelINS0_14default_configENS1_35adjacent_difference_config_selectorILb1ElEEZNS1_24adjacent_difference_implIS3_Lb1ELb0EPlS7_ZN2at6native12_GLOBAL__N_124unique_dim_cuda_templateIdEESt5tupleIJNS8_6TensorESD_SD_EERKSD_lbbbEUlllE1_EE10hipError_tPvRmT2_T3_mT4_P12ihipStream_tbEUlT_E_NS1_11comp_targetILNS1_3genE9ELNS1_11target_archE1100ELNS1_3gpuE3ELNS1_3repE0EEENS1_30default_config_static_selectorELNS0_4arch9wavefront6targetE0EEEvT1_: ; @_ZN7rocprim17ROCPRIM_400000_NS6detail17trampoline_kernelINS0_14default_configENS1_35adjacent_difference_config_selectorILb1ElEEZNS1_24adjacent_difference_implIS3_Lb1ELb0EPlS7_ZN2at6native12_GLOBAL__N_124unique_dim_cuda_templateIdEESt5tupleIJNS8_6TensorESD_SD_EERKSD_lbbbEUlllE1_EE10hipError_tPvRmT2_T3_mT4_P12ihipStream_tbEUlT_E_NS1_11comp_targetILNS1_3genE9ELNS1_11target_archE1100ELNS1_3gpuE3ELNS1_3repE0EEENS1_30default_config_static_selectorELNS0_4arch9wavefront6targetE0EEEvT1_
; %bb.0:
	.section	.rodata,"a",@progbits
	.p2align	6, 0x0
	.amdhsa_kernel _ZN7rocprim17ROCPRIM_400000_NS6detail17trampoline_kernelINS0_14default_configENS1_35adjacent_difference_config_selectorILb1ElEEZNS1_24adjacent_difference_implIS3_Lb1ELb0EPlS7_ZN2at6native12_GLOBAL__N_124unique_dim_cuda_templateIdEESt5tupleIJNS8_6TensorESD_SD_EERKSD_lbbbEUlllE1_EE10hipError_tPvRmT2_T3_mT4_P12ihipStream_tbEUlT_E_NS1_11comp_targetILNS1_3genE9ELNS1_11target_archE1100ELNS1_3gpuE3ELNS1_3repE0EEENS1_30default_config_static_selectorELNS0_4arch9wavefront6targetE0EEEvT1_
		.amdhsa_group_segment_fixed_size 0
		.amdhsa_private_segment_fixed_size 0
		.amdhsa_kernarg_size 64
		.amdhsa_user_sgpr_count 2
		.amdhsa_user_sgpr_dispatch_ptr 0
		.amdhsa_user_sgpr_queue_ptr 0
		.amdhsa_user_sgpr_kernarg_segment_ptr 1
		.amdhsa_user_sgpr_dispatch_id 0
		.amdhsa_user_sgpr_kernarg_preload_length 0
		.amdhsa_user_sgpr_kernarg_preload_offset 0
		.amdhsa_user_sgpr_private_segment_size 0
		.amdhsa_wavefront_size32 1
		.amdhsa_uses_dynamic_stack 0
		.amdhsa_enable_private_segment 0
		.amdhsa_system_sgpr_workgroup_id_x 1
		.amdhsa_system_sgpr_workgroup_id_y 0
		.amdhsa_system_sgpr_workgroup_id_z 0
		.amdhsa_system_sgpr_workgroup_info 0
		.amdhsa_system_vgpr_workitem_id 0
		.amdhsa_next_free_vgpr 1
		.amdhsa_next_free_sgpr 1
		.amdhsa_named_barrier_count 0
		.amdhsa_reserve_vcc 0
		.amdhsa_float_round_mode_32 0
		.amdhsa_float_round_mode_16_64 0
		.amdhsa_float_denorm_mode_32 3
		.amdhsa_float_denorm_mode_16_64 3
		.amdhsa_fp16_overflow 0
		.amdhsa_memory_ordered 1
		.amdhsa_forward_progress 1
		.amdhsa_inst_pref_size 0
		.amdhsa_round_robin_scheduling 0
		.amdhsa_exception_fp_ieee_invalid_op 0
		.amdhsa_exception_fp_denorm_src 0
		.amdhsa_exception_fp_ieee_div_zero 0
		.amdhsa_exception_fp_ieee_overflow 0
		.amdhsa_exception_fp_ieee_underflow 0
		.amdhsa_exception_fp_ieee_inexact 0
		.amdhsa_exception_int_div_zero 0
	.end_amdhsa_kernel
	.section	.text._ZN7rocprim17ROCPRIM_400000_NS6detail17trampoline_kernelINS0_14default_configENS1_35adjacent_difference_config_selectorILb1ElEEZNS1_24adjacent_difference_implIS3_Lb1ELb0EPlS7_ZN2at6native12_GLOBAL__N_124unique_dim_cuda_templateIdEESt5tupleIJNS8_6TensorESD_SD_EERKSD_lbbbEUlllE1_EE10hipError_tPvRmT2_T3_mT4_P12ihipStream_tbEUlT_E_NS1_11comp_targetILNS1_3genE9ELNS1_11target_archE1100ELNS1_3gpuE3ELNS1_3repE0EEENS1_30default_config_static_selectorELNS0_4arch9wavefront6targetE0EEEvT1_,"axG",@progbits,_ZN7rocprim17ROCPRIM_400000_NS6detail17trampoline_kernelINS0_14default_configENS1_35adjacent_difference_config_selectorILb1ElEEZNS1_24adjacent_difference_implIS3_Lb1ELb0EPlS7_ZN2at6native12_GLOBAL__N_124unique_dim_cuda_templateIdEESt5tupleIJNS8_6TensorESD_SD_EERKSD_lbbbEUlllE1_EE10hipError_tPvRmT2_T3_mT4_P12ihipStream_tbEUlT_E_NS1_11comp_targetILNS1_3genE9ELNS1_11target_archE1100ELNS1_3gpuE3ELNS1_3repE0EEENS1_30default_config_static_selectorELNS0_4arch9wavefront6targetE0EEEvT1_,comdat
.Lfunc_end805:
	.size	_ZN7rocprim17ROCPRIM_400000_NS6detail17trampoline_kernelINS0_14default_configENS1_35adjacent_difference_config_selectorILb1ElEEZNS1_24adjacent_difference_implIS3_Lb1ELb0EPlS7_ZN2at6native12_GLOBAL__N_124unique_dim_cuda_templateIdEESt5tupleIJNS8_6TensorESD_SD_EERKSD_lbbbEUlllE1_EE10hipError_tPvRmT2_T3_mT4_P12ihipStream_tbEUlT_E_NS1_11comp_targetILNS1_3genE9ELNS1_11target_archE1100ELNS1_3gpuE3ELNS1_3repE0EEENS1_30default_config_static_selectorELNS0_4arch9wavefront6targetE0EEEvT1_, .Lfunc_end805-_ZN7rocprim17ROCPRIM_400000_NS6detail17trampoline_kernelINS0_14default_configENS1_35adjacent_difference_config_selectorILb1ElEEZNS1_24adjacent_difference_implIS3_Lb1ELb0EPlS7_ZN2at6native12_GLOBAL__N_124unique_dim_cuda_templateIdEESt5tupleIJNS8_6TensorESD_SD_EERKSD_lbbbEUlllE1_EE10hipError_tPvRmT2_T3_mT4_P12ihipStream_tbEUlT_E_NS1_11comp_targetILNS1_3genE9ELNS1_11target_archE1100ELNS1_3gpuE3ELNS1_3repE0EEENS1_30default_config_static_selectorELNS0_4arch9wavefront6targetE0EEEvT1_
                                        ; -- End function
	.set _ZN7rocprim17ROCPRIM_400000_NS6detail17trampoline_kernelINS0_14default_configENS1_35adjacent_difference_config_selectorILb1ElEEZNS1_24adjacent_difference_implIS3_Lb1ELb0EPlS7_ZN2at6native12_GLOBAL__N_124unique_dim_cuda_templateIdEESt5tupleIJNS8_6TensorESD_SD_EERKSD_lbbbEUlllE1_EE10hipError_tPvRmT2_T3_mT4_P12ihipStream_tbEUlT_E_NS1_11comp_targetILNS1_3genE9ELNS1_11target_archE1100ELNS1_3gpuE3ELNS1_3repE0EEENS1_30default_config_static_selectorELNS0_4arch9wavefront6targetE0EEEvT1_.num_vgpr, 0
	.set _ZN7rocprim17ROCPRIM_400000_NS6detail17trampoline_kernelINS0_14default_configENS1_35adjacent_difference_config_selectorILb1ElEEZNS1_24adjacent_difference_implIS3_Lb1ELb0EPlS7_ZN2at6native12_GLOBAL__N_124unique_dim_cuda_templateIdEESt5tupleIJNS8_6TensorESD_SD_EERKSD_lbbbEUlllE1_EE10hipError_tPvRmT2_T3_mT4_P12ihipStream_tbEUlT_E_NS1_11comp_targetILNS1_3genE9ELNS1_11target_archE1100ELNS1_3gpuE3ELNS1_3repE0EEENS1_30default_config_static_selectorELNS0_4arch9wavefront6targetE0EEEvT1_.num_agpr, 0
	.set _ZN7rocprim17ROCPRIM_400000_NS6detail17trampoline_kernelINS0_14default_configENS1_35adjacent_difference_config_selectorILb1ElEEZNS1_24adjacent_difference_implIS3_Lb1ELb0EPlS7_ZN2at6native12_GLOBAL__N_124unique_dim_cuda_templateIdEESt5tupleIJNS8_6TensorESD_SD_EERKSD_lbbbEUlllE1_EE10hipError_tPvRmT2_T3_mT4_P12ihipStream_tbEUlT_E_NS1_11comp_targetILNS1_3genE9ELNS1_11target_archE1100ELNS1_3gpuE3ELNS1_3repE0EEENS1_30default_config_static_selectorELNS0_4arch9wavefront6targetE0EEEvT1_.numbered_sgpr, 0
	.set _ZN7rocprim17ROCPRIM_400000_NS6detail17trampoline_kernelINS0_14default_configENS1_35adjacent_difference_config_selectorILb1ElEEZNS1_24adjacent_difference_implIS3_Lb1ELb0EPlS7_ZN2at6native12_GLOBAL__N_124unique_dim_cuda_templateIdEESt5tupleIJNS8_6TensorESD_SD_EERKSD_lbbbEUlllE1_EE10hipError_tPvRmT2_T3_mT4_P12ihipStream_tbEUlT_E_NS1_11comp_targetILNS1_3genE9ELNS1_11target_archE1100ELNS1_3gpuE3ELNS1_3repE0EEENS1_30default_config_static_selectorELNS0_4arch9wavefront6targetE0EEEvT1_.num_named_barrier, 0
	.set _ZN7rocprim17ROCPRIM_400000_NS6detail17trampoline_kernelINS0_14default_configENS1_35adjacent_difference_config_selectorILb1ElEEZNS1_24adjacent_difference_implIS3_Lb1ELb0EPlS7_ZN2at6native12_GLOBAL__N_124unique_dim_cuda_templateIdEESt5tupleIJNS8_6TensorESD_SD_EERKSD_lbbbEUlllE1_EE10hipError_tPvRmT2_T3_mT4_P12ihipStream_tbEUlT_E_NS1_11comp_targetILNS1_3genE9ELNS1_11target_archE1100ELNS1_3gpuE3ELNS1_3repE0EEENS1_30default_config_static_selectorELNS0_4arch9wavefront6targetE0EEEvT1_.private_seg_size, 0
	.set _ZN7rocprim17ROCPRIM_400000_NS6detail17trampoline_kernelINS0_14default_configENS1_35adjacent_difference_config_selectorILb1ElEEZNS1_24adjacent_difference_implIS3_Lb1ELb0EPlS7_ZN2at6native12_GLOBAL__N_124unique_dim_cuda_templateIdEESt5tupleIJNS8_6TensorESD_SD_EERKSD_lbbbEUlllE1_EE10hipError_tPvRmT2_T3_mT4_P12ihipStream_tbEUlT_E_NS1_11comp_targetILNS1_3genE9ELNS1_11target_archE1100ELNS1_3gpuE3ELNS1_3repE0EEENS1_30default_config_static_selectorELNS0_4arch9wavefront6targetE0EEEvT1_.uses_vcc, 0
	.set _ZN7rocprim17ROCPRIM_400000_NS6detail17trampoline_kernelINS0_14default_configENS1_35adjacent_difference_config_selectorILb1ElEEZNS1_24adjacent_difference_implIS3_Lb1ELb0EPlS7_ZN2at6native12_GLOBAL__N_124unique_dim_cuda_templateIdEESt5tupleIJNS8_6TensorESD_SD_EERKSD_lbbbEUlllE1_EE10hipError_tPvRmT2_T3_mT4_P12ihipStream_tbEUlT_E_NS1_11comp_targetILNS1_3genE9ELNS1_11target_archE1100ELNS1_3gpuE3ELNS1_3repE0EEENS1_30default_config_static_selectorELNS0_4arch9wavefront6targetE0EEEvT1_.uses_flat_scratch, 0
	.set _ZN7rocprim17ROCPRIM_400000_NS6detail17trampoline_kernelINS0_14default_configENS1_35adjacent_difference_config_selectorILb1ElEEZNS1_24adjacent_difference_implIS3_Lb1ELb0EPlS7_ZN2at6native12_GLOBAL__N_124unique_dim_cuda_templateIdEESt5tupleIJNS8_6TensorESD_SD_EERKSD_lbbbEUlllE1_EE10hipError_tPvRmT2_T3_mT4_P12ihipStream_tbEUlT_E_NS1_11comp_targetILNS1_3genE9ELNS1_11target_archE1100ELNS1_3gpuE3ELNS1_3repE0EEENS1_30default_config_static_selectorELNS0_4arch9wavefront6targetE0EEEvT1_.has_dyn_sized_stack, 0
	.set _ZN7rocprim17ROCPRIM_400000_NS6detail17trampoline_kernelINS0_14default_configENS1_35adjacent_difference_config_selectorILb1ElEEZNS1_24adjacent_difference_implIS3_Lb1ELb0EPlS7_ZN2at6native12_GLOBAL__N_124unique_dim_cuda_templateIdEESt5tupleIJNS8_6TensorESD_SD_EERKSD_lbbbEUlllE1_EE10hipError_tPvRmT2_T3_mT4_P12ihipStream_tbEUlT_E_NS1_11comp_targetILNS1_3genE9ELNS1_11target_archE1100ELNS1_3gpuE3ELNS1_3repE0EEENS1_30default_config_static_selectorELNS0_4arch9wavefront6targetE0EEEvT1_.has_recursion, 0
	.set _ZN7rocprim17ROCPRIM_400000_NS6detail17trampoline_kernelINS0_14default_configENS1_35adjacent_difference_config_selectorILb1ElEEZNS1_24adjacent_difference_implIS3_Lb1ELb0EPlS7_ZN2at6native12_GLOBAL__N_124unique_dim_cuda_templateIdEESt5tupleIJNS8_6TensorESD_SD_EERKSD_lbbbEUlllE1_EE10hipError_tPvRmT2_T3_mT4_P12ihipStream_tbEUlT_E_NS1_11comp_targetILNS1_3genE9ELNS1_11target_archE1100ELNS1_3gpuE3ELNS1_3repE0EEENS1_30default_config_static_selectorELNS0_4arch9wavefront6targetE0EEEvT1_.has_indirect_call, 0
	.section	.AMDGPU.csdata,"",@progbits
; Kernel info:
; codeLenInByte = 0
; TotalNumSgprs: 0
; NumVgprs: 0
; ScratchSize: 0
; MemoryBound: 0
; FloatMode: 240
; IeeeMode: 1
; LDSByteSize: 0 bytes/workgroup (compile time only)
; SGPRBlocks: 0
; VGPRBlocks: 0
; NumSGPRsForWavesPerEU: 1
; NumVGPRsForWavesPerEU: 1
; NamedBarCnt: 0
; Occupancy: 16
; WaveLimiterHint : 0
; COMPUTE_PGM_RSRC2:SCRATCH_EN: 0
; COMPUTE_PGM_RSRC2:USER_SGPR: 2
; COMPUTE_PGM_RSRC2:TRAP_HANDLER: 0
; COMPUTE_PGM_RSRC2:TGID_X_EN: 1
; COMPUTE_PGM_RSRC2:TGID_Y_EN: 0
; COMPUTE_PGM_RSRC2:TGID_Z_EN: 0
; COMPUTE_PGM_RSRC2:TIDIG_COMP_CNT: 0
	.section	.text._ZN7rocprim17ROCPRIM_400000_NS6detail17trampoline_kernelINS0_14default_configENS1_35adjacent_difference_config_selectorILb1ElEEZNS1_24adjacent_difference_implIS3_Lb1ELb0EPlS7_ZN2at6native12_GLOBAL__N_124unique_dim_cuda_templateIdEESt5tupleIJNS8_6TensorESD_SD_EERKSD_lbbbEUlllE1_EE10hipError_tPvRmT2_T3_mT4_P12ihipStream_tbEUlT_E_NS1_11comp_targetILNS1_3genE8ELNS1_11target_archE1030ELNS1_3gpuE2ELNS1_3repE0EEENS1_30default_config_static_selectorELNS0_4arch9wavefront6targetE0EEEvT1_,"axG",@progbits,_ZN7rocprim17ROCPRIM_400000_NS6detail17trampoline_kernelINS0_14default_configENS1_35adjacent_difference_config_selectorILb1ElEEZNS1_24adjacent_difference_implIS3_Lb1ELb0EPlS7_ZN2at6native12_GLOBAL__N_124unique_dim_cuda_templateIdEESt5tupleIJNS8_6TensorESD_SD_EERKSD_lbbbEUlllE1_EE10hipError_tPvRmT2_T3_mT4_P12ihipStream_tbEUlT_E_NS1_11comp_targetILNS1_3genE8ELNS1_11target_archE1030ELNS1_3gpuE2ELNS1_3repE0EEENS1_30default_config_static_selectorELNS0_4arch9wavefront6targetE0EEEvT1_,comdat
	.globl	_ZN7rocprim17ROCPRIM_400000_NS6detail17trampoline_kernelINS0_14default_configENS1_35adjacent_difference_config_selectorILb1ElEEZNS1_24adjacent_difference_implIS3_Lb1ELb0EPlS7_ZN2at6native12_GLOBAL__N_124unique_dim_cuda_templateIdEESt5tupleIJNS8_6TensorESD_SD_EERKSD_lbbbEUlllE1_EE10hipError_tPvRmT2_T3_mT4_P12ihipStream_tbEUlT_E_NS1_11comp_targetILNS1_3genE8ELNS1_11target_archE1030ELNS1_3gpuE2ELNS1_3repE0EEENS1_30default_config_static_selectorELNS0_4arch9wavefront6targetE0EEEvT1_ ; -- Begin function _ZN7rocprim17ROCPRIM_400000_NS6detail17trampoline_kernelINS0_14default_configENS1_35adjacent_difference_config_selectorILb1ElEEZNS1_24adjacent_difference_implIS3_Lb1ELb0EPlS7_ZN2at6native12_GLOBAL__N_124unique_dim_cuda_templateIdEESt5tupleIJNS8_6TensorESD_SD_EERKSD_lbbbEUlllE1_EE10hipError_tPvRmT2_T3_mT4_P12ihipStream_tbEUlT_E_NS1_11comp_targetILNS1_3genE8ELNS1_11target_archE1030ELNS1_3gpuE2ELNS1_3repE0EEENS1_30default_config_static_selectorELNS0_4arch9wavefront6targetE0EEEvT1_
	.p2align	8
	.type	_ZN7rocprim17ROCPRIM_400000_NS6detail17trampoline_kernelINS0_14default_configENS1_35adjacent_difference_config_selectorILb1ElEEZNS1_24adjacent_difference_implIS3_Lb1ELb0EPlS7_ZN2at6native12_GLOBAL__N_124unique_dim_cuda_templateIdEESt5tupleIJNS8_6TensorESD_SD_EERKSD_lbbbEUlllE1_EE10hipError_tPvRmT2_T3_mT4_P12ihipStream_tbEUlT_E_NS1_11comp_targetILNS1_3genE8ELNS1_11target_archE1030ELNS1_3gpuE2ELNS1_3repE0EEENS1_30default_config_static_selectorELNS0_4arch9wavefront6targetE0EEEvT1_,@function
_ZN7rocprim17ROCPRIM_400000_NS6detail17trampoline_kernelINS0_14default_configENS1_35adjacent_difference_config_selectorILb1ElEEZNS1_24adjacent_difference_implIS3_Lb1ELb0EPlS7_ZN2at6native12_GLOBAL__N_124unique_dim_cuda_templateIdEESt5tupleIJNS8_6TensorESD_SD_EERKSD_lbbbEUlllE1_EE10hipError_tPvRmT2_T3_mT4_P12ihipStream_tbEUlT_E_NS1_11comp_targetILNS1_3genE8ELNS1_11target_archE1030ELNS1_3gpuE2ELNS1_3repE0EEENS1_30default_config_static_selectorELNS0_4arch9wavefront6targetE0EEEvT1_: ; @_ZN7rocprim17ROCPRIM_400000_NS6detail17trampoline_kernelINS0_14default_configENS1_35adjacent_difference_config_selectorILb1ElEEZNS1_24adjacent_difference_implIS3_Lb1ELb0EPlS7_ZN2at6native12_GLOBAL__N_124unique_dim_cuda_templateIdEESt5tupleIJNS8_6TensorESD_SD_EERKSD_lbbbEUlllE1_EE10hipError_tPvRmT2_T3_mT4_P12ihipStream_tbEUlT_E_NS1_11comp_targetILNS1_3genE8ELNS1_11target_archE1030ELNS1_3gpuE2ELNS1_3repE0EEENS1_30default_config_static_selectorELNS0_4arch9wavefront6targetE0EEEvT1_
; %bb.0:
	.section	.rodata,"a",@progbits
	.p2align	6, 0x0
	.amdhsa_kernel _ZN7rocprim17ROCPRIM_400000_NS6detail17trampoline_kernelINS0_14default_configENS1_35adjacent_difference_config_selectorILb1ElEEZNS1_24adjacent_difference_implIS3_Lb1ELb0EPlS7_ZN2at6native12_GLOBAL__N_124unique_dim_cuda_templateIdEESt5tupleIJNS8_6TensorESD_SD_EERKSD_lbbbEUlllE1_EE10hipError_tPvRmT2_T3_mT4_P12ihipStream_tbEUlT_E_NS1_11comp_targetILNS1_3genE8ELNS1_11target_archE1030ELNS1_3gpuE2ELNS1_3repE0EEENS1_30default_config_static_selectorELNS0_4arch9wavefront6targetE0EEEvT1_
		.amdhsa_group_segment_fixed_size 0
		.amdhsa_private_segment_fixed_size 0
		.amdhsa_kernarg_size 64
		.amdhsa_user_sgpr_count 2
		.amdhsa_user_sgpr_dispatch_ptr 0
		.amdhsa_user_sgpr_queue_ptr 0
		.amdhsa_user_sgpr_kernarg_segment_ptr 1
		.amdhsa_user_sgpr_dispatch_id 0
		.amdhsa_user_sgpr_kernarg_preload_length 0
		.amdhsa_user_sgpr_kernarg_preload_offset 0
		.amdhsa_user_sgpr_private_segment_size 0
		.amdhsa_wavefront_size32 1
		.amdhsa_uses_dynamic_stack 0
		.amdhsa_enable_private_segment 0
		.amdhsa_system_sgpr_workgroup_id_x 1
		.amdhsa_system_sgpr_workgroup_id_y 0
		.amdhsa_system_sgpr_workgroup_id_z 0
		.amdhsa_system_sgpr_workgroup_info 0
		.amdhsa_system_vgpr_workitem_id 0
		.amdhsa_next_free_vgpr 1
		.amdhsa_next_free_sgpr 1
		.amdhsa_named_barrier_count 0
		.amdhsa_reserve_vcc 0
		.amdhsa_float_round_mode_32 0
		.amdhsa_float_round_mode_16_64 0
		.amdhsa_float_denorm_mode_32 3
		.amdhsa_float_denorm_mode_16_64 3
		.amdhsa_fp16_overflow 0
		.amdhsa_memory_ordered 1
		.amdhsa_forward_progress 1
		.amdhsa_inst_pref_size 0
		.amdhsa_round_robin_scheduling 0
		.amdhsa_exception_fp_ieee_invalid_op 0
		.amdhsa_exception_fp_denorm_src 0
		.amdhsa_exception_fp_ieee_div_zero 0
		.amdhsa_exception_fp_ieee_overflow 0
		.amdhsa_exception_fp_ieee_underflow 0
		.amdhsa_exception_fp_ieee_inexact 0
		.amdhsa_exception_int_div_zero 0
	.end_amdhsa_kernel
	.section	.text._ZN7rocprim17ROCPRIM_400000_NS6detail17trampoline_kernelINS0_14default_configENS1_35adjacent_difference_config_selectorILb1ElEEZNS1_24adjacent_difference_implIS3_Lb1ELb0EPlS7_ZN2at6native12_GLOBAL__N_124unique_dim_cuda_templateIdEESt5tupleIJNS8_6TensorESD_SD_EERKSD_lbbbEUlllE1_EE10hipError_tPvRmT2_T3_mT4_P12ihipStream_tbEUlT_E_NS1_11comp_targetILNS1_3genE8ELNS1_11target_archE1030ELNS1_3gpuE2ELNS1_3repE0EEENS1_30default_config_static_selectorELNS0_4arch9wavefront6targetE0EEEvT1_,"axG",@progbits,_ZN7rocprim17ROCPRIM_400000_NS6detail17trampoline_kernelINS0_14default_configENS1_35adjacent_difference_config_selectorILb1ElEEZNS1_24adjacent_difference_implIS3_Lb1ELb0EPlS7_ZN2at6native12_GLOBAL__N_124unique_dim_cuda_templateIdEESt5tupleIJNS8_6TensorESD_SD_EERKSD_lbbbEUlllE1_EE10hipError_tPvRmT2_T3_mT4_P12ihipStream_tbEUlT_E_NS1_11comp_targetILNS1_3genE8ELNS1_11target_archE1030ELNS1_3gpuE2ELNS1_3repE0EEENS1_30default_config_static_selectorELNS0_4arch9wavefront6targetE0EEEvT1_,comdat
.Lfunc_end806:
	.size	_ZN7rocprim17ROCPRIM_400000_NS6detail17trampoline_kernelINS0_14default_configENS1_35adjacent_difference_config_selectorILb1ElEEZNS1_24adjacent_difference_implIS3_Lb1ELb0EPlS7_ZN2at6native12_GLOBAL__N_124unique_dim_cuda_templateIdEESt5tupleIJNS8_6TensorESD_SD_EERKSD_lbbbEUlllE1_EE10hipError_tPvRmT2_T3_mT4_P12ihipStream_tbEUlT_E_NS1_11comp_targetILNS1_3genE8ELNS1_11target_archE1030ELNS1_3gpuE2ELNS1_3repE0EEENS1_30default_config_static_selectorELNS0_4arch9wavefront6targetE0EEEvT1_, .Lfunc_end806-_ZN7rocprim17ROCPRIM_400000_NS6detail17trampoline_kernelINS0_14default_configENS1_35adjacent_difference_config_selectorILb1ElEEZNS1_24adjacent_difference_implIS3_Lb1ELb0EPlS7_ZN2at6native12_GLOBAL__N_124unique_dim_cuda_templateIdEESt5tupleIJNS8_6TensorESD_SD_EERKSD_lbbbEUlllE1_EE10hipError_tPvRmT2_T3_mT4_P12ihipStream_tbEUlT_E_NS1_11comp_targetILNS1_3genE8ELNS1_11target_archE1030ELNS1_3gpuE2ELNS1_3repE0EEENS1_30default_config_static_selectorELNS0_4arch9wavefront6targetE0EEEvT1_
                                        ; -- End function
	.set _ZN7rocprim17ROCPRIM_400000_NS6detail17trampoline_kernelINS0_14default_configENS1_35adjacent_difference_config_selectorILb1ElEEZNS1_24adjacent_difference_implIS3_Lb1ELb0EPlS7_ZN2at6native12_GLOBAL__N_124unique_dim_cuda_templateIdEESt5tupleIJNS8_6TensorESD_SD_EERKSD_lbbbEUlllE1_EE10hipError_tPvRmT2_T3_mT4_P12ihipStream_tbEUlT_E_NS1_11comp_targetILNS1_3genE8ELNS1_11target_archE1030ELNS1_3gpuE2ELNS1_3repE0EEENS1_30default_config_static_selectorELNS0_4arch9wavefront6targetE0EEEvT1_.num_vgpr, 0
	.set _ZN7rocprim17ROCPRIM_400000_NS6detail17trampoline_kernelINS0_14default_configENS1_35adjacent_difference_config_selectorILb1ElEEZNS1_24adjacent_difference_implIS3_Lb1ELb0EPlS7_ZN2at6native12_GLOBAL__N_124unique_dim_cuda_templateIdEESt5tupleIJNS8_6TensorESD_SD_EERKSD_lbbbEUlllE1_EE10hipError_tPvRmT2_T3_mT4_P12ihipStream_tbEUlT_E_NS1_11comp_targetILNS1_3genE8ELNS1_11target_archE1030ELNS1_3gpuE2ELNS1_3repE0EEENS1_30default_config_static_selectorELNS0_4arch9wavefront6targetE0EEEvT1_.num_agpr, 0
	.set _ZN7rocprim17ROCPRIM_400000_NS6detail17trampoline_kernelINS0_14default_configENS1_35adjacent_difference_config_selectorILb1ElEEZNS1_24adjacent_difference_implIS3_Lb1ELb0EPlS7_ZN2at6native12_GLOBAL__N_124unique_dim_cuda_templateIdEESt5tupleIJNS8_6TensorESD_SD_EERKSD_lbbbEUlllE1_EE10hipError_tPvRmT2_T3_mT4_P12ihipStream_tbEUlT_E_NS1_11comp_targetILNS1_3genE8ELNS1_11target_archE1030ELNS1_3gpuE2ELNS1_3repE0EEENS1_30default_config_static_selectorELNS0_4arch9wavefront6targetE0EEEvT1_.numbered_sgpr, 0
	.set _ZN7rocprim17ROCPRIM_400000_NS6detail17trampoline_kernelINS0_14default_configENS1_35adjacent_difference_config_selectorILb1ElEEZNS1_24adjacent_difference_implIS3_Lb1ELb0EPlS7_ZN2at6native12_GLOBAL__N_124unique_dim_cuda_templateIdEESt5tupleIJNS8_6TensorESD_SD_EERKSD_lbbbEUlllE1_EE10hipError_tPvRmT2_T3_mT4_P12ihipStream_tbEUlT_E_NS1_11comp_targetILNS1_3genE8ELNS1_11target_archE1030ELNS1_3gpuE2ELNS1_3repE0EEENS1_30default_config_static_selectorELNS0_4arch9wavefront6targetE0EEEvT1_.num_named_barrier, 0
	.set _ZN7rocprim17ROCPRIM_400000_NS6detail17trampoline_kernelINS0_14default_configENS1_35adjacent_difference_config_selectorILb1ElEEZNS1_24adjacent_difference_implIS3_Lb1ELb0EPlS7_ZN2at6native12_GLOBAL__N_124unique_dim_cuda_templateIdEESt5tupleIJNS8_6TensorESD_SD_EERKSD_lbbbEUlllE1_EE10hipError_tPvRmT2_T3_mT4_P12ihipStream_tbEUlT_E_NS1_11comp_targetILNS1_3genE8ELNS1_11target_archE1030ELNS1_3gpuE2ELNS1_3repE0EEENS1_30default_config_static_selectorELNS0_4arch9wavefront6targetE0EEEvT1_.private_seg_size, 0
	.set _ZN7rocprim17ROCPRIM_400000_NS6detail17trampoline_kernelINS0_14default_configENS1_35adjacent_difference_config_selectorILb1ElEEZNS1_24adjacent_difference_implIS3_Lb1ELb0EPlS7_ZN2at6native12_GLOBAL__N_124unique_dim_cuda_templateIdEESt5tupleIJNS8_6TensorESD_SD_EERKSD_lbbbEUlllE1_EE10hipError_tPvRmT2_T3_mT4_P12ihipStream_tbEUlT_E_NS1_11comp_targetILNS1_3genE8ELNS1_11target_archE1030ELNS1_3gpuE2ELNS1_3repE0EEENS1_30default_config_static_selectorELNS0_4arch9wavefront6targetE0EEEvT1_.uses_vcc, 0
	.set _ZN7rocprim17ROCPRIM_400000_NS6detail17trampoline_kernelINS0_14default_configENS1_35adjacent_difference_config_selectorILb1ElEEZNS1_24adjacent_difference_implIS3_Lb1ELb0EPlS7_ZN2at6native12_GLOBAL__N_124unique_dim_cuda_templateIdEESt5tupleIJNS8_6TensorESD_SD_EERKSD_lbbbEUlllE1_EE10hipError_tPvRmT2_T3_mT4_P12ihipStream_tbEUlT_E_NS1_11comp_targetILNS1_3genE8ELNS1_11target_archE1030ELNS1_3gpuE2ELNS1_3repE0EEENS1_30default_config_static_selectorELNS0_4arch9wavefront6targetE0EEEvT1_.uses_flat_scratch, 0
	.set _ZN7rocprim17ROCPRIM_400000_NS6detail17trampoline_kernelINS0_14default_configENS1_35adjacent_difference_config_selectorILb1ElEEZNS1_24adjacent_difference_implIS3_Lb1ELb0EPlS7_ZN2at6native12_GLOBAL__N_124unique_dim_cuda_templateIdEESt5tupleIJNS8_6TensorESD_SD_EERKSD_lbbbEUlllE1_EE10hipError_tPvRmT2_T3_mT4_P12ihipStream_tbEUlT_E_NS1_11comp_targetILNS1_3genE8ELNS1_11target_archE1030ELNS1_3gpuE2ELNS1_3repE0EEENS1_30default_config_static_selectorELNS0_4arch9wavefront6targetE0EEEvT1_.has_dyn_sized_stack, 0
	.set _ZN7rocprim17ROCPRIM_400000_NS6detail17trampoline_kernelINS0_14default_configENS1_35adjacent_difference_config_selectorILb1ElEEZNS1_24adjacent_difference_implIS3_Lb1ELb0EPlS7_ZN2at6native12_GLOBAL__N_124unique_dim_cuda_templateIdEESt5tupleIJNS8_6TensorESD_SD_EERKSD_lbbbEUlllE1_EE10hipError_tPvRmT2_T3_mT4_P12ihipStream_tbEUlT_E_NS1_11comp_targetILNS1_3genE8ELNS1_11target_archE1030ELNS1_3gpuE2ELNS1_3repE0EEENS1_30default_config_static_selectorELNS0_4arch9wavefront6targetE0EEEvT1_.has_recursion, 0
	.set _ZN7rocprim17ROCPRIM_400000_NS6detail17trampoline_kernelINS0_14default_configENS1_35adjacent_difference_config_selectorILb1ElEEZNS1_24adjacent_difference_implIS3_Lb1ELb0EPlS7_ZN2at6native12_GLOBAL__N_124unique_dim_cuda_templateIdEESt5tupleIJNS8_6TensorESD_SD_EERKSD_lbbbEUlllE1_EE10hipError_tPvRmT2_T3_mT4_P12ihipStream_tbEUlT_E_NS1_11comp_targetILNS1_3genE8ELNS1_11target_archE1030ELNS1_3gpuE2ELNS1_3repE0EEENS1_30default_config_static_selectorELNS0_4arch9wavefront6targetE0EEEvT1_.has_indirect_call, 0
	.section	.AMDGPU.csdata,"",@progbits
; Kernel info:
; codeLenInByte = 0
; TotalNumSgprs: 0
; NumVgprs: 0
; ScratchSize: 0
; MemoryBound: 0
; FloatMode: 240
; IeeeMode: 1
; LDSByteSize: 0 bytes/workgroup (compile time only)
; SGPRBlocks: 0
; VGPRBlocks: 0
; NumSGPRsForWavesPerEU: 1
; NumVGPRsForWavesPerEU: 1
; NamedBarCnt: 0
; Occupancy: 16
; WaveLimiterHint : 0
; COMPUTE_PGM_RSRC2:SCRATCH_EN: 0
; COMPUTE_PGM_RSRC2:USER_SGPR: 2
; COMPUTE_PGM_RSRC2:TRAP_HANDLER: 0
; COMPUTE_PGM_RSRC2:TGID_X_EN: 1
; COMPUTE_PGM_RSRC2:TGID_Y_EN: 0
; COMPUTE_PGM_RSRC2:TGID_Z_EN: 0
; COMPUTE_PGM_RSRC2:TIDIG_COMP_CNT: 0
	.section	.text._ZN7rocprim17ROCPRIM_400000_NS6detail17trampoline_kernelINS0_14default_configENS1_25partition_config_selectorILNS1_17partition_subalgoE8ElNS0_10empty_typeEbEEZZNS1_14partition_implILS5_8ELb0ES3_jPlPS6_PKS6_NS0_5tupleIJS9_S6_EEENSD_IJSA_SA_EEENS0_18inequality_wrapperIZN2at6native12_GLOBAL__N_124unique_dim_cuda_templateIdEESt5tupleIJNSH_6TensorESM_SM_EERKSM_lbbbEUlllE0_EEPmJS6_EEE10hipError_tPvRmT3_T4_T5_T6_T7_T9_mT8_P12ihipStream_tbDpT10_ENKUlT_T0_E_clISt17integral_constantIbLb0EES1C_EEDaS17_S18_EUlS17_E_NS1_11comp_targetILNS1_3genE0ELNS1_11target_archE4294967295ELNS1_3gpuE0ELNS1_3repE0EEENS1_30default_config_static_selectorELNS0_4arch9wavefront6targetE0EEEvT1_,"axG",@progbits,_ZN7rocprim17ROCPRIM_400000_NS6detail17trampoline_kernelINS0_14default_configENS1_25partition_config_selectorILNS1_17partition_subalgoE8ElNS0_10empty_typeEbEEZZNS1_14partition_implILS5_8ELb0ES3_jPlPS6_PKS6_NS0_5tupleIJS9_S6_EEENSD_IJSA_SA_EEENS0_18inequality_wrapperIZN2at6native12_GLOBAL__N_124unique_dim_cuda_templateIdEESt5tupleIJNSH_6TensorESM_SM_EERKSM_lbbbEUlllE0_EEPmJS6_EEE10hipError_tPvRmT3_T4_T5_T6_T7_T9_mT8_P12ihipStream_tbDpT10_ENKUlT_T0_E_clISt17integral_constantIbLb0EES1C_EEDaS17_S18_EUlS17_E_NS1_11comp_targetILNS1_3genE0ELNS1_11target_archE4294967295ELNS1_3gpuE0ELNS1_3repE0EEENS1_30default_config_static_selectorELNS0_4arch9wavefront6targetE0EEEvT1_,comdat
	.globl	_ZN7rocprim17ROCPRIM_400000_NS6detail17trampoline_kernelINS0_14default_configENS1_25partition_config_selectorILNS1_17partition_subalgoE8ElNS0_10empty_typeEbEEZZNS1_14partition_implILS5_8ELb0ES3_jPlPS6_PKS6_NS0_5tupleIJS9_S6_EEENSD_IJSA_SA_EEENS0_18inequality_wrapperIZN2at6native12_GLOBAL__N_124unique_dim_cuda_templateIdEESt5tupleIJNSH_6TensorESM_SM_EERKSM_lbbbEUlllE0_EEPmJS6_EEE10hipError_tPvRmT3_T4_T5_T6_T7_T9_mT8_P12ihipStream_tbDpT10_ENKUlT_T0_E_clISt17integral_constantIbLb0EES1C_EEDaS17_S18_EUlS17_E_NS1_11comp_targetILNS1_3genE0ELNS1_11target_archE4294967295ELNS1_3gpuE0ELNS1_3repE0EEENS1_30default_config_static_selectorELNS0_4arch9wavefront6targetE0EEEvT1_ ; -- Begin function _ZN7rocprim17ROCPRIM_400000_NS6detail17trampoline_kernelINS0_14default_configENS1_25partition_config_selectorILNS1_17partition_subalgoE8ElNS0_10empty_typeEbEEZZNS1_14partition_implILS5_8ELb0ES3_jPlPS6_PKS6_NS0_5tupleIJS9_S6_EEENSD_IJSA_SA_EEENS0_18inequality_wrapperIZN2at6native12_GLOBAL__N_124unique_dim_cuda_templateIdEESt5tupleIJNSH_6TensorESM_SM_EERKSM_lbbbEUlllE0_EEPmJS6_EEE10hipError_tPvRmT3_T4_T5_T6_T7_T9_mT8_P12ihipStream_tbDpT10_ENKUlT_T0_E_clISt17integral_constantIbLb0EES1C_EEDaS17_S18_EUlS17_E_NS1_11comp_targetILNS1_3genE0ELNS1_11target_archE4294967295ELNS1_3gpuE0ELNS1_3repE0EEENS1_30default_config_static_selectorELNS0_4arch9wavefront6targetE0EEEvT1_
	.p2align	8
	.type	_ZN7rocprim17ROCPRIM_400000_NS6detail17trampoline_kernelINS0_14default_configENS1_25partition_config_selectorILNS1_17partition_subalgoE8ElNS0_10empty_typeEbEEZZNS1_14partition_implILS5_8ELb0ES3_jPlPS6_PKS6_NS0_5tupleIJS9_S6_EEENSD_IJSA_SA_EEENS0_18inequality_wrapperIZN2at6native12_GLOBAL__N_124unique_dim_cuda_templateIdEESt5tupleIJNSH_6TensorESM_SM_EERKSM_lbbbEUlllE0_EEPmJS6_EEE10hipError_tPvRmT3_T4_T5_T6_T7_T9_mT8_P12ihipStream_tbDpT10_ENKUlT_T0_E_clISt17integral_constantIbLb0EES1C_EEDaS17_S18_EUlS17_E_NS1_11comp_targetILNS1_3genE0ELNS1_11target_archE4294967295ELNS1_3gpuE0ELNS1_3repE0EEENS1_30default_config_static_selectorELNS0_4arch9wavefront6targetE0EEEvT1_,@function
_ZN7rocprim17ROCPRIM_400000_NS6detail17trampoline_kernelINS0_14default_configENS1_25partition_config_selectorILNS1_17partition_subalgoE8ElNS0_10empty_typeEbEEZZNS1_14partition_implILS5_8ELb0ES3_jPlPS6_PKS6_NS0_5tupleIJS9_S6_EEENSD_IJSA_SA_EEENS0_18inequality_wrapperIZN2at6native12_GLOBAL__N_124unique_dim_cuda_templateIdEESt5tupleIJNSH_6TensorESM_SM_EERKSM_lbbbEUlllE0_EEPmJS6_EEE10hipError_tPvRmT3_T4_T5_T6_T7_T9_mT8_P12ihipStream_tbDpT10_ENKUlT_T0_E_clISt17integral_constantIbLb0EES1C_EEDaS17_S18_EUlS17_E_NS1_11comp_targetILNS1_3genE0ELNS1_11target_archE4294967295ELNS1_3gpuE0ELNS1_3repE0EEENS1_30default_config_static_selectorELNS0_4arch9wavefront6targetE0EEEvT1_: ; @_ZN7rocprim17ROCPRIM_400000_NS6detail17trampoline_kernelINS0_14default_configENS1_25partition_config_selectorILNS1_17partition_subalgoE8ElNS0_10empty_typeEbEEZZNS1_14partition_implILS5_8ELb0ES3_jPlPS6_PKS6_NS0_5tupleIJS9_S6_EEENSD_IJSA_SA_EEENS0_18inequality_wrapperIZN2at6native12_GLOBAL__N_124unique_dim_cuda_templateIdEESt5tupleIJNSH_6TensorESM_SM_EERKSM_lbbbEUlllE0_EEPmJS6_EEE10hipError_tPvRmT3_T4_T5_T6_T7_T9_mT8_P12ihipStream_tbDpT10_ENKUlT_T0_E_clISt17integral_constantIbLb0EES1C_EEDaS17_S18_EUlS17_E_NS1_11comp_targetILNS1_3genE0ELNS1_11target_archE4294967295ELNS1_3gpuE0ELNS1_3repE0EEENS1_30default_config_static_selectorELNS0_4arch9wavefront6targetE0EEEvT1_
; %bb.0:
	s_clause 0x3
	s_load_b128 s[4:7], s[0:1], 0x8
	s_load_b256 s[12:19], s[0:1], 0x40
	s_load_b32 s26, s[0:1], 0x70
	s_load_b128 s[8:11], s[0:1], 0x60
	s_bfe_u32 s20, ttmp6, 0x4000c
	s_and_b32 s2, ttmp6, 15
	s_add_co_i32 s20, s20, 1
	s_mov_b32 s3, 0
	s_mul_i32 s20, ttmp9, s20
	s_getreg_b32 s21, hwreg(HW_REG_IB_STS2, 6, 4)
	s_add_co_i32 s22, s2, s20
	s_mov_b32 s27, s3
	v_dual_mov_b32 v1, v0 :: v_dual_lshlrev_b32 v18, 3, v0
	s_mov_b32 s23, -1
	s_wait_kmcnt 0x0
	s_lshl_b64 s[24:25], s[6:7], 3
	s_load_b64 s[14:15], s[14:15], 0x0
	s_mul_i32 s2, s26, 0xe00
	s_cmp_eq_u32 s21, 0
	s_add_nc_u64 s[20:21], s[6:7], s[2:3]
	s_cselect_b32 s22, ttmp9, s22
	s_add_co_i32 s2, s2, s6
	v_cmp_le_u64_e64 s17, s[16:17], s[20:21]
	s_add_co_i32 s26, s26, -1
	s_sub_co_i32 s16, s16, s2
	s_cmp_eq_u32 s22, s26
	s_add_nc_u64 s[2:3], s[4:5], s[24:25]
	s_cselect_b32 s20, -1, 0
	s_mul_i32 s26, s22, 0xe00
	s_and_b32 s24, s20, s17
	s_lshl_b64 s[4:5], s[26:27], 3
	s_xor_b32 s21, s24, -1
	s_add_nc_u64 s[2:3], s[2:3], s[4:5]
	s_and_b32 vcc_lo, exec_lo, s21
	s_cbranch_vccz .LBB807_2
; %bb.1:
	s_clause 0x6
	global_load_b64 v[2:3], v0, s[2:3] scale_offset
	global_load_b64 v[4:5], v0, s[2:3] offset:4096 scale_offset
	global_load_b64 v[6:7], v0, s[2:3] offset:8192 scale_offset
	;; [unrolled: 1-line block ×6, first 2 shown]
	v_lshlrev_b32_e32 v16, 3, v0
	s_mov_b32 s23, 0
	s_wait_loadcnt 0x5
	ds_store_2addr_stride64_b64 v16, v[2:3], v[4:5] offset1:8
	s_wait_loadcnt 0x3
	ds_store_2addr_stride64_b64 v16, v[6:7], v[8:9] offset0:16 offset1:24
	s_wait_loadcnt 0x1
	ds_store_2addr_stride64_b64 v16, v[10:11], v[12:13] offset0:32 offset1:40
	s_wait_loadcnt 0x0
	ds_store_b64 v16, v[14:15] offset:24576
	s_wait_dscnt 0x0
	s_barrier_signal -1
	s_barrier_wait -1
.LBB807_2:
	s_and_not1_b32 vcc_lo, exec_lo, s23
	s_add_co_i32 s23, s16, 0xe00
	s_cbranch_vccnz .LBB807_18
; %bb.3:
	v_mov_b32_e32 v2, 0
	s_mov_b32 s4, exec_lo
	s_delay_alu instid0(VALU_DEP_1)
	v_dual_mov_b32 v3, v2 :: v_dual_mov_b32 v4, v2
	v_dual_mov_b32 v5, v2 :: v_dual_mov_b32 v6, v2
	;; [unrolled: 1-line block ×6, first 2 shown]
	v_mov_b32_e32 v15, v2
	v_cmpx_gt_u32_e64 s23, v0
	s_cbranch_execz .LBB807_5
; %bb.4:
	global_load_b64 v[4:5], v0, s[2:3] scale_offset
	v_dual_mov_b32 v6, v2 :: v_dual_mov_b32 v7, v2
	v_dual_mov_b32 v8, v2 :: v_dual_mov_b32 v9, v2
	;; [unrolled: 1-line block ×6, first 2 shown]
	s_wait_loadcnt 0x0
	v_mov_b64_e32 v[2:3], v[4:5]
	v_mov_b64_e32 v[4:5], v[6:7]
	;; [unrolled: 1-line block ×8, first 2 shown]
.LBB807_5:
	s_or_b32 exec_lo, exec_lo, s4
	v_or_b32_e32 v16, 0x200, v0
	s_mov_b32 s4, exec_lo
	s_delay_alu instid0(VALU_DEP_1)
	v_cmpx_gt_u32_e64 s23, v16
	s_cbranch_execz .LBB807_7
; %bb.6:
	global_load_b64 v[4:5], v0, s[2:3] offset:4096 scale_offset
.LBB807_7:
	s_wait_xcnt 0x0
	s_or_b32 exec_lo, exec_lo, s4
	v_or_b32_e32 v16, 0x400, v0
	s_mov_b32 s4, exec_lo
	s_delay_alu instid0(VALU_DEP_1)
	v_cmpx_gt_u32_e64 s23, v16
	s_cbranch_execz .LBB807_9
; %bb.8:
	global_load_b64 v[6:7], v0, s[2:3] offset:8192 scale_offset
.LBB807_9:
	s_wait_xcnt 0x0
	;; [unrolled: 10-line block ×6, first 2 shown]
	s_or_b32 exec_lo, exec_lo, s4
	v_lshlrev_b32_e32 v16, 3, v0
	s_wait_loadcnt 0x0
	ds_store_2addr_stride64_b64 v16, v[2:3], v[4:5] offset1:8
	ds_store_2addr_stride64_b64 v16, v[6:7], v[8:9] offset0:16 offset1:24
	ds_store_2addr_stride64_b64 v16, v[10:11], v[12:13] offset0:32 offset1:40
	ds_store_b64 v16, v[14:15] offset:24576
	s_wait_dscnt 0x0
	s_barrier_signal -1
	s_barrier_wait -1
.LBB807_18:
	v_mul_u32_u24_e32 v19, 7, v0
	s_cmp_lg_u32 s22, 0
	v_cmp_gt_i64_e64 s26, s[18:19], 0
	s_cselect_b32 s25, -1, 0
	v_lshlrev_b32_e32 v24, 3, v19
	s_cmp_lg_u64 s[6:7], 0
	s_mov_b32 s16, 0
	s_cselect_b32 s4, -1, 0
	ds_load_2addr_b64 v[10:13], v24 offset1:1
	ds_load_2addr_b64 v[6:9], v24 offset0:2 offset1:3
	ds_load_2addr_b64 v[2:5], v24 offset0:4 offset1:5
	ds_load_b64 v[14:15], v24 offset:48
	s_or_b32 s4, s25, s4
	s_wait_dscnt 0x0
	s_and_b32 vcc_lo, exec_lo, s4
	s_barrier_signal -1
	s_barrier_wait -1
	s_cbranch_vccz .LBB807_34
; %bb.19:
	s_add_nc_u64 s[2:3], s[2:3], -8
	v_cndmask_b32_e64 v25, 0, 1, s26
	s_load_b64 s[4:5], s[2:3], 0x0
	v_lshlrev_b32_e32 v26, 3, v0
	s_and_b32 vcc_lo, exec_lo, s21
	s_wait_xcnt 0x0
	v_cmp_ne_u32_e64 s2, 1, v25
	ds_store_b64 v26, v[14:15]
	s_cbranch_vccz .LBB807_36
; %bb.20:
	s_and_b32 vcc_lo, exec_lo, s2
	s_cbranch_vccnz .LBB807_37
; %bb.21:
	v_mul_u64_e32 v[16:17], s[18:19], v[4:5]
	v_mul_u64_e32 v[20:21], s[18:19], v[14:15]
	s_add_nc_u64 s[6:7], s[18:19], -1
	s_mov_b32 s27, 0
	s_mov_b64 s[16:17], s[6:7]
                                        ; implicit-def: $sgpr3
	s_delay_alu instid0(VALU_DEP_2) | instskip(NEXT) | instid1(VALU_DEP_2)
	v_lshl_add_u64 v[16:17], v[16:17], 3, s[8:9]
	v_lshl_add_u64 v[20:21], v[20:21], 3, s[8:9]
	s_delay_alu instid0(VALU_DEP_2)
	v_mov_b64_e32 v[22:23], v[16:17]
.LBB807_22:                             ; =>This Inner Loop Header: Depth=1
	global_load_b64 v[28:29], v[22:23], off
	global_load_b64 v[30:31], v[20:21], off
	s_cmp_eq_u64 s[16:17], 0
	s_add_nc_u64 s[28:29], s[16:17], -1
	s_cselect_b32 s16, -1, 0
	s_wait_xcnt 0x1
	v_add_nc_u64_e32 v[22:23], 8, v[22:23]
	s_wait_xcnt 0x0
	v_add_nc_u64_e32 v[20:21], 8, v[20:21]
	s_wait_loadcnt 0x0
	v_cmp_neq_f64_e32 vcc_lo, v[28:29], v[30:31]
	v_cmp_eq_f64_e64 s2, v[28:29], v[30:31]
	s_or_b32 s16, vcc_lo, s16
	s_delay_alu instid0(SALU_CYCLE_1) | instskip(NEXT) | instid1(SALU_CYCLE_1)
	s_and_b32 s16, exec_lo, s16
	s_or_b32 s27, s16, s27
	s_and_not1_b32 s3, s3, exec_lo
	s_and_b32 s2, s2, exec_lo
	s_mov_b64 s[16:17], s[28:29]
	s_or_b32 s3, s3, s2
	s_and_not1_b32 exec_lo, exec_lo, s27
	s_cbranch_execnz .LBB807_22
; %bb.23:
	s_or_b32 exec_lo, exec_lo, s27
	v_mul_u64_e32 v[20:21], s[18:19], v[2:3]
	s_mov_b32 s28, 0
	s_mov_b64 s[16:17], s[6:7]
                                        ; implicit-def: $sgpr27
	s_delay_alu instid0(VALU_DEP_1) | instskip(NEXT) | instid1(VALU_DEP_1)
	v_lshl_add_u64 v[20:21], v[20:21], 3, s[8:9]
	v_mov_b64_e32 v[22:23], v[20:21]
.LBB807_24:                             ; =>This Inner Loop Header: Depth=1
	global_load_b64 v[28:29], v[22:23], off
	global_load_b64 v[30:31], v[16:17], off
	s_cmp_eq_u64 s[16:17], 0
	s_add_nc_u64 s[30:31], s[16:17], -1
	s_cselect_b32 s16, -1, 0
	s_wait_xcnt 0x1
	v_add_nc_u64_e32 v[22:23], 8, v[22:23]
	s_wait_xcnt 0x0
	v_add_nc_u64_e32 v[16:17], 8, v[16:17]
	s_wait_loadcnt 0x0
	v_cmp_neq_f64_e32 vcc_lo, v[28:29], v[30:31]
	v_cmp_eq_f64_e64 s2, v[28:29], v[30:31]
	s_or_b32 s16, vcc_lo, s16
	s_delay_alu instid0(SALU_CYCLE_1) | instskip(NEXT) | instid1(SALU_CYCLE_1)
	s_and_b32 s16, exec_lo, s16
	s_or_b32 s28, s16, s28
	s_and_not1_b32 s27, s27, exec_lo
	s_and_b32 s2, s2, exec_lo
	s_mov_b64 s[16:17], s[30:31]
	s_or_b32 s27, s27, s2
	s_and_not1_b32 exec_lo, exec_lo, s28
	s_cbranch_execnz .LBB807_24
; %bb.25:
	s_or_b32 exec_lo, exec_lo, s28
	v_mul_u64_e32 v[16:17], s[18:19], v[8:9]
	s_mov_b32 s29, 0
	s_mov_b64 s[16:17], s[6:7]
                                        ; implicit-def: $sgpr28
	s_delay_alu instid0(VALU_DEP_1) | instskip(NEXT) | instid1(VALU_DEP_1)
	v_lshl_add_u64 v[16:17], v[16:17], 3, s[8:9]
	v_mov_b64_e32 v[22:23], v[16:17]
.LBB807_26:                             ; =>This Inner Loop Header: Depth=1
	global_load_b64 v[28:29], v[22:23], off
	global_load_b64 v[30:31], v[20:21], off
	s_cmp_eq_u64 s[16:17], 0
	s_add_nc_u64 s[30:31], s[16:17], -1
	s_cselect_b32 s16, -1, 0
	s_wait_xcnt 0x1
	v_add_nc_u64_e32 v[22:23], 8, v[22:23]
	s_wait_xcnt 0x0
	v_add_nc_u64_e32 v[20:21], 8, v[20:21]
	s_wait_loadcnt 0x0
	v_cmp_neq_f64_e32 vcc_lo, v[28:29], v[30:31]
	v_cmp_eq_f64_e64 s2, v[28:29], v[30:31]
	s_or_b32 s16, vcc_lo, s16
	s_delay_alu instid0(SALU_CYCLE_1) | instskip(NEXT) | instid1(SALU_CYCLE_1)
	s_and_b32 s16, exec_lo, s16
	s_or_b32 s29, s16, s29
	s_and_not1_b32 s28, s28, exec_lo
	s_and_b32 s2, s2, exec_lo
	s_mov_b64 s[16:17], s[30:31]
	s_or_b32 s28, s28, s2
	s_and_not1_b32 exec_lo, exec_lo, s29
	s_cbranch_execnz .LBB807_26
; %bb.27:
	s_or_b32 exec_lo, exec_lo, s29
	v_mul_u64_e32 v[20:21], s[18:19], v[6:7]
	s_mov_b32 s30, 0
	s_mov_b64 s[16:17], s[6:7]
                                        ; implicit-def: $sgpr29
	s_delay_alu instid0(VALU_DEP_1) | instskip(NEXT) | instid1(VALU_DEP_1)
	v_lshl_add_u64 v[20:21], v[20:21], 3, s[8:9]
	v_mov_b64_e32 v[22:23], v[20:21]
.LBB807_28:                             ; =>This Inner Loop Header: Depth=1
	global_load_b64 v[28:29], v[22:23], off
	global_load_b64 v[30:31], v[16:17], off
	s_cmp_eq_u64 s[16:17], 0
	s_add_nc_u64 s[34:35], s[16:17], -1
	s_cselect_b32 s16, -1, 0
	s_wait_xcnt 0x1
	v_add_nc_u64_e32 v[22:23], 8, v[22:23]
	s_wait_xcnt 0x0
	v_add_nc_u64_e32 v[16:17], 8, v[16:17]
	s_wait_loadcnt 0x0
	v_cmp_neq_f64_e32 vcc_lo, v[28:29], v[30:31]
	v_cmp_eq_f64_e64 s2, v[28:29], v[30:31]
	s_or_b32 s16, vcc_lo, s16
	s_delay_alu instid0(SALU_CYCLE_1) | instskip(NEXT) | instid1(SALU_CYCLE_1)
	s_and_b32 s16, exec_lo, s16
	s_or_b32 s30, s16, s30
	s_and_not1_b32 s29, s29, exec_lo
	s_and_b32 s2, s2, exec_lo
	s_mov_b64 s[16:17], s[34:35]
	s_or_b32 s29, s29, s2
	s_and_not1_b32 exec_lo, exec_lo, s30
	s_cbranch_execnz .LBB807_28
; %bb.29:
	s_or_b32 exec_lo, exec_lo, s30
	v_mul_u64_e32 v[16:17], s[18:19], v[12:13]
	s_mov_b32 s31, 0
	s_mov_b64 s[16:17], s[6:7]
                                        ; implicit-def: $sgpr30
	s_delay_alu instid0(VALU_DEP_1) | instskip(NEXT) | instid1(VALU_DEP_1)
	v_lshl_add_u64 v[16:17], v[16:17], 3, s[8:9]
	v_mov_b64_e32 v[22:23], v[16:17]
.LBB807_30:                             ; =>This Inner Loop Header: Depth=1
	global_load_b64 v[28:29], v[22:23], off
	global_load_b64 v[30:31], v[20:21], off
	s_cmp_eq_u64 s[16:17], 0
	s_add_nc_u64 s[34:35], s[16:17], -1
	s_cselect_b32 s16, -1, 0
	s_wait_xcnt 0x1
	v_add_nc_u64_e32 v[22:23], 8, v[22:23]
	s_wait_xcnt 0x0
	v_add_nc_u64_e32 v[20:21], 8, v[20:21]
	s_wait_loadcnt 0x0
	v_cmp_neq_f64_e32 vcc_lo, v[28:29], v[30:31]
	v_cmp_eq_f64_e64 s2, v[28:29], v[30:31]
	s_or_b32 s16, vcc_lo, s16
	s_delay_alu instid0(SALU_CYCLE_1) | instskip(NEXT) | instid1(SALU_CYCLE_1)
	s_and_b32 s16, exec_lo, s16
	s_or_b32 s31, s16, s31
	s_and_not1_b32 s30, s30, exec_lo
	s_and_b32 s2, s2, exec_lo
	s_mov_b64 s[16:17], s[34:35]
	s_or_b32 s30, s30, s2
	s_and_not1_b32 exec_lo, exec_lo, s31
	s_cbranch_execnz .LBB807_30
; %bb.31:
	s_or_b32 exec_lo, exec_lo, s31
	v_mul_u64_e32 v[20:21], s[18:19], v[10:11]
	s_mov_b32 s17, 0
                                        ; implicit-def: $sgpr16
	s_delay_alu instid0(VALU_DEP_1)
	v_lshl_add_u64 v[20:21], v[20:21], 3, s[8:9]
.LBB807_32:                             ; =>This Inner Loop Header: Depth=1
	global_load_b64 v[22:23], v[20:21], off
	global_load_b64 v[28:29], v[16:17], off
	s_cmp_eq_u64 s[6:7], 0
	s_add_nc_u64 s[34:35], s[6:7], -1
	s_cselect_b32 s6, -1, 0
	s_wait_xcnt 0x1
	v_add_nc_u64_e32 v[20:21], 8, v[20:21]
	s_wait_xcnt 0x0
	v_add_nc_u64_e32 v[16:17], 8, v[16:17]
	s_wait_loadcnt 0x0
	v_cmp_neq_f64_e32 vcc_lo, v[22:23], v[28:29]
	v_cmp_eq_f64_e64 s2, v[22:23], v[28:29]
	s_or_b32 s6, vcc_lo, s6
	s_delay_alu instid0(SALU_CYCLE_1) | instskip(NEXT) | instid1(SALU_CYCLE_1)
	s_and_b32 s6, exec_lo, s6
	s_or_b32 s17, s6, s17
	s_and_not1_b32 s16, s16, exec_lo
	s_and_b32 s2, s2, exec_lo
	s_mov_b64 s[6:7], s[34:35]
	s_or_b32 s16, s16, s2
	s_and_not1_b32 exec_lo, exec_lo, s17
	s_cbranch_execnz .LBB807_32
; %bb.33:
	s_or_b32 exec_lo, exec_lo, s17
	s_xor_b32 s2, s29, -1
	s_delay_alu instid0(SALU_CYCLE_1) | instskip(SKIP_1) | instid1(SALU_CYCLE_1)
	v_cndmask_b32_e64 v16, 0, 1, s2
	s_xor_b32 s2, s30, -1
	v_cndmask_b32_e64 v17, 0, 1, s2
	s_xor_b32 s2, s27, -1
	s_delay_alu instid0(VALU_DEP_2)
	v_lshlrev_b16 v16, 8, v16
	v_cndmask_b32_e64 v31, 0, 1, s2
	s_xor_b32 s2, s3, -1
	s_xor_b32 s3, s16, -1
	v_cndmask_b32_e64 v30, 0, 1, s2
	v_lshrrev_b32_e32 v16, 8, v16
	s_xor_b32 s2, s28, -1
	s_delay_alu instid0(VALU_DEP_1) | instskip(NEXT) | instid1(VALU_DEP_1)
	v_and_b32_e32 v16, 1, v16
	v_lshlrev_b16 v16, 8, v16
	s_delay_alu instid0(VALU_DEP_1) | instskip(SKIP_1) | instid1(VALU_DEP_2)
	v_or_b32_e32 v16, v17, v16
	v_cndmask_b32_e64 v17, 0, 1, s2
	v_lshlrev_b32_e32 v16, 16, v16
	s_branch .LBB807_38
.LBB807_34:
                                        ; implicit-def: $sgpr2
                                        ; implicit-def: $vgpr30
                                        ; implicit-def: $vgpr31
                                        ; implicit-def: $vgpr17
                                        ; implicit-def: $vgpr21
	s_branch .LBB807_91
.LBB807_35:
                                        ; implicit-def: $vgpr33
                                        ; implicit-def: $vgpr32
                                        ; implicit-def: $vgpr20
	s_branch .LBB807_160
.LBB807_36:
                                        ; implicit-def: $sgpr2
                                        ; implicit-def: $vgpr30
                                        ; implicit-def: $vgpr31
                                        ; implicit-def: $vgpr17
                                        ; implicit-def: $vgpr21
	s_cbranch_execnz .LBB807_45
	s_branch .LBB807_90
.LBB807_37:
	v_dual_mov_b32 v16, 0 :: v_dual_mov_b32 v30, 0
	v_dual_mov_b32 v31, 0 :: v_dual_mov_b32 v17, 0
	s_mov_b32 s3, 0
.LBB807_38:
	s_wait_kmcnt 0x0
	v_mov_b64_e32 v[20:21], s[4:5]
	s_mov_b32 s2, 0
	s_mov_b32 s6, exec_lo
	s_wait_dscnt 0x0
	s_barrier_signal -1
	s_barrier_wait -1
	v_cmpx_ne_u32_e32 0, v0
; %bb.39:
	v_add_nc_u32_e32 v20, -8, v26
	ds_load_b64 v[20:21], v20
; %bb.40:
	s_or_b32 exec_lo, exec_lo, s6
	v_cndmask_b32_e64 v22, 0, 1, s3
	v_lshrrev_b32_e32 v23, 16, v16
	s_and_not1_b32 vcc_lo, exec_lo, s26
	s_delay_alu instid0(VALU_DEP_2) | instskip(NEXT) | instid1(VALU_DEP_1)
	v_lshlrev_b16 v22, 8, v22
	v_bitop3_b16 v22, v16, v22, 0xff bitop3:0xec
	s_delay_alu instid0(VALU_DEP_3) | instskip(NEXT) | instid1(VALU_DEP_2)
	v_perm_b32 v16, v23, v16, 0xc0c0304
	v_and_b32_e32 v27, 0xffff, v22
	s_cbranch_vccnz .LBB807_44
; %bb.41:
	s_wait_dscnt 0x0
	v_mul_u64_e32 v[20:21], s[18:19], v[20:21]
	v_mul_u64_e32 v[22:23], s[18:19], v[10:11]
	s_add_nc_u64 s[6:7], s[18:19], -1
	s_mov_b32 s3, 0
                                        ; implicit-def: $sgpr16
	s_delay_alu instid0(VALU_DEP_2) | instskip(NEXT) | instid1(VALU_DEP_2)
	v_lshl_add_u64 v[20:21], v[20:21], 3, s[8:9]
	v_lshl_add_u64 v[22:23], v[22:23], 3, s[8:9]
.LBB807_42:                             ; =>This Inner Loop Header: Depth=1
	global_load_b64 v[28:29], v[20:21], off
	global_load_b64 v[32:33], v[22:23], off
	s_cmp_eq_u64 s[6:7], 0
	s_add_nc_u64 s[28:29], s[6:7], -1
	s_cselect_b32 s6, -1, 0
	s_wait_xcnt 0x1
	v_add_nc_u64_e32 v[20:21], 8, v[20:21]
	s_wait_xcnt 0x0
	v_add_nc_u64_e32 v[22:23], 8, v[22:23]
	s_wait_loadcnt 0x0
	v_cmp_neq_f64_e32 vcc_lo, v[28:29], v[32:33]
	v_cmp_eq_f64_e64 s2, v[28:29], v[32:33]
	s_or_b32 s6, vcc_lo, s6
	s_delay_alu instid0(SALU_CYCLE_1) | instskip(NEXT) | instid1(SALU_CYCLE_1)
	s_and_b32 s6, exec_lo, s6
	s_or_b32 s3, s6, s3
	s_and_not1_b32 s16, s16, exec_lo
	s_and_b32 s2, s2, exec_lo
	s_mov_b64 s[6:7], s[28:29]
	s_or_b32 s16, s16, s2
	s_and_not1_b32 exec_lo, exec_lo, s3
	s_cbranch_execnz .LBB807_42
; %bb.43:
	s_or_b32 exec_lo, exec_lo, s3
	s_xor_b32 s2, s16, -1
.LBB807_44:
	s_wait_dscnt 0x0
	s_delay_alu instid0(VALU_DEP_1)
	v_lshl_or_b32 v21, v16, 16, v27
	s_branch .LBB807_90
.LBB807_45:
	v_add_nc_u32_e32 v16, 6, v19
	s_mov_b32 s16, 0
	s_mov_b32 s3, 0
	s_mov_b32 s17, exec_lo
	s_delay_alu instid0(VALU_DEP_1)
	v_cmpx_gt_u32_e64 s23, v16
	s_cbranch_execz .LBB807_51
; %bb.46:
	s_and_not1_b32 vcc_lo, exec_lo, s26
	s_mov_b32 s2, 0
	s_cbranch_vccnz .LBB807_50
; %bb.47:
	v_mul_u64_e32 v[16:17], s[18:19], v[4:5]
	v_mul_u64_e32 v[20:21], s[18:19], v[14:15]
	s_add_nc_u64 s[6:7], s[18:19], -1
                                        ; implicit-def: $sgpr26
	s_delay_alu instid0(VALU_DEP_2) | instskip(NEXT) | instid1(VALU_DEP_2)
	v_lshl_add_u64 v[16:17], v[16:17], 3, s[8:9]
	v_lshl_add_u64 v[20:21], v[20:21], 3, s[8:9]
.LBB807_48:                             ; =>This Inner Loop Header: Depth=1
	global_load_b64 v[22:23], v[16:17], off
	global_load_b64 v[28:29], v[20:21], off
	s_cmp_eq_u64 s[6:7], 0
	s_add_nc_u64 s[28:29], s[6:7], -1
	s_cselect_b32 s6, -1, 0
	s_wait_xcnt 0x1
	v_add_nc_u64_e32 v[16:17], 8, v[16:17]
	s_wait_xcnt 0x0
	v_add_nc_u64_e32 v[20:21], 8, v[20:21]
	s_wait_loadcnt 0x0
	v_cmp_neq_f64_e32 vcc_lo, v[22:23], v[28:29]
	v_cmp_eq_f64_e64 s2, v[22:23], v[28:29]
	s_or_b32 s6, vcc_lo, s6
	s_delay_alu instid0(SALU_CYCLE_1) | instskip(NEXT) | instid1(SALU_CYCLE_1)
	s_and_b32 s6, exec_lo, s6
	s_or_b32 s3, s6, s3
	s_and_not1_b32 s26, s26, exec_lo
	s_and_b32 s2, s2, exec_lo
	s_mov_b64 s[6:7], s[28:29]
	s_or_b32 s26, s26, s2
	s_and_not1_b32 exec_lo, exec_lo, s3
	s_cbranch_execnz .LBB807_48
; %bb.49:
	s_or_b32 exec_lo, exec_lo, s3
	s_xor_b32 s2, s26, -1
.LBB807_50:
	s_delay_alu instid0(SALU_CYCLE_1)
	s_and_b32 s3, s2, exec_lo
.LBB807_51:
	s_or_b32 exec_lo, exec_lo, s17
	v_add_nc_u32_e32 v16, 5, v19
	s_mov_b32 s17, exec_lo
	s_delay_alu instid0(VALU_DEP_1)
	v_cmpx_gt_u32_e64 s23, v16
	s_cbranch_execz .LBB807_57
; %bb.52:
	v_cmp_ne_u32_e32 vcc_lo, 1, v25
	s_mov_b32 s2, 0
	s_cbranch_vccnz .LBB807_56
; %bb.53:
	v_mul_u64_e32 v[16:17], s[18:19], v[2:3]
	v_mul_u64_e32 v[20:21], s[18:19], v[4:5]
	s_add_nc_u64 s[6:7], s[18:19], -1
	s_mov_b32 s16, 0
                                        ; implicit-def: $sgpr26
	s_delay_alu instid0(VALU_DEP_2) | instskip(NEXT) | instid1(VALU_DEP_2)
	v_lshl_add_u64 v[16:17], v[16:17], 3, s[8:9]
	v_lshl_add_u64 v[20:21], v[20:21], 3, s[8:9]
.LBB807_54:                             ; =>This Inner Loop Header: Depth=1
	global_load_b64 v[22:23], v[16:17], off
	global_load_b64 v[28:29], v[20:21], off
	s_cmp_eq_u64 s[6:7], 0
	s_add_nc_u64 s[28:29], s[6:7], -1
	s_cselect_b32 s6, -1, 0
	s_wait_xcnt 0x1
	v_add_nc_u64_e32 v[16:17], 8, v[16:17]
	s_wait_xcnt 0x0
	v_add_nc_u64_e32 v[20:21], 8, v[20:21]
	s_wait_loadcnt 0x0
	v_cmp_neq_f64_e32 vcc_lo, v[22:23], v[28:29]
	v_cmp_eq_f64_e64 s2, v[22:23], v[28:29]
	s_or_b32 s6, vcc_lo, s6
	s_delay_alu instid0(SALU_CYCLE_1) | instskip(NEXT) | instid1(SALU_CYCLE_1)
	s_and_b32 s6, exec_lo, s6
	s_or_b32 s16, s6, s16
	s_and_not1_b32 s26, s26, exec_lo
	s_and_b32 s2, s2, exec_lo
	s_mov_b64 s[6:7], s[28:29]
	s_or_b32 s26, s26, s2
	s_and_not1_b32 exec_lo, exec_lo, s16
	s_cbranch_execnz .LBB807_54
; %bb.55:
	s_or_b32 exec_lo, exec_lo, s16
	s_xor_b32 s2, s26, -1
.LBB807_56:
	s_delay_alu instid0(SALU_CYCLE_1)
	s_and_b32 s16, s2, exec_lo
.LBB807_57:
	s_or_b32 exec_lo, exec_lo, s17
	v_add_nc_u32_e32 v16, 4, v19
	s_mov_b32 s26, 0
	s_mov_b32 s17, 0
	s_mov_b32 s27, exec_lo
	s_delay_alu instid0(VALU_DEP_1)
	v_cmpx_gt_u32_e64 s23, v16
	s_cbranch_execz .LBB807_63
; %bb.58:
	v_cmp_ne_u32_e32 vcc_lo, 1, v25
	s_mov_b32 s2, 0
	s_cbranch_vccnz .LBB807_62
; %bb.59:
	v_mul_u64_e32 v[16:17], s[18:19], v[8:9]
	v_mul_u64_e32 v[20:21], s[18:19], v[2:3]
	s_add_nc_u64 s[6:7], s[18:19], -1
                                        ; implicit-def: $sgpr28
	s_delay_alu instid0(VALU_DEP_2) | instskip(NEXT) | instid1(VALU_DEP_2)
	v_lshl_add_u64 v[16:17], v[16:17], 3, s[8:9]
	v_lshl_add_u64 v[20:21], v[20:21], 3, s[8:9]
.LBB807_60:                             ; =>This Inner Loop Header: Depth=1
	global_load_b64 v[22:23], v[16:17], off
	global_load_b64 v[28:29], v[20:21], off
	s_cmp_eq_u64 s[6:7], 0
	s_add_nc_u64 s[30:31], s[6:7], -1
	s_cselect_b32 s6, -1, 0
	s_wait_xcnt 0x1
	v_add_nc_u64_e32 v[16:17], 8, v[16:17]
	s_wait_xcnt 0x0
	v_add_nc_u64_e32 v[20:21], 8, v[20:21]
	s_wait_loadcnt 0x0
	v_cmp_neq_f64_e32 vcc_lo, v[22:23], v[28:29]
	v_cmp_eq_f64_e64 s2, v[22:23], v[28:29]
	s_or_b32 s6, vcc_lo, s6
	s_delay_alu instid0(SALU_CYCLE_1) | instskip(NEXT) | instid1(SALU_CYCLE_1)
	s_and_b32 s6, exec_lo, s6
	s_or_b32 s17, s6, s17
	s_and_not1_b32 s28, s28, exec_lo
	s_and_b32 s2, s2, exec_lo
	s_mov_b64 s[6:7], s[30:31]
	s_or_b32 s28, s28, s2
	s_and_not1_b32 exec_lo, exec_lo, s17
	s_cbranch_execnz .LBB807_60
; %bb.61:
	s_or_b32 exec_lo, exec_lo, s17
	s_xor_b32 s2, s28, -1
.LBB807_62:
	s_delay_alu instid0(SALU_CYCLE_1)
	s_and_b32 s17, s2, exec_lo
.LBB807_63:
	s_or_b32 exec_lo, exec_lo, s27
	v_add_nc_u32_e32 v16, 3, v19
	s_mov_b32 s27, exec_lo
	s_delay_alu instid0(VALU_DEP_1)
	v_cmpx_gt_u32_e64 s23, v16
	s_cbranch_execz .LBB807_69
; %bb.64:
	v_cmp_ne_u32_e32 vcc_lo, 1, v25
	s_mov_b32 s2, 0
	s_cbranch_vccnz .LBB807_68
; %bb.65:
	v_mul_u64_e32 v[16:17], s[18:19], v[6:7]
	v_mul_u64_e32 v[20:21], s[18:19], v[8:9]
	s_add_nc_u64 s[6:7], s[18:19], -1
	s_mov_b32 s26, 0
                                        ; implicit-def: $sgpr28
	s_delay_alu instid0(VALU_DEP_2) | instskip(NEXT) | instid1(VALU_DEP_2)
	v_lshl_add_u64 v[16:17], v[16:17], 3, s[8:9]
	v_lshl_add_u64 v[20:21], v[20:21], 3, s[8:9]
.LBB807_66:                             ; =>This Inner Loop Header: Depth=1
	global_load_b64 v[22:23], v[16:17], off
	global_load_b64 v[28:29], v[20:21], off
	s_cmp_eq_u64 s[6:7], 0
	s_add_nc_u64 s[30:31], s[6:7], -1
	s_cselect_b32 s6, -1, 0
	s_wait_xcnt 0x1
	v_add_nc_u64_e32 v[16:17], 8, v[16:17]
	s_wait_xcnt 0x0
	v_add_nc_u64_e32 v[20:21], 8, v[20:21]
	s_wait_loadcnt 0x0
	v_cmp_neq_f64_e32 vcc_lo, v[22:23], v[28:29]
	v_cmp_eq_f64_e64 s2, v[22:23], v[28:29]
	s_or_b32 s6, vcc_lo, s6
	s_delay_alu instid0(SALU_CYCLE_1) | instskip(NEXT) | instid1(SALU_CYCLE_1)
	s_and_b32 s6, exec_lo, s6
	s_or_b32 s26, s6, s26
	s_and_not1_b32 s28, s28, exec_lo
	s_and_b32 s2, s2, exec_lo
	s_mov_b64 s[6:7], s[30:31]
	s_or_b32 s28, s28, s2
	s_and_not1_b32 exec_lo, exec_lo, s26
	s_cbranch_execnz .LBB807_66
; %bb.67:
	s_or_b32 exec_lo, exec_lo, s26
	s_xor_b32 s2, s28, -1
.LBB807_68:
	s_delay_alu instid0(SALU_CYCLE_1)
	s_and_b32 s26, s2, exec_lo
.LBB807_69:
	s_or_b32 exec_lo, exec_lo, s27
	v_add_nc_u32_e32 v16, 2, v19
	s_mov_b32 s27, 0
	s_mov_b32 s28, 0
	s_mov_b32 s29, exec_lo
	s_delay_alu instid0(VALU_DEP_1)
	v_cmpx_gt_u32_e64 s23, v16
	s_cbranch_execz .LBB807_75
; %bb.70:
	v_cmp_ne_u32_e32 vcc_lo, 1, v25
	s_mov_b32 s2, 0
	s_cbranch_vccnz .LBB807_74
; %bb.71:
	v_mul_u64_e32 v[16:17], s[18:19], v[12:13]
	v_mul_u64_e32 v[20:21], s[18:19], v[6:7]
	s_add_nc_u64 s[6:7], s[18:19], -1
                                        ; implicit-def: $sgpr30
	s_delay_alu instid0(VALU_DEP_2) | instskip(NEXT) | instid1(VALU_DEP_2)
	v_lshl_add_u64 v[16:17], v[16:17], 3, s[8:9]
	v_lshl_add_u64 v[20:21], v[20:21], 3, s[8:9]
.LBB807_72:                             ; =>This Inner Loop Header: Depth=1
	global_load_b64 v[22:23], v[16:17], off
	global_load_b64 v[28:29], v[20:21], off
	s_cmp_eq_u64 s[6:7], 0
	s_add_nc_u64 s[34:35], s[6:7], -1
	s_cselect_b32 s6, -1, 0
	s_wait_xcnt 0x1
	v_add_nc_u64_e32 v[16:17], 8, v[16:17]
	s_wait_xcnt 0x0
	v_add_nc_u64_e32 v[20:21], 8, v[20:21]
	s_wait_loadcnt 0x0
	v_cmp_neq_f64_e32 vcc_lo, v[22:23], v[28:29]
	v_cmp_eq_f64_e64 s2, v[22:23], v[28:29]
	s_or_b32 s6, vcc_lo, s6
	s_delay_alu instid0(SALU_CYCLE_1) | instskip(NEXT) | instid1(SALU_CYCLE_1)
	s_and_b32 s6, exec_lo, s6
	s_or_b32 s28, s6, s28
	s_and_not1_b32 s30, s30, exec_lo
	s_and_b32 s2, s2, exec_lo
	s_mov_b64 s[6:7], s[34:35]
	s_or_b32 s30, s30, s2
	s_and_not1_b32 exec_lo, exec_lo, s28
	s_cbranch_execnz .LBB807_72
; %bb.73:
	s_or_b32 exec_lo, exec_lo, s28
	s_xor_b32 s2, s30, -1
.LBB807_74:
	s_delay_alu instid0(SALU_CYCLE_1)
	s_and_b32 s28, s2, exec_lo
.LBB807_75:
	s_or_b32 exec_lo, exec_lo, s29
	v_add_nc_u32_e32 v16, 1, v19
	s_mov_b32 s29, exec_lo
	s_delay_alu instid0(VALU_DEP_1)
	v_cmpx_gt_u32_e64 s23, v16
	s_cbranch_execz .LBB807_81
; %bb.76:
	v_cmp_ne_u32_e32 vcc_lo, 1, v25
	s_mov_b32 s2, 0
	s_cbranch_vccnz .LBB807_80
; %bb.77:
	v_mul_u64_e32 v[16:17], s[18:19], v[10:11]
	v_mul_u64_e32 v[20:21], s[18:19], v[12:13]
	s_add_nc_u64 s[6:7], s[18:19], -1
	s_mov_b32 s27, 0
                                        ; implicit-def: $sgpr30
	s_delay_alu instid0(VALU_DEP_2) | instskip(NEXT) | instid1(VALU_DEP_2)
	v_lshl_add_u64 v[16:17], v[16:17], 3, s[8:9]
	v_lshl_add_u64 v[20:21], v[20:21], 3, s[8:9]
.LBB807_78:                             ; =>This Inner Loop Header: Depth=1
	global_load_b64 v[22:23], v[16:17], off
	global_load_b64 v[28:29], v[20:21], off
	s_cmp_eq_u64 s[6:7], 0
	s_add_nc_u64 s[34:35], s[6:7], -1
	s_cselect_b32 s6, -1, 0
	s_wait_xcnt 0x1
	v_add_nc_u64_e32 v[16:17], 8, v[16:17]
	s_wait_xcnt 0x0
	v_add_nc_u64_e32 v[20:21], 8, v[20:21]
	s_wait_loadcnt 0x0
	v_cmp_neq_f64_e32 vcc_lo, v[22:23], v[28:29]
	v_cmp_eq_f64_e64 s2, v[22:23], v[28:29]
	s_or_b32 s6, vcc_lo, s6
	s_delay_alu instid0(SALU_CYCLE_1) | instskip(NEXT) | instid1(SALU_CYCLE_1)
	s_and_b32 s6, exec_lo, s6
	s_or_b32 s27, s6, s27
	s_and_not1_b32 s30, s30, exec_lo
	s_and_b32 s2, s2, exec_lo
	s_mov_b64 s[6:7], s[34:35]
	s_or_b32 s30, s30, s2
	s_and_not1_b32 exec_lo, exec_lo, s27
	s_cbranch_execnz .LBB807_78
; %bb.79:
	s_or_b32 exec_lo, exec_lo, s27
	s_xor_b32 s2, s30, -1
.LBB807_80:
	s_delay_alu instid0(SALU_CYCLE_1)
	s_and_b32 s27, s2, exec_lo
.LBB807_81:
	s_or_b32 exec_lo, exec_lo, s29
	s_wait_kmcnt 0x0
	v_mov_b64_e32 v[16:17], s[4:5]
	s_mov_b32 s2, 0
	s_mov_b32 s4, exec_lo
	s_wait_dscnt 0x0
	s_barrier_signal -1
	s_barrier_wait -1
	v_cmpx_ne_u32_e32 0, v0
; %bb.82:
	v_add_nc_u32_e32 v16, -8, v26
	ds_load_b64 v[16:17], v16
; %bb.83:
	s_or_b32 exec_lo, exec_lo, s4
	v_cndmask_b32_e64 v20, 0, 1, s26
	v_cndmask_b32_e64 v21, 0, 1, s28
	;; [unrolled: 1-line block ×3, first 2 shown]
	s_mov_b32 s6, exec_lo
	s_delay_alu instid0(VALU_DEP_3) | instskip(NEXT) | instid1(VALU_DEP_2)
	v_lshlrev_b16 v20, 8, v20
	v_lshlrev_b16 v22, 8, v22
	s_delay_alu instid0(VALU_DEP_2) | instskip(NEXT) | instid1(VALU_DEP_2)
	v_or_b32_e32 v20, v21, v20
	v_and_b32_e32 v22, 0xffff, v22
	s_delay_alu instid0(VALU_DEP_2)
	v_lshlrev_b32_e32 v23, 16, v20
	v_cmpx_gt_u32_e64 s23, v19
	s_cbranch_execz .LBB807_89
; %bb.84:
	v_cmp_ne_u32_e32 vcc_lo, 1, v25
	s_cbranch_vccnz .LBB807_88
; %bb.85:
	s_wait_dscnt 0x0
	v_mul_u64_e32 v[16:17], s[18:19], v[16:17]
	v_mul_u64_e32 v[20:21], s[18:19], v[10:11]
	s_add_nc_u64 s[4:5], s[18:19], -1
	s_mov_b32 s7, 0
                                        ; implicit-def: $sgpr26
	s_delay_alu instid0(VALU_DEP_2) | instskip(NEXT) | instid1(VALU_DEP_2)
	v_lshl_add_u64 v[16:17], v[16:17], 3, s[8:9]
	v_lshl_add_u64 v[20:21], v[20:21], 3, s[8:9]
.LBB807_86:                             ; =>This Inner Loop Header: Depth=1
	global_load_b64 v[26:27], v[16:17], off
	global_load_b64 v[28:29], v[20:21], off
	s_cmp_eq_u64 s[4:5], 0
	s_add_nc_u64 s[28:29], s[4:5], -1
	s_cselect_b32 s4, -1, 0
	s_wait_xcnt 0x1
	v_add_nc_u64_e32 v[16:17], 8, v[16:17]
	s_wait_xcnt 0x0
	v_add_nc_u64_e32 v[20:21], 8, v[20:21]
	s_wait_loadcnt 0x0
	v_cmp_neq_f64_e32 vcc_lo, v[26:27], v[28:29]
	v_cmp_eq_f64_e64 s2, v[26:27], v[28:29]
	s_or_b32 s4, vcc_lo, s4
	s_delay_alu instid0(SALU_CYCLE_1) | instskip(NEXT) | instid1(SALU_CYCLE_1)
	s_and_b32 s4, exec_lo, s4
	s_or_b32 s7, s4, s7
	s_and_not1_b32 s26, s26, exec_lo
	s_and_b32 s2, s2, exec_lo
	s_mov_b64 s[4:5], s[28:29]
	s_or_b32 s26, s26, s2
	s_and_not1_b32 exec_lo, exec_lo, s7
	s_cbranch_execnz .LBB807_86
; %bb.87:
	s_or_b32 exec_lo, exec_lo, s7
	s_xor_b32 s2, s26, -1
.LBB807_88:
	s_delay_alu instid0(SALU_CYCLE_1)
	s_and_b32 s2, s2, exec_lo
.LBB807_89:
	s_or_b32 exec_lo, exec_lo, s6
	s_wait_dscnt 0x0
	v_cndmask_b32_e64 v17, 0, 1, s17
	v_cndmask_b32_e64 v31, 0, 1, s16
	v_cndmask_b32_e64 v30, 0, 1, s3
	v_or_b32_e32 v21, v22, v23
.LBB807_90:
	s_mov_b32 s16, -1
	s_cbranch_execnz .LBB807_35
.LBB807_91:
	v_cmp_gt_i64_e64 s3, s[18:19], 0
	v_mad_i32_i24 v26, 0xffffffd0, v0, v24
	s_and_b32 vcc_lo, exec_lo, s21
	ds_store_b64 v26, v[14:15]
	s_cbranch_vccz .LBB807_106
; %bb.92:
	s_and_not1_b32 vcc_lo, exec_lo, s3
	s_cbranch_vccnz .LBB807_107
; %bb.93:
	v_mul_u64_e32 v[16:17], s[18:19], v[4:5]
	v_mul_u64_e32 v[20:21], s[18:19], v[14:15]
	s_wait_kmcnt 0x0
	s_add_nc_u64 s[4:5], s[18:19], -1
	s_mov_b32 s26, 0
	s_mov_b64 s[6:7], s[4:5]
                                        ; implicit-def: $sgpr17
	s_delay_alu instid0(VALU_DEP_2) | instskip(NEXT) | instid1(VALU_DEP_2)
	v_lshl_add_u64 v[16:17], v[16:17], 3, s[8:9]
	v_lshl_add_u64 v[20:21], v[20:21], 3, s[8:9]
	s_delay_alu instid0(VALU_DEP_2)
	v_mov_b64_e32 v[22:23], v[16:17]
.LBB807_94:                             ; =>This Inner Loop Header: Depth=1
	global_load_b64 v[24:25], v[22:23], off
	global_load_b64 v[28:29], v[20:21], off
	s_cmp_eq_u64 s[6:7], 0
	s_add_nc_u64 s[28:29], s[6:7], -1
	s_cselect_b32 s6, -1, 0
	s_wait_xcnt 0x1
	v_add_nc_u64_e32 v[22:23], 8, v[22:23]
	s_wait_xcnt 0x0
	v_add_nc_u64_e32 v[20:21], 8, v[20:21]
	s_wait_loadcnt 0x0
	v_cmp_neq_f64_e32 vcc_lo, v[24:25], v[28:29]
	v_cmp_eq_f64_e64 s2, v[24:25], v[28:29]
	s_or_b32 s6, vcc_lo, s6
	s_delay_alu instid0(SALU_CYCLE_1) | instskip(NEXT) | instid1(SALU_CYCLE_1)
	s_and_b32 s6, exec_lo, s6
	s_or_b32 s26, s6, s26
	s_and_not1_b32 s17, s17, exec_lo
	s_and_b32 s2, s2, exec_lo
	s_mov_b64 s[6:7], s[28:29]
	s_or_b32 s17, s17, s2
	s_and_not1_b32 exec_lo, exec_lo, s26
	s_cbranch_execnz .LBB807_94
; %bb.95:
	s_or_b32 exec_lo, exec_lo, s26
	v_mul_u64_e32 v[20:21], s[18:19], v[2:3]
	s_mov_b32 s27, 0
	s_mov_b64 s[6:7], s[4:5]
                                        ; implicit-def: $sgpr26
	s_delay_alu instid0(VALU_DEP_1) | instskip(NEXT) | instid1(VALU_DEP_1)
	v_lshl_add_u64 v[20:21], v[20:21], 3, s[8:9]
	v_mov_b64_e32 v[22:23], v[20:21]
.LBB807_96:                             ; =>This Inner Loop Header: Depth=1
	global_load_b64 v[24:25], v[22:23], off
	global_load_b64 v[28:29], v[16:17], off
	s_cmp_eq_u64 s[6:7], 0
	s_add_nc_u64 s[28:29], s[6:7], -1
	s_cselect_b32 s6, -1, 0
	s_wait_xcnt 0x1
	v_add_nc_u64_e32 v[22:23], 8, v[22:23]
	s_wait_xcnt 0x0
	v_add_nc_u64_e32 v[16:17], 8, v[16:17]
	s_wait_loadcnt 0x0
	v_cmp_neq_f64_e32 vcc_lo, v[24:25], v[28:29]
	v_cmp_eq_f64_e64 s2, v[24:25], v[28:29]
	s_or_b32 s6, vcc_lo, s6
	s_delay_alu instid0(SALU_CYCLE_1) | instskip(NEXT) | instid1(SALU_CYCLE_1)
	s_and_b32 s6, exec_lo, s6
	s_or_b32 s27, s6, s27
	s_and_not1_b32 s26, s26, exec_lo
	s_and_b32 s2, s2, exec_lo
	s_mov_b64 s[6:7], s[28:29]
	s_or_b32 s26, s26, s2
	s_and_not1_b32 exec_lo, exec_lo, s27
	s_cbranch_execnz .LBB807_96
; %bb.97:
	s_or_b32 exec_lo, exec_lo, s27
	v_mul_u64_e32 v[16:17], s[18:19], v[8:9]
	s_mov_b32 s28, 0
	s_mov_b64 s[6:7], s[4:5]
                                        ; implicit-def: $sgpr27
	s_delay_alu instid0(VALU_DEP_1) | instskip(NEXT) | instid1(VALU_DEP_1)
	v_lshl_add_u64 v[16:17], v[16:17], 3, s[8:9]
	v_mov_b64_e32 v[22:23], v[16:17]
.LBB807_98:                             ; =>This Inner Loop Header: Depth=1
	global_load_b64 v[24:25], v[22:23], off
	global_load_b64 v[28:29], v[20:21], off
	s_cmp_eq_u64 s[6:7], 0
	s_add_nc_u64 s[30:31], s[6:7], -1
	s_cselect_b32 s6, -1, 0
	s_wait_xcnt 0x1
	v_add_nc_u64_e32 v[22:23], 8, v[22:23]
	s_wait_xcnt 0x0
	v_add_nc_u64_e32 v[20:21], 8, v[20:21]
	s_wait_loadcnt 0x0
	v_cmp_neq_f64_e32 vcc_lo, v[24:25], v[28:29]
	v_cmp_eq_f64_e64 s2, v[24:25], v[28:29]
	s_or_b32 s6, vcc_lo, s6
	s_delay_alu instid0(SALU_CYCLE_1) | instskip(NEXT) | instid1(SALU_CYCLE_1)
	s_and_b32 s6, exec_lo, s6
	s_or_b32 s28, s6, s28
	s_and_not1_b32 s27, s27, exec_lo
	s_and_b32 s2, s2, exec_lo
	s_mov_b64 s[6:7], s[30:31]
	s_or_b32 s27, s27, s2
	s_and_not1_b32 exec_lo, exec_lo, s28
	s_cbranch_execnz .LBB807_98
; %bb.99:
	s_or_b32 exec_lo, exec_lo, s28
	v_mul_u64_e32 v[20:21], s[18:19], v[6:7]
	s_mov_b32 s29, 0
	s_mov_b64 s[6:7], s[4:5]
                                        ; implicit-def: $sgpr28
	s_delay_alu instid0(VALU_DEP_1) | instskip(NEXT) | instid1(VALU_DEP_1)
	v_lshl_add_u64 v[20:21], v[20:21], 3, s[8:9]
	v_mov_b64_e32 v[22:23], v[20:21]
.LBB807_100:                            ; =>This Inner Loop Header: Depth=1
	global_load_b64 v[24:25], v[22:23], off
	global_load_b64 v[28:29], v[16:17], off
	s_cmp_eq_u64 s[6:7], 0
	s_add_nc_u64 s[30:31], s[6:7], -1
	s_cselect_b32 s6, -1, 0
	s_wait_xcnt 0x1
	v_add_nc_u64_e32 v[22:23], 8, v[22:23]
	s_wait_xcnt 0x0
	v_add_nc_u64_e32 v[16:17], 8, v[16:17]
	s_wait_loadcnt 0x0
	v_cmp_neq_f64_e32 vcc_lo, v[24:25], v[28:29]
	v_cmp_eq_f64_e64 s2, v[24:25], v[28:29]
	s_or_b32 s6, vcc_lo, s6
	s_delay_alu instid0(SALU_CYCLE_1) | instskip(NEXT) | instid1(SALU_CYCLE_1)
	s_and_b32 s6, exec_lo, s6
	s_or_b32 s29, s6, s29
	s_and_not1_b32 s28, s28, exec_lo
	s_and_b32 s2, s2, exec_lo
	s_mov_b64 s[6:7], s[30:31]
	s_or_b32 s28, s28, s2
	s_and_not1_b32 exec_lo, exec_lo, s29
	s_cbranch_execnz .LBB807_100
; %bb.101:
	s_or_b32 exec_lo, exec_lo, s29
	v_mul_u64_e32 v[16:17], s[18:19], v[12:13]
	s_mov_b32 s30, 0
	s_mov_b64 s[6:7], s[4:5]
                                        ; implicit-def: $sgpr29
	s_delay_alu instid0(VALU_DEP_1) | instskip(NEXT) | instid1(VALU_DEP_1)
	v_lshl_add_u64 v[16:17], v[16:17], 3, s[8:9]
	v_mov_b64_e32 v[22:23], v[16:17]
.LBB807_102:                            ; =>This Inner Loop Header: Depth=1
	global_load_b64 v[24:25], v[22:23], off
	global_load_b64 v[28:29], v[20:21], off
	s_cmp_eq_u64 s[6:7], 0
	s_add_nc_u64 s[34:35], s[6:7], -1
	s_cselect_b32 s6, -1, 0
	s_wait_xcnt 0x1
	v_add_nc_u64_e32 v[22:23], 8, v[22:23]
	s_wait_xcnt 0x0
	v_add_nc_u64_e32 v[20:21], 8, v[20:21]
	s_wait_loadcnt 0x0
	v_cmp_neq_f64_e32 vcc_lo, v[24:25], v[28:29]
	v_cmp_eq_f64_e64 s2, v[24:25], v[28:29]
	s_or_b32 s6, vcc_lo, s6
	s_delay_alu instid0(SALU_CYCLE_1) | instskip(NEXT) | instid1(SALU_CYCLE_1)
	s_and_b32 s6, exec_lo, s6
	s_or_b32 s30, s6, s30
	s_and_not1_b32 s29, s29, exec_lo
	s_and_b32 s2, s2, exec_lo
	s_mov_b64 s[6:7], s[34:35]
	s_or_b32 s29, s29, s2
	s_and_not1_b32 exec_lo, exec_lo, s30
	s_cbranch_execnz .LBB807_102
; %bb.103:
	s_or_b32 exec_lo, exec_lo, s30
	v_mul_u64_e32 v[20:21], s[18:19], v[10:11]
	s_mov_b32 s7, 0
                                        ; implicit-def: $sgpr6
	s_delay_alu instid0(VALU_DEP_1)
	v_lshl_add_u64 v[20:21], v[20:21], 3, s[8:9]
.LBB807_104:                            ; =>This Inner Loop Header: Depth=1
	global_load_b64 v[22:23], v[20:21], off
	global_load_b64 v[24:25], v[16:17], off
	s_cmp_eq_u64 s[4:5], 0
	s_add_nc_u64 s[30:31], s[4:5], -1
	s_cselect_b32 s4, -1, 0
	s_wait_xcnt 0x1
	v_add_nc_u64_e32 v[20:21], 8, v[20:21]
	s_wait_xcnt 0x0
	v_add_nc_u64_e32 v[16:17], 8, v[16:17]
	s_wait_loadcnt 0x0
	v_cmp_neq_f64_e32 vcc_lo, v[22:23], v[24:25]
	v_cmp_eq_f64_e64 s2, v[22:23], v[24:25]
	s_or_b32 s4, vcc_lo, s4
	s_delay_alu instid0(SALU_CYCLE_1) | instskip(NEXT) | instid1(SALU_CYCLE_1)
	s_and_b32 s4, exec_lo, s4
	s_or_b32 s7, s4, s7
	s_and_not1_b32 s6, s6, exec_lo
	s_and_b32 s2, s2, exec_lo
	s_mov_b64 s[4:5], s[30:31]
	s_or_b32 s6, s6, s2
	s_and_not1_b32 exec_lo, exec_lo, s7
	s_cbranch_execnz .LBB807_104
; %bb.105:
	s_or_b32 exec_lo, exec_lo, s7
	s_xor_b32 s2, s28, -1
	s_delay_alu instid0(SALU_CYCLE_1) | instskip(SKIP_1) | instid1(SALU_CYCLE_1)
	v_cndmask_b32_e64 v16, 0, 1, s2
	s_xor_b32 s2, s29, -1
	v_cndmask_b32_e64 v17, 0, 1, s2
	s_xor_b32 s2, s26, -1
	s_delay_alu instid0(VALU_DEP_2) | instskip(SKIP_2) | instid1(SALU_CYCLE_1)
	v_lshlrev_b16 v16, 8, v16
	v_cndmask_b32_e64 v31, 0, 1, s2
	s_xor_b32 s2, s17, -1
	v_cndmask_b32_e64 v30, 0, 1, s2
	s_delay_alu instid0(VALU_DEP_3) | instskip(SKIP_1) | instid1(VALU_DEP_1)
	v_lshrrev_b32_e32 v16, 8, v16
	s_xor_b32 s2, s27, -1
	v_and_b32_e32 v16, 1, v16
	s_delay_alu instid0(VALU_DEP_1) | instskip(NEXT) | instid1(VALU_DEP_1)
	v_lshlrev_b16 v16, 8, v16
	v_or_b32_e32 v16, v17, v16
	v_cndmask_b32_e64 v17, 0, 1, s2
	s_xor_b32 s2, s6, -1
	s_delay_alu instid0(VALU_DEP_2)
	v_lshlrev_b32_e32 v16, 16, v16
	s_branch .LBB807_108
.LBB807_106:
                                        ; implicit-def: $sgpr2
                                        ; implicit-def: $vgpr30
                                        ; implicit-def: $vgpr31
                                        ; implicit-def: $vgpr17
                                        ; implicit-def: $vgpr21
                                        ; implicit-def: $vgpr33
                                        ; implicit-def: $vgpr32
                                        ; implicit-def: $vgpr20
	s_cbranch_execnz .LBB807_115
	s_branch .LBB807_160
.LBB807_107:
	v_dual_mov_b32 v16, 0 :: v_dual_mov_b32 v30, 0
	v_dual_mov_b32 v31, 0 :: v_dual_mov_b32 v17, 0
	s_mov_b32 s2, 0
.LBB807_108:
	s_delay_alu instid0(VALU_DEP_1)
	v_dual_lshrrev_b32 v32, 16, v16 :: v_dual_lshrrev_b32 v20, 24, v16
	v_cndmask_b32_e64 v33, 0, 1, s2
	v_mov_b32_e32 v16, 1
	s_mov_b32 s6, 0
	s_wait_dscnt 0x0
	s_barrier_signal -1
	s_barrier_wait -1
                                        ; implicit-def: $sgpr2
                                        ; implicit-def: $vgpr21
	s_wait_kmcnt 0x0
	s_mov_b32 s4, exec_lo
	v_cmpx_ne_u32_e32 0, v0
	s_xor_b32 s7, exec_lo, s4
	s_cbranch_execz .LBB807_114
; %bb.109:
	v_lshlrev_b16 v21, 8, v20
	v_lshlrev_b16 v22, 8, v33
	s_and_not1_b32 vcc_lo, exec_lo, s3
	s_mov_b32 s2, 0
	s_delay_alu instid0(VALU_DEP_2) | instskip(NEXT) | instid1(VALU_DEP_1)
	v_bitop3_b16 v21, v32, v21, 0xff bitop3:0xec
	v_dual_lshlrev_b32 v21, 16, v21 :: v_dual_bitop2_b32 v22, 1, v22 bitop3:0x54
	s_delay_alu instid0(VALU_DEP_1) | instskip(NEXT) | instid1(VALU_DEP_1)
	v_and_b32_e32 v22, 0xffff, v22
	v_or_b32_e32 v21, v22, v21
	s_cbranch_vccnz .LBB807_113
; %bb.110:
	v_add_nc_u32_e32 v22, -8, v26
	v_mul_u64_e32 v[24:25], s[18:19], v[10:11]
	s_add_nc_u64 s[4:5], s[18:19], -1
	s_mov_b32 s17, 0
                                        ; implicit-def: $sgpr26
	ds_load_b64 v[22:23], v22
	s_wait_dscnt 0x0
	v_mul_u64_e32 v[22:23], s[18:19], v[22:23]
	v_lshl_add_u64 v[24:25], v[24:25], 3, s[8:9]
	s_delay_alu instid0(VALU_DEP_2)
	v_lshl_add_u64 v[22:23], v[22:23], 3, s[8:9]
.LBB807_111:                            ; =>This Inner Loop Header: Depth=1
	global_load_b64 v[28:29], v[22:23], off
	global_load_b64 v[34:35], v[24:25], off
	s_cmp_eq_u64 s[4:5], 0
	s_add_nc_u64 s[28:29], s[4:5], -1
	s_cselect_b32 s4, -1, 0
	s_wait_xcnt 0x1
	v_add_nc_u64_e32 v[22:23], 8, v[22:23]
	s_wait_xcnt 0x0
	v_add_nc_u64_e32 v[24:25], 8, v[24:25]
	s_wait_loadcnt 0x0
	v_cmp_neq_f64_e32 vcc_lo, v[28:29], v[34:35]
	v_cmp_eq_f64_e64 s2, v[28:29], v[34:35]
	s_or_b32 s4, vcc_lo, s4
	s_delay_alu instid0(SALU_CYCLE_1) | instskip(NEXT) | instid1(SALU_CYCLE_1)
	s_and_b32 s4, exec_lo, s4
	s_or_b32 s17, s4, s17
	s_and_not1_b32 s26, s26, exec_lo
	s_and_b32 s2, s2, exec_lo
	s_mov_b64 s[4:5], s[28:29]
	s_or_b32 s26, s26, s2
	s_and_not1_b32 exec_lo, exec_lo, s17
	s_cbranch_execnz .LBB807_111
; %bb.112:
	s_or_b32 exec_lo, exec_lo, s17
	s_xor_b32 s2, s26, -1
.LBB807_113:
	s_delay_alu instid0(VALU_DEP_1)
	v_perm_b32 v21, v21, v21, 0x3020104
	s_or_b32 s16, s16, exec_lo
.LBB807_114:
	s_or_b32 exec_lo, exec_lo, s7
	s_delay_alu instid0(SALU_CYCLE_1)
	s_and_b32 vcc_lo, exec_lo, s6
	s_cbranch_vccz .LBB807_160
.LBB807_115:
	v_add_nc_u32_e32 v16, 6, v19
	s_mov_b32 s7, 0
	s_mov_b32 s6, 0
	s_mov_b32 s17, exec_lo
	s_delay_alu instid0(VALU_DEP_1)
	v_cmpx_gt_u32_e64 s23, v16
	s_cbranch_execz .LBB807_121
; %bb.116:
	s_and_not1_b32 vcc_lo, exec_lo, s3
	s_mov_b32 s2, 0
	s_cbranch_vccnz .LBB807_120
; %bb.117:
	v_mul_u64_e32 v[16:17], s[18:19], v[4:5]
	v_mul_u64_e32 v[20:21], s[18:19], v[14:15]
	s_wait_kmcnt 0x0
	s_add_nc_u64 s[4:5], s[18:19], -1
                                        ; implicit-def: $sgpr26
	s_delay_alu instid0(VALU_DEP_2) | instskip(NEXT) | instid1(VALU_DEP_2)
	v_lshl_add_u64 v[16:17], v[16:17], 3, s[8:9]
	v_lshl_add_u64 v[20:21], v[20:21], 3, s[8:9]
.LBB807_118:                            ; =>This Inner Loop Header: Depth=1
	global_load_b64 v[22:23], v[16:17], off
	global_load_b64 v[24:25], v[20:21], off
	s_cmp_eq_u64 s[4:5], 0
	s_add_nc_u64 s[28:29], s[4:5], -1
	s_cselect_b32 s4, -1, 0
	s_wait_xcnt 0x1
	v_add_nc_u64_e32 v[16:17], 8, v[16:17]
	s_wait_xcnt 0x0
	v_add_nc_u64_e32 v[20:21], 8, v[20:21]
	s_wait_loadcnt 0x0
	v_cmp_neq_f64_e32 vcc_lo, v[22:23], v[24:25]
	v_cmp_eq_f64_e64 s2, v[22:23], v[24:25]
	s_or_b32 s4, vcc_lo, s4
	s_delay_alu instid0(SALU_CYCLE_1) | instskip(NEXT) | instid1(SALU_CYCLE_1)
	s_and_b32 s4, exec_lo, s4
	s_or_b32 s6, s4, s6
	s_and_not1_b32 s26, s26, exec_lo
	s_and_b32 s2, s2, exec_lo
	s_mov_b64 s[4:5], s[28:29]
	s_or_b32 s26, s26, s2
	s_and_not1_b32 exec_lo, exec_lo, s6
	s_cbranch_execnz .LBB807_118
; %bb.119:
	s_or_b32 exec_lo, exec_lo, s6
	s_xor_b32 s2, s26, -1
.LBB807_120:
	s_delay_alu instid0(SALU_CYCLE_1)
	s_and_b32 s6, s2, exec_lo
.LBB807_121:
	s_or_b32 exec_lo, exec_lo, s17
	v_add_nc_u32_e32 v16, 5, v19
	s_mov_b32 s17, exec_lo
	s_delay_alu instid0(VALU_DEP_1)
	v_cmpx_gt_u32_e64 s23, v16
	s_cbranch_execz .LBB807_127
; %bb.122:
	s_and_not1_b32 vcc_lo, exec_lo, s3
	s_mov_b32 s2, 0
	s_cbranch_vccnz .LBB807_126
; %bb.123:
	v_mul_u64_e32 v[16:17], s[18:19], v[2:3]
	v_mul_u64_e32 v[20:21], s[18:19], v[4:5]
	s_wait_kmcnt 0x0
	s_add_nc_u64 s[4:5], s[18:19], -1
	s_mov_b32 s7, 0
                                        ; implicit-def: $sgpr26
	s_delay_alu instid0(VALU_DEP_2) | instskip(NEXT) | instid1(VALU_DEP_2)
	v_lshl_add_u64 v[16:17], v[16:17], 3, s[8:9]
	v_lshl_add_u64 v[20:21], v[20:21], 3, s[8:9]
.LBB807_124:                            ; =>This Inner Loop Header: Depth=1
	global_load_b64 v[22:23], v[16:17], off
	global_load_b64 v[24:25], v[20:21], off
	s_cmp_eq_u64 s[4:5], 0
	s_add_nc_u64 s[28:29], s[4:5], -1
	s_cselect_b32 s4, -1, 0
	s_wait_xcnt 0x1
	v_add_nc_u64_e32 v[16:17], 8, v[16:17]
	s_wait_xcnt 0x0
	v_add_nc_u64_e32 v[20:21], 8, v[20:21]
	s_wait_loadcnt 0x0
	v_cmp_neq_f64_e32 vcc_lo, v[22:23], v[24:25]
	v_cmp_eq_f64_e64 s2, v[22:23], v[24:25]
	s_or_b32 s4, vcc_lo, s4
	s_delay_alu instid0(SALU_CYCLE_1) | instskip(NEXT) | instid1(SALU_CYCLE_1)
	s_and_b32 s4, exec_lo, s4
	s_or_b32 s7, s4, s7
	s_and_not1_b32 s26, s26, exec_lo
	s_and_b32 s2, s2, exec_lo
	s_mov_b64 s[4:5], s[28:29]
	s_or_b32 s26, s26, s2
	s_and_not1_b32 exec_lo, exec_lo, s7
	s_cbranch_execnz .LBB807_124
; %bb.125:
	s_or_b32 exec_lo, exec_lo, s7
	s_xor_b32 s2, s26, -1
.LBB807_126:
	s_delay_alu instid0(SALU_CYCLE_1)
	s_and_b32 s7, s2, exec_lo
.LBB807_127:
	s_or_b32 exec_lo, exec_lo, s17
	v_add_nc_u32_e32 v16, 4, v19
	s_mov_b32 s17, 0
	s_mov_b32 s26, 0
	s_mov_b32 s27, exec_lo
	s_delay_alu instid0(VALU_DEP_1)
	v_cmpx_gt_u32_e64 s23, v16
	s_cbranch_execz .LBB807_133
; %bb.128:
	s_and_not1_b32 vcc_lo, exec_lo, s3
	s_mov_b32 s2, 0
	s_cbranch_vccnz .LBB807_132
; %bb.129:
	v_mul_u64_e32 v[16:17], s[18:19], v[8:9]
	v_mul_u64_e32 v[20:21], s[18:19], v[2:3]
	s_wait_kmcnt 0x0
	s_add_nc_u64 s[4:5], s[18:19], -1
                                        ; implicit-def: $sgpr28
	s_delay_alu instid0(VALU_DEP_2) | instskip(NEXT) | instid1(VALU_DEP_2)
	v_lshl_add_u64 v[16:17], v[16:17], 3, s[8:9]
	v_lshl_add_u64 v[20:21], v[20:21], 3, s[8:9]
.LBB807_130:                            ; =>This Inner Loop Header: Depth=1
	global_load_b64 v[22:23], v[16:17], off
	global_load_b64 v[24:25], v[20:21], off
	s_cmp_eq_u64 s[4:5], 0
	s_add_nc_u64 s[30:31], s[4:5], -1
	s_cselect_b32 s4, -1, 0
	s_wait_xcnt 0x1
	v_add_nc_u64_e32 v[16:17], 8, v[16:17]
	s_wait_xcnt 0x0
	v_add_nc_u64_e32 v[20:21], 8, v[20:21]
	s_wait_loadcnt 0x0
	v_cmp_neq_f64_e32 vcc_lo, v[22:23], v[24:25]
	v_cmp_eq_f64_e64 s2, v[22:23], v[24:25]
	s_or_b32 s4, vcc_lo, s4
	s_delay_alu instid0(SALU_CYCLE_1) | instskip(NEXT) | instid1(SALU_CYCLE_1)
	s_and_b32 s4, exec_lo, s4
	s_or_b32 s26, s4, s26
	s_and_not1_b32 s28, s28, exec_lo
	s_and_b32 s2, s2, exec_lo
	s_mov_b64 s[4:5], s[30:31]
	s_or_b32 s28, s28, s2
	s_and_not1_b32 exec_lo, exec_lo, s26
	s_cbranch_execnz .LBB807_130
; %bb.131:
	s_or_b32 exec_lo, exec_lo, s26
	s_xor_b32 s2, s28, -1
.LBB807_132:
	s_delay_alu instid0(SALU_CYCLE_1)
	s_and_b32 s26, s2, exec_lo
.LBB807_133:
	s_or_b32 exec_lo, exec_lo, s27
	v_add_nc_u32_e32 v16, 3, v19
	s_mov_b32 s27, exec_lo
	s_delay_alu instid0(VALU_DEP_1)
	v_cmpx_gt_u32_e64 s23, v16
	s_cbranch_execz .LBB807_139
; %bb.134:
	s_and_not1_b32 vcc_lo, exec_lo, s3
	s_mov_b32 s2, 0
	s_cbranch_vccnz .LBB807_138
; %bb.135:
	v_mul_u64_e32 v[16:17], s[18:19], v[6:7]
	v_mul_u64_e32 v[20:21], s[18:19], v[8:9]
	s_wait_kmcnt 0x0
	s_add_nc_u64 s[4:5], s[18:19], -1
	s_mov_b32 s17, 0
                                        ; implicit-def: $sgpr28
	s_delay_alu instid0(VALU_DEP_2) | instskip(NEXT) | instid1(VALU_DEP_2)
	v_lshl_add_u64 v[16:17], v[16:17], 3, s[8:9]
	v_lshl_add_u64 v[20:21], v[20:21], 3, s[8:9]
.LBB807_136:                            ; =>This Inner Loop Header: Depth=1
	global_load_b64 v[22:23], v[16:17], off
	global_load_b64 v[24:25], v[20:21], off
	s_cmp_eq_u64 s[4:5], 0
	s_add_nc_u64 s[30:31], s[4:5], -1
	s_cselect_b32 s4, -1, 0
	s_wait_xcnt 0x1
	v_add_nc_u64_e32 v[16:17], 8, v[16:17]
	s_wait_xcnt 0x0
	v_add_nc_u64_e32 v[20:21], 8, v[20:21]
	s_wait_loadcnt 0x0
	v_cmp_neq_f64_e32 vcc_lo, v[22:23], v[24:25]
	v_cmp_eq_f64_e64 s2, v[22:23], v[24:25]
	s_or_b32 s4, vcc_lo, s4
	s_delay_alu instid0(SALU_CYCLE_1) | instskip(NEXT) | instid1(SALU_CYCLE_1)
	s_and_b32 s4, exec_lo, s4
	s_or_b32 s17, s4, s17
	s_and_not1_b32 s28, s28, exec_lo
	s_and_b32 s2, s2, exec_lo
	s_mov_b64 s[4:5], s[30:31]
	s_or_b32 s28, s28, s2
	s_and_not1_b32 exec_lo, exec_lo, s17
	s_cbranch_execnz .LBB807_136
; %bb.137:
	s_or_b32 exec_lo, exec_lo, s17
	s_xor_b32 s2, s28, -1
.LBB807_138:
	s_delay_alu instid0(SALU_CYCLE_1)
	s_and_b32 s17, s2, exec_lo
.LBB807_139:
	s_or_b32 exec_lo, exec_lo, s27
	v_add_nc_u32_e32 v16, 2, v19
	s_mov_b32 s27, 0
	s_mov_b32 s28, 0
	s_mov_b32 s29, exec_lo
	s_delay_alu instid0(VALU_DEP_1)
	v_cmpx_gt_u32_e64 s23, v16
	s_cbranch_execz .LBB807_145
; %bb.140:
	s_and_not1_b32 vcc_lo, exec_lo, s3
	s_mov_b32 s2, 0
	s_cbranch_vccnz .LBB807_144
; %bb.141:
	v_mul_u64_e32 v[16:17], s[18:19], v[12:13]
	v_mul_u64_e32 v[20:21], s[18:19], v[6:7]
	s_wait_kmcnt 0x0
	s_add_nc_u64 s[4:5], s[18:19], -1
                                        ; implicit-def: $sgpr30
	s_delay_alu instid0(VALU_DEP_2) | instskip(NEXT) | instid1(VALU_DEP_2)
	v_lshl_add_u64 v[16:17], v[16:17], 3, s[8:9]
	v_lshl_add_u64 v[20:21], v[20:21], 3, s[8:9]
.LBB807_142:                            ; =>This Inner Loop Header: Depth=1
	global_load_b64 v[22:23], v[16:17], off
	global_load_b64 v[24:25], v[20:21], off
	s_cmp_eq_u64 s[4:5], 0
	s_add_nc_u64 s[34:35], s[4:5], -1
	s_cselect_b32 s4, -1, 0
	s_wait_xcnt 0x1
	v_add_nc_u64_e32 v[16:17], 8, v[16:17]
	s_wait_xcnt 0x0
	v_add_nc_u64_e32 v[20:21], 8, v[20:21]
	s_wait_loadcnt 0x0
	v_cmp_neq_f64_e32 vcc_lo, v[22:23], v[24:25]
	v_cmp_eq_f64_e64 s2, v[22:23], v[24:25]
	s_or_b32 s4, vcc_lo, s4
	s_delay_alu instid0(SALU_CYCLE_1) | instskip(NEXT) | instid1(SALU_CYCLE_1)
	s_and_b32 s4, exec_lo, s4
	s_or_b32 s28, s4, s28
	s_and_not1_b32 s30, s30, exec_lo
	s_and_b32 s2, s2, exec_lo
	s_mov_b64 s[4:5], s[34:35]
	s_or_b32 s30, s30, s2
	s_and_not1_b32 exec_lo, exec_lo, s28
	s_cbranch_execnz .LBB807_142
; %bb.143:
	s_or_b32 exec_lo, exec_lo, s28
	s_xor_b32 s2, s30, -1
.LBB807_144:
	s_delay_alu instid0(SALU_CYCLE_1)
	s_and_b32 s28, s2, exec_lo
.LBB807_145:
	s_or_b32 exec_lo, exec_lo, s29
	v_add_nc_u32_e32 v16, 1, v19
	s_mov_b32 s29, exec_lo
	s_delay_alu instid0(VALU_DEP_1)
	v_cmpx_gt_u32_e64 s23, v16
	s_cbranch_execz .LBB807_151
; %bb.146:
	s_and_not1_b32 vcc_lo, exec_lo, s3
	s_mov_b32 s2, 0
	s_cbranch_vccnz .LBB807_150
; %bb.147:
	v_mul_u64_e32 v[16:17], s[18:19], v[10:11]
	v_mul_u64_e32 v[20:21], s[18:19], v[12:13]
	s_wait_kmcnt 0x0
	s_add_nc_u64 s[4:5], s[18:19], -1
	s_mov_b32 s27, 0
                                        ; implicit-def: $sgpr30
	s_delay_alu instid0(VALU_DEP_2) | instskip(NEXT) | instid1(VALU_DEP_2)
	v_lshl_add_u64 v[16:17], v[16:17], 3, s[8:9]
	v_lshl_add_u64 v[20:21], v[20:21], 3, s[8:9]
.LBB807_148:                            ; =>This Inner Loop Header: Depth=1
	global_load_b64 v[22:23], v[16:17], off
	global_load_b64 v[24:25], v[20:21], off
	s_cmp_eq_u64 s[4:5], 0
	s_add_nc_u64 s[34:35], s[4:5], -1
	s_cselect_b32 s4, -1, 0
	s_wait_xcnt 0x1
	v_add_nc_u64_e32 v[16:17], 8, v[16:17]
	s_wait_xcnt 0x0
	v_add_nc_u64_e32 v[20:21], 8, v[20:21]
	s_wait_loadcnt 0x0
	v_cmp_neq_f64_e32 vcc_lo, v[22:23], v[24:25]
	v_cmp_eq_f64_e64 s2, v[22:23], v[24:25]
	s_or_b32 s4, vcc_lo, s4
	s_delay_alu instid0(SALU_CYCLE_1) | instskip(NEXT) | instid1(SALU_CYCLE_1)
	s_and_b32 s4, exec_lo, s4
	s_or_b32 s27, s4, s27
	s_and_not1_b32 s30, s30, exec_lo
	s_and_b32 s2, s2, exec_lo
	s_mov_b64 s[4:5], s[34:35]
	s_or_b32 s30, s30, s2
	s_and_not1_b32 exec_lo, exec_lo, s27
	s_cbranch_execnz .LBB807_148
; %bb.149:
	s_or_b32 exec_lo, exec_lo, s27
	s_xor_b32 s2, s30, -1
.LBB807_150:
	s_delay_alu instid0(SALU_CYCLE_1)
	s_and_b32 s27, s2, exec_lo
.LBB807_151:
	s_or_b32 exec_lo, exec_lo, s29
	v_cndmask_b32_e64 v17, 0, 1, s26
	v_cndmask_b32_e64 v31, 0, 1, s7
	;; [unrolled: 1-line block ×6, first 2 shown]
	v_mov_b32_e32 v16, 1
	s_mov_b32 s2, 0
	s_mov_b32 s6, exec_lo
	s_wait_dscnt 0x0
	s_barrier_signal -1
	s_barrier_wait -1
                                        ; implicit-def: $vgpr21
	v_cmpx_ne_u32_e32 0, v0
	s_cbranch_execz .LBB807_159
; %bb.152:
	v_lshlrev_b16 v21, 8, v33
	v_lshlrev_b16 v22, 8, v20
	s_mov_b32 s7, exec_lo
	s_delay_alu instid0(VALU_DEP_1) | instskip(NEXT) | instid1(VALU_DEP_1)
	v_or_b32_e32 v22, v32, v22
	v_dual_lshlrev_b32 v22, 16, v22 :: v_dual_bitop2_b32 v21, 1, v21 bitop3:0x54
	s_delay_alu instid0(VALU_DEP_1) | instskip(NEXT) | instid1(VALU_DEP_1)
	v_and_b32_e32 v21, 0xffff, v21
	v_or_b32_e32 v21, v21, v22
	v_cmpx_gt_u32_e64 s23, v19
	s_cbranch_execz .LBB807_158
; %bb.153:
	s_and_not1_b32 vcc_lo, exec_lo, s3
	s_cbranch_vccnz .LBB807_157
; %bb.154:
	v_add_nc_u32_e32 v22, -8, v26
	v_mul_u64_e32 v[24:25], s[18:19], v[10:11]
	s_wait_kmcnt 0x0
	s_add_nc_u64 s[4:5], s[18:19], -1
	s_mov_b32 s3, 0
	ds_load_b64 v[22:23], v22
	s_wait_dscnt 0x0
	v_mul_u64_e32 v[22:23], s[18:19], v[22:23]
	v_lshl_add_u64 v[24:25], v[24:25], 3, s[8:9]
	s_delay_alu instid0(VALU_DEP_2)
	v_lshl_add_u64 v[22:23], v[22:23], 3, s[8:9]
                                        ; implicit-def: $sgpr8
.LBB807_155:                            ; =>This Inner Loop Header: Depth=1
	global_load_b64 v[26:27], v[22:23], off
	global_load_b64 v[28:29], v[24:25], off
	s_cmp_eq_u64 s[4:5], 0
	s_add_nc_u64 s[18:19], s[4:5], -1
	s_cselect_b32 s4, -1, 0
	s_wait_xcnt 0x1
	v_add_nc_u64_e32 v[22:23], 8, v[22:23]
	s_wait_xcnt 0x0
	v_add_nc_u64_e32 v[24:25], 8, v[24:25]
	s_wait_loadcnt 0x0
	v_cmp_neq_f64_e32 vcc_lo, v[26:27], v[28:29]
	v_cmp_eq_f64_e64 s2, v[26:27], v[28:29]
	s_or_b32 s4, vcc_lo, s4
	s_delay_alu instid0(SALU_CYCLE_1) | instskip(NEXT) | instid1(SALU_CYCLE_1)
	s_and_b32 s4, exec_lo, s4
	s_or_b32 s3, s4, s3
	s_and_not1_b32 s8, s8, exec_lo
	s_and_b32 s2, s2, exec_lo
	s_mov_b64 s[4:5], s[18:19]
	s_or_b32 s8, s8, s2
	s_and_not1_b32 exec_lo, exec_lo, s3
	s_cbranch_execnz .LBB807_155
; %bb.156:
	s_or_b32 exec_lo, exec_lo, s3
	s_xor_b32 s2, s8, -1
.LBB807_157:
	s_delay_alu instid0(SALU_CYCLE_1)
	s_and_b32 s2, s2, exec_lo
.LBB807_158:
	s_or_b32 exec_lo, exec_lo, s7
	s_delay_alu instid0(VALU_DEP_2)
	v_perm_b32 v21, v21, v21, 0x3020104
	s_or_b32 s16, s16, exec_lo
.LBB807_159:
	s_or_b32 exec_lo, exec_lo, s6
.LBB807_160:
	s_and_saveexec_b32 s3, s16
; %bb.161:
	s_delay_alu instid0(VALU_DEP_1)
	v_dual_lshrrev_b32 v20, 24, v21 :: v_dual_lshrrev_b32 v32, 16, v21
	v_lshrrev_b32_e32 v33, 8, v21
	v_cndmask_b32_e64 v16, 0, 1, s2
; %bb.162:
	s_or_b32 exec_lo, exec_lo, s3
	s_delay_alu instid0(SALU_CYCLE_1)
	s_and_not1_b32 vcc_lo, exec_lo, s24
	s_cbranch_vccnz .LBB807_166
; %bb.163:
	s_delay_alu instid0(VALU_DEP_1)
	v_perm_b32 v16, v16, v33, 0xc0c0004
	v_perm_b32 v20, v32, v20, 0xc0c0004
	v_cmp_gt_u32_e32 vcc_lo, s23, v19
	v_and_b32_e32 v22, 0xff, v30
	v_perm_b32 v17, v17, v31, 0xc0c0004
	v_add_nc_u32_e32 v21, 1, v19
	v_lshl_or_b32 v16, v20, 16, v16
	s_delay_alu instid0(VALU_DEP_1) | instskip(NEXT) | instid1(VALU_DEP_3)
	v_dual_cndmask_b32 v20, 0, v16 :: v_dual_add_nc_u32 v23, 4, v19
	v_cmp_gt_u32_e32 vcc_lo, s23, v21
	v_dual_lshlrev_b32 v21, 16, v22 :: v_dual_add_nc_u32 v22, 2, v19
	s_delay_alu instid0(VALU_DEP_3) | instskip(NEXT) | instid1(VALU_DEP_1)
	v_and_b32_e32 v20, 0xff, v20
	v_cndmask_b32_e32 v20, v20, v16, vcc_lo
	s_delay_alu instid0(VALU_DEP_3) | instskip(NEXT) | instid1(VALU_DEP_2)
	v_cmp_gt_u32_e32 vcc_lo, s23, v22
	v_and_b32_e32 v20, 0xffff, v20
	v_or_b32_e32 v24, v17, v21
	v_bitop3_b32 v17, v17, 0xffff00, v21 bitop3:0xc8
	s_delay_alu instid0(VALU_DEP_3) | instskip(SKIP_1) | instid1(VALU_DEP_2)
	v_dual_cndmask_b32 v20, v20, v16 :: v_dual_add_nc_u32 v21, 5, v19
	v_cmp_gt_u32_e32 vcc_lo, s23, v23
	v_cmp_gt_u32_e64 s2, s23, v21
	s_delay_alu instid0(VALU_DEP_3) | instskip(SKIP_3) | instid1(VALU_DEP_2)
	v_and_b32_e32 v20, 0xffffff, v20
	v_dual_cndmask_b32 v17, v17, v24 :: v_dual_add_nc_u32 v22, 3, v19
	s_or_b32 vcc_lo, s2, vcc_lo
	v_add_nc_u32_e32 v19, 6, v19
	v_cmp_gt_u32_e64 s3, s23, v22
	s_delay_alu instid0(VALU_DEP_3) | instskip(NEXT) | instid1(VALU_DEP_2)
	v_and_b32_e32 v17, 0xffff00ff, v17
	v_cndmask_b32_e64 v20, v20, v16, s3
	s_delay_alu instid0(VALU_DEP_2) | instskip(SKIP_1) | instid1(VALU_DEP_1)
	v_cndmask_b32_e64 v17, v17, v24, s2
	s_mov_b32 s2, exec_lo
	v_dual_cndmask_b32 v16, v20, v16, vcc_lo :: v_dual_lshrrev_b32 v30, 16, v17
	v_lshrrev_b32_e32 v31, 8, v17
	s_delay_alu instid0(VALU_DEP_2)
	v_lshrrev_b64 v[20:21], 24, v[16:17]
	v_dual_lshrrev_b32 v32, 16, v16 :: v_dual_lshrrev_b32 v33, 8, v16
	v_cmpx_le_u32_e64 s23, v19
; %bb.164:
	v_mov_b32_e32 v30, 0
; %bb.165:
	s_or_b32 exec_lo, exec_lo, s2
.LBB807_166:
	s_delay_alu instid0(VALU_DEP_1)
	v_and_b32_e32 v19, 0xff, v16
	v_and_b32_e32 v21, 0xff, v33
	;; [unrolled: 1-line block ×5, first 2 shown]
	v_mbcnt_lo_u32_b32 v38, -1, 0
	v_and_b32_e32 v37, 0xff, v31
	v_add3_u32 v22, v21, v19, v34
	v_and_b32_e32 v23, 0xff, v30
	s_delay_alu instid0(VALU_DEP_4) | instskip(SKIP_1) | instid1(VALU_DEP_3)
	v_dual_lshrrev_b32 v39, 5, v0 :: v_dual_bitop2_b32 v24, 15, v38 bitop3:0x40
	s_and_b32 vcc_lo, exec_lo, s25
	v_add3_u32 v22, v22, v35, v36
	s_mov_b32 s8, -1
	s_wait_dscnt 0x0
	v_cmp_eq_u32_e64 s2, 0, v24
	s_wait_kmcnt 0x0
	v_cmp_lt_u32_e64 s4, 1, v24
	v_add3_u32 v40, v22, v37, v23
	v_and_b32_e32 v22, 16, v38
	v_or_b32_e32 v23, 31, v0
	v_cmp_lt_u32_e64 s5, 3, v24
	v_cmp_lt_u32_e64 s3, 7, v24
	s_barrier_signal -1
	v_cmp_eq_u32_e64 s7, 0, v22
	v_cmp_eq_u32_e64 s6, v0, v23
	s_barrier_wait -1
                                        ; implicit-def: $vgpr25
                                        ; implicit-def: $vgpr26
                                        ; implicit-def: $vgpr27
                                        ; implicit-def: $vgpr28
                                        ; implicit-def: $vgpr29
                                        ; implicit-def: $vgpr41
                                        ; implicit-def: $vgpr42
                                        ; implicit-def: $vgpr24
                                        ; implicit-def: $vgpr22
	s_cbranch_vccz .LBB807_193
; %bb.167:
	v_mov_b32_dpp v22, v40 row_shr:1 row_mask:0xf bank_mask:0xf
	s_delay_alu instid0(VALU_DEP_1) | instskip(NEXT) | instid1(VALU_DEP_1)
	v_cndmask_b32_e64 v22, v22, 0, s2
	v_add_nc_u32_e32 v22, v22, v40
	s_delay_alu instid0(VALU_DEP_1) | instskip(NEXT) | instid1(VALU_DEP_1)
	v_mov_b32_dpp v23, v22 row_shr:2 row_mask:0xf bank_mask:0xf
	v_cndmask_b32_e64 v23, 0, v23, s4
	s_delay_alu instid0(VALU_DEP_1) | instskip(NEXT) | instid1(VALU_DEP_1)
	v_add_nc_u32_e32 v22, v22, v23
	v_mov_b32_dpp v23, v22 row_shr:4 row_mask:0xf bank_mask:0xf
	s_delay_alu instid0(VALU_DEP_1) | instskip(NEXT) | instid1(VALU_DEP_1)
	v_cndmask_b32_e64 v23, 0, v23, s5
	v_add_nc_u32_e32 v22, v22, v23
	s_delay_alu instid0(VALU_DEP_1) | instskip(NEXT) | instid1(VALU_DEP_1)
	v_mov_b32_dpp v23, v22 row_shr:8 row_mask:0xf bank_mask:0xf
	v_cndmask_b32_e64 v23, 0, v23, s3
	s_delay_alu instid0(VALU_DEP_1) | instskip(SKIP_3) | instid1(VALU_DEP_1)
	v_add_nc_u32_e32 v22, v22, v23
	ds_swizzle_b32 v23, v22 offset:swizzle(BROADCAST,32,15)
	s_wait_dscnt 0x0
	v_cndmask_b32_e64 v23, v23, 0, s7
	v_add_nc_u32_e32 v22, v22, v23
	s_and_saveexec_b32 s8, s6
; %bb.168:
	v_lshlrev_b32_e32 v23, 2, v39
	ds_store_b32 v23, v22
; %bb.169:
	s_or_b32 exec_lo, exec_lo, s8
	s_delay_alu instid0(SALU_CYCLE_1)
	s_mov_b32 s8, exec_lo
	s_wait_dscnt 0x0
	s_barrier_signal -1
	s_barrier_wait -1
	v_cmpx_gt_u32_e32 16, v0
	s_cbranch_execz .LBB807_171
; %bb.170:
	v_lshlrev_b32_e32 v23, 2, v0
	ds_load_b32 v24, v23
	s_wait_dscnt 0x0
	v_mov_b32_dpp v25, v24 row_shr:1 row_mask:0xf bank_mask:0xf
	s_delay_alu instid0(VALU_DEP_1) | instskip(NEXT) | instid1(VALU_DEP_1)
	v_cndmask_b32_e64 v25, v25, 0, s2
	v_add_nc_u32_e32 v24, v25, v24
	s_delay_alu instid0(VALU_DEP_1) | instskip(NEXT) | instid1(VALU_DEP_1)
	v_mov_b32_dpp v25, v24 row_shr:2 row_mask:0xf bank_mask:0xf
	v_cndmask_b32_e64 v25, 0, v25, s4
	s_delay_alu instid0(VALU_DEP_1) | instskip(NEXT) | instid1(VALU_DEP_1)
	v_add_nc_u32_e32 v24, v24, v25
	v_mov_b32_dpp v25, v24 row_shr:4 row_mask:0xf bank_mask:0xf
	s_delay_alu instid0(VALU_DEP_1) | instskip(NEXT) | instid1(VALU_DEP_1)
	v_cndmask_b32_e64 v25, 0, v25, s5
	v_add_nc_u32_e32 v24, v24, v25
	s_delay_alu instid0(VALU_DEP_1) | instskip(NEXT) | instid1(VALU_DEP_1)
	v_mov_b32_dpp v25, v24 row_shr:8 row_mask:0xf bank_mask:0xf
	v_cndmask_b32_e64 v25, 0, v25, s3
	s_delay_alu instid0(VALU_DEP_1)
	v_add_nc_u32_e32 v24, v24, v25
	ds_store_b32 v23, v24
.LBB807_171:
	s_or_b32 exec_lo, exec_lo, s8
	s_delay_alu instid0(SALU_CYCLE_1)
	s_mov_b32 s9, exec_lo
	v_cmp_gt_u32_e32 vcc_lo, 32, v0
	s_wait_dscnt 0x0
	s_barrier_signal -1
	s_barrier_wait -1
                                        ; implicit-def: $vgpr41
	v_cmpx_lt_u32_e32 31, v0
	s_cbranch_execz .LBB807_173
; %bb.172:
	v_lshl_add_u32 v23, v39, 2, -4
	ds_load_b32 v41, v23
	s_wait_dscnt 0x0
	v_add_nc_u32_e32 v22, v41, v22
.LBB807_173:
	s_or_b32 exec_lo, exec_lo, s9
	v_sub_co_u32 v23, s8, v38, 1
	s_delay_alu instid0(VALU_DEP_1) | instskip(NEXT) | instid1(VALU_DEP_1)
	v_cmp_gt_i32_e64 s9, 0, v23
	v_cndmask_b32_e64 v23, v23, v38, s9
	s_delay_alu instid0(VALU_DEP_1)
	v_lshlrev_b32_e32 v23, 2, v23
	ds_bpermute_b32 v42, v23, v22
	s_and_saveexec_b32 s9, vcc_lo
	s_cbranch_execz .LBB807_192
; %bb.174:
	v_mov_b32_e32 v29, 0
	ds_load_b32 v22, v29 offset:60
	s_and_saveexec_b32 s16, s8
	s_cbranch_execz .LBB807_176
; %bb.175:
	s_add_co_i32 s17, s22, 32
	s_delay_alu instid0(SALU_CYCLE_1)
	v_dual_mov_b32 v23, 1 :: v_dual_mov_b32 v24, s17
	s_wait_dscnt 0x0
	global_store_b64 v24, v[22:23], s[10:11] scale_offset scope:SCOPE_DEV
.LBB807_176:
	s_wait_xcnt 0x0
	s_or_b32 exec_lo, exec_lo, s16
	v_xad_u32 v24, v38, -1, s22
	s_mov_b32 s17, 0
	s_mov_b32 s16, exec_lo
	s_delay_alu instid0(VALU_DEP_1) | instskip(SKIP_4) | instid1(VALU_DEP_1)
	v_add_nc_u32_e32 v28, 32, v24
	global_load_b64 v[26:27], v28, s[10:11] scale_offset scope:SCOPE_DEV
	s_wait_loadcnt 0x0
	v_and_b32_e32 v23, 0xff, v27
	s_wait_xcnt 0x0
	v_cmpx_eq_u16_e32 0, v23
	s_cbranch_execz .LBB807_180
; %bb.177:
	v_lshl_add_u64 v[28:29], v[28:29], 3, s[10:11]
.LBB807_178:                            ; =>This Inner Loop Header: Depth=1
	global_load_b64 v[26:27], v[28:29], off scope:SCOPE_DEV
	s_wait_loadcnt 0x0
	v_and_b32_e32 v23, 0xff, v27
	s_delay_alu instid0(VALU_DEP_1)
	v_cmp_ne_u16_e32 vcc_lo, 0, v23
	s_or_b32 s17, vcc_lo, s17
	s_wait_xcnt 0x0
	s_and_not1_b32 exec_lo, exec_lo, s17
	s_cbranch_execnz .LBB807_178
; %bb.179:
	s_or_b32 exec_lo, exec_lo, s17
.LBB807_180:
	s_delay_alu instid0(SALU_CYCLE_1)
	s_or_b32 exec_lo, exec_lo, s16
	v_cmp_ne_u32_e32 vcc_lo, 31, v38
	v_lshlrev_b32_e64 v44, v38, -1
	v_dual_add_nc_u32 v46, 2, v38 :: v_dual_add_nc_u32 v48, 4, v38
	v_dual_add_nc_u32 v50, 8, v38 :: v_dual_add_nc_u32 v52, 16, v38
	v_add_co_ci_u32_e64 v23, null, 0, v38, vcc_lo
	v_lshl_or_b32 v51, v38, 2, 64
	s_delay_alu instid0(VALU_DEP_2)
	v_lshlrev_b32_e32 v43, 2, v23
	v_and_b32_e32 v23, 0xff, v27
	ds_bpermute_b32 v25, v43, v26
	v_cmp_eq_u16_e32 vcc_lo, 2, v23
	v_and_or_b32 v23, vcc_lo, v44, 0x80000000
	v_cmp_gt_u32_e32 vcc_lo, 30, v38
	s_delay_alu instid0(VALU_DEP_2) | instskip(SKIP_1) | instid1(VALU_DEP_2)
	v_ctz_i32_b32_e32 v23, v23
	v_cndmask_b32_e64 v28, 0, 2, vcc_lo
	v_cmp_lt_u32_e32 vcc_lo, v38, v23
	s_delay_alu instid0(VALU_DEP_2)
	v_add_lshl_u32 v45, v28, v38, 2
	s_wait_dscnt 0x0
	v_cndmask_b32_e32 v25, 0, v25, vcc_lo
	v_cmp_gt_u32_e32 vcc_lo, 28, v38
	v_cndmask_b32_e64 v28, 0, 4, vcc_lo
	v_cmp_le_u32_e32 vcc_lo, v46, v23
	s_delay_alu instid0(VALU_DEP_4) | instskip(NEXT) | instid1(VALU_DEP_3)
	v_add_nc_u32_e32 v25, v25, v26
	v_add_lshl_u32 v47, v28, v38, 2
	ds_bpermute_b32 v26, v45, v25
	s_wait_dscnt 0x0
	v_cndmask_b32_e32 v26, 0, v26, vcc_lo
	v_cmp_gt_u32_e32 vcc_lo, 24, v38
	v_cndmask_b32_e64 v28, 0, 8, vcc_lo
	v_cmp_le_u32_e32 vcc_lo, v48, v23
	s_delay_alu instid0(VALU_DEP_4) | instskip(NEXT) | instid1(VALU_DEP_3)
	v_add_nc_u32_e32 v25, v25, v26
	v_add_lshl_u32 v49, v28, v38, 2
	ds_bpermute_b32 v26, v47, v25
	s_wait_dscnt 0x0
	v_cndmask_b32_e32 v26, 0, v26, vcc_lo
	v_cmp_le_u32_e32 vcc_lo, v50, v23
	s_delay_alu instid0(VALU_DEP_2) | instskip(SKIP_4) | instid1(VALU_DEP_2)
	v_add_nc_u32_e32 v25, v25, v26
	ds_bpermute_b32 v26, v49, v25
	s_wait_dscnt 0x0
	v_cndmask_b32_e32 v26, 0, v26, vcc_lo
	v_cmp_le_u32_e32 vcc_lo, v52, v23
	v_add_nc_u32_e32 v25, v25, v26
	ds_bpermute_b32 v26, v51, v25
	s_wait_dscnt 0x0
	v_cndmask_b32_e32 v23, 0, v26, vcc_lo
	s_delay_alu instid0(VALU_DEP_1)
	v_dual_mov_b32 v25, 0 :: v_dual_add_nc_u32 v26, v25, v23
	s_branch .LBB807_183
.LBB807_181:                            ;   in Loop: Header=BB807_183 Depth=1
	s_or_b32 exec_lo, exec_lo, s16
	v_and_b32_e32 v28, 0xff, v27
	ds_bpermute_b32 v29, v43, v26
	v_subrev_nc_u32_e32 v24, 32, v24
	s_mov_b32 s16, 0
	v_cmp_eq_u16_e32 vcc_lo, 2, v28
	v_and_or_b32 v28, vcc_lo, v44, 0x80000000
	s_delay_alu instid0(VALU_DEP_1) | instskip(NEXT) | instid1(VALU_DEP_1)
	v_ctz_i32_b32_e32 v28, v28
	v_cmp_lt_u32_e32 vcc_lo, v38, v28
	s_wait_dscnt 0x0
	v_cndmask_b32_e32 v29, 0, v29, vcc_lo
	v_cmp_le_u32_e32 vcc_lo, v46, v28
	s_delay_alu instid0(VALU_DEP_2) | instskip(SKIP_4) | instid1(VALU_DEP_2)
	v_add_nc_u32_e32 v26, v29, v26
	ds_bpermute_b32 v29, v45, v26
	s_wait_dscnt 0x0
	v_cndmask_b32_e32 v29, 0, v29, vcc_lo
	v_cmp_le_u32_e32 vcc_lo, v48, v28
	v_add_nc_u32_e32 v26, v26, v29
	ds_bpermute_b32 v29, v47, v26
	s_wait_dscnt 0x0
	v_cndmask_b32_e32 v29, 0, v29, vcc_lo
	v_cmp_le_u32_e32 vcc_lo, v50, v28
	s_delay_alu instid0(VALU_DEP_2) | instskip(SKIP_4) | instid1(VALU_DEP_2)
	v_add_nc_u32_e32 v26, v26, v29
	ds_bpermute_b32 v29, v49, v26
	s_wait_dscnt 0x0
	v_cndmask_b32_e32 v29, 0, v29, vcc_lo
	v_cmp_le_u32_e32 vcc_lo, v52, v28
	v_add_nc_u32_e32 v26, v26, v29
	ds_bpermute_b32 v29, v51, v26
	s_wait_dscnt 0x0
	v_cndmask_b32_e32 v28, 0, v29, vcc_lo
	s_delay_alu instid0(VALU_DEP_1)
	v_add3_u32 v26, v28, v23, v26
.LBB807_182:                            ;   in Loop: Header=BB807_183 Depth=1
	s_and_b32 vcc_lo, exec_lo, s16
	s_cbranch_vccnz .LBB807_188
.LBB807_183:                            ; =>This Loop Header: Depth=1
                                        ;     Child Loop BB807_186 Depth 2
	v_and_b32_e32 v23, 0xff, v27
	s_mov_b32 s16, -1
                                        ; implicit-def: $vgpr27
	s_delay_alu instid0(VALU_DEP_1)
	v_cmp_ne_u16_e32 vcc_lo, 2, v23
	v_mov_b32_e32 v23, v26
                                        ; implicit-def: $vgpr26
	s_cmp_lg_u32 vcc_lo, exec_lo
	s_cbranch_scc1 .LBB807_182
; %bb.184:                              ;   in Loop: Header=BB807_183 Depth=1
	global_load_b64 v[26:27], v24, s[10:11] scale_offset scope:SCOPE_DEV
	s_mov_b32 s16, exec_lo
	s_wait_loadcnt 0x0
	v_and_b32_e32 v28, 0xff, v27
	s_wait_xcnt 0x0
	s_delay_alu instid0(VALU_DEP_1)
	v_cmpx_eq_u16_e32 0, v28
	s_cbranch_execz .LBB807_181
; %bb.185:                              ;   in Loop: Header=BB807_183 Depth=1
	v_lshl_add_u64 v[28:29], v[24:25], 3, s[10:11]
	s_mov_b32 s17, 0
.LBB807_186:                            ;   Parent Loop BB807_183 Depth=1
                                        ; =>  This Inner Loop Header: Depth=2
	global_load_b64 v[26:27], v[28:29], off scope:SCOPE_DEV
	s_wait_loadcnt 0x0
	v_and_b32_e32 v53, 0xff, v27
	s_delay_alu instid0(VALU_DEP_1)
	v_cmp_ne_u16_e32 vcc_lo, 0, v53
	s_or_b32 s17, vcc_lo, s17
	s_wait_xcnt 0x0
	s_and_not1_b32 exec_lo, exec_lo, s17
	s_cbranch_execnz .LBB807_186
; %bb.187:                              ;   in Loop: Header=BB807_183 Depth=1
	s_or_b32 exec_lo, exec_lo, s17
	s_branch .LBB807_181
.LBB807_188:
	s_and_saveexec_b32 s16, s8
	s_cbranch_execz .LBB807_190
; %bb.189:
	s_add_co_i32 s17, s22, 32
	v_dual_mov_b32 v25, 2 :: v_dual_add_nc_u32 v24, v23, v22
	v_dual_mov_b32 v26, s17 :: v_dual_mov_b32 v27, 0
	global_store_b64 v26, v[24:25], s[10:11] scale_offset scope:SCOPE_DEV
	ds_store_b64 v27, v[22:23] offset:28672
.LBB807_190:
	s_wait_xcnt 0x0
	s_or_b32 exec_lo, exec_lo, s16
	v_cmp_eq_u32_e32 vcc_lo, 0, v0
	s_and_b32 exec_lo, exec_lo, vcc_lo
; %bb.191:
	v_mov_b32_e32 v22, 0
	ds_store_b32 v22, v23 offset:60
.LBB807_192:
	s_or_b32 exec_lo, exec_lo, s9
	s_wait_dscnt 0x0
	v_dual_mov_b32 v22, 0 :: v_dual_cndmask_b32 v24, v42, v41, s8
	s_wait_storecnt 0x0
	s_barrier_signal -1
	s_barrier_wait -1
	ds_load_b32 v23, v22 offset:60
	v_cmp_ne_u32_e32 vcc_lo, 0, v0
	s_wait_dscnt 0x0
	s_barrier_signal -1
	s_barrier_wait -1
	v_cndmask_b32_e32 v24, 0, v24, vcc_lo
	s_mov_b32 s8, 0
	s_delay_alu instid0(VALU_DEP_1) | instskip(SKIP_2) | instid1(VALU_DEP_1)
	v_add_nc_u32_e32 v42, v23, v24
	ds_load_b64 v[22:23], v22 offset:28672
	v_add_nc_u32_e32 v41, v42, v19
	v_add_nc_u32_e32 v29, v41, v21
	s_delay_alu instid0(VALU_DEP_1) | instskip(SKIP_1) | instid1(VALU_DEP_1)
	v_add_nc_u32_e32 v28, v29, v34
	s_wait_dscnt 0x0
	v_dual_mov_b32 v24, v23 :: v_dual_add_nc_u32 v27, v28, v35
	s_delay_alu instid0(VALU_DEP_1) | instskip(NEXT) | instid1(VALU_DEP_1)
	v_add_nc_u32_e32 v26, v27, v36
	v_add_nc_u32_e32 v25, v26, v37
.LBB807_193:
	s_and_b32 vcc_lo, exec_lo, s8
	s_cbranch_vccz .LBB807_203
; %bb.194:
	v_mov_b32_dpp v22, v40 row_shr:1 row_mask:0xf bank_mask:0xf
	s_delay_alu instid0(VALU_DEP_1) | instskip(NEXT) | instid1(VALU_DEP_1)
	v_cndmask_b32_e64 v22, v22, 0, s2
	v_add_nc_u32_e32 v22, v22, v40
	s_delay_alu instid0(VALU_DEP_1) | instskip(NEXT) | instid1(VALU_DEP_1)
	v_mov_b32_dpp v23, v22 row_shr:2 row_mask:0xf bank_mask:0xf
	v_cndmask_b32_e64 v23, 0, v23, s4
	s_delay_alu instid0(VALU_DEP_1) | instskip(NEXT) | instid1(VALU_DEP_1)
	v_add_nc_u32_e32 v22, v22, v23
	v_mov_b32_dpp v23, v22 row_shr:4 row_mask:0xf bank_mask:0xf
	s_delay_alu instid0(VALU_DEP_1) | instskip(NEXT) | instid1(VALU_DEP_1)
	v_cndmask_b32_e64 v23, 0, v23, s5
	v_add_nc_u32_e32 v22, v22, v23
	s_delay_alu instid0(VALU_DEP_1) | instskip(NEXT) | instid1(VALU_DEP_1)
	v_mov_b32_dpp v23, v22 row_shr:8 row_mask:0xf bank_mask:0xf
	v_cndmask_b32_e64 v23, 0, v23, s3
	s_delay_alu instid0(VALU_DEP_1) | instskip(SKIP_3) | instid1(VALU_DEP_1)
	v_add_nc_u32_e32 v22, v22, v23
	ds_swizzle_b32 v23, v22 offset:swizzle(BROADCAST,32,15)
	s_wait_dscnt 0x0
	v_cndmask_b32_e64 v23, v23, 0, s7
	v_add_nc_u32_e32 v22, v22, v23
	s_and_saveexec_b32 s7, s6
; %bb.195:
	v_lshlrev_b32_e32 v23, 2, v39
	ds_store_b32 v23, v22
; %bb.196:
	s_or_b32 exec_lo, exec_lo, s7
	s_delay_alu instid0(SALU_CYCLE_1)
	s_mov_b32 s6, exec_lo
	s_wait_dscnt 0x0
	s_barrier_signal -1
	s_barrier_wait -1
	v_cmpx_gt_u32_e32 16, v0
	s_cbranch_execz .LBB807_198
; %bb.197:
	v_lshlrev_b32_e32 v23, 2, v0
	ds_load_b32 v24, v23
	s_wait_dscnt 0x0
	v_mov_b32_dpp v25, v24 row_shr:1 row_mask:0xf bank_mask:0xf
	s_delay_alu instid0(VALU_DEP_1) | instskip(NEXT) | instid1(VALU_DEP_1)
	v_cndmask_b32_e64 v25, v25, 0, s2
	v_add_nc_u32_e32 v24, v25, v24
	s_delay_alu instid0(VALU_DEP_1) | instskip(NEXT) | instid1(VALU_DEP_1)
	v_mov_b32_dpp v25, v24 row_shr:2 row_mask:0xf bank_mask:0xf
	v_cndmask_b32_e64 v25, 0, v25, s4
	s_delay_alu instid0(VALU_DEP_1) | instskip(NEXT) | instid1(VALU_DEP_1)
	v_add_nc_u32_e32 v24, v24, v25
	v_mov_b32_dpp v25, v24 row_shr:4 row_mask:0xf bank_mask:0xf
	s_delay_alu instid0(VALU_DEP_1) | instskip(NEXT) | instid1(VALU_DEP_1)
	v_cndmask_b32_e64 v25, 0, v25, s5
	v_add_nc_u32_e32 v24, v24, v25
	s_delay_alu instid0(VALU_DEP_1) | instskip(NEXT) | instid1(VALU_DEP_1)
	v_mov_b32_dpp v25, v24 row_shr:8 row_mask:0xf bank_mask:0xf
	v_cndmask_b32_e64 v25, 0, v25, s3
	s_delay_alu instid0(VALU_DEP_1)
	v_add_nc_u32_e32 v24, v24, v25
	ds_store_b32 v23, v24
.LBB807_198:
	s_or_b32 exec_lo, exec_lo, s6
	v_dual_mov_b32 v23, 0 :: v_dual_mov_b32 v24, 0
	s_mov_b32 s2, exec_lo
	s_wait_dscnt 0x0
	s_barrier_signal -1
	s_barrier_wait -1
	v_cmpx_lt_u32_e32 31, v0
; %bb.199:
	v_lshl_add_u32 v24, v39, 2, -4
	ds_load_b32 v24, v24
; %bb.200:
	s_or_b32 exec_lo, exec_lo, s2
	v_sub_co_u32 v25, vcc_lo, v38, 1
	s_delay_alu instid0(VALU_DEP_1) | instskip(NEXT) | instid1(VALU_DEP_1)
	v_cmp_gt_i32_e64 s2, 0, v25
	v_cndmask_b32_e64 v25, v25, v38, s2
	s_wait_dscnt 0x0
	v_add_nc_u32_e32 v22, v24, v22
	v_cmp_eq_u32_e64 s2, 0, v0
	s_delay_alu instid0(VALU_DEP_3)
	v_lshlrev_b32_e32 v25, 2, v25
	ds_bpermute_b32 v25, v25, v22
	ds_load_b32 v22, v23 offset:60
	s_and_saveexec_b32 s3, s2
	s_cbranch_execz .LBB807_202
; %bb.201:
	v_dual_mov_b32 v26, 0 :: v_dual_mov_b32 v23, 2
	s_wait_dscnt 0x0
	global_store_b64 v26, v[22:23], s[10:11] offset:256 scope:SCOPE_DEV
.LBB807_202:
	s_wait_xcnt 0x0
	s_or_b32 exec_lo, exec_lo, s3
	s_wait_dscnt 0x1
	v_cndmask_b32_e32 v23, v25, v24, vcc_lo
	s_wait_storecnt_dscnt 0x0
	s_barrier_signal -1
	s_barrier_wait -1
	s_delay_alu instid0(VALU_DEP_1) | instskip(NEXT) | instid1(VALU_DEP_1)
	v_cndmask_b32_e64 v42, v23, 0, s2
	v_dual_mov_b32 v24, 0 :: v_dual_add_nc_u32 v41, v42, v19
	s_delay_alu instid0(VALU_DEP_1) | instskip(NEXT) | instid1(VALU_DEP_1)
	v_add_nc_u32_e32 v29, v41, v21
	v_add_nc_u32_e32 v28, v29, v34
	s_delay_alu instid0(VALU_DEP_1) | instskip(NEXT) | instid1(VALU_DEP_1)
	v_add_nc_u32_e32 v27, v28, v35
	v_add_nc_u32_e32 v26, v27, v36
	s_delay_alu instid0(VALU_DEP_1)
	v_add_nc_u32_e32 v25, v26, v37
.LBB807_203:
	s_load_b64 s[2:3], s[0:1], 0x28
	v_and_b32_e32 v16, 1, v16
	v_cmp_gt_u32_e32 vcc_lo, 0x201, v22
	s_wait_xcnt 0x0
	s_mov_b32 s1, -1
	s_delay_alu instid0(VALU_DEP_2)
	v_cmp_eq_u32_e64 s0, 1, v16
	s_cbranch_vccnz .LBB807_207
; %bb.204:
	s_and_b32 vcc_lo, exec_lo, s1
	s_cbranch_vccnz .LBB807_222
.LBB807_205:
	v_cmp_eq_u32_e32 vcc_lo, 0, v0
	s_and_b32 s0, vcc_lo, s20
	s_delay_alu instid0(SALU_CYCLE_1)
	s_and_saveexec_b32 s1, s0
	s_cbranch_execnz .LBB807_239
.LBB807_206:
	s_endpgm
.LBB807_207:
	v_add_nc_u32_e32 v19, v24, v22
	s_delay_alu instid0(VALU_DEP_1) | instskip(SKIP_1) | instid1(SALU_CYCLE_1)
	v_cmp_lt_u32_e32 vcc_lo, v42, v19
	s_or_b32 s1, s21, vcc_lo
	s_and_b32 s1, s1, s0
	s_delay_alu instid0(SALU_CYCLE_1)
	s_and_saveexec_b32 s0, s1
	s_cbranch_execz .LBB807_209
; %bb.208:
	s_lshl_b64 s[4:5], s[14:15], 3
	s_wait_kmcnt 0x0
	s_add_nc_u64 s[4:5], s[2:3], s[4:5]
	global_store_b64 v42, v[10:11], s[4:5] scale_offset
.LBB807_209:
	s_wait_xcnt 0x0
	s_or_b32 exec_lo, exec_lo, s0
	v_and_b32_e32 v21, 1, v33
	v_cmp_lt_u32_e32 vcc_lo, v41, v19
	s_delay_alu instid0(VALU_DEP_2) | instskip(SKIP_1) | instid1(SALU_CYCLE_1)
	v_cmp_eq_u32_e64 s0, 1, v21
	s_or_b32 s1, s21, vcc_lo
	s_and_b32 s1, s1, s0
	s_delay_alu instid0(SALU_CYCLE_1)
	s_and_saveexec_b32 s0, s1
	s_cbranch_execz .LBB807_211
; %bb.210:
	s_lshl_b64 s[4:5], s[14:15], 3
	s_wait_kmcnt 0x0
	s_add_nc_u64 s[4:5], s[2:3], s[4:5]
	global_store_b64 v41, v[12:13], s[4:5] scale_offset
.LBB807_211:
	s_wait_xcnt 0x0
	s_or_b32 exec_lo, exec_lo, s0
	v_and_b32_e32 v21, 1, v32
	v_cmp_lt_u32_e32 vcc_lo, v29, v19
	s_delay_alu instid0(VALU_DEP_2) | instskip(SKIP_1) | instid1(SALU_CYCLE_1)
	v_cmp_eq_u32_e64 s0, 1, v21
	;; [unrolled: 17-line block ×6, first 2 shown]
	s_or_b32 s1, s21, vcc_lo
	s_and_b32 s1, s1, s0
	s_delay_alu instid0(SALU_CYCLE_1)
	s_and_saveexec_b32 s0, s1
	s_cbranch_execz .LBB807_221
; %bb.220:
	s_lshl_b64 s[4:5], s[14:15], 3
	s_wait_kmcnt 0x0
	s_add_nc_u64 s[4:5], s[2:3], s[4:5]
	global_store_b64 v25, v[14:15], s[4:5] scale_offset
.LBB807_221:
	s_wait_xcnt 0x0
	s_or_b32 exec_lo, exec_lo, s0
	s_branch .LBB807_205
.LBB807_222:
	s_mov_b32 s0, exec_lo
	v_cmpx_eq_u32_e32 1, v16
; %bb.223:
	v_sub_nc_u32_e32 v16, v42, v24
	s_delay_alu instid0(VALU_DEP_1)
	v_lshlrev_b32_e32 v16, 3, v16
	ds_store_b64 v16, v[10:11]
; %bb.224:
	s_or_b32 exec_lo, exec_lo, s0
	v_and_b32_e32 v10, 1, v33
	s_mov_b32 s0, exec_lo
	s_delay_alu instid0(VALU_DEP_1)
	v_cmpx_eq_u32_e32 1, v10
; %bb.225:
	v_sub_nc_u32_e32 v10, v41, v24
	s_delay_alu instid0(VALU_DEP_1)
	v_lshlrev_b32_e32 v10, 3, v10
	ds_store_b64 v10, v[12:13]
; %bb.226:
	s_or_b32 exec_lo, exec_lo, s0
	v_and_b32_e32 v10, 1, v32
	s_mov_b32 s0, exec_lo
	s_delay_alu instid0(VALU_DEP_1)
	;; [unrolled: 11-line block ×6, first 2 shown]
	v_cmpx_eq_u32_e32 1, v2
; %bb.235:
	v_sub_nc_u32_e32 v2, v25, v24
	s_delay_alu instid0(VALU_DEP_1)
	v_lshlrev_b32_e32 v2, 3, v2
	ds_store_b64 v2, v[14:15]
; %bb.236:
	s_or_b32 exec_lo, exec_lo, s0
	v_mov_b32_e32 v25, 0
	s_lshl_b64 s[0:1], s[14:15], 3
	s_wait_storecnt_dscnt 0x0
	s_barrier_signal -1
	s_barrier_wait -1
	v_lshlrev_b64_e32 v[2:3], 3, v[24:25]
	v_mov_b32_e32 v19, v25
	s_delay_alu instid0(VALU_DEP_2) | instskip(SKIP_2) | instid1(VALU_DEP_1)
	v_add_nc_u64_e32 v[2:3], s[0:1], v[2:3]
	s_mov_b32 s0, 0
	s_wait_kmcnt 0x0
	v_add_nc_u64_e32 v[2:3], s[2:3], v[2:3]
	s_delay_alu instid0(VALU_DEP_1)
	v_add_nc_u64_e32 v[2:3], v[2:3], v[18:19]
.LBB807_237:                            ; =>This Inner Loop Header: Depth=1
	ds_load_b64 v[4:5], v18
	v_add_nc_u32_e32 v1, 0x200, v1
	v_add_nc_u32_e32 v18, 0x1000, v18
	s_delay_alu instid0(VALU_DEP_2)
	v_cmp_ge_u32_e32 vcc_lo, v1, v22
	s_or_b32 s0, vcc_lo, s0
	s_wait_dscnt 0x0
	global_store_b64 v[2:3], v[4:5], off
	s_wait_xcnt 0x0
	v_add_nc_u64_e32 v[2:3], 0x1000, v[2:3]
	s_and_not1_b32 exec_lo, exec_lo, s0
	s_cbranch_execnz .LBB807_237
; %bb.238:
	s_or_b32 exec_lo, exec_lo, s0
	v_cmp_eq_u32_e32 vcc_lo, 0, v0
	s_and_b32 s0, vcc_lo, s20
	s_delay_alu instid0(SALU_CYCLE_1)
	s_and_saveexec_b32 s1, s0
	s_cbranch_execz .LBB807_206
.LBB807_239:
	v_mov_b32_e32 v23, 0
	s_delay_alu instid0(VALU_DEP_1) | instskip(SKIP_1) | instid1(VALU_DEP_1)
	v_add_nc_u64_e32 v[0:1], s[14:15], v[22:23]
	v_mov_b32_e32 v25, v23
	v_add_nc_u64_e32 v[0:1], v[0:1], v[24:25]
	global_store_b64 v23, v[0:1], s[12:13]
	s_endpgm
	.section	.rodata,"a",@progbits
	.p2align	6, 0x0
	.amdhsa_kernel _ZN7rocprim17ROCPRIM_400000_NS6detail17trampoline_kernelINS0_14default_configENS1_25partition_config_selectorILNS1_17partition_subalgoE8ElNS0_10empty_typeEbEEZZNS1_14partition_implILS5_8ELb0ES3_jPlPS6_PKS6_NS0_5tupleIJS9_S6_EEENSD_IJSA_SA_EEENS0_18inequality_wrapperIZN2at6native12_GLOBAL__N_124unique_dim_cuda_templateIdEESt5tupleIJNSH_6TensorESM_SM_EERKSM_lbbbEUlllE0_EEPmJS6_EEE10hipError_tPvRmT3_T4_T5_T6_T7_T9_mT8_P12ihipStream_tbDpT10_ENKUlT_T0_E_clISt17integral_constantIbLb0EES1C_EEDaS17_S18_EUlS17_E_NS1_11comp_targetILNS1_3genE0ELNS1_11target_archE4294967295ELNS1_3gpuE0ELNS1_3repE0EEENS1_30default_config_static_selectorELNS0_4arch9wavefront6targetE0EEEvT1_
		.amdhsa_group_segment_fixed_size 28680
		.amdhsa_private_segment_fixed_size 0
		.amdhsa_kernarg_size 120
		.amdhsa_user_sgpr_count 2
		.amdhsa_user_sgpr_dispatch_ptr 0
		.amdhsa_user_sgpr_queue_ptr 0
		.amdhsa_user_sgpr_kernarg_segment_ptr 1
		.amdhsa_user_sgpr_dispatch_id 0
		.amdhsa_user_sgpr_kernarg_preload_length 0
		.amdhsa_user_sgpr_kernarg_preload_offset 0
		.amdhsa_user_sgpr_private_segment_size 0
		.amdhsa_wavefront_size32 1
		.amdhsa_uses_dynamic_stack 0
		.amdhsa_enable_private_segment 0
		.amdhsa_system_sgpr_workgroup_id_x 1
		.amdhsa_system_sgpr_workgroup_id_y 0
		.amdhsa_system_sgpr_workgroup_id_z 0
		.amdhsa_system_sgpr_workgroup_info 0
		.amdhsa_system_vgpr_workitem_id 0
		.amdhsa_next_free_vgpr 54
		.amdhsa_next_free_sgpr 36
		.amdhsa_named_barrier_count 0
		.amdhsa_reserve_vcc 1
		.amdhsa_float_round_mode_32 0
		.amdhsa_float_round_mode_16_64 0
		.amdhsa_float_denorm_mode_32 3
		.amdhsa_float_denorm_mode_16_64 3
		.amdhsa_fp16_overflow 0
		.amdhsa_memory_ordered 1
		.amdhsa_forward_progress 1
		.amdhsa_inst_pref_size 82
		.amdhsa_round_robin_scheduling 0
		.amdhsa_exception_fp_ieee_invalid_op 0
		.amdhsa_exception_fp_denorm_src 0
		.amdhsa_exception_fp_ieee_div_zero 0
		.amdhsa_exception_fp_ieee_overflow 0
		.amdhsa_exception_fp_ieee_underflow 0
		.amdhsa_exception_fp_ieee_inexact 0
		.amdhsa_exception_int_div_zero 0
	.end_amdhsa_kernel
	.section	.text._ZN7rocprim17ROCPRIM_400000_NS6detail17trampoline_kernelINS0_14default_configENS1_25partition_config_selectorILNS1_17partition_subalgoE8ElNS0_10empty_typeEbEEZZNS1_14partition_implILS5_8ELb0ES3_jPlPS6_PKS6_NS0_5tupleIJS9_S6_EEENSD_IJSA_SA_EEENS0_18inequality_wrapperIZN2at6native12_GLOBAL__N_124unique_dim_cuda_templateIdEESt5tupleIJNSH_6TensorESM_SM_EERKSM_lbbbEUlllE0_EEPmJS6_EEE10hipError_tPvRmT3_T4_T5_T6_T7_T9_mT8_P12ihipStream_tbDpT10_ENKUlT_T0_E_clISt17integral_constantIbLb0EES1C_EEDaS17_S18_EUlS17_E_NS1_11comp_targetILNS1_3genE0ELNS1_11target_archE4294967295ELNS1_3gpuE0ELNS1_3repE0EEENS1_30default_config_static_selectorELNS0_4arch9wavefront6targetE0EEEvT1_,"axG",@progbits,_ZN7rocprim17ROCPRIM_400000_NS6detail17trampoline_kernelINS0_14default_configENS1_25partition_config_selectorILNS1_17partition_subalgoE8ElNS0_10empty_typeEbEEZZNS1_14partition_implILS5_8ELb0ES3_jPlPS6_PKS6_NS0_5tupleIJS9_S6_EEENSD_IJSA_SA_EEENS0_18inequality_wrapperIZN2at6native12_GLOBAL__N_124unique_dim_cuda_templateIdEESt5tupleIJNSH_6TensorESM_SM_EERKSM_lbbbEUlllE0_EEPmJS6_EEE10hipError_tPvRmT3_T4_T5_T6_T7_T9_mT8_P12ihipStream_tbDpT10_ENKUlT_T0_E_clISt17integral_constantIbLb0EES1C_EEDaS17_S18_EUlS17_E_NS1_11comp_targetILNS1_3genE0ELNS1_11target_archE4294967295ELNS1_3gpuE0ELNS1_3repE0EEENS1_30default_config_static_selectorELNS0_4arch9wavefront6targetE0EEEvT1_,comdat
.Lfunc_end807:
	.size	_ZN7rocprim17ROCPRIM_400000_NS6detail17trampoline_kernelINS0_14default_configENS1_25partition_config_selectorILNS1_17partition_subalgoE8ElNS0_10empty_typeEbEEZZNS1_14partition_implILS5_8ELb0ES3_jPlPS6_PKS6_NS0_5tupleIJS9_S6_EEENSD_IJSA_SA_EEENS0_18inequality_wrapperIZN2at6native12_GLOBAL__N_124unique_dim_cuda_templateIdEESt5tupleIJNSH_6TensorESM_SM_EERKSM_lbbbEUlllE0_EEPmJS6_EEE10hipError_tPvRmT3_T4_T5_T6_T7_T9_mT8_P12ihipStream_tbDpT10_ENKUlT_T0_E_clISt17integral_constantIbLb0EES1C_EEDaS17_S18_EUlS17_E_NS1_11comp_targetILNS1_3genE0ELNS1_11target_archE4294967295ELNS1_3gpuE0ELNS1_3repE0EEENS1_30default_config_static_selectorELNS0_4arch9wavefront6targetE0EEEvT1_, .Lfunc_end807-_ZN7rocprim17ROCPRIM_400000_NS6detail17trampoline_kernelINS0_14default_configENS1_25partition_config_selectorILNS1_17partition_subalgoE8ElNS0_10empty_typeEbEEZZNS1_14partition_implILS5_8ELb0ES3_jPlPS6_PKS6_NS0_5tupleIJS9_S6_EEENSD_IJSA_SA_EEENS0_18inequality_wrapperIZN2at6native12_GLOBAL__N_124unique_dim_cuda_templateIdEESt5tupleIJNSH_6TensorESM_SM_EERKSM_lbbbEUlllE0_EEPmJS6_EEE10hipError_tPvRmT3_T4_T5_T6_T7_T9_mT8_P12ihipStream_tbDpT10_ENKUlT_T0_E_clISt17integral_constantIbLb0EES1C_EEDaS17_S18_EUlS17_E_NS1_11comp_targetILNS1_3genE0ELNS1_11target_archE4294967295ELNS1_3gpuE0ELNS1_3repE0EEENS1_30default_config_static_selectorELNS0_4arch9wavefront6targetE0EEEvT1_
                                        ; -- End function
	.set _ZN7rocprim17ROCPRIM_400000_NS6detail17trampoline_kernelINS0_14default_configENS1_25partition_config_selectorILNS1_17partition_subalgoE8ElNS0_10empty_typeEbEEZZNS1_14partition_implILS5_8ELb0ES3_jPlPS6_PKS6_NS0_5tupleIJS9_S6_EEENSD_IJSA_SA_EEENS0_18inequality_wrapperIZN2at6native12_GLOBAL__N_124unique_dim_cuda_templateIdEESt5tupleIJNSH_6TensorESM_SM_EERKSM_lbbbEUlllE0_EEPmJS6_EEE10hipError_tPvRmT3_T4_T5_T6_T7_T9_mT8_P12ihipStream_tbDpT10_ENKUlT_T0_E_clISt17integral_constantIbLb0EES1C_EEDaS17_S18_EUlS17_E_NS1_11comp_targetILNS1_3genE0ELNS1_11target_archE4294967295ELNS1_3gpuE0ELNS1_3repE0EEENS1_30default_config_static_selectorELNS0_4arch9wavefront6targetE0EEEvT1_.num_vgpr, 54
	.set _ZN7rocprim17ROCPRIM_400000_NS6detail17trampoline_kernelINS0_14default_configENS1_25partition_config_selectorILNS1_17partition_subalgoE8ElNS0_10empty_typeEbEEZZNS1_14partition_implILS5_8ELb0ES3_jPlPS6_PKS6_NS0_5tupleIJS9_S6_EEENSD_IJSA_SA_EEENS0_18inequality_wrapperIZN2at6native12_GLOBAL__N_124unique_dim_cuda_templateIdEESt5tupleIJNSH_6TensorESM_SM_EERKSM_lbbbEUlllE0_EEPmJS6_EEE10hipError_tPvRmT3_T4_T5_T6_T7_T9_mT8_P12ihipStream_tbDpT10_ENKUlT_T0_E_clISt17integral_constantIbLb0EES1C_EEDaS17_S18_EUlS17_E_NS1_11comp_targetILNS1_3genE0ELNS1_11target_archE4294967295ELNS1_3gpuE0ELNS1_3repE0EEENS1_30default_config_static_selectorELNS0_4arch9wavefront6targetE0EEEvT1_.num_agpr, 0
	.set _ZN7rocprim17ROCPRIM_400000_NS6detail17trampoline_kernelINS0_14default_configENS1_25partition_config_selectorILNS1_17partition_subalgoE8ElNS0_10empty_typeEbEEZZNS1_14partition_implILS5_8ELb0ES3_jPlPS6_PKS6_NS0_5tupleIJS9_S6_EEENSD_IJSA_SA_EEENS0_18inequality_wrapperIZN2at6native12_GLOBAL__N_124unique_dim_cuda_templateIdEESt5tupleIJNSH_6TensorESM_SM_EERKSM_lbbbEUlllE0_EEPmJS6_EEE10hipError_tPvRmT3_T4_T5_T6_T7_T9_mT8_P12ihipStream_tbDpT10_ENKUlT_T0_E_clISt17integral_constantIbLb0EES1C_EEDaS17_S18_EUlS17_E_NS1_11comp_targetILNS1_3genE0ELNS1_11target_archE4294967295ELNS1_3gpuE0ELNS1_3repE0EEENS1_30default_config_static_selectorELNS0_4arch9wavefront6targetE0EEEvT1_.numbered_sgpr, 36
	.set _ZN7rocprim17ROCPRIM_400000_NS6detail17trampoline_kernelINS0_14default_configENS1_25partition_config_selectorILNS1_17partition_subalgoE8ElNS0_10empty_typeEbEEZZNS1_14partition_implILS5_8ELb0ES3_jPlPS6_PKS6_NS0_5tupleIJS9_S6_EEENSD_IJSA_SA_EEENS0_18inequality_wrapperIZN2at6native12_GLOBAL__N_124unique_dim_cuda_templateIdEESt5tupleIJNSH_6TensorESM_SM_EERKSM_lbbbEUlllE0_EEPmJS6_EEE10hipError_tPvRmT3_T4_T5_T6_T7_T9_mT8_P12ihipStream_tbDpT10_ENKUlT_T0_E_clISt17integral_constantIbLb0EES1C_EEDaS17_S18_EUlS17_E_NS1_11comp_targetILNS1_3genE0ELNS1_11target_archE4294967295ELNS1_3gpuE0ELNS1_3repE0EEENS1_30default_config_static_selectorELNS0_4arch9wavefront6targetE0EEEvT1_.num_named_barrier, 0
	.set _ZN7rocprim17ROCPRIM_400000_NS6detail17trampoline_kernelINS0_14default_configENS1_25partition_config_selectorILNS1_17partition_subalgoE8ElNS0_10empty_typeEbEEZZNS1_14partition_implILS5_8ELb0ES3_jPlPS6_PKS6_NS0_5tupleIJS9_S6_EEENSD_IJSA_SA_EEENS0_18inequality_wrapperIZN2at6native12_GLOBAL__N_124unique_dim_cuda_templateIdEESt5tupleIJNSH_6TensorESM_SM_EERKSM_lbbbEUlllE0_EEPmJS6_EEE10hipError_tPvRmT3_T4_T5_T6_T7_T9_mT8_P12ihipStream_tbDpT10_ENKUlT_T0_E_clISt17integral_constantIbLb0EES1C_EEDaS17_S18_EUlS17_E_NS1_11comp_targetILNS1_3genE0ELNS1_11target_archE4294967295ELNS1_3gpuE0ELNS1_3repE0EEENS1_30default_config_static_selectorELNS0_4arch9wavefront6targetE0EEEvT1_.private_seg_size, 0
	.set _ZN7rocprim17ROCPRIM_400000_NS6detail17trampoline_kernelINS0_14default_configENS1_25partition_config_selectorILNS1_17partition_subalgoE8ElNS0_10empty_typeEbEEZZNS1_14partition_implILS5_8ELb0ES3_jPlPS6_PKS6_NS0_5tupleIJS9_S6_EEENSD_IJSA_SA_EEENS0_18inequality_wrapperIZN2at6native12_GLOBAL__N_124unique_dim_cuda_templateIdEESt5tupleIJNSH_6TensorESM_SM_EERKSM_lbbbEUlllE0_EEPmJS6_EEE10hipError_tPvRmT3_T4_T5_T6_T7_T9_mT8_P12ihipStream_tbDpT10_ENKUlT_T0_E_clISt17integral_constantIbLb0EES1C_EEDaS17_S18_EUlS17_E_NS1_11comp_targetILNS1_3genE0ELNS1_11target_archE4294967295ELNS1_3gpuE0ELNS1_3repE0EEENS1_30default_config_static_selectorELNS0_4arch9wavefront6targetE0EEEvT1_.uses_vcc, 1
	.set _ZN7rocprim17ROCPRIM_400000_NS6detail17trampoline_kernelINS0_14default_configENS1_25partition_config_selectorILNS1_17partition_subalgoE8ElNS0_10empty_typeEbEEZZNS1_14partition_implILS5_8ELb0ES3_jPlPS6_PKS6_NS0_5tupleIJS9_S6_EEENSD_IJSA_SA_EEENS0_18inequality_wrapperIZN2at6native12_GLOBAL__N_124unique_dim_cuda_templateIdEESt5tupleIJNSH_6TensorESM_SM_EERKSM_lbbbEUlllE0_EEPmJS6_EEE10hipError_tPvRmT3_T4_T5_T6_T7_T9_mT8_P12ihipStream_tbDpT10_ENKUlT_T0_E_clISt17integral_constantIbLb0EES1C_EEDaS17_S18_EUlS17_E_NS1_11comp_targetILNS1_3genE0ELNS1_11target_archE4294967295ELNS1_3gpuE0ELNS1_3repE0EEENS1_30default_config_static_selectorELNS0_4arch9wavefront6targetE0EEEvT1_.uses_flat_scratch, 0
	.set _ZN7rocprim17ROCPRIM_400000_NS6detail17trampoline_kernelINS0_14default_configENS1_25partition_config_selectorILNS1_17partition_subalgoE8ElNS0_10empty_typeEbEEZZNS1_14partition_implILS5_8ELb0ES3_jPlPS6_PKS6_NS0_5tupleIJS9_S6_EEENSD_IJSA_SA_EEENS0_18inequality_wrapperIZN2at6native12_GLOBAL__N_124unique_dim_cuda_templateIdEESt5tupleIJNSH_6TensorESM_SM_EERKSM_lbbbEUlllE0_EEPmJS6_EEE10hipError_tPvRmT3_T4_T5_T6_T7_T9_mT8_P12ihipStream_tbDpT10_ENKUlT_T0_E_clISt17integral_constantIbLb0EES1C_EEDaS17_S18_EUlS17_E_NS1_11comp_targetILNS1_3genE0ELNS1_11target_archE4294967295ELNS1_3gpuE0ELNS1_3repE0EEENS1_30default_config_static_selectorELNS0_4arch9wavefront6targetE0EEEvT1_.has_dyn_sized_stack, 0
	.set _ZN7rocprim17ROCPRIM_400000_NS6detail17trampoline_kernelINS0_14default_configENS1_25partition_config_selectorILNS1_17partition_subalgoE8ElNS0_10empty_typeEbEEZZNS1_14partition_implILS5_8ELb0ES3_jPlPS6_PKS6_NS0_5tupleIJS9_S6_EEENSD_IJSA_SA_EEENS0_18inequality_wrapperIZN2at6native12_GLOBAL__N_124unique_dim_cuda_templateIdEESt5tupleIJNSH_6TensorESM_SM_EERKSM_lbbbEUlllE0_EEPmJS6_EEE10hipError_tPvRmT3_T4_T5_T6_T7_T9_mT8_P12ihipStream_tbDpT10_ENKUlT_T0_E_clISt17integral_constantIbLb0EES1C_EEDaS17_S18_EUlS17_E_NS1_11comp_targetILNS1_3genE0ELNS1_11target_archE4294967295ELNS1_3gpuE0ELNS1_3repE0EEENS1_30default_config_static_selectorELNS0_4arch9wavefront6targetE0EEEvT1_.has_recursion, 0
	.set _ZN7rocprim17ROCPRIM_400000_NS6detail17trampoline_kernelINS0_14default_configENS1_25partition_config_selectorILNS1_17partition_subalgoE8ElNS0_10empty_typeEbEEZZNS1_14partition_implILS5_8ELb0ES3_jPlPS6_PKS6_NS0_5tupleIJS9_S6_EEENSD_IJSA_SA_EEENS0_18inequality_wrapperIZN2at6native12_GLOBAL__N_124unique_dim_cuda_templateIdEESt5tupleIJNSH_6TensorESM_SM_EERKSM_lbbbEUlllE0_EEPmJS6_EEE10hipError_tPvRmT3_T4_T5_T6_T7_T9_mT8_P12ihipStream_tbDpT10_ENKUlT_T0_E_clISt17integral_constantIbLb0EES1C_EEDaS17_S18_EUlS17_E_NS1_11comp_targetILNS1_3genE0ELNS1_11target_archE4294967295ELNS1_3gpuE0ELNS1_3repE0EEENS1_30default_config_static_selectorELNS0_4arch9wavefront6targetE0EEEvT1_.has_indirect_call, 0
	.section	.AMDGPU.csdata,"",@progbits
; Kernel info:
; codeLenInByte = 10432
; TotalNumSgprs: 38
; NumVgprs: 54
; ScratchSize: 0
; MemoryBound: 0
; FloatMode: 240
; IeeeMode: 1
; LDSByteSize: 28680 bytes/workgroup (compile time only)
; SGPRBlocks: 0
; VGPRBlocks: 3
; NumSGPRsForWavesPerEU: 38
; NumVGPRsForWavesPerEU: 54
; NamedBarCnt: 0
; Occupancy: 16
; WaveLimiterHint : 1
; COMPUTE_PGM_RSRC2:SCRATCH_EN: 0
; COMPUTE_PGM_RSRC2:USER_SGPR: 2
; COMPUTE_PGM_RSRC2:TRAP_HANDLER: 0
; COMPUTE_PGM_RSRC2:TGID_X_EN: 1
; COMPUTE_PGM_RSRC2:TGID_Y_EN: 0
; COMPUTE_PGM_RSRC2:TGID_Z_EN: 0
; COMPUTE_PGM_RSRC2:TIDIG_COMP_CNT: 0
	.section	.text._ZN7rocprim17ROCPRIM_400000_NS6detail17trampoline_kernelINS0_14default_configENS1_25partition_config_selectorILNS1_17partition_subalgoE8ElNS0_10empty_typeEbEEZZNS1_14partition_implILS5_8ELb0ES3_jPlPS6_PKS6_NS0_5tupleIJS9_S6_EEENSD_IJSA_SA_EEENS0_18inequality_wrapperIZN2at6native12_GLOBAL__N_124unique_dim_cuda_templateIdEESt5tupleIJNSH_6TensorESM_SM_EERKSM_lbbbEUlllE0_EEPmJS6_EEE10hipError_tPvRmT3_T4_T5_T6_T7_T9_mT8_P12ihipStream_tbDpT10_ENKUlT_T0_E_clISt17integral_constantIbLb0EES1C_EEDaS17_S18_EUlS17_E_NS1_11comp_targetILNS1_3genE5ELNS1_11target_archE942ELNS1_3gpuE9ELNS1_3repE0EEENS1_30default_config_static_selectorELNS0_4arch9wavefront6targetE0EEEvT1_,"axG",@progbits,_ZN7rocprim17ROCPRIM_400000_NS6detail17trampoline_kernelINS0_14default_configENS1_25partition_config_selectorILNS1_17partition_subalgoE8ElNS0_10empty_typeEbEEZZNS1_14partition_implILS5_8ELb0ES3_jPlPS6_PKS6_NS0_5tupleIJS9_S6_EEENSD_IJSA_SA_EEENS0_18inequality_wrapperIZN2at6native12_GLOBAL__N_124unique_dim_cuda_templateIdEESt5tupleIJNSH_6TensorESM_SM_EERKSM_lbbbEUlllE0_EEPmJS6_EEE10hipError_tPvRmT3_T4_T5_T6_T7_T9_mT8_P12ihipStream_tbDpT10_ENKUlT_T0_E_clISt17integral_constantIbLb0EES1C_EEDaS17_S18_EUlS17_E_NS1_11comp_targetILNS1_3genE5ELNS1_11target_archE942ELNS1_3gpuE9ELNS1_3repE0EEENS1_30default_config_static_selectorELNS0_4arch9wavefront6targetE0EEEvT1_,comdat
	.globl	_ZN7rocprim17ROCPRIM_400000_NS6detail17trampoline_kernelINS0_14default_configENS1_25partition_config_selectorILNS1_17partition_subalgoE8ElNS0_10empty_typeEbEEZZNS1_14partition_implILS5_8ELb0ES3_jPlPS6_PKS6_NS0_5tupleIJS9_S6_EEENSD_IJSA_SA_EEENS0_18inequality_wrapperIZN2at6native12_GLOBAL__N_124unique_dim_cuda_templateIdEESt5tupleIJNSH_6TensorESM_SM_EERKSM_lbbbEUlllE0_EEPmJS6_EEE10hipError_tPvRmT3_T4_T5_T6_T7_T9_mT8_P12ihipStream_tbDpT10_ENKUlT_T0_E_clISt17integral_constantIbLb0EES1C_EEDaS17_S18_EUlS17_E_NS1_11comp_targetILNS1_3genE5ELNS1_11target_archE942ELNS1_3gpuE9ELNS1_3repE0EEENS1_30default_config_static_selectorELNS0_4arch9wavefront6targetE0EEEvT1_ ; -- Begin function _ZN7rocprim17ROCPRIM_400000_NS6detail17trampoline_kernelINS0_14default_configENS1_25partition_config_selectorILNS1_17partition_subalgoE8ElNS0_10empty_typeEbEEZZNS1_14partition_implILS5_8ELb0ES3_jPlPS6_PKS6_NS0_5tupleIJS9_S6_EEENSD_IJSA_SA_EEENS0_18inequality_wrapperIZN2at6native12_GLOBAL__N_124unique_dim_cuda_templateIdEESt5tupleIJNSH_6TensorESM_SM_EERKSM_lbbbEUlllE0_EEPmJS6_EEE10hipError_tPvRmT3_T4_T5_T6_T7_T9_mT8_P12ihipStream_tbDpT10_ENKUlT_T0_E_clISt17integral_constantIbLb0EES1C_EEDaS17_S18_EUlS17_E_NS1_11comp_targetILNS1_3genE5ELNS1_11target_archE942ELNS1_3gpuE9ELNS1_3repE0EEENS1_30default_config_static_selectorELNS0_4arch9wavefront6targetE0EEEvT1_
	.p2align	8
	.type	_ZN7rocprim17ROCPRIM_400000_NS6detail17trampoline_kernelINS0_14default_configENS1_25partition_config_selectorILNS1_17partition_subalgoE8ElNS0_10empty_typeEbEEZZNS1_14partition_implILS5_8ELb0ES3_jPlPS6_PKS6_NS0_5tupleIJS9_S6_EEENSD_IJSA_SA_EEENS0_18inequality_wrapperIZN2at6native12_GLOBAL__N_124unique_dim_cuda_templateIdEESt5tupleIJNSH_6TensorESM_SM_EERKSM_lbbbEUlllE0_EEPmJS6_EEE10hipError_tPvRmT3_T4_T5_T6_T7_T9_mT8_P12ihipStream_tbDpT10_ENKUlT_T0_E_clISt17integral_constantIbLb0EES1C_EEDaS17_S18_EUlS17_E_NS1_11comp_targetILNS1_3genE5ELNS1_11target_archE942ELNS1_3gpuE9ELNS1_3repE0EEENS1_30default_config_static_selectorELNS0_4arch9wavefront6targetE0EEEvT1_,@function
_ZN7rocprim17ROCPRIM_400000_NS6detail17trampoline_kernelINS0_14default_configENS1_25partition_config_selectorILNS1_17partition_subalgoE8ElNS0_10empty_typeEbEEZZNS1_14partition_implILS5_8ELb0ES3_jPlPS6_PKS6_NS0_5tupleIJS9_S6_EEENSD_IJSA_SA_EEENS0_18inequality_wrapperIZN2at6native12_GLOBAL__N_124unique_dim_cuda_templateIdEESt5tupleIJNSH_6TensorESM_SM_EERKSM_lbbbEUlllE0_EEPmJS6_EEE10hipError_tPvRmT3_T4_T5_T6_T7_T9_mT8_P12ihipStream_tbDpT10_ENKUlT_T0_E_clISt17integral_constantIbLb0EES1C_EEDaS17_S18_EUlS17_E_NS1_11comp_targetILNS1_3genE5ELNS1_11target_archE942ELNS1_3gpuE9ELNS1_3repE0EEENS1_30default_config_static_selectorELNS0_4arch9wavefront6targetE0EEEvT1_: ; @_ZN7rocprim17ROCPRIM_400000_NS6detail17trampoline_kernelINS0_14default_configENS1_25partition_config_selectorILNS1_17partition_subalgoE8ElNS0_10empty_typeEbEEZZNS1_14partition_implILS5_8ELb0ES3_jPlPS6_PKS6_NS0_5tupleIJS9_S6_EEENSD_IJSA_SA_EEENS0_18inequality_wrapperIZN2at6native12_GLOBAL__N_124unique_dim_cuda_templateIdEESt5tupleIJNSH_6TensorESM_SM_EERKSM_lbbbEUlllE0_EEPmJS6_EEE10hipError_tPvRmT3_T4_T5_T6_T7_T9_mT8_P12ihipStream_tbDpT10_ENKUlT_T0_E_clISt17integral_constantIbLb0EES1C_EEDaS17_S18_EUlS17_E_NS1_11comp_targetILNS1_3genE5ELNS1_11target_archE942ELNS1_3gpuE9ELNS1_3repE0EEENS1_30default_config_static_selectorELNS0_4arch9wavefront6targetE0EEEvT1_
; %bb.0:
	.section	.rodata,"a",@progbits
	.p2align	6, 0x0
	.amdhsa_kernel _ZN7rocprim17ROCPRIM_400000_NS6detail17trampoline_kernelINS0_14default_configENS1_25partition_config_selectorILNS1_17partition_subalgoE8ElNS0_10empty_typeEbEEZZNS1_14partition_implILS5_8ELb0ES3_jPlPS6_PKS6_NS0_5tupleIJS9_S6_EEENSD_IJSA_SA_EEENS0_18inequality_wrapperIZN2at6native12_GLOBAL__N_124unique_dim_cuda_templateIdEESt5tupleIJNSH_6TensorESM_SM_EERKSM_lbbbEUlllE0_EEPmJS6_EEE10hipError_tPvRmT3_T4_T5_T6_T7_T9_mT8_P12ihipStream_tbDpT10_ENKUlT_T0_E_clISt17integral_constantIbLb0EES1C_EEDaS17_S18_EUlS17_E_NS1_11comp_targetILNS1_3genE5ELNS1_11target_archE942ELNS1_3gpuE9ELNS1_3repE0EEENS1_30default_config_static_selectorELNS0_4arch9wavefront6targetE0EEEvT1_
		.amdhsa_group_segment_fixed_size 0
		.amdhsa_private_segment_fixed_size 0
		.amdhsa_kernarg_size 120
		.amdhsa_user_sgpr_count 2
		.amdhsa_user_sgpr_dispatch_ptr 0
		.amdhsa_user_sgpr_queue_ptr 0
		.amdhsa_user_sgpr_kernarg_segment_ptr 1
		.amdhsa_user_sgpr_dispatch_id 0
		.amdhsa_user_sgpr_kernarg_preload_length 0
		.amdhsa_user_sgpr_kernarg_preload_offset 0
		.amdhsa_user_sgpr_private_segment_size 0
		.amdhsa_wavefront_size32 1
		.amdhsa_uses_dynamic_stack 0
		.amdhsa_enable_private_segment 0
		.amdhsa_system_sgpr_workgroup_id_x 1
		.amdhsa_system_sgpr_workgroup_id_y 0
		.amdhsa_system_sgpr_workgroup_id_z 0
		.amdhsa_system_sgpr_workgroup_info 0
		.amdhsa_system_vgpr_workitem_id 0
		.amdhsa_next_free_vgpr 1
		.amdhsa_next_free_sgpr 1
		.amdhsa_named_barrier_count 0
		.amdhsa_reserve_vcc 0
		.amdhsa_float_round_mode_32 0
		.amdhsa_float_round_mode_16_64 0
		.amdhsa_float_denorm_mode_32 3
		.amdhsa_float_denorm_mode_16_64 3
		.amdhsa_fp16_overflow 0
		.amdhsa_memory_ordered 1
		.amdhsa_forward_progress 1
		.amdhsa_inst_pref_size 0
		.amdhsa_round_robin_scheduling 0
		.amdhsa_exception_fp_ieee_invalid_op 0
		.amdhsa_exception_fp_denorm_src 0
		.amdhsa_exception_fp_ieee_div_zero 0
		.amdhsa_exception_fp_ieee_overflow 0
		.amdhsa_exception_fp_ieee_underflow 0
		.amdhsa_exception_fp_ieee_inexact 0
		.amdhsa_exception_int_div_zero 0
	.end_amdhsa_kernel
	.section	.text._ZN7rocprim17ROCPRIM_400000_NS6detail17trampoline_kernelINS0_14default_configENS1_25partition_config_selectorILNS1_17partition_subalgoE8ElNS0_10empty_typeEbEEZZNS1_14partition_implILS5_8ELb0ES3_jPlPS6_PKS6_NS0_5tupleIJS9_S6_EEENSD_IJSA_SA_EEENS0_18inequality_wrapperIZN2at6native12_GLOBAL__N_124unique_dim_cuda_templateIdEESt5tupleIJNSH_6TensorESM_SM_EERKSM_lbbbEUlllE0_EEPmJS6_EEE10hipError_tPvRmT3_T4_T5_T6_T7_T9_mT8_P12ihipStream_tbDpT10_ENKUlT_T0_E_clISt17integral_constantIbLb0EES1C_EEDaS17_S18_EUlS17_E_NS1_11comp_targetILNS1_3genE5ELNS1_11target_archE942ELNS1_3gpuE9ELNS1_3repE0EEENS1_30default_config_static_selectorELNS0_4arch9wavefront6targetE0EEEvT1_,"axG",@progbits,_ZN7rocprim17ROCPRIM_400000_NS6detail17trampoline_kernelINS0_14default_configENS1_25partition_config_selectorILNS1_17partition_subalgoE8ElNS0_10empty_typeEbEEZZNS1_14partition_implILS5_8ELb0ES3_jPlPS6_PKS6_NS0_5tupleIJS9_S6_EEENSD_IJSA_SA_EEENS0_18inequality_wrapperIZN2at6native12_GLOBAL__N_124unique_dim_cuda_templateIdEESt5tupleIJNSH_6TensorESM_SM_EERKSM_lbbbEUlllE0_EEPmJS6_EEE10hipError_tPvRmT3_T4_T5_T6_T7_T9_mT8_P12ihipStream_tbDpT10_ENKUlT_T0_E_clISt17integral_constantIbLb0EES1C_EEDaS17_S18_EUlS17_E_NS1_11comp_targetILNS1_3genE5ELNS1_11target_archE942ELNS1_3gpuE9ELNS1_3repE0EEENS1_30default_config_static_selectorELNS0_4arch9wavefront6targetE0EEEvT1_,comdat
.Lfunc_end808:
	.size	_ZN7rocprim17ROCPRIM_400000_NS6detail17trampoline_kernelINS0_14default_configENS1_25partition_config_selectorILNS1_17partition_subalgoE8ElNS0_10empty_typeEbEEZZNS1_14partition_implILS5_8ELb0ES3_jPlPS6_PKS6_NS0_5tupleIJS9_S6_EEENSD_IJSA_SA_EEENS0_18inequality_wrapperIZN2at6native12_GLOBAL__N_124unique_dim_cuda_templateIdEESt5tupleIJNSH_6TensorESM_SM_EERKSM_lbbbEUlllE0_EEPmJS6_EEE10hipError_tPvRmT3_T4_T5_T6_T7_T9_mT8_P12ihipStream_tbDpT10_ENKUlT_T0_E_clISt17integral_constantIbLb0EES1C_EEDaS17_S18_EUlS17_E_NS1_11comp_targetILNS1_3genE5ELNS1_11target_archE942ELNS1_3gpuE9ELNS1_3repE0EEENS1_30default_config_static_selectorELNS0_4arch9wavefront6targetE0EEEvT1_, .Lfunc_end808-_ZN7rocprim17ROCPRIM_400000_NS6detail17trampoline_kernelINS0_14default_configENS1_25partition_config_selectorILNS1_17partition_subalgoE8ElNS0_10empty_typeEbEEZZNS1_14partition_implILS5_8ELb0ES3_jPlPS6_PKS6_NS0_5tupleIJS9_S6_EEENSD_IJSA_SA_EEENS0_18inequality_wrapperIZN2at6native12_GLOBAL__N_124unique_dim_cuda_templateIdEESt5tupleIJNSH_6TensorESM_SM_EERKSM_lbbbEUlllE0_EEPmJS6_EEE10hipError_tPvRmT3_T4_T5_T6_T7_T9_mT8_P12ihipStream_tbDpT10_ENKUlT_T0_E_clISt17integral_constantIbLb0EES1C_EEDaS17_S18_EUlS17_E_NS1_11comp_targetILNS1_3genE5ELNS1_11target_archE942ELNS1_3gpuE9ELNS1_3repE0EEENS1_30default_config_static_selectorELNS0_4arch9wavefront6targetE0EEEvT1_
                                        ; -- End function
	.set _ZN7rocprim17ROCPRIM_400000_NS6detail17trampoline_kernelINS0_14default_configENS1_25partition_config_selectorILNS1_17partition_subalgoE8ElNS0_10empty_typeEbEEZZNS1_14partition_implILS5_8ELb0ES3_jPlPS6_PKS6_NS0_5tupleIJS9_S6_EEENSD_IJSA_SA_EEENS0_18inequality_wrapperIZN2at6native12_GLOBAL__N_124unique_dim_cuda_templateIdEESt5tupleIJNSH_6TensorESM_SM_EERKSM_lbbbEUlllE0_EEPmJS6_EEE10hipError_tPvRmT3_T4_T5_T6_T7_T9_mT8_P12ihipStream_tbDpT10_ENKUlT_T0_E_clISt17integral_constantIbLb0EES1C_EEDaS17_S18_EUlS17_E_NS1_11comp_targetILNS1_3genE5ELNS1_11target_archE942ELNS1_3gpuE9ELNS1_3repE0EEENS1_30default_config_static_selectorELNS0_4arch9wavefront6targetE0EEEvT1_.num_vgpr, 0
	.set _ZN7rocprim17ROCPRIM_400000_NS6detail17trampoline_kernelINS0_14default_configENS1_25partition_config_selectorILNS1_17partition_subalgoE8ElNS0_10empty_typeEbEEZZNS1_14partition_implILS5_8ELb0ES3_jPlPS6_PKS6_NS0_5tupleIJS9_S6_EEENSD_IJSA_SA_EEENS0_18inequality_wrapperIZN2at6native12_GLOBAL__N_124unique_dim_cuda_templateIdEESt5tupleIJNSH_6TensorESM_SM_EERKSM_lbbbEUlllE0_EEPmJS6_EEE10hipError_tPvRmT3_T4_T5_T6_T7_T9_mT8_P12ihipStream_tbDpT10_ENKUlT_T0_E_clISt17integral_constantIbLb0EES1C_EEDaS17_S18_EUlS17_E_NS1_11comp_targetILNS1_3genE5ELNS1_11target_archE942ELNS1_3gpuE9ELNS1_3repE0EEENS1_30default_config_static_selectorELNS0_4arch9wavefront6targetE0EEEvT1_.num_agpr, 0
	.set _ZN7rocprim17ROCPRIM_400000_NS6detail17trampoline_kernelINS0_14default_configENS1_25partition_config_selectorILNS1_17partition_subalgoE8ElNS0_10empty_typeEbEEZZNS1_14partition_implILS5_8ELb0ES3_jPlPS6_PKS6_NS0_5tupleIJS9_S6_EEENSD_IJSA_SA_EEENS0_18inequality_wrapperIZN2at6native12_GLOBAL__N_124unique_dim_cuda_templateIdEESt5tupleIJNSH_6TensorESM_SM_EERKSM_lbbbEUlllE0_EEPmJS6_EEE10hipError_tPvRmT3_T4_T5_T6_T7_T9_mT8_P12ihipStream_tbDpT10_ENKUlT_T0_E_clISt17integral_constantIbLb0EES1C_EEDaS17_S18_EUlS17_E_NS1_11comp_targetILNS1_3genE5ELNS1_11target_archE942ELNS1_3gpuE9ELNS1_3repE0EEENS1_30default_config_static_selectorELNS0_4arch9wavefront6targetE0EEEvT1_.numbered_sgpr, 0
	.set _ZN7rocprim17ROCPRIM_400000_NS6detail17trampoline_kernelINS0_14default_configENS1_25partition_config_selectorILNS1_17partition_subalgoE8ElNS0_10empty_typeEbEEZZNS1_14partition_implILS5_8ELb0ES3_jPlPS6_PKS6_NS0_5tupleIJS9_S6_EEENSD_IJSA_SA_EEENS0_18inequality_wrapperIZN2at6native12_GLOBAL__N_124unique_dim_cuda_templateIdEESt5tupleIJNSH_6TensorESM_SM_EERKSM_lbbbEUlllE0_EEPmJS6_EEE10hipError_tPvRmT3_T4_T5_T6_T7_T9_mT8_P12ihipStream_tbDpT10_ENKUlT_T0_E_clISt17integral_constantIbLb0EES1C_EEDaS17_S18_EUlS17_E_NS1_11comp_targetILNS1_3genE5ELNS1_11target_archE942ELNS1_3gpuE9ELNS1_3repE0EEENS1_30default_config_static_selectorELNS0_4arch9wavefront6targetE0EEEvT1_.num_named_barrier, 0
	.set _ZN7rocprim17ROCPRIM_400000_NS6detail17trampoline_kernelINS0_14default_configENS1_25partition_config_selectorILNS1_17partition_subalgoE8ElNS0_10empty_typeEbEEZZNS1_14partition_implILS5_8ELb0ES3_jPlPS6_PKS6_NS0_5tupleIJS9_S6_EEENSD_IJSA_SA_EEENS0_18inequality_wrapperIZN2at6native12_GLOBAL__N_124unique_dim_cuda_templateIdEESt5tupleIJNSH_6TensorESM_SM_EERKSM_lbbbEUlllE0_EEPmJS6_EEE10hipError_tPvRmT3_T4_T5_T6_T7_T9_mT8_P12ihipStream_tbDpT10_ENKUlT_T0_E_clISt17integral_constantIbLb0EES1C_EEDaS17_S18_EUlS17_E_NS1_11comp_targetILNS1_3genE5ELNS1_11target_archE942ELNS1_3gpuE9ELNS1_3repE0EEENS1_30default_config_static_selectorELNS0_4arch9wavefront6targetE0EEEvT1_.private_seg_size, 0
	.set _ZN7rocprim17ROCPRIM_400000_NS6detail17trampoline_kernelINS0_14default_configENS1_25partition_config_selectorILNS1_17partition_subalgoE8ElNS0_10empty_typeEbEEZZNS1_14partition_implILS5_8ELb0ES3_jPlPS6_PKS6_NS0_5tupleIJS9_S6_EEENSD_IJSA_SA_EEENS0_18inequality_wrapperIZN2at6native12_GLOBAL__N_124unique_dim_cuda_templateIdEESt5tupleIJNSH_6TensorESM_SM_EERKSM_lbbbEUlllE0_EEPmJS6_EEE10hipError_tPvRmT3_T4_T5_T6_T7_T9_mT8_P12ihipStream_tbDpT10_ENKUlT_T0_E_clISt17integral_constantIbLb0EES1C_EEDaS17_S18_EUlS17_E_NS1_11comp_targetILNS1_3genE5ELNS1_11target_archE942ELNS1_3gpuE9ELNS1_3repE0EEENS1_30default_config_static_selectorELNS0_4arch9wavefront6targetE0EEEvT1_.uses_vcc, 0
	.set _ZN7rocprim17ROCPRIM_400000_NS6detail17trampoline_kernelINS0_14default_configENS1_25partition_config_selectorILNS1_17partition_subalgoE8ElNS0_10empty_typeEbEEZZNS1_14partition_implILS5_8ELb0ES3_jPlPS6_PKS6_NS0_5tupleIJS9_S6_EEENSD_IJSA_SA_EEENS0_18inequality_wrapperIZN2at6native12_GLOBAL__N_124unique_dim_cuda_templateIdEESt5tupleIJNSH_6TensorESM_SM_EERKSM_lbbbEUlllE0_EEPmJS6_EEE10hipError_tPvRmT3_T4_T5_T6_T7_T9_mT8_P12ihipStream_tbDpT10_ENKUlT_T0_E_clISt17integral_constantIbLb0EES1C_EEDaS17_S18_EUlS17_E_NS1_11comp_targetILNS1_3genE5ELNS1_11target_archE942ELNS1_3gpuE9ELNS1_3repE0EEENS1_30default_config_static_selectorELNS0_4arch9wavefront6targetE0EEEvT1_.uses_flat_scratch, 0
	.set _ZN7rocprim17ROCPRIM_400000_NS6detail17trampoline_kernelINS0_14default_configENS1_25partition_config_selectorILNS1_17partition_subalgoE8ElNS0_10empty_typeEbEEZZNS1_14partition_implILS5_8ELb0ES3_jPlPS6_PKS6_NS0_5tupleIJS9_S6_EEENSD_IJSA_SA_EEENS0_18inequality_wrapperIZN2at6native12_GLOBAL__N_124unique_dim_cuda_templateIdEESt5tupleIJNSH_6TensorESM_SM_EERKSM_lbbbEUlllE0_EEPmJS6_EEE10hipError_tPvRmT3_T4_T5_T6_T7_T9_mT8_P12ihipStream_tbDpT10_ENKUlT_T0_E_clISt17integral_constantIbLb0EES1C_EEDaS17_S18_EUlS17_E_NS1_11comp_targetILNS1_3genE5ELNS1_11target_archE942ELNS1_3gpuE9ELNS1_3repE0EEENS1_30default_config_static_selectorELNS0_4arch9wavefront6targetE0EEEvT1_.has_dyn_sized_stack, 0
	.set _ZN7rocprim17ROCPRIM_400000_NS6detail17trampoline_kernelINS0_14default_configENS1_25partition_config_selectorILNS1_17partition_subalgoE8ElNS0_10empty_typeEbEEZZNS1_14partition_implILS5_8ELb0ES3_jPlPS6_PKS6_NS0_5tupleIJS9_S6_EEENSD_IJSA_SA_EEENS0_18inequality_wrapperIZN2at6native12_GLOBAL__N_124unique_dim_cuda_templateIdEESt5tupleIJNSH_6TensorESM_SM_EERKSM_lbbbEUlllE0_EEPmJS6_EEE10hipError_tPvRmT3_T4_T5_T6_T7_T9_mT8_P12ihipStream_tbDpT10_ENKUlT_T0_E_clISt17integral_constantIbLb0EES1C_EEDaS17_S18_EUlS17_E_NS1_11comp_targetILNS1_3genE5ELNS1_11target_archE942ELNS1_3gpuE9ELNS1_3repE0EEENS1_30default_config_static_selectorELNS0_4arch9wavefront6targetE0EEEvT1_.has_recursion, 0
	.set _ZN7rocprim17ROCPRIM_400000_NS6detail17trampoline_kernelINS0_14default_configENS1_25partition_config_selectorILNS1_17partition_subalgoE8ElNS0_10empty_typeEbEEZZNS1_14partition_implILS5_8ELb0ES3_jPlPS6_PKS6_NS0_5tupleIJS9_S6_EEENSD_IJSA_SA_EEENS0_18inequality_wrapperIZN2at6native12_GLOBAL__N_124unique_dim_cuda_templateIdEESt5tupleIJNSH_6TensorESM_SM_EERKSM_lbbbEUlllE0_EEPmJS6_EEE10hipError_tPvRmT3_T4_T5_T6_T7_T9_mT8_P12ihipStream_tbDpT10_ENKUlT_T0_E_clISt17integral_constantIbLb0EES1C_EEDaS17_S18_EUlS17_E_NS1_11comp_targetILNS1_3genE5ELNS1_11target_archE942ELNS1_3gpuE9ELNS1_3repE0EEENS1_30default_config_static_selectorELNS0_4arch9wavefront6targetE0EEEvT1_.has_indirect_call, 0
	.section	.AMDGPU.csdata,"",@progbits
; Kernel info:
; codeLenInByte = 0
; TotalNumSgprs: 0
; NumVgprs: 0
; ScratchSize: 0
; MemoryBound: 0
; FloatMode: 240
; IeeeMode: 1
; LDSByteSize: 0 bytes/workgroup (compile time only)
; SGPRBlocks: 0
; VGPRBlocks: 0
; NumSGPRsForWavesPerEU: 1
; NumVGPRsForWavesPerEU: 1
; NamedBarCnt: 0
; Occupancy: 16
; WaveLimiterHint : 0
; COMPUTE_PGM_RSRC2:SCRATCH_EN: 0
; COMPUTE_PGM_RSRC2:USER_SGPR: 2
; COMPUTE_PGM_RSRC2:TRAP_HANDLER: 0
; COMPUTE_PGM_RSRC2:TGID_X_EN: 1
; COMPUTE_PGM_RSRC2:TGID_Y_EN: 0
; COMPUTE_PGM_RSRC2:TGID_Z_EN: 0
; COMPUTE_PGM_RSRC2:TIDIG_COMP_CNT: 0
	.section	.text._ZN7rocprim17ROCPRIM_400000_NS6detail17trampoline_kernelINS0_14default_configENS1_25partition_config_selectorILNS1_17partition_subalgoE8ElNS0_10empty_typeEbEEZZNS1_14partition_implILS5_8ELb0ES3_jPlPS6_PKS6_NS0_5tupleIJS9_S6_EEENSD_IJSA_SA_EEENS0_18inequality_wrapperIZN2at6native12_GLOBAL__N_124unique_dim_cuda_templateIdEESt5tupleIJNSH_6TensorESM_SM_EERKSM_lbbbEUlllE0_EEPmJS6_EEE10hipError_tPvRmT3_T4_T5_T6_T7_T9_mT8_P12ihipStream_tbDpT10_ENKUlT_T0_E_clISt17integral_constantIbLb0EES1C_EEDaS17_S18_EUlS17_E_NS1_11comp_targetILNS1_3genE4ELNS1_11target_archE910ELNS1_3gpuE8ELNS1_3repE0EEENS1_30default_config_static_selectorELNS0_4arch9wavefront6targetE0EEEvT1_,"axG",@progbits,_ZN7rocprim17ROCPRIM_400000_NS6detail17trampoline_kernelINS0_14default_configENS1_25partition_config_selectorILNS1_17partition_subalgoE8ElNS0_10empty_typeEbEEZZNS1_14partition_implILS5_8ELb0ES3_jPlPS6_PKS6_NS0_5tupleIJS9_S6_EEENSD_IJSA_SA_EEENS0_18inequality_wrapperIZN2at6native12_GLOBAL__N_124unique_dim_cuda_templateIdEESt5tupleIJNSH_6TensorESM_SM_EERKSM_lbbbEUlllE0_EEPmJS6_EEE10hipError_tPvRmT3_T4_T5_T6_T7_T9_mT8_P12ihipStream_tbDpT10_ENKUlT_T0_E_clISt17integral_constantIbLb0EES1C_EEDaS17_S18_EUlS17_E_NS1_11comp_targetILNS1_3genE4ELNS1_11target_archE910ELNS1_3gpuE8ELNS1_3repE0EEENS1_30default_config_static_selectorELNS0_4arch9wavefront6targetE0EEEvT1_,comdat
	.globl	_ZN7rocprim17ROCPRIM_400000_NS6detail17trampoline_kernelINS0_14default_configENS1_25partition_config_selectorILNS1_17partition_subalgoE8ElNS0_10empty_typeEbEEZZNS1_14partition_implILS5_8ELb0ES3_jPlPS6_PKS6_NS0_5tupleIJS9_S6_EEENSD_IJSA_SA_EEENS0_18inequality_wrapperIZN2at6native12_GLOBAL__N_124unique_dim_cuda_templateIdEESt5tupleIJNSH_6TensorESM_SM_EERKSM_lbbbEUlllE0_EEPmJS6_EEE10hipError_tPvRmT3_T4_T5_T6_T7_T9_mT8_P12ihipStream_tbDpT10_ENKUlT_T0_E_clISt17integral_constantIbLb0EES1C_EEDaS17_S18_EUlS17_E_NS1_11comp_targetILNS1_3genE4ELNS1_11target_archE910ELNS1_3gpuE8ELNS1_3repE0EEENS1_30default_config_static_selectorELNS0_4arch9wavefront6targetE0EEEvT1_ ; -- Begin function _ZN7rocprim17ROCPRIM_400000_NS6detail17trampoline_kernelINS0_14default_configENS1_25partition_config_selectorILNS1_17partition_subalgoE8ElNS0_10empty_typeEbEEZZNS1_14partition_implILS5_8ELb0ES3_jPlPS6_PKS6_NS0_5tupleIJS9_S6_EEENSD_IJSA_SA_EEENS0_18inequality_wrapperIZN2at6native12_GLOBAL__N_124unique_dim_cuda_templateIdEESt5tupleIJNSH_6TensorESM_SM_EERKSM_lbbbEUlllE0_EEPmJS6_EEE10hipError_tPvRmT3_T4_T5_T6_T7_T9_mT8_P12ihipStream_tbDpT10_ENKUlT_T0_E_clISt17integral_constantIbLb0EES1C_EEDaS17_S18_EUlS17_E_NS1_11comp_targetILNS1_3genE4ELNS1_11target_archE910ELNS1_3gpuE8ELNS1_3repE0EEENS1_30default_config_static_selectorELNS0_4arch9wavefront6targetE0EEEvT1_
	.p2align	8
	.type	_ZN7rocprim17ROCPRIM_400000_NS6detail17trampoline_kernelINS0_14default_configENS1_25partition_config_selectorILNS1_17partition_subalgoE8ElNS0_10empty_typeEbEEZZNS1_14partition_implILS5_8ELb0ES3_jPlPS6_PKS6_NS0_5tupleIJS9_S6_EEENSD_IJSA_SA_EEENS0_18inequality_wrapperIZN2at6native12_GLOBAL__N_124unique_dim_cuda_templateIdEESt5tupleIJNSH_6TensorESM_SM_EERKSM_lbbbEUlllE0_EEPmJS6_EEE10hipError_tPvRmT3_T4_T5_T6_T7_T9_mT8_P12ihipStream_tbDpT10_ENKUlT_T0_E_clISt17integral_constantIbLb0EES1C_EEDaS17_S18_EUlS17_E_NS1_11comp_targetILNS1_3genE4ELNS1_11target_archE910ELNS1_3gpuE8ELNS1_3repE0EEENS1_30default_config_static_selectorELNS0_4arch9wavefront6targetE0EEEvT1_,@function
_ZN7rocprim17ROCPRIM_400000_NS6detail17trampoline_kernelINS0_14default_configENS1_25partition_config_selectorILNS1_17partition_subalgoE8ElNS0_10empty_typeEbEEZZNS1_14partition_implILS5_8ELb0ES3_jPlPS6_PKS6_NS0_5tupleIJS9_S6_EEENSD_IJSA_SA_EEENS0_18inequality_wrapperIZN2at6native12_GLOBAL__N_124unique_dim_cuda_templateIdEESt5tupleIJNSH_6TensorESM_SM_EERKSM_lbbbEUlllE0_EEPmJS6_EEE10hipError_tPvRmT3_T4_T5_T6_T7_T9_mT8_P12ihipStream_tbDpT10_ENKUlT_T0_E_clISt17integral_constantIbLb0EES1C_EEDaS17_S18_EUlS17_E_NS1_11comp_targetILNS1_3genE4ELNS1_11target_archE910ELNS1_3gpuE8ELNS1_3repE0EEENS1_30default_config_static_selectorELNS0_4arch9wavefront6targetE0EEEvT1_: ; @_ZN7rocprim17ROCPRIM_400000_NS6detail17trampoline_kernelINS0_14default_configENS1_25partition_config_selectorILNS1_17partition_subalgoE8ElNS0_10empty_typeEbEEZZNS1_14partition_implILS5_8ELb0ES3_jPlPS6_PKS6_NS0_5tupleIJS9_S6_EEENSD_IJSA_SA_EEENS0_18inequality_wrapperIZN2at6native12_GLOBAL__N_124unique_dim_cuda_templateIdEESt5tupleIJNSH_6TensorESM_SM_EERKSM_lbbbEUlllE0_EEPmJS6_EEE10hipError_tPvRmT3_T4_T5_T6_T7_T9_mT8_P12ihipStream_tbDpT10_ENKUlT_T0_E_clISt17integral_constantIbLb0EES1C_EEDaS17_S18_EUlS17_E_NS1_11comp_targetILNS1_3genE4ELNS1_11target_archE910ELNS1_3gpuE8ELNS1_3repE0EEENS1_30default_config_static_selectorELNS0_4arch9wavefront6targetE0EEEvT1_
; %bb.0:
	.section	.rodata,"a",@progbits
	.p2align	6, 0x0
	.amdhsa_kernel _ZN7rocprim17ROCPRIM_400000_NS6detail17trampoline_kernelINS0_14default_configENS1_25partition_config_selectorILNS1_17partition_subalgoE8ElNS0_10empty_typeEbEEZZNS1_14partition_implILS5_8ELb0ES3_jPlPS6_PKS6_NS0_5tupleIJS9_S6_EEENSD_IJSA_SA_EEENS0_18inequality_wrapperIZN2at6native12_GLOBAL__N_124unique_dim_cuda_templateIdEESt5tupleIJNSH_6TensorESM_SM_EERKSM_lbbbEUlllE0_EEPmJS6_EEE10hipError_tPvRmT3_T4_T5_T6_T7_T9_mT8_P12ihipStream_tbDpT10_ENKUlT_T0_E_clISt17integral_constantIbLb0EES1C_EEDaS17_S18_EUlS17_E_NS1_11comp_targetILNS1_3genE4ELNS1_11target_archE910ELNS1_3gpuE8ELNS1_3repE0EEENS1_30default_config_static_selectorELNS0_4arch9wavefront6targetE0EEEvT1_
		.amdhsa_group_segment_fixed_size 0
		.amdhsa_private_segment_fixed_size 0
		.amdhsa_kernarg_size 120
		.amdhsa_user_sgpr_count 2
		.amdhsa_user_sgpr_dispatch_ptr 0
		.amdhsa_user_sgpr_queue_ptr 0
		.amdhsa_user_sgpr_kernarg_segment_ptr 1
		.amdhsa_user_sgpr_dispatch_id 0
		.amdhsa_user_sgpr_kernarg_preload_length 0
		.amdhsa_user_sgpr_kernarg_preload_offset 0
		.amdhsa_user_sgpr_private_segment_size 0
		.amdhsa_wavefront_size32 1
		.amdhsa_uses_dynamic_stack 0
		.amdhsa_enable_private_segment 0
		.amdhsa_system_sgpr_workgroup_id_x 1
		.amdhsa_system_sgpr_workgroup_id_y 0
		.amdhsa_system_sgpr_workgroup_id_z 0
		.amdhsa_system_sgpr_workgroup_info 0
		.amdhsa_system_vgpr_workitem_id 0
		.amdhsa_next_free_vgpr 1
		.amdhsa_next_free_sgpr 1
		.amdhsa_named_barrier_count 0
		.amdhsa_reserve_vcc 0
		.amdhsa_float_round_mode_32 0
		.amdhsa_float_round_mode_16_64 0
		.amdhsa_float_denorm_mode_32 3
		.amdhsa_float_denorm_mode_16_64 3
		.amdhsa_fp16_overflow 0
		.amdhsa_memory_ordered 1
		.amdhsa_forward_progress 1
		.amdhsa_inst_pref_size 0
		.amdhsa_round_robin_scheduling 0
		.amdhsa_exception_fp_ieee_invalid_op 0
		.amdhsa_exception_fp_denorm_src 0
		.amdhsa_exception_fp_ieee_div_zero 0
		.amdhsa_exception_fp_ieee_overflow 0
		.amdhsa_exception_fp_ieee_underflow 0
		.amdhsa_exception_fp_ieee_inexact 0
		.amdhsa_exception_int_div_zero 0
	.end_amdhsa_kernel
	.section	.text._ZN7rocprim17ROCPRIM_400000_NS6detail17trampoline_kernelINS0_14default_configENS1_25partition_config_selectorILNS1_17partition_subalgoE8ElNS0_10empty_typeEbEEZZNS1_14partition_implILS5_8ELb0ES3_jPlPS6_PKS6_NS0_5tupleIJS9_S6_EEENSD_IJSA_SA_EEENS0_18inequality_wrapperIZN2at6native12_GLOBAL__N_124unique_dim_cuda_templateIdEESt5tupleIJNSH_6TensorESM_SM_EERKSM_lbbbEUlllE0_EEPmJS6_EEE10hipError_tPvRmT3_T4_T5_T6_T7_T9_mT8_P12ihipStream_tbDpT10_ENKUlT_T0_E_clISt17integral_constantIbLb0EES1C_EEDaS17_S18_EUlS17_E_NS1_11comp_targetILNS1_3genE4ELNS1_11target_archE910ELNS1_3gpuE8ELNS1_3repE0EEENS1_30default_config_static_selectorELNS0_4arch9wavefront6targetE0EEEvT1_,"axG",@progbits,_ZN7rocprim17ROCPRIM_400000_NS6detail17trampoline_kernelINS0_14default_configENS1_25partition_config_selectorILNS1_17partition_subalgoE8ElNS0_10empty_typeEbEEZZNS1_14partition_implILS5_8ELb0ES3_jPlPS6_PKS6_NS0_5tupleIJS9_S6_EEENSD_IJSA_SA_EEENS0_18inequality_wrapperIZN2at6native12_GLOBAL__N_124unique_dim_cuda_templateIdEESt5tupleIJNSH_6TensorESM_SM_EERKSM_lbbbEUlllE0_EEPmJS6_EEE10hipError_tPvRmT3_T4_T5_T6_T7_T9_mT8_P12ihipStream_tbDpT10_ENKUlT_T0_E_clISt17integral_constantIbLb0EES1C_EEDaS17_S18_EUlS17_E_NS1_11comp_targetILNS1_3genE4ELNS1_11target_archE910ELNS1_3gpuE8ELNS1_3repE0EEENS1_30default_config_static_selectorELNS0_4arch9wavefront6targetE0EEEvT1_,comdat
.Lfunc_end809:
	.size	_ZN7rocprim17ROCPRIM_400000_NS6detail17trampoline_kernelINS0_14default_configENS1_25partition_config_selectorILNS1_17partition_subalgoE8ElNS0_10empty_typeEbEEZZNS1_14partition_implILS5_8ELb0ES3_jPlPS6_PKS6_NS0_5tupleIJS9_S6_EEENSD_IJSA_SA_EEENS0_18inequality_wrapperIZN2at6native12_GLOBAL__N_124unique_dim_cuda_templateIdEESt5tupleIJNSH_6TensorESM_SM_EERKSM_lbbbEUlllE0_EEPmJS6_EEE10hipError_tPvRmT3_T4_T5_T6_T7_T9_mT8_P12ihipStream_tbDpT10_ENKUlT_T0_E_clISt17integral_constantIbLb0EES1C_EEDaS17_S18_EUlS17_E_NS1_11comp_targetILNS1_3genE4ELNS1_11target_archE910ELNS1_3gpuE8ELNS1_3repE0EEENS1_30default_config_static_selectorELNS0_4arch9wavefront6targetE0EEEvT1_, .Lfunc_end809-_ZN7rocprim17ROCPRIM_400000_NS6detail17trampoline_kernelINS0_14default_configENS1_25partition_config_selectorILNS1_17partition_subalgoE8ElNS0_10empty_typeEbEEZZNS1_14partition_implILS5_8ELb0ES3_jPlPS6_PKS6_NS0_5tupleIJS9_S6_EEENSD_IJSA_SA_EEENS0_18inequality_wrapperIZN2at6native12_GLOBAL__N_124unique_dim_cuda_templateIdEESt5tupleIJNSH_6TensorESM_SM_EERKSM_lbbbEUlllE0_EEPmJS6_EEE10hipError_tPvRmT3_T4_T5_T6_T7_T9_mT8_P12ihipStream_tbDpT10_ENKUlT_T0_E_clISt17integral_constantIbLb0EES1C_EEDaS17_S18_EUlS17_E_NS1_11comp_targetILNS1_3genE4ELNS1_11target_archE910ELNS1_3gpuE8ELNS1_3repE0EEENS1_30default_config_static_selectorELNS0_4arch9wavefront6targetE0EEEvT1_
                                        ; -- End function
	.set _ZN7rocprim17ROCPRIM_400000_NS6detail17trampoline_kernelINS0_14default_configENS1_25partition_config_selectorILNS1_17partition_subalgoE8ElNS0_10empty_typeEbEEZZNS1_14partition_implILS5_8ELb0ES3_jPlPS6_PKS6_NS0_5tupleIJS9_S6_EEENSD_IJSA_SA_EEENS0_18inequality_wrapperIZN2at6native12_GLOBAL__N_124unique_dim_cuda_templateIdEESt5tupleIJNSH_6TensorESM_SM_EERKSM_lbbbEUlllE0_EEPmJS6_EEE10hipError_tPvRmT3_T4_T5_T6_T7_T9_mT8_P12ihipStream_tbDpT10_ENKUlT_T0_E_clISt17integral_constantIbLb0EES1C_EEDaS17_S18_EUlS17_E_NS1_11comp_targetILNS1_3genE4ELNS1_11target_archE910ELNS1_3gpuE8ELNS1_3repE0EEENS1_30default_config_static_selectorELNS0_4arch9wavefront6targetE0EEEvT1_.num_vgpr, 0
	.set _ZN7rocprim17ROCPRIM_400000_NS6detail17trampoline_kernelINS0_14default_configENS1_25partition_config_selectorILNS1_17partition_subalgoE8ElNS0_10empty_typeEbEEZZNS1_14partition_implILS5_8ELb0ES3_jPlPS6_PKS6_NS0_5tupleIJS9_S6_EEENSD_IJSA_SA_EEENS0_18inequality_wrapperIZN2at6native12_GLOBAL__N_124unique_dim_cuda_templateIdEESt5tupleIJNSH_6TensorESM_SM_EERKSM_lbbbEUlllE0_EEPmJS6_EEE10hipError_tPvRmT3_T4_T5_T6_T7_T9_mT8_P12ihipStream_tbDpT10_ENKUlT_T0_E_clISt17integral_constantIbLb0EES1C_EEDaS17_S18_EUlS17_E_NS1_11comp_targetILNS1_3genE4ELNS1_11target_archE910ELNS1_3gpuE8ELNS1_3repE0EEENS1_30default_config_static_selectorELNS0_4arch9wavefront6targetE0EEEvT1_.num_agpr, 0
	.set _ZN7rocprim17ROCPRIM_400000_NS6detail17trampoline_kernelINS0_14default_configENS1_25partition_config_selectorILNS1_17partition_subalgoE8ElNS0_10empty_typeEbEEZZNS1_14partition_implILS5_8ELb0ES3_jPlPS6_PKS6_NS0_5tupleIJS9_S6_EEENSD_IJSA_SA_EEENS0_18inequality_wrapperIZN2at6native12_GLOBAL__N_124unique_dim_cuda_templateIdEESt5tupleIJNSH_6TensorESM_SM_EERKSM_lbbbEUlllE0_EEPmJS6_EEE10hipError_tPvRmT3_T4_T5_T6_T7_T9_mT8_P12ihipStream_tbDpT10_ENKUlT_T0_E_clISt17integral_constantIbLb0EES1C_EEDaS17_S18_EUlS17_E_NS1_11comp_targetILNS1_3genE4ELNS1_11target_archE910ELNS1_3gpuE8ELNS1_3repE0EEENS1_30default_config_static_selectorELNS0_4arch9wavefront6targetE0EEEvT1_.numbered_sgpr, 0
	.set _ZN7rocprim17ROCPRIM_400000_NS6detail17trampoline_kernelINS0_14default_configENS1_25partition_config_selectorILNS1_17partition_subalgoE8ElNS0_10empty_typeEbEEZZNS1_14partition_implILS5_8ELb0ES3_jPlPS6_PKS6_NS0_5tupleIJS9_S6_EEENSD_IJSA_SA_EEENS0_18inequality_wrapperIZN2at6native12_GLOBAL__N_124unique_dim_cuda_templateIdEESt5tupleIJNSH_6TensorESM_SM_EERKSM_lbbbEUlllE0_EEPmJS6_EEE10hipError_tPvRmT3_T4_T5_T6_T7_T9_mT8_P12ihipStream_tbDpT10_ENKUlT_T0_E_clISt17integral_constantIbLb0EES1C_EEDaS17_S18_EUlS17_E_NS1_11comp_targetILNS1_3genE4ELNS1_11target_archE910ELNS1_3gpuE8ELNS1_3repE0EEENS1_30default_config_static_selectorELNS0_4arch9wavefront6targetE0EEEvT1_.num_named_barrier, 0
	.set _ZN7rocprim17ROCPRIM_400000_NS6detail17trampoline_kernelINS0_14default_configENS1_25partition_config_selectorILNS1_17partition_subalgoE8ElNS0_10empty_typeEbEEZZNS1_14partition_implILS5_8ELb0ES3_jPlPS6_PKS6_NS0_5tupleIJS9_S6_EEENSD_IJSA_SA_EEENS0_18inequality_wrapperIZN2at6native12_GLOBAL__N_124unique_dim_cuda_templateIdEESt5tupleIJNSH_6TensorESM_SM_EERKSM_lbbbEUlllE0_EEPmJS6_EEE10hipError_tPvRmT3_T4_T5_T6_T7_T9_mT8_P12ihipStream_tbDpT10_ENKUlT_T0_E_clISt17integral_constantIbLb0EES1C_EEDaS17_S18_EUlS17_E_NS1_11comp_targetILNS1_3genE4ELNS1_11target_archE910ELNS1_3gpuE8ELNS1_3repE0EEENS1_30default_config_static_selectorELNS0_4arch9wavefront6targetE0EEEvT1_.private_seg_size, 0
	.set _ZN7rocprim17ROCPRIM_400000_NS6detail17trampoline_kernelINS0_14default_configENS1_25partition_config_selectorILNS1_17partition_subalgoE8ElNS0_10empty_typeEbEEZZNS1_14partition_implILS5_8ELb0ES3_jPlPS6_PKS6_NS0_5tupleIJS9_S6_EEENSD_IJSA_SA_EEENS0_18inequality_wrapperIZN2at6native12_GLOBAL__N_124unique_dim_cuda_templateIdEESt5tupleIJNSH_6TensorESM_SM_EERKSM_lbbbEUlllE0_EEPmJS6_EEE10hipError_tPvRmT3_T4_T5_T6_T7_T9_mT8_P12ihipStream_tbDpT10_ENKUlT_T0_E_clISt17integral_constantIbLb0EES1C_EEDaS17_S18_EUlS17_E_NS1_11comp_targetILNS1_3genE4ELNS1_11target_archE910ELNS1_3gpuE8ELNS1_3repE0EEENS1_30default_config_static_selectorELNS0_4arch9wavefront6targetE0EEEvT1_.uses_vcc, 0
	.set _ZN7rocprim17ROCPRIM_400000_NS6detail17trampoline_kernelINS0_14default_configENS1_25partition_config_selectorILNS1_17partition_subalgoE8ElNS0_10empty_typeEbEEZZNS1_14partition_implILS5_8ELb0ES3_jPlPS6_PKS6_NS0_5tupleIJS9_S6_EEENSD_IJSA_SA_EEENS0_18inequality_wrapperIZN2at6native12_GLOBAL__N_124unique_dim_cuda_templateIdEESt5tupleIJNSH_6TensorESM_SM_EERKSM_lbbbEUlllE0_EEPmJS6_EEE10hipError_tPvRmT3_T4_T5_T6_T7_T9_mT8_P12ihipStream_tbDpT10_ENKUlT_T0_E_clISt17integral_constantIbLb0EES1C_EEDaS17_S18_EUlS17_E_NS1_11comp_targetILNS1_3genE4ELNS1_11target_archE910ELNS1_3gpuE8ELNS1_3repE0EEENS1_30default_config_static_selectorELNS0_4arch9wavefront6targetE0EEEvT1_.uses_flat_scratch, 0
	.set _ZN7rocprim17ROCPRIM_400000_NS6detail17trampoline_kernelINS0_14default_configENS1_25partition_config_selectorILNS1_17partition_subalgoE8ElNS0_10empty_typeEbEEZZNS1_14partition_implILS5_8ELb0ES3_jPlPS6_PKS6_NS0_5tupleIJS9_S6_EEENSD_IJSA_SA_EEENS0_18inequality_wrapperIZN2at6native12_GLOBAL__N_124unique_dim_cuda_templateIdEESt5tupleIJNSH_6TensorESM_SM_EERKSM_lbbbEUlllE0_EEPmJS6_EEE10hipError_tPvRmT3_T4_T5_T6_T7_T9_mT8_P12ihipStream_tbDpT10_ENKUlT_T0_E_clISt17integral_constantIbLb0EES1C_EEDaS17_S18_EUlS17_E_NS1_11comp_targetILNS1_3genE4ELNS1_11target_archE910ELNS1_3gpuE8ELNS1_3repE0EEENS1_30default_config_static_selectorELNS0_4arch9wavefront6targetE0EEEvT1_.has_dyn_sized_stack, 0
	.set _ZN7rocprim17ROCPRIM_400000_NS6detail17trampoline_kernelINS0_14default_configENS1_25partition_config_selectorILNS1_17partition_subalgoE8ElNS0_10empty_typeEbEEZZNS1_14partition_implILS5_8ELb0ES3_jPlPS6_PKS6_NS0_5tupleIJS9_S6_EEENSD_IJSA_SA_EEENS0_18inequality_wrapperIZN2at6native12_GLOBAL__N_124unique_dim_cuda_templateIdEESt5tupleIJNSH_6TensorESM_SM_EERKSM_lbbbEUlllE0_EEPmJS6_EEE10hipError_tPvRmT3_T4_T5_T6_T7_T9_mT8_P12ihipStream_tbDpT10_ENKUlT_T0_E_clISt17integral_constantIbLb0EES1C_EEDaS17_S18_EUlS17_E_NS1_11comp_targetILNS1_3genE4ELNS1_11target_archE910ELNS1_3gpuE8ELNS1_3repE0EEENS1_30default_config_static_selectorELNS0_4arch9wavefront6targetE0EEEvT1_.has_recursion, 0
	.set _ZN7rocprim17ROCPRIM_400000_NS6detail17trampoline_kernelINS0_14default_configENS1_25partition_config_selectorILNS1_17partition_subalgoE8ElNS0_10empty_typeEbEEZZNS1_14partition_implILS5_8ELb0ES3_jPlPS6_PKS6_NS0_5tupleIJS9_S6_EEENSD_IJSA_SA_EEENS0_18inequality_wrapperIZN2at6native12_GLOBAL__N_124unique_dim_cuda_templateIdEESt5tupleIJNSH_6TensorESM_SM_EERKSM_lbbbEUlllE0_EEPmJS6_EEE10hipError_tPvRmT3_T4_T5_T6_T7_T9_mT8_P12ihipStream_tbDpT10_ENKUlT_T0_E_clISt17integral_constantIbLb0EES1C_EEDaS17_S18_EUlS17_E_NS1_11comp_targetILNS1_3genE4ELNS1_11target_archE910ELNS1_3gpuE8ELNS1_3repE0EEENS1_30default_config_static_selectorELNS0_4arch9wavefront6targetE0EEEvT1_.has_indirect_call, 0
	.section	.AMDGPU.csdata,"",@progbits
; Kernel info:
; codeLenInByte = 0
; TotalNumSgprs: 0
; NumVgprs: 0
; ScratchSize: 0
; MemoryBound: 0
; FloatMode: 240
; IeeeMode: 1
; LDSByteSize: 0 bytes/workgroup (compile time only)
; SGPRBlocks: 0
; VGPRBlocks: 0
; NumSGPRsForWavesPerEU: 1
; NumVGPRsForWavesPerEU: 1
; NamedBarCnt: 0
; Occupancy: 16
; WaveLimiterHint : 0
; COMPUTE_PGM_RSRC2:SCRATCH_EN: 0
; COMPUTE_PGM_RSRC2:USER_SGPR: 2
; COMPUTE_PGM_RSRC2:TRAP_HANDLER: 0
; COMPUTE_PGM_RSRC2:TGID_X_EN: 1
; COMPUTE_PGM_RSRC2:TGID_Y_EN: 0
; COMPUTE_PGM_RSRC2:TGID_Z_EN: 0
; COMPUTE_PGM_RSRC2:TIDIG_COMP_CNT: 0
	.section	.text._ZN7rocprim17ROCPRIM_400000_NS6detail17trampoline_kernelINS0_14default_configENS1_25partition_config_selectorILNS1_17partition_subalgoE8ElNS0_10empty_typeEbEEZZNS1_14partition_implILS5_8ELb0ES3_jPlPS6_PKS6_NS0_5tupleIJS9_S6_EEENSD_IJSA_SA_EEENS0_18inequality_wrapperIZN2at6native12_GLOBAL__N_124unique_dim_cuda_templateIdEESt5tupleIJNSH_6TensorESM_SM_EERKSM_lbbbEUlllE0_EEPmJS6_EEE10hipError_tPvRmT3_T4_T5_T6_T7_T9_mT8_P12ihipStream_tbDpT10_ENKUlT_T0_E_clISt17integral_constantIbLb0EES1C_EEDaS17_S18_EUlS17_E_NS1_11comp_targetILNS1_3genE3ELNS1_11target_archE908ELNS1_3gpuE7ELNS1_3repE0EEENS1_30default_config_static_selectorELNS0_4arch9wavefront6targetE0EEEvT1_,"axG",@progbits,_ZN7rocprim17ROCPRIM_400000_NS6detail17trampoline_kernelINS0_14default_configENS1_25partition_config_selectorILNS1_17partition_subalgoE8ElNS0_10empty_typeEbEEZZNS1_14partition_implILS5_8ELb0ES3_jPlPS6_PKS6_NS0_5tupleIJS9_S6_EEENSD_IJSA_SA_EEENS0_18inequality_wrapperIZN2at6native12_GLOBAL__N_124unique_dim_cuda_templateIdEESt5tupleIJNSH_6TensorESM_SM_EERKSM_lbbbEUlllE0_EEPmJS6_EEE10hipError_tPvRmT3_T4_T5_T6_T7_T9_mT8_P12ihipStream_tbDpT10_ENKUlT_T0_E_clISt17integral_constantIbLb0EES1C_EEDaS17_S18_EUlS17_E_NS1_11comp_targetILNS1_3genE3ELNS1_11target_archE908ELNS1_3gpuE7ELNS1_3repE0EEENS1_30default_config_static_selectorELNS0_4arch9wavefront6targetE0EEEvT1_,comdat
	.globl	_ZN7rocprim17ROCPRIM_400000_NS6detail17trampoline_kernelINS0_14default_configENS1_25partition_config_selectorILNS1_17partition_subalgoE8ElNS0_10empty_typeEbEEZZNS1_14partition_implILS5_8ELb0ES3_jPlPS6_PKS6_NS0_5tupleIJS9_S6_EEENSD_IJSA_SA_EEENS0_18inequality_wrapperIZN2at6native12_GLOBAL__N_124unique_dim_cuda_templateIdEESt5tupleIJNSH_6TensorESM_SM_EERKSM_lbbbEUlllE0_EEPmJS6_EEE10hipError_tPvRmT3_T4_T5_T6_T7_T9_mT8_P12ihipStream_tbDpT10_ENKUlT_T0_E_clISt17integral_constantIbLb0EES1C_EEDaS17_S18_EUlS17_E_NS1_11comp_targetILNS1_3genE3ELNS1_11target_archE908ELNS1_3gpuE7ELNS1_3repE0EEENS1_30default_config_static_selectorELNS0_4arch9wavefront6targetE0EEEvT1_ ; -- Begin function _ZN7rocprim17ROCPRIM_400000_NS6detail17trampoline_kernelINS0_14default_configENS1_25partition_config_selectorILNS1_17partition_subalgoE8ElNS0_10empty_typeEbEEZZNS1_14partition_implILS5_8ELb0ES3_jPlPS6_PKS6_NS0_5tupleIJS9_S6_EEENSD_IJSA_SA_EEENS0_18inequality_wrapperIZN2at6native12_GLOBAL__N_124unique_dim_cuda_templateIdEESt5tupleIJNSH_6TensorESM_SM_EERKSM_lbbbEUlllE0_EEPmJS6_EEE10hipError_tPvRmT3_T4_T5_T6_T7_T9_mT8_P12ihipStream_tbDpT10_ENKUlT_T0_E_clISt17integral_constantIbLb0EES1C_EEDaS17_S18_EUlS17_E_NS1_11comp_targetILNS1_3genE3ELNS1_11target_archE908ELNS1_3gpuE7ELNS1_3repE0EEENS1_30default_config_static_selectorELNS0_4arch9wavefront6targetE0EEEvT1_
	.p2align	8
	.type	_ZN7rocprim17ROCPRIM_400000_NS6detail17trampoline_kernelINS0_14default_configENS1_25partition_config_selectorILNS1_17partition_subalgoE8ElNS0_10empty_typeEbEEZZNS1_14partition_implILS5_8ELb0ES3_jPlPS6_PKS6_NS0_5tupleIJS9_S6_EEENSD_IJSA_SA_EEENS0_18inequality_wrapperIZN2at6native12_GLOBAL__N_124unique_dim_cuda_templateIdEESt5tupleIJNSH_6TensorESM_SM_EERKSM_lbbbEUlllE0_EEPmJS6_EEE10hipError_tPvRmT3_T4_T5_T6_T7_T9_mT8_P12ihipStream_tbDpT10_ENKUlT_T0_E_clISt17integral_constantIbLb0EES1C_EEDaS17_S18_EUlS17_E_NS1_11comp_targetILNS1_3genE3ELNS1_11target_archE908ELNS1_3gpuE7ELNS1_3repE0EEENS1_30default_config_static_selectorELNS0_4arch9wavefront6targetE0EEEvT1_,@function
_ZN7rocprim17ROCPRIM_400000_NS6detail17trampoline_kernelINS0_14default_configENS1_25partition_config_selectorILNS1_17partition_subalgoE8ElNS0_10empty_typeEbEEZZNS1_14partition_implILS5_8ELb0ES3_jPlPS6_PKS6_NS0_5tupleIJS9_S6_EEENSD_IJSA_SA_EEENS0_18inequality_wrapperIZN2at6native12_GLOBAL__N_124unique_dim_cuda_templateIdEESt5tupleIJNSH_6TensorESM_SM_EERKSM_lbbbEUlllE0_EEPmJS6_EEE10hipError_tPvRmT3_T4_T5_T6_T7_T9_mT8_P12ihipStream_tbDpT10_ENKUlT_T0_E_clISt17integral_constantIbLb0EES1C_EEDaS17_S18_EUlS17_E_NS1_11comp_targetILNS1_3genE3ELNS1_11target_archE908ELNS1_3gpuE7ELNS1_3repE0EEENS1_30default_config_static_selectorELNS0_4arch9wavefront6targetE0EEEvT1_: ; @_ZN7rocprim17ROCPRIM_400000_NS6detail17trampoline_kernelINS0_14default_configENS1_25partition_config_selectorILNS1_17partition_subalgoE8ElNS0_10empty_typeEbEEZZNS1_14partition_implILS5_8ELb0ES3_jPlPS6_PKS6_NS0_5tupleIJS9_S6_EEENSD_IJSA_SA_EEENS0_18inequality_wrapperIZN2at6native12_GLOBAL__N_124unique_dim_cuda_templateIdEESt5tupleIJNSH_6TensorESM_SM_EERKSM_lbbbEUlllE0_EEPmJS6_EEE10hipError_tPvRmT3_T4_T5_T6_T7_T9_mT8_P12ihipStream_tbDpT10_ENKUlT_T0_E_clISt17integral_constantIbLb0EES1C_EEDaS17_S18_EUlS17_E_NS1_11comp_targetILNS1_3genE3ELNS1_11target_archE908ELNS1_3gpuE7ELNS1_3repE0EEENS1_30default_config_static_selectorELNS0_4arch9wavefront6targetE0EEEvT1_
; %bb.0:
	.section	.rodata,"a",@progbits
	.p2align	6, 0x0
	.amdhsa_kernel _ZN7rocprim17ROCPRIM_400000_NS6detail17trampoline_kernelINS0_14default_configENS1_25partition_config_selectorILNS1_17partition_subalgoE8ElNS0_10empty_typeEbEEZZNS1_14partition_implILS5_8ELb0ES3_jPlPS6_PKS6_NS0_5tupleIJS9_S6_EEENSD_IJSA_SA_EEENS0_18inequality_wrapperIZN2at6native12_GLOBAL__N_124unique_dim_cuda_templateIdEESt5tupleIJNSH_6TensorESM_SM_EERKSM_lbbbEUlllE0_EEPmJS6_EEE10hipError_tPvRmT3_T4_T5_T6_T7_T9_mT8_P12ihipStream_tbDpT10_ENKUlT_T0_E_clISt17integral_constantIbLb0EES1C_EEDaS17_S18_EUlS17_E_NS1_11comp_targetILNS1_3genE3ELNS1_11target_archE908ELNS1_3gpuE7ELNS1_3repE0EEENS1_30default_config_static_selectorELNS0_4arch9wavefront6targetE0EEEvT1_
		.amdhsa_group_segment_fixed_size 0
		.amdhsa_private_segment_fixed_size 0
		.amdhsa_kernarg_size 120
		.amdhsa_user_sgpr_count 2
		.amdhsa_user_sgpr_dispatch_ptr 0
		.amdhsa_user_sgpr_queue_ptr 0
		.amdhsa_user_sgpr_kernarg_segment_ptr 1
		.amdhsa_user_sgpr_dispatch_id 0
		.amdhsa_user_sgpr_kernarg_preload_length 0
		.amdhsa_user_sgpr_kernarg_preload_offset 0
		.amdhsa_user_sgpr_private_segment_size 0
		.amdhsa_wavefront_size32 1
		.amdhsa_uses_dynamic_stack 0
		.amdhsa_enable_private_segment 0
		.amdhsa_system_sgpr_workgroup_id_x 1
		.amdhsa_system_sgpr_workgroup_id_y 0
		.amdhsa_system_sgpr_workgroup_id_z 0
		.amdhsa_system_sgpr_workgroup_info 0
		.amdhsa_system_vgpr_workitem_id 0
		.amdhsa_next_free_vgpr 1
		.amdhsa_next_free_sgpr 1
		.amdhsa_named_barrier_count 0
		.amdhsa_reserve_vcc 0
		.amdhsa_float_round_mode_32 0
		.amdhsa_float_round_mode_16_64 0
		.amdhsa_float_denorm_mode_32 3
		.amdhsa_float_denorm_mode_16_64 3
		.amdhsa_fp16_overflow 0
		.amdhsa_memory_ordered 1
		.amdhsa_forward_progress 1
		.amdhsa_inst_pref_size 0
		.amdhsa_round_robin_scheduling 0
		.amdhsa_exception_fp_ieee_invalid_op 0
		.amdhsa_exception_fp_denorm_src 0
		.amdhsa_exception_fp_ieee_div_zero 0
		.amdhsa_exception_fp_ieee_overflow 0
		.amdhsa_exception_fp_ieee_underflow 0
		.amdhsa_exception_fp_ieee_inexact 0
		.amdhsa_exception_int_div_zero 0
	.end_amdhsa_kernel
	.section	.text._ZN7rocprim17ROCPRIM_400000_NS6detail17trampoline_kernelINS0_14default_configENS1_25partition_config_selectorILNS1_17partition_subalgoE8ElNS0_10empty_typeEbEEZZNS1_14partition_implILS5_8ELb0ES3_jPlPS6_PKS6_NS0_5tupleIJS9_S6_EEENSD_IJSA_SA_EEENS0_18inequality_wrapperIZN2at6native12_GLOBAL__N_124unique_dim_cuda_templateIdEESt5tupleIJNSH_6TensorESM_SM_EERKSM_lbbbEUlllE0_EEPmJS6_EEE10hipError_tPvRmT3_T4_T5_T6_T7_T9_mT8_P12ihipStream_tbDpT10_ENKUlT_T0_E_clISt17integral_constantIbLb0EES1C_EEDaS17_S18_EUlS17_E_NS1_11comp_targetILNS1_3genE3ELNS1_11target_archE908ELNS1_3gpuE7ELNS1_3repE0EEENS1_30default_config_static_selectorELNS0_4arch9wavefront6targetE0EEEvT1_,"axG",@progbits,_ZN7rocprim17ROCPRIM_400000_NS6detail17trampoline_kernelINS0_14default_configENS1_25partition_config_selectorILNS1_17partition_subalgoE8ElNS0_10empty_typeEbEEZZNS1_14partition_implILS5_8ELb0ES3_jPlPS6_PKS6_NS0_5tupleIJS9_S6_EEENSD_IJSA_SA_EEENS0_18inequality_wrapperIZN2at6native12_GLOBAL__N_124unique_dim_cuda_templateIdEESt5tupleIJNSH_6TensorESM_SM_EERKSM_lbbbEUlllE0_EEPmJS6_EEE10hipError_tPvRmT3_T4_T5_T6_T7_T9_mT8_P12ihipStream_tbDpT10_ENKUlT_T0_E_clISt17integral_constantIbLb0EES1C_EEDaS17_S18_EUlS17_E_NS1_11comp_targetILNS1_3genE3ELNS1_11target_archE908ELNS1_3gpuE7ELNS1_3repE0EEENS1_30default_config_static_selectorELNS0_4arch9wavefront6targetE0EEEvT1_,comdat
.Lfunc_end810:
	.size	_ZN7rocprim17ROCPRIM_400000_NS6detail17trampoline_kernelINS0_14default_configENS1_25partition_config_selectorILNS1_17partition_subalgoE8ElNS0_10empty_typeEbEEZZNS1_14partition_implILS5_8ELb0ES3_jPlPS6_PKS6_NS0_5tupleIJS9_S6_EEENSD_IJSA_SA_EEENS0_18inequality_wrapperIZN2at6native12_GLOBAL__N_124unique_dim_cuda_templateIdEESt5tupleIJNSH_6TensorESM_SM_EERKSM_lbbbEUlllE0_EEPmJS6_EEE10hipError_tPvRmT3_T4_T5_T6_T7_T9_mT8_P12ihipStream_tbDpT10_ENKUlT_T0_E_clISt17integral_constantIbLb0EES1C_EEDaS17_S18_EUlS17_E_NS1_11comp_targetILNS1_3genE3ELNS1_11target_archE908ELNS1_3gpuE7ELNS1_3repE0EEENS1_30default_config_static_selectorELNS0_4arch9wavefront6targetE0EEEvT1_, .Lfunc_end810-_ZN7rocprim17ROCPRIM_400000_NS6detail17trampoline_kernelINS0_14default_configENS1_25partition_config_selectorILNS1_17partition_subalgoE8ElNS0_10empty_typeEbEEZZNS1_14partition_implILS5_8ELb0ES3_jPlPS6_PKS6_NS0_5tupleIJS9_S6_EEENSD_IJSA_SA_EEENS0_18inequality_wrapperIZN2at6native12_GLOBAL__N_124unique_dim_cuda_templateIdEESt5tupleIJNSH_6TensorESM_SM_EERKSM_lbbbEUlllE0_EEPmJS6_EEE10hipError_tPvRmT3_T4_T5_T6_T7_T9_mT8_P12ihipStream_tbDpT10_ENKUlT_T0_E_clISt17integral_constantIbLb0EES1C_EEDaS17_S18_EUlS17_E_NS1_11comp_targetILNS1_3genE3ELNS1_11target_archE908ELNS1_3gpuE7ELNS1_3repE0EEENS1_30default_config_static_selectorELNS0_4arch9wavefront6targetE0EEEvT1_
                                        ; -- End function
	.set _ZN7rocprim17ROCPRIM_400000_NS6detail17trampoline_kernelINS0_14default_configENS1_25partition_config_selectorILNS1_17partition_subalgoE8ElNS0_10empty_typeEbEEZZNS1_14partition_implILS5_8ELb0ES3_jPlPS6_PKS6_NS0_5tupleIJS9_S6_EEENSD_IJSA_SA_EEENS0_18inequality_wrapperIZN2at6native12_GLOBAL__N_124unique_dim_cuda_templateIdEESt5tupleIJNSH_6TensorESM_SM_EERKSM_lbbbEUlllE0_EEPmJS6_EEE10hipError_tPvRmT3_T4_T5_T6_T7_T9_mT8_P12ihipStream_tbDpT10_ENKUlT_T0_E_clISt17integral_constantIbLb0EES1C_EEDaS17_S18_EUlS17_E_NS1_11comp_targetILNS1_3genE3ELNS1_11target_archE908ELNS1_3gpuE7ELNS1_3repE0EEENS1_30default_config_static_selectorELNS0_4arch9wavefront6targetE0EEEvT1_.num_vgpr, 0
	.set _ZN7rocprim17ROCPRIM_400000_NS6detail17trampoline_kernelINS0_14default_configENS1_25partition_config_selectorILNS1_17partition_subalgoE8ElNS0_10empty_typeEbEEZZNS1_14partition_implILS5_8ELb0ES3_jPlPS6_PKS6_NS0_5tupleIJS9_S6_EEENSD_IJSA_SA_EEENS0_18inequality_wrapperIZN2at6native12_GLOBAL__N_124unique_dim_cuda_templateIdEESt5tupleIJNSH_6TensorESM_SM_EERKSM_lbbbEUlllE0_EEPmJS6_EEE10hipError_tPvRmT3_T4_T5_T6_T7_T9_mT8_P12ihipStream_tbDpT10_ENKUlT_T0_E_clISt17integral_constantIbLb0EES1C_EEDaS17_S18_EUlS17_E_NS1_11comp_targetILNS1_3genE3ELNS1_11target_archE908ELNS1_3gpuE7ELNS1_3repE0EEENS1_30default_config_static_selectorELNS0_4arch9wavefront6targetE0EEEvT1_.num_agpr, 0
	.set _ZN7rocprim17ROCPRIM_400000_NS6detail17trampoline_kernelINS0_14default_configENS1_25partition_config_selectorILNS1_17partition_subalgoE8ElNS0_10empty_typeEbEEZZNS1_14partition_implILS5_8ELb0ES3_jPlPS6_PKS6_NS0_5tupleIJS9_S6_EEENSD_IJSA_SA_EEENS0_18inequality_wrapperIZN2at6native12_GLOBAL__N_124unique_dim_cuda_templateIdEESt5tupleIJNSH_6TensorESM_SM_EERKSM_lbbbEUlllE0_EEPmJS6_EEE10hipError_tPvRmT3_T4_T5_T6_T7_T9_mT8_P12ihipStream_tbDpT10_ENKUlT_T0_E_clISt17integral_constantIbLb0EES1C_EEDaS17_S18_EUlS17_E_NS1_11comp_targetILNS1_3genE3ELNS1_11target_archE908ELNS1_3gpuE7ELNS1_3repE0EEENS1_30default_config_static_selectorELNS0_4arch9wavefront6targetE0EEEvT1_.numbered_sgpr, 0
	.set _ZN7rocprim17ROCPRIM_400000_NS6detail17trampoline_kernelINS0_14default_configENS1_25partition_config_selectorILNS1_17partition_subalgoE8ElNS0_10empty_typeEbEEZZNS1_14partition_implILS5_8ELb0ES3_jPlPS6_PKS6_NS0_5tupleIJS9_S6_EEENSD_IJSA_SA_EEENS0_18inequality_wrapperIZN2at6native12_GLOBAL__N_124unique_dim_cuda_templateIdEESt5tupleIJNSH_6TensorESM_SM_EERKSM_lbbbEUlllE0_EEPmJS6_EEE10hipError_tPvRmT3_T4_T5_T6_T7_T9_mT8_P12ihipStream_tbDpT10_ENKUlT_T0_E_clISt17integral_constantIbLb0EES1C_EEDaS17_S18_EUlS17_E_NS1_11comp_targetILNS1_3genE3ELNS1_11target_archE908ELNS1_3gpuE7ELNS1_3repE0EEENS1_30default_config_static_selectorELNS0_4arch9wavefront6targetE0EEEvT1_.num_named_barrier, 0
	.set _ZN7rocprim17ROCPRIM_400000_NS6detail17trampoline_kernelINS0_14default_configENS1_25partition_config_selectorILNS1_17partition_subalgoE8ElNS0_10empty_typeEbEEZZNS1_14partition_implILS5_8ELb0ES3_jPlPS6_PKS6_NS0_5tupleIJS9_S6_EEENSD_IJSA_SA_EEENS0_18inequality_wrapperIZN2at6native12_GLOBAL__N_124unique_dim_cuda_templateIdEESt5tupleIJNSH_6TensorESM_SM_EERKSM_lbbbEUlllE0_EEPmJS6_EEE10hipError_tPvRmT3_T4_T5_T6_T7_T9_mT8_P12ihipStream_tbDpT10_ENKUlT_T0_E_clISt17integral_constantIbLb0EES1C_EEDaS17_S18_EUlS17_E_NS1_11comp_targetILNS1_3genE3ELNS1_11target_archE908ELNS1_3gpuE7ELNS1_3repE0EEENS1_30default_config_static_selectorELNS0_4arch9wavefront6targetE0EEEvT1_.private_seg_size, 0
	.set _ZN7rocprim17ROCPRIM_400000_NS6detail17trampoline_kernelINS0_14default_configENS1_25partition_config_selectorILNS1_17partition_subalgoE8ElNS0_10empty_typeEbEEZZNS1_14partition_implILS5_8ELb0ES3_jPlPS6_PKS6_NS0_5tupleIJS9_S6_EEENSD_IJSA_SA_EEENS0_18inequality_wrapperIZN2at6native12_GLOBAL__N_124unique_dim_cuda_templateIdEESt5tupleIJNSH_6TensorESM_SM_EERKSM_lbbbEUlllE0_EEPmJS6_EEE10hipError_tPvRmT3_T4_T5_T6_T7_T9_mT8_P12ihipStream_tbDpT10_ENKUlT_T0_E_clISt17integral_constantIbLb0EES1C_EEDaS17_S18_EUlS17_E_NS1_11comp_targetILNS1_3genE3ELNS1_11target_archE908ELNS1_3gpuE7ELNS1_3repE0EEENS1_30default_config_static_selectorELNS0_4arch9wavefront6targetE0EEEvT1_.uses_vcc, 0
	.set _ZN7rocprim17ROCPRIM_400000_NS6detail17trampoline_kernelINS0_14default_configENS1_25partition_config_selectorILNS1_17partition_subalgoE8ElNS0_10empty_typeEbEEZZNS1_14partition_implILS5_8ELb0ES3_jPlPS6_PKS6_NS0_5tupleIJS9_S6_EEENSD_IJSA_SA_EEENS0_18inequality_wrapperIZN2at6native12_GLOBAL__N_124unique_dim_cuda_templateIdEESt5tupleIJNSH_6TensorESM_SM_EERKSM_lbbbEUlllE0_EEPmJS6_EEE10hipError_tPvRmT3_T4_T5_T6_T7_T9_mT8_P12ihipStream_tbDpT10_ENKUlT_T0_E_clISt17integral_constantIbLb0EES1C_EEDaS17_S18_EUlS17_E_NS1_11comp_targetILNS1_3genE3ELNS1_11target_archE908ELNS1_3gpuE7ELNS1_3repE0EEENS1_30default_config_static_selectorELNS0_4arch9wavefront6targetE0EEEvT1_.uses_flat_scratch, 0
	.set _ZN7rocprim17ROCPRIM_400000_NS6detail17trampoline_kernelINS0_14default_configENS1_25partition_config_selectorILNS1_17partition_subalgoE8ElNS0_10empty_typeEbEEZZNS1_14partition_implILS5_8ELb0ES3_jPlPS6_PKS6_NS0_5tupleIJS9_S6_EEENSD_IJSA_SA_EEENS0_18inequality_wrapperIZN2at6native12_GLOBAL__N_124unique_dim_cuda_templateIdEESt5tupleIJNSH_6TensorESM_SM_EERKSM_lbbbEUlllE0_EEPmJS6_EEE10hipError_tPvRmT3_T4_T5_T6_T7_T9_mT8_P12ihipStream_tbDpT10_ENKUlT_T0_E_clISt17integral_constantIbLb0EES1C_EEDaS17_S18_EUlS17_E_NS1_11comp_targetILNS1_3genE3ELNS1_11target_archE908ELNS1_3gpuE7ELNS1_3repE0EEENS1_30default_config_static_selectorELNS0_4arch9wavefront6targetE0EEEvT1_.has_dyn_sized_stack, 0
	.set _ZN7rocprim17ROCPRIM_400000_NS6detail17trampoline_kernelINS0_14default_configENS1_25partition_config_selectorILNS1_17partition_subalgoE8ElNS0_10empty_typeEbEEZZNS1_14partition_implILS5_8ELb0ES3_jPlPS6_PKS6_NS0_5tupleIJS9_S6_EEENSD_IJSA_SA_EEENS0_18inequality_wrapperIZN2at6native12_GLOBAL__N_124unique_dim_cuda_templateIdEESt5tupleIJNSH_6TensorESM_SM_EERKSM_lbbbEUlllE0_EEPmJS6_EEE10hipError_tPvRmT3_T4_T5_T6_T7_T9_mT8_P12ihipStream_tbDpT10_ENKUlT_T0_E_clISt17integral_constantIbLb0EES1C_EEDaS17_S18_EUlS17_E_NS1_11comp_targetILNS1_3genE3ELNS1_11target_archE908ELNS1_3gpuE7ELNS1_3repE0EEENS1_30default_config_static_selectorELNS0_4arch9wavefront6targetE0EEEvT1_.has_recursion, 0
	.set _ZN7rocprim17ROCPRIM_400000_NS6detail17trampoline_kernelINS0_14default_configENS1_25partition_config_selectorILNS1_17partition_subalgoE8ElNS0_10empty_typeEbEEZZNS1_14partition_implILS5_8ELb0ES3_jPlPS6_PKS6_NS0_5tupleIJS9_S6_EEENSD_IJSA_SA_EEENS0_18inequality_wrapperIZN2at6native12_GLOBAL__N_124unique_dim_cuda_templateIdEESt5tupleIJNSH_6TensorESM_SM_EERKSM_lbbbEUlllE0_EEPmJS6_EEE10hipError_tPvRmT3_T4_T5_T6_T7_T9_mT8_P12ihipStream_tbDpT10_ENKUlT_T0_E_clISt17integral_constantIbLb0EES1C_EEDaS17_S18_EUlS17_E_NS1_11comp_targetILNS1_3genE3ELNS1_11target_archE908ELNS1_3gpuE7ELNS1_3repE0EEENS1_30default_config_static_selectorELNS0_4arch9wavefront6targetE0EEEvT1_.has_indirect_call, 0
	.section	.AMDGPU.csdata,"",@progbits
; Kernel info:
; codeLenInByte = 0
; TotalNumSgprs: 0
; NumVgprs: 0
; ScratchSize: 0
; MemoryBound: 0
; FloatMode: 240
; IeeeMode: 1
; LDSByteSize: 0 bytes/workgroup (compile time only)
; SGPRBlocks: 0
; VGPRBlocks: 0
; NumSGPRsForWavesPerEU: 1
; NumVGPRsForWavesPerEU: 1
; NamedBarCnt: 0
; Occupancy: 16
; WaveLimiterHint : 0
; COMPUTE_PGM_RSRC2:SCRATCH_EN: 0
; COMPUTE_PGM_RSRC2:USER_SGPR: 2
; COMPUTE_PGM_RSRC2:TRAP_HANDLER: 0
; COMPUTE_PGM_RSRC2:TGID_X_EN: 1
; COMPUTE_PGM_RSRC2:TGID_Y_EN: 0
; COMPUTE_PGM_RSRC2:TGID_Z_EN: 0
; COMPUTE_PGM_RSRC2:TIDIG_COMP_CNT: 0
	.section	.text._ZN7rocprim17ROCPRIM_400000_NS6detail17trampoline_kernelINS0_14default_configENS1_25partition_config_selectorILNS1_17partition_subalgoE8ElNS0_10empty_typeEbEEZZNS1_14partition_implILS5_8ELb0ES3_jPlPS6_PKS6_NS0_5tupleIJS9_S6_EEENSD_IJSA_SA_EEENS0_18inequality_wrapperIZN2at6native12_GLOBAL__N_124unique_dim_cuda_templateIdEESt5tupleIJNSH_6TensorESM_SM_EERKSM_lbbbEUlllE0_EEPmJS6_EEE10hipError_tPvRmT3_T4_T5_T6_T7_T9_mT8_P12ihipStream_tbDpT10_ENKUlT_T0_E_clISt17integral_constantIbLb0EES1C_EEDaS17_S18_EUlS17_E_NS1_11comp_targetILNS1_3genE2ELNS1_11target_archE906ELNS1_3gpuE6ELNS1_3repE0EEENS1_30default_config_static_selectorELNS0_4arch9wavefront6targetE0EEEvT1_,"axG",@progbits,_ZN7rocprim17ROCPRIM_400000_NS6detail17trampoline_kernelINS0_14default_configENS1_25partition_config_selectorILNS1_17partition_subalgoE8ElNS0_10empty_typeEbEEZZNS1_14partition_implILS5_8ELb0ES3_jPlPS6_PKS6_NS0_5tupleIJS9_S6_EEENSD_IJSA_SA_EEENS0_18inequality_wrapperIZN2at6native12_GLOBAL__N_124unique_dim_cuda_templateIdEESt5tupleIJNSH_6TensorESM_SM_EERKSM_lbbbEUlllE0_EEPmJS6_EEE10hipError_tPvRmT3_T4_T5_T6_T7_T9_mT8_P12ihipStream_tbDpT10_ENKUlT_T0_E_clISt17integral_constantIbLb0EES1C_EEDaS17_S18_EUlS17_E_NS1_11comp_targetILNS1_3genE2ELNS1_11target_archE906ELNS1_3gpuE6ELNS1_3repE0EEENS1_30default_config_static_selectorELNS0_4arch9wavefront6targetE0EEEvT1_,comdat
	.globl	_ZN7rocprim17ROCPRIM_400000_NS6detail17trampoline_kernelINS0_14default_configENS1_25partition_config_selectorILNS1_17partition_subalgoE8ElNS0_10empty_typeEbEEZZNS1_14partition_implILS5_8ELb0ES3_jPlPS6_PKS6_NS0_5tupleIJS9_S6_EEENSD_IJSA_SA_EEENS0_18inequality_wrapperIZN2at6native12_GLOBAL__N_124unique_dim_cuda_templateIdEESt5tupleIJNSH_6TensorESM_SM_EERKSM_lbbbEUlllE0_EEPmJS6_EEE10hipError_tPvRmT3_T4_T5_T6_T7_T9_mT8_P12ihipStream_tbDpT10_ENKUlT_T0_E_clISt17integral_constantIbLb0EES1C_EEDaS17_S18_EUlS17_E_NS1_11comp_targetILNS1_3genE2ELNS1_11target_archE906ELNS1_3gpuE6ELNS1_3repE0EEENS1_30default_config_static_selectorELNS0_4arch9wavefront6targetE0EEEvT1_ ; -- Begin function _ZN7rocprim17ROCPRIM_400000_NS6detail17trampoline_kernelINS0_14default_configENS1_25partition_config_selectorILNS1_17partition_subalgoE8ElNS0_10empty_typeEbEEZZNS1_14partition_implILS5_8ELb0ES3_jPlPS6_PKS6_NS0_5tupleIJS9_S6_EEENSD_IJSA_SA_EEENS0_18inequality_wrapperIZN2at6native12_GLOBAL__N_124unique_dim_cuda_templateIdEESt5tupleIJNSH_6TensorESM_SM_EERKSM_lbbbEUlllE0_EEPmJS6_EEE10hipError_tPvRmT3_T4_T5_T6_T7_T9_mT8_P12ihipStream_tbDpT10_ENKUlT_T0_E_clISt17integral_constantIbLb0EES1C_EEDaS17_S18_EUlS17_E_NS1_11comp_targetILNS1_3genE2ELNS1_11target_archE906ELNS1_3gpuE6ELNS1_3repE0EEENS1_30default_config_static_selectorELNS0_4arch9wavefront6targetE0EEEvT1_
	.p2align	8
	.type	_ZN7rocprim17ROCPRIM_400000_NS6detail17trampoline_kernelINS0_14default_configENS1_25partition_config_selectorILNS1_17partition_subalgoE8ElNS0_10empty_typeEbEEZZNS1_14partition_implILS5_8ELb0ES3_jPlPS6_PKS6_NS0_5tupleIJS9_S6_EEENSD_IJSA_SA_EEENS0_18inequality_wrapperIZN2at6native12_GLOBAL__N_124unique_dim_cuda_templateIdEESt5tupleIJNSH_6TensorESM_SM_EERKSM_lbbbEUlllE0_EEPmJS6_EEE10hipError_tPvRmT3_T4_T5_T6_T7_T9_mT8_P12ihipStream_tbDpT10_ENKUlT_T0_E_clISt17integral_constantIbLb0EES1C_EEDaS17_S18_EUlS17_E_NS1_11comp_targetILNS1_3genE2ELNS1_11target_archE906ELNS1_3gpuE6ELNS1_3repE0EEENS1_30default_config_static_selectorELNS0_4arch9wavefront6targetE0EEEvT1_,@function
_ZN7rocprim17ROCPRIM_400000_NS6detail17trampoline_kernelINS0_14default_configENS1_25partition_config_selectorILNS1_17partition_subalgoE8ElNS0_10empty_typeEbEEZZNS1_14partition_implILS5_8ELb0ES3_jPlPS6_PKS6_NS0_5tupleIJS9_S6_EEENSD_IJSA_SA_EEENS0_18inequality_wrapperIZN2at6native12_GLOBAL__N_124unique_dim_cuda_templateIdEESt5tupleIJNSH_6TensorESM_SM_EERKSM_lbbbEUlllE0_EEPmJS6_EEE10hipError_tPvRmT3_T4_T5_T6_T7_T9_mT8_P12ihipStream_tbDpT10_ENKUlT_T0_E_clISt17integral_constantIbLb0EES1C_EEDaS17_S18_EUlS17_E_NS1_11comp_targetILNS1_3genE2ELNS1_11target_archE906ELNS1_3gpuE6ELNS1_3repE0EEENS1_30default_config_static_selectorELNS0_4arch9wavefront6targetE0EEEvT1_: ; @_ZN7rocprim17ROCPRIM_400000_NS6detail17trampoline_kernelINS0_14default_configENS1_25partition_config_selectorILNS1_17partition_subalgoE8ElNS0_10empty_typeEbEEZZNS1_14partition_implILS5_8ELb0ES3_jPlPS6_PKS6_NS0_5tupleIJS9_S6_EEENSD_IJSA_SA_EEENS0_18inequality_wrapperIZN2at6native12_GLOBAL__N_124unique_dim_cuda_templateIdEESt5tupleIJNSH_6TensorESM_SM_EERKSM_lbbbEUlllE0_EEPmJS6_EEE10hipError_tPvRmT3_T4_T5_T6_T7_T9_mT8_P12ihipStream_tbDpT10_ENKUlT_T0_E_clISt17integral_constantIbLb0EES1C_EEDaS17_S18_EUlS17_E_NS1_11comp_targetILNS1_3genE2ELNS1_11target_archE906ELNS1_3gpuE6ELNS1_3repE0EEENS1_30default_config_static_selectorELNS0_4arch9wavefront6targetE0EEEvT1_
; %bb.0:
	.section	.rodata,"a",@progbits
	.p2align	6, 0x0
	.amdhsa_kernel _ZN7rocprim17ROCPRIM_400000_NS6detail17trampoline_kernelINS0_14default_configENS1_25partition_config_selectorILNS1_17partition_subalgoE8ElNS0_10empty_typeEbEEZZNS1_14partition_implILS5_8ELb0ES3_jPlPS6_PKS6_NS0_5tupleIJS9_S6_EEENSD_IJSA_SA_EEENS0_18inequality_wrapperIZN2at6native12_GLOBAL__N_124unique_dim_cuda_templateIdEESt5tupleIJNSH_6TensorESM_SM_EERKSM_lbbbEUlllE0_EEPmJS6_EEE10hipError_tPvRmT3_T4_T5_T6_T7_T9_mT8_P12ihipStream_tbDpT10_ENKUlT_T0_E_clISt17integral_constantIbLb0EES1C_EEDaS17_S18_EUlS17_E_NS1_11comp_targetILNS1_3genE2ELNS1_11target_archE906ELNS1_3gpuE6ELNS1_3repE0EEENS1_30default_config_static_selectorELNS0_4arch9wavefront6targetE0EEEvT1_
		.amdhsa_group_segment_fixed_size 0
		.amdhsa_private_segment_fixed_size 0
		.amdhsa_kernarg_size 120
		.amdhsa_user_sgpr_count 2
		.amdhsa_user_sgpr_dispatch_ptr 0
		.amdhsa_user_sgpr_queue_ptr 0
		.amdhsa_user_sgpr_kernarg_segment_ptr 1
		.amdhsa_user_sgpr_dispatch_id 0
		.amdhsa_user_sgpr_kernarg_preload_length 0
		.amdhsa_user_sgpr_kernarg_preload_offset 0
		.amdhsa_user_sgpr_private_segment_size 0
		.amdhsa_wavefront_size32 1
		.amdhsa_uses_dynamic_stack 0
		.amdhsa_enable_private_segment 0
		.amdhsa_system_sgpr_workgroup_id_x 1
		.amdhsa_system_sgpr_workgroup_id_y 0
		.amdhsa_system_sgpr_workgroup_id_z 0
		.amdhsa_system_sgpr_workgroup_info 0
		.amdhsa_system_vgpr_workitem_id 0
		.amdhsa_next_free_vgpr 1
		.amdhsa_next_free_sgpr 1
		.amdhsa_named_barrier_count 0
		.amdhsa_reserve_vcc 0
		.amdhsa_float_round_mode_32 0
		.amdhsa_float_round_mode_16_64 0
		.amdhsa_float_denorm_mode_32 3
		.amdhsa_float_denorm_mode_16_64 3
		.amdhsa_fp16_overflow 0
		.amdhsa_memory_ordered 1
		.amdhsa_forward_progress 1
		.amdhsa_inst_pref_size 0
		.amdhsa_round_robin_scheduling 0
		.amdhsa_exception_fp_ieee_invalid_op 0
		.amdhsa_exception_fp_denorm_src 0
		.amdhsa_exception_fp_ieee_div_zero 0
		.amdhsa_exception_fp_ieee_overflow 0
		.amdhsa_exception_fp_ieee_underflow 0
		.amdhsa_exception_fp_ieee_inexact 0
		.amdhsa_exception_int_div_zero 0
	.end_amdhsa_kernel
	.section	.text._ZN7rocprim17ROCPRIM_400000_NS6detail17trampoline_kernelINS0_14default_configENS1_25partition_config_selectorILNS1_17partition_subalgoE8ElNS0_10empty_typeEbEEZZNS1_14partition_implILS5_8ELb0ES3_jPlPS6_PKS6_NS0_5tupleIJS9_S6_EEENSD_IJSA_SA_EEENS0_18inequality_wrapperIZN2at6native12_GLOBAL__N_124unique_dim_cuda_templateIdEESt5tupleIJNSH_6TensorESM_SM_EERKSM_lbbbEUlllE0_EEPmJS6_EEE10hipError_tPvRmT3_T4_T5_T6_T7_T9_mT8_P12ihipStream_tbDpT10_ENKUlT_T0_E_clISt17integral_constantIbLb0EES1C_EEDaS17_S18_EUlS17_E_NS1_11comp_targetILNS1_3genE2ELNS1_11target_archE906ELNS1_3gpuE6ELNS1_3repE0EEENS1_30default_config_static_selectorELNS0_4arch9wavefront6targetE0EEEvT1_,"axG",@progbits,_ZN7rocprim17ROCPRIM_400000_NS6detail17trampoline_kernelINS0_14default_configENS1_25partition_config_selectorILNS1_17partition_subalgoE8ElNS0_10empty_typeEbEEZZNS1_14partition_implILS5_8ELb0ES3_jPlPS6_PKS6_NS0_5tupleIJS9_S6_EEENSD_IJSA_SA_EEENS0_18inequality_wrapperIZN2at6native12_GLOBAL__N_124unique_dim_cuda_templateIdEESt5tupleIJNSH_6TensorESM_SM_EERKSM_lbbbEUlllE0_EEPmJS6_EEE10hipError_tPvRmT3_T4_T5_T6_T7_T9_mT8_P12ihipStream_tbDpT10_ENKUlT_T0_E_clISt17integral_constantIbLb0EES1C_EEDaS17_S18_EUlS17_E_NS1_11comp_targetILNS1_3genE2ELNS1_11target_archE906ELNS1_3gpuE6ELNS1_3repE0EEENS1_30default_config_static_selectorELNS0_4arch9wavefront6targetE0EEEvT1_,comdat
.Lfunc_end811:
	.size	_ZN7rocprim17ROCPRIM_400000_NS6detail17trampoline_kernelINS0_14default_configENS1_25partition_config_selectorILNS1_17partition_subalgoE8ElNS0_10empty_typeEbEEZZNS1_14partition_implILS5_8ELb0ES3_jPlPS6_PKS6_NS0_5tupleIJS9_S6_EEENSD_IJSA_SA_EEENS0_18inequality_wrapperIZN2at6native12_GLOBAL__N_124unique_dim_cuda_templateIdEESt5tupleIJNSH_6TensorESM_SM_EERKSM_lbbbEUlllE0_EEPmJS6_EEE10hipError_tPvRmT3_T4_T5_T6_T7_T9_mT8_P12ihipStream_tbDpT10_ENKUlT_T0_E_clISt17integral_constantIbLb0EES1C_EEDaS17_S18_EUlS17_E_NS1_11comp_targetILNS1_3genE2ELNS1_11target_archE906ELNS1_3gpuE6ELNS1_3repE0EEENS1_30default_config_static_selectorELNS0_4arch9wavefront6targetE0EEEvT1_, .Lfunc_end811-_ZN7rocprim17ROCPRIM_400000_NS6detail17trampoline_kernelINS0_14default_configENS1_25partition_config_selectorILNS1_17partition_subalgoE8ElNS0_10empty_typeEbEEZZNS1_14partition_implILS5_8ELb0ES3_jPlPS6_PKS6_NS0_5tupleIJS9_S6_EEENSD_IJSA_SA_EEENS0_18inequality_wrapperIZN2at6native12_GLOBAL__N_124unique_dim_cuda_templateIdEESt5tupleIJNSH_6TensorESM_SM_EERKSM_lbbbEUlllE0_EEPmJS6_EEE10hipError_tPvRmT3_T4_T5_T6_T7_T9_mT8_P12ihipStream_tbDpT10_ENKUlT_T0_E_clISt17integral_constantIbLb0EES1C_EEDaS17_S18_EUlS17_E_NS1_11comp_targetILNS1_3genE2ELNS1_11target_archE906ELNS1_3gpuE6ELNS1_3repE0EEENS1_30default_config_static_selectorELNS0_4arch9wavefront6targetE0EEEvT1_
                                        ; -- End function
	.set _ZN7rocprim17ROCPRIM_400000_NS6detail17trampoline_kernelINS0_14default_configENS1_25partition_config_selectorILNS1_17partition_subalgoE8ElNS0_10empty_typeEbEEZZNS1_14partition_implILS5_8ELb0ES3_jPlPS6_PKS6_NS0_5tupleIJS9_S6_EEENSD_IJSA_SA_EEENS0_18inequality_wrapperIZN2at6native12_GLOBAL__N_124unique_dim_cuda_templateIdEESt5tupleIJNSH_6TensorESM_SM_EERKSM_lbbbEUlllE0_EEPmJS6_EEE10hipError_tPvRmT3_T4_T5_T6_T7_T9_mT8_P12ihipStream_tbDpT10_ENKUlT_T0_E_clISt17integral_constantIbLb0EES1C_EEDaS17_S18_EUlS17_E_NS1_11comp_targetILNS1_3genE2ELNS1_11target_archE906ELNS1_3gpuE6ELNS1_3repE0EEENS1_30default_config_static_selectorELNS0_4arch9wavefront6targetE0EEEvT1_.num_vgpr, 0
	.set _ZN7rocprim17ROCPRIM_400000_NS6detail17trampoline_kernelINS0_14default_configENS1_25partition_config_selectorILNS1_17partition_subalgoE8ElNS0_10empty_typeEbEEZZNS1_14partition_implILS5_8ELb0ES3_jPlPS6_PKS6_NS0_5tupleIJS9_S6_EEENSD_IJSA_SA_EEENS0_18inequality_wrapperIZN2at6native12_GLOBAL__N_124unique_dim_cuda_templateIdEESt5tupleIJNSH_6TensorESM_SM_EERKSM_lbbbEUlllE0_EEPmJS6_EEE10hipError_tPvRmT3_T4_T5_T6_T7_T9_mT8_P12ihipStream_tbDpT10_ENKUlT_T0_E_clISt17integral_constantIbLb0EES1C_EEDaS17_S18_EUlS17_E_NS1_11comp_targetILNS1_3genE2ELNS1_11target_archE906ELNS1_3gpuE6ELNS1_3repE0EEENS1_30default_config_static_selectorELNS0_4arch9wavefront6targetE0EEEvT1_.num_agpr, 0
	.set _ZN7rocprim17ROCPRIM_400000_NS6detail17trampoline_kernelINS0_14default_configENS1_25partition_config_selectorILNS1_17partition_subalgoE8ElNS0_10empty_typeEbEEZZNS1_14partition_implILS5_8ELb0ES3_jPlPS6_PKS6_NS0_5tupleIJS9_S6_EEENSD_IJSA_SA_EEENS0_18inequality_wrapperIZN2at6native12_GLOBAL__N_124unique_dim_cuda_templateIdEESt5tupleIJNSH_6TensorESM_SM_EERKSM_lbbbEUlllE0_EEPmJS6_EEE10hipError_tPvRmT3_T4_T5_T6_T7_T9_mT8_P12ihipStream_tbDpT10_ENKUlT_T0_E_clISt17integral_constantIbLb0EES1C_EEDaS17_S18_EUlS17_E_NS1_11comp_targetILNS1_3genE2ELNS1_11target_archE906ELNS1_3gpuE6ELNS1_3repE0EEENS1_30default_config_static_selectorELNS0_4arch9wavefront6targetE0EEEvT1_.numbered_sgpr, 0
	.set _ZN7rocprim17ROCPRIM_400000_NS6detail17trampoline_kernelINS0_14default_configENS1_25partition_config_selectorILNS1_17partition_subalgoE8ElNS0_10empty_typeEbEEZZNS1_14partition_implILS5_8ELb0ES3_jPlPS6_PKS6_NS0_5tupleIJS9_S6_EEENSD_IJSA_SA_EEENS0_18inequality_wrapperIZN2at6native12_GLOBAL__N_124unique_dim_cuda_templateIdEESt5tupleIJNSH_6TensorESM_SM_EERKSM_lbbbEUlllE0_EEPmJS6_EEE10hipError_tPvRmT3_T4_T5_T6_T7_T9_mT8_P12ihipStream_tbDpT10_ENKUlT_T0_E_clISt17integral_constantIbLb0EES1C_EEDaS17_S18_EUlS17_E_NS1_11comp_targetILNS1_3genE2ELNS1_11target_archE906ELNS1_3gpuE6ELNS1_3repE0EEENS1_30default_config_static_selectorELNS0_4arch9wavefront6targetE0EEEvT1_.num_named_barrier, 0
	.set _ZN7rocprim17ROCPRIM_400000_NS6detail17trampoline_kernelINS0_14default_configENS1_25partition_config_selectorILNS1_17partition_subalgoE8ElNS0_10empty_typeEbEEZZNS1_14partition_implILS5_8ELb0ES3_jPlPS6_PKS6_NS0_5tupleIJS9_S6_EEENSD_IJSA_SA_EEENS0_18inequality_wrapperIZN2at6native12_GLOBAL__N_124unique_dim_cuda_templateIdEESt5tupleIJNSH_6TensorESM_SM_EERKSM_lbbbEUlllE0_EEPmJS6_EEE10hipError_tPvRmT3_T4_T5_T6_T7_T9_mT8_P12ihipStream_tbDpT10_ENKUlT_T0_E_clISt17integral_constantIbLb0EES1C_EEDaS17_S18_EUlS17_E_NS1_11comp_targetILNS1_3genE2ELNS1_11target_archE906ELNS1_3gpuE6ELNS1_3repE0EEENS1_30default_config_static_selectorELNS0_4arch9wavefront6targetE0EEEvT1_.private_seg_size, 0
	.set _ZN7rocprim17ROCPRIM_400000_NS6detail17trampoline_kernelINS0_14default_configENS1_25partition_config_selectorILNS1_17partition_subalgoE8ElNS0_10empty_typeEbEEZZNS1_14partition_implILS5_8ELb0ES3_jPlPS6_PKS6_NS0_5tupleIJS9_S6_EEENSD_IJSA_SA_EEENS0_18inequality_wrapperIZN2at6native12_GLOBAL__N_124unique_dim_cuda_templateIdEESt5tupleIJNSH_6TensorESM_SM_EERKSM_lbbbEUlllE0_EEPmJS6_EEE10hipError_tPvRmT3_T4_T5_T6_T7_T9_mT8_P12ihipStream_tbDpT10_ENKUlT_T0_E_clISt17integral_constantIbLb0EES1C_EEDaS17_S18_EUlS17_E_NS1_11comp_targetILNS1_3genE2ELNS1_11target_archE906ELNS1_3gpuE6ELNS1_3repE0EEENS1_30default_config_static_selectorELNS0_4arch9wavefront6targetE0EEEvT1_.uses_vcc, 0
	.set _ZN7rocprim17ROCPRIM_400000_NS6detail17trampoline_kernelINS0_14default_configENS1_25partition_config_selectorILNS1_17partition_subalgoE8ElNS0_10empty_typeEbEEZZNS1_14partition_implILS5_8ELb0ES3_jPlPS6_PKS6_NS0_5tupleIJS9_S6_EEENSD_IJSA_SA_EEENS0_18inequality_wrapperIZN2at6native12_GLOBAL__N_124unique_dim_cuda_templateIdEESt5tupleIJNSH_6TensorESM_SM_EERKSM_lbbbEUlllE0_EEPmJS6_EEE10hipError_tPvRmT3_T4_T5_T6_T7_T9_mT8_P12ihipStream_tbDpT10_ENKUlT_T0_E_clISt17integral_constantIbLb0EES1C_EEDaS17_S18_EUlS17_E_NS1_11comp_targetILNS1_3genE2ELNS1_11target_archE906ELNS1_3gpuE6ELNS1_3repE0EEENS1_30default_config_static_selectorELNS0_4arch9wavefront6targetE0EEEvT1_.uses_flat_scratch, 0
	.set _ZN7rocprim17ROCPRIM_400000_NS6detail17trampoline_kernelINS0_14default_configENS1_25partition_config_selectorILNS1_17partition_subalgoE8ElNS0_10empty_typeEbEEZZNS1_14partition_implILS5_8ELb0ES3_jPlPS6_PKS6_NS0_5tupleIJS9_S6_EEENSD_IJSA_SA_EEENS0_18inequality_wrapperIZN2at6native12_GLOBAL__N_124unique_dim_cuda_templateIdEESt5tupleIJNSH_6TensorESM_SM_EERKSM_lbbbEUlllE0_EEPmJS6_EEE10hipError_tPvRmT3_T4_T5_T6_T7_T9_mT8_P12ihipStream_tbDpT10_ENKUlT_T0_E_clISt17integral_constantIbLb0EES1C_EEDaS17_S18_EUlS17_E_NS1_11comp_targetILNS1_3genE2ELNS1_11target_archE906ELNS1_3gpuE6ELNS1_3repE0EEENS1_30default_config_static_selectorELNS0_4arch9wavefront6targetE0EEEvT1_.has_dyn_sized_stack, 0
	.set _ZN7rocprim17ROCPRIM_400000_NS6detail17trampoline_kernelINS0_14default_configENS1_25partition_config_selectorILNS1_17partition_subalgoE8ElNS0_10empty_typeEbEEZZNS1_14partition_implILS5_8ELb0ES3_jPlPS6_PKS6_NS0_5tupleIJS9_S6_EEENSD_IJSA_SA_EEENS0_18inequality_wrapperIZN2at6native12_GLOBAL__N_124unique_dim_cuda_templateIdEESt5tupleIJNSH_6TensorESM_SM_EERKSM_lbbbEUlllE0_EEPmJS6_EEE10hipError_tPvRmT3_T4_T5_T6_T7_T9_mT8_P12ihipStream_tbDpT10_ENKUlT_T0_E_clISt17integral_constantIbLb0EES1C_EEDaS17_S18_EUlS17_E_NS1_11comp_targetILNS1_3genE2ELNS1_11target_archE906ELNS1_3gpuE6ELNS1_3repE0EEENS1_30default_config_static_selectorELNS0_4arch9wavefront6targetE0EEEvT1_.has_recursion, 0
	.set _ZN7rocprim17ROCPRIM_400000_NS6detail17trampoline_kernelINS0_14default_configENS1_25partition_config_selectorILNS1_17partition_subalgoE8ElNS0_10empty_typeEbEEZZNS1_14partition_implILS5_8ELb0ES3_jPlPS6_PKS6_NS0_5tupleIJS9_S6_EEENSD_IJSA_SA_EEENS0_18inequality_wrapperIZN2at6native12_GLOBAL__N_124unique_dim_cuda_templateIdEESt5tupleIJNSH_6TensorESM_SM_EERKSM_lbbbEUlllE0_EEPmJS6_EEE10hipError_tPvRmT3_T4_T5_T6_T7_T9_mT8_P12ihipStream_tbDpT10_ENKUlT_T0_E_clISt17integral_constantIbLb0EES1C_EEDaS17_S18_EUlS17_E_NS1_11comp_targetILNS1_3genE2ELNS1_11target_archE906ELNS1_3gpuE6ELNS1_3repE0EEENS1_30default_config_static_selectorELNS0_4arch9wavefront6targetE0EEEvT1_.has_indirect_call, 0
	.section	.AMDGPU.csdata,"",@progbits
; Kernel info:
; codeLenInByte = 0
; TotalNumSgprs: 0
; NumVgprs: 0
; ScratchSize: 0
; MemoryBound: 0
; FloatMode: 240
; IeeeMode: 1
; LDSByteSize: 0 bytes/workgroup (compile time only)
; SGPRBlocks: 0
; VGPRBlocks: 0
; NumSGPRsForWavesPerEU: 1
; NumVGPRsForWavesPerEU: 1
; NamedBarCnt: 0
; Occupancy: 16
; WaveLimiterHint : 0
; COMPUTE_PGM_RSRC2:SCRATCH_EN: 0
; COMPUTE_PGM_RSRC2:USER_SGPR: 2
; COMPUTE_PGM_RSRC2:TRAP_HANDLER: 0
; COMPUTE_PGM_RSRC2:TGID_X_EN: 1
; COMPUTE_PGM_RSRC2:TGID_Y_EN: 0
; COMPUTE_PGM_RSRC2:TGID_Z_EN: 0
; COMPUTE_PGM_RSRC2:TIDIG_COMP_CNT: 0
	.section	.text._ZN7rocprim17ROCPRIM_400000_NS6detail17trampoline_kernelINS0_14default_configENS1_25partition_config_selectorILNS1_17partition_subalgoE8ElNS0_10empty_typeEbEEZZNS1_14partition_implILS5_8ELb0ES3_jPlPS6_PKS6_NS0_5tupleIJS9_S6_EEENSD_IJSA_SA_EEENS0_18inequality_wrapperIZN2at6native12_GLOBAL__N_124unique_dim_cuda_templateIdEESt5tupleIJNSH_6TensorESM_SM_EERKSM_lbbbEUlllE0_EEPmJS6_EEE10hipError_tPvRmT3_T4_T5_T6_T7_T9_mT8_P12ihipStream_tbDpT10_ENKUlT_T0_E_clISt17integral_constantIbLb0EES1C_EEDaS17_S18_EUlS17_E_NS1_11comp_targetILNS1_3genE10ELNS1_11target_archE1200ELNS1_3gpuE4ELNS1_3repE0EEENS1_30default_config_static_selectorELNS0_4arch9wavefront6targetE0EEEvT1_,"axG",@progbits,_ZN7rocprim17ROCPRIM_400000_NS6detail17trampoline_kernelINS0_14default_configENS1_25partition_config_selectorILNS1_17partition_subalgoE8ElNS0_10empty_typeEbEEZZNS1_14partition_implILS5_8ELb0ES3_jPlPS6_PKS6_NS0_5tupleIJS9_S6_EEENSD_IJSA_SA_EEENS0_18inequality_wrapperIZN2at6native12_GLOBAL__N_124unique_dim_cuda_templateIdEESt5tupleIJNSH_6TensorESM_SM_EERKSM_lbbbEUlllE0_EEPmJS6_EEE10hipError_tPvRmT3_T4_T5_T6_T7_T9_mT8_P12ihipStream_tbDpT10_ENKUlT_T0_E_clISt17integral_constantIbLb0EES1C_EEDaS17_S18_EUlS17_E_NS1_11comp_targetILNS1_3genE10ELNS1_11target_archE1200ELNS1_3gpuE4ELNS1_3repE0EEENS1_30default_config_static_selectorELNS0_4arch9wavefront6targetE0EEEvT1_,comdat
	.globl	_ZN7rocprim17ROCPRIM_400000_NS6detail17trampoline_kernelINS0_14default_configENS1_25partition_config_selectorILNS1_17partition_subalgoE8ElNS0_10empty_typeEbEEZZNS1_14partition_implILS5_8ELb0ES3_jPlPS6_PKS6_NS0_5tupleIJS9_S6_EEENSD_IJSA_SA_EEENS0_18inequality_wrapperIZN2at6native12_GLOBAL__N_124unique_dim_cuda_templateIdEESt5tupleIJNSH_6TensorESM_SM_EERKSM_lbbbEUlllE0_EEPmJS6_EEE10hipError_tPvRmT3_T4_T5_T6_T7_T9_mT8_P12ihipStream_tbDpT10_ENKUlT_T0_E_clISt17integral_constantIbLb0EES1C_EEDaS17_S18_EUlS17_E_NS1_11comp_targetILNS1_3genE10ELNS1_11target_archE1200ELNS1_3gpuE4ELNS1_3repE0EEENS1_30default_config_static_selectorELNS0_4arch9wavefront6targetE0EEEvT1_ ; -- Begin function _ZN7rocprim17ROCPRIM_400000_NS6detail17trampoline_kernelINS0_14default_configENS1_25partition_config_selectorILNS1_17partition_subalgoE8ElNS0_10empty_typeEbEEZZNS1_14partition_implILS5_8ELb0ES3_jPlPS6_PKS6_NS0_5tupleIJS9_S6_EEENSD_IJSA_SA_EEENS0_18inequality_wrapperIZN2at6native12_GLOBAL__N_124unique_dim_cuda_templateIdEESt5tupleIJNSH_6TensorESM_SM_EERKSM_lbbbEUlllE0_EEPmJS6_EEE10hipError_tPvRmT3_T4_T5_T6_T7_T9_mT8_P12ihipStream_tbDpT10_ENKUlT_T0_E_clISt17integral_constantIbLb0EES1C_EEDaS17_S18_EUlS17_E_NS1_11comp_targetILNS1_3genE10ELNS1_11target_archE1200ELNS1_3gpuE4ELNS1_3repE0EEENS1_30default_config_static_selectorELNS0_4arch9wavefront6targetE0EEEvT1_
	.p2align	8
	.type	_ZN7rocprim17ROCPRIM_400000_NS6detail17trampoline_kernelINS0_14default_configENS1_25partition_config_selectorILNS1_17partition_subalgoE8ElNS0_10empty_typeEbEEZZNS1_14partition_implILS5_8ELb0ES3_jPlPS6_PKS6_NS0_5tupleIJS9_S6_EEENSD_IJSA_SA_EEENS0_18inequality_wrapperIZN2at6native12_GLOBAL__N_124unique_dim_cuda_templateIdEESt5tupleIJNSH_6TensorESM_SM_EERKSM_lbbbEUlllE0_EEPmJS6_EEE10hipError_tPvRmT3_T4_T5_T6_T7_T9_mT8_P12ihipStream_tbDpT10_ENKUlT_T0_E_clISt17integral_constantIbLb0EES1C_EEDaS17_S18_EUlS17_E_NS1_11comp_targetILNS1_3genE10ELNS1_11target_archE1200ELNS1_3gpuE4ELNS1_3repE0EEENS1_30default_config_static_selectorELNS0_4arch9wavefront6targetE0EEEvT1_,@function
_ZN7rocprim17ROCPRIM_400000_NS6detail17trampoline_kernelINS0_14default_configENS1_25partition_config_selectorILNS1_17partition_subalgoE8ElNS0_10empty_typeEbEEZZNS1_14partition_implILS5_8ELb0ES3_jPlPS6_PKS6_NS0_5tupleIJS9_S6_EEENSD_IJSA_SA_EEENS0_18inequality_wrapperIZN2at6native12_GLOBAL__N_124unique_dim_cuda_templateIdEESt5tupleIJNSH_6TensorESM_SM_EERKSM_lbbbEUlllE0_EEPmJS6_EEE10hipError_tPvRmT3_T4_T5_T6_T7_T9_mT8_P12ihipStream_tbDpT10_ENKUlT_T0_E_clISt17integral_constantIbLb0EES1C_EEDaS17_S18_EUlS17_E_NS1_11comp_targetILNS1_3genE10ELNS1_11target_archE1200ELNS1_3gpuE4ELNS1_3repE0EEENS1_30default_config_static_selectorELNS0_4arch9wavefront6targetE0EEEvT1_: ; @_ZN7rocprim17ROCPRIM_400000_NS6detail17trampoline_kernelINS0_14default_configENS1_25partition_config_selectorILNS1_17partition_subalgoE8ElNS0_10empty_typeEbEEZZNS1_14partition_implILS5_8ELb0ES3_jPlPS6_PKS6_NS0_5tupleIJS9_S6_EEENSD_IJSA_SA_EEENS0_18inequality_wrapperIZN2at6native12_GLOBAL__N_124unique_dim_cuda_templateIdEESt5tupleIJNSH_6TensorESM_SM_EERKSM_lbbbEUlllE0_EEPmJS6_EEE10hipError_tPvRmT3_T4_T5_T6_T7_T9_mT8_P12ihipStream_tbDpT10_ENKUlT_T0_E_clISt17integral_constantIbLb0EES1C_EEDaS17_S18_EUlS17_E_NS1_11comp_targetILNS1_3genE10ELNS1_11target_archE1200ELNS1_3gpuE4ELNS1_3repE0EEENS1_30default_config_static_selectorELNS0_4arch9wavefront6targetE0EEEvT1_
; %bb.0:
	.section	.rodata,"a",@progbits
	.p2align	6, 0x0
	.amdhsa_kernel _ZN7rocprim17ROCPRIM_400000_NS6detail17trampoline_kernelINS0_14default_configENS1_25partition_config_selectorILNS1_17partition_subalgoE8ElNS0_10empty_typeEbEEZZNS1_14partition_implILS5_8ELb0ES3_jPlPS6_PKS6_NS0_5tupleIJS9_S6_EEENSD_IJSA_SA_EEENS0_18inequality_wrapperIZN2at6native12_GLOBAL__N_124unique_dim_cuda_templateIdEESt5tupleIJNSH_6TensorESM_SM_EERKSM_lbbbEUlllE0_EEPmJS6_EEE10hipError_tPvRmT3_T4_T5_T6_T7_T9_mT8_P12ihipStream_tbDpT10_ENKUlT_T0_E_clISt17integral_constantIbLb0EES1C_EEDaS17_S18_EUlS17_E_NS1_11comp_targetILNS1_3genE10ELNS1_11target_archE1200ELNS1_3gpuE4ELNS1_3repE0EEENS1_30default_config_static_selectorELNS0_4arch9wavefront6targetE0EEEvT1_
		.amdhsa_group_segment_fixed_size 0
		.amdhsa_private_segment_fixed_size 0
		.amdhsa_kernarg_size 120
		.amdhsa_user_sgpr_count 2
		.amdhsa_user_sgpr_dispatch_ptr 0
		.amdhsa_user_sgpr_queue_ptr 0
		.amdhsa_user_sgpr_kernarg_segment_ptr 1
		.amdhsa_user_sgpr_dispatch_id 0
		.amdhsa_user_sgpr_kernarg_preload_length 0
		.amdhsa_user_sgpr_kernarg_preload_offset 0
		.amdhsa_user_sgpr_private_segment_size 0
		.amdhsa_wavefront_size32 1
		.amdhsa_uses_dynamic_stack 0
		.amdhsa_enable_private_segment 0
		.amdhsa_system_sgpr_workgroup_id_x 1
		.amdhsa_system_sgpr_workgroup_id_y 0
		.amdhsa_system_sgpr_workgroup_id_z 0
		.amdhsa_system_sgpr_workgroup_info 0
		.amdhsa_system_vgpr_workitem_id 0
		.amdhsa_next_free_vgpr 1
		.amdhsa_next_free_sgpr 1
		.amdhsa_named_barrier_count 0
		.amdhsa_reserve_vcc 0
		.amdhsa_float_round_mode_32 0
		.amdhsa_float_round_mode_16_64 0
		.amdhsa_float_denorm_mode_32 3
		.amdhsa_float_denorm_mode_16_64 3
		.amdhsa_fp16_overflow 0
		.amdhsa_memory_ordered 1
		.amdhsa_forward_progress 1
		.amdhsa_inst_pref_size 0
		.amdhsa_round_robin_scheduling 0
		.amdhsa_exception_fp_ieee_invalid_op 0
		.amdhsa_exception_fp_denorm_src 0
		.amdhsa_exception_fp_ieee_div_zero 0
		.amdhsa_exception_fp_ieee_overflow 0
		.amdhsa_exception_fp_ieee_underflow 0
		.amdhsa_exception_fp_ieee_inexact 0
		.amdhsa_exception_int_div_zero 0
	.end_amdhsa_kernel
	.section	.text._ZN7rocprim17ROCPRIM_400000_NS6detail17trampoline_kernelINS0_14default_configENS1_25partition_config_selectorILNS1_17partition_subalgoE8ElNS0_10empty_typeEbEEZZNS1_14partition_implILS5_8ELb0ES3_jPlPS6_PKS6_NS0_5tupleIJS9_S6_EEENSD_IJSA_SA_EEENS0_18inequality_wrapperIZN2at6native12_GLOBAL__N_124unique_dim_cuda_templateIdEESt5tupleIJNSH_6TensorESM_SM_EERKSM_lbbbEUlllE0_EEPmJS6_EEE10hipError_tPvRmT3_T4_T5_T6_T7_T9_mT8_P12ihipStream_tbDpT10_ENKUlT_T0_E_clISt17integral_constantIbLb0EES1C_EEDaS17_S18_EUlS17_E_NS1_11comp_targetILNS1_3genE10ELNS1_11target_archE1200ELNS1_3gpuE4ELNS1_3repE0EEENS1_30default_config_static_selectorELNS0_4arch9wavefront6targetE0EEEvT1_,"axG",@progbits,_ZN7rocprim17ROCPRIM_400000_NS6detail17trampoline_kernelINS0_14default_configENS1_25partition_config_selectorILNS1_17partition_subalgoE8ElNS0_10empty_typeEbEEZZNS1_14partition_implILS5_8ELb0ES3_jPlPS6_PKS6_NS0_5tupleIJS9_S6_EEENSD_IJSA_SA_EEENS0_18inequality_wrapperIZN2at6native12_GLOBAL__N_124unique_dim_cuda_templateIdEESt5tupleIJNSH_6TensorESM_SM_EERKSM_lbbbEUlllE0_EEPmJS6_EEE10hipError_tPvRmT3_T4_T5_T6_T7_T9_mT8_P12ihipStream_tbDpT10_ENKUlT_T0_E_clISt17integral_constantIbLb0EES1C_EEDaS17_S18_EUlS17_E_NS1_11comp_targetILNS1_3genE10ELNS1_11target_archE1200ELNS1_3gpuE4ELNS1_3repE0EEENS1_30default_config_static_selectorELNS0_4arch9wavefront6targetE0EEEvT1_,comdat
.Lfunc_end812:
	.size	_ZN7rocprim17ROCPRIM_400000_NS6detail17trampoline_kernelINS0_14default_configENS1_25partition_config_selectorILNS1_17partition_subalgoE8ElNS0_10empty_typeEbEEZZNS1_14partition_implILS5_8ELb0ES3_jPlPS6_PKS6_NS0_5tupleIJS9_S6_EEENSD_IJSA_SA_EEENS0_18inequality_wrapperIZN2at6native12_GLOBAL__N_124unique_dim_cuda_templateIdEESt5tupleIJNSH_6TensorESM_SM_EERKSM_lbbbEUlllE0_EEPmJS6_EEE10hipError_tPvRmT3_T4_T5_T6_T7_T9_mT8_P12ihipStream_tbDpT10_ENKUlT_T0_E_clISt17integral_constantIbLb0EES1C_EEDaS17_S18_EUlS17_E_NS1_11comp_targetILNS1_3genE10ELNS1_11target_archE1200ELNS1_3gpuE4ELNS1_3repE0EEENS1_30default_config_static_selectorELNS0_4arch9wavefront6targetE0EEEvT1_, .Lfunc_end812-_ZN7rocprim17ROCPRIM_400000_NS6detail17trampoline_kernelINS0_14default_configENS1_25partition_config_selectorILNS1_17partition_subalgoE8ElNS0_10empty_typeEbEEZZNS1_14partition_implILS5_8ELb0ES3_jPlPS6_PKS6_NS0_5tupleIJS9_S6_EEENSD_IJSA_SA_EEENS0_18inequality_wrapperIZN2at6native12_GLOBAL__N_124unique_dim_cuda_templateIdEESt5tupleIJNSH_6TensorESM_SM_EERKSM_lbbbEUlllE0_EEPmJS6_EEE10hipError_tPvRmT3_T4_T5_T6_T7_T9_mT8_P12ihipStream_tbDpT10_ENKUlT_T0_E_clISt17integral_constantIbLb0EES1C_EEDaS17_S18_EUlS17_E_NS1_11comp_targetILNS1_3genE10ELNS1_11target_archE1200ELNS1_3gpuE4ELNS1_3repE0EEENS1_30default_config_static_selectorELNS0_4arch9wavefront6targetE0EEEvT1_
                                        ; -- End function
	.set _ZN7rocprim17ROCPRIM_400000_NS6detail17trampoline_kernelINS0_14default_configENS1_25partition_config_selectorILNS1_17partition_subalgoE8ElNS0_10empty_typeEbEEZZNS1_14partition_implILS5_8ELb0ES3_jPlPS6_PKS6_NS0_5tupleIJS9_S6_EEENSD_IJSA_SA_EEENS0_18inequality_wrapperIZN2at6native12_GLOBAL__N_124unique_dim_cuda_templateIdEESt5tupleIJNSH_6TensorESM_SM_EERKSM_lbbbEUlllE0_EEPmJS6_EEE10hipError_tPvRmT3_T4_T5_T6_T7_T9_mT8_P12ihipStream_tbDpT10_ENKUlT_T0_E_clISt17integral_constantIbLb0EES1C_EEDaS17_S18_EUlS17_E_NS1_11comp_targetILNS1_3genE10ELNS1_11target_archE1200ELNS1_3gpuE4ELNS1_3repE0EEENS1_30default_config_static_selectorELNS0_4arch9wavefront6targetE0EEEvT1_.num_vgpr, 0
	.set _ZN7rocprim17ROCPRIM_400000_NS6detail17trampoline_kernelINS0_14default_configENS1_25partition_config_selectorILNS1_17partition_subalgoE8ElNS0_10empty_typeEbEEZZNS1_14partition_implILS5_8ELb0ES3_jPlPS6_PKS6_NS0_5tupleIJS9_S6_EEENSD_IJSA_SA_EEENS0_18inequality_wrapperIZN2at6native12_GLOBAL__N_124unique_dim_cuda_templateIdEESt5tupleIJNSH_6TensorESM_SM_EERKSM_lbbbEUlllE0_EEPmJS6_EEE10hipError_tPvRmT3_T4_T5_T6_T7_T9_mT8_P12ihipStream_tbDpT10_ENKUlT_T0_E_clISt17integral_constantIbLb0EES1C_EEDaS17_S18_EUlS17_E_NS1_11comp_targetILNS1_3genE10ELNS1_11target_archE1200ELNS1_3gpuE4ELNS1_3repE0EEENS1_30default_config_static_selectorELNS0_4arch9wavefront6targetE0EEEvT1_.num_agpr, 0
	.set _ZN7rocprim17ROCPRIM_400000_NS6detail17trampoline_kernelINS0_14default_configENS1_25partition_config_selectorILNS1_17partition_subalgoE8ElNS0_10empty_typeEbEEZZNS1_14partition_implILS5_8ELb0ES3_jPlPS6_PKS6_NS0_5tupleIJS9_S6_EEENSD_IJSA_SA_EEENS0_18inequality_wrapperIZN2at6native12_GLOBAL__N_124unique_dim_cuda_templateIdEESt5tupleIJNSH_6TensorESM_SM_EERKSM_lbbbEUlllE0_EEPmJS6_EEE10hipError_tPvRmT3_T4_T5_T6_T7_T9_mT8_P12ihipStream_tbDpT10_ENKUlT_T0_E_clISt17integral_constantIbLb0EES1C_EEDaS17_S18_EUlS17_E_NS1_11comp_targetILNS1_3genE10ELNS1_11target_archE1200ELNS1_3gpuE4ELNS1_3repE0EEENS1_30default_config_static_selectorELNS0_4arch9wavefront6targetE0EEEvT1_.numbered_sgpr, 0
	.set _ZN7rocprim17ROCPRIM_400000_NS6detail17trampoline_kernelINS0_14default_configENS1_25partition_config_selectorILNS1_17partition_subalgoE8ElNS0_10empty_typeEbEEZZNS1_14partition_implILS5_8ELb0ES3_jPlPS6_PKS6_NS0_5tupleIJS9_S6_EEENSD_IJSA_SA_EEENS0_18inequality_wrapperIZN2at6native12_GLOBAL__N_124unique_dim_cuda_templateIdEESt5tupleIJNSH_6TensorESM_SM_EERKSM_lbbbEUlllE0_EEPmJS6_EEE10hipError_tPvRmT3_T4_T5_T6_T7_T9_mT8_P12ihipStream_tbDpT10_ENKUlT_T0_E_clISt17integral_constantIbLb0EES1C_EEDaS17_S18_EUlS17_E_NS1_11comp_targetILNS1_3genE10ELNS1_11target_archE1200ELNS1_3gpuE4ELNS1_3repE0EEENS1_30default_config_static_selectorELNS0_4arch9wavefront6targetE0EEEvT1_.num_named_barrier, 0
	.set _ZN7rocprim17ROCPRIM_400000_NS6detail17trampoline_kernelINS0_14default_configENS1_25partition_config_selectorILNS1_17partition_subalgoE8ElNS0_10empty_typeEbEEZZNS1_14partition_implILS5_8ELb0ES3_jPlPS6_PKS6_NS0_5tupleIJS9_S6_EEENSD_IJSA_SA_EEENS0_18inequality_wrapperIZN2at6native12_GLOBAL__N_124unique_dim_cuda_templateIdEESt5tupleIJNSH_6TensorESM_SM_EERKSM_lbbbEUlllE0_EEPmJS6_EEE10hipError_tPvRmT3_T4_T5_T6_T7_T9_mT8_P12ihipStream_tbDpT10_ENKUlT_T0_E_clISt17integral_constantIbLb0EES1C_EEDaS17_S18_EUlS17_E_NS1_11comp_targetILNS1_3genE10ELNS1_11target_archE1200ELNS1_3gpuE4ELNS1_3repE0EEENS1_30default_config_static_selectorELNS0_4arch9wavefront6targetE0EEEvT1_.private_seg_size, 0
	.set _ZN7rocprim17ROCPRIM_400000_NS6detail17trampoline_kernelINS0_14default_configENS1_25partition_config_selectorILNS1_17partition_subalgoE8ElNS0_10empty_typeEbEEZZNS1_14partition_implILS5_8ELb0ES3_jPlPS6_PKS6_NS0_5tupleIJS9_S6_EEENSD_IJSA_SA_EEENS0_18inequality_wrapperIZN2at6native12_GLOBAL__N_124unique_dim_cuda_templateIdEESt5tupleIJNSH_6TensorESM_SM_EERKSM_lbbbEUlllE0_EEPmJS6_EEE10hipError_tPvRmT3_T4_T5_T6_T7_T9_mT8_P12ihipStream_tbDpT10_ENKUlT_T0_E_clISt17integral_constantIbLb0EES1C_EEDaS17_S18_EUlS17_E_NS1_11comp_targetILNS1_3genE10ELNS1_11target_archE1200ELNS1_3gpuE4ELNS1_3repE0EEENS1_30default_config_static_selectorELNS0_4arch9wavefront6targetE0EEEvT1_.uses_vcc, 0
	.set _ZN7rocprim17ROCPRIM_400000_NS6detail17trampoline_kernelINS0_14default_configENS1_25partition_config_selectorILNS1_17partition_subalgoE8ElNS0_10empty_typeEbEEZZNS1_14partition_implILS5_8ELb0ES3_jPlPS6_PKS6_NS0_5tupleIJS9_S6_EEENSD_IJSA_SA_EEENS0_18inequality_wrapperIZN2at6native12_GLOBAL__N_124unique_dim_cuda_templateIdEESt5tupleIJNSH_6TensorESM_SM_EERKSM_lbbbEUlllE0_EEPmJS6_EEE10hipError_tPvRmT3_T4_T5_T6_T7_T9_mT8_P12ihipStream_tbDpT10_ENKUlT_T0_E_clISt17integral_constantIbLb0EES1C_EEDaS17_S18_EUlS17_E_NS1_11comp_targetILNS1_3genE10ELNS1_11target_archE1200ELNS1_3gpuE4ELNS1_3repE0EEENS1_30default_config_static_selectorELNS0_4arch9wavefront6targetE0EEEvT1_.uses_flat_scratch, 0
	.set _ZN7rocprim17ROCPRIM_400000_NS6detail17trampoline_kernelINS0_14default_configENS1_25partition_config_selectorILNS1_17partition_subalgoE8ElNS0_10empty_typeEbEEZZNS1_14partition_implILS5_8ELb0ES3_jPlPS6_PKS6_NS0_5tupleIJS9_S6_EEENSD_IJSA_SA_EEENS0_18inequality_wrapperIZN2at6native12_GLOBAL__N_124unique_dim_cuda_templateIdEESt5tupleIJNSH_6TensorESM_SM_EERKSM_lbbbEUlllE0_EEPmJS6_EEE10hipError_tPvRmT3_T4_T5_T6_T7_T9_mT8_P12ihipStream_tbDpT10_ENKUlT_T0_E_clISt17integral_constantIbLb0EES1C_EEDaS17_S18_EUlS17_E_NS1_11comp_targetILNS1_3genE10ELNS1_11target_archE1200ELNS1_3gpuE4ELNS1_3repE0EEENS1_30default_config_static_selectorELNS0_4arch9wavefront6targetE0EEEvT1_.has_dyn_sized_stack, 0
	.set _ZN7rocprim17ROCPRIM_400000_NS6detail17trampoline_kernelINS0_14default_configENS1_25partition_config_selectorILNS1_17partition_subalgoE8ElNS0_10empty_typeEbEEZZNS1_14partition_implILS5_8ELb0ES3_jPlPS6_PKS6_NS0_5tupleIJS9_S6_EEENSD_IJSA_SA_EEENS0_18inequality_wrapperIZN2at6native12_GLOBAL__N_124unique_dim_cuda_templateIdEESt5tupleIJNSH_6TensorESM_SM_EERKSM_lbbbEUlllE0_EEPmJS6_EEE10hipError_tPvRmT3_T4_T5_T6_T7_T9_mT8_P12ihipStream_tbDpT10_ENKUlT_T0_E_clISt17integral_constantIbLb0EES1C_EEDaS17_S18_EUlS17_E_NS1_11comp_targetILNS1_3genE10ELNS1_11target_archE1200ELNS1_3gpuE4ELNS1_3repE0EEENS1_30default_config_static_selectorELNS0_4arch9wavefront6targetE0EEEvT1_.has_recursion, 0
	.set _ZN7rocprim17ROCPRIM_400000_NS6detail17trampoline_kernelINS0_14default_configENS1_25partition_config_selectorILNS1_17partition_subalgoE8ElNS0_10empty_typeEbEEZZNS1_14partition_implILS5_8ELb0ES3_jPlPS6_PKS6_NS0_5tupleIJS9_S6_EEENSD_IJSA_SA_EEENS0_18inequality_wrapperIZN2at6native12_GLOBAL__N_124unique_dim_cuda_templateIdEESt5tupleIJNSH_6TensorESM_SM_EERKSM_lbbbEUlllE0_EEPmJS6_EEE10hipError_tPvRmT3_T4_T5_T6_T7_T9_mT8_P12ihipStream_tbDpT10_ENKUlT_T0_E_clISt17integral_constantIbLb0EES1C_EEDaS17_S18_EUlS17_E_NS1_11comp_targetILNS1_3genE10ELNS1_11target_archE1200ELNS1_3gpuE4ELNS1_3repE0EEENS1_30default_config_static_selectorELNS0_4arch9wavefront6targetE0EEEvT1_.has_indirect_call, 0
	.section	.AMDGPU.csdata,"",@progbits
; Kernel info:
; codeLenInByte = 0
; TotalNumSgprs: 0
; NumVgprs: 0
; ScratchSize: 0
; MemoryBound: 0
; FloatMode: 240
; IeeeMode: 1
; LDSByteSize: 0 bytes/workgroup (compile time only)
; SGPRBlocks: 0
; VGPRBlocks: 0
; NumSGPRsForWavesPerEU: 1
; NumVGPRsForWavesPerEU: 1
; NamedBarCnt: 0
; Occupancy: 16
; WaveLimiterHint : 0
; COMPUTE_PGM_RSRC2:SCRATCH_EN: 0
; COMPUTE_PGM_RSRC2:USER_SGPR: 2
; COMPUTE_PGM_RSRC2:TRAP_HANDLER: 0
; COMPUTE_PGM_RSRC2:TGID_X_EN: 1
; COMPUTE_PGM_RSRC2:TGID_Y_EN: 0
; COMPUTE_PGM_RSRC2:TGID_Z_EN: 0
; COMPUTE_PGM_RSRC2:TIDIG_COMP_CNT: 0
	.section	.text._ZN7rocprim17ROCPRIM_400000_NS6detail17trampoline_kernelINS0_14default_configENS1_25partition_config_selectorILNS1_17partition_subalgoE8ElNS0_10empty_typeEbEEZZNS1_14partition_implILS5_8ELb0ES3_jPlPS6_PKS6_NS0_5tupleIJS9_S6_EEENSD_IJSA_SA_EEENS0_18inequality_wrapperIZN2at6native12_GLOBAL__N_124unique_dim_cuda_templateIdEESt5tupleIJNSH_6TensorESM_SM_EERKSM_lbbbEUlllE0_EEPmJS6_EEE10hipError_tPvRmT3_T4_T5_T6_T7_T9_mT8_P12ihipStream_tbDpT10_ENKUlT_T0_E_clISt17integral_constantIbLb0EES1C_EEDaS17_S18_EUlS17_E_NS1_11comp_targetILNS1_3genE9ELNS1_11target_archE1100ELNS1_3gpuE3ELNS1_3repE0EEENS1_30default_config_static_selectorELNS0_4arch9wavefront6targetE0EEEvT1_,"axG",@progbits,_ZN7rocprim17ROCPRIM_400000_NS6detail17trampoline_kernelINS0_14default_configENS1_25partition_config_selectorILNS1_17partition_subalgoE8ElNS0_10empty_typeEbEEZZNS1_14partition_implILS5_8ELb0ES3_jPlPS6_PKS6_NS0_5tupleIJS9_S6_EEENSD_IJSA_SA_EEENS0_18inequality_wrapperIZN2at6native12_GLOBAL__N_124unique_dim_cuda_templateIdEESt5tupleIJNSH_6TensorESM_SM_EERKSM_lbbbEUlllE0_EEPmJS6_EEE10hipError_tPvRmT3_T4_T5_T6_T7_T9_mT8_P12ihipStream_tbDpT10_ENKUlT_T0_E_clISt17integral_constantIbLb0EES1C_EEDaS17_S18_EUlS17_E_NS1_11comp_targetILNS1_3genE9ELNS1_11target_archE1100ELNS1_3gpuE3ELNS1_3repE0EEENS1_30default_config_static_selectorELNS0_4arch9wavefront6targetE0EEEvT1_,comdat
	.globl	_ZN7rocprim17ROCPRIM_400000_NS6detail17trampoline_kernelINS0_14default_configENS1_25partition_config_selectorILNS1_17partition_subalgoE8ElNS0_10empty_typeEbEEZZNS1_14partition_implILS5_8ELb0ES3_jPlPS6_PKS6_NS0_5tupleIJS9_S6_EEENSD_IJSA_SA_EEENS0_18inequality_wrapperIZN2at6native12_GLOBAL__N_124unique_dim_cuda_templateIdEESt5tupleIJNSH_6TensorESM_SM_EERKSM_lbbbEUlllE0_EEPmJS6_EEE10hipError_tPvRmT3_T4_T5_T6_T7_T9_mT8_P12ihipStream_tbDpT10_ENKUlT_T0_E_clISt17integral_constantIbLb0EES1C_EEDaS17_S18_EUlS17_E_NS1_11comp_targetILNS1_3genE9ELNS1_11target_archE1100ELNS1_3gpuE3ELNS1_3repE0EEENS1_30default_config_static_selectorELNS0_4arch9wavefront6targetE0EEEvT1_ ; -- Begin function _ZN7rocprim17ROCPRIM_400000_NS6detail17trampoline_kernelINS0_14default_configENS1_25partition_config_selectorILNS1_17partition_subalgoE8ElNS0_10empty_typeEbEEZZNS1_14partition_implILS5_8ELb0ES3_jPlPS6_PKS6_NS0_5tupleIJS9_S6_EEENSD_IJSA_SA_EEENS0_18inequality_wrapperIZN2at6native12_GLOBAL__N_124unique_dim_cuda_templateIdEESt5tupleIJNSH_6TensorESM_SM_EERKSM_lbbbEUlllE0_EEPmJS6_EEE10hipError_tPvRmT3_T4_T5_T6_T7_T9_mT8_P12ihipStream_tbDpT10_ENKUlT_T0_E_clISt17integral_constantIbLb0EES1C_EEDaS17_S18_EUlS17_E_NS1_11comp_targetILNS1_3genE9ELNS1_11target_archE1100ELNS1_3gpuE3ELNS1_3repE0EEENS1_30default_config_static_selectorELNS0_4arch9wavefront6targetE0EEEvT1_
	.p2align	8
	.type	_ZN7rocprim17ROCPRIM_400000_NS6detail17trampoline_kernelINS0_14default_configENS1_25partition_config_selectorILNS1_17partition_subalgoE8ElNS0_10empty_typeEbEEZZNS1_14partition_implILS5_8ELb0ES3_jPlPS6_PKS6_NS0_5tupleIJS9_S6_EEENSD_IJSA_SA_EEENS0_18inequality_wrapperIZN2at6native12_GLOBAL__N_124unique_dim_cuda_templateIdEESt5tupleIJNSH_6TensorESM_SM_EERKSM_lbbbEUlllE0_EEPmJS6_EEE10hipError_tPvRmT3_T4_T5_T6_T7_T9_mT8_P12ihipStream_tbDpT10_ENKUlT_T0_E_clISt17integral_constantIbLb0EES1C_EEDaS17_S18_EUlS17_E_NS1_11comp_targetILNS1_3genE9ELNS1_11target_archE1100ELNS1_3gpuE3ELNS1_3repE0EEENS1_30default_config_static_selectorELNS0_4arch9wavefront6targetE0EEEvT1_,@function
_ZN7rocprim17ROCPRIM_400000_NS6detail17trampoline_kernelINS0_14default_configENS1_25partition_config_selectorILNS1_17partition_subalgoE8ElNS0_10empty_typeEbEEZZNS1_14partition_implILS5_8ELb0ES3_jPlPS6_PKS6_NS0_5tupleIJS9_S6_EEENSD_IJSA_SA_EEENS0_18inequality_wrapperIZN2at6native12_GLOBAL__N_124unique_dim_cuda_templateIdEESt5tupleIJNSH_6TensorESM_SM_EERKSM_lbbbEUlllE0_EEPmJS6_EEE10hipError_tPvRmT3_T4_T5_T6_T7_T9_mT8_P12ihipStream_tbDpT10_ENKUlT_T0_E_clISt17integral_constantIbLb0EES1C_EEDaS17_S18_EUlS17_E_NS1_11comp_targetILNS1_3genE9ELNS1_11target_archE1100ELNS1_3gpuE3ELNS1_3repE0EEENS1_30default_config_static_selectorELNS0_4arch9wavefront6targetE0EEEvT1_: ; @_ZN7rocprim17ROCPRIM_400000_NS6detail17trampoline_kernelINS0_14default_configENS1_25partition_config_selectorILNS1_17partition_subalgoE8ElNS0_10empty_typeEbEEZZNS1_14partition_implILS5_8ELb0ES3_jPlPS6_PKS6_NS0_5tupleIJS9_S6_EEENSD_IJSA_SA_EEENS0_18inequality_wrapperIZN2at6native12_GLOBAL__N_124unique_dim_cuda_templateIdEESt5tupleIJNSH_6TensorESM_SM_EERKSM_lbbbEUlllE0_EEPmJS6_EEE10hipError_tPvRmT3_T4_T5_T6_T7_T9_mT8_P12ihipStream_tbDpT10_ENKUlT_T0_E_clISt17integral_constantIbLb0EES1C_EEDaS17_S18_EUlS17_E_NS1_11comp_targetILNS1_3genE9ELNS1_11target_archE1100ELNS1_3gpuE3ELNS1_3repE0EEENS1_30default_config_static_selectorELNS0_4arch9wavefront6targetE0EEEvT1_
; %bb.0:
	.section	.rodata,"a",@progbits
	.p2align	6, 0x0
	.amdhsa_kernel _ZN7rocprim17ROCPRIM_400000_NS6detail17trampoline_kernelINS0_14default_configENS1_25partition_config_selectorILNS1_17partition_subalgoE8ElNS0_10empty_typeEbEEZZNS1_14partition_implILS5_8ELb0ES3_jPlPS6_PKS6_NS0_5tupleIJS9_S6_EEENSD_IJSA_SA_EEENS0_18inequality_wrapperIZN2at6native12_GLOBAL__N_124unique_dim_cuda_templateIdEESt5tupleIJNSH_6TensorESM_SM_EERKSM_lbbbEUlllE0_EEPmJS6_EEE10hipError_tPvRmT3_T4_T5_T6_T7_T9_mT8_P12ihipStream_tbDpT10_ENKUlT_T0_E_clISt17integral_constantIbLb0EES1C_EEDaS17_S18_EUlS17_E_NS1_11comp_targetILNS1_3genE9ELNS1_11target_archE1100ELNS1_3gpuE3ELNS1_3repE0EEENS1_30default_config_static_selectorELNS0_4arch9wavefront6targetE0EEEvT1_
		.amdhsa_group_segment_fixed_size 0
		.amdhsa_private_segment_fixed_size 0
		.amdhsa_kernarg_size 120
		.amdhsa_user_sgpr_count 2
		.amdhsa_user_sgpr_dispatch_ptr 0
		.amdhsa_user_sgpr_queue_ptr 0
		.amdhsa_user_sgpr_kernarg_segment_ptr 1
		.amdhsa_user_sgpr_dispatch_id 0
		.amdhsa_user_sgpr_kernarg_preload_length 0
		.amdhsa_user_sgpr_kernarg_preload_offset 0
		.amdhsa_user_sgpr_private_segment_size 0
		.amdhsa_wavefront_size32 1
		.amdhsa_uses_dynamic_stack 0
		.amdhsa_enable_private_segment 0
		.amdhsa_system_sgpr_workgroup_id_x 1
		.amdhsa_system_sgpr_workgroup_id_y 0
		.amdhsa_system_sgpr_workgroup_id_z 0
		.amdhsa_system_sgpr_workgroup_info 0
		.amdhsa_system_vgpr_workitem_id 0
		.amdhsa_next_free_vgpr 1
		.amdhsa_next_free_sgpr 1
		.amdhsa_named_barrier_count 0
		.amdhsa_reserve_vcc 0
		.amdhsa_float_round_mode_32 0
		.amdhsa_float_round_mode_16_64 0
		.amdhsa_float_denorm_mode_32 3
		.amdhsa_float_denorm_mode_16_64 3
		.amdhsa_fp16_overflow 0
		.amdhsa_memory_ordered 1
		.amdhsa_forward_progress 1
		.amdhsa_inst_pref_size 0
		.amdhsa_round_robin_scheduling 0
		.amdhsa_exception_fp_ieee_invalid_op 0
		.amdhsa_exception_fp_denorm_src 0
		.amdhsa_exception_fp_ieee_div_zero 0
		.amdhsa_exception_fp_ieee_overflow 0
		.amdhsa_exception_fp_ieee_underflow 0
		.amdhsa_exception_fp_ieee_inexact 0
		.amdhsa_exception_int_div_zero 0
	.end_amdhsa_kernel
	.section	.text._ZN7rocprim17ROCPRIM_400000_NS6detail17trampoline_kernelINS0_14default_configENS1_25partition_config_selectorILNS1_17partition_subalgoE8ElNS0_10empty_typeEbEEZZNS1_14partition_implILS5_8ELb0ES3_jPlPS6_PKS6_NS0_5tupleIJS9_S6_EEENSD_IJSA_SA_EEENS0_18inequality_wrapperIZN2at6native12_GLOBAL__N_124unique_dim_cuda_templateIdEESt5tupleIJNSH_6TensorESM_SM_EERKSM_lbbbEUlllE0_EEPmJS6_EEE10hipError_tPvRmT3_T4_T5_T6_T7_T9_mT8_P12ihipStream_tbDpT10_ENKUlT_T0_E_clISt17integral_constantIbLb0EES1C_EEDaS17_S18_EUlS17_E_NS1_11comp_targetILNS1_3genE9ELNS1_11target_archE1100ELNS1_3gpuE3ELNS1_3repE0EEENS1_30default_config_static_selectorELNS0_4arch9wavefront6targetE0EEEvT1_,"axG",@progbits,_ZN7rocprim17ROCPRIM_400000_NS6detail17trampoline_kernelINS0_14default_configENS1_25partition_config_selectorILNS1_17partition_subalgoE8ElNS0_10empty_typeEbEEZZNS1_14partition_implILS5_8ELb0ES3_jPlPS6_PKS6_NS0_5tupleIJS9_S6_EEENSD_IJSA_SA_EEENS0_18inequality_wrapperIZN2at6native12_GLOBAL__N_124unique_dim_cuda_templateIdEESt5tupleIJNSH_6TensorESM_SM_EERKSM_lbbbEUlllE0_EEPmJS6_EEE10hipError_tPvRmT3_T4_T5_T6_T7_T9_mT8_P12ihipStream_tbDpT10_ENKUlT_T0_E_clISt17integral_constantIbLb0EES1C_EEDaS17_S18_EUlS17_E_NS1_11comp_targetILNS1_3genE9ELNS1_11target_archE1100ELNS1_3gpuE3ELNS1_3repE0EEENS1_30default_config_static_selectorELNS0_4arch9wavefront6targetE0EEEvT1_,comdat
.Lfunc_end813:
	.size	_ZN7rocprim17ROCPRIM_400000_NS6detail17trampoline_kernelINS0_14default_configENS1_25partition_config_selectorILNS1_17partition_subalgoE8ElNS0_10empty_typeEbEEZZNS1_14partition_implILS5_8ELb0ES3_jPlPS6_PKS6_NS0_5tupleIJS9_S6_EEENSD_IJSA_SA_EEENS0_18inequality_wrapperIZN2at6native12_GLOBAL__N_124unique_dim_cuda_templateIdEESt5tupleIJNSH_6TensorESM_SM_EERKSM_lbbbEUlllE0_EEPmJS6_EEE10hipError_tPvRmT3_T4_T5_T6_T7_T9_mT8_P12ihipStream_tbDpT10_ENKUlT_T0_E_clISt17integral_constantIbLb0EES1C_EEDaS17_S18_EUlS17_E_NS1_11comp_targetILNS1_3genE9ELNS1_11target_archE1100ELNS1_3gpuE3ELNS1_3repE0EEENS1_30default_config_static_selectorELNS0_4arch9wavefront6targetE0EEEvT1_, .Lfunc_end813-_ZN7rocprim17ROCPRIM_400000_NS6detail17trampoline_kernelINS0_14default_configENS1_25partition_config_selectorILNS1_17partition_subalgoE8ElNS0_10empty_typeEbEEZZNS1_14partition_implILS5_8ELb0ES3_jPlPS6_PKS6_NS0_5tupleIJS9_S6_EEENSD_IJSA_SA_EEENS0_18inequality_wrapperIZN2at6native12_GLOBAL__N_124unique_dim_cuda_templateIdEESt5tupleIJNSH_6TensorESM_SM_EERKSM_lbbbEUlllE0_EEPmJS6_EEE10hipError_tPvRmT3_T4_T5_T6_T7_T9_mT8_P12ihipStream_tbDpT10_ENKUlT_T0_E_clISt17integral_constantIbLb0EES1C_EEDaS17_S18_EUlS17_E_NS1_11comp_targetILNS1_3genE9ELNS1_11target_archE1100ELNS1_3gpuE3ELNS1_3repE0EEENS1_30default_config_static_selectorELNS0_4arch9wavefront6targetE0EEEvT1_
                                        ; -- End function
	.set _ZN7rocprim17ROCPRIM_400000_NS6detail17trampoline_kernelINS0_14default_configENS1_25partition_config_selectorILNS1_17partition_subalgoE8ElNS0_10empty_typeEbEEZZNS1_14partition_implILS5_8ELb0ES3_jPlPS6_PKS6_NS0_5tupleIJS9_S6_EEENSD_IJSA_SA_EEENS0_18inequality_wrapperIZN2at6native12_GLOBAL__N_124unique_dim_cuda_templateIdEESt5tupleIJNSH_6TensorESM_SM_EERKSM_lbbbEUlllE0_EEPmJS6_EEE10hipError_tPvRmT3_T4_T5_T6_T7_T9_mT8_P12ihipStream_tbDpT10_ENKUlT_T0_E_clISt17integral_constantIbLb0EES1C_EEDaS17_S18_EUlS17_E_NS1_11comp_targetILNS1_3genE9ELNS1_11target_archE1100ELNS1_3gpuE3ELNS1_3repE0EEENS1_30default_config_static_selectorELNS0_4arch9wavefront6targetE0EEEvT1_.num_vgpr, 0
	.set _ZN7rocprim17ROCPRIM_400000_NS6detail17trampoline_kernelINS0_14default_configENS1_25partition_config_selectorILNS1_17partition_subalgoE8ElNS0_10empty_typeEbEEZZNS1_14partition_implILS5_8ELb0ES3_jPlPS6_PKS6_NS0_5tupleIJS9_S6_EEENSD_IJSA_SA_EEENS0_18inequality_wrapperIZN2at6native12_GLOBAL__N_124unique_dim_cuda_templateIdEESt5tupleIJNSH_6TensorESM_SM_EERKSM_lbbbEUlllE0_EEPmJS6_EEE10hipError_tPvRmT3_T4_T5_T6_T7_T9_mT8_P12ihipStream_tbDpT10_ENKUlT_T0_E_clISt17integral_constantIbLb0EES1C_EEDaS17_S18_EUlS17_E_NS1_11comp_targetILNS1_3genE9ELNS1_11target_archE1100ELNS1_3gpuE3ELNS1_3repE0EEENS1_30default_config_static_selectorELNS0_4arch9wavefront6targetE0EEEvT1_.num_agpr, 0
	.set _ZN7rocprim17ROCPRIM_400000_NS6detail17trampoline_kernelINS0_14default_configENS1_25partition_config_selectorILNS1_17partition_subalgoE8ElNS0_10empty_typeEbEEZZNS1_14partition_implILS5_8ELb0ES3_jPlPS6_PKS6_NS0_5tupleIJS9_S6_EEENSD_IJSA_SA_EEENS0_18inequality_wrapperIZN2at6native12_GLOBAL__N_124unique_dim_cuda_templateIdEESt5tupleIJNSH_6TensorESM_SM_EERKSM_lbbbEUlllE0_EEPmJS6_EEE10hipError_tPvRmT3_T4_T5_T6_T7_T9_mT8_P12ihipStream_tbDpT10_ENKUlT_T0_E_clISt17integral_constantIbLb0EES1C_EEDaS17_S18_EUlS17_E_NS1_11comp_targetILNS1_3genE9ELNS1_11target_archE1100ELNS1_3gpuE3ELNS1_3repE0EEENS1_30default_config_static_selectorELNS0_4arch9wavefront6targetE0EEEvT1_.numbered_sgpr, 0
	.set _ZN7rocprim17ROCPRIM_400000_NS6detail17trampoline_kernelINS0_14default_configENS1_25partition_config_selectorILNS1_17partition_subalgoE8ElNS0_10empty_typeEbEEZZNS1_14partition_implILS5_8ELb0ES3_jPlPS6_PKS6_NS0_5tupleIJS9_S6_EEENSD_IJSA_SA_EEENS0_18inequality_wrapperIZN2at6native12_GLOBAL__N_124unique_dim_cuda_templateIdEESt5tupleIJNSH_6TensorESM_SM_EERKSM_lbbbEUlllE0_EEPmJS6_EEE10hipError_tPvRmT3_T4_T5_T6_T7_T9_mT8_P12ihipStream_tbDpT10_ENKUlT_T0_E_clISt17integral_constantIbLb0EES1C_EEDaS17_S18_EUlS17_E_NS1_11comp_targetILNS1_3genE9ELNS1_11target_archE1100ELNS1_3gpuE3ELNS1_3repE0EEENS1_30default_config_static_selectorELNS0_4arch9wavefront6targetE0EEEvT1_.num_named_barrier, 0
	.set _ZN7rocprim17ROCPRIM_400000_NS6detail17trampoline_kernelINS0_14default_configENS1_25partition_config_selectorILNS1_17partition_subalgoE8ElNS0_10empty_typeEbEEZZNS1_14partition_implILS5_8ELb0ES3_jPlPS6_PKS6_NS0_5tupleIJS9_S6_EEENSD_IJSA_SA_EEENS0_18inequality_wrapperIZN2at6native12_GLOBAL__N_124unique_dim_cuda_templateIdEESt5tupleIJNSH_6TensorESM_SM_EERKSM_lbbbEUlllE0_EEPmJS6_EEE10hipError_tPvRmT3_T4_T5_T6_T7_T9_mT8_P12ihipStream_tbDpT10_ENKUlT_T0_E_clISt17integral_constantIbLb0EES1C_EEDaS17_S18_EUlS17_E_NS1_11comp_targetILNS1_3genE9ELNS1_11target_archE1100ELNS1_3gpuE3ELNS1_3repE0EEENS1_30default_config_static_selectorELNS0_4arch9wavefront6targetE0EEEvT1_.private_seg_size, 0
	.set _ZN7rocprim17ROCPRIM_400000_NS6detail17trampoline_kernelINS0_14default_configENS1_25partition_config_selectorILNS1_17partition_subalgoE8ElNS0_10empty_typeEbEEZZNS1_14partition_implILS5_8ELb0ES3_jPlPS6_PKS6_NS0_5tupleIJS9_S6_EEENSD_IJSA_SA_EEENS0_18inequality_wrapperIZN2at6native12_GLOBAL__N_124unique_dim_cuda_templateIdEESt5tupleIJNSH_6TensorESM_SM_EERKSM_lbbbEUlllE0_EEPmJS6_EEE10hipError_tPvRmT3_T4_T5_T6_T7_T9_mT8_P12ihipStream_tbDpT10_ENKUlT_T0_E_clISt17integral_constantIbLb0EES1C_EEDaS17_S18_EUlS17_E_NS1_11comp_targetILNS1_3genE9ELNS1_11target_archE1100ELNS1_3gpuE3ELNS1_3repE0EEENS1_30default_config_static_selectorELNS0_4arch9wavefront6targetE0EEEvT1_.uses_vcc, 0
	.set _ZN7rocprim17ROCPRIM_400000_NS6detail17trampoline_kernelINS0_14default_configENS1_25partition_config_selectorILNS1_17partition_subalgoE8ElNS0_10empty_typeEbEEZZNS1_14partition_implILS5_8ELb0ES3_jPlPS6_PKS6_NS0_5tupleIJS9_S6_EEENSD_IJSA_SA_EEENS0_18inequality_wrapperIZN2at6native12_GLOBAL__N_124unique_dim_cuda_templateIdEESt5tupleIJNSH_6TensorESM_SM_EERKSM_lbbbEUlllE0_EEPmJS6_EEE10hipError_tPvRmT3_T4_T5_T6_T7_T9_mT8_P12ihipStream_tbDpT10_ENKUlT_T0_E_clISt17integral_constantIbLb0EES1C_EEDaS17_S18_EUlS17_E_NS1_11comp_targetILNS1_3genE9ELNS1_11target_archE1100ELNS1_3gpuE3ELNS1_3repE0EEENS1_30default_config_static_selectorELNS0_4arch9wavefront6targetE0EEEvT1_.uses_flat_scratch, 0
	.set _ZN7rocprim17ROCPRIM_400000_NS6detail17trampoline_kernelINS0_14default_configENS1_25partition_config_selectorILNS1_17partition_subalgoE8ElNS0_10empty_typeEbEEZZNS1_14partition_implILS5_8ELb0ES3_jPlPS6_PKS6_NS0_5tupleIJS9_S6_EEENSD_IJSA_SA_EEENS0_18inequality_wrapperIZN2at6native12_GLOBAL__N_124unique_dim_cuda_templateIdEESt5tupleIJNSH_6TensorESM_SM_EERKSM_lbbbEUlllE0_EEPmJS6_EEE10hipError_tPvRmT3_T4_T5_T6_T7_T9_mT8_P12ihipStream_tbDpT10_ENKUlT_T0_E_clISt17integral_constantIbLb0EES1C_EEDaS17_S18_EUlS17_E_NS1_11comp_targetILNS1_3genE9ELNS1_11target_archE1100ELNS1_3gpuE3ELNS1_3repE0EEENS1_30default_config_static_selectorELNS0_4arch9wavefront6targetE0EEEvT1_.has_dyn_sized_stack, 0
	.set _ZN7rocprim17ROCPRIM_400000_NS6detail17trampoline_kernelINS0_14default_configENS1_25partition_config_selectorILNS1_17partition_subalgoE8ElNS0_10empty_typeEbEEZZNS1_14partition_implILS5_8ELb0ES3_jPlPS6_PKS6_NS0_5tupleIJS9_S6_EEENSD_IJSA_SA_EEENS0_18inequality_wrapperIZN2at6native12_GLOBAL__N_124unique_dim_cuda_templateIdEESt5tupleIJNSH_6TensorESM_SM_EERKSM_lbbbEUlllE0_EEPmJS6_EEE10hipError_tPvRmT3_T4_T5_T6_T7_T9_mT8_P12ihipStream_tbDpT10_ENKUlT_T0_E_clISt17integral_constantIbLb0EES1C_EEDaS17_S18_EUlS17_E_NS1_11comp_targetILNS1_3genE9ELNS1_11target_archE1100ELNS1_3gpuE3ELNS1_3repE0EEENS1_30default_config_static_selectorELNS0_4arch9wavefront6targetE0EEEvT1_.has_recursion, 0
	.set _ZN7rocprim17ROCPRIM_400000_NS6detail17trampoline_kernelINS0_14default_configENS1_25partition_config_selectorILNS1_17partition_subalgoE8ElNS0_10empty_typeEbEEZZNS1_14partition_implILS5_8ELb0ES3_jPlPS6_PKS6_NS0_5tupleIJS9_S6_EEENSD_IJSA_SA_EEENS0_18inequality_wrapperIZN2at6native12_GLOBAL__N_124unique_dim_cuda_templateIdEESt5tupleIJNSH_6TensorESM_SM_EERKSM_lbbbEUlllE0_EEPmJS6_EEE10hipError_tPvRmT3_T4_T5_T6_T7_T9_mT8_P12ihipStream_tbDpT10_ENKUlT_T0_E_clISt17integral_constantIbLb0EES1C_EEDaS17_S18_EUlS17_E_NS1_11comp_targetILNS1_3genE9ELNS1_11target_archE1100ELNS1_3gpuE3ELNS1_3repE0EEENS1_30default_config_static_selectorELNS0_4arch9wavefront6targetE0EEEvT1_.has_indirect_call, 0
	.section	.AMDGPU.csdata,"",@progbits
; Kernel info:
; codeLenInByte = 0
; TotalNumSgprs: 0
; NumVgprs: 0
; ScratchSize: 0
; MemoryBound: 0
; FloatMode: 240
; IeeeMode: 1
; LDSByteSize: 0 bytes/workgroup (compile time only)
; SGPRBlocks: 0
; VGPRBlocks: 0
; NumSGPRsForWavesPerEU: 1
; NumVGPRsForWavesPerEU: 1
; NamedBarCnt: 0
; Occupancy: 16
; WaveLimiterHint : 0
; COMPUTE_PGM_RSRC2:SCRATCH_EN: 0
; COMPUTE_PGM_RSRC2:USER_SGPR: 2
; COMPUTE_PGM_RSRC2:TRAP_HANDLER: 0
; COMPUTE_PGM_RSRC2:TGID_X_EN: 1
; COMPUTE_PGM_RSRC2:TGID_Y_EN: 0
; COMPUTE_PGM_RSRC2:TGID_Z_EN: 0
; COMPUTE_PGM_RSRC2:TIDIG_COMP_CNT: 0
	.section	.text._ZN7rocprim17ROCPRIM_400000_NS6detail17trampoline_kernelINS0_14default_configENS1_25partition_config_selectorILNS1_17partition_subalgoE8ElNS0_10empty_typeEbEEZZNS1_14partition_implILS5_8ELb0ES3_jPlPS6_PKS6_NS0_5tupleIJS9_S6_EEENSD_IJSA_SA_EEENS0_18inequality_wrapperIZN2at6native12_GLOBAL__N_124unique_dim_cuda_templateIdEESt5tupleIJNSH_6TensorESM_SM_EERKSM_lbbbEUlllE0_EEPmJS6_EEE10hipError_tPvRmT3_T4_T5_T6_T7_T9_mT8_P12ihipStream_tbDpT10_ENKUlT_T0_E_clISt17integral_constantIbLb0EES1C_EEDaS17_S18_EUlS17_E_NS1_11comp_targetILNS1_3genE8ELNS1_11target_archE1030ELNS1_3gpuE2ELNS1_3repE0EEENS1_30default_config_static_selectorELNS0_4arch9wavefront6targetE0EEEvT1_,"axG",@progbits,_ZN7rocprim17ROCPRIM_400000_NS6detail17trampoline_kernelINS0_14default_configENS1_25partition_config_selectorILNS1_17partition_subalgoE8ElNS0_10empty_typeEbEEZZNS1_14partition_implILS5_8ELb0ES3_jPlPS6_PKS6_NS0_5tupleIJS9_S6_EEENSD_IJSA_SA_EEENS0_18inequality_wrapperIZN2at6native12_GLOBAL__N_124unique_dim_cuda_templateIdEESt5tupleIJNSH_6TensorESM_SM_EERKSM_lbbbEUlllE0_EEPmJS6_EEE10hipError_tPvRmT3_T4_T5_T6_T7_T9_mT8_P12ihipStream_tbDpT10_ENKUlT_T0_E_clISt17integral_constantIbLb0EES1C_EEDaS17_S18_EUlS17_E_NS1_11comp_targetILNS1_3genE8ELNS1_11target_archE1030ELNS1_3gpuE2ELNS1_3repE0EEENS1_30default_config_static_selectorELNS0_4arch9wavefront6targetE0EEEvT1_,comdat
	.globl	_ZN7rocprim17ROCPRIM_400000_NS6detail17trampoline_kernelINS0_14default_configENS1_25partition_config_selectorILNS1_17partition_subalgoE8ElNS0_10empty_typeEbEEZZNS1_14partition_implILS5_8ELb0ES3_jPlPS6_PKS6_NS0_5tupleIJS9_S6_EEENSD_IJSA_SA_EEENS0_18inequality_wrapperIZN2at6native12_GLOBAL__N_124unique_dim_cuda_templateIdEESt5tupleIJNSH_6TensorESM_SM_EERKSM_lbbbEUlllE0_EEPmJS6_EEE10hipError_tPvRmT3_T4_T5_T6_T7_T9_mT8_P12ihipStream_tbDpT10_ENKUlT_T0_E_clISt17integral_constantIbLb0EES1C_EEDaS17_S18_EUlS17_E_NS1_11comp_targetILNS1_3genE8ELNS1_11target_archE1030ELNS1_3gpuE2ELNS1_3repE0EEENS1_30default_config_static_selectorELNS0_4arch9wavefront6targetE0EEEvT1_ ; -- Begin function _ZN7rocprim17ROCPRIM_400000_NS6detail17trampoline_kernelINS0_14default_configENS1_25partition_config_selectorILNS1_17partition_subalgoE8ElNS0_10empty_typeEbEEZZNS1_14partition_implILS5_8ELb0ES3_jPlPS6_PKS6_NS0_5tupleIJS9_S6_EEENSD_IJSA_SA_EEENS0_18inequality_wrapperIZN2at6native12_GLOBAL__N_124unique_dim_cuda_templateIdEESt5tupleIJNSH_6TensorESM_SM_EERKSM_lbbbEUlllE0_EEPmJS6_EEE10hipError_tPvRmT3_T4_T5_T6_T7_T9_mT8_P12ihipStream_tbDpT10_ENKUlT_T0_E_clISt17integral_constantIbLb0EES1C_EEDaS17_S18_EUlS17_E_NS1_11comp_targetILNS1_3genE8ELNS1_11target_archE1030ELNS1_3gpuE2ELNS1_3repE0EEENS1_30default_config_static_selectorELNS0_4arch9wavefront6targetE0EEEvT1_
	.p2align	8
	.type	_ZN7rocprim17ROCPRIM_400000_NS6detail17trampoline_kernelINS0_14default_configENS1_25partition_config_selectorILNS1_17partition_subalgoE8ElNS0_10empty_typeEbEEZZNS1_14partition_implILS5_8ELb0ES3_jPlPS6_PKS6_NS0_5tupleIJS9_S6_EEENSD_IJSA_SA_EEENS0_18inequality_wrapperIZN2at6native12_GLOBAL__N_124unique_dim_cuda_templateIdEESt5tupleIJNSH_6TensorESM_SM_EERKSM_lbbbEUlllE0_EEPmJS6_EEE10hipError_tPvRmT3_T4_T5_T6_T7_T9_mT8_P12ihipStream_tbDpT10_ENKUlT_T0_E_clISt17integral_constantIbLb0EES1C_EEDaS17_S18_EUlS17_E_NS1_11comp_targetILNS1_3genE8ELNS1_11target_archE1030ELNS1_3gpuE2ELNS1_3repE0EEENS1_30default_config_static_selectorELNS0_4arch9wavefront6targetE0EEEvT1_,@function
_ZN7rocprim17ROCPRIM_400000_NS6detail17trampoline_kernelINS0_14default_configENS1_25partition_config_selectorILNS1_17partition_subalgoE8ElNS0_10empty_typeEbEEZZNS1_14partition_implILS5_8ELb0ES3_jPlPS6_PKS6_NS0_5tupleIJS9_S6_EEENSD_IJSA_SA_EEENS0_18inequality_wrapperIZN2at6native12_GLOBAL__N_124unique_dim_cuda_templateIdEESt5tupleIJNSH_6TensorESM_SM_EERKSM_lbbbEUlllE0_EEPmJS6_EEE10hipError_tPvRmT3_T4_T5_T6_T7_T9_mT8_P12ihipStream_tbDpT10_ENKUlT_T0_E_clISt17integral_constantIbLb0EES1C_EEDaS17_S18_EUlS17_E_NS1_11comp_targetILNS1_3genE8ELNS1_11target_archE1030ELNS1_3gpuE2ELNS1_3repE0EEENS1_30default_config_static_selectorELNS0_4arch9wavefront6targetE0EEEvT1_: ; @_ZN7rocprim17ROCPRIM_400000_NS6detail17trampoline_kernelINS0_14default_configENS1_25partition_config_selectorILNS1_17partition_subalgoE8ElNS0_10empty_typeEbEEZZNS1_14partition_implILS5_8ELb0ES3_jPlPS6_PKS6_NS0_5tupleIJS9_S6_EEENSD_IJSA_SA_EEENS0_18inequality_wrapperIZN2at6native12_GLOBAL__N_124unique_dim_cuda_templateIdEESt5tupleIJNSH_6TensorESM_SM_EERKSM_lbbbEUlllE0_EEPmJS6_EEE10hipError_tPvRmT3_T4_T5_T6_T7_T9_mT8_P12ihipStream_tbDpT10_ENKUlT_T0_E_clISt17integral_constantIbLb0EES1C_EEDaS17_S18_EUlS17_E_NS1_11comp_targetILNS1_3genE8ELNS1_11target_archE1030ELNS1_3gpuE2ELNS1_3repE0EEENS1_30default_config_static_selectorELNS0_4arch9wavefront6targetE0EEEvT1_
; %bb.0:
	.section	.rodata,"a",@progbits
	.p2align	6, 0x0
	.amdhsa_kernel _ZN7rocprim17ROCPRIM_400000_NS6detail17trampoline_kernelINS0_14default_configENS1_25partition_config_selectorILNS1_17partition_subalgoE8ElNS0_10empty_typeEbEEZZNS1_14partition_implILS5_8ELb0ES3_jPlPS6_PKS6_NS0_5tupleIJS9_S6_EEENSD_IJSA_SA_EEENS0_18inequality_wrapperIZN2at6native12_GLOBAL__N_124unique_dim_cuda_templateIdEESt5tupleIJNSH_6TensorESM_SM_EERKSM_lbbbEUlllE0_EEPmJS6_EEE10hipError_tPvRmT3_T4_T5_T6_T7_T9_mT8_P12ihipStream_tbDpT10_ENKUlT_T0_E_clISt17integral_constantIbLb0EES1C_EEDaS17_S18_EUlS17_E_NS1_11comp_targetILNS1_3genE8ELNS1_11target_archE1030ELNS1_3gpuE2ELNS1_3repE0EEENS1_30default_config_static_selectorELNS0_4arch9wavefront6targetE0EEEvT1_
		.amdhsa_group_segment_fixed_size 0
		.amdhsa_private_segment_fixed_size 0
		.amdhsa_kernarg_size 120
		.amdhsa_user_sgpr_count 2
		.amdhsa_user_sgpr_dispatch_ptr 0
		.amdhsa_user_sgpr_queue_ptr 0
		.amdhsa_user_sgpr_kernarg_segment_ptr 1
		.amdhsa_user_sgpr_dispatch_id 0
		.amdhsa_user_sgpr_kernarg_preload_length 0
		.amdhsa_user_sgpr_kernarg_preload_offset 0
		.amdhsa_user_sgpr_private_segment_size 0
		.amdhsa_wavefront_size32 1
		.amdhsa_uses_dynamic_stack 0
		.amdhsa_enable_private_segment 0
		.amdhsa_system_sgpr_workgroup_id_x 1
		.amdhsa_system_sgpr_workgroup_id_y 0
		.amdhsa_system_sgpr_workgroup_id_z 0
		.amdhsa_system_sgpr_workgroup_info 0
		.amdhsa_system_vgpr_workitem_id 0
		.amdhsa_next_free_vgpr 1
		.amdhsa_next_free_sgpr 1
		.amdhsa_named_barrier_count 0
		.amdhsa_reserve_vcc 0
		.amdhsa_float_round_mode_32 0
		.amdhsa_float_round_mode_16_64 0
		.amdhsa_float_denorm_mode_32 3
		.amdhsa_float_denorm_mode_16_64 3
		.amdhsa_fp16_overflow 0
		.amdhsa_memory_ordered 1
		.amdhsa_forward_progress 1
		.amdhsa_inst_pref_size 0
		.amdhsa_round_robin_scheduling 0
		.amdhsa_exception_fp_ieee_invalid_op 0
		.amdhsa_exception_fp_denorm_src 0
		.amdhsa_exception_fp_ieee_div_zero 0
		.amdhsa_exception_fp_ieee_overflow 0
		.amdhsa_exception_fp_ieee_underflow 0
		.amdhsa_exception_fp_ieee_inexact 0
		.amdhsa_exception_int_div_zero 0
	.end_amdhsa_kernel
	.section	.text._ZN7rocprim17ROCPRIM_400000_NS6detail17trampoline_kernelINS0_14default_configENS1_25partition_config_selectorILNS1_17partition_subalgoE8ElNS0_10empty_typeEbEEZZNS1_14partition_implILS5_8ELb0ES3_jPlPS6_PKS6_NS0_5tupleIJS9_S6_EEENSD_IJSA_SA_EEENS0_18inequality_wrapperIZN2at6native12_GLOBAL__N_124unique_dim_cuda_templateIdEESt5tupleIJNSH_6TensorESM_SM_EERKSM_lbbbEUlllE0_EEPmJS6_EEE10hipError_tPvRmT3_T4_T5_T6_T7_T9_mT8_P12ihipStream_tbDpT10_ENKUlT_T0_E_clISt17integral_constantIbLb0EES1C_EEDaS17_S18_EUlS17_E_NS1_11comp_targetILNS1_3genE8ELNS1_11target_archE1030ELNS1_3gpuE2ELNS1_3repE0EEENS1_30default_config_static_selectorELNS0_4arch9wavefront6targetE0EEEvT1_,"axG",@progbits,_ZN7rocprim17ROCPRIM_400000_NS6detail17trampoline_kernelINS0_14default_configENS1_25partition_config_selectorILNS1_17partition_subalgoE8ElNS0_10empty_typeEbEEZZNS1_14partition_implILS5_8ELb0ES3_jPlPS6_PKS6_NS0_5tupleIJS9_S6_EEENSD_IJSA_SA_EEENS0_18inequality_wrapperIZN2at6native12_GLOBAL__N_124unique_dim_cuda_templateIdEESt5tupleIJNSH_6TensorESM_SM_EERKSM_lbbbEUlllE0_EEPmJS6_EEE10hipError_tPvRmT3_T4_T5_T6_T7_T9_mT8_P12ihipStream_tbDpT10_ENKUlT_T0_E_clISt17integral_constantIbLb0EES1C_EEDaS17_S18_EUlS17_E_NS1_11comp_targetILNS1_3genE8ELNS1_11target_archE1030ELNS1_3gpuE2ELNS1_3repE0EEENS1_30default_config_static_selectorELNS0_4arch9wavefront6targetE0EEEvT1_,comdat
.Lfunc_end814:
	.size	_ZN7rocprim17ROCPRIM_400000_NS6detail17trampoline_kernelINS0_14default_configENS1_25partition_config_selectorILNS1_17partition_subalgoE8ElNS0_10empty_typeEbEEZZNS1_14partition_implILS5_8ELb0ES3_jPlPS6_PKS6_NS0_5tupleIJS9_S6_EEENSD_IJSA_SA_EEENS0_18inequality_wrapperIZN2at6native12_GLOBAL__N_124unique_dim_cuda_templateIdEESt5tupleIJNSH_6TensorESM_SM_EERKSM_lbbbEUlllE0_EEPmJS6_EEE10hipError_tPvRmT3_T4_T5_T6_T7_T9_mT8_P12ihipStream_tbDpT10_ENKUlT_T0_E_clISt17integral_constantIbLb0EES1C_EEDaS17_S18_EUlS17_E_NS1_11comp_targetILNS1_3genE8ELNS1_11target_archE1030ELNS1_3gpuE2ELNS1_3repE0EEENS1_30default_config_static_selectorELNS0_4arch9wavefront6targetE0EEEvT1_, .Lfunc_end814-_ZN7rocprim17ROCPRIM_400000_NS6detail17trampoline_kernelINS0_14default_configENS1_25partition_config_selectorILNS1_17partition_subalgoE8ElNS0_10empty_typeEbEEZZNS1_14partition_implILS5_8ELb0ES3_jPlPS6_PKS6_NS0_5tupleIJS9_S6_EEENSD_IJSA_SA_EEENS0_18inequality_wrapperIZN2at6native12_GLOBAL__N_124unique_dim_cuda_templateIdEESt5tupleIJNSH_6TensorESM_SM_EERKSM_lbbbEUlllE0_EEPmJS6_EEE10hipError_tPvRmT3_T4_T5_T6_T7_T9_mT8_P12ihipStream_tbDpT10_ENKUlT_T0_E_clISt17integral_constantIbLb0EES1C_EEDaS17_S18_EUlS17_E_NS1_11comp_targetILNS1_3genE8ELNS1_11target_archE1030ELNS1_3gpuE2ELNS1_3repE0EEENS1_30default_config_static_selectorELNS0_4arch9wavefront6targetE0EEEvT1_
                                        ; -- End function
	.set _ZN7rocprim17ROCPRIM_400000_NS6detail17trampoline_kernelINS0_14default_configENS1_25partition_config_selectorILNS1_17partition_subalgoE8ElNS0_10empty_typeEbEEZZNS1_14partition_implILS5_8ELb0ES3_jPlPS6_PKS6_NS0_5tupleIJS9_S6_EEENSD_IJSA_SA_EEENS0_18inequality_wrapperIZN2at6native12_GLOBAL__N_124unique_dim_cuda_templateIdEESt5tupleIJNSH_6TensorESM_SM_EERKSM_lbbbEUlllE0_EEPmJS6_EEE10hipError_tPvRmT3_T4_T5_T6_T7_T9_mT8_P12ihipStream_tbDpT10_ENKUlT_T0_E_clISt17integral_constantIbLb0EES1C_EEDaS17_S18_EUlS17_E_NS1_11comp_targetILNS1_3genE8ELNS1_11target_archE1030ELNS1_3gpuE2ELNS1_3repE0EEENS1_30default_config_static_selectorELNS0_4arch9wavefront6targetE0EEEvT1_.num_vgpr, 0
	.set _ZN7rocprim17ROCPRIM_400000_NS6detail17trampoline_kernelINS0_14default_configENS1_25partition_config_selectorILNS1_17partition_subalgoE8ElNS0_10empty_typeEbEEZZNS1_14partition_implILS5_8ELb0ES3_jPlPS6_PKS6_NS0_5tupleIJS9_S6_EEENSD_IJSA_SA_EEENS0_18inequality_wrapperIZN2at6native12_GLOBAL__N_124unique_dim_cuda_templateIdEESt5tupleIJNSH_6TensorESM_SM_EERKSM_lbbbEUlllE0_EEPmJS6_EEE10hipError_tPvRmT3_T4_T5_T6_T7_T9_mT8_P12ihipStream_tbDpT10_ENKUlT_T0_E_clISt17integral_constantIbLb0EES1C_EEDaS17_S18_EUlS17_E_NS1_11comp_targetILNS1_3genE8ELNS1_11target_archE1030ELNS1_3gpuE2ELNS1_3repE0EEENS1_30default_config_static_selectorELNS0_4arch9wavefront6targetE0EEEvT1_.num_agpr, 0
	.set _ZN7rocprim17ROCPRIM_400000_NS6detail17trampoline_kernelINS0_14default_configENS1_25partition_config_selectorILNS1_17partition_subalgoE8ElNS0_10empty_typeEbEEZZNS1_14partition_implILS5_8ELb0ES3_jPlPS6_PKS6_NS0_5tupleIJS9_S6_EEENSD_IJSA_SA_EEENS0_18inequality_wrapperIZN2at6native12_GLOBAL__N_124unique_dim_cuda_templateIdEESt5tupleIJNSH_6TensorESM_SM_EERKSM_lbbbEUlllE0_EEPmJS6_EEE10hipError_tPvRmT3_T4_T5_T6_T7_T9_mT8_P12ihipStream_tbDpT10_ENKUlT_T0_E_clISt17integral_constantIbLb0EES1C_EEDaS17_S18_EUlS17_E_NS1_11comp_targetILNS1_3genE8ELNS1_11target_archE1030ELNS1_3gpuE2ELNS1_3repE0EEENS1_30default_config_static_selectorELNS0_4arch9wavefront6targetE0EEEvT1_.numbered_sgpr, 0
	.set _ZN7rocprim17ROCPRIM_400000_NS6detail17trampoline_kernelINS0_14default_configENS1_25partition_config_selectorILNS1_17partition_subalgoE8ElNS0_10empty_typeEbEEZZNS1_14partition_implILS5_8ELb0ES3_jPlPS6_PKS6_NS0_5tupleIJS9_S6_EEENSD_IJSA_SA_EEENS0_18inequality_wrapperIZN2at6native12_GLOBAL__N_124unique_dim_cuda_templateIdEESt5tupleIJNSH_6TensorESM_SM_EERKSM_lbbbEUlllE0_EEPmJS6_EEE10hipError_tPvRmT3_T4_T5_T6_T7_T9_mT8_P12ihipStream_tbDpT10_ENKUlT_T0_E_clISt17integral_constantIbLb0EES1C_EEDaS17_S18_EUlS17_E_NS1_11comp_targetILNS1_3genE8ELNS1_11target_archE1030ELNS1_3gpuE2ELNS1_3repE0EEENS1_30default_config_static_selectorELNS0_4arch9wavefront6targetE0EEEvT1_.num_named_barrier, 0
	.set _ZN7rocprim17ROCPRIM_400000_NS6detail17trampoline_kernelINS0_14default_configENS1_25partition_config_selectorILNS1_17partition_subalgoE8ElNS0_10empty_typeEbEEZZNS1_14partition_implILS5_8ELb0ES3_jPlPS6_PKS6_NS0_5tupleIJS9_S6_EEENSD_IJSA_SA_EEENS0_18inequality_wrapperIZN2at6native12_GLOBAL__N_124unique_dim_cuda_templateIdEESt5tupleIJNSH_6TensorESM_SM_EERKSM_lbbbEUlllE0_EEPmJS6_EEE10hipError_tPvRmT3_T4_T5_T6_T7_T9_mT8_P12ihipStream_tbDpT10_ENKUlT_T0_E_clISt17integral_constantIbLb0EES1C_EEDaS17_S18_EUlS17_E_NS1_11comp_targetILNS1_3genE8ELNS1_11target_archE1030ELNS1_3gpuE2ELNS1_3repE0EEENS1_30default_config_static_selectorELNS0_4arch9wavefront6targetE0EEEvT1_.private_seg_size, 0
	.set _ZN7rocprim17ROCPRIM_400000_NS6detail17trampoline_kernelINS0_14default_configENS1_25partition_config_selectorILNS1_17partition_subalgoE8ElNS0_10empty_typeEbEEZZNS1_14partition_implILS5_8ELb0ES3_jPlPS6_PKS6_NS0_5tupleIJS9_S6_EEENSD_IJSA_SA_EEENS0_18inequality_wrapperIZN2at6native12_GLOBAL__N_124unique_dim_cuda_templateIdEESt5tupleIJNSH_6TensorESM_SM_EERKSM_lbbbEUlllE0_EEPmJS6_EEE10hipError_tPvRmT3_T4_T5_T6_T7_T9_mT8_P12ihipStream_tbDpT10_ENKUlT_T0_E_clISt17integral_constantIbLb0EES1C_EEDaS17_S18_EUlS17_E_NS1_11comp_targetILNS1_3genE8ELNS1_11target_archE1030ELNS1_3gpuE2ELNS1_3repE0EEENS1_30default_config_static_selectorELNS0_4arch9wavefront6targetE0EEEvT1_.uses_vcc, 0
	.set _ZN7rocprim17ROCPRIM_400000_NS6detail17trampoline_kernelINS0_14default_configENS1_25partition_config_selectorILNS1_17partition_subalgoE8ElNS0_10empty_typeEbEEZZNS1_14partition_implILS5_8ELb0ES3_jPlPS6_PKS6_NS0_5tupleIJS9_S6_EEENSD_IJSA_SA_EEENS0_18inequality_wrapperIZN2at6native12_GLOBAL__N_124unique_dim_cuda_templateIdEESt5tupleIJNSH_6TensorESM_SM_EERKSM_lbbbEUlllE0_EEPmJS6_EEE10hipError_tPvRmT3_T4_T5_T6_T7_T9_mT8_P12ihipStream_tbDpT10_ENKUlT_T0_E_clISt17integral_constantIbLb0EES1C_EEDaS17_S18_EUlS17_E_NS1_11comp_targetILNS1_3genE8ELNS1_11target_archE1030ELNS1_3gpuE2ELNS1_3repE0EEENS1_30default_config_static_selectorELNS0_4arch9wavefront6targetE0EEEvT1_.uses_flat_scratch, 0
	.set _ZN7rocprim17ROCPRIM_400000_NS6detail17trampoline_kernelINS0_14default_configENS1_25partition_config_selectorILNS1_17partition_subalgoE8ElNS0_10empty_typeEbEEZZNS1_14partition_implILS5_8ELb0ES3_jPlPS6_PKS6_NS0_5tupleIJS9_S6_EEENSD_IJSA_SA_EEENS0_18inequality_wrapperIZN2at6native12_GLOBAL__N_124unique_dim_cuda_templateIdEESt5tupleIJNSH_6TensorESM_SM_EERKSM_lbbbEUlllE0_EEPmJS6_EEE10hipError_tPvRmT3_T4_T5_T6_T7_T9_mT8_P12ihipStream_tbDpT10_ENKUlT_T0_E_clISt17integral_constantIbLb0EES1C_EEDaS17_S18_EUlS17_E_NS1_11comp_targetILNS1_3genE8ELNS1_11target_archE1030ELNS1_3gpuE2ELNS1_3repE0EEENS1_30default_config_static_selectorELNS0_4arch9wavefront6targetE0EEEvT1_.has_dyn_sized_stack, 0
	.set _ZN7rocprim17ROCPRIM_400000_NS6detail17trampoline_kernelINS0_14default_configENS1_25partition_config_selectorILNS1_17partition_subalgoE8ElNS0_10empty_typeEbEEZZNS1_14partition_implILS5_8ELb0ES3_jPlPS6_PKS6_NS0_5tupleIJS9_S6_EEENSD_IJSA_SA_EEENS0_18inequality_wrapperIZN2at6native12_GLOBAL__N_124unique_dim_cuda_templateIdEESt5tupleIJNSH_6TensorESM_SM_EERKSM_lbbbEUlllE0_EEPmJS6_EEE10hipError_tPvRmT3_T4_T5_T6_T7_T9_mT8_P12ihipStream_tbDpT10_ENKUlT_T0_E_clISt17integral_constantIbLb0EES1C_EEDaS17_S18_EUlS17_E_NS1_11comp_targetILNS1_3genE8ELNS1_11target_archE1030ELNS1_3gpuE2ELNS1_3repE0EEENS1_30default_config_static_selectorELNS0_4arch9wavefront6targetE0EEEvT1_.has_recursion, 0
	.set _ZN7rocprim17ROCPRIM_400000_NS6detail17trampoline_kernelINS0_14default_configENS1_25partition_config_selectorILNS1_17partition_subalgoE8ElNS0_10empty_typeEbEEZZNS1_14partition_implILS5_8ELb0ES3_jPlPS6_PKS6_NS0_5tupleIJS9_S6_EEENSD_IJSA_SA_EEENS0_18inequality_wrapperIZN2at6native12_GLOBAL__N_124unique_dim_cuda_templateIdEESt5tupleIJNSH_6TensorESM_SM_EERKSM_lbbbEUlllE0_EEPmJS6_EEE10hipError_tPvRmT3_T4_T5_T6_T7_T9_mT8_P12ihipStream_tbDpT10_ENKUlT_T0_E_clISt17integral_constantIbLb0EES1C_EEDaS17_S18_EUlS17_E_NS1_11comp_targetILNS1_3genE8ELNS1_11target_archE1030ELNS1_3gpuE2ELNS1_3repE0EEENS1_30default_config_static_selectorELNS0_4arch9wavefront6targetE0EEEvT1_.has_indirect_call, 0
	.section	.AMDGPU.csdata,"",@progbits
; Kernel info:
; codeLenInByte = 0
; TotalNumSgprs: 0
; NumVgprs: 0
; ScratchSize: 0
; MemoryBound: 0
; FloatMode: 240
; IeeeMode: 1
; LDSByteSize: 0 bytes/workgroup (compile time only)
; SGPRBlocks: 0
; VGPRBlocks: 0
; NumSGPRsForWavesPerEU: 1
; NumVGPRsForWavesPerEU: 1
; NamedBarCnt: 0
; Occupancy: 16
; WaveLimiterHint : 0
; COMPUTE_PGM_RSRC2:SCRATCH_EN: 0
; COMPUTE_PGM_RSRC2:USER_SGPR: 2
; COMPUTE_PGM_RSRC2:TRAP_HANDLER: 0
; COMPUTE_PGM_RSRC2:TGID_X_EN: 1
; COMPUTE_PGM_RSRC2:TGID_Y_EN: 0
; COMPUTE_PGM_RSRC2:TGID_Z_EN: 0
; COMPUTE_PGM_RSRC2:TIDIG_COMP_CNT: 0
	.section	.text._ZN7rocprim17ROCPRIM_400000_NS6detail17trampoline_kernelINS0_14default_configENS1_25partition_config_selectorILNS1_17partition_subalgoE8ElNS0_10empty_typeEbEEZZNS1_14partition_implILS5_8ELb0ES3_jPlPS6_PKS6_NS0_5tupleIJS9_S6_EEENSD_IJSA_SA_EEENS0_18inequality_wrapperIZN2at6native12_GLOBAL__N_124unique_dim_cuda_templateIdEESt5tupleIJNSH_6TensorESM_SM_EERKSM_lbbbEUlllE0_EEPmJS6_EEE10hipError_tPvRmT3_T4_T5_T6_T7_T9_mT8_P12ihipStream_tbDpT10_ENKUlT_T0_E_clISt17integral_constantIbLb1EES1C_EEDaS17_S18_EUlS17_E_NS1_11comp_targetILNS1_3genE0ELNS1_11target_archE4294967295ELNS1_3gpuE0ELNS1_3repE0EEENS1_30default_config_static_selectorELNS0_4arch9wavefront6targetE0EEEvT1_,"axG",@progbits,_ZN7rocprim17ROCPRIM_400000_NS6detail17trampoline_kernelINS0_14default_configENS1_25partition_config_selectorILNS1_17partition_subalgoE8ElNS0_10empty_typeEbEEZZNS1_14partition_implILS5_8ELb0ES3_jPlPS6_PKS6_NS0_5tupleIJS9_S6_EEENSD_IJSA_SA_EEENS0_18inequality_wrapperIZN2at6native12_GLOBAL__N_124unique_dim_cuda_templateIdEESt5tupleIJNSH_6TensorESM_SM_EERKSM_lbbbEUlllE0_EEPmJS6_EEE10hipError_tPvRmT3_T4_T5_T6_T7_T9_mT8_P12ihipStream_tbDpT10_ENKUlT_T0_E_clISt17integral_constantIbLb1EES1C_EEDaS17_S18_EUlS17_E_NS1_11comp_targetILNS1_3genE0ELNS1_11target_archE4294967295ELNS1_3gpuE0ELNS1_3repE0EEENS1_30default_config_static_selectorELNS0_4arch9wavefront6targetE0EEEvT1_,comdat
	.globl	_ZN7rocprim17ROCPRIM_400000_NS6detail17trampoline_kernelINS0_14default_configENS1_25partition_config_selectorILNS1_17partition_subalgoE8ElNS0_10empty_typeEbEEZZNS1_14partition_implILS5_8ELb0ES3_jPlPS6_PKS6_NS0_5tupleIJS9_S6_EEENSD_IJSA_SA_EEENS0_18inequality_wrapperIZN2at6native12_GLOBAL__N_124unique_dim_cuda_templateIdEESt5tupleIJNSH_6TensorESM_SM_EERKSM_lbbbEUlllE0_EEPmJS6_EEE10hipError_tPvRmT3_T4_T5_T6_T7_T9_mT8_P12ihipStream_tbDpT10_ENKUlT_T0_E_clISt17integral_constantIbLb1EES1C_EEDaS17_S18_EUlS17_E_NS1_11comp_targetILNS1_3genE0ELNS1_11target_archE4294967295ELNS1_3gpuE0ELNS1_3repE0EEENS1_30default_config_static_selectorELNS0_4arch9wavefront6targetE0EEEvT1_ ; -- Begin function _ZN7rocprim17ROCPRIM_400000_NS6detail17trampoline_kernelINS0_14default_configENS1_25partition_config_selectorILNS1_17partition_subalgoE8ElNS0_10empty_typeEbEEZZNS1_14partition_implILS5_8ELb0ES3_jPlPS6_PKS6_NS0_5tupleIJS9_S6_EEENSD_IJSA_SA_EEENS0_18inequality_wrapperIZN2at6native12_GLOBAL__N_124unique_dim_cuda_templateIdEESt5tupleIJNSH_6TensorESM_SM_EERKSM_lbbbEUlllE0_EEPmJS6_EEE10hipError_tPvRmT3_T4_T5_T6_T7_T9_mT8_P12ihipStream_tbDpT10_ENKUlT_T0_E_clISt17integral_constantIbLb1EES1C_EEDaS17_S18_EUlS17_E_NS1_11comp_targetILNS1_3genE0ELNS1_11target_archE4294967295ELNS1_3gpuE0ELNS1_3repE0EEENS1_30default_config_static_selectorELNS0_4arch9wavefront6targetE0EEEvT1_
	.p2align	8
	.type	_ZN7rocprim17ROCPRIM_400000_NS6detail17trampoline_kernelINS0_14default_configENS1_25partition_config_selectorILNS1_17partition_subalgoE8ElNS0_10empty_typeEbEEZZNS1_14partition_implILS5_8ELb0ES3_jPlPS6_PKS6_NS0_5tupleIJS9_S6_EEENSD_IJSA_SA_EEENS0_18inequality_wrapperIZN2at6native12_GLOBAL__N_124unique_dim_cuda_templateIdEESt5tupleIJNSH_6TensorESM_SM_EERKSM_lbbbEUlllE0_EEPmJS6_EEE10hipError_tPvRmT3_T4_T5_T6_T7_T9_mT8_P12ihipStream_tbDpT10_ENKUlT_T0_E_clISt17integral_constantIbLb1EES1C_EEDaS17_S18_EUlS17_E_NS1_11comp_targetILNS1_3genE0ELNS1_11target_archE4294967295ELNS1_3gpuE0ELNS1_3repE0EEENS1_30default_config_static_selectorELNS0_4arch9wavefront6targetE0EEEvT1_,@function
_ZN7rocprim17ROCPRIM_400000_NS6detail17trampoline_kernelINS0_14default_configENS1_25partition_config_selectorILNS1_17partition_subalgoE8ElNS0_10empty_typeEbEEZZNS1_14partition_implILS5_8ELb0ES3_jPlPS6_PKS6_NS0_5tupleIJS9_S6_EEENSD_IJSA_SA_EEENS0_18inequality_wrapperIZN2at6native12_GLOBAL__N_124unique_dim_cuda_templateIdEESt5tupleIJNSH_6TensorESM_SM_EERKSM_lbbbEUlllE0_EEPmJS6_EEE10hipError_tPvRmT3_T4_T5_T6_T7_T9_mT8_P12ihipStream_tbDpT10_ENKUlT_T0_E_clISt17integral_constantIbLb1EES1C_EEDaS17_S18_EUlS17_E_NS1_11comp_targetILNS1_3genE0ELNS1_11target_archE4294967295ELNS1_3gpuE0ELNS1_3repE0EEENS1_30default_config_static_selectorELNS0_4arch9wavefront6targetE0EEEvT1_: ; @_ZN7rocprim17ROCPRIM_400000_NS6detail17trampoline_kernelINS0_14default_configENS1_25partition_config_selectorILNS1_17partition_subalgoE8ElNS0_10empty_typeEbEEZZNS1_14partition_implILS5_8ELb0ES3_jPlPS6_PKS6_NS0_5tupleIJS9_S6_EEENSD_IJSA_SA_EEENS0_18inequality_wrapperIZN2at6native12_GLOBAL__N_124unique_dim_cuda_templateIdEESt5tupleIJNSH_6TensorESM_SM_EERKSM_lbbbEUlllE0_EEPmJS6_EEE10hipError_tPvRmT3_T4_T5_T6_T7_T9_mT8_P12ihipStream_tbDpT10_ENKUlT_T0_E_clISt17integral_constantIbLb1EES1C_EEDaS17_S18_EUlS17_E_NS1_11comp_targetILNS1_3genE0ELNS1_11target_archE4294967295ELNS1_3gpuE0ELNS1_3repE0EEENS1_30default_config_static_selectorELNS0_4arch9wavefront6targetE0EEEvT1_
; %bb.0:
	s_endpgm
	.section	.rodata,"a",@progbits
	.p2align	6, 0x0
	.amdhsa_kernel _ZN7rocprim17ROCPRIM_400000_NS6detail17trampoline_kernelINS0_14default_configENS1_25partition_config_selectorILNS1_17partition_subalgoE8ElNS0_10empty_typeEbEEZZNS1_14partition_implILS5_8ELb0ES3_jPlPS6_PKS6_NS0_5tupleIJS9_S6_EEENSD_IJSA_SA_EEENS0_18inequality_wrapperIZN2at6native12_GLOBAL__N_124unique_dim_cuda_templateIdEESt5tupleIJNSH_6TensorESM_SM_EERKSM_lbbbEUlllE0_EEPmJS6_EEE10hipError_tPvRmT3_T4_T5_T6_T7_T9_mT8_P12ihipStream_tbDpT10_ENKUlT_T0_E_clISt17integral_constantIbLb1EES1C_EEDaS17_S18_EUlS17_E_NS1_11comp_targetILNS1_3genE0ELNS1_11target_archE4294967295ELNS1_3gpuE0ELNS1_3repE0EEENS1_30default_config_static_selectorELNS0_4arch9wavefront6targetE0EEEvT1_
		.amdhsa_group_segment_fixed_size 0
		.amdhsa_private_segment_fixed_size 0
		.amdhsa_kernarg_size 136
		.amdhsa_user_sgpr_count 2
		.amdhsa_user_sgpr_dispatch_ptr 0
		.amdhsa_user_sgpr_queue_ptr 0
		.amdhsa_user_sgpr_kernarg_segment_ptr 1
		.amdhsa_user_sgpr_dispatch_id 0
		.amdhsa_user_sgpr_kernarg_preload_length 0
		.amdhsa_user_sgpr_kernarg_preload_offset 0
		.amdhsa_user_sgpr_private_segment_size 0
		.amdhsa_wavefront_size32 1
		.amdhsa_uses_dynamic_stack 0
		.amdhsa_enable_private_segment 0
		.amdhsa_system_sgpr_workgroup_id_x 1
		.amdhsa_system_sgpr_workgroup_id_y 0
		.amdhsa_system_sgpr_workgroup_id_z 0
		.amdhsa_system_sgpr_workgroup_info 0
		.amdhsa_system_vgpr_workitem_id 0
		.amdhsa_next_free_vgpr 1
		.amdhsa_next_free_sgpr 1
		.amdhsa_named_barrier_count 0
		.amdhsa_reserve_vcc 0
		.amdhsa_float_round_mode_32 0
		.amdhsa_float_round_mode_16_64 0
		.amdhsa_float_denorm_mode_32 3
		.amdhsa_float_denorm_mode_16_64 3
		.amdhsa_fp16_overflow 0
		.amdhsa_memory_ordered 1
		.amdhsa_forward_progress 1
		.amdhsa_inst_pref_size 1
		.amdhsa_round_robin_scheduling 0
		.amdhsa_exception_fp_ieee_invalid_op 0
		.amdhsa_exception_fp_denorm_src 0
		.amdhsa_exception_fp_ieee_div_zero 0
		.amdhsa_exception_fp_ieee_overflow 0
		.amdhsa_exception_fp_ieee_underflow 0
		.amdhsa_exception_fp_ieee_inexact 0
		.amdhsa_exception_int_div_zero 0
	.end_amdhsa_kernel
	.section	.text._ZN7rocprim17ROCPRIM_400000_NS6detail17trampoline_kernelINS0_14default_configENS1_25partition_config_selectorILNS1_17partition_subalgoE8ElNS0_10empty_typeEbEEZZNS1_14partition_implILS5_8ELb0ES3_jPlPS6_PKS6_NS0_5tupleIJS9_S6_EEENSD_IJSA_SA_EEENS0_18inequality_wrapperIZN2at6native12_GLOBAL__N_124unique_dim_cuda_templateIdEESt5tupleIJNSH_6TensorESM_SM_EERKSM_lbbbEUlllE0_EEPmJS6_EEE10hipError_tPvRmT3_T4_T5_T6_T7_T9_mT8_P12ihipStream_tbDpT10_ENKUlT_T0_E_clISt17integral_constantIbLb1EES1C_EEDaS17_S18_EUlS17_E_NS1_11comp_targetILNS1_3genE0ELNS1_11target_archE4294967295ELNS1_3gpuE0ELNS1_3repE0EEENS1_30default_config_static_selectorELNS0_4arch9wavefront6targetE0EEEvT1_,"axG",@progbits,_ZN7rocprim17ROCPRIM_400000_NS6detail17trampoline_kernelINS0_14default_configENS1_25partition_config_selectorILNS1_17partition_subalgoE8ElNS0_10empty_typeEbEEZZNS1_14partition_implILS5_8ELb0ES3_jPlPS6_PKS6_NS0_5tupleIJS9_S6_EEENSD_IJSA_SA_EEENS0_18inequality_wrapperIZN2at6native12_GLOBAL__N_124unique_dim_cuda_templateIdEESt5tupleIJNSH_6TensorESM_SM_EERKSM_lbbbEUlllE0_EEPmJS6_EEE10hipError_tPvRmT3_T4_T5_T6_T7_T9_mT8_P12ihipStream_tbDpT10_ENKUlT_T0_E_clISt17integral_constantIbLb1EES1C_EEDaS17_S18_EUlS17_E_NS1_11comp_targetILNS1_3genE0ELNS1_11target_archE4294967295ELNS1_3gpuE0ELNS1_3repE0EEENS1_30default_config_static_selectorELNS0_4arch9wavefront6targetE0EEEvT1_,comdat
.Lfunc_end815:
	.size	_ZN7rocprim17ROCPRIM_400000_NS6detail17trampoline_kernelINS0_14default_configENS1_25partition_config_selectorILNS1_17partition_subalgoE8ElNS0_10empty_typeEbEEZZNS1_14partition_implILS5_8ELb0ES3_jPlPS6_PKS6_NS0_5tupleIJS9_S6_EEENSD_IJSA_SA_EEENS0_18inequality_wrapperIZN2at6native12_GLOBAL__N_124unique_dim_cuda_templateIdEESt5tupleIJNSH_6TensorESM_SM_EERKSM_lbbbEUlllE0_EEPmJS6_EEE10hipError_tPvRmT3_T4_T5_T6_T7_T9_mT8_P12ihipStream_tbDpT10_ENKUlT_T0_E_clISt17integral_constantIbLb1EES1C_EEDaS17_S18_EUlS17_E_NS1_11comp_targetILNS1_3genE0ELNS1_11target_archE4294967295ELNS1_3gpuE0ELNS1_3repE0EEENS1_30default_config_static_selectorELNS0_4arch9wavefront6targetE0EEEvT1_, .Lfunc_end815-_ZN7rocprim17ROCPRIM_400000_NS6detail17trampoline_kernelINS0_14default_configENS1_25partition_config_selectorILNS1_17partition_subalgoE8ElNS0_10empty_typeEbEEZZNS1_14partition_implILS5_8ELb0ES3_jPlPS6_PKS6_NS0_5tupleIJS9_S6_EEENSD_IJSA_SA_EEENS0_18inequality_wrapperIZN2at6native12_GLOBAL__N_124unique_dim_cuda_templateIdEESt5tupleIJNSH_6TensorESM_SM_EERKSM_lbbbEUlllE0_EEPmJS6_EEE10hipError_tPvRmT3_T4_T5_T6_T7_T9_mT8_P12ihipStream_tbDpT10_ENKUlT_T0_E_clISt17integral_constantIbLb1EES1C_EEDaS17_S18_EUlS17_E_NS1_11comp_targetILNS1_3genE0ELNS1_11target_archE4294967295ELNS1_3gpuE0ELNS1_3repE0EEENS1_30default_config_static_selectorELNS0_4arch9wavefront6targetE0EEEvT1_
                                        ; -- End function
	.set _ZN7rocprim17ROCPRIM_400000_NS6detail17trampoline_kernelINS0_14default_configENS1_25partition_config_selectorILNS1_17partition_subalgoE8ElNS0_10empty_typeEbEEZZNS1_14partition_implILS5_8ELb0ES3_jPlPS6_PKS6_NS0_5tupleIJS9_S6_EEENSD_IJSA_SA_EEENS0_18inequality_wrapperIZN2at6native12_GLOBAL__N_124unique_dim_cuda_templateIdEESt5tupleIJNSH_6TensorESM_SM_EERKSM_lbbbEUlllE0_EEPmJS6_EEE10hipError_tPvRmT3_T4_T5_T6_T7_T9_mT8_P12ihipStream_tbDpT10_ENKUlT_T0_E_clISt17integral_constantIbLb1EES1C_EEDaS17_S18_EUlS17_E_NS1_11comp_targetILNS1_3genE0ELNS1_11target_archE4294967295ELNS1_3gpuE0ELNS1_3repE0EEENS1_30default_config_static_selectorELNS0_4arch9wavefront6targetE0EEEvT1_.num_vgpr, 0
	.set _ZN7rocprim17ROCPRIM_400000_NS6detail17trampoline_kernelINS0_14default_configENS1_25partition_config_selectorILNS1_17partition_subalgoE8ElNS0_10empty_typeEbEEZZNS1_14partition_implILS5_8ELb0ES3_jPlPS6_PKS6_NS0_5tupleIJS9_S6_EEENSD_IJSA_SA_EEENS0_18inequality_wrapperIZN2at6native12_GLOBAL__N_124unique_dim_cuda_templateIdEESt5tupleIJNSH_6TensorESM_SM_EERKSM_lbbbEUlllE0_EEPmJS6_EEE10hipError_tPvRmT3_T4_T5_T6_T7_T9_mT8_P12ihipStream_tbDpT10_ENKUlT_T0_E_clISt17integral_constantIbLb1EES1C_EEDaS17_S18_EUlS17_E_NS1_11comp_targetILNS1_3genE0ELNS1_11target_archE4294967295ELNS1_3gpuE0ELNS1_3repE0EEENS1_30default_config_static_selectorELNS0_4arch9wavefront6targetE0EEEvT1_.num_agpr, 0
	.set _ZN7rocprim17ROCPRIM_400000_NS6detail17trampoline_kernelINS0_14default_configENS1_25partition_config_selectorILNS1_17partition_subalgoE8ElNS0_10empty_typeEbEEZZNS1_14partition_implILS5_8ELb0ES3_jPlPS6_PKS6_NS0_5tupleIJS9_S6_EEENSD_IJSA_SA_EEENS0_18inequality_wrapperIZN2at6native12_GLOBAL__N_124unique_dim_cuda_templateIdEESt5tupleIJNSH_6TensorESM_SM_EERKSM_lbbbEUlllE0_EEPmJS6_EEE10hipError_tPvRmT3_T4_T5_T6_T7_T9_mT8_P12ihipStream_tbDpT10_ENKUlT_T0_E_clISt17integral_constantIbLb1EES1C_EEDaS17_S18_EUlS17_E_NS1_11comp_targetILNS1_3genE0ELNS1_11target_archE4294967295ELNS1_3gpuE0ELNS1_3repE0EEENS1_30default_config_static_selectorELNS0_4arch9wavefront6targetE0EEEvT1_.numbered_sgpr, 0
	.set _ZN7rocprim17ROCPRIM_400000_NS6detail17trampoline_kernelINS0_14default_configENS1_25partition_config_selectorILNS1_17partition_subalgoE8ElNS0_10empty_typeEbEEZZNS1_14partition_implILS5_8ELb0ES3_jPlPS6_PKS6_NS0_5tupleIJS9_S6_EEENSD_IJSA_SA_EEENS0_18inequality_wrapperIZN2at6native12_GLOBAL__N_124unique_dim_cuda_templateIdEESt5tupleIJNSH_6TensorESM_SM_EERKSM_lbbbEUlllE0_EEPmJS6_EEE10hipError_tPvRmT3_T4_T5_T6_T7_T9_mT8_P12ihipStream_tbDpT10_ENKUlT_T0_E_clISt17integral_constantIbLb1EES1C_EEDaS17_S18_EUlS17_E_NS1_11comp_targetILNS1_3genE0ELNS1_11target_archE4294967295ELNS1_3gpuE0ELNS1_3repE0EEENS1_30default_config_static_selectorELNS0_4arch9wavefront6targetE0EEEvT1_.num_named_barrier, 0
	.set _ZN7rocprim17ROCPRIM_400000_NS6detail17trampoline_kernelINS0_14default_configENS1_25partition_config_selectorILNS1_17partition_subalgoE8ElNS0_10empty_typeEbEEZZNS1_14partition_implILS5_8ELb0ES3_jPlPS6_PKS6_NS0_5tupleIJS9_S6_EEENSD_IJSA_SA_EEENS0_18inequality_wrapperIZN2at6native12_GLOBAL__N_124unique_dim_cuda_templateIdEESt5tupleIJNSH_6TensorESM_SM_EERKSM_lbbbEUlllE0_EEPmJS6_EEE10hipError_tPvRmT3_T4_T5_T6_T7_T9_mT8_P12ihipStream_tbDpT10_ENKUlT_T0_E_clISt17integral_constantIbLb1EES1C_EEDaS17_S18_EUlS17_E_NS1_11comp_targetILNS1_3genE0ELNS1_11target_archE4294967295ELNS1_3gpuE0ELNS1_3repE0EEENS1_30default_config_static_selectorELNS0_4arch9wavefront6targetE0EEEvT1_.private_seg_size, 0
	.set _ZN7rocprim17ROCPRIM_400000_NS6detail17trampoline_kernelINS0_14default_configENS1_25partition_config_selectorILNS1_17partition_subalgoE8ElNS0_10empty_typeEbEEZZNS1_14partition_implILS5_8ELb0ES3_jPlPS6_PKS6_NS0_5tupleIJS9_S6_EEENSD_IJSA_SA_EEENS0_18inequality_wrapperIZN2at6native12_GLOBAL__N_124unique_dim_cuda_templateIdEESt5tupleIJNSH_6TensorESM_SM_EERKSM_lbbbEUlllE0_EEPmJS6_EEE10hipError_tPvRmT3_T4_T5_T6_T7_T9_mT8_P12ihipStream_tbDpT10_ENKUlT_T0_E_clISt17integral_constantIbLb1EES1C_EEDaS17_S18_EUlS17_E_NS1_11comp_targetILNS1_3genE0ELNS1_11target_archE4294967295ELNS1_3gpuE0ELNS1_3repE0EEENS1_30default_config_static_selectorELNS0_4arch9wavefront6targetE0EEEvT1_.uses_vcc, 0
	.set _ZN7rocprim17ROCPRIM_400000_NS6detail17trampoline_kernelINS0_14default_configENS1_25partition_config_selectorILNS1_17partition_subalgoE8ElNS0_10empty_typeEbEEZZNS1_14partition_implILS5_8ELb0ES3_jPlPS6_PKS6_NS0_5tupleIJS9_S6_EEENSD_IJSA_SA_EEENS0_18inequality_wrapperIZN2at6native12_GLOBAL__N_124unique_dim_cuda_templateIdEESt5tupleIJNSH_6TensorESM_SM_EERKSM_lbbbEUlllE0_EEPmJS6_EEE10hipError_tPvRmT3_T4_T5_T6_T7_T9_mT8_P12ihipStream_tbDpT10_ENKUlT_T0_E_clISt17integral_constantIbLb1EES1C_EEDaS17_S18_EUlS17_E_NS1_11comp_targetILNS1_3genE0ELNS1_11target_archE4294967295ELNS1_3gpuE0ELNS1_3repE0EEENS1_30default_config_static_selectorELNS0_4arch9wavefront6targetE0EEEvT1_.uses_flat_scratch, 0
	.set _ZN7rocprim17ROCPRIM_400000_NS6detail17trampoline_kernelINS0_14default_configENS1_25partition_config_selectorILNS1_17partition_subalgoE8ElNS0_10empty_typeEbEEZZNS1_14partition_implILS5_8ELb0ES3_jPlPS6_PKS6_NS0_5tupleIJS9_S6_EEENSD_IJSA_SA_EEENS0_18inequality_wrapperIZN2at6native12_GLOBAL__N_124unique_dim_cuda_templateIdEESt5tupleIJNSH_6TensorESM_SM_EERKSM_lbbbEUlllE0_EEPmJS6_EEE10hipError_tPvRmT3_T4_T5_T6_T7_T9_mT8_P12ihipStream_tbDpT10_ENKUlT_T0_E_clISt17integral_constantIbLb1EES1C_EEDaS17_S18_EUlS17_E_NS1_11comp_targetILNS1_3genE0ELNS1_11target_archE4294967295ELNS1_3gpuE0ELNS1_3repE0EEENS1_30default_config_static_selectorELNS0_4arch9wavefront6targetE0EEEvT1_.has_dyn_sized_stack, 0
	.set _ZN7rocprim17ROCPRIM_400000_NS6detail17trampoline_kernelINS0_14default_configENS1_25partition_config_selectorILNS1_17partition_subalgoE8ElNS0_10empty_typeEbEEZZNS1_14partition_implILS5_8ELb0ES3_jPlPS6_PKS6_NS0_5tupleIJS9_S6_EEENSD_IJSA_SA_EEENS0_18inequality_wrapperIZN2at6native12_GLOBAL__N_124unique_dim_cuda_templateIdEESt5tupleIJNSH_6TensorESM_SM_EERKSM_lbbbEUlllE0_EEPmJS6_EEE10hipError_tPvRmT3_T4_T5_T6_T7_T9_mT8_P12ihipStream_tbDpT10_ENKUlT_T0_E_clISt17integral_constantIbLb1EES1C_EEDaS17_S18_EUlS17_E_NS1_11comp_targetILNS1_3genE0ELNS1_11target_archE4294967295ELNS1_3gpuE0ELNS1_3repE0EEENS1_30default_config_static_selectorELNS0_4arch9wavefront6targetE0EEEvT1_.has_recursion, 0
	.set _ZN7rocprim17ROCPRIM_400000_NS6detail17trampoline_kernelINS0_14default_configENS1_25partition_config_selectorILNS1_17partition_subalgoE8ElNS0_10empty_typeEbEEZZNS1_14partition_implILS5_8ELb0ES3_jPlPS6_PKS6_NS0_5tupleIJS9_S6_EEENSD_IJSA_SA_EEENS0_18inequality_wrapperIZN2at6native12_GLOBAL__N_124unique_dim_cuda_templateIdEESt5tupleIJNSH_6TensorESM_SM_EERKSM_lbbbEUlllE0_EEPmJS6_EEE10hipError_tPvRmT3_T4_T5_T6_T7_T9_mT8_P12ihipStream_tbDpT10_ENKUlT_T0_E_clISt17integral_constantIbLb1EES1C_EEDaS17_S18_EUlS17_E_NS1_11comp_targetILNS1_3genE0ELNS1_11target_archE4294967295ELNS1_3gpuE0ELNS1_3repE0EEENS1_30default_config_static_selectorELNS0_4arch9wavefront6targetE0EEEvT1_.has_indirect_call, 0
	.section	.AMDGPU.csdata,"",@progbits
; Kernel info:
; codeLenInByte = 4
; TotalNumSgprs: 0
; NumVgprs: 0
; ScratchSize: 0
; MemoryBound: 0
; FloatMode: 240
; IeeeMode: 1
; LDSByteSize: 0 bytes/workgroup (compile time only)
; SGPRBlocks: 0
; VGPRBlocks: 0
; NumSGPRsForWavesPerEU: 1
; NumVGPRsForWavesPerEU: 1
; NamedBarCnt: 0
; Occupancy: 16
; WaveLimiterHint : 0
; COMPUTE_PGM_RSRC2:SCRATCH_EN: 0
; COMPUTE_PGM_RSRC2:USER_SGPR: 2
; COMPUTE_PGM_RSRC2:TRAP_HANDLER: 0
; COMPUTE_PGM_RSRC2:TGID_X_EN: 1
; COMPUTE_PGM_RSRC2:TGID_Y_EN: 0
; COMPUTE_PGM_RSRC2:TGID_Z_EN: 0
; COMPUTE_PGM_RSRC2:TIDIG_COMP_CNT: 0
	.section	.text._ZN7rocprim17ROCPRIM_400000_NS6detail17trampoline_kernelINS0_14default_configENS1_25partition_config_selectorILNS1_17partition_subalgoE8ElNS0_10empty_typeEbEEZZNS1_14partition_implILS5_8ELb0ES3_jPlPS6_PKS6_NS0_5tupleIJS9_S6_EEENSD_IJSA_SA_EEENS0_18inequality_wrapperIZN2at6native12_GLOBAL__N_124unique_dim_cuda_templateIdEESt5tupleIJNSH_6TensorESM_SM_EERKSM_lbbbEUlllE0_EEPmJS6_EEE10hipError_tPvRmT3_T4_T5_T6_T7_T9_mT8_P12ihipStream_tbDpT10_ENKUlT_T0_E_clISt17integral_constantIbLb1EES1C_EEDaS17_S18_EUlS17_E_NS1_11comp_targetILNS1_3genE5ELNS1_11target_archE942ELNS1_3gpuE9ELNS1_3repE0EEENS1_30default_config_static_selectorELNS0_4arch9wavefront6targetE0EEEvT1_,"axG",@progbits,_ZN7rocprim17ROCPRIM_400000_NS6detail17trampoline_kernelINS0_14default_configENS1_25partition_config_selectorILNS1_17partition_subalgoE8ElNS0_10empty_typeEbEEZZNS1_14partition_implILS5_8ELb0ES3_jPlPS6_PKS6_NS0_5tupleIJS9_S6_EEENSD_IJSA_SA_EEENS0_18inequality_wrapperIZN2at6native12_GLOBAL__N_124unique_dim_cuda_templateIdEESt5tupleIJNSH_6TensorESM_SM_EERKSM_lbbbEUlllE0_EEPmJS6_EEE10hipError_tPvRmT3_T4_T5_T6_T7_T9_mT8_P12ihipStream_tbDpT10_ENKUlT_T0_E_clISt17integral_constantIbLb1EES1C_EEDaS17_S18_EUlS17_E_NS1_11comp_targetILNS1_3genE5ELNS1_11target_archE942ELNS1_3gpuE9ELNS1_3repE0EEENS1_30default_config_static_selectorELNS0_4arch9wavefront6targetE0EEEvT1_,comdat
	.globl	_ZN7rocprim17ROCPRIM_400000_NS6detail17trampoline_kernelINS0_14default_configENS1_25partition_config_selectorILNS1_17partition_subalgoE8ElNS0_10empty_typeEbEEZZNS1_14partition_implILS5_8ELb0ES3_jPlPS6_PKS6_NS0_5tupleIJS9_S6_EEENSD_IJSA_SA_EEENS0_18inequality_wrapperIZN2at6native12_GLOBAL__N_124unique_dim_cuda_templateIdEESt5tupleIJNSH_6TensorESM_SM_EERKSM_lbbbEUlllE0_EEPmJS6_EEE10hipError_tPvRmT3_T4_T5_T6_T7_T9_mT8_P12ihipStream_tbDpT10_ENKUlT_T0_E_clISt17integral_constantIbLb1EES1C_EEDaS17_S18_EUlS17_E_NS1_11comp_targetILNS1_3genE5ELNS1_11target_archE942ELNS1_3gpuE9ELNS1_3repE0EEENS1_30default_config_static_selectorELNS0_4arch9wavefront6targetE0EEEvT1_ ; -- Begin function _ZN7rocprim17ROCPRIM_400000_NS6detail17trampoline_kernelINS0_14default_configENS1_25partition_config_selectorILNS1_17partition_subalgoE8ElNS0_10empty_typeEbEEZZNS1_14partition_implILS5_8ELb0ES3_jPlPS6_PKS6_NS0_5tupleIJS9_S6_EEENSD_IJSA_SA_EEENS0_18inequality_wrapperIZN2at6native12_GLOBAL__N_124unique_dim_cuda_templateIdEESt5tupleIJNSH_6TensorESM_SM_EERKSM_lbbbEUlllE0_EEPmJS6_EEE10hipError_tPvRmT3_T4_T5_T6_T7_T9_mT8_P12ihipStream_tbDpT10_ENKUlT_T0_E_clISt17integral_constantIbLb1EES1C_EEDaS17_S18_EUlS17_E_NS1_11comp_targetILNS1_3genE5ELNS1_11target_archE942ELNS1_3gpuE9ELNS1_3repE0EEENS1_30default_config_static_selectorELNS0_4arch9wavefront6targetE0EEEvT1_
	.p2align	8
	.type	_ZN7rocprim17ROCPRIM_400000_NS6detail17trampoline_kernelINS0_14default_configENS1_25partition_config_selectorILNS1_17partition_subalgoE8ElNS0_10empty_typeEbEEZZNS1_14partition_implILS5_8ELb0ES3_jPlPS6_PKS6_NS0_5tupleIJS9_S6_EEENSD_IJSA_SA_EEENS0_18inequality_wrapperIZN2at6native12_GLOBAL__N_124unique_dim_cuda_templateIdEESt5tupleIJNSH_6TensorESM_SM_EERKSM_lbbbEUlllE0_EEPmJS6_EEE10hipError_tPvRmT3_T4_T5_T6_T7_T9_mT8_P12ihipStream_tbDpT10_ENKUlT_T0_E_clISt17integral_constantIbLb1EES1C_EEDaS17_S18_EUlS17_E_NS1_11comp_targetILNS1_3genE5ELNS1_11target_archE942ELNS1_3gpuE9ELNS1_3repE0EEENS1_30default_config_static_selectorELNS0_4arch9wavefront6targetE0EEEvT1_,@function
_ZN7rocprim17ROCPRIM_400000_NS6detail17trampoline_kernelINS0_14default_configENS1_25partition_config_selectorILNS1_17partition_subalgoE8ElNS0_10empty_typeEbEEZZNS1_14partition_implILS5_8ELb0ES3_jPlPS6_PKS6_NS0_5tupleIJS9_S6_EEENSD_IJSA_SA_EEENS0_18inequality_wrapperIZN2at6native12_GLOBAL__N_124unique_dim_cuda_templateIdEESt5tupleIJNSH_6TensorESM_SM_EERKSM_lbbbEUlllE0_EEPmJS6_EEE10hipError_tPvRmT3_T4_T5_T6_T7_T9_mT8_P12ihipStream_tbDpT10_ENKUlT_T0_E_clISt17integral_constantIbLb1EES1C_EEDaS17_S18_EUlS17_E_NS1_11comp_targetILNS1_3genE5ELNS1_11target_archE942ELNS1_3gpuE9ELNS1_3repE0EEENS1_30default_config_static_selectorELNS0_4arch9wavefront6targetE0EEEvT1_: ; @_ZN7rocprim17ROCPRIM_400000_NS6detail17trampoline_kernelINS0_14default_configENS1_25partition_config_selectorILNS1_17partition_subalgoE8ElNS0_10empty_typeEbEEZZNS1_14partition_implILS5_8ELb0ES3_jPlPS6_PKS6_NS0_5tupleIJS9_S6_EEENSD_IJSA_SA_EEENS0_18inequality_wrapperIZN2at6native12_GLOBAL__N_124unique_dim_cuda_templateIdEESt5tupleIJNSH_6TensorESM_SM_EERKSM_lbbbEUlllE0_EEPmJS6_EEE10hipError_tPvRmT3_T4_T5_T6_T7_T9_mT8_P12ihipStream_tbDpT10_ENKUlT_T0_E_clISt17integral_constantIbLb1EES1C_EEDaS17_S18_EUlS17_E_NS1_11comp_targetILNS1_3genE5ELNS1_11target_archE942ELNS1_3gpuE9ELNS1_3repE0EEENS1_30default_config_static_selectorELNS0_4arch9wavefront6targetE0EEEvT1_
; %bb.0:
	.section	.rodata,"a",@progbits
	.p2align	6, 0x0
	.amdhsa_kernel _ZN7rocprim17ROCPRIM_400000_NS6detail17trampoline_kernelINS0_14default_configENS1_25partition_config_selectorILNS1_17partition_subalgoE8ElNS0_10empty_typeEbEEZZNS1_14partition_implILS5_8ELb0ES3_jPlPS6_PKS6_NS0_5tupleIJS9_S6_EEENSD_IJSA_SA_EEENS0_18inequality_wrapperIZN2at6native12_GLOBAL__N_124unique_dim_cuda_templateIdEESt5tupleIJNSH_6TensorESM_SM_EERKSM_lbbbEUlllE0_EEPmJS6_EEE10hipError_tPvRmT3_T4_T5_T6_T7_T9_mT8_P12ihipStream_tbDpT10_ENKUlT_T0_E_clISt17integral_constantIbLb1EES1C_EEDaS17_S18_EUlS17_E_NS1_11comp_targetILNS1_3genE5ELNS1_11target_archE942ELNS1_3gpuE9ELNS1_3repE0EEENS1_30default_config_static_selectorELNS0_4arch9wavefront6targetE0EEEvT1_
		.amdhsa_group_segment_fixed_size 0
		.amdhsa_private_segment_fixed_size 0
		.amdhsa_kernarg_size 136
		.amdhsa_user_sgpr_count 2
		.amdhsa_user_sgpr_dispatch_ptr 0
		.amdhsa_user_sgpr_queue_ptr 0
		.amdhsa_user_sgpr_kernarg_segment_ptr 1
		.amdhsa_user_sgpr_dispatch_id 0
		.amdhsa_user_sgpr_kernarg_preload_length 0
		.amdhsa_user_sgpr_kernarg_preload_offset 0
		.amdhsa_user_sgpr_private_segment_size 0
		.amdhsa_wavefront_size32 1
		.amdhsa_uses_dynamic_stack 0
		.amdhsa_enable_private_segment 0
		.amdhsa_system_sgpr_workgroup_id_x 1
		.amdhsa_system_sgpr_workgroup_id_y 0
		.amdhsa_system_sgpr_workgroup_id_z 0
		.amdhsa_system_sgpr_workgroup_info 0
		.amdhsa_system_vgpr_workitem_id 0
		.amdhsa_next_free_vgpr 1
		.amdhsa_next_free_sgpr 1
		.amdhsa_named_barrier_count 0
		.amdhsa_reserve_vcc 0
		.amdhsa_float_round_mode_32 0
		.amdhsa_float_round_mode_16_64 0
		.amdhsa_float_denorm_mode_32 3
		.amdhsa_float_denorm_mode_16_64 3
		.amdhsa_fp16_overflow 0
		.amdhsa_memory_ordered 1
		.amdhsa_forward_progress 1
		.amdhsa_inst_pref_size 0
		.amdhsa_round_robin_scheduling 0
		.amdhsa_exception_fp_ieee_invalid_op 0
		.amdhsa_exception_fp_denorm_src 0
		.amdhsa_exception_fp_ieee_div_zero 0
		.amdhsa_exception_fp_ieee_overflow 0
		.amdhsa_exception_fp_ieee_underflow 0
		.amdhsa_exception_fp_ieee_inexact 0
		.amdhsa_exception_int_div_zero 0
	.end_amdhsa_kernel
	.section	.text._ZN7rocprim17ROCPRIM_400000_NS6detail17trampoline_kernelINS0_14default_configENS1_25partition_config_selectorILNS1_17partition_subalgoE8ElNS0_10empty_typeEbEEZZNS1_14partition_implILS5_8ELb0ES3_jPlPS6_PKS6_NS0_5tupleIJS9_S6_EEENSD_IJSA_SA_EEENS0_18inequality_wrapperIZN2at6native12_GLOBAL__N_124unique_dim_cuda_templateIdEESt5tupleIJNSH_6TensorESM_SM_EERKSM_lbbbEUlllE0_EEPmJS6_EEE10hipError_tPvRmT3_T4_T5_T6_T7_T9_mT8_P12ihipStream_tbDpT10_ENKUlT_T0_E_clISt17integral_constantIbLb1EES1C_EEDaS17_S18_EUlS17_E_NS1_11comp_targetILNS1_3genE5ELNS1_11target_archE942ELNS1_3gpuE9ELNS1_3repE0EEENS1_30default_config_static_selectorELNS0_4arch9wavefront6targetE0EEEvT1_,"axG",@progbits,_ZN7rocprim17ROCPRIM_400000_NS6detail17trampoline_kernelINS0_14default_configENS1_25partition_config_selectorILNS1_17partition_subalgoE8ElNS0_10empty_typeEbEEZZNS1_14partition_implILS5_8ELb0ES3_jPlPS6_PKS6_NS0_5tupleIJS9_S6_EEENSD_IJSA_SA_EEENS0_18inequality_wrapperIZN2at6native12_GLOBAL__N_124unique_dim_cuda_templateIdEESt5tupleIJNSH_6TensorESM_SM_EERKSM_lbbbEUlllE0_EEPmJS6_EEE10hipError_tPvRmT3_T4_T5_T6_T7_T9_mT8_P12ihipStream_tbDpT10_ENKUlT_T0_E_clISt17integral_constantIbLb1EES1C_EEDaS17_S18_EUlS17_E_NS1_11comp_targetILNS1_3genE5ELNS1_11target_archE942ELNS1_3gpuE9ELNS1_3repE0EEENS1_30default_config_static_selectorELNS0_4arch9wavefront6targetE0EEEvT1_,comdat
.Lfunc_end816:
	.size	_ZN7rocprim17ROCPRIM_400000_NS6detail17trampoline_kernelINS0_14default_configENS1_25partition_config_selectorILNS1_17partition_subalgoE8ElNS0_10empty_typeEbEEZZNS1_14partition_implILS5_8ELb0ES3_jPlPS6_PKS6_NS0_5tupleIJS9_S6_EEENSD_IJSA_SA_EEENS0_18inequality_wrapperIZN2at6native12_GLOBAL__N_124unique_dim_cuda_templateIdEESt5tupleIJNSH_6TensorESM_SM_EERKSM_lbbbEUlllE0_EEPmJS6_EEE10hipError_tPvRmT3_T4_T5_T6_T7_T9_mT8_P12ihipStream_tbDpT10_ENKUlT_T0_E_clISt17integral_constantIbLb1EES1C_EEDaS17_S18_EUlS17_E_NS1_11comp_targetILNS1_3genE5ELNS1_11target_archE942ELNS1_3gpuE9ELNS1_3repE0EEENS1_30default_config_static_selectorELNS0_4arch9wavefront6targetE0EEEvT1_, .Lfunc_end816-_ZN7rocprim17ROCPRIM_400000_NS6detail17trampoline_kernelINS0_14default_configENS1_25partition_config_selectorILNS1_17partition_subalgoE8ElNS0_10empty_typeEbEEZZNS1_14partition_implILS5_8ELb0ES3_jPlPS6_PKS6_NS0_5tupleIJS9_S6_EEENSD_IJSA_SA_EEENS0_18inequality_wrapperIZN2at6native12_GLOBAL__N_124unique_dim_cuda_templateIdEESt5tupleIJNSH_6TensorESM_SM_EERKSM_lbbbEUlllE0_EEPmJS6_EEE10hipError_tPvRmT3_T4_T5_T6_T7_T9_mT8_P12ihipStream_tbDpT10_ENKUlT_T0_E_clISt17integral_constantIbLb1EES1C_EEDaS17_S18_EUlS17_E_NS1_11comp_targetILNS1_3genE5ELNS1_11target_archE942ELNS1_3gpuE9ELNS1_3repE0EEENS1_30default_config_static_selectorELNS0_4arch9wavefront6targetE0EEEvT1_
                                        ; -- End function
	.set _ZN7rocprim17ROCPRIM_400000_NS6detail17trampoline_kernelINS0_14default_configENS1_25partition_config_selectorILNS1_17partition_subalgoE8ElNS0_10empty_typeEbEEZZNS1_14partition_implILS5_8ELb0ES3_jPlPS6_PKS6_NS0_5tupleIJS9_S6_EEENSD_IJSA_SA_EEENS0_18inequality_wrapperIZN2at6native12_GLOBAL__N_124unique_dim_cuda_templateIdEESt5tupleIJNSH_6TensorESM_SM_EERKSM_lbbbEUlllE0_EEPmJS6_EEE10hipError_tPvRmT3_T4_T5_T6_T7_T9_mT8_P12ihipStream_tbDpT10_ENKUlT_T0_E_clISt17integral_constantIbLb1EES1C_EEDaS17_S18_EUlS17_E_NS1_11comp_targetILNS1_3genE5ELNS1_11target_archE942ELNS1_3gpuE9ELNS1_3repE0EEENS1_30default_config_static_selectorELNS0_4arch9wavefront6targetE0EEEvT1_.num_vgpr, 0
	.set _ZN7rocprim17ROCPRIM_400000_NS6detail17trampoline_kernelINS0_14default_configENS1_25partition_config_selectorILNS1_17partition_subalgoE8ElNS0_10empty_typeEbEEZZNS1_14partition_implILS5_8ELb0ES3_jPlPS6_PKS6_NS0_5tupleIJS9_S6_EEENSD_IJSA_SA_EEENS0_18inequality_wrapperIZN2at6native12_GLOBAL__N_124unique_dim_cuda_templateIdEESt5tupleIJNSH_6TensorESM_SM_EERKSM_lbbbEUlllE0_EEPmJS6_EEE10hipError_tPvRmT3_T4_T5_T6_T7_T9_mT8_P12ihipStream_tbDpT10_ENKUlT_T0_E_clISt17integral_constantIbLb1EES1C_EEDaS17_S18_EUlS17_E_NS1_11comp_targetILNS1_3genE5ELNS1_11target_archE942ELNS1_3gpuE9ELNS1_3repE0EEENS1_30default_config_static_selectorELNS0_4arch9wavefront6targetE0EEEvT1_.num_agpr, 0
	.set _ZN7rocprim17ROCPRIM_400000_NS6detail17trampoline_kernelINS0_14default_configENS1_25partition_config_selectorILNS1_17partition_subalgoE8ElNS0_10empty_typeEbEEZZNS1_14partition_implILS5_8ELb0ES3_jPlPS6_PKS6_NS0_5tupleIJS9_S6_EEENSD_IJSA_SA_EEENS0_18inequality_wrapperIZN2at6native12_GLOBAL__N_124unique_dim_cuda_templateIdEESt5tupleIJNSH_6TensorESM_SM_EERKSM_lbbbEUlllE0_EEPmJS6_EEE10hipError_tPvRmT3_T4_T5_T6_T7_T9_mT8_P12ihipStream_tbDpT10_ENKUlT_T0_E_clISt17integral_constantIbLb1EES1C_EEDaS17_S18_EUlS17_E_NS1_11comp_targetILNS1_3genE5ELNS1_11target_archE942ELNS1_3gpuE9ELNS1_3repE0EEENS1_30default_config_static_selectorELNS0_4arch9wavefront6targetE0EEEvT1_.numbered_sgpr, 0
	.set _ZN7rocprim17ROCPRIM_400000_NS6detail17trampoline_kernelINS0_14default_configENS1_25partition_config_selectorILNS1_17partition_subalgoE8ElNS0_10empty_typeEbEEZZNS1_14partition_implILS5_8ELb0ES3_jPlPS6_PKS6_NS0_5tupleIJS9_S6_EEENSD_IJSA_SA_EEENS0_18inequality_wrapperIZN2at6native12_GLOBAL__N_124unique_dim_cuda_templateIdEESt5tupleIJNSH_6TensorESM_SM_EERKSM_lbbbEUlllE0_EEPmJS6_EEE10hipError_tPvRmT3_T4_T5_T6_T7_T9_mT8_P12ihipStream_tbDpT10_ENKUlT_T0_E_clISt17integral_constantIbLb1EES1C_EEDaS17_S18_EUlS17_E_NS1_11comp_targetILNS1_3genE5ELNS1_11target_archE942ELNS1_3gpuE9ELNS1_3repE0EEENS1_30default_config_static_selectorELNS0_4arch9wavefront6targetE0EEEvT1_.num_named_barrier, 0
	.set _ZN7rocprim17ROCPRIM_400000_NS6detail17trampoline_kernelINS0_14default_configENS1_25partition_config_selectorILNS1_17partition_subalgoE8ElNS0_10empty_typeEbEEZZNS1_14partition_implILS5_8ELb0ES3_jPlPS6_PKS6_NS0_5tupleIJS9_S6_EEENSD_IJSA_SA_EEENS0_18inequality_wrapperIZN2at6native12_GLOBAL__N_124unique_dim_cuda_templateIdEESt5tupleIJNSH_6TensorESM_SM_EERKSM_lbbbEUlllE0_EEPmJS6_EEE10hipError_tPvRmT3_T4_T5_T6_T7_T9_mT8_P12ihipStream_tbDpT10_ENKUlT_T0_E_clISt17integral_constantIbLb1EES1C_EEDaS17_S18_EUlS17_E_NS1_11comp_targetILNS1_3genE5ELNS1_11target_archE942ELNS1_3gpuE9ELNS1_3repE0EEENS1_30default_config_static_selectorELNS0_4arch9wavefront6targetE0EEEvT1_.private_seg_size, 0
	.set _ZN7rocprim17ROCPRIM_400000_NS6detail17trampoline_kernelINS0_14default_configENS1_25partition_config_selectorILNS1_17partition_subalgoE8ElNS0_10empty_typeEbEEZZNS1_14partition_implILS5_8ELb0ES3_jPlPS6_PKS6_NS0_5tupleIJS9_S6_EEENSD_IJSA_SA_EEENS0_18inequality_wrapperIZN2at6native12_GLOBAL__N_124unique_dim_cuda_templateIdEESt5tupleIJNSH_6TensorESM_SM_EERKSM_lbbbEUlllE0_EEPmJS6_EEE10hipError_tPvRmT3_T4_T5_T6_T7_T9_mT8_P12ihipStream_tbDpT10_ENKUlT_T0_E_clISt17integral_constantIbLb1EES1C_EEDaS17_S18_EUlS17_E_NS1_11comp_targetILNS1_3genE5ELNS1_11target_archE942ELNS1_3gpuE9ELNS1_3repE0EEENS1_30default_config_static_selectorELNS0_4arch9wavefront6targetE0EEEvT1_.uses_vcc, 0
	.set _ZN7rocprim17ROCPRIM_400000_NS6detail17trampoline_kernelINS0_14default_configENS1_25partition_config_selectorILNS1_17partition_subalgoE8ElNS0_10empty_typeEbEEZZNS1_14partition_implILS5_8ELb0ES3_jPlPS6_PKS6_NS0_5tupleIJS9_S6_EEENSD_IJSA_SA_EEENS0_18inequality_wrapperIZN2at6native12_GLOBAL__N_124unique_dim_cuda_templateIdEESt5tupleIJNSH_6TensorESM_SM_EERKSM_lbbbEUlllE0_EEPmJS6_EEE10hipError_tPvRmT3_T4_T5_T6_T7_T9_mT8_P12ihipStream_tbDpT10_ENKUlT_T0_E_clISt17integral_constantIbLb1EES1C_EEDaS17_S18_EUlS17_E_NS1_11comp_targetILNS1_3genE5ELNS1_11target_archE942ELNS1_3gpuE9ELNS1_3repE0EEENS1_30default_config_static_selectorELNS0_4arch9wavefront6targetE0EEEvT1_.uses_flat_scratch, 0
	.set _ZN7rocprim17ROCPRIM_400000_NS6detail17trampoline_kernelINS0_14default_configENS1_25partition_config_selectorILNS1_17partition_subalgoE8ElNS0_10empty_typeEbEEZZNS1_14partition_implILS5_8ELb0ES3_jPlPS6_PKS6_NS0_5tupleIJS9_S6_EEENSD_IJSA_SA_EEENS0_18inequality_wrapperIZN2at6native12_GLOBAL__N_124unique_dim_cuda_templateIdEESt5tupleIJNSH_6TensorESM_SM_EERKSM_lbbbEUlllE0_EEPmJS6_EEE10hipError_tPvRmT3_T4_T5_T6_T7_T9_mT8_P12ihipStream_tbDpT10_ENKUlT_T0_E_clISt17integral_constantIbLb1EES1C_EEDaS17_S18_EUlS17_E_NS1_11comp_targetILNS1_3genE5ELNS1_11target_archE942ELNS1_3gpuE9ELNS1_3repE0EEENS1_30default_config_static_selectorELNS0_4arch9wavefront6targetE0EEEvT1_.has_dyn_sized_stack, 0
	.set _ZN7rocprim17ROCPRIM_400000_NS6detail17trampoline_kernelINS0_14default_configENS1_25partition_config_selectorILNS1_17partition_subalgoE8ElNS0_10empty_typeEbEEZZNS1_14partition_implILS5_8ELb0ES3_jPlPS6_PKS6_NS0_5tupleIJS9_S6_EEENSD_IJSA_SA_EEENS0_18inequality_wrapperIZN2at6native12_GLOBAL__N_124unique_dim_cuda_templateIdEESt5tupleIJNSH_6TensorESM_SM_EERKSM_lbbbEUlllE0_EEPmJS6_EEE10hipError_tPvRmT3_T4_T5_T6_T7_T9_mT8_P12ihipStream_tbDpT10_ENKUlT_T0_E_clISt17integral_constantIbLb1EES1C_EEDaS17_S18_EUlS17_E_NS1_11comp_targetILNS1_3genE5ELNS1_11target_archE942ELNS1_3gpuE9ELNS1_3repE0EEENS1_30default_config_static_selectorELNS0_4arch9wavefront6targetE0EEEvT1_.has_recursion, 0
	.set _ZN7rocprim17ROCPRIM_400000_NS6detail17trampoline_kernelINS0_14default_configENS1_25partition_config_selectorILNS1_17partition_subalgoE8ElNS0_10empty_typeEbEEZZNS1_14partition_implILS5_8ELb0ES3_jPlPS6_PKS6_NS0_5tupleIJS9_S6_EEENSD_IJSA_SA_EEENS0_18inequality_wrapperIZN2at6native12_GLOBAL__N_124unique_dim_cuda_templateIdEESt5tupleIJNSH_6TensorESM_SM_EERKSM_lbbbEUlllE0_EEPmJS6_EEE10hipError_tPvRmT3_T4_T5_T6_T7_T9_mT8_P12ihipStream_tbDpT10_ENKUlT_T0_E_clISt17integral_constantIbLb1EES1C_EEDaS17_S18_EUlS17_E_NS1_11comp_targetILNS1_3genE5ELNS1_11target_archE942ELNS1_3gpuE9ELNS1_3repE0EEENS1_30default_config_static_selectorELNS0_4arch9wavefront6targetE0EEEvT1_.has_indirect_call, 0
	.section	.AMDGPU.csdata,"",@progbits
; Kernel info:
; codeLenInByte = 0
; TotalNumSgprs: 0
; NumVgprs: 0
; ScratchSize: 0
; MemoryBound: 0
; FloatMode: 240
; IeeeMode: 1
; LDSByteSize: 0 bytes/workgroup (compile time only)
; SGPRBlocks: 0
; VGPRBlocks: 0
; NumSGPRsForWavesPerEU: 1
; NumVGPRsForWavesPerEU: 1
; NamedBarCnt: 0
; Occupancy: 16
; WaveLimiterHint : 0
; COMPUTE_PGM_RSRC2:SCRATCH_EN: 0
; COMPUTE_PGM_RSRC2:USER_SGPR: 2
; COMPUTE_PGM_RSRC2:TRAP_HANDLER: 0
; COMPUTE_PGM_RSRC2:TGID_X_EN: 1
; COMPUTE_PGM_RSRC2:TGID_Y_EN: 0
; COMPUTE_PGM_RSRC2:TGID_Z_EN: 0
; COMPUTE_PGM_RSRC2:TIDIG_COMP_CNT: 0
	.section	.text._ZN7rocprim17ROCPRIM_400000_NS6detail17trampoline_kernelINS0_14default_configENS1_25partition_config_selectorILNS1_17partition_subalgoE8ElNS0_10empty_typeEbEEZZNS1_14partition_implILS5_8ELb0ES3_jPlPS6_PKS6_NS0_5tupleIJS9_S6_EEENSD_IJSA_SA_EEENS0_18inequality_wrapperIZN2at6native12_GLOBAL__N_124unique_dim_cuda_templateIdEESt5tupleIJNSH_6TensorESM_SM_EERKSM_lbbbEUlllE0_EEPmJS6_EEE10hipError_tPvRmT3_T4_T5_T6_T7_T9_mT8_P12ihipStream_tbDpT10_ENKUlT_T0_E_clISt17integral_constantIbLb1EES1C_EEDaS17_S18_EUlS17_E_NS1_11comp_targetILNS1_3genE4ELNS1_11target_archE910ELNS1_3gpuE8ELNS1_3repE0EEENS1_30default_config_static_selectorELNS0_4arch9wavefront6targetE0EEEvT1_,"axG",@progbits,_ZN7rocprim17ROCPRIM_400000_NS6detail17trampoline_kernelINS0_14default_configENS1_25partition_config_selectorILNS1_17partition_subalgoE8ElNS0_10empty_typeEbEEZZNS1_14partition_implILS5_8ELb0ES3_jPlPS6_PKS6_NS0_5tupleIJS9_S6_EEENSD_IJSA_SA_EEENS0_18inequality_wrapperIZN2at6native12_GLOBAL__N_124unique_dim_cuda_templateIdEESt5tupleIJNSH_6TensorESM_SM_EERKSM_lbbbEUlllE0_EEPmJS6_EEE10hipError_tPvRmT3_T4_T5_T6_T7_T9_mT8_P12ihipStream_tbDpT10_ENKUlT_T0_E_clISt17integral_constantIbLb1EES1C_EEDaS17_S18_EUlS17_E_NS1_11comp_targetILNS1_3genE4ELNS1_11target_archE910ELNS1_3gpuE8ELNS1_3repE0EEENS1_30default_config_static_selectorELNS0_4arch9wavefront6targetE0EEEvT1_,comdat
	.globl	_ZN7rocprim17ROCPRIM_400000_NS6detail17trampoline_kernelINS0_14default_configENS1_25partition_config_selectorILNS1_17partition_subalgoE8ElNS0_10empty_typeEbEEZZNS1_14partition_implILS5_8ELb0ES3_jPlPS6_PKS6_NS0_5tupleIJS9_S6_EEENSD_IJSA_SA_EEENS0_18inequality_wrapperIZN2at6native12_GLOBAL__N_124unique_dim_cuda_templateIdEESt5tupleIJNSH_6TensorESM_SM_EERKSM_lbbbEUlllE0_EEPmJS6_EEE10hipError_tPvRmT3_T4_T5_T6_T7_T9_mT8_P12ihipStream_tbDpT10_ENKUlT_T0_E_clISt17integral_constantIbLb1EES1C_EEDaS17_S18_EUlS17_E_NS1_11comp_targetILNS1_3genE4ELNS1_11target_archE910ELNS1_3gpuE8ELNS1_3repE0EEENS1_30default_config_static_selectorELNS0_4arch9wavefront6targetE0EEEvT1_ ; -- Begin function _ZN7rocprim17ROCPRIM_400000_NS6detail17trampoline_kernelINS0_14default_configENS1_25partition_config_selectorILNS1_17partition_subalgoE8ElNS0_10empty_typeEbEEZZNS1_14partition_implILS5_8ELb0ES3_jPlPS6_PKS6_NS0_5tupleIJS9_S6_EEENSD_IJSA_SA_EEENS0_18inequality_wrapperIZN2at6native12_GLOBAL__N_124unique_dim_cuda_templateIdEESt5tupleIJNSH_6TensorESM_SM_EERKSM_lbbbEUlllE0_EEPmJS6_EEE10hipError_tPvRmT3_T4_T5_T6_T7_T9_mT8_P12ihipStream_tbDpT10_ENKUlT_T0_E_clISt17integral_constantIbLb1EES1C_EEDaS17_S18_EUlS17_E_NS1_11comp_targetILNS1_3genE4ELNS1_11target_archE910ELNS1_3gpuE8ELNS1_3repE0EEENS1_30default_config_static_selectorELNS0_4arch9wavefront6targetE0EEEvT1_
	.p2align	8
	.type	_ZN7rocprim17ROCPRIM_400000_NS6detail17trampoline_kernelINS0_14default_configENS1_25partition_config_selectorILNS1_17partition_subalgoE8ElNS0_10empty_typeEbEEZZNS1_14partition_implILS5_8ELb0ES3_jPlPS6_PKS6_NS0_5tupleIJS9_S6_EEENSD_IJSA_SA_EEENS0_18inequality_wrapperIZN2at6native12_GLOBAL__N_124unique_dim_cuda_templateIdEESt5tupleIJNSH_6TensorESM_SM_EERKSM_lbbbEUlllE0_EEPmJS6_EEE10hipError_tPvRmT3_T4_T5_T6_T7_T9_mT8_P12ihipStream_tbDpT10_ENKUlT_T0_E_clISt17integral_constantIbLb1EES1C_EEDaS17_S18_EUlS17_E_NS1_11comp_targetILNS1_3genE4ELNS1_11target_archE910ELNS1_3gpuE8ELNS1_3repE0EEENS1_30default_config_static_selectorELNS0_4arch9wavefront6targetE0EEEvT1_,@function
_ZN7rocprim17ROCPRIM_400000_NS6detail17trampoline_kernelINS0_14default_configENS1_25partition_config_selectorILNS1_17partition_subalgoE8ElNS0_10empty_typeEbEEZZNS1_14partition_implILS5_8ELb0ES3_jPlPS6_PKS6_NS0_5tupleIJS9_S6_EEENSD_IJSA_SA_EEENS0_18inequality_wrapperIZN2at6native12_GLOBAL__N_124unique_dim_cuda_templateIdEESt5tupleIJNSH_6TensorESM_SM_EERKSM_lbbbEUlllE0_EEPmJS6_EEE10hipError_tPvRmT3_T4_T5_T6_T7_T9_mT8_P12ihipStream_tbDpT10_ENKUlT_T0_E_clISt17integral_constantIbLb1EES1C_EEDaS17_S18_EUlS17_E_NS1_11comp_targetILNS1_3genE4ELNS1_11target_archE910ELNS1_3gpuE8ELNS1_3repE0EEENS1_30default_config_static_selectorELNS0_4arch9wavefront6targetE0EEEvT1_: ; @_ZN7rocprim17ROCPRIM_400000_NS6detail17trampoline_kernelINS0_14default_configENS1_25partition_config_selectorILNS1_17partition_subalgoE8ElNS0_10empty_typeEbEEZZNS1_14partition_implILS5_8ELb0ES3_jPlPS6_PKS6_NS0_5tupleIJS9_S6_EEENSD_IJSA_SA_EEENS0_18inequality_wrapperIZN2at6native12_GLOBAL__N_124unique_dim_cuda_templateIdEESt5tupleIJNSH_6TensorESM_SM_EERKSM_lbbbEUlllE0_EEPmJS6_EEE10hipError_tPvRmT3_T4_T5_T6_T7_T9_mT8_P12ihipStream_tbDpT10_ENKUlT_T0_E_clISt17integral_constantIbLb1EES1C_EEDaS17_S18_EUlS17_E_NS1_11comp_targetILNS1_3genE4ELNS1_11target_archE910ELNS1_3gpuE8ELNS1_3repE0EEENS1_30default_config_static_selectorELNS0_4arch9wavefront6targetE0EEEvT1_
; %bb.0:
	.section	.rodata,"a",@progbits
	.p2align	6, 0x0
	.amdhsa_kernel _ZN7rocprim17ROCPRIM_400000_NS6detail17trampoline_kernelINS0_14default_configENS1_25partition_config_selectorILNS1_17partition_subalgoE8ElNS0_10empty_typeEbEEZZNS1_14partition_implILS5_8ELb0ES3_jPlPS6_PKS6_NS0_5tupleIJS9_S6_EEENSD_IJSA_SA_EEENS0_18inequality_wrapperIZN2at6native12_GLOBAL__N_124unique_dim_cuda_templateIdEESt5tupleIJNSH_6TensorESM_SM_EERKSM_lbbbEUlllE0_EEPmJS6_EEE10hipError_tPvRmT3_T4_T5_T6_T7_T9_mT8_P12ihipStream_tbDpT10_ENKUlT_T0_E_clISt17integral_constantIbLb1EES1C_EEDaS17_S18_EUlS17_E_NS1_11comp_targetILNS1_3genE4ELNS1_11target_archE910ELNS1_3gpuE8ELNS1_3repE0EEENS1_30default_config_static_selectorELNS0_4arch9wavefront6targetE0EEEvT1_
		.amdhsa_group_segment_fixed_size 0
		.amdhsa_private_segment_fixed_size 0
		.amdhsa_kernarg_size 136
		.amdhsa_user_sgpr_count 2
		.amdhsa_user_sgpr_dispatch_ptr 0
		.amdhsa_user_sgpr_queue_ptr 0
		.amdhsa_user_sgpr_kernarg_segment_ptr 1
		.amdhsa_user_sgpr_dispatch_id 0
		.amdhsa_user_sgpr_kernarg_preload_length 0
		.amdhsa_user_sgpr_kernarg_preload_offset 0
		.amdhsa_user_sgpr_private_segment_size 0
		.amdhsa_wavefront_size32 1
		.amdhsa_uses_dynamic_stack 0
		.amdhsa_enable_private_segment 0
		.amdhsa_system_sgpr_workgroup_id_x 1
		.amdhsa_system_sgpr_workgroup_id_y 0
		.amdhsa_system_sgpr_workgroup_id_z 0
		.amdhsa_system_sgpr_workgroup_info 0
		.amdhsa_system_vgpr_workitem_id 0
		.amdhsa_next_free_vgpr 1
		.amdhsa_next_free_sgpr 1
		.amdhsa_named_barrier_count 0
		.amdhsa_reserve_vcc 0
		.amdhsa_float_round_mode_32 0
		.amdhsa_float_round_mode_16_64 0
		.amdhsa_float_denorm_mode_32 3
		.amdhsa_float_denorm_mode_16_64 3
		.amdhsa_fp16_overflow 0
		.amdhsa_memory_ordered 1
		.amdhsa_forward_progress 1
		.amdhsa_inst_pref_size 0
		.amdhsa_round_robin_scheduling 0
		.amdhsa_exception_fp_ieee_invalid_op 0
		.amdhsa_exception_fp_denorm_src 0
		.amdhsa_exception_fp_ieee_div_zero 0
		.amdhsa_exception_fp_ieee_overflow 0
		.amdhsa_exception_fp_ieee_underflow 0
		.amdhsa_exception_fp_ieee_inexact 0
		.amdhsa_exception_int_div_zero 0
	.end_amdhsa_kernel
	.section	.text._ZN7rocprim17ROCPRIM_400000_NS6detail17trampoline_kernelINS0_14default_configENS1_25partition_config_selectorILNS1_17partition_subalgoE8ElNS0_10empty_typeEbEEZZNS1_14partition_implILS5_8ELb0ES3_jPlPS6_PKS6_NS0_5tupleIJS9_S6_EEENSD_IJSA_SA_EEENS0_18inequality_wrapperIZN2at6native12_GLOBAL__N_124unique_dim_cuda_templateIdEESt5tupleIJNSH_6TensorESM_SM_EERKSM_lbbbEUlllE0_EEPmJS6_EEE10hipError_tPvRmT3_T4_T5_T6_T7_T9_mT8_P12ihipStream_tbDpT10_ENKUlT_T0_E_clISt17integral_constantIbLb1EES1C_EEDaS17_S18_EUlS17_E_NS1_11comp_targetILNS1_3genE4ELNS1_11target_archE910ELNS1_3gpuE8ELNS1_3repE0EEENS1_30default_config_static_selectorELNS0_4arch9wavefront6targetE0EEEvT1_,"axG",@progbits,_ZN7rocprim17ROCPRIM_400000_NS6detail17trampoline_kernelINS0_14default_configENS1_25partition_config_selectorILNS1_17partition_subalgoE8ElNS0_10empty_typeEbEEZZNS1_14partition_implILS5_8ELb0ES3_jPlPS6_PKS6_NS0_5tupleIJS9_S6_EEENSD_IJSA_SA_EEENS0_18inequality_wrapperIZN2at6native12_GLOBAL__N_124unique_dim_cuda_templateIdEESt5tupleIJNSH_6TensorESM_SM_EERKSM_lbbbEUlllE0_EEPmJS6_EEE10hipError_tPvRmT3_T4_T5_T6_T7_T9_mT8_P12ihipStream_tbDpT10_ENKUlT_T0_E_clISt17integral_constantIbLb1EES1C_EEDaS17_S18_EUlS17_E_NS1_11comp_targetILNS1_3genE4ELNS1_11target_archE910ELNS1_3gpuE8ELNS1_3repE0EEENS1_30default_config_static_selectorELNS0_4arch9wavefront6targetE0EEEvT1_,comdat
.Lfunc_end817:
	.size	_ZN7rocprim17ROCPRIM_400000_NS6detail17trampoline_kernelINS0_14default_configENS1_25partition_config_selectorILNS1_17partition_subalgoE8ElNS0_10empty_typeEbEEZZNS1_14partition_implILS5_8ELb0ES3_jPlPS6_PKS6_NS0_5tupleIJS9_S6_EEENSD_IJSA_SA_EEENS0_18inequality_wrapperIZN2at6native12_GLOBAL__N_124unique_dim_cuda_templateIdEESt5tupleIJNSH_6TensorESM_SM_EERKSM_lbbbEUlllE0_EEPmJS6_EEE10hipError_tPvRmT3_T4_T5_T6_T7_T9_mT8_P12ihipStream_tbDpT10_ENKUlT_T0_E_clISt17integral_constantIbLb1EES1C_EEDaS17_S18_EUlS17_E_NS1_11comp_targetILNS1_3genE4ELNS1_11target_archE910ELNS1_3gpuE8ELNS1_3repE0EEENS1_30default_config_static_selectorELNS0_4arch9wavefront6targetE0EEEvT1_, .Lfunc_end817-_ZN7rocprim17ROCPRIM_400000_NS6detail17trampoline_kernelINS0_14default_configENS1_25partition_config_selectorILNS1_17partition_subalgoE8ElNS0_10empty_typeEbEEZZNS1_14partition_implILS5_8ELb0ES3_jPlPS6_PKS6_NS0_5tupleIJS9_S6_EEENSD_IJSA_SA_EEENS0_18inequality_wrapperIZN2at6native12_GLOBAL__N_124unique_dim_cuda_templateIdEESt5tupleIJNSH_6TensorESM_SM_EERKSM_lbbbEUlllE0_EEPmJS6_EEE10hipError_tPvRmT3_T4_T5_T6_T7_T9_mT8_P12ihipStream_tbDpT10_ENKUlT_T0_E_clISt17integral_constantIbLb1EES1C_EEDaS17_S18_EUlS17_E_NS1_11comp_targetILNS1_3genE4ELNS1_11target_archE910ELNS1_3gpuE8ELNS1_3repE0EEENS1_30default_config_static_selectorELNS0_4arch9wavefront6targetE0EEEvT1_
                                        ; -- End function
	.set _ZN7rocprim17ROCPRIM_400000_NS6detail17trampoline_kernelINS0_14default_configENS1_25partition_config_selectorILNS1_17partition_subalgoE8ElNS0_10empty_typeEbEEZZNS1_14partition_implILS5_8ELb0ES3_jPlPS6_PKS6_NS0_5tupleIJS9_S6_EEENSD_IJSA_SA_EEENS0_18inequality_wrapperIZN2at6native12_GLOBAL__N_124unique_dim_cuda_templateIdEESt5tupleIJNSH_6TensorESM_SM_EERKSM_lbbbEUlllE0_EEPmJS6_EEE10hipError_tPvRmT3_T4_T5_T6_T7_T9_mT8_P12ihipStream_tbDpT10_ENKUlT_T0_E_clISt17integral_constantIbLb1EES1C_EEDaS17_S18_EUlS17_E_NS1_11comp_targetILNS1_3genE4ELNS1_11target_archE910ELNS1_3gpuE8ELNS1_3repE0EEENS1_30default_config_static_selectorELNS0_4arch9wavefront6targetE0EEEvT1_.num_vgpr, 0
	.set _ZN7rocprim17ROCPRIM_400000_NS6detail17trampoline_kernelINS0_14default_configENS1_25partition_config_selectorILNS1_17partition_subalgoE8ElNS0_10empty_typeEbEEZZNS1_14partition_implILS5_8ELb0ES3_jPlPS6_PKS6_NS0_5tupleIJS9_S6_EEENSD_IJSA_SA_EEENS0_18inequality_wrapperIZN2at6native12_GLOBAL__N_124unique_dim_cuda_templateIdEESt5tupleIJNSH_6TensorESM_SM_EERKSM_lbbbEUlllE0_EEPmJS6_EEE10hipError_tPvRmT3_T4_T5_T6_T7_T9_mT8_P12ihipStream_tbDpT10_ENKUlT_T0_E_clISt17integral_constantIbLb1EES1C_EEDaS17_S18_EUlS17_E_NS1_11comp_targetILNS1_3genE4ELNS1_11target_archE910ELNS1_3gpuE8ELNS1_3repE0EEENS1_30default_config_static_selectorELNS0_4arch9wavefront6targetE0EEEvT1_.num_agpr, 0
	.set _ZN7rocprim17ROCPRIM_400000_NS6detail17trampoline_kernelINS0_14default_configENS1_25partition_config_selectorILNS1_17partition_subalgoE8ElNS0_10empty_typeEbEEZZNS1_14partition_implILS5_8ELb0ES3_jPlPS6_PKS6_NS0_5tupleIJS9_S6_EEENSD_IJSA_SA_EEENS0_18inequality_wrapperIZN2at6native12_GLOBAL__N_124unique_dim_cuda_templateIdEESt5tupleIJNSH_6TensorESM_SM_EERKSM_lbbbEUlllE0_EEPmJS6_EEE10hipError_tPvRmT3_T4_T5_T6_T7_T9_mT8_P12ihipStream_tbDpT10_ENKUlT_T0_E_clISt17integral_constantIbLb1EES1C_EEDaS17_S18_EUlS17_E_NS1_11comp_targetILNS1_3genE4ELNS1_11target_archE910ELNS1_3gpuE8ELNS1_3repE0EEENS1_30default_config_static_selectorELNS0_4arch9wavefront6targetE0EEEvT1_.numbered_sgpr, 0
	.set _ZN7rocprim17ROCPRIM_400000_NS6detail17trampoline_kernelINS0_14default_configENS1_25partition_config_selectorILNS1_17partition_subalgoE8ElNS0_10empty_typeEbEEZZNS1_14partition_implILS5_8ELb0ES3_jPlPS6_PKS6_NS0_5tupleIJS9_S6_EEENSD_IJSA_SA_EEENS0_18inequality_wrapperIZN2at6native12_GLOBAL__N_124unique_dim_cuda_templateIdEESt5tupleIJNSH_6TensorESM_SM_EERKSM_lbbbEUlllE0_EEPmJS6_EEE10hipError_tPvRmT3_T4_T5_T6_T7_T9_mT8_P12ihipStream_tbDpT10_ENKUlT_T0_E_clISt17integral_constantIbLb1EES1C_EEDaS17_S18_EUlS17_E_NS1_11comp_targetILNS1_3genE4ELNS1_11target_archE910ELNS1_3gpuE8ELNS1_3repE0EEENS1_30default_config_static_selectorELNS0_4arch9wavefront6targetE0EEEvT1_.num_named_barrier, 0
	.set _ZN7rocprim17ROCPRIM_400000_NS6detail17trampoline_kernelINS0_14default_configENS1_25partition_config_selectorILNS1_17partition_subalgoE8ElNS0_10empty_typeEbEEZZNS1_14partition_implILS5_8ELb0ES3_jPlPS6_PKS6_NS0_5tupleIJS9_S6_EEENSD_IJSA_SA_EEENS0_18inequality_wrapperIZN2at6native12_GLOBAL__N_124unique_dim_cuda_templateIdEESt5tupleIJNSH_6TensorESM_SM_EERKSM_lbbbEUlllE0_EEPmJS6_EEE10hipError_tPvRmT3_T4_T5_T6_T7_T9_mT8_P12ihipStream_tbDpT10_ENKUlT_T0_E_clISt17integral_constantIbLb1EES1C_EEDaS17_S18_EUlS17_E_NS1_11comp_targetILNS1_3genE4ELNS1_11target_archE910ELNS1_3gpuE8ELNS1_3repE0EEENS1_30default_config_static_selectorELNS0_4arch9wavefront6targetE0EEEvT1_.private_seg_size, 0
	.set _ZN7rocprim17ROCPRIM_400000_NS6detail17trampoline_kernelINS0_14default_configENS1_25partition_config_selectorILNS1_17partition_subalgoE8ElNS0_10empty_typeEbEEZZNS1_14partition_implILS5_8ELb0ES3_jPlPS6_PKS6_NS0_5tupleIJS9_S6_EEENSD_IJSA_SA_EEENS0_18inequality_wrapperIZN2at6native12_GLOBAL__N_124unique_dim_cuda_templateIdEESt5tupleIJNSH_6TensorESM_SM_EERKSM_lbbbEUlllE0_EEPmJS6_EEE10hipError_tPvRmT3_T4_T5_T6_T7_T9_mT8_P12ihipStream_tbDpT10_ENKUlT_T0_E_clISt17integral_constantIbLb1EES1C_EEDaS17_S18_EUlS17_E_NS1_11comp_targetILNS1_3genE4ELNS1_11target_archE910ELNS1_3gpuE8ELNS1_3repE0EEENS1_30default_config_static_selectorELNS0_4arch9wavefront6targetE0EEEvT1_.uses_vcc, 0
	.set _ZN7rocprim17ROCPRIM_400000_NS6detail17trampoline_kernelINS0_14default_configENS1_25partition_config_selectorILNS1_17partition_subalgoE8ElNS0_10empty_typeEbEEZZNS1_14partition_implILS5_8ELb0ES3_jPlPS6_PKS6_NS0_5tupleIJS9_S6_EEENSD_IJSA_SA_EEENS0_18inequality_wrapperIZN2at6native12_GLOBAL__N_124unique_dim_cuda_templateIdEESt5tupleIJNSH_6TensorESM_SM_EERKSM_lbbbEUlllE0_EEPmJS6_EEE10hipError_tPvRmT3_T4_T5_T6_T7_T9_mT8_P12ihipStream_tbDpT10_ENKUlT_T0_E_clISt17integral_constantIbLb1EES1C_EEDaS17_S18_EUlS17_E_NS1_11comp_targetILNS1_3genE4ELNS1_11target_archE910ELNS1_3gpuE8ELNS1_3repE0EEENS1_30default_config_static_selectorELNS0_4arch9wavefront6targetE0EEEvT1_.uses_flat_scratch, 0
	.set _ZN7rocprim17ROCPRIM_400000_NS6detail17trampoline_kernelINS0_14default_configENS1_25partition_config_selectorILNS1_17partition_subalgoE8ElNS0_10empty_typeEbEEZZNS1_14partition_implILS5_8ELb0ES3_jPlPS6_PKS6_NS0_5tupleIJS9_S6_EEENSD_IJSA_SA_EEENS0_18inequality_wrapperIZN2at6native12_GLOBAL__N_124unique_dim_cuda_templateIdEESt5tupleIJNSH_6TensorESM_SM_EERKSM_lbbbEUlllE0_EEPmJS6_EEE10hipError_tPvRmT3_T4_T5_T6_T7_T9_mT8_P12ihipStream_tbDpT10_ENKUlT_T0_E_clISt17integral_constantIbLb1EES1C_EEDaS17_S18_EUlS17_E_NS1_11comp_targetILNS1_3genE4ELNS1_11target_archE910ELNS1_3gpuE8ELNS1_3repE0EEENS1_30default_config_static_selectorELNS0_4arch9wavefront6targetE0EEEvT1_.has_dyn_sized_stack, 0
	.set _ZN7rocprim17ROCPRIM_400000_NS6detail17trampoline_kernelINS0_14default_configENS1_25partition_config_selectorILNS1_17partition_subalgoE8ElNS0_10empty_typeEbEEZZNS1_14partition_implILS5_8ELb0ES3_jPlPS6_PKS6_NS0_5tupleIJS9_S6_EEENSD_IJSA_SA_EEENS0_18inequality_wrapperIZN2at6native12_GLOBAL__N_124unique_dim_cuda_templateIdEESt5tupleIJNSH_6TensorESM_SM_EERKSM_lbbbEUlllE0_EEPmJS6_EEE10hipError_tPvRmT3_T4_T5_T6_T7_T9_mT8_P12ihipStream_tbDpT10_ENKUlT_T0_E_clISt17integral_constantIbLb1EES1C_EEDaS17_S18_EUlS17_E_NS1_11comp_targetILNS1_3genE4ELNS1_11target_archE910ELNS1_3gpuE8ELNS1_3repE0EEENS1_30default_config_static_selectorELNS0_4arch9wavefront6targetE0EEEvT1_.has_recursion, 0
	.set _ZN7rocprim17ROCPRIM_400000_NS6detail17trampoline_kernelINS0_14default_configENS1_25partition_config_selectorILNS1_17partition_subalgoE8ElNS0_10empty_typeEbEEZZNS1_14partition_implILS5_8ELb0ES3_jPlPS6_PKS6_NS0_5tupleIJS9_S6_EEENSD_IJSA_SA_EEENS0_18inequality_wrapperIZN2at6native12_GLOBAL__N_124unique_dim_cuda_templateIdEESt5tupleIJNSH_6TensorESM_SM_EERKSM_lbbbEUlllE0_EEPmJS6_EEE10hipError_tPvRmT3_T4_T5_T6_T7_T9_mT8_P12ihipStream_tbDpT10_ENKUlT_T0_E_clISt17integral_constantIbLb1EES1C_EEDaS17_S18_EUlS17_E_NS1_11comp_targetILNS1_3genE4ELNS1_11target_archE910ELNS1_3gpuE8ELNS1_3repE0EEENS1_30default_config_static_selectorELNS0_4arch9wavefront6targetE0EEEvT1_.has_indirect_call, 0
	.section	.AMDGPU.csdata,"",@progbits
; Kernel info:
; codeLenInByte = 0
; TotalNumSgprs: 0
; NumVgprs: 0
; ScratchSize: 0
; MemoryBound: 0
; FloatMode: 240
; IeeeMode: 1
; LDSByteSize: 0 bytes/workgroup (compile time only)
; SGPRBlocks: 0
; VGPRBlocks: 0
; NumSGPRsForWavesPerEU: 1
; NumVGPRsForWavesPerEU: 1
; NamedBarCnt: 0
; Occupancy: 16
; WaveLimiterHint : 0
; COMPUTE_PGM_RSRC2:SCRATCH_EN: 0
; COMPUTE_PGM_RSRC2:USER_SGPR: 2
; COMPUTE_PGM_RSRC2:TRAP_HANDLER: 0
; COMPUTE_PGM_RSRC2:TGID_X_EN: 1
; COMPUTE_PGM_RSRC2:TGID_Y_EN: 0
; COMPUTE_PGM_RSRC2:TGID_Z_EN: 0
; COMPUTE_PGM_RSRC2:TIDIG_COMP_CNT: 0
	.section	.text._ZN7rocprim17ROCPRIM_400000_NS6detail17trampoline_kernelINS0_14default_configENS1_25partition_config_selectorILNS1_17partition_subalgoE8ElNS0_10empty_typeEbEEZZNS1_14partition_implILS5_8ELb0ES3_jPlPS6_PKS6_NS0_5tupleIJS9_S6_EEENSD_IJSA_SA_EEENS0_18inequality_wrapperIZN2at6native12_GLOBAL__N_124unique_dim_cuda_templateIdEESt5tupleIJNSH_6TensorESM_SM_EERKSM_lbbbEUlllE0_EEPmJS6_EEE10hipError_tPvRmT3_T4_T5_T6_T7_T9_mT8_P12ihipStream_tbDpT10_ENKUlT_T0_E_clISt17integral_constantIbLb1EES1C_EEDaS17_S18_EUlS17_E_NS1_11comp_targetILNS1_3genE3ELNS1_11target_archE908ELNS1_3gpuE7ELNS1_3repE0EEENS1_30default_config_static_selectorELNS0_4arch9wavefront6targetE0EEEvT1_,"axG",@progbits,_ZN7rocprim17ROCPRIM_400000_NS6detail17trampoline_kernelINS0_14default_configENS1_25partition_config_selectorILNS1_17partition_subalgoE8ElNS0_10empty_typeEbEEZZNS1_14partition_implILS5_8ELb0ES3_jPlPS6_PKS6_NS0_5tupleIJS9_S6_EEENSD_IJSA_SA_EEENS0_18inequality_wrapperIZN2at6native12_GLOBAL__N_124unique_dim_cuda_templateIdEESt5tupleIJNSH_6TensorESM_SM_EERKSM_lbbbEUlllE0_EEPmJS6_EEE10hipError_tPvRmT3_T4_T5_T6_T7_T9_mT8_P12ihipStream_tbDpT10_ENKUlT_T0_E_clISt17integral_constantIbLb1EES1C_EEDaS17_S18_EUlS17_E_NS1_11comp_targetILNS1_3genE3ELNS1_11target_archE908ELNS1_3gpuE7ELNS1_3repE0EEENS1_30default_config_static_selectorELNS0_4arch9wavefront6targetE0EEEvT1_,comdat
	.globl	_ZN7rocprim17ROCPRIM_400000_NS6detail17trampoline_kernelINS0_14default_configENS1_25partition_config_selectorILNS1_17partition_subalgoE8ElNS0_10empty_typeEbEEZZNS1_14partition_implILS5_8ELb0ES3_jPlPS6_PKS6_NS0_5tupleIJS9_S6_EEENSD_IJSA_SA_EEENS0_18inequality_wrapperIZN2at6native12_GLOBAL__N_124unique_dim_cuda_templateIdEESt5tupleIJNSH_6TensorESM_SM_EERKSM_lbbbEUlllE0_EEPmJS6_EEE10hipError_tPvRmT3_T4_T5_T6_T7_T9_mT8_P12ihipStream_tbDpT10_ENKUlT_T0_E_clISt17integral_constantIbLb1EES1C_EEDaS17_S18_EUlS17_E_NS1_11comp_targetILNS1_3genE3ELNS1_11target_archE908ELNS1_3gpuE7ELNS1_3repE0EEENS1_30default_config_static_selectorELNS0_4arch9wavefront6targetE0EEEvT1_ ; -- Begin function _ZN7rocprim17ROCPRIM_400000_NS6detail17trampoline_kernelINS0_14default_configENS1_25partition_config_selectorILNS1_17partition_subalgoE8ElNS0_10empty_typeEbEEZZNS1_14partition_implILS5_8ELb0ES3_jPlPS6_PKS6_NS0_5tupleIJS9_S6_EEENSD_IJSA_SA_EEENS0_18inequality_wrapperIZN2at6native12_GLOBAL__N_124unique_dim_cuda_templateIdEESt5tupleIJNSH_6TensorESM_SM_EERKSM_lbbbEUlllE0_EEPmJS6_EEE10hipError_tPvRmT3_T4_T5_T6_T7_T9_mT8_P12ihipStream_tbDpT10_ENKUlT_T0_E_clISt17integral_constantIbLb1EES1C_EEDaS17_S18_EUlS17_E_NS1_11comp_targetILNS1_3genE3ELNS1_11target_archE908ELNS1_3gpuE7ELNS1_3repE0EEENS1_30default_config_static_selectorELNS0_4arch9wavefront6targetE0EEEvT1_
	.p2align	8
	.type	_ZN7rocprim17ROCPRIM_400000_NS6detail17trampoline_kernelINS0_14default_configENS1_25partition_config_selectorILNS1_17partition_subalgoE8ElNS0_10empty_typeEbEEZZNS1_14partition_implILS5_8ELb0ES3_jPlPS6_PKS6_NS0_5tupleIJS9_S6_EEENSD_IJSA_SA_EEENS0_18inequality_wrapperIZN2at6native12_GLOBAL__N_124unique_dim_cuda_templateIdEESt5tupleIJNSH_6TensorESM_SM_EERKSM_lbbbEUlllE0_EEPmJS6_EEE10hipError_tPvRmT3_T4_T5_T6_T7_T9_mT8_P12ihipStream_tbDpT10_ENKUlT_T0_E_clISt17integral_constantIbLb1EES1C_EEDaS17_S18_EUlS17_E_NS1_11comp_targetILNS1_3genE3ELNS1_11target_archE908ELNS1_3gpuE7ELNS1_3repE0EEENS1_30default_config_static_selectorELNS0_4arch9wavefront6targetE0EEEvT1_,@function
_ZN7rocprim17ROCPRIM_400000_NS6detail17trampoline_kernelINS0_14default_configENS1_25partition_config_selectorILNS1_17partition_subalgoE8ElNS0_10empty_typeEbEEZZNS1_14partition_implILS5_8ELb0ES3_jPlPS6_PKS6_NS0_5tupleIJS9_S6_EEENSD_IJSA_SA_EEENS0_18inequality_wrapperIZN2at6native12_GLOBAL__N_124unique_dim_cuda_templateIdEESt5tupleIJNSH_6TensorESM_SM_EERKSM_lbbbEUlllE0_EEPmJS6_EEE10hipError_tPvRmT3_T4_T5_T6_T7_T9_mT8_P12ihipStream_tbDpT10_ENKUlT_T0_E_clISt17integral_constantIbLb1EES1C_EEDaS17_S18_EUlS17_E_NS1_11comp_targetILNS1_3genE3ELNS1_11target_archE908ELNS1_3gpuE7ELNS1_3repE0EEENS1_30default_config_static_selectorELNS0_4arch9wavefront6targetE0EEEvT1_: ; @_ZN7rocprim17ROCPRIM_400000_NS6detail17trampoline_kernelINS0_14default_configENS1_25partition_config_selectorILNS1_17partition_subalgoE8ElNS0_10empty_typeEbEEZZNS1_14partition_implILS5_8ELb0ES3_jPlPS6_PKS6_NS0_5tupleIJS9_S6_EEENSD_IJSA_SA_EEENS0_18inequality_wrapperIZN2at6native12_GLOBAL__N_124unique_dim_cuda_templateIdEESt5tupleIJNSH_6TensorESM_SM_EERKSM_lbbbEUlllE0_EEPmJS6_EEE10hipError_tPvRmT3_T4_T5_T6_T7_T9_mT8_P12ihipStream_tbDpT10_ENKUlT_T0_E_clISt17integral_constantIbLb1EES1C_EEDaS17_S18_EUlS17_E_NS1_11comp_targetILNS1_3genE3ELNS1_11target_archE908ELNS1_3gpuE7ELNS1_3repE0EEENS1_30default_config_static_selectorELNS0_4arch9wavefront6targetE0EEEvT1_
; %bb.0:
	.section	.rodata,"a",@progbits
	.p2align	6, 0x0
	.amdhsa_kernel _ZN7rocprim17ROCPRIM_400000_NS6detail17trampoline_kernelINS0_14default_configENS1_25partition_config_selectorILNS1_17partition_subalgoE8ElNS0_10empty_typeEbEEZZNS1_14partition_implILS5_8ELb0ES3_jPlPS6_PKS6_NS0_5tupleIJS9_S6_EEENSD_IJSA_SA_EEENS0_18inequality_wrapperIZN2at6native12_GLOBAL__N_124unique_dim_cuda_templateIdEESt5tupleIJNSH_6TensorESM_SM_EERKSM_lbbbEUlllE0_EEPmJS6_EEE10hipError_tPvRmT3_T4_T5_T6_T7_T9_mT8_P12ihipStream_tbDpT10_ENKUlT_T0_E_clISt17integral_constantIbLb1EES1C_EEDaS17_S18_EUlS17_E_NS1_11comp_targetILNS1_3genE3ELNS1_11target_archE908ELNS1_3gpuE7ELNS1_3repE0EEENS1_30default_config_static_selectorELNS0_4arch9wavefront6targetE0EEEvT1_
		.amdhsa_group_segment_fixed_size 0
		.amdhsa_private_segment_fixed_size 0
		.amdhsa_kernarg_size 136
		.amdhsa_user_sgpr_count 2
		.amdhsa_user_sgpr_dispatch_ptr 0
		.amdhsa_user_sgpr_queue_ptr 0
		.amdhsa_user_sgpr_kernarg_segment_ptr 1
		.amdhsa_user_sgpr_dispatch_id 0
		.amdhsa_user_sgpr_kernarg_preload_length 0
		.amdhsa_user_sgpr_kernarg_preload_offset 0
		.amdhsa_user_sgpr_private_segment_size 0
		.amdhsa_wavefront_size32 1
		.amdhsa_uses_dynamic_stack 0
		.amdhsa_enable_private_segment 0
		.amdhsa_system_sgpr_workgroup_id_x 1
		.amdhsa_system_sgpr_workgroup_id_y 0
		.amdhsa_system_sgpr_workgroup_id_z 0
		.amdhsa_system_sgpr_workgroup_info 0
		.amdhsa_system_vgpr_workitem_id 0
		.amdhsa_next_free_vgpr 1
		.amdhsa_next_free_sgpr 1
		.amdhsa_named_barrier_count 0
		.amdhsa_reserve_vcc 0
		.amdhsa_float_round_mode_32 0
		.amdhsa_float_round_mode_16_64 0
		.amdhsa_float_denorm_mode_32 3
		.amdhsa_float_denorm_mode_16_64 3
		.amdhsa_fp16_overflow 0
		.amdhsa_memory_ordered 1
		.amdhsa_forward_progress 1
		.amdhsa_inst_pref_size 0
		.amdhsa_round_robin_scheduling 0
		.amdhsa_exception_fp_ieee_invalid_op 0
		.amdhsa_exception_fp_denorm_src 0
		.amdhsa_exception_fp_ieee_div_zero 0
		.amdhsa_exception_fp_ieee_overflow 0
		.amdhsa_exception_fp_ieee_underflow 0
		.amdhsa_exception_fp_ieee_inexact 0
		.amdhsa_exception_int_div_zero 0
	.end_amdhsa_kernel
	.section	.text._ZN7rocprim17ROCPRIM_400000_NS6detail17trampoline_kernelINS0_14default_configENS1_25partition_config_selectorILNS1_17partition_subalgoE8ElNS0_10empty_typeEbEEZZNS1_14partition_implILS5_8ELb0ES3_jPlPS6_PKS6_NS0_5tupleIJS9_S6_EEENSD_IJSA_SA_EEENS0_18inequality_wrapperIZN2at6native12_GLOBAL__N_124unique_dim_cuda_templateIdEESt5tupleIJNSH_6TensorESM_SM_EERKSM_lbbbEUlllE0_EEPmJS6_EEE10hipError_tPvRmT3_T4_T5_T6_T7_T9_mT8_P12ihipStream_tbDpT10_ENKUlT_T0_E_clISt17integral_constantIbLb1EES1C_EEDaS17_S18_EUlS17_E_NS1_11comp_targetILNS1_3genE3ELNS1_11target_archE908ELNS1_3gpuE7ELNS1_3repE0EEENS1_30default_config_static_selectorELNS0_4arch9wavefront6targetE0EEEvT1_,"axG",@progbits,_ZN7rocprim17ROCPRIM_400000_NS6detail17trampoline_kernelINS0_14default_configENS1_25partition_config_selectorILNS1_17partition_subalgoE8ElNS0_10empty_typeEbEEZZNS1_14partition_implILS5_8ELb0ES3_jPlPS6_PKS6_NS0_5tupleIJS9_S6_EEENSD_IJSA_SA_EEENS0_18inequality_wrapperIZN2at6native12_GLOBAL__N_124unique_dim_cuda_templateIdEESt5tupleIJNSH_6TensorESM_SM_EERKSM_lbbbEUlllE0_EEPmJS6_EEE10hipError_tPvRmT3_T4_T5_T6_T7_T9_mT8_P12ihipStream_tbDpT10_ENKUlT_T0_E_clISt17integral_constantIbLb1EES1C_EEDaS17_S18_EUlS17_E_NS1_11comp_targetILNS1_3genE3ELNS1_11target_archE908ELNS1_3gpuE7ELNS1_3repE0EEENS1_30default_config_static_selectorELNS0_4arch9wavefront6targetE0EEEvT1_,comdat
.Lfunc_end818:
	.size	_ZN7rocprim17ROCPRIM_400000_NS6detail17trampoline_kernelINS0_14default_configENS1_25partition_config_selectorILNS1_17partition_subalgoE8ElNS0_10empty_typeEbEEZZNS1_14partition_implILS5_8ELb0ES3_jPlPS6_PKS6_NS0_5tupleIJS9_S6_EEENSD_IJSA_SA_EEENS0_18inequality_wrapperIZN2at6native12_GLOBAL__N_124unique_dim_cuda_templateIdEESt5tupleIJNSH_6TensorESM_SM_EERKSM_lbbbEUlllE0_EEPmJS6_EEE10hipError_tPvRmT3_T4_T5_T6_T7_T9_mT8_P12ihipStream_tbDpT10_ENKUlT_T0_E_clISt17integral_constantIbLb1EES1C_EEDaS17_S18_EUlS17_E_NS1_11comp_targetILNS1_3genE3ELNS1_11target_archE908ELNS1_3gpuE7ELNS1_3repE0EEENS1_30default_config_static_selectorELNS0_4arch9wavefront6targetE0EEEvT1_, .Lfunc_end818-_ZN7rocprim17ROCPRIM_400000_NS6detail17trampoline_kernelINS0_14default_configENS1_25partition_config_selectorILNS1_17partition_subalgoE8ElNS0_10empty_typeEbEEZZNS1_14partition_implILS5_8ELb0ES3_jPlPS6_PKS6_NS0_5tupleIJS9_S6_EEENSD_IJSA_SA_EEENS0_18inequality_wrapperIZN2at6native12_GLOBAL__N_124unique_dim_cuda_templateIdEESt5tupleIJNSH_6TensorESM_SM_EERKSM_lbbbEUlllE0_EEPmJS6_EEE10hipError_tPvRmT3_T4_T5_T6_T7_T9_mT8_P12ihipStream_tbDpT10_ENKUlT_T0_E_clISt17integral_constantIbLb1EES1C_EEDaS17_S18_EUlS17_E_NS1_11comp_targetILNS1_3genE3ELNS1_11target_archE908ELNS1_3gpuE7ELNS1_3repE0EEENS1_30default_config_static_selectorELNS0_4arch9wavefront6targetE0EEEvT1_
                                        ; -- End function
	.set _ZN7rocprim17ROCPRIM_400000_NS6detail17trampoline_kernelINS0_14default_configENS1_25partition_config_selectorILNS1_17partition_subalgoE8ElNS0_10empty_typeEbEEZZNS1_14partition_implILS5_8ELb0ES3_jPlPS6_PKS6_NS0_5tupleIJS9_S6_EEENSD_IJSA_SA_EEENS0_18inequality_wrapperIZN2at6native12_GLOBAL__N_124unique_dim_cuda_templateIdEESt5tupleIJNSH_6TensorESM_SM_EERKSM_lbbbEUlllE0_EEPmJS6_EEE10hipError_tPvRmT3_T4_T5_T6_T7_T9_mT8_P12ihipStream_tbDpT10_ENKUlT_T0_E_clISt17integral_constantIbLb1EES1C_EEDaS17_S18_EUlS17_E_NS1_11comp_targetILNS1_3genE3ELNS1_11target_archE908ELNS1_3gpuE7ELNS1_3repE0EEENS1_30default_config_static_selectorELNS0_4arch9wavefront6targetE0EEEvT1_.num_vgpr, 0
	.set _ZN7rocprim17ROCPRIM_400000_NS6detail17trampoline_kernelINS0_14default_configENS1_25partition_config_selectorILNS1_17partition_subalgoE8ElNS0_10empty_typeEbEEZZNS1_14partition_implILS5_8ELb0ES3_jPlPS6_PKS6_NS0_5tupleIJS9_S6_EEENSD_IJSA_SA_EEENS0_18inequality_wrapperIZN2at6native12_GLOBAL__N_124unique_dim_cuda_templateIdEESt5tupleIJNSH_6TensorESM_SM_EERKSM_lbbbEUlllE0_EEPmJS6_EEE10hipError_tPvRmT3_T4_T5_T6_T7_T9_mT8_P12ihipStream_tbDpT10_ENKUlT_T0_E_clISt17integral_constantIbLb1EES1C_EEDaS17_S18_EUlS17_E_NS1_11comp_targetILNS1_3genE3ELNS1_11target_archE908ELNS1_3gpuE7ELNS1_3repE0EEENS1_30default_config_static_selectorELNS0_4arch9wavefront6targetE0EEEvT1_.num_agpr, 0
	.set _ZN7rocprim17ROCPRIM_400000_NS6detail17trampoline_kernelINS0_14default_configENS1_25partition_config_selectorILNS1_17partition_subalgoE8ElNS0_10empty_typeEbEEZZNS1_14partition_implILS5_8ELb0ES3_jPlPS6_PKS6_NS0_5tupleIJS9_S6_EEENSD_IJSA_SA_EEENS0_18inequality_wrapperIZN2at6native12_GLOBAL__N_124unique_dim_cuda_templateIdEESt5tupleIJNSH_6TensorESM_SM_EERKSM_lbbbEUlllE0_EEPmJS6_EEE10hipError_tPvRmT3_T4_T5_T6_T7_T9_mT8_P12ihipStream_tbDpT10_ENKUlT_T0_E_clISt17integral_constantIbLb1EES1C_EEDaS17_S18_EUlS17_E_NS1_11comp_targetILNS1_3genE3ELNS1_11target_archE908ELNS1_3gpuE7ELNS1_3repE0EEENS1_30default_config_static_selectorELNS0_4arch9wavefront6targetE0EEEvT1_.numbered_sgpr, 0
	.set _ZN7rocprim17ROCPRIM_400000_NS6detail17trampoline_kernelINS0_14default_configENS1_25partition_config_selectorILNS1_17partition_subalgoE8ElNS0_10empty_typeEbEEZZNS1_14partition_implILS5_8ELb0ES3_jPlPS6_PKS6_NS0_5tupleIJS9_S6_EEENSD_IJSA_SA_EEENS0_18inequality_wrapperIZN2at6native12_GLOBAL__N_124unique_dim_cuda_templateIdEESt5tupleIJNSH_6TensorESM_SM_EERKSM_lbbbEUlllE0_EEPmJS6_EEE10hipError_tPvRmT3_T4_T5_T6_T7_T9_mT8_P12ihipStream_tbDpT10_ENKUlT_T0_E_clISt17integral_constantIbLb1EES1C_EEDaS17_S18_EUlS17_E_NS1_11comp_targetILNS1_3genE3ELNS1_11target_archE908ELNS1_3gpuE7ELNS1_3repE0EEENS1_30default_config_static_selectorELNS0_4arch9wavefront6targetE0EEEvT1_.num_named_barrier, 0
	.set _ZN7rocprim17ROCPRIM_400000_NS6detail17trampoline_kernelINS0_14default_configENS1_25partition_config_selectorILNS1_17partition_subalgoE8ElNS0_10empty_typeEbEEZZNS1_14partition_implILS5_8ELb0ES3_jPlPS6_PKS6_NS0_5tupleIJS9_S6_EEENSD_IJSA_SA_EEENS0_18inequality_wrapperIZN2at6native12_GLOBAL__N_124unique_dim_cuda_templateIdEESt5tupleIJNSH_6TensorESM_SM_EERKSM_lbbbEUlllE0_EEPmJS6_EEE10hipError_tPvRmT3_T4_T5_T6_T7_T9_mT8_P12ihipStream_tbDpT10_ENKUlT_T0_E_clISt17integral_constantIbLb1EES1C_EEDaS17_S18_EUlS17_E_NS1_11comp_targetILNS1_3genE3ELNS1_11target_archE908ELNS1_3gpuE7ELNS1_3repE0EEENS1_30default_config_static_selectorELNS0_4arch9wavefront6targetE0EEEvT1_.private_seg_size, 0
	.set _ZN7rocprim17ROCPRIM_400000_NS6detail17trampoline_kernelINS0_14default_configENS1_25partition_config_selectorILNS1_17partition_subalgoE8ElNS0_10empty_typeEbEEZZNS1_14partition_implILS5_8ELb0ES3_jPlPS6_PKS6_NS0_5tupleIJS9_S6_EEENSD_IJSA_SA_EEENS0_18inequality_wrapperIZN2at6native12_GLOBAL__N_124unique_dim_cuda_templateIdEESt5tupleIJNSH_6TensorESM_SM_EERKSM_lbbbEUlllE0_EEPmJS6_EEE10hipError_tPvRmT3_T4_T5_T6_T7_T9_mT8_P12ihipStream_tbDpT10_ENKUlT_T0_E_clISt17integral_constantIbLb1EES1C_EEDaS17_S18_EUlS17_E_NS1_11comp_targetILNS1_3genE3ELNS1_11target_archE908ELNS1_3gpuE7ELNS1_3repE0EEENS1_30default_config_static_selectorELNS0_4arch9wavefront6targetE0EEEvT1_.uses_vcc, 0
	.set _ZN7rocprim17ROCPRIM_400000_NS6detail17trampoline_kernelINS0_14default_configENS1_25partition_config_selectorILNS1_17partition_subalgoE8ElNS0_10empty_typeEbEEZZNS1_14partition_implILS5_8ELb0ES3_jPlPS6_PKS6_NS0_5tupleIJS9_S6_EEENSD_IJSA_SA_EEENS0_18inequality_wrapperIZN2at6native12_GLOBAL__N_124unique_dim_cuda_templateIdEESt5tupleIJNSH_6TensorESM_SM_EERKSM_lbbbEUlllE0_EEPmJS6_EEE10hipError_tPvRmT3_T4_T5_T6_T7_T9_mT8_P12ihipStream_tbDpT10_ENKUlT_T0_E_clISt17integral_constantIbLb1EES1C_EEDaS17_S18_EUlS17_E_NS1_11comp_targetILNS1_3genE3ELNS1_11target_archE908ELNS1_3gpuE7ELNS1_3repE0EEENS1_30default_config_static_selectorELNS0_4arch9wavefront6targetE0EEEvT1_.uses_flat_scratch, 0
	.set _ZN7rocprim17ROCPRIM_400000_NS6detail17trampoline_kernelINS0_14default_configENS1_25partition_config_selectorILNS1_17partition_subalgoE8ElNS0_10empty_typeEbEEZZNS1_14partition_implILS5_8ELb0ES3_jPlPS6_PKS6_NS0_5tupleIJS9_S6_EEENSD_IJSA_SA_EEENS0_18inequality_wrapperIZN2at6native12_GLOBAL__N_124unique_dim_cuda_templateIdEESt5tupleIJNSH_6TensorESM_SM_EERKSM_lbbbEUlllE0_EEPmJS6_EEE10hipError_tPvRmT3_T4_T5_T6_T7_T9_mT8_P12ihipStream_tbDpT10_ENKUlT_T0_E_clISt17integral_constantIbLb1EES1C_EEDaS17_S18_EUlS17_E_NS1_11comp_targetILNS1_3genE3ELNS1_11target_archE908ELNS1_3gpuE7ELNS1_3repE0EEENS1_30default_config_static_selectorELNS0_4arch9wavefront6targetE0EEEvT1_.has_dyn_sized_stack, 0
	.set _ZN7rocprim17ROCPRIM_400000_NS6detail17trampoline_kernelINS0_14default_configENS1_25partition_config_selectorILNS1_17partition_subalgoE8ElNS0_10empty_typeEbEEZZNS1_14partition_implILS5_8ELb0ES3_jPlPS6_PKS6_NS0_5tupleIJS9_S6_EEENSD_IJSA_SA_EEENS0_18inequality_wrapperIZN2at6native12_GLOBAL__N_124unique_dim_cuda_templateIdEESt5tupleIJNSH_6TensorESM_SM_EERKSM_lbbbEUlllE0_EEPmJS6_EEE10hipError_tPvRmT3_T4_T5_T6_T7_T9_mT8_P12ihipStream_tbDpT10_ENKUlT_T0_E_clISt17integral_constantIbLb1EES1C_EEDaS17_S18_EUlS17_E_NS1_11comp_targetILNS1_3genE3ELNS1_11target_archE908ELNS1_3gpuE7ELNS1_3repE0EEENS1_30default_config_static_selectorELNS0_4arch9wavefront6targetE0EEEvT1_.has_recursion, 0
	.set _ZN7rocprim17ROCPRIM_400000_NS6detail17trampoline_kernelINS0_14default_configENS1_25partition_config_selectorILNS1_17partition_subalgoE8ElNS0_10empty_typeEbEEZZNS1_14partition_implILS5_8ELb0ES3_jPlPS6_PKS6_NS0_5tupleIJS9_S6_EEENSD_IJSA_SA_EEENS0_18inequality_wrapperIZN2at6native12_GLOBAL__N_124unique_dim_cuda_templateIdEESt5tupleIJNSH_6TensorESM_SM_EERKSM_lbbbEUlllE0_EEPmJS6_EEE10hipError_tPvRmT3_T4_T5_T6_T7_T9_mT8_P12ihipStream_tbDpT10_ENKUlT_T0_E_clISt17integral_constantIbLb1EES1C_EEDaS17_S18_EUlS17_E_NS1_11comp_targetILNS1_3genE3ELNS1_11target_archE908ELNS1_3gpuE7ELNS1_3repE0EEENS1_30default_config_static_selectorELNS0_4arch9wavefront6targetE0EEEvT1_.has_indirect_call, 0
	.section	.AMDGPU.csdata,"",@progbits
; Kernel info:
; codeLenInByte = 0
; TotalNumSgprs: 0
; NumVgprs: 0
; ScratchSize: 0
; MemoryBound: 0
; FloatMode: 240
; IeeeMode: 1
; LDSByteSize: 0 bytes/workgroup (compile time only)
; SGPRBlocks: 0
; VGPRBlocks: 0
; NumSGPRsForWavesPerEU: 1
; NumVGPRsForWavesPerEU: 1
; NamedBarCnt: 0
; Occupancy: 16
; WaveLimiterHint : 0
; COMPUTE_PGM_RSRC2:SCRATCH_EN: 0
; COMPUTE_PGM_RSRC2:USER_SGPR: 2
; COMPUTE_PGM_RSRC2:TRAP_HANDLER: 0
; COMPUTE_PGM_RSRC2:TGID_X_EN: 1
; COMPUTE_PGM_RSRC2:TGID_Y_EN: 0
; COMPUTE_PGM_RSRC2:TGID_Z_EN: 0
; COMPUTE_PGM_RSRC2:TIDIG_COMP_CNT: 0
	.section	.text._ZN7rocprim17ROCPRIM_400000_NS6detail17trampoline_kernelINS0_14default_configENS1_25partition_config_selectorILNS1_17partition_subalgoE8ElNS0_10empty_typeEbEEZZNS1_14partition_implILS5_8ELb0ES3_jPlPS6_PKS6_NS0_5tupleIJS9_S6_EEENSD_IJSA_SA_EEENS0_18inequality_wrapperIZN2at6native12_GLOBAL__N_124unique_dim_cuda_templateIdEESt5tupleIJNSH_6TensorESM_SM_EERKSM_lbbbEUlllE0_EEPmJS6_EEE10hipError_tPvRmT3_T4_T5_T6_T7_T9_mT8_P12ihipStream_tbDpT10_ENKUlT_T0_E_clISt17integral_constantIbLb1EES1C_EEDaS17_S18_EUlS17_E_NS1_11comp_targetILNS1_3genE2ELNS1_11target_archE906ELNS1_3gpuE6ELNS1_3repE0EEENS1_30default_config_static_selectorELNS0_4arch9wavefront6targetE0EEEvT1_,"axG",@progbits,_ZN7rocprim17ROCPRIM_400000_NS6detail17trampoline_kernelINS0_14default_configENS1_25partition_config_selectorILNS1_17partition_subalgoE8ElNS0_10empty_typeEbEEZZNS1_14partition_implILS5_8ELb0ES3_jPlPS6_PKS6_NS0_5tupleIJS9_S6_EEENSD_IJSA_SA_EEENS0_18inequality_wrapperIZN2at6native12_GLOBAL__N_124unique_dim_cuda_templateIdEESt5tupleIJNSH_6TensorESM_SM_EERKSM_lbbbEUlllE0_EEPmJS6_EEE10hipError_tPvRmT3_T4_T5_T6_T7_T9_mT8_P12ihipStream_tbDpT10_ENKUlT_T0_E_clISt17integral_constantIbLb1EES1C_EEDaS17_S18_EUlS17_E_NS1_11comp_targetILNS1_3genE2ELNS1_11target_archE906ELNS1_3gpuE6ELNS1_3repE0EEENS1_30default_config_static_selectorELNS0_4arch9wavefront6targetE0EEEvT1_,comdat
	.globl	_ZN7rocprim17ROCPRIM_400000_NS6detail17trampoline_kernelINS0_14default_configENS1_25partition_config_selectorILNS1_17partition_subalgoE8ElNS0_10empty_typeEbEEZZNS1_14partition_implILS5_8ELb0ES3_jPlPS6_PKS6_NS0_5tupleIJS9_S6_EEENSD_IJSA_SA_EEENS0_18inequality_wrapperIZN2at6native12_GLOBAL__N_124unique_dim_cuda_templateIdEESt5tupleIJNSH_6TensorESM_SM_EERKSM_lbbbEUlllE0_EEPmJS6_EEE10hipError_tPvRmT3_T4_T5_T6_T7_T9_mT8_P12ihipStream_tbDpT10_ENKUlT_T0_E_clISt17integral_constantIbLb1EES1C_EEDaS17_S18_EUlS17_E_NS1_11comp_targetILNS1_3genE2ELNS1_11target_archE906ELNS1_3gpuE6ELNS1_3repE0EEENS1_30default_config_static_selectorELNS0_4arch9wavefront6targetE0EEEvT1_ ; -- Begin function _ZN7rocprim17ROCPRIM_400000_NS6detail17trampoline_kernelINS0_14default_configENS1_25partition_config_selectorILNS1_17partition_subalgoE8ElNS0_10empty_typeEbEEZZNS1_14partition_implILS5_8ELb0ES3_jPlPS6_PKS6_NS0_5tupleIJS9_S6_EEENSD_IJSA_SA_EEENS0_18inequality_wrapperIZN2at6native12_GLOBAL__N_124unique_dim_cuda_templateIdEESt5tupleIJNSH_6TensorESM_SM_EERKSM_lbbbEUlllE0_EEPmJS6_EEE10hipError_tPvRmT3_T4_T5_T6_T7_T9_mT8_P12ihipStream_tbDpT10_ENKUlT_T0_E_clISt17integral_constantIbLb1EES1C_EEDaS17_S18_EUlS17_E_NS1_11comp_targetILNS1_3genE2ELNS1_11target_archE906ELNS1_3gpuE6ELNS1_3repE0EEENS1_30default_config_static_selectorELNS0_4arch9wavefront6targetE0EEEvT1_
	.p2align	8
	.type	_ZN7rocprim17ROCPRIM_400000_NS6detail17trampoline_kernelINS0_14default_configENS1_25partition_config_selectorILNS1_17partition_subalgoE8ElNS0_10empty_typeEbEEZZNS1_14partition_implILS5_8ELb0ES3_jPlPS6_PKS6_NS0_5tupleIJS9_S6_EEENSD_IJSA_SA_EEENS0_18inequality_wrapperIZN2at6native12_GLOBAL__N_124unique_dim_cuda_templateIdEESt5tupleIJNSH_6TensorESM_SM_EERKSM_lbbbEUlllE0_EEPmJS6_EEE10hipError_tPvRmT3_T4_T5_T6_T7_T9_mT8_P12ihipStream_tbDpT10_ENKUlT_T0_E_clISt17integral_constantIbLb1EES1C_EEDaS17_S18_EUlS17_E_NS1_11comp_targetILNS1_3genE2ELNS1_11target_archE906ELNS1_3gpuE6ELNS1_3repE0EEENS1_30default_config_static_selectorELNS0_4arch9wavefront6targetE0EEEvT1_,@function
_ZN7rocprim17ROCPRIM_400000_NS6detail17trampoline_kernelINS0_14default_configENS1_25partition_config_selectorILNS1_17partition_subalgoE8ElNS0_10empty_typeEbEEZZNS1_14partition_implILS5_8ELb0ES3_jPlPS6_PKS6_NS0_5tupleIJS9_S6_EEENSD_IJSA_SA_EEENS0_18inequality_wrapperIZN2at6native12_GLOBAL__N_124unique_dim_cuda_templateIdEESt5tupleIJNSH_6TensorESM_SM_EERKSM_lbbbEUlllE0_EEPmJS6_EEE10hipError_tPvRmT3_T4_T5_T6_T7_T9_mT8_P12ihipStream_tbDpT10_ENKUlT_T0_E_clISt17integral_constantIbLb1EES1C_EEDaS17_S18_EUlS17_E_NS1_11comp_targetILNS1_3genE2ELNS1_11target_archE906ELNS1_3gpuE6ELNS1_3repE0EEENS1_30default_config_static_selectorELNS0_4arch9wavefront6targetE0EEEvT1_: ; @_ZN7rocprim17ROCPRIM_400000_NS6detail17trampoline_kernelINS0_14default_configENS1_25partition_config_selectorILNS1_17partition_subalgoE8ElNS0_10empty_typeEbEEZZNS1_14partition_implILS5_8ELb0ES3_jPlPS6_PKS6_NS0_5tupleIJS9_S6_EEENSD_IJSA_SA_EEENS0_18inequality_wrapperIZN2at6native12_GLOBAL__N_124unique_dim_cuda_templateIdEESt5tupleIJNSH_6TensorESM_SM_EERKSM_lbbbEUlllE0_EEPmJS6_EEE10hipError_tPvRmT3_T4_T5_T6_T7_T9_mT8_P12ihipStream_tbDpT10_ENKUlT_T0_E_clISt17integral_constantIbLb1EES1C_EEDaS17_S18_EUlS17_E_NS1_11comp_targetILNS1_3genE2ELNS1_11target_archE906ELNS1_3gpuE6ELNS1_3repE0EEENS1_30default_config_static_selectorELNS0_4arch9wavefront6targetE0EEEvT1_
; %bb.0:
	.section	.rodata,"a",@progbits
	.p2align	6, 0x0
	.amdhsa_kernel _ZN7rocprim17ROCPRIM_400000_NS6detail17trampoline_kernelINS0_14default_configENS1_25partition_config_selectorILNS1_17partition_subalgoE8ElNS0_10empty_typeEbEEZZNS1_14partition_implILS5_8ELb0ES3_jPlPS6_PKS6_NS0_5tupleIJS9_S6_EEENSD_IJSA_SA_EEENS0_18inequality_wrapperIZN2at6native12_GLOBAL__N_124unique_dim_cuda_templateIdEESt5tupleIJNSH_6TensorESM_SM_EERKSM_lbbbEUlllE0_EEPmJS6_EEE10hipError_tPvRmT3_T4_T5_T6_T7_T9_mT8_P12ihipStream_tbDpT10_ENKUlT_T0_E_clISt17integral_constantIbLb1EES1C_EEDaS17_S18_EUlS17_E_NS1_11comp_targetILNS1_3genE2ELNS1_11target_archE906ELNS1_3gpuE6ELNS1_3repE0EEENS1_30default_config_static_selectorELNS0_4arch9wavefront6targetE0EEEvT1_
		.amdhsa_group_segment_fixed_size 0
		.amdhsa_private_segment_fixed_size 0
		.amdhsa_kernarg_size 136
		.amdhsa_user_sgpr_count 2
		.amdhsa_user_sgpr_dispatch_ptr 0
		.amdhsa_user_sgpr_queue_ptr 0
		.amdhsa_user_sgpr_kernarg_segment_ptr 1
		.amdhsa_user_sgpr_dispatch_id 0
		.amdhsa_user_sgpr_kernarg_preload_length 0
		.amdhsa_user_sgpr_kernarg_preload_offset 0
		.amdhsa_user_sgpr_private_segment_size 0
		.amdhsa_wavefront_size32 1
		.amdhsa_uses_dynamic_stack 0
		.amdhsa_enable_private_segment 0
		.amdhsa_system_sgpr_workgroup_id_x 1
		.amdhsa_system_sgpr_workgroup_id_y 0
		.amdhsa_system_sgpr_workgroup_id_z 0
		.amdhsa_system_sgpr_workgroup_info 0
		.amdhsa_system_vgpr_workitem_id 0
		.amdhsa_next_free_vgpr 1
		.amdhsa_next_free_sgpr 1
		.amdhsa_named_barrier_count 0
		.amdhsa_reserve_vcc 0
		.amdhsa_float_round_mode_32 0
		.amdhsa_float_round_mode_16_64 0
		.amdhsa_float_denorm_mode_32 3
		.amdhsa_float_denorm_mode_16_64 3
		.amdhsa_fp16_overflow 0
		.amdhsa_memory_ordered 1
		.amdhsa_forward_progress 1
		.amdhsa_inst_pref_size 0
		.amdhsa_round_robin_scheduling 0
		.amdhsa_exception_fp_ieee_invalid_op 0
		.amdhsa_exception_fp_denorm_src 0
		.amdhsa_exception_fp_ieee_div_zero 0
		.amdhsa_exception_fp_ieee_overflow 0
		.amdhsa_exception_fp_ieee_underflow 0
		.amdhsa_exception_fp_ieee_inexact 0
		.amdhsa_exception_int_div_zero 0
	.end_amdhsa_kernel
	.section	.text._ZN7rocprim17ROCPRIM_400000_NS6detail17trampoline_kernelINS0_14default_configENS1_25partition_config_selectorILNS1_17partition_subalgoE8ElNS0_10empty_typeEbEEZZNS1_14partition_implILS5_8ELb0ES3_jPlPS6_PKS6_NS0_5tupleIJS9_S6_EEENSD_IJSA_SA_EEENS0_18inequality_wrapperIZN2at6native12_GLOBAL__N_124unique_dim_cuda_templateIdEESt5tupleIJNSH_6TensorESM_SM_EERKSM_lbbbEUlllE0_EEPmJS6_EEE10hipError_tPvRmT3_T4_T5_T6_T7_T9_mT8_P12ihipStream_tbDpT10_ENKUlT_T0_E_clISt17integral_constantIbLb1EES1C_EEDaS17_S18_EUlS17_E_NS1_11comp_targetILNS1_3genE2ELNS1_11target_archE906ELNS1_3gpuE6ELNS1_3repE0EEENS1_30default_config_static_selectorELNS0_4arch9wavefront6targetE0EEEvT1_,"axG",@progbits,_ZN7rocprim17ROCPRIM_400000_NS6detail17trampoline_kernelINS0_14default_configENS1_25partition_config_selectorILNS1_17partition_subalgoE8ElNS0_10empty_typeEbEEZZNS1_14partition_implILS5_8ELb0ES3_jPlPS6_PKS6_NS0_5tupleIJS9_S6_EEENSD_IJSA_SA_EEENS0_18inequality_wrapperIZN2at6native12_GLOBAL__N_124unique_dim_cuda_templateIdEESt5tupleIJNSH_6TensorESM_SM_EERKSM_lbbbEUlllE0_EEPmJS6_EEE10hipError_tPvRmT3_T4_T5_T6_T7_T9_mT8_P12ihipStream_tbDpT10_ENKUlT_T0_E_clISt17integral_constantIbLb1EES1C_EEDaS17_S18_EUlS17_E_NS1_11comp_targetILNS1_3genE2ELNS1_11target_archE906ELNS1_3gpuE6ELNS1_3repE0EEENS1_30default_config_static_selectorELNS0_4arch9wavefront6targetE0EEEvT1_,comdat
.Lfunc_end819:
	.size	_ZN7rocprim17ROCPRIM_400000_NS6detail17trampoline_kernelINS0_14default_configENS1_25partition_config_selectorILNS1_17partition_subalgoE8ElNS0_10empty_typeEbEEZZNS1_14partition_implILS5_8ELb0ES3_jPlPS6_PKS6_NS0_5tupleIJS9_S6_EEENSD_IJSA_SA_EEENS0_18inequality_wrapperIZN2at6native12_GLOBAL__N_124unique_dim_cuda_templateIdEESt5tupleIJNSH_6TensorESM_SM_EERKSM_lbbbEUlllE0_EEPmJS6_EEE10hipError_tPvRmT3_T4_T5_T6_T7_T9_mT8_P12ihipStream_tbDpT10_ENKUlT_T0_E_clISt17integral_constantIbLb1EES1C_EEDaS17_S18_EUlS17_E_NS1_11comp_targetILNS1_3genE2ELNS1_11target_archE906ELNS1_3gpuE6ELNS1_3repE0EEENS1_30default_config_static_selectorELNS0_4arch9wavefront6targetE0EEEvT1_, .Lfunc_end819-_ZN7rocprim17ROCPRIM_400000_NS6detail17trampoline_kernelINS0_14default_configENS1_25partition_config_selectorILNS1_17partition_subalgoE8ElNS0_10empty_typeEbEEZZNS1_14partition_implILS5_8ELb0ES3_jPlPS6_PKS6_NS0_5tupleIJS9_S6_EEENSD_IJSA_SA_EEENS0_18inequality_wrapperIZN2at6native12_GLOBAL__N_124unique_dim_cuda_templateIdEESt5tupleIJNSH_6TensorESM_SM_EERKSM_lbbbEUlllE0_EEPmJS6_EEE10hipError_tPvRmT3_T4_T5_T6_T7_T9_mT8_P12ihipStream_tbDpT10_ENKUlT_T0_E_clISt17integral_constantIbLb1EES1C_EEDaS17_S18_EUlS17_E_NS1_11comp_targetILNS1_3genE2ELNS1_11target_archE906ELNS1_3gpuE6ELNS1_3repE0EEENS1_30default_config_static_selectorELNS0_4arch9wavefront6targetE0EEEvT1_
                                        ; -- End function
	.set _ZN7rocprim17ROCPRIM_400000_NS6detail17trampoline_kernelINS0_14default_configENS1_25partition_config_selectorILNS1_17partition_subalgoE8ElNS0_10empty_typeEbEEZZNS1_14partition_implILS5_8ELb0ES3_jPlPS6_PKS6_NS0_5tupleIJS9_S6_EEENSD_IJSA_SA_EEENS0_18inequality_wrapperIZN2at6native12_GLOBAL__N_124unique_dim_cuda_templateIdEESt5tupleIJNSH_6TensorESM_SM_EERKSM_lbbbEUlllE0_EEPmJS6_EEE10hipError_tPvRmT3_T4_T5_T6_T7_T9_mT8_P12ihipStream_tbDpT10_ENKUlT_T0_E_clISt17integral_constantIbLb1EES1C_EEDaS17_S18_EUlS17_E_NS1_11comp_targetILNS1_3genE2ELNS1_11target_archE906ELNS1_3gpuE6ELNS1_3repE0EEENS1_30default_config_static_selectorELNS0_4arch9wavefront6targetE0EEEvT1_.num_vgpr, 0
	.set _ZN7rocprim17ROCPRIM_400000_NS6detail17trampoline_kernelINS0_14default_configENS1_25partition_config_selectorILNS1_17partition_subalgoE8ElNS0_10empty_typeEbEEZZNS1_14partition_implILS5_8ELb0ES3_jPlPS6_PKS6_NS0_5tupleIJS9_S6_EEENSD_IJSA_SA_EEENS0_18inequality_wrapperIZN2at6native12_GLOBAL__N_124unique_dim_cuda_templateIdEESt5tupleIJNSH_6TensorESM_SM_EERKSM_lbbbEUlllE0_EEPmJS6_EEE10hipError_tPvRmT3_T4_T5_T6_T7_T9_mT8_P12ihipStream_tbDpT10_ENKUlT_T0_E_clISt17integral_constantIbLb1EES1C_EEDaS17_S18_EUlS17_E_NS1_11comp_targetILNS1_3genE2ELNS1_11target_archE906ELNS1_3gpuE6ELNS1_3repE0EEENS1_30default_config_static_selectorELNS0_4arch9wavefront6targetE0EEEvT1_.num_agpr, 0
	.set _ZN7rocprim17ROCPRIM_400000_NS6detail17trampoline_kernelINS0_14default_configENS1_25partition_config_selectorILNS1_17partition_subalgoE8ElNS0_10empty_typeEbEEZZNS1_14partition_implILS5_8ELb0ES3_jPlPS6_PKS6_NS0_5tupleIJS9_S6_EEENSD_IJSA_SA_EEENS0_18inequality_wrapperIZN2at6native12_GLOBAL__N_124unique_dim_cuda_templateIdEESt5tupleIJNSH_6TensorESM_SM_EERKSM_lbbbEUlllE0_EEPmJS6_EEE10hipError_tPvRmT3_T4_T5_T6_T7_T9_mT8_P12ihipStream_tbDpT10_ENKUlT_T0_E_clISt17integral_constantIbLb1EES1C_EEDaS17_S18_EUlS17_E_NS1_11comp_targetILNS1_3genE2ELNS1_11target_archE906ELNS1_3gpuE6ELNS1_3repE0EEENS1_30default_config_static_selectorELNS0_4arch9wavefront6targetE0EEEvT1_.numbered_sgpr, 0
	.set _ZN7rocprim17ROCPRIM_400000_NS6detail17trampoline_kernelINS0_14default_configENS1_25partition_config_selectorILNS1_17partition_subalgoE8ElNS0_10empty_typeEbEEZZNS1_14partition_implILS5_8ELb0ES3_jPlPS6_PKS6_NS0_5tupleIJS9_S6_EEENSD_IJSA_SA_EEENS0_18inequality_wrapperIZN2at6native12_GLOBAL__N_124unique_dim_cuda_templateIdEESt5tupleIJNSH_6TensorESM_SM_EERKSM_lbbbEUlllE0_EEPmJS6_EEE10hipError_tPvRmT3_T4_T5_T6_T7_T9_mT8_P12ihipStream_tbDpT10_ENKUlT_T0_E_clISt17integral_constantIbLb1EES1C_EEDaS17_S18_EUlS17_E_NS1_11comp_targetILNS1_3genE2ELNS1_11target_archE906ELNS1_3gpuE6ELNS1_3repE0EEENS1_30default_config_static_selectorELNS0_4arch9wavefront6targetE0EEEvT1_.num_named_barrier, 0
	.set _ZN7rocprim17ROCPRIM_400000_NS6detail17trampoline_kernelINS0_14default_configENS1_25partition_config_selectorILNS1_17partition_subalgoE8ElNS0_10empty_typeEbEEZZNS1_14partition_implILS5_8ELb0ES3_jPlPS6_PKS6_NS0_5tupleIJS9_S6_EEENSD_IJSA_SA_EEENS0_18inequality_wrapperIZN2at6native12_GLOBAL__N_124unique_dim_cuda_templateIdEESt5tupleIJNSH_6TensorESM_SM_EERKSM_lbbbEUlllE0_EEPmJS6_EEE10hipError_tPvRmT3_T4_T5_T6_T7_T9_mT8_P12ihipStream_tbDpT10_ENKUlT_T0_E_clISt17integral_constantIbLb1EES1C_EEDaS17_S18_EUlS17_E_NS1_11comp_targetILNS1_3genE2ELNS1_11target_archE906ELNS1_3gpuE6ELNS1_3repE0EEENS1_30default_config_static_selectorELNS0_4arch9wavefront6targetE0EEEvT1_.private_seg_size, 0
	.set _ZN7rocprim17ROCPRIM_400000_NS6detail17trampoline_kernelINS0_14default_configENS1_25partition_config_selectorILNS1_17partition_subalgoE8ElNS0_10empty_typeEbEEZZNS1_14partition_implILS5_8ELb0ES3_jPlPS6_PKS6_NS0_5tupleIJS9_S6_EEENSD_IJSA_SA_EEENS0_18inequality_wrapperIZN2at6native12_GLOBAL__N_124unique_dim_cuda_templateIdEESt5tupleIJNSH_6TensorESM_SM_EERKSM_lbbbEUlllE0_EEPmJS6_EEE10hipError_tPvRmT3_T4_T5_T6_T7_T9_mT8_P12ihipStream_tbDpT10_ENKUlT_T0_E_clISt17integral_constantIbLb1EES1C_EEDaS17_S18_EUlS17_E_NS1_11comp_targetILNS1_3genE2ELNS1_11target_archE906ELNS1_3gpuE6ELNS1_3repE0EEENS1_30default_config_static_selectorELNS0_4arch9wavefront6targetE0EEEvT1_.uses_vcc, 0
	.set _ZN7rocprim17ROCPRIM_400000_NS6detail17trampoline_kernelINS0_14default_configENS1_25partition_config_selectorILNS1_17partition_subalgoE8ElNS0_10empty_typeEbEEZZNS1_14partition_implILS5_8ELb0ES3_jPlPS6_PKS6_NS0_5tupleIJS9_S6_EEENSD_IJSA_SA_EEENS0_18inequality_wrapperIZN2at6native12_GLOBAL__N_124unique_dim_cuda_templateIdEESt5tupleIJNSH_6TensorESM_SM_EERKSM_lbbbEUlllE0_EEPmJS6_EEE10hipError_tPvRmT3_T4_T5_T6_T7_T9_mT8_P12ihipStream_tbDpT10_ENKUlT_T0_E_clISt17integral_constantIbLb1EES1C_EEDaS17_S18_EUlS17_E_NS1_11comp_targetILNS1_3genE2ELNS1_11target_archE906ELNS1_3gpuE6ELNS1_3repE0EEENS1_30default_config_static_selectorELNS0_4arch9wavefront6targetE0EEEvT1_.uses_flat_scratch, 0
	.set _ZN7rocprim17ROCPRIM_400000_NS6detail17trampoline_kernelINS0_14default_configENS1_25partition_config_selectorILNS1_17partition_subalgoE8ElNS0_10empty_typeEbEEZZNS1_14partition_implILS5_8ELb0ES3_jPlPS6_PKS6_NS0_5tupleIJS9_S6_EEENSD_IJSA_SA_EEENS0_18inequality_wrapperIZN2at6native12_GLOBAL__N_124unique_dim_cuda_templateIdEESt5tupleIJNSH_6TensorESM_SM_EERKSM_lbbbEUlllE0_EEPmJS6_EEE10hipError_tPvRmT3_T4_T5_T6_T7_T9_mT8_P12ihipStream_tbDpT10_ENKUlT_T0_E_clISt17integral_constantIbLb1EES1C_EEDaS17_S18_EUlS17_E_NS1_11comp_targetILNS1_3genE2ELNS1_11target_archE906ELNS1_3gpuE6ELNS1_3repE0EEENS1_30default_config_static_selectorELNS0_4arch9wavefront6targetE0EEEvT1_.has_dyn_sized_stack, 0
	.set _ZN7rocprim17ROCPRIM_400000_NS6detail17trampoline_kernelINS0_14default_configENS1_25partition_config_selectorILNS1_17partition_subalgoE8ElNS0_10empty_typeEbEEZZNS1_14partition_implILS5_8ELb0ES3_jPlPS6_PKS6_NS0_5tupleIJS9_S6_EEENSD_IJSA_SA_EEENS0_18inequality_wrapperIZN2at6native12_GLOBAL__N_124unique_dim_cuda_templateIdEESt5tupleIJNSH_6TensorESM_SM_EERKSM_lbbbEUlllE0_EEPmJS6_EEE10hipError_tPvRmT3_T4_T5_T6_T7_T9_mT8_P12ihipStream_tbDpT10_ENKUlT_T0_E_clISt17integral_constantIbLb1EES1C_EEDaS17_S18_EUlS17_E_NS1_11comp_targetILNS1_3genE2ELNS1_11target_archE906ELNS1_3gpuE6ELNS1_3repE0EEENS1_30default_config_static_selectorELNS0_4arch9wavefront6targetE0EEEvT1_.has_recursion, 0
	.set _ZN7rocprim17ROCPRIM_400000_NS6detail17trampoline_kernelINS0_14default_configENS1_25partition_config_selectorILNS1_17partition_subalgoE8ElNS0_10empty_typeEbEEZZNS1_14partition_implILS5_8ELb0ES3_jPlPS6_PKS6_NS0_5tupleIJS9_S6_EEENSD_IJSA_SA_EEENS0_18inequality_wrapperIZN2at6native12_GLOBAL__N_124unique_dim_cuda_templateIdEESt5tupleIJNSH_6TensorESM_SM_EERKSM_lbbbEUlllE0_EEPmJS6_EEE10hipError_tPvRmT3_T4_T5_T6_T7_T9_mT8_P12ihipStream_tbDpT10_ENKUlT_T0_E_clISt17integral_constantIbLb1EES1C_EEDaS17_S18_EUlS17_E_NS1_11comp_targetILNS1_3genE2ELNS1_11target_archE906ELNS1_3gpuE6ELNS1_3repE0EEENS1_30default_config_static_selectorELNS0_4arch9wavefront6targetE0EEEvT1_.has_indirect_call, 0
	.section	.AMDGPU.csdata,"",@progbits
; Kernel info:
; codeLenInByte = 0
; TotalNumSgprs: 0
; NumVgprs: 0
; ScratchSize: 0
; MemoryBound: 0
; FloatMode: 240
; IeeeMode: 1
; LDSByteSize: 0 bytes/workgroup (compile time only)
; SGPRBlocks: 0
; VGPRBlocks: 0
; NumSGPRsForWavesPerEU: 1
; NumVGPRsForWavesPerEU: 1
; NamedBarCnt: 0
; Occupancy: 16
; WaveLimiterHint : 0
; COMPUTE_PGM_RSRC2:SCRATCH_EN: 0
; COMPUTE_PGM_RSRC2:USER_SGPR: 2
; COMPUTE_PGM_RSRC2:TRAP_HANDLER: 0
; COMPUTE_PGM_RSRC2:TGID_X_EN: 1
; COMPUTE_PGM_RSRC2:TGID_Y_EN: 0
; COMPUTE_PGM_RSRC2:TGID_Z_EN: 0
; COMPUTE_PGM_RSRC2:TIDIG_COMP_CNT: 0
	.section	.text._ZN7rocprim17ROCPRIM_400000_NS6detail17trampoline_kernelINS0_14default_configENS1_25partition_config_selectorILNS1_17partition_subalgoE8ElNS0_10empty_typeEbEEZZNS1_14partition_implILS5_8ELb0ES3_jPlPS6_PKS6_NS0_5tupleIJS9_S6_EEENSD_IJSA_SA_EEENS0_18inequality_wrapperIZN2at6native12_GLOBAL__N_124unique_dim_cuda_templateIdEESt5tupleIJNSH_6TensorESM_SM_EERKSM_lbbbEUlllE0_EEPmJS6_EEE10hipError_tPvRmT3_T4_T5_T6_T7_T9_mT8_P12ihipStream_tbDpT10_ENKUlT_T0_E_clISt17integral_constantIbLb1EES1C_EEDaS17_S18_EUlS17_E_NS1_11comp_targetILNS1_3genE10ELNS1_11target_archE1200ELNS1_3gpuE4ELNS1_3repE0EEENS1_30default_config_static_selectorELNS0_4arch9wavefront6targetE0EEEvT1_,"axG",@progbits,_ZN7rocprim17ROCPRIM_400000_NS6detail17trampoline_kernelINS0_14default_configENS1_25partition_config_selectorILNS1_17partition_subalgoE8ElNS0_10empty_typeEbEEZZNS1_14partition_implILS5_8ELb0ES3_jPlPS6_PKS6_NS0_5tupleIJS9_S6_EEENSD_IJSA_SA_EEENS0_18inequality_wrapperIZN2at6native12_GLOBAL__N_124unique_dim_cuda_templateIdEESt5tupleIJNSH_6TensorESM_SM_EERKSM_lbbbEUlllE0_EEPmJS6_EEE10hipError_tPvRmT3_T4_T5_T6_T7_T9_mT8_P12ihipStream_tbDpT10_ENKUlT_T0_E_clISt17integral_constantIbLb1EES1C_EEDaS17_S18_EUlS17_E_NS1_11comp_targetILNS1_3genE10ELNS1_11target_archE1200ELNS1_3gpuE4ELNS1_3repE0EEENS1_30default_config_static_selectorELNS0_4arch9wavefront6targetE0EEEvT1_,comdat
	.globl	_ZN7rocprim17ROCPRIM_400000_NS6detail17trampoline_kernelINS0_14default_configENS1_25partition_config_selectorILNS1_17partition_subalgoE8ElNS0_10empty_typeEbEEZZNS1_14partition_implILS5_8ELb0ES3_jPlPS6_PKS6_NS0_5tupleIJS9_S6_EEENSD_IJSA_SA_EEENS0_18inequality_wrapperIZN2at6native12_GLOBAL__N_124unique_dim_cuda_templateIdEESt5tupleIJNSH_6TensorESM_SM_EERKSM_lbbbEUlllE0_EEPmJS6_EEE10hipError_tPvRmT3_T4_T5_T6_T7_T9_mT8_P12ihipStream_tbDpT10_ENKUlT_T0_E_clISt17integral_constantIbLb1EES1C_EEDaS17_S18_EUlS17_E_NS1_11comp_targetILNS1_3genE10ELNS1_11target_archE1200ELNS1_3gpuE4ELNS1_3repE0EEENS1_30default_config_static_selectorELNS0_4arch9wavefront6targetE0EEEvT1_ ; -- Begin function _ZN7rocprim17ROCPRIM_400000_NS6detail17trampoline_kernelINS0_14default_configENS1_25partition_config_selectorILNS1_17partition_subalgoE8ElNS0_10empty_typeEbEEZZNS1_14partition_implILS5_8ELb0ES3_jPlPS6_PKS6_NS0_5tupleIJS9_S6_EEENSD_IJSA_SA_EEENS0_18inequality_wrapperIZN2at6native12_GLOBAL__N_124unique_dim_cuda_templateIdEESt5tupleIJNSH_6TensorESM_SM_EERKSM_lbbbEUlllE0_EEPmJS6_EEE10hipError_tPvRmT3_T4_T5_T6_T7_T9_mT8_P12ihipStream_tbDpT10_ENKUlT_T0_E_clISt17integral_constantIbLb1EES1C_EEDaS17_S18_EUlS17_E_NS1_11comp_targetILNS1_3genE10ELNS1_11target_archE1200ELNS1_3gpuE4ELNS1_3repE0EEENS1_30default_config_static_selectorELNS0_4arch9wavefront6targetE0EEEvT1_
	.p2align	8
	.type	_ZN7rocprim17ROCPRIM_400000_NS6detail17trampoline_kernelINS0_14default_configENS1_25partition_config_selectorILNS1_17partition_subalgoE8ElNS0_10empty_typeEbEEZZNS1_14partition_implILS5_8ELb0ES3_jPlPS6_PKS6_NS0_5tupleIJS9_S6_EEENSD_IJSA_SA_EEENS0_18inequality_wrapperIZN2at6native12_GLOBAL__N_124unique_dim_cuda_templateIdEESt5tupleIJNSH_6TensorESM_SM_EERKSM_lbbbEUlllE0_EEPmJS6_EEE10hipError_tPvRmT3_T4_T5_T6_T7_T9_mT8_P12ihipStream_tbDpT10_ENKUlT_T0_E_clISt17integral_constantIbLb1EES1C_EEDaS17_S18_EUlS17_E_NS1_11comp_targetILNS1_3genE10ELNS1_11target_archE1200ELNS1_3gpuE4ELNS1_3repE0EEENS1_30default_config_static_selectorELNS0_4arch9wavefront6targetE0EEEvT1_,@function
_ZN7rocprim17ROCPRIM_400000_NS6detail17trampoline_kernelINS0_14default_configENS1_25partition_config_selectorILNS1_17partition_subalgoE8ElNS0_10empty_typeEbEEZZNS1_14partition_implILS5_8ELb0ES3_jPlPS6_PKS6_NS0_5tupleIJS9_S6_EEENSD_IJSA_SA_EEENS0_18inequality_wrapperIZN2at6native12_GLOBAL__N_124unique_dim_cuda_templateIdEESt5tupleIJNSH_6TensorESM_SM_EERKSM_lbbbEUlllE0_EEPmJS6_EEE10hipError_tPvRmT3_T4_T5_T6_T7_T9_mT8_P12ihipStream_tbDpT10_ENKUlT_T0_E_clISt17integral_constantIbLb1EES1C_EEDaS17_S18_EUlS17_E_NS1_11comp_targetILNS1_3genE10ELNS1_11target_archE1200ELNS1_3gpuE4ELNS1_3repE0EEENS1_30default_config_static_selectorELNS0_4arch9wavefront6targetE0EEEvT1_: ; @_ZN7rocprim17ROCPRIM_400000_NS6detail17trampoline_kernelINS0_14default_configENS1_25partition_config_selectorILNS1_17partition_subalgoE8ElNS0_10empty_typeEbEEZZNS1_14partition_implILS5_8ELb0ES3_jPlPS6_PKS6_NS0_5tupleIJS9_S6_EEENSD_IJSA_SA_EEENS0_18inequality_wrapperIZN2at6native12_GLOBAL__N_124unique_dim_cuda_templateIdEESt5tupleIJNSH_6TensorESM_SM_EERKSM_lbbbEUlllE0_EEPmJS6_EEE10hipError_tPvRmT3_T4_T5_T6_T7_T9_mT8_P12ihipStream_tbDpT10_ENKUlT_T0_E_clISt17integral_constantIbLb1EES1C_EEDaS17_S18_EUlS17_E_NS1_11comp_targetILNS1_3genE10ELNS1_11target_archE1200ELNS1_3gpuE4ELNS1_3repE0EEENS1_30default_config_static_selectorELNS0_4arch9wavefront6targetE0EEEvT1_
; %bb.0:
	.section	.rodata,"a",@progbits
	.p2align	6, 0x0
	.amdhsa_kernel _ZN7rocprim17ROCPRIM_400000_NS6detail17trampoline_kernelINS0_14default_configENS1_25partition_config_selectorILNS1_17partition_subalgoE8ElNS0_10empty_typeEbEEZZNS1_14partition_implILS5_8ELb0ES3_jPlPS6_PKS6_NS0_5tupleIJS9_S6_EEENSD_IJSA_SA_EEENS0_18inequality_wrapperIZN2at6native12_GLOBAL__N_124unique_dim_cuda_templateIdEESt5tupleIJNSH_6TensorESM_SM_EERKSM_lbbbEUlllE0_EEPmJS6_EEE10hipError_tPvRmT3_T4_T5_T6_T7_T9_mT8_P12ihipStream_tbDpT10_ENKUlT_T0_E_clISt17integral_constantIbLb1EES1C_EEDaS17_S18_EUlS17_E_NS1_11comp_targetILNS1_3genE10ELNS1_11target_archE1200ELNS1_3gpuE4ELNS1_3repE0EEENS1_30default_config_static_selectorELNS0_4arch9wavefront6targetE0EEEvT1_
		.amdhsa_group_segment_fixed_size 0
		.amdhsa_private_segment_fixed_size 0
		.amdhsa_kernarg_size 136
		.amdhsa_user_sgpr_count 2
		.amdhsa_user_sgpr_dispatch_ptr 0
		.amdhsa_user_sgpr_queue_ptr 0
		.amdhsa_user_sgpr_kernarg_segment_ptr 1
		.amdhsa_user_sgpr_dispatch_id 0
		.amdhsa_user_sgpr_kernarg_preload_length 0
		.amdhsa_user_sgpr_kernarg_preload_offset 0
		.amdhsa_user_sgpr_private_segment_size 0
		.amdhsa_wavefront_size32 1
		.amdhsa_uses_dynamic_stack 0
		.amdhsa_enable_private_segment 0
		.amdhsa_system_sgpr_workgroup_id_x 1
		.amdhsa_system_sgpr_workgroup_id_y 0
		.amdhsa_system_sgpr_workgroup_id_z 0
		.amdhsa_system_sgpr_workgroup_info 0
		.amdhsa_system_vgpr_workitem_id 0
		.amdhsa_next_free_vgpr 1
		.amdhsa_next_free_sgpr 1
		.amdhsa_named_barrier_count 0
		.amdhsa_reserve_vcc 0
		.amdhsa_float_round_mode_32 0
		.amdhsa_float_round_mode_16_64 0
		.amdhsa_float_denorm_mode_32 3
		.amdhsa_float_denorm_mode_16_64 3
		.amdhsa_fp16_overflow 0
		.amdhsa_memory_ordered 1
		.amdhsa_forward_progress 1
		.amdhsa_inst_pref_size 0
		.amdhsa_round_robin_scheduling 0
		.amdhsa_exception_fp_ieee_invalid_op 0
		.amdhsa_exception_fp_denorm_src 0
		.amdhsa_exception_fp_ieee_div_zero 0
		.amdhsa_exception_fp_ieee_overflow 0
		.amdhsa_exception_fp_ieee_underflow 0
		.amdhsa_exception_fp_ieee_inexact 0
		.amdhsa_exception_int_div_zero 0
	.end_amdhsa_kernel
	.section	.text._ZN7rocprim17ROCPRIM_400000_NS6detail17trampoline_kernelINS0_14default_configENS1_25partition_config_selectorILNS1_17partition_subalgoE8ElNS0_10empty_typeEbEEZZNS1_14partition_implILS5_8ELb0ES3_jPlPS6_PKS6_NS0_5tupleIJS9_S6_EEENSD_IJSA_SA_EEENS0_18inequality_wrapperIZN2at6native12_GLOBAL__N_124unique_dim_cuda_templateIdEESt5tupleIJNSH_6TensorESM_SM_EERKSM_lbbbEUlllE0_EEPmJS6_EEE10hipError_tPvRmT3_T4_T5_T6_T7_T9_mT8_P12ihipStream_tbDpT10_ENKUlT_T0_E_clISt17integral_constantIbLb1EES1C_EEDaS17_S18_EUlS17_E_NS1_11comp_targetILNS1_3genE10ELNS1_11target_archE1200ELNS1_3gpuE4ELNS1_3repE0EEENS1_30default_config_static_selectorELNS0_4arch9wavefront6targetE0EEEvT1_,"axG",@progbits,_ZN7rocprim17ROCPRIM_400000_NS6detail17trampoline_kernelINS0_14default_configENS1_25partition_config_selectorILNS1_17partition_subalgoE8ElNS0_10empty_typeEbEEZZNS1_14partition_implILS5_8ELb0ES3_jPlPS6_PKS6_NS0_5tupleIJS9_S6_EEENSD_IJSA_SA_EEENS0_18inequality_wrapperIZN2at6native12_GLOBAL__N_124unique_dim_cuda_templateIdEESt5tupleIJNSH_6TensorESM_SM_EERKSM_lbbbEUlllE0_EEPmJS6_EEE10hipError_tPvRmT3_T4_T5_T6_T7_T9_mT8_P12ihipStream_tbDpT10_ENKUlT_T0_E_clISt17integral_constantIbLb1EES1C_EEDaS17_S18_EUlS17_E_NS1_11comp_targetILNS1_3genE10ELNS1_11target_archE1200ELNS1_3gpuE4ELNS1_3repE0EEENS1_30default_config_static_selectorELNS0_4arch9wavefront6targetE0EEEvT1_,comdat
.Lfunc_end820:
	.size	_ZN7rocprim17ROCPRIM_400000_NS6detail17trampoline_kernelINS0_14default_configENS1_25partition_config_selectorILNS1_17partition_subalgoE8ElNS0_10empty_typeEbEEZZNS1_14partition_implILS5_8ELb0ES3_jPlPS6_PKS6_NS0_5tupleIJS9_S6_EEENSD_IJSA_SA_EEENS0_18inequality_wrapperIZN2at6native12_GLOBAL__N_124unique_dim_cuda_templateIdEESt5tupleIJNSH_6TensorESM_SM_EERKSM_lbbbEUlllE0_EEPmJS6_EEE10hipError_tPvRmT3_T4_T5_T6_T7_T9_mT8_P12ihipStream_tbDpT10_ENKUlT_T0_E_clISt17integral_constantIbLb1EES1C_EEDaS17_S18_EUlS17_E_NS1_11comp_targetILNS1_3genE10ELNS1_11target_archE1200ELNS1_3gpuE4ELNS1_3repE0EEENS1_30default_config_static_selectorELNS0_4arch9wavefront6targetE0EEEvT1_, .Lfunc_end820-_ZN7rocprim17ROCPRIM_400000_NS6detail17trampoline_kernelINS0_14default_configENS1_25partition_config_selectorILNS1_17partition_subalgoE8ElNS0_10empty_typeEbEEZZNS1_14partition_implILS5_8ELb0ES3_jPlPS6_PKS6_NS0_5tupleIJS9_S6_EEENSD_IJSA_SA_EEENS0_18inequality_wrapperIZN2at6native12_GLOBAL__N_124unique_dim_cuda_templateIdEESt5tupleIJNSH_6TensorESM_SM_EERKSM_lbbbEUlllE0_EEPmJS6_EEE10hipError_tPvRmT3_T4_T5_T6_T7_T9_mT8_P12ihipStream_tbDpT10_ENKUlT_T0_E_clISt17integral_constantIbLb1EES1C_EEDaS17_S18_EUlS17_E_NS1_11comp_targetILNS1_3genE10ELNS1_11target_archE1200ELNS1_3gpuE4ELNS1_3repE0EEENS1_30default_config_static_selectorELNS0_4arch9wavefront6targetE0EEEvT1_
                                        ; -- End function
	.set _ZN7rocprim17ROCPRIM_400000_NS6detail17trampoline_kernelINS0_14default_configENS1_25partition_config_selectorILNS1_17partition_subalgoE8ElNS0_10empty_typeEbEEZZNS1_14partition_implILS5_8ELb0ES3_jPlPS6_PKS6_NS0_5tupleIJS9_S6_EEENSD_IJSA_SA_EEENS0_18inequality_wrapperIZN2at6native12_GLOBAL__N_124unique_dim_cuda_templateIdEESt5tupleIJNSH_6TensorESM_SM_EERKSM_lbbbEUlllE0_EEPmJS6_EEE10hipError_tPvRmT3_T4_T5_T6_T7_T9_mT8_P12ihipStream_tbDpT10_ENKUlT_T0_E_clISt17integral_constantIbLb1EES1C_EEDaS17_S18_EUlS17_E_NS1_11comp_targetILNS1_3genE10ELNS1_11target_archE1200ELNS1_3gpuE4ELNS1_3repE0EEENS1_30default_config_static_selectorELNS0_4arch9wavefront6targetE0EEEvT1_.num_vgpr, 0
	.set _ZN7rocprim17ROCPRIM_400000_NS6detail17trampoline_kernelINS0_14default_configENS1_25partition_config_selectorILNS1_17partition_subalgoE8ElNS0_10empty_typeEbEEZZNS1_14partition_implILS5_8ELb0ES3_jPlPS6_PKS6_NS0_5tupleIJS9_S6_EEENSD_IJSA_SA_EEENS0_18inequality_wrapperIZN2at6native12_GLOBAL__N_124unique_dim_cuda_templateIdEESt5tupleIJNSH_6TensorESM_SM_EERKSM_lbbbEUlllE0_EEPmJS6_EEE10hipError_tPvRmT3_T4_T5_T6_T7_T9_mT8_P12ihipStream_tbDpT10_ENKUlT_T0_E_clISt17integral_constantIbLb1EES1C_EEDaS17_S18_EUlS17_E_NS1_11comp_targetILNS1_3genE10ELNS1_11target_archE1200ELNS1_3gpuE4ELNS1_3repE0EEENS1_30default_config_static_selectorELNS0_4arch9wavefront6targetE0EEEvT1_.num_agpr, 0
	.set _ZN7rocprim17ROCPRIM_400000_NS6detail17trampoline_kernelINS0_14default_configENS1_25partition_config_selectorILNS1_17partition_subalgoE8ElNS0_10empty_typeEbEEZZNS1_14partition_implILS5_8ELb0ES3_jPlPS6_PKS6_NS0_5tupleIJS9_S6_EEENSD_IJSA_SA_EEENS0_18inequality_wrapperIZN2at6native12_GLOBAL__N_124unique_dim_cuda_templateIdEESt5tupleIJNSH_6TensorESM_SM_EERKSM_lbbbEUlllE0_EEPmJS6_EEE10hipError_tPvRmT3_T4_T5_T6_T7_T9_mT8_P12ihipStream_tbDpT10_ENKUlT_T0_E_clISt17integral_constantIbLb1EES1C_EEDaS17_S18_EUlS17_E_NS1_11comp_targetILNS1_3genE10ELNS1_11target_archE1200ELNS1_3gpuE4ELNS1_3repE0EEENS1_30default_config_static_selectorELNS0_4arch9wavefront6targetE0EEEvT1_.numbered_sgpr, 0
	.set _ZN7rocprim17ROCPRIM_400000_NS6detail17trampoline_kernelINS0_14default_configENS1_25partition_config_selectorILNS1_17partition_subalgoE8ElNS0_10empty_typeEbEEZZNS1_14partition_implILS5_8ELb0ES3_jPlPS6_PKS6_NS0_5tupleIJS9_S6_EEENSD_IJSA_SA_EEENS0_18inequality_wrapperIZN2at6native12_GLOBAL__N_124unique_dim_cuda_templateIdEESt5tupleIJNSH_6TensorESM_SM_EERKSM_lbbbEUlllE0_EEPmJS6_EEE10hipError_tPvRmT3_T4_T5_T6_T7_T9_mT8_P12ihipStream_tbDpT10_ENKUlT_T0_E_clISt17integral_constantIbLb1EES1C_EEDaS17_S18_EUlS17_E_NS1_11comp_targetILNS1_3genE10ELNS1_11target_archE1200ELNS1_3gpuE4ELNS1_3repE0EEENS1_30default_config_static_selectorELNS0_4arch9wavefront6targetE0EEEvT1_.num_named_barrier, 0
	.set _ZN7rocprim17ROCPRIM_400000_NS6detail17trampoline_kernelINS0_14default_configENS1_25partition_config_selectorILNS1_17partition_subalgoE8ElNS0_10empty_typeEbEEZZNS1_14partition_implILS5_8ELb0ES3_jPlPS6_PKS6_NS0_5tupleIJS9_S6_EEENSD_IJSA_SA_EEENS0_18inequality_wrapperIZN2at6native12_GLOBAL__N_124unique_dim_cuda_templateIdEESt5tupleIJNSH_6TensorESM_SM_EERKSM_lbbbEUlllE0_EEPmJS6_EEE10hipError_tPvRmT3_T4_T5_T6_T7_T9_mT8_P12ihipStream_tbDpT10_ENKUlT_T0_E_clISt17integral_constantIbLb1EES1C_EEDaS17_S18_EUlS17_E_NS1_11comp_targetILNS1_3genE10ELNS1_11target_archE1200ELNS1_3gpuE4ELNS1_3repE0EEENS1_30default_config_static_selectorELNS0_4arch9wavefront6targetE0EEEvT1_.private_seg_size, 0
	.set _ZN7rocprim17ROCPRIM_400000_NS6detail17trampoline_kernelINS0_14default_configENS1_25partition_config_selectorILNS1_17partition_subalgoE8ElNS0_10empty_typeEbEEZZNS1_14partition_implILS5_8ELb0ES3_jPlPS6_PKS6_NS0_5tupleIJS9_S6_EEENSD_IJSA_SA_EEENS0_18inequality_wrapperIZN2at6native12_GLOBAL__N_124unique_dim_cuda_templateIdEESt5tupleIJNSH_6TensorESM_SM_EERKSM_lbbbEUlllE0_EEPmJS6_EEE10hipError_tPvRmT3_T4_T5_T6_T7_T9_mT8_P12ihipStream_tbDpT10_ENKUlT_T0_E_clISt17integral_constantIbLb1EES1C_EEDaS17_S18_EUlS17_E_NS1_11comp_targetILNS1_3genE10ELNS1_11target_archE1200ELNS1_3gpuE4ELNS1_3repE0EEENS1_30default_config_static_selectorELNS0_4arch9wavefront6targetE0EEEvT1_.uses_vcc, 0
	.set _ZN7rocprim17ROCPRIM_400000_NS6detail17trampoline_kernelINS0_14default_configENS1_25partition_config_selectorILNS1_17partition_subalgoE8ElNS0_10empty_typeEbEEZZNS1_14partition_implILS5_8ELb0ES3_jPlPS6_PKS6_NS0_5tupleIJS9_S6_EEENSD_IJSA_SA_EEENS0_18inequality_wrapperIZN2at6native12_GLOBAL__N_124unique_dim_cuda_templateIdEESt5tupleIJNSH_6TensorESM_SM_EERKSM_lbbbEUlllE0_EEPmJS6_EEE10hipError_tPvRmT3_T4_T5_T6_T7_T9_mT8_P12ihipStream_tbDpT10_ENKUlT_T0_E_clISt17integral_constantIbLb1EES1C_EEDaS17_S18_EUlS17_E_NS1_11comp_targetILNS1_3genE10ELNS1_11target_archE1200ELNS1_3gpuE4ELNS1_3repE0EEENS1_30default_config_static_selectorELNS0_4arch9wavefront6targetE0EEEvT1_.uses_flat_scratch, 0
	.set _ZN7rocprim17ROCPRIM_400000_NS6detail17trampoline_kernelINS0_14default_configENS1_25partition_config_selectorILNS1_17partition_subalgoE8ElNS0_10empty_typeEbEEZZNS1_14partition_implILS5_8ELb0ES3_jPlPS6_PKS6_NS0_5tupleIJS9_S6_EEENSD_IJSA_SA_EEENS0_18inequality_wrapperIZN2at6native12_GLOBAL__N_124unique_dim_cuda_templateIdEESt5tupleIJNSH_6TensorESM_SM_EERKSM_lbbbEUlllE0_EEPmJS6_EEE10hipError_tPvRmT3_T4_T5_T6_T7_T9_mT8_P12ihipStream_tbDpT10_ENKUlT_T0_E_clISt17integral_constantIbLb1EES1C_EEDaS17_S18_EUlS17_E_NS1_11comp_targetILNS1_3genE10ELNS1_11target_archE1200ELNS1_3gpuE4ELNS1_3repE0EEENS1_30default_config_static_selectorELNS0_4arch9wavefront6targetE0EEEvT1_.has_dyn_sized_stack, 0
	.set _ZN7rocprim17ROCPRIM_400000_NS6detail17trampoline_kernelINS0_14default_configENS1_25partition_config_selectorILNS1_17partition_subalgoE8ElNS0_10empty_typeEbEEZZNS1_14partition_implILS5_8ELb0ES3_jPlPS6_PKS6_NS0_5tupleIJS9_S6_EEENSD_IJSA_SA_EEENS0_18inequality_wrapperIZN2at6native12_GLOBAL__N_124unique_dim_cuda_templateIdEESt5tupleIJNSH_6TensorESM_SM_EERKSM_lbbbEUlllE0_EEPmJS6_EEE10hipError_tPvRmT3_T4_T5_T6_T7_T9_mT8_P12ihipStream_tbDpT10_ENKUlT_T0_E_clISt17integral_constantIbLb1EES1C_EEDaS17_S18_EUlS17_E_NS1_11comp_targetILNS1_3genE10ELNS1_11target_archE1200ELNS1_3gpuE4ELNS1_3repE0EEENS1_30default_config_static_selectorELNS0_4arch9wavefront6targetE0EEEvT1_.has_recursion, 0
	.set _ZN7rocprim17ROCPRIM_400000_NS6detail17trampoline_kernelINS0_14default_configENS1_25partition_config_selectorILNS1_17partition_subalgoE8ElNS0_10empty_typeEbEEZZNS1_14partition_implILS5_8ELb0ES3_jPlPS6_PKS6_NS0_5tupleIJS9_S6_EEENSD_IJSA_SA_EEENS0_18inequality_wrapperIZN2at6native12_GLOBAL__N_124unique_dim_cuda_templateIdEESt5tupleIJNSH_6TensorESM_SM_EERKSM_lbbbEUlllE0_EEPmJS6_EEE10hipError_tPvRmT3_T4_T5_T6_T7_T9_mT8_P12ihipStream_tbDpT10_ENKUlT_T0_E_clISt17integral_constantIbLb1EES1C_EEDaS17_S18_EUlS17_E_NS1_11comp_targetILNS1_3genE10ELNS1_11target_archE1200ELNS1_3gpuE4ELNS1_3repE0EEENS1_30default_config_static_selectorELNS0_4arch9wavefront6targetE0EEEvT1_.has_indirect_call, 0
	.section	.AMDGPU.csdata,"",@progbits
; Kernel info:
; codeLenInByte = 0
; TotalNumSgprs: 0
; NumVgprs: 0
; ScratchSize: 0
; MemoryBound: 0
; FloatMode: 240
; IeeeMode: 1
; LDSByteSize: 0 bytes/workgroup (compile time only)
; SGPRBlocks: 0
; VGPRBlocks: 0
; NumSGPRsForWavesPerEU: 1
; NumVGPRsForWavesPerEU: 1
; NamedBarCnt: 0
; Occupancy: 16
; WaveLimiterHint : 0
; COMPUTE_PGM_RSRC2:SCRATCH_EN: 0
; COMPUTE_PGM_RSRC2:USER_SGPR: 2
; COMPUTE_PGM_RSRC2:TRAP_HANDLER: 0
; COMPUTE_PGM_RSRC2:TGID_X_EN: 1
; COMPUTE_PGM_RSRC2:TGID_Y_EN: 0
; COMPUTE_PGM_RSRC2:TGID_Z_EN: 0
; COMPUTE_PGM_RSRC2:TIDIG_COMP_CNT: 0
	.section	.text._ZN7rocprim17ROCPRIM_400000_NS6detail17trampoline_kernelINS0_14default_configENS1_25partition_config_selectorILNS1_17partition_subalgoE8ElNS0_10empty_typeEbEEZZNS1_14partition_implILS5_8ELb0ES3_jPlPS6_PKS6_NS0_5tupleIJS9_S6_EEENSD_IJSA_SA_EEENS0_18inequality_wrapperIZN2at6native12_GLOBAL__N_124unique_dim_cuda_templateIdEESt5tupleIJNSH_6TensorESM_SM_EERKSM_lbbbEUlllE0_EEPmJS6_EEE10hipError_tPvRmT3_T4_T5_T6_T7_T9_mT8_P12ihipStream_tbDpT10_ENKUlT_T0_E_clISt17integral_constantIbLb1EES1C_EEDaS17_S18_EUlS17_E_NS1_11comp_targetILNS1_3genE9ELNS1_11target_archE1100ELNS1_3gpuE3ELNS1_3repE0EEENS1_30default_config_static_selectorELNS0_4arch9wavefront6targetE0EEEvT1_,"axG",@progbits,_ZN7rocprim17ROCPRIM_400000_NS6detail17trampoline_kernelINS0_14default_configENS1_25partition_config_selectorILNS1_17partition_subalgoE8ElNS0_10empty_typeEbEEZZNS1_14partition_implILS5_8ELb0ES3_jPlPS6_PKS6_NS0_5tupleIJS9_S6_EEENSD_IJSA_SA_EEENS0_18inequality_wrapperIZN2at6native12_GLOBAL__N_124unique_dim_cuda_templateIdEESt5tupleIJNSH_6TensorESM_SM_EERKSM_lbbbEUlllE0_EEPmJS6_EEE10hipError_tPvRmT3_T4_T5_T6_T7_T9_mT8_P12ihipStream_tbDpT10_ENKUlT_T0_E_clISt17integral_constantIbLb1EES1C_EEDaS17_S18_EUlS17_E_NS1_11comp_targetILNS1_3genE9ELNS1_11target_archE1100ELNS1_3gpuE3ELNS1_3repE0EEENS1_30default_config_static_selectorELNS0_4arch9wavefront6targetE0EEEvT1_,comdat
	.globl	_ZN7rocprim17ROCPRIM_400000_NS6detail17trampoline_kernelINS0_14default_configENS1_25partition_config_selectorILNS1_17partition_subalgoE8ElNS0_10empty_typeEbEEZZNS1_14partition_implILS5_8ELb0ES3_jPlPS6_PKS6_NS0_5tupleIJS9_S6_EEENSD_IJSA_SA_EEENS0_18inequality_wrapperIZN2at6native12_GLOBAL__N_124unique_dim_cuda_templateIdEESt5tupleIJNSH_6TensorESM_SM_EERKSM_lbbbEUlllE0_EEPmJS6_EEE10hipError_tPvRmT3_T4_T5_T6_T7_T9_mT8_P12ihipStream_tbDpT10_ENKUlT_T0_E_clISt17integral_constantIbLb1EES1C_EEDaS17_S18_EUlS17_E_NS1_11comp_targetILNS1_3genE9ELNS1_11target_archE1100ELNS1_3gpuE3ELNS1_3repE0EEENS1_30default_config_static_selectorELNS0_4arch9wavefront6targetE0EEEvT1_ ; -- Begin function _ZN7rocprim17ROCPRIM_400000_NS6detail17trampoline_kernelINS0_14default_configENS1_25partition_config_selectorILNS1_17partition_subalgoE8ElNS0_10empty_typeEbEEZZNS1_14partition_implILS5_8ELb0ES3_jPlPS6_PKS6_NS0_5tupleIJS9_S6_EEENSD_IJSA_SA_EEENS0_18inequality_wrapperIZN2at6native12_GLOBAL__N_124unique_dim_cuda_templateIdEESt5tupleIJNSH_6TensorESM_SM_EERKSM_lbbbEUlllE0_EEPmJS6_EEE10hipError_tPvRmT3_T4_T5_T6_T7_T9_mT8_P12ihipStream_tbDpT10_ENKUlT_T0_E_clISt17integral_constantIbLb1EES1C_EEDaS17_S18_EUlS17_E_NS1_11comp_targetILNS1_3genE9ELNS1_11target_archE1100ELNS1_3gpuE3ELNS1_3repE0EEENS1_30default_config_static_selectorELNS0_4arch9wavefront6targetE0EEEvT1_
	.p2align	8
	.type	_ZN7rocprim17ROCPRIM_400000_NS6detail17trampoline_kernelINS0_14default_configENS1_25partition_config_selectorILNS1_17partition_subalgoE8ElNS0_10empty_typeEbEEZZNS1_14partition_implILS5_8ELb0ES3_jPlPS6_PKS6_NS0_5tupleIJS9_S6_EEENSD_IJSA_SA_EEENS0_18inequality_wrapperIZN2at6native12_GLOBAL__N_124unique_dim_cuda_templateIdEESt5tupleIJNSH_6TensorESM_SM_EERKSM_lbbbEUlllE0_EEPmJS6_EEE10hipError_tPvRmT3_T4_T5_T6_T7_T9_mT8_P12ihipStream_tbDpT10_ENKUlT_T0_E_clISt17integral_constantIbLb1EES1C_EEDaS17_S18_EUlS17_E_NS1_11comp_targetILNS1_3genE9ELNS1_11target_archE1100ELNS1_3gpuE3ELNS1_3repE0EEENS1_30default_config_static_selectorELNS0_4arch9wavefront6targetE0EEEvT1_,@function
_ZN7rocprim17ROCPRIM_400000_NS6detail17trampoline_kernelINS0_14default_configENS1_25partition_config_selectorILNS1_17partition_subalgoE8ElNS0_10empty_typeEbEEZZNS1_14partition_implILS5_8ELb0ES3_jPlPS6_PKS6_NS0_5tupleIJS9_S6_EEENSD_IJSA_SA_EEENS0_18inequality_wrapperIZN2at6native12_GLOBAL__N_124unique_dim_cuda_templateIdEESt5tupleIJNSH_6TensorESM_SM_EERKSM_lbbbEUlllE0_EEPmJS6_EEE10hipError_tPvRmT3_T4_T5_T6_T7_T9_mT8_P12ihipStream_tbDpT10_ENKUlT_T0_E_clISt17integral_constantIbLb1EES1C_EEDaS17_S18_EUlS17_E_NS1_11comp_targetILNS1_3genE9ELNS1_11target_archE1100ELNS1_3gpuE3ELNS1_3repE0EEENS1_30default_config_static_selectorELNS0_4arch9wavefront6targetE0EEEvT1_: ; @_ZN7rocprim17ROCPRIM_400000_NS6detail17trampoline_kernelINS0_14default_configENS1_25partition_config_selectorILNS1_17partition_subalgoE8ElNS0_10empty_typeEbEEZZNS1_14partition_implILS5_8ELb0ES3_jPlPS6_PKS6_NS0_5tupleIJS9_S6_EEENSD_IJSA_SA_EEENS0_18inequality_wrapperIZN2at6native12_GLOBAL__N_124unique_dim_cuda_templateIdEESt5tupleIJNSH_6TensorESM_SM_EERKSM_lbbbEUlllE0_EEPmJS6_EEE10hipError_tPvRmT3_T4_T5_T6_T7_T9_mT8_P12ihipStream_tbDpT10_ENKUlT_T0_E_clISt17integral_constantIbLb1EES1C_EEDaS17_S18_EUlS17_E_NS1_11comp_targetILNS1_3genE9ELNS1_11target_archE1100ELNS1_3gpuE3ELNS1_3repE0EEENS1_30default_config_static_selectorELNS0_4arch9wavefront6targetE0EEEvT1_
; %bb.0:
	.section	.rodata,"a",@progbits
	.p2align	6, 0x0
	.amdhsa_kernel _ZN7rocprim17ROCPRIM_400000_NS6detail17trampoline_kernelINS0_14default_configENS1_25partition_config_selectorILNS1_17partition_subalgoE8ElNS0_10empty_typeEbEEZZNS1_14partition_implILS5_8ELb0ES3_jPlPS6_PKS6_NS0_5tupleIJS9_S6_EEENSD_IJSA_SA_EEENS0_18inequality_wrapperIZN2at6native12_GLOBAL__N_124unique_dim_cuda_templateIdEESt5tupleIJNSH_6TensorESM_SM_EERKSM_lbbbEUlllE0_EEPmJS6_EEE10hipError_tPvRmT3_T4_T5_T6_T7_T9_mT8_P12ihipStream_tbDpT10_ENKUlT_T0_E_clISt17integral_constantIbLb1EES1C_EEDaS17_S18_EUlS17_E_NS1_11comp_targetILNS1_3genE9ELNS1_11target_archE1100ELNS1_3gpuE3ELNS1_3repE0EEENS1_30default_config_static_selectorELNS0_4arch9wavefront6targetE0EEEvT1_
		.amdhsa_group_segment_fixed_size 0
		.amdhsa_private_segment_fixed_size 0
		.amdhsa_kernarg_size 136
		.amdhsa_user_sgpr_count 2
		.amdhsa_user_sgpr_dispatch_ptr 0
		.amdhsa_user_sgpr_queue_ptr 0
		.amdhsa_user_sgpr_kernarg_segment_ptr 1
		.amdhsa_user_sgpr_dispatch_id 0
		.amdhsa_user_sgpr_kernarg_preload_length 0
		.amdhsa_user_sgpr_kernarg_preload_offset 0
		.amdhsa_user_sgpr_private_segment_size 0
		.amdhsa_wavefront_size32 1
		.amdhsa_uses_dynamic_stack 0
		.amdhsa_enable_private_segment 0
		.amdhsa_system_sgpr_workgroup_id_x 1
		.amdhsa_system_sgpr_workgroup_id_y 0
		.amdhsa_system_sgpr_workgroup_id_z 0
		.amdhsa_system_sgpr_workgroup_info 0
		.amdhsa_system_vgpr_workitem_id 0
		.amdhsa_next_free_vgpr 1
		.amdhsa_next_free_sgpr 1
		.amdhsa_named_barrier_count 0
		.amdhsa_reserve_vcc 0
		.amdhsa_float_round_mode_32 0
		.amdhsa_float_round_mode_16_64 0
		.amdhsa_float_denorm_mode_32 3
		.amdhsa_float_denorm_mode_16_64 3
		.amdhsa_fp16_overflow 0
		.amdhsa_memory_ordered 1
		.amdhsa_forward_progress 1
		.amdhsa_inst_pref_size 0
		.amdhsa_round_robin_scheduling 0
		.amdhsa_exception_fp_ieee_invalid_op 0
		.amdhsa_exception_fp_denorm_src 0
		.amdhsa_exception_fp_ieee_div_zero 0
		.amdhsa_exception_fp_ieee_overflow 0
		.amdhsa_exception_fp_ieee_underflow 0
		.amdhsa_exception_fp_ieee_inexact 0
		.amdhsa_exception_int_div_zero 0
	.end_amdhsa_kernel
	.section	.text._ZN7rocprim17ROCPRIM_400000_NS6detail17trampoline_kernelINS0_14default_configENS1_25partition_config_selectorILNS1_17partition_subalgoE8ElNS0_10empty_typeEbEEZZNS1_14partition_implILS5_8ELb0ES3_jPlPS6_PKS6_NS0_5tupleIJS9_S6_EEENSD_IJSA_SA_EEENS0_18inequality_wrapperIZN2at6native12_GLOBAL__N_124unique_dim_cuda_templateIdEESt5tupleIJNSH_6TensorESM_SM_EERKSM_lbbbEUlllE0_EEPmJS6_EEE10hipError_tPvRmT3_T4_T5_T6_T7_T9_mT8_P12ihipStream_tbDpT10_ENKUlT_T0_E_clISt17integral_constantIbLb1EES1C_EEDaS17_S18_EUlS17_E_NS1_11comp_targetILNS1_3genE9ELNS1_11target_archE1100ELNS1_3gpuE3ELNS1_3repE0EEENS1_30default_config_static_selectorELNS0_4arch9wavefront6targetE0EEEvT1_,"axG",@progbits,_ZN7rocprim17ROCPRIM_400000_NS6detail17trampoline_kernelINS0_14default_configENS1_25partition_config_selectorILNS1_17partition_subalgoE8ElNS0_10empty_typeEbEEZZNS1_14partition_implILS5_8ELb0ES3_jPlPS6_PKS6_NS0_5tupleIJS9_S6_EEENSD_IJSA_SA_EEENS0_18inequality_wrapperIZN2at6native12_GLOBAL__N_124unique_dim_cuda_templateIdEESt5tupleIJNSH_6TensorESM_SM_EERKSM_lbbbEUlllE0_EEPmJS6_EEE10hipError_tPvRmT3_T4_T5_T6_T7_T9_mT8_P12ihipStream_tbDpT10_ENKUlT_T0_E_clISt17integral_constantIbLb1EES1C_EEDaS17_S18_EUlS17_E_NS1_11comp_targetILNS1_3genE9ELNS1_11target_archE1100ELNS1_3gpuE3ELNS1_3repE0EEENS1_30default_config_static_selectorELNS0_4arch9wavefront6targetE0EEEvT1_,comdat
.Lfunc_end821:
	.size	_ZN7rocprim17ROCPRIM_400000_NS6detail17trampoline_kernelINS0_14default_configENS1_25partition_config_selectorILNS1_17partition_subalgoE8ElNS0_10empty_typeEbEEZZNS1_14partition_implILS5_8ELb0ES3_jPlPS6_PKS6_NS0_5tupleIJS9_S6_EEENSD_IJSA_SA_EEENS0_18inequality_wrapperIZN2at6native12_GLOBAL__N_124unique_dim_cuda_templateIdEESt5tupleIJNSH_6TensorESM_SM_EERKSM_lbbbEUlllE0_EEPmJS6_EEE10hipError_tPvRmT3_T4_T5_T6_T7_T9_mT8_P12ihipStream_tbDpT10_ENKUlT_T0_E_clISt17integral_constantIbLb1EES1C_EEDaS17_S18_EUlS17_E_NS1_11comp_targetILNS1_3genE9ELNS1_11target_archE1100ELNS1_3gpuE3ELNS1_3repE0EEENS1_30default_config_static_selectorELNS0_4arch9wavefront6targetE0EEEvT1_, .Lfunc_end821-_ZN7rocprim17ROCPRIM_400000_NS6detail17trampoline_kernelINS0_14default_configENS1_25partition_config_selectorILNS1_17partition_subalgoE8ElNS0_10empty_typeEbEEZZNS1_14partition_implILS5_8ELb0ES3_jPlPS6_PKS6_NS0_5tupleIJS9_S6_EEENSD_IJSA_SA_EEENS0_18inequality_wrapperIZN2at6native12_GLOBAL__N_124unique_dim_cuda_templateIdEESt5tupleIJNSH_6TensorESM_SM_EERKSM_lbbbEUlllE0_EEPmJS6_EEE10hipError_tPvRmT3_T4_T5_T6_T7_T9_mT8_P12ihipStream_tbDpT10_ENKUlT_T0_E_clISt17integral_constantIbLb1EES1C_EEDaS17_S18_EUlS17_E_NS1_11comp_targetILNS1_3genE9ELNS1_11target_archE1100ELNS1_3gpuE3ELNS1_3repE0EEENS1_30default_config_static_selectorELNS0_4arch9wavefront6targetE0EEEvT1_
                                        ; -- End function
	.set _ZN7rocprim17ROCPRIM_400000_NS6detail17trampoline_kernelINS0_14default_configENS1_25partition_config_selectorILNS1_17partition_subalgoE8ElNS0_10empty_typeEbEEZZNS1_14partition_implILS5_8ELb0ES3_jPlPS6_PKS6_NS0_5tupleIJS9_S6_EEENSD_IJSA_SA_EEENS0_18inequality_wrapperIZN2at6native12_GLOBAL__N_124unique_dim_cuda_templateIdEESt5tupleIJNSH_6TensorESM_SM_EERKSM_lbbbEUlllE0_EEPmJS6_EEE10hipError_tPvRmT3_T4_T5_T6_T7_T9_mT8_P12ihipStream_tbDpT10_ENKUlT_T0_E_clISt17integral_constantIbLb1EES1C_EEDaS17_S18_EUlS17_E_NS1_11comp_targetILNS1_3genE9ELNS1_11target_archE1100ELNS1_3gpuE3ELNS1_3repE0EEENS1_30default_config_static_selectorELNS0_4arch9wavefront6targetE0EEEvT1_.num_vgpr, 0
	.set _ZN7rocprim17ROCPRIM_400000_NS6detail17trampoline_kernelINS0_14default_configENS1_25partition_config_selectorILNS1_17partition_subalgoE8ElNS0_10empty_typeEbEEZZNS1_14partition_implILS5_8ELb0ES3_jPlPS6_PKS6_NS0_5tupleIJS9_S6_EEENSD_IJSA_SA_EEENS0_18inequality_wrapperIZN2at6native12_GLOBAL__N_124unique_dim_cuda_templateIdEESt5tupleIJNSH_6TensorESM_SM_EERKSM_lbbbEUlllE0_EEPmJS6_EEE10hipError_tPvRmT3_T4_T5_T6_T7_T9_mT8_P12ihipStream_tbDpT10_ENKUlT_T0_E_clISt17integral_constantIbLb1EES1C_EEDaS17_S18_EUlS17_E_NS1_11comp_targetILNS1_3genE9ELNS1_11target_archE1100ELNS1_3gpuE3ELNS1_3repE0EEENS1_30default_config_static_selectorELNS0_4arch9wavefront6targetE0EEEvT1_.num_agpr, 0
	.set _ZN7rocprim17ROCPRIM_400000_NS6detail17trampoline_kernelINS0_14default_configENS1_25partition_config_selectorILNS1_17partition_subalgoE8ElNS0_10empty_typeEbEEZZNS1_14partition_implILS5_8ELb0ES3_jPlPS6_PKS6_NS0_5tupleIJS9_S6_EEENSD_IJSA_SA_EEENS0_18inequality_wrapperIZN2at6native12_GLOBAL__N_124unique_dim_cuda_templateIdEESt5tupleIJNSH_6TensorESM_SM_EERKSM_lbbbEUlllE0_EEPmJS6_EEE10hipError_tPvRmT3_T4_T5_T6_T7_T9_mT8_P12ihipStream_tbDpT10_ENKUlT_T0_E_clISt17integral_constantIbLb1EES1C_EEDaS17_S18_EUlS17_E_NS1_11comp_targetILNS1_3genE9ELNS1_11target_archE1100ELNS1_3gpuE3ELNS1_3repE0EEENS1_30default_config_static_selectorELNS0_4arch9wavefront6targetE0EEEvT1_.numbered_sgpr, 0
	.set _ZN7rocprim17ROCPRIM_400000_NS6detail17trampoline_kernelINS0_14default_configENS1_25partition_config_selectorILNS1_17partition_subalgoE8ElNS0_10empty_typeEbEEZZNS1_14partition_implILS5_8ELb0ES3_jPlPS6_PKS6_NS0_5tupleIJS9_S6_EEENSD_IJSA_SA_EEENS0_18inequality_wrapperIZN2at6native12_GLOBAL__N_124unique_dim_cuda_templateIdEESt5tupleIJNSH_6TensorESM_SM_EERKSM_lbbbEUlllE0_EEPmJS6_EEE10hipError_tPvRmT3_T4_T5_T6_T7_T9_mT8_P12ihipStream_tbDpT10_ENKUlT_T0_E_clISt17integral_constantIbLb1EES1C_EEDaS17_S18_EUlS17_E_NS1_11comp_targetILNS1_3genE9ELNS1_11target_archE1100ELNS1_3gpuE3ELNS1_3repE0EEENS1_30default_config_static_selectorELNS0_4arch9wavefront6targetE0EEEvT1_.num_named_barrier, 0
	.set _ZN7rocprim17ROCPRIM_400000_NS6detail17trampoline_kernelINS0_14default_configENS1_25partition_config_selectorILNS1_17partition_subalgoE8ElNS0_10empty_typeEbEEZZNS1_14partition_implILS5_8ELb0ES3_jPlPS6_PKS6_NS0_5tupleIJS9_S6_EEENSD_IJSA_SA_EEENS0_18inequality_wrapperIZN2at6native12_GLOBAL__N_124unique_dim_cuda_templateIdEESt5tupleIJNSH_6TensorESM_SM_EERKSM_lbbbEUlllE0_EEPmJS6_EEE10hipError_tPvRmT3_T4_T5_T6_T7_T9_mT8_P12ihipStream_tbDpT10_ENKUlT_T0_E_clISt17integral_constantIbLb1EES1C_EEDaS17_S18_EUlS17_E_NS1_11comp_targetILNS1_3genE9ELNS1_11target_archE1100ELNS1_3gpuE3ELNS1_3repE0EEENS1_30default_config_static_selectorELNS0_4arch9wavefront6targetE0EEEvT1_.private_seg_size, 0
	.set _ZN7rocprim17ROCPRIM_400000_NS6detail17trampoline_kernelINS0_14default_configENS1_25partition_config_selectorILNS1_17partition_subalgoE8ElNS0_10empty_typeEbEEZZNS1_14partition_implILS5_8ELb0ES3_jPlPS6_PKS6_NS0_5tupleIJS9_S6_EEENSD_IJSA_SA_EEENS0_18inequality_wrapperIZN2at6native12_GLOBAL__N_124unique_dim_cuda_templateIdEESt5tupleIJNSH_6TensorESM_SM_EERKSM_lbbbEUlllE0_EEPmJS6_EEE10hipError_tPvRmT3_T4_T5_T6_T7_T9_mT8_P12ihipStream_tbDpT10_ENKUlT_T0_E_clISt17integral_constantIbLb1EES1C_EEDaS17_S18_EUlS17_E_NS1_11comp_targetILNS1_3genE9ELNS1_11target_archE1100ELNS1_3gpuE3ELNS1_3repE0EEENS1_30default_config_static_selectorELNS0_4arch9wavefront6targetE0EEEvT1_.uses_vcc, 0
	.set _ZN7rocprim17ROCPRIM_400000_NS6detail17trampoline_kernelINS0_14default_configENS1_25partition_config_selectorILNS1_17partition_subalgoE8ElNS0_10empty_typeEbEEZZNS1_14partition_implILS5_8ELb0ES3_jPlPS6_PKS6_NS0_5tupleIJS9_S6_EEENSD_IJSA_SA_EEENS0_18inequality_wrapperIZN2at6native12_GLOBAL__N_124unique_dim_cuda_templateIdEESt5tupleIJNSH_6TensorESM_SM_EERKSM_lbbbEUlllE0_EEPmJS6_EEE10hipError_tPvRmT3_T4_T5_T6_T7_T9_mT8_P12ihipStream_tbDpT10_ENKUlT_T0_E_clISt17integral_constantIbLb1EES1C_EEDaS17_S18_EUlS17_E_NS1_11comp_targetILNS1_3genE9ELNS1_11target_archE1100ELNS1_3gpuE3ELNS1_3repE0EEENS1_30default_config_static_selectorELNS0_4arch9wavefront6targetE0EEEvT1_.uses_flat_scratch, 0
	.set _ZN7rocprim17ROCPRIM_400000_NS6detail17trampoline_kernelINS0_14default_configENS1_25partition_config_selectorILNS1_17partition_subalgoE8ElNS0_10empty_typeEbEEZZNS1_14partition_implILS5_8ELb0ES3_jPlPS6_PKS6_NS0_5tupleIJS9_S6_EEENSD_IJSA_SA_EEENS0_18inequality_wrapperIZN2at6native12_GLOBAL__N_124unique_dim_cuda_templateIdEESt5tupleIJNSH_6TensorESM_SM_EERKSM_lbbbEUlllE0_EEPmJS6_EEE10hipError_tPvRmT3_T4_T5_T6_T7_T9_mT8_P12ihipStream_tbDpT10_ENKUlT_T0_E_clISt17integral_constantIbLb1EES1C_EEDaS17_S18_EUlS17_E_NS1_11comp_targetILNS1_3genE9ELNS1_11target_archE1100ELNS1_3gpuE3ELNS1_3repE0EEENS1_30default_config_static_selectorELNS0_4arch9wavefront6targetE0EEEvT1_.has_dyn_sized_stack, 0
	.set _ZN7rocprim17ROCPRIM_400000_NS6detail17trampoline_kernelINS0_14default_configENS1_25partition_config_selectorILNS1_17partition_subalgoE8ElNS0_10empty_typeEbEEZZNS1_14partition_implILS5_8ELb0ES3_jPlPS6_PKS6_NS0_5tupleIJS9_S6_EEENSD_IJSA_SA_EEENS0_18inequality_wrapperIZN2at6native12_GLOBAL__N_124unique_dim_cuda_templateIdEESt5tupleIJNSH_6TensorESM_SM_EERKSM_lbbbEUlllE0_EEPmJS6_EEE10hipError_tPvRmT3_T4_T5_T6_T7_T9_mT8_P12ihipStream_tbDpT10_ENKUlT_T0_E_clISt17integral_constantIbLb1EES1C_EEDaS17_S18_EUlS17_E_NS1_11comp_targetILNS1_3genE9ELNS1_11target_archE1100ELNS1_3gpuE3ELNS1_3repE0EEENS1_30default_config_static_selectorELNS0_4arch9wavefront6targetE0EEEvT1_.has_recursion, 0
	.set _ZN7rocprim17ROCPRIM_400000_NS6detail17trampoline_kernelINS0_14default_configENS1_25partition_config_selectorILNS1_17partition_subalgoE8ElNS0_10empty_typeEbEEZZNS1_14partition_implILS5_8ELb0ES3_jPlPS6_PKS6_NS0_5tupleIJS9_S6_EEENSD_IJSA_SA_EEENS0_18inequality_wrapperIZN2at6native12_GLOBAL__N_124unique_dim_cuda_templateIdEESt5tupleIJNSH_6TensorESM_SM_EERKSM_lbbbEUlllE0_EEPmJS6_EEE10hipError_tPvRmT3_T4_T5_T6_T7_T9_mT8_P12ihipStream_tbDpT10_ENKUlT_T0_E_clISt17integral_constantIbLb1EES1C_EEDaS17_S18_EUlS17_E_NS1_11comp_targetILNS1_3genE9ELNS1_11target_archE1100ELNS1_3gpuE3ELNS1_3repE0EEENS1_30default_config_static_selectorELNS0_4arch9wavefront6targetE0EEEvT1_.has_indirect_call, 0
	.section	.AMDGPU.csdata,"",@progbits
; Kernel info:
; codeLenInByte = 0
; TotalNumSgprs: 0
; NumVgprs: 0
; ScratchSize: 0
; MemoryBound: 0
; FloatMode: 240
; IeeeMode: 1
; LDSByteSize: 0 bytes/workgroup (compile time only)
; SGPRBlocks: 0
; VGPRBlocks: 0
; NumSGPRsForWavesPerEU: 1
; NumVGPRsForWavesPerEU: 1
; NamedBarCnt: 0
; Occupancy: 16
; WaveLimiterHint : 0
; COMPUTE_PGM_RSRC2:SCRATCH_EN: 0
; COMPUTE_PGM_RSRC2:USER_SGPR: 2
; COMPUTE_PGM_RSRC2:TRAP_HANDLER: 0
; COMPUTE_PGM_RSRC2:TGID_X_EN: 1
; COMPUTE_PGM_RSRC2:TGID_Y_EN: 0
; COMPUTE_PGM_RSRC2:TGID_Z_EN: 0
; COMPUTE_PGM_RSRC2:TIDIG_COMP_CNT: 0
	.section	.text._ZN7rocprim17ROCPRIM_400000_NS6detail17trampoline_kernelINS0_14default_configENS1_25partition_config_selectorILNS1_17partition_subalgoE8ElNS0_10empty_typeEbEEZZNS1_14partition_implILS5_8ELb0ES3_jPlPS6_PKS6_NS0_5tupleIJS9_S6_EEENSD_IJSA_SA_EEENS0_18inequality_wrapperIZN2at6native12_GLOBAL__N_124unique_dim_cuda_templateIdEESt5tupleIJNSH_6TensorESM_SM_EERKSM_lbbbEUlllE0_EEPmJS6_EEE10hipError_tPvRmT3_T4_T5_T6_T7_T9_mT8_P12ihipStream_tbDpT10_ENKUlT_T0_E_clISt17integral_constantIbLb1EES1C_EEDaS17_S18_EUlS17_E_NS1_11comp_targetILNS1_3genE8ELNS1_11target_archE1030ELNS1_3gpuE2ELNS1_3repE0EEENS1_30default_config_static_selectorELNS0_4arch9wavefront6targetE0EEEvT1_,"axG",@progbits,_ZN7rocprim17ROCPRIM_400000_NS6detail17trampoline_kernelINS0_14default_configENS1_25partition_config_selectorILNS1_17partition_subalgoE8ElNS0_10empty_typeEbEEZZNS1_14partition_implILS5_8ELb0ES3_jPlPS6_PKS6_NS0_5tupleIJS9_S6_EEENSD_IJSA_SA_EEENS0_18inequality_wrapperIZN2at6native12_GLOBAL__N_124unique_dim_cuda_templateIdEESt5tupleIJNSH_6TensorESM_SM_EERKSM_lbbbEUlllE0_EEPmJS6_EEE10hipError_tPvRmT3_T4_T5_T6_T7_T9_mT8_P12ihipStream_tbDpT10_ENKUlT_T0_E_clISt17integral_constantIbLb1EES1C_EEDaS17_S18_EUlS17_E_NS1_11comp_targetILNS1_3genE8ELNS1_11target_archE1030ELNS1_3gpuE2ELNS1_3repE0EEENS1_30default_config_static_selectorELNS0_4arch9wavefront6targetE0EEEvT1_,comdat
	.globl	_ZN7rocprim17ROCPRIM_400000_NS6detail17trampoline_kernelINS0_14default_configENS1_25partition_config_selectorILNS1_17partition_subalgoE8ElNS0_10empty_typeEbEEZZNS1_14partition_implILS5_8ELb0ES3_jPlPS6_PKS6_NS0_5tupleIJS9_S6_EEENSD_IJSA_SA_EEENS0_18inequality_wrapperIZN2at6native12_GLOBAL__N_124unique_dim_cuda_templateIdEESt5tupleIJNSH_6TensorESM_SM_EERKSM_lbbbEUlllE0_EEPmJS6_EEE10hipError_tPvRmT3_T4_T5_T6_T7_T9_mT8_P12ihipStream_tbDpT10_ENKUlT_T0_E_clISt17integral_constantIbLb1EES1C_EEDaS17_S18_EUlS17_E_NS1_11comp_targetILNS1_3genE8ELNS1_11target_archE1030ELNS1_3gpuE2ELNS1_3repE0EEENS1_30default_config_static_selectorELNS0_4arch9wavefront6targetE0EEEvT1_ ; -- Begin function _ZN7rocprim17ROCPRIM_400000_NS6detail17trampoline_kernelINS0_14default_configENS1_25partition_config_selectorILNS1_17partition_subalgoE8ElNS0_10empty_typeEbEEZZNS1_14partition_implILS5_8ELb0ES3_jPlPS6_PKS6_NS0_5tupleIJS9_S6_EEENSD_IJSA_SA_EEENS0_18inequality_wrapperIZN2at6native12_GLOBAL__N_124unique_dim_cuda_templateIdEESt5tupleIJNSH_6TensorESM_SM_EERKSM_lbbbEUlllE0_EEPmJS6_EEE10hipError_tPvRmT3_T4_T5_T6_T7_T9_mT8_P12ihipStream_tbDpT10_ENKUlT_T0_E_clISt17integral_constantIbLb1EES1C_EEDaS17_S18_EUlS17_E_NS1_11comp_targetILNS1_3genE8ELNS1_11target_archE1030ELNS1_3gpuE2ELNS1_3repE0EEENS1_30default_config_static_selectorELNS0_4arch9wavefront6targetE0EEEvT1_
	.p2align	8
	.type	_ZN7rocprim17ROCPRIM_400000_NS6detail17trampoline_kernelINS0_14default_configENS1_25partition_config_selectorILNS1_17partition_subalgoE8ElNS0_10empty_typeEbEEZZNS1_14partition_implILS5_8ELb0ES3_jPlPS6_PKS6_NS0_5tupleIJS9_S6_EEENSD_IJSA_SA_EEENS0_18inequality_wrapperIZN2at6native12_GLOBAL__N_124unique_dim_cuda_templateIdEESt5tupleIJNSH_6TensorESM_SM_EERKSM_lbbbEUlllE0_EEPmJS6_EEE10hipError_tPvRmT3_T4_T5_T6_T7_T9_mT8_P12ihipStream_tbDpT10_ENKUlT_T0_E_clISt17integral_constantIbLb1EES1C_EEDaS17_S18_EUlS17_E_NS1_11comp_targetILNS1_3genE8ELNS1_11target_archE1030ELNS1_3gpuE2ELNS1_3repE0EEENS1_30default_config_static_selectorELNS0_4arch9wavefront6targetE0EEEvT1_,@function
_ZN7rocprim17ROCPRIM_400000_NS6detail17trampoline_kernelINS0_14default_configENS1_25partition_config_selectorILNS1_17partition_subalgoE8ElNS0_10empty_typeEbEEZZNS1_14partition_implILS5_8ELb0ES3_jPlPS6_PKS6_NS0_5tupleIJS9_S6_EEENSD_IJSA_SA_EEENS0_18inequality_wrapperIZN2at6native12_GLOBAL__N_124unique_dim_cuda_templateIdEESt5tupleIJNSH_6TensorESM_SM_EERKSM_lbbbEUlllE0_EEPmJS6_EEE10hipError_tPvRmT3_T4_T5_T6_T7_T9_mT8_P12ihipStream_tbDpT10_ENKUlT_T0_E_clISt17integral_constantIbLb1EES1C_EEDaS17_S18_EUlS17_E_NS1_11comp_targetILNS1_3genE8ELNS1_11target_archE1030ELNS1_3gpuE2ELNS1_3repE0EEENS1_30default_config_static_selectorELNS0_4arch9wavefront6targetE0EEEvT1_: ; @_ZN7rocprim17ROCPRIM_400000_NS6detail17trampoline_kernelINS0_14default_configENS1_25partition_config_selectorILNS1_17partition_subalgoE8ElNS0_10empty_typeEbEEZZNS1_14partition_implILS5_8ELb0ES3_jPlPS6_PKS6_NS0_5tupleIJS9_S6_EEENSD_IJSA_SA_EEENS0_18inequality_wrapperIZN2at6native12_GLOBAL__N_124unique_dim_cuda_templateIdEESt5tupleIJNSH_6TensorESM_SM_EERKSM_lbbbEUlllE0_EEPmJS6_EEE10hipError_tPvRmT3_T4_T5_T6_T7_T9_mT8_P12ihipStream_tbDpT10_ENKUlT_T0_E_clISt17integral_constantIbLb1EES1C_EEDaS17_S18_EUlS17_E_NS1_11comp_targetILNS1_3genE8ELNS1_11target_archE1030ELNS1_3gpuE2ELNS1_3repE0EEENS1_30default_config_static_selectorELNS0_4arch9wavefront6targetE0EEEvT1_
; %bb.0:
	.section	.rodata,"a",@progbits
	.p2align	6, 0x0
	.amdhsa_kernel _ZN7rocprim17ROCPRIM_400000_NS6detail17trampoline_kernelINS0_14default_configENS1_25partition_config_selectorILNS1_17partition_subalgoE8ElNS0_10empty_typeEbEEZZNS1_14partition_implILS5_8ELb0ES3_jPlPS6_PKS6_NS0_5tupleIJS9_S6_EEENSD_IJSA_SA_EEENS0_18inequality_wrapperIZN2at6native12_GLOBAL__N_124unique_dim_cuda_templateIdEESt5tupleIJNSH_6TensorESM_SM_EERKSM_lbbbEUlllE0_EEPmJS6_EEE10hipError_tPvRmT3_T4_T5_T6_T7_T9_mT8_P12ihipStream_tbDpT10_ENKUlT_T0_E_clISt17integral_constantIbLb1EES1C_EEDaS17_S18_EUlS17_E_NS1_11comp_targetILNS1_3genE8ELNS1_11target_archE1030ELNS1_3gpuE2ELNS1_3repE0EEENS1_30default_config_static_selectorELNS0_4arch9wavefront6targetE0EEEvT1_
		.amdhsa_group_segment_fixed_size 0
		.amdhsa_private_segment_fixed_size 0
		.amdhsa_kernarg_size 136
		.amdhsa_user_sgpr_count 2
		.amdhsa_user_sgpr_dispatch_ptr 0
		.amdhsa_user_sgpr_queue_ptr 0
		.amdhsa_user_sgpr_kernarg_segment_ptr 1
		.amdhsa_user_sgpr_dispatch_id 0
		.amdhsa_user_sgpr_kernarg_preload_length 0
		.amdhsa_user_sgpr_kernarg_preload_offset 0
		.amdhsa_user_sgpr_private_segment_size 0
		.amdhsa_wavefront_size32 1
		.amdhsa_uses_dynamic_stack 0
		.amdhsa_enable_private_segment 0
		.amdhsa_system_sgpr_workgroup_id_x 1
		.amdhsa_system_sgpr_workgroup_id_y 0
		.amdhsa_system_sgpr_workgroup_id_z 0
		.amdhsa_system_sgpr_workgroup_info 0
		.amdhsa_system_vgpr_workitem_id 0
		.amdhsa_next_free_vgpr 1
		.amdhsa_next_free_sgpr 1
		.amdhsa_named_barrier_count 0
		.amdhsa_reserve_vcc 0
		.amdhsa_float_round_mode_32 0
		.amdhsa_float_round_mode_16_64 0
		.amdhsa_float_denorm_mode_32 3
		.amdhsa_float_denorm_mode_16_64 3
		.amdhsa_fp16_overflow 0
		.amdhsa_memory_ordered 1
		.amdhsa_forward_progress 1
		.amdhsa_inst_pref_size 0
		.amdhsa_round_robin_scheduling 0
		.amdhsa_exception_fp_ieee_invalid_op 0
		.amdhsa_exception_fp_denorm_src 0
		.amdhsa_exception_fp_ieee_div_zero 0
		.amdhsa_exception_fp_ieee_overflow 0
		.amdhsa_exception_fp_ieee_underflow 0
		.amdhsa_exception_fp_ieee_inexact 0
		.amdhsa_exception_int_div_zero 0
	.end_amdhsa_kernel
	.section	.text._ZN7rocprim17ROCPRIM_400000_NS6detail17trampoline_kernelINS0_14default_configENS1_25partition_config_selectorILNS1_17partition_subalgoE8ElNS0_10empty_typeEbEEZZNS1_14partition_implILS5_8ELb0ES3_jPlPS6_PKS6_NS0_5tupleIJS9_S6_EEENSD_IJSA_SA_EEENS0_18inequality_wrapperIZN2at6native12_GLOBAL__N_124unique_dim_cuda_templateIdEESt5tupleIJNSH_6TensorESM_SM_EERKSM_lbbbEUlllE0_EEPmJS6_EEE10hipError_tPvRmT3_T4_T5_T6_T7_T9_mT8_P12ihipStream_tbDpT10_ENKUlT_T0_E_clISt17integral_constantIbLb1EES1C_EEDaS17_S18_EUlS17_E_NS1_11comp_targetILNS1_3genE8ELNS1_11target_archE1030ELNS1_3gpuE2ELNS1_3repE0EEENS1_30default_config_static_selectorELNS0_4arch9wavefront6targetE0EEEvT1_,"axG",@progbits,_ZN7rocprim17ROCPRIM_400000_NS6detail17trampoline_kernelINS0_14default_configENS1_25partition_config_selectorILNS1_17partition_subalgoE8ElNS0_10empty_typeEbEEZZNS1_14partition_implILS5_8ELb0ES3_jPlPS6_PKS6_NS0_5tupleIJS9_S6_EEENSD_IJSA_SA_EEENS0_18inequality_wrapperIZN2at6native12_GLOBAL__N_124unique_dim_cuda_templateIdEESt5tupleIJNSH_6TensorESM_SM_EERKSM_lbbbEUlllE0_EEPmJS6_EEE10hipError_tPvRmT3_T4_T5_T6_T7_T9_mT8_P12ihipStream_tbDpT10_ENKUlT_T0_E_clISt17integral_constantIbLb1EES1C_EEDaS17_S18_EUlS17_E_NS1_11comp_targetILNS1_3genE8ELNS1_11target_archE1030ELNS1_3gpuE2ELNS1_3repE0EEENS1_30default_config_static_selectorELNS0_4arch9wavefront6targetE0EEEvT1_,comdat
.Lfunc_end822:
	.size	_ZN7rocprim17ROCPRIM_400000_NS6detail17trampoline_kernelINS0_14default_configENS1_25partition_config_selectorILNS1_17partition_subalgoE8ElNS0_10empty_typeEbEEZZNS1_14partition_implILS5_8ELb0ES3_jPlPS6_PKS6_NS0_5tupleIJS9_S6_EEENSD_IJSA_SA_EEENS0_18inequality_wrapperIZN2at6native12_GLOBAL__N_124unique_dim_cuda_templateIdEESt5tupleIJNSH_6TensorESM_SM_EERKSM_lbbbEUlllE0_EEPmJS6_EEE10hipError_tPvRmT3_T4_T5_T6_T7_T9_mT8_P12ihipStream_tbDpT10_ENKUlT_T0_E_clISt17integral_constantIbLb1EES1C_EEDaS17_S18_EUlS17_E_NS1_11comp_targetILNS1_3genE8ELNS1_11target_archE1030ELNS1_3gpuE2ELNS1_3repE0EEENS1_30default_config_static_selectorELNS0_4arch9wavefront6targetE0EEEvT1_, .Lfunc_end822-_ZN7rocprim17ROCPRIM_400000_NS6detail17trampoline_kernelINS0_14default_configENS1_25partition_config_selectorILNS1_17partition_subalgoE8ElNS0_10empty_typeEbEEZZNS1_14partition_implILS5_8ELb0ES3_jPlPS6_PKS6_NS0_5tupleIJS9_S6_EEENSD_IJSA_SA_EEENS0_18inequality_wrapperIZN2at6native12_GLOBAL__N_124unique_dim_cuda_templateIdEESt5tupleIJNSH_6TensorESM_SM_EERKSM_lbbbEUlllE0_EEPmJS6_EEE10hipError_tPvRmT3_T4_T5_T6_T7_T9_mT8_P12ihipStream_tbDpT10_ENKUlT_T0_E_clISt17integral_constantIbLb1EES1C_EEDaS17_S18_EUlS17_E_NS1_11comp_targetILNS1_3genE8ELNS1_11target_archE1030ELNS1_3gpuE2ELNS1_3repE0EEENS1_30default_config_static_selectorELNS0_4arch9wavefront6targetE0EEEvT1_
                                        ; -- End function
	.set _ZN7rocprim17ROCPRIM_400000_NS6detail17trampoline_kernelINS0_14default_configENS1_25partition_config_selectorILNS1_17partition_subalgoE8ElNS0_10empty_typeEbEEZZNS1_14partition_implILS5_8ELb0ES3_jPlPS6_PKS6_NS0_5tupleIJS9_S6_EEENSD_IJSA_SA_EEENS0_18inequality_wrapperIZN2at6native12_GLOBAL__N_124unique_dim_cuda_templateIdEESt5tupleIJNSH_6TensorESM_SM_EERKSM_lbbbEUlllE0_EEPmJS6_EEE10hipError_tPvRmT3_T4_T5_T6_T7_T9_mT8_P12ihipStream_tbDpT10_ENKUlT_T0_E_clISt17integral_constantIbLb1EES1C_EEDaS17_S18_EUlS17_E_NS1_11comp_targetILNS1_3genE8ELNS1_11target_archE1030ELNS1_3gpuE2ELNS1_3repE0EEENS1_30default_config_static_selectorELNS0_4arch9wavefront6targetE0EEEvT1_.num_vgpr, 0
	.set _ZN7rocprim17ROCPRIM_400000_NS6detail17trampoline_kernelINS0_14default_configENS1_25partition_config_selectorILNS1_17partition_subalgoE8ElNS0_10empty_typeEbEEZZNS1_14partition_implILS5_8ELb0ES3_jPlPS6_PKS6_NS0_5tupleIJS9_S6_EEENSD_IJSA_SA_EEENS0_18inequality_wrapperIZN2at6native12_GLOBAL__N_124unique_dim_cuda_templateIdEESt5tupleIJNSH_6TensorESM_SM_EERKSM_lbbbEUlllE0_EEPmJS6_EEE10hipError_tPvRmT3_T4_T5_T6_T7_T9_mT8_P12ihipStream_tbDpT10_ENKUlT_T0_E_clISt17integral_constantIbLb1EES1C_EEDaS17_S18_EUlS17_E_NS1_11comp_targetILNS1_3genE8ELNS1_11target_archE1030ELNS1_3gpuE2ELNS1_3repE0EEENS1_30default_config_static_selectorELNS0_4arch9wavefront6targetE0EEEvT1_.num_agpr, 0
	.set _ZN7rocprim17ROCPRIM_400000_NS6detail17trampoline_kernelINS0_14default_configENS1_25partition_config_selectorILNS1_17partition_subalgoE8ElNS0_10empty_typeEbEEZZNS1_14partition_implILS5_8ELb0ES3_jPlPS6_PKS6_NS0_5tupleIJS9_S6_EEENSD_IJSA_SA_EEENS0_18inequality_wrapperIZN2at6native12_GLOBAL__N_124unique_dim_cuda_templateIdEESt5tupleIJNSH_6TensorESM_SM_EERKSM_lbbbEUlllE0_EEPmJS6_EEE10hipError_tPvRmT3_T4_T5_T6_T7_T9_mT8_P12ihipStream_tbDpT10_ENKUlT_T0_E_clISt17integral_constantIbLb1EES1C_EEDaS17_S18_EUlS17_E_NS1_11comp_targetILNS1_3genE8ELNS1_11target_archE1030ELNS1_3gpuE2ELNS1_3repE0EEENS1_30default_config_static_selectorELNS0_4arch9wavefront6targetE0EEEvT1_.numbered_sgpr, 0
	.set _ZN7rocprim17ROCPRIM_400000_NS6detail17trampoline_kernelINS0_14default_configENS1_25partition_config_selectorILNS1_17partition_subalgoE8ElNS0_10empty_typeEbEEZZNS1_14partition_implILS5_8ELb0ES3_jPlPS6_PKS6_NS0_5tupleIJS9_S6_EEENSD_IJSA_SA_EEENS0_18inequality_wrapperIZN2at6native12_GLOBAL__N_124unique_dim_cuda_templateIdEESt5tupleIJNSH_6TensorESM_SM_EERKSM_lbbbEUlllE0_EEPmJS6_EEE10hipError_tPvRmT3_T4_T5_T6_T7_T9_mT8_P12ihipStream_tbDpT10_ENKUlT_T0_E_clISt17integral_constantIbLb1EES1C_EEDaS17_S18_EUlS17_E_NS1_11comp_targetILNS1_3genE8ELNS1_11target_archE1030ELNS1_3gpuE2ELNS1_3repE0EEENS1_30default_config_static_selectorELNS0_4arch9wavefront6targetE0EEEvT1_.num_named_barrier, 0
	.set _ZN7rocprim17ROCPRIM_400000_NS6detail17trampoline_kernelINS0_14default_configENS1_25partition_config_selectorILNS1_17partition_subalgoE8ElNS0_10empty_typeEbEEZZNS1_14partition_implILS5_8ELb0ES3_jPlPS6_PKS6_NS0_5tupleIJS9_S6_EEENSD_IJSA_SA_EEENS0_18inequality_wrapperIZN2at6native12_GLOBAL__N_124unique_dim_cuda_templateIdEESt5tupleIJNSH_6TensorESM_SM_EERKSM_lbbbEUlllE0_EEPmJS6_EEE10hipError_tPvRmT3_T4_T5_T6_T7_T9_mT8_P12ihipStream_tbDpT10_ENKUlT_T0_E_clISt17integral_constantIbLb1EES1C_EEDaS17_S18_EUlS17_E_NS1_11comp_targetILNS1_3genE8ELNS1_11target_archE1030ELNS1_3gpuE2ELNS1_3repE0EEENS1_30default_config_static_selectorELNS0_4arch9wavefront6targetE0EEEvT1_.private_seg_size, 0
	.set _ZN7rocprim17ROCPRIM_400000_NS6detail17trampoline_kernelINS0_14default_configENS1_25partition_config_selectorILNS1_17partition_subalgoE8ElNS0_10empty_typeEbEEZZNS1_14partition_implILS5_8ELb0ES3_jPlPS6_PKS6_NS0_5tupleIJS9_S6_EEENSD_IJSA_SA_EEENS0_18inequality_wrapperIZN2at6native12_GLOBAL__N_124unique_dim_cuda_templateIdEESt5tupleIJNSH_6TensorESM_SM_EERKSM_lbbbEUlllE0_EEPmJS6_EEE10hipError_tPvRmT3_T4_T5_T6_T7_T9_mT8_P12ihipStream_tbDpT10_ENKUlT_T0_E_clISt17integral_constantIbLb1EES1C_EEDaS17_S18_EUlS17_E_NS1_11comp_targetILNS1_3genE8ELNS1_11target_archE1030ELNS1_3gpuE2ELNS1_3repE0EEENS1_30default_config_static_selectorELNS0_4arch9wavefront6targetE0EEEvT1_.uses_vcc, 0
	.set _ZN7rocprim17ROCPRIM_400000_NS6detail17trampoline_kernelINS0_14default_configENS1_25partition_config_selectorILNS1_17partition_subalgoE8ElNS0_10empty_typeEbEEZZNS1_14partition_implILS5_8ELb0ES3_jPlPS6_PKS6_NS0_5tupleIJS9_S6_EEENSD_IJSA_SA_EEENS0_18inequality_wrapperIZN2at6native12_GLOBAL__N_124unique_dim_cuda_templateIdEESt5tupleIJNSH_6TensorESM_SM_EERKSM_lbbbEUlllE0_EEPmJS6_EEE10hipError_tPvRmT3_T4_T5_T6_T7_T9_mT8_P12ihipStream_tbDpT10_ENKUlT_T0_E_clISt17integral_constantIbLb1EES1C_EEDaS17_S18_EUlS17_E_NS1_11comp_targetILNS1_3genE8ELNS1_11target_archE1030ELNS1_3gpuE2ELNS1_3repE0EEENS1_30default_config_static_selectorELNS0_4arch9wavefront6targetE0EEEvT1_.uses_flat_scratch, 0
	.set _ZN7rocprim17ROCPRIM_400000_NS6detail17trampoline_kernelINS0_14default_configENS1_25partition_config_selectorILNS1_17partition_subalgoE8ElNS0_10empty_typeEbEEZZNS1_14partition_implILS5_8ELb0ES3_jPlPS6_PKS6_NS0_5tupleIJS9_S6_EEENSD_IJSA_SA_EEENS0_18inequality_wrapperIZN2at6native12_GLOBAL__N_124unique_dim_cuda_templateIdEESt5tupleIJNSH_6TensorESM_SM_EERKSM_lbbbEUlllE0_EEPmJS6_EEE10hipError_tPvRmT3_T4_T5_T6_T7_T9_mT8_P12ihipStream_tbDpT10_ENKUlT_T0_E_clISt17integral_constantIbLb1EES1C_EEDaS17_S18_EUlS17_E_NS1_11comp_targetILNS1_3genE8ELNS1_11target_archE1030ELNS1_3gpuE2ELNS1_3repE0EEENS1_30default_config_static_selectorELNS0_4arch9wavefront6targetE0EEEvT1_.has_dyn_sized_stack, 0
	.set _ZN7rocprim17ROCPRIM_400000_NS6detail17trampoline_kernelINS0_14default_configENS1_25partition_config_selectorILNS1_17partition_subalgoE8ElNS0_10empty_typeEbEEZZNS1_14partition_implILS5_8ELb0ES3_jPlPS6_PKS6_NS0_5tupleIJS9_S6_EEENSD_IJSA_SA_EEENS0_18inequality_wrapperIZN2at6native12_GLOBAL__N_124unique_dim_cuda_templateIdEESt5tupleIJNSH_6TensorESM_SM_EERKSM_lbbbEUlllE0_EEPmJS6_EEE10hipError_tPvRmT3_T4_T5_T6_T7_T9_mT8_P12ihipStream_tbDpT10_ENKUlT_T0_E_clISt17integral_constantIbLb1EES1C_EEDaS17_S18_EUlS17_E_NS1_11comp_targetILNS1_3genE8ELNS1_11target_archE1030ELNS1_3gpuE2ELNS1_3repE0EEENS1_30default_config_static_selectorELNS0_4arch9wavefront6targetE0EEEvT1_.has_recursion, 0
	.set _ZN7rocprim17ROCPRIM_400000_NS6detail17trampoline_kernelINS0_14default_configENS1_25partition_config_selectorILNS1_17partition_subalgoE8ElNS0_10empty_typeEbEEZZNS1_14partition_implILS5_8ELb0ES3_jPlPS6_PKS6_NS0_5tupleIJS9_S6_EEENSD_IJSA_SA_EEENS0_18inequality_wrapperIZN2at6native12_GLOBAL__N_124unique_dim_cuda_templateIdEESt5tupleIJNSH_6TensorESM_SM_EERKSM_lbbbEUlllE0_EEPmJS6_EEE10hipError_tPvRmT3_T4_T5_T6_T7_T9_mT8_P12ihipStream_tbDpT10_ENKUlT_T0_E_clISt17integral_constantIbLb1EES1C_EEDaS17_S18_EUlS17_E_NS1_11comp_targetILNS1_3genE8ELNS1_11target_archE1030ELNS1_3gpuE2ELNS1_3repE0EEENS1_30default_config_static_selectorELNS0_4arch9wavefront6targetE0EEEvT1_.has_indirect_call, 0
	.section	.AMDGPU.csdata,"",@progbits
; Kernel info:
; codeLenInByte = 0
; TotalNumSgprs: 0
; NumVgprs: 0
; ScratchSize: 0
; MemoryBound: 0
; FloatMode: 240
; IeeeMode: 1
; LDSByteSize: 0 bytes/workgroup (compile time only)
; SGPRBlocks: 0
; VGPRBlocks: 0
; NumSGPRsForWavesPerEU: 1
; NumVGPRsForWavesPerEU: 1
; NamedBarCnt: 0
; Occupancy: 16
; WaveLimiterHint : 0
; COMPUTE_PGM_RSRC2:SCRATCH_EN: 0
; COMPUTE_PGM_RSRC2:USER_SGPR: 2
; COMPUTE_PGM_RSRC2:TRAP_HANDLER: 0
; COMPUTE_PGM_RSRC2:TGID_X_EN: 1
; COMPUTE_PGM_RSRC2:TGID_Y_EN: 0
; COMPUTE_PGM_RSRC2:TGID_Z_EN: 0
; COMPUTE_PGM_RSRC2:TIDIG_COMP_CNT: 0
	.section	.text._ZN7rocprim17ROCPRIM_400000_NS6detail17trampoline_kernelINS0_14default_configENS1_25partition_config_selectorILNS1_17partition_subalgoE8ElNS0_10empty_typeEbEEZZNS1_14partition_implILS5_8ELb0ES3_jPlPS6_PKS6_NS0_5tupleIJS9_S6_EEENSD_IJSA_SA_EEENS0_18inequality_wrapperIZN2at6native12_GLOBAL__N_124unique_dim_cuda_templateIdEESt5tupleIJNSH_6TensorESM_SM_EERKSM_lbbbEUlllE0_EEPmJS6_EEE10hipError_tPvRmT3_T4_T5_T6_T7_T9_mT8_P12ihipStream_tbDpT10_ENKUlT_T0_E_clISt17integral_constantIbLb1EES1B_IbLb0EEEEDaS17_S18_EUlS17_E_NS1_11comp_targetILNS1_3genE0ELNS1_11target_archE4294967295ELNS1_3gpuE0ELNS1_3repE0EEENS1_30default_config_static_selectorELNS0_4arch9wavefront6targetE0EEEvT1_,"axG",@progbits,_ZN7rocprim17ROCPRIM_400000_NS6detail17trampoline_kernelINS0_14default_configENS1_25partition_config_selectorILNS1_17partition_subalgoE8ElNS0_10empty_typeEbEEZZNS1_14partition_implILS5_8ELb0ES3_jPlPS6_PKS6_NS0_5tupleIJS9_S6_EEENSD_IJSA_SA_EEENS0_18inequality_wrapperIZN2at6native12_GLOBAL__N_124unique_dim_cuda_templateIdEESt5tupleIJNSH_6TensorESM_SM_EERKSM_lbbbEUlllE0_EEPmJS6_EEE10hipError_tPvRmT3_T4_T5_T6_T7_T9_mT8_P12ihipStream_tbDpT10_ENKUlT_T0_E_clISt17integral_constantIbLb1EES1B_IbLb0EEEEDaS17_S18_EUlS17_E_NS1_11comp_targetILNS1_3genE0ELNS1_11target_archE4294967295ELNS1_3gpuE0ELNS1_3repE0EEENS1_30default_config_static_selectorELNS0_4arch9wavefront6targetE0EEEvT1_,comdat
	.globl	_ZN7rocprim17ROCPRIM_400000_NS6detail17trampoline_kernelINS0_14default_configENS1_25partition_config_selectorILNS1_17partition_subalgoE8ElNS0_10empty_typeEbEEZZNS1_14partition_implILS5_8ELb0ES3_jPlPS6_PKS6_NS0_5tupleIJS9_S6_EEENSD_IJSA_SA_EEENS0_18inequality_wrapperIZN2at6native12_GLOBAL__N_124unique_dim_cuda_templateIdEESt5tupleIJNSH_6TensorESM_SM_EERKSM_lbbbEUlllE0_EEPmJS6_EEE10hipError_tPvRmT3_T4_T5_T6_T7_T9_mT8_P12ihipStream_tbDpT10_ENKUlT_T0_E_clISt17integral_constantIbLb1EES1B_IbLb0EEEEDaS17_S18_EUlS17_E_NS1_11comp_targetILNS1_3genE0ELNS1_11target_archE4294967295ELNS1_3gpuE0ELNS1_3repE0EEENS1_30default_config_static_selectorELNS0_4arch9wavefront6targetE0EEEvT1_ ; -- Begin function _ZN7rocprim17ROCPRIM_400000_NS6detail17trampoline_kernelINS0_14default_configENS1_25partition_config_selectorILNS1_17partition_subalgoE8ElNS0_10empty_typeEbEEZZNS1_14partition_implILS5_8ELb0ES3_jPlPS6_PKS6_NS0_5tupleIJS9_S6_EEENSD_IJSA_SA_EEENS0_18inequality_wrapperIZN2at6native12_GLOBAL__N_124unique_dim_cuda_templateIdEESt5tupleIJNSH_6TensorESM_SM_EERKSM_lbbbEUlllE0_EEPmJS6_EEE10hipError_tPvRmT3_T4_T5_T6_T7_T9_mT8_P12ihipStream_tbDpT10_ENKUlT_T0_E_clISt17integral_constantIbLb1EES1B_IbLb0EEEEDaS17_S18_EUlS17_E_NS1_11comp_targetILNS1_3genE0ELNS1_11target_archE4294967295ELNS1_3gpuE0ELNS1_3repE0EEENS1_30default_config_static_selectorELNS0_4arch9wavefront6targetE0EEEvT1_
	.p2align	8
	.type	_ZN7rocprim17ROCPRIM_400000_NS6detail17trampoline_kernelINS0_14default_configENS1_25partition_config_selectorILNS1_17partition_subalgoE8ElNS0_10empty_typeEbEEZZNS1_14partition_implILS5_8ELb0ES3_jPlPS6_PKS6_NS0_5tupleIJS9_S6_EEENSD_IJSA_SA_EEENS0_18inequality_wrapperIZN2at6native12_GLOBAL__N_124unique_dim_cuda_templateIdEESt5tupleIJNSH_6TensorESM_SM_EERKSM_lbbbEUlllE0_EEPmJS6_EEE10hipError_tPvRmT3_T4_T5_T6_T7_T9_mT8_P12ihipStream_tbDpT10_ENKUlT_T0_E_clISt17integral_constantIbLb1EES1B_IbLb0EEEEDaS17_S18_EUlS17_E_NS1_11comp_targetILNS1_3genE0ELNS1_11target_archE4294967295ELNS1_3gpuE0ELNS1_3repE0EEENS1_30default_config_static_selectorELNS0_4arch9wavefront6targetE0EEEvT1_,@function
_ZN7rocprim17ROCPRIM_400000_NS6detail17trampoline_kernelINS0_14default_configENS1_25partition_config_selectorILNS1_17partition_subalgoE8ElNS0_10empty_typeEbEEZZNS1_14partition_implILS5_8ELb0ES3_jPlPS6_PKS6_NS0_5tupleIJS9_S6_EEENSD_IJSA_SA_EEENS0_18inequality_wrapperIZN2at6native12_GLOBAL__N_124unique_dim_cuda_templateIdEESt5tupleIJNSH_6TensorESM_SM_EERKSM_lbbbEUlllE0_EEPmJS6_EEE10hipError_tPvRmT3_T4_T5_T6_T7_T9_mT8_P12ihipStream_tbDpT10_ENKUlT_T0_E_clISt17integral_constantIbLb1EES1B_IbLb0EEEEDaS17_S18_EUlS17_E_NS1_11comp_targetILNS1_3genE0ELNS1_11target_archE4294967295ELNS1_3gpuE0ELNS1_3repE0EEENS1_30default_config_static_selectorELNS0_4arch9wavefront6targetE0EEEvT1_: ; @_ZN7rocprim17ROCPRIM_400000_NS6detail17trampoline_kernelINS0_14default_configENS1_25partition_config_selectorILNS1_17partition_subalgoE8ElNS0_10empty_typeEbEEZZNS1_14partition_implILS5_8ELb0ES3_jPlPS6_PKS6_NS0_5tupleIJS9_S6_EEENSD_IJSA_SA_EEENS0_18inequality_wrapperIZN2at6native12_GLOBAL__N_124unique_dim_cuda_templateIdEESt5tupleIJNSH_6TensorESM_SM_EERKSM_lbbbEUlllE0_EEPmJS6_EEE10hipError_tPvRmT3_T4_T5_T6_T7_T9_mT8_P12ihipStream_tbDpT10_ENKUlT_T0_E_clISt17integral_constantIbLb1EES1B_IbLb0EEEEDaS17_S18_EUlS17_E_NS1_11comp_targetILNS1_3genE0ELNS1_11target_archE4294967295ELNS1_3gpuE0ELNS1_3repE0EEENS1_30default_config_static_selectorELNS0_4arch9wavefront6targetE0EEEvT1_
; %bb.0:
	s_endpgm
	.section	.rodata,"a",@progbits
	.p2align	6, 0x0
	.amdhsa_kernel _ZN7rocprim17ROCPRIM_400000_NS6detail17trampoline_kernelINS0_14default_configENS1_25partition_config_selectorILNS1_17partition_subalgoE8ElNS0_10empty_typeEbEEZZNS1_14partition_implILS5_8ELb0ES3_jPlPS6_PKS6_NS0_5tupleIJS9_S6_EEENSD_IJSA_SA_EEENS0_18inequality_wrapperIZN2at6native12_GLOBAL__N_124unique_dim_cuda_templateIdEESt5tupleIJNSH_6TensorESM_SM_EERKSM_lbbbEUlllE0_EEPmJS6_EEE10hipError_tPvRmT3_T4_T5_T6_T7_T9_mT8_P12ihipStream_tbDpT10_ENKUlT_T0_E_clISt17integral_constantIbLb1EES1B_IbLb0EEEEDaS17_S18_EUlS17_E_NS1_11comp_targetILNS1_3genE0ELNS1_11target_archE4294967295ELNS1_3gpuE0ELNS1_3repE0EEENS1_30default_config_static_selectorELNS0_4arch9wavefront6targetE0EEEvT1_
		.amdhsa_group_segment_fixed_size 0
		.amdhsa_private_segment_fixed_size 0
		.amdhsa_kernarg_size 120
		.amdhsa_user_sgpr_count 2
		.amdhsa_user_sgpr_dispatch_ptr 0
		.amdhsa_user_sgpr_queue_ptr 0
		.amdhsa_user_sgpr_kernarg_segment_ptr 1
		.amdhsa_user_sgpr_dispatch_id 0
		.amdhsa_user_sgpr_kernarg_preload_length 0
		.amdhsa_user_sgpr_kernarg_preload_offset 0
		.amdhsa_user_sgpr_private_segment_size 0
		.amdhsa_wavefront_size32 1
		.amdhsa_uses_dynamic_stack 0
		.amdhsa_enable_private_segment 0
		.amdhsa_system_sgpr_workgroup_id_x 1
		.amdhsa_system_sgpr_workgroup_id_y 0
		.amdhsa_system_sgpr_workgroup_id_z 0
		.amdhsa_system_sgpr_workgroup_info 0
		.amdhsa_system_vgpr_workitem_id 0
		.amdhsa_next_free_vgpr 1
		.amdhsa_next_free_sgpr 1
		.amdhsa_named_barrier_count 0
		.amdhsa_reserve_vcc 0
		.amdhsa_float_round_mode_32 0
		.amdhsa_float_round_mode_16_64 0
		.amdhsa_float_denorm_mode_32 3
		.amdhsa_float_denorm_mode_16_64 3
		.amdhsa_fp16_overflow 0
		.amdhsa_memory_ordered 1
		.amdhsa_forward_progress 1
		.amdhsa_inst_pref_size 1
		.amdhsa_round_robin_scheduling 0
		.amdhsa_exception_fp_ieee_invalid_op 0
		.amdhsa_exception_fp_denorm_src 0
		.amdhsa_exception_fp_ieee_div_zero 0
		.amdhsa_exception_fp_ieee_overflow 0
		.amdhsa_exception_fp_ieee_underflow 0
		.amdhsa_exception_fp_ieee_inexact 0
		.amdhsa_exception_int_div_zero 0
	.end_amdhsa_kernel
	.section	.text._ZN7rocprim17ROCPRIM_400000_NS6detail17trampoline_kernelINS0_14default_configENS1_25partition_config_selectorILNS1_17partition_subalgoE8ElNS0_10empty_typeEbEEZZNS1_14partition_implILS5_8ELb0ES3_jPlPS6_PKS6_NS0_5tupleIJS9_S6_EEENSD_IJSA_SA_EEENS0_18inequality_wrapperIZN2at6native12_GLOBAL__N_124unique_dim_cuda_templateIdEESt5tupleIJNSH_6TensorESM_SM_EERKSM_lbbbEUlllE0_EEPmJS6_EEE10hipError_tPvRmT3_T4_T5_T6_T7_T9_mT8_P12ihipStream_tbDpT10_ENKUlT_T0_E_clISt17integral_constantIbLb1EES1B_IbLb0EEEEDaS17_S18_EUlS17_E_NS1_11comp_targetILNS1_3genE0ELNS1_11target_archE4294967295ELNS1_3gpuE0ELNS1_3repE0EEENS1_30default_config_static_selectorELNS0_4arch9wavefront6targetE0EEEvT1_,"axG",@progbits,_ZN7rocprim17ROCPRIM_400000_NS6detail17trampoline_kernelINS0_14default_configENS1_25partition_config_selectorILNS1_17partition_subalgoE8ElNS0_10empty_typeEbEEZZNS1_14partition_implILS5_8ELb0ES3_jPlPS6_PKS6_NS0_5tupleIJS9_S6_EEENSD_IJSA_SA_EEENS0_18inequality_wrapperIZN2at6native12_GLOBAL__N_124unique_dim_cuda_templateIdEESt5tupleIJNSH_6TensorESM_SM_EERKSM_lbbbEUlllE0_EEPmJS6_EEE10hipError_tPvRmT3_T4_T5_T6_T7_T9_mT8_P12ihipStream_tbDpT10_ENKUlT_T0_E_clISt17integral_constantIbLb1EES1B_IbLb0EEEEDaS17_S18_EUlS17_E_NS1_11comp_targetILNS1_3genE0ELNS1_11target_archE4294967295ELNS1_3gpuE0ELNS1_3repE0EEENS1_30default_config_static_selectorELNS0_4arch9wavefront6targetE0EEEvT1_,comdat
.Lfunc_end823:
	.size	_ZN7rocprim17ROCPRIM_400000_NS6detail17trampoline_kernelINS0_14default_configENS1_25partition_config_selectorILNS1_17partition_subalgoE8ElNS0_10empty_typeEbEEZZNS1_14partition_implILS5_8ELb0ES3_jPlPS6_PKS6_NS0_5tupleIJS9_S6_EEENSD_IJSA_SA_EEENS0_18inequality_wrapperIZN2at6native12_GLOBAL__N_124unique_dim_cuda_templateIdEESt5tupleIJNSH_6TensorESM_SM_EERKSM_lbbbEUlllE0_EEPmJS6_EEE10hipError_tPvRmT3_T4_T5_T6_T7_T9_mT8_P12ihipStream_tbDpT10_ENKUlT_T0_E_clISt17integral_constantIbLb1EES1B_IbLb0EEEEDaS17_S18_EUlS17_E_NS1_11comp_targetILNS1_3genE0ELNS1_11target_archE4294967295ELNS1_3gpuE0ELNS1_3repE0EEENS1_30default_config_static_selectorELNS0_4arch9wavefront6targetE0EEEvT1_, .Lfunc_end823-_ZN7rocprim17ROCPRIM_400000_NS6detail17trampoline_kernelINS0_14default_configENS1_25partition_config_selectorILNS1_17partition_subalgoE8ElNS0_10empty_typeEbEEZZNS1_14partition_implILS5_8ELb0ES3_jPlPS6_PKS6_NS0_5tupleIJS9_S6_EEENSD_IJSA_SA_EEENS0_18inequality_wrapperIZN2at6native12_GLOBAL__N_124unique_dim_cuda_templateIdEESt5tupleIJNSH_6TensorESM_SM_EERKSM_lbbbEUlllE0_EEPmJS6_EEE10hipError_tPvRmT3_T4_T5_T6_T7_T9_mT8_P12ihipStream_tbDpT10_ENKUlT_T0_E_clISt17integral_constantIbLb1EES1B_IbLb0EEEEDaS17_S18_EUlS17_E_NS1_11comp_targetILNS1_3genE0ELNS1_11target_archE4294967295ELNS1_3gpuE0ELNS1_3repE0EEENS1_30default_config_static_selectorELNS0_4arch9wavefront6targetE0EEEvT1_
                                        ; -- End function
	.set _ZN7rocprim17ROCPRIM_400000_NS6detail17trampoline_kernelINS0_14default_configENS1_25partition_config_selectorILNS1_17partition_subalgoE8ElNS0_10empty_typeEbEEZZNS1_14partition_implILS5_8ELb0ES3_jPlPS6_PKS6_NS0_5tupleIJS9_S6_EEENSD_IJSA_SA_EEENS0_18inequality_wrapperIZN2at6native12_GLOBAL__N_124unique_dim_cuda_templateIdEESt5tupleIJNSH_6TensorESM_SM_EERKSM_lbbbEUlllE0_EEPmJS6_EEE10hipError_tPvRmT3_T4_T5_T6_T7_T9_mT8_P12ihipStream_tbDpT10_ENKUlT_T0_E_clISt17integral_constantIbLb1EES1B_IbLb0EEEEDaS17_S18_EUlS17_E_NS1_11comp_targetILNS1_3genE0ELNS1_11target_archE4294967295ELNS1_3gpuE0ELNS1_3repE0EEENS1_30default_config_static_selectorELNS0_4arch9wavefront6targetE0EEEvT1_.num_vgpr, 0
	.set _ZN7rocprim17ROCPRIM_400000_NS6detail17trampoline_kernelINS0_14default_configENS1_25partition_config_selectorILNS1_17partition_subalgoE8ElNS0_10empty_typeEbEEZZNS1_14partition_implILS5_8ELb0ES3_jPlPS6_PKS6_NS0_5tupleIJS9_S6_EEENSD_IJSA_SA_EEENS0_18inequality_wrapperIZN2at6native12_GLOBAL__N_124unique_dim_cuda_templateIdEESt5tupleIJNSH_6TensorESM_SM_EERKSM_lbbbEUlllE0_EEPmJS6_EEE10hipError_tPvRmT3_T4_T5_T6_T7_T9_mT8_P12ihipStream_tbDpT10_ENKUlT_T0_E_clISt17integral_constantIbLb1EES1B_IbLb0EEEEDaS17_S18_EUlS17_E_NS1_11comp_targetILNS1_3genE0ELNS1_11target_archE4294967295ELNS1_3gpuE0ELNS1_3repE0EEENS1_30default_config_static_selectorELNS0_4arch9wavefront6targetE0EEEvT1_.num_agpr, 0
	.set _ZN7rocprim17ROCPRIM_400000_NS6detail17trampoline_kernelINS0_14default_configENS1_25partition_config_selectorILNS1_17partition_subalgoE8ElNS0_10empty_typeEbEEZZNS1_14partition_implILS5_8ELb0ES3_jPlPS6_PKS6_NS0_5tupleIJS9_S6_EEENSD_IJSA_SA_EEENS0_18inequality_wrapperIZN2at6native12_GLOBAL__N_124unique_dim_cuda_templateIdEESt5tupleIJNSH_6TensorESM_SM_EERKSM_lbbbEUlllE0_EEPmJS6_EEE10hipError_tPvRmT3_T4_T5_T6_T7_T9_mT8_P12ihipStream_tbDpT10_ENKUlT_T0_E_clISt17integral_constantIbLb1EES1B_IbLb0EEEEDaS17_S18_EUlS17_E_NS1_11comp_targetILNS1_3genE0ELNS1_11target_archE4294967295ELNS1_3gpuE0ELNS1_3repE0EEENS1_30default_config_static_selectorELNS0_4arch9wavefront6targetE0EEEvT1_.numbered_sgpr, 0
	.set _ZN7rocprim17ROCPRIM_400000_NS6detail17trampoline_kernelINS0_14default_configENS1_25partition_config_selectorILNS1_17partition_subalgoE8ElNS0_10empty_typeEbEEZZNS1_14partition_implILS5_8ELb0ES3_jPlPS6_PKS6_NS0_5tupleIJS9_S6_EEENSD_IJSA_SA_EEENS0_18inequality_wrapperIZN2at6native12_GLOBAL__N_124unique_dim_cuda_templateIdEESt5tupleIJNSH_6TensorESM_SM_EERKSM_lbbbEUlllE0_EEPmJS6_EEE10hipError_tPvRmT3_T4_T5_T6_T7_T9_mT8_P12ihipStream_tbDpT10_ENKUlT_T0_E_clISt17integral_constantIbLb1EES1B_IbLb0EEEEDaS17_S18_EUlS17_E_NS1_11comp_targetILNS1_3genE0ELNS1_11target_archE4294967295ELNS1_3gpuE0ELNS1_3repE0EEENS1_30default_config_static_selectorELNS0_4arch9wavefront6targetE0EEEvT1_.num_named_barrier, 0
	.set _ZN7rocprim17ROCPRIM_400000_NS6detail17trampoline_kernelINS0_14default_configENS1_25partition_config_selectorILNS1_17partition_subalgoE8ElNS0_10empty_typeEbEEZZNS1_14partition_implILS5_8ELb0ES3_jPlPS6_PKS6_NS0_5tupleIJS9_S6_EEENSD_IJSA_SA_EEENS0_18inequality_wrapperIZN2at6native12_GLOBAL__N_124unique_dim_cuda_templateIdEESt5tupleIJNSH_6TensorESM_SM_EERKSM_lbbbEUlllE0_EEPmJS6_EEE10hipError_tPvRmT3_T4_T5_T6_T7_T9_mT8_P12ihipStream_tbDpT10_ENKUlT_T0_E_clISt17integral_constantIbLb1EES1B_IbLb0EEEEDaS17_S18_EUlS17_E_NS1_11comp_targetILNS1_3genE0ELNS1_11target_archE4294967295ELNS1_3gpuE0ELNS1_3repE0EEENS1_30default_config_static_selectorELNS0_4arch9wavefront6targetE0EEEvT1_.private_seg_size, 0
	.set _ZN7rocprim17ROCPRIM_400000_NS6detail17trampoline_kernelINS0_14default_configENS1_25partition_config_selectorILNS1_17partition_subalgoE8ElNS0_10empty_typeEbEEZZNS1_14partition_implILS5_8ELb0ES3_jPlPS6_PKS6_NS0_5tupleIJS9_S6_EEENSD_IJSA_SA_EEENS0_18inequality_wrapperIZN2at6native12_GLOBAL__N_124unique_dim_cuda_templateIdEESt5tupleIJNSH_6TensorESM_SM_EERKSM_lbbbEUlllE0_EEPmJS6_EEE10hipError_tPvRmT3_T4_T5_T6_T7_T9_mT8_P12ihipStream_tbDpT10_ENKUlT_T0_E_clISt17integral_constantIbLb1EES1B_IbLb0EEEEDaS17_S18_EUlS17_E_NS1_11comp_targetILNS1_3genE0ELNS1_11target_archE4294967295ELNS1_3gpuE0ELNS1_3repE0EEENS1_30default_config_static_selectorELNS0_4arch9wavefront6targetE0EEEvT1_.uses_vcc, 0
	.set _ZN7rocprim17ROCPRIM_400000_NS6detail17trampoline_kernelINS0_14default_configENS1_25partition_config_selectorILNS1_17partition_subalgoE8ElNS0_10empty_typeEbEEZZNS1_14partition_implILS5_8ELb0ES3_jPlPS6_PKS6_NS0_5tupleIJS9_S6_EEENSD_IJSA_SA_EEENS0_18inequality_wrapperIZN2at6native12_GLOBAL__N_124unique_dim_cuda_templateIdEESt5tupleIJNSH_6TensorESM_SM_EERKSM_lbbbEUlllE0_EEPmJS6_EEE10hipError_tPvRmT3_T4_T5_T6_T7_T9_mT8_P12ihipStream_tbDpT10_ENKUlT_T0_E_clISt17integral_constantIbLb1EES1B_IbLb0EEEEDaS17_S18_EUlS17_E_NS1_11comp_targetILNS1_3genE0ELNS1_11target_archE4294967295ELNS1_3gpuE0ELNS1_3repE0EEENS1_30default_config_static_selectorELNS0_4arch9wavefront6targetE0EEEvT1_.uses_flat_scratch, 0
	.set _ZN7rocprim17ROCPRIM_400000_NS6detail17trampoline_kernelINS0_14default_configENS1_25partition_config_selectorILNS1_17partition_subalgoE8ElNS0_10empty_typeEbEEZZNS1_14partition_implILS5_8ELb0ES3_jPlPS6_PKS6_NS0_5tupleIJS9_S6_EEENSD_IJSA_SA_EEENS0_18inequality_wrapperIZN2at6native12_GLOBAL__N_124unique_dim_cuda_templateIdEESt5tupleIJNSH_6TensorESM_SM_EERKSM_lbbbEUlllE0_EEPmJS6_EEE10hipError_tPvRmT3_T4_T5_T6_T7_T9_mT8_P12ihipStream_tbDpT10_ENKUlT_T0_E_clISt17integral_constantIbLb1EES1B_IbLb0EEEEDaS17_S18_EUlS17_E_NS1_11comp_targetILNS1_3genE0ELNS1_11target_archE4294967295ELNS1_3gpuE0ELNS1_3repE0EEENS1_30default_config_static_selectorELNS0_4arch9wavefront6targetE0EEEvT1_.has_dyn_sized_stack, 0
	.set _ZN7rocprim17ROCPRIM_400000_NS6detail17trampoline_kernelINS0_14default_configENS1_25partition_config_selectorILNS1_17partition_subalgoE8ElNS0_10empty_typeEbEEZZNS1_14partition_implILS5_8ELb0ES3_jPlPS6_PKS6_NS0_5tupleIJS9_S6_EEENSD_IJSA_SA_EEENS0_18inequality_wrapperIZN2at6native12_GLOBAL__N_124unique_dim_cuda_templateIdEESt5tupleIJNSH_6TensorESM_SM_EERKSM_lbbbEUlllE0_EEPmJS6_EEE10hipError_tPvRmT3_T4_T5_T6_T7_T9_mT8_P12ihipStream_tbDpT10_ENKUlT_T0_E_clISt17integral_constantIbLb1EES1B_IbLb0EEEEDaS17_S18_EUlS17_E_NS1_11comp_targetILNS1_3genE0ELNS1_11target_archE4294967295ELNS1_3gpuE0ELNS1_3repE0EEENS1_30default_config_static_selectorELNS0_4arch9wavefront6targetE0EEEvT1_.has_recursion, 0
	.set _ZN7rocprim17ROCPRIM_400000_NS6detail17trampoline_kernelINS0_14default_configENS1_25partition_config_selectorILNS1_17partition_subalgoE8ElNS0_10empty_typeEbEEZZNS1_14partition_implILS5_8ELb0ES3_jPlPS6_PKS6_NS0_5tupleIJS9_S6_EEENSD_IJSA_SA_EEENS0_18inequality_wrapperIZN2at6native12_GLOBAL__N_124unique_dim_cuda_templateIdEESt5tupleIJNSH_6TensorESM_SM_EERKSM_lbbbEUlllE0_EEPmJS6_EEE10hipError_tPvRmT3_T4_T5_T6_T7_T9_mT8_P12ihipStream_tbDpT10_ENKUlT_T0_E_clISt17integral_constantIbLb1EES1B_IbLb0EEEEDaS17_S18_EUlS17_E_NS1_11comp_targetILNS1_3genE0ELNS1_11target_archE4294967295ELNS1_3gpuE0ELNS1_3repE0EEENS1_30default_config_static_selectorELNS0_4arch9wavefront6targetE0EEEvT1_.has_indirect_call, 0
	.section	.AMDGPU.csdata,"",@progbits
; Kernel info:
; codeLenInByte = 4
; TotalNumSgprs: 0
; NumVgprs: 0
; ScratchSize: 0
; MemoryBound: 0
; FloatMode: 240
; IeeeMode: 1
; LDSByteSize: 0 bytes/workgroup (compile time only)
; SGPRBlocks: 0
; VGPRBlocks: 0
; NumSGPRsForWavesPerEU: 1
; NumVGPRsForWavesPerEU: 1
; NamedBarCnt: 0
; Occupancy: 16
; WaveLimiterHint : 0
; COMPUTE_PGM_RSRC2:SCRATCH_EN: 0
; COMPUTE_PGM_RSRC2:USER_SGPR: 2
; COMPUTE_PGM_RSRC2:TRAP_HANDLER: 0
; COMPUTE_PGM_RSRC2:TGID_X_EN: 1
; COMPUTE_PGM_RSRC2:TGID_Y_EN: 0
; COMPUTE_PGM_RSRC2:TGID_Z_EN: 0
; COMPUTE_PGM_RSRC2:TIDIG_COMP_CNT: 0
	.section	.text._ZN7rocprim17ROCPRIM_400000_NS6detail17trampoline_kernelINS0_14default_configENS1_25partition_config_selectorILNS1_17partition_subalgoE8ElNS0_10empty_typeEbEEZZNS1_14partition_implILS5_8ELb0ES3_jPlPS6_PKS6_NS0_5tupleIJS9_S6_EEENSD_IJSA_SA_EEENS0_18inequality_wrapperIZN2at6native12_GLOBAL__N_124unique_dim_cuda_templateIdEESt5tupleIJNSH_6TensorESM_SM_EERKSM_lbbbEUlllE0_EEPmJS6_EEE10hipError_tPvRmT3_T4_T5_T6_T7_T9_mT8_P12ihipStream_tbDpT10_ENKUlT_T0_E_clISt17integral_constantIbLb1EES1B_IbLb0EEEEDaS17_S18_EUlS17_E_NS1_11comp_targetILNS1_3genE5ELNS1_11target_archE942ELNS1_3gpuE9ELNS1_3repE0EEENS1_30default_config_static_selectorELNS0_4arch9wavefront6targetE0EEEvT1_,"axG",@progbits,_ZN7rocprim17ROCPRIM_400000_NS6detail17trampoline_kernelINS0_14default_configENS1_25partition_config_selectorILNS1_17partition_subalgoE8ElNS0_10empty_typeEbEEZZNS1_14partition_implILS5_8ELb0ES3_jPlPS6_PKS6_NS0_5tupleIJS9_S6_EEENSD_IJSA_SA_EEENS0_18inequality_wrapperIZN2at6native12_GLOBAL__N_124unique_dim_cuda_templateIdEESt5tupleIJNSH_6TensorESM_SM_EERKSM_lbbbEUlllE0_EEPmJS6_EEE10hipError_tPvRmT3_T4_T5_T6_T7_T9_mT8_P12ihipStream_tbDpT10_ENKUlT_T0_E_clISt17integral_constantIbLb1EES1B_IbLb0EEEEDaS17_S18_EUlS17_E_NS1_11comp_targetILNS1_3genE5ELNS1_11target_archE942ELNS1_3gpuE9ELNS1_3repE0EEENS1_30default_config_static_selectorELNS0_4arch9wavefront6targetE0EEEvT1_,comdat
	.globl	_ZN7rocprim17ROCPRIM_400000_NS6detail17trampoline_kernelINS0_14default_configENS1_25partition_config_selectorILNS1_17partition_subalgoE8ElNS0_10empty_typeEbEEZZNS1_14partition_implILS5_8ELb0ES3_jPlPS6_PKS6_NS0_5tupleIJS9_S6_EEENSD_IJSA_SA_EEENS0_18inequality_wrapperIZN2at6native12_GLOBAL__N_124unique_dim_cuda_templateIdEESt5tupleIJNSH_6TensorESM_SM_EERKSM_lbbbEUlllE0_EEPmJS6_EEE10hipError_tPvRmT3_T4_T5_T6_T7_T9_mT8_P12ihipStream_tbDpT10_ENKUlT_T0_E_clISt17integral_constantIbLb1EES1B_IbLb0EEEEDaS17_S18_EUlS17_E_NS1_11comp_targetILNS1_3genE5ELNS1_11target_archE942ELNS1_3gpuE9ELNS1_3repE0EEENS1_30default_config_static_selectorELNS0_4arch9wavefront6targetE0EEEvT1_ ; -- Begin function _ZN7rocprim17ROCPRIM_400000_NS6detail17trampoline_kernelINS0_14default_configENS1_25partition_config_selectorILNS1_17partition_subalgoE8ElNS0_10empty_typeEbEEZZNS1_14partition_implILS5_8ELb0ES3_jPlPS6_PKS6_NS0_5tupleIJS9_S6_EEENSD_IJSA_SA_EEENS0_18inequality_wrapperIZN2at6native12_GLOBAL__N_124unique_dim_cuda_templateIdEESt5tupleIJNSH_6TensorESM_SM_EERKSM_lbbbEUlllE0_EEPmJS6_EEE10hipError_tPvRmT3_T4_T5_T6_T7_T9_mT8_P12ihipStream_tbDpT10_ENKUlT_T0_E_clISt17integral_constantIbLb1EES1B_IbLb0EEEEDaS17_S18_EUlS17_E_NS1_11comp_targetILNS1_3genE5ELNS1_11target_archE942ELNS1_3gpuE9ELNS1_3repE0EEENS1_30default_config_static_selectorELNS0_4arch9wavefront6targetE0EEEvT1_
	.p2align	8
	.type	_ZN7rocprim17ROCPRIM_400000_NS6detail17trampoline_kernelINS0_14default_configENS1_25partition_config_selectorILNS1_17partition_subalgoE8ElNS0_10empty_typeEbEEZZNS1_14partition_implILS5_8ELb0ES3_jPlPS6_PKS6_NS0_5tupleIJS9_S6_EEENSD_IJSA_SA_EEENS0_18inequality_wrapperIZN2at6native12_GLOBAL__N_124unique_dim_cuda_templateIdEESt5tupleIJNSH_6TensorESM_SM_EERKSM_lbbbEUlllE0_EEPmJS6_EEE10hipError_tPvRmT3_T4_T5_T6_T7_T9_mT8_P12ihipStream_tbDpT10_ENKUlT_T0_E_clISt17integral_constantIbLb1EES1B_IbLb0EEEEDaS17_S18_EUlS17_E_NS1_11comp_targetILNS1_3genE5ELNS1_11target_archE942ELNS1_3gpuE9ELNS1_3repE0EEENS1_30default_config_static_selectorELNS0_4arch9wavefront6targetE0EEEvT1_,@function
_ZN7rocprim17ROCPRIM_400000_NS6detail17trampoline_kernelINS0_14default_configENS1_25partition_config_selectorILNS1_17partition_subalgoE8ElNS0_10empty_typeEbEEZZNS1_14partition_implILS5_8ELb0ES3_jPlPS6_PKS6_NS0_5tupleIJS9_S6_EEENSD_IJSA_SA_EEENS0_18inequality_wrapperIZN2at6native12_GLOBAL__N_124unique_dim_cuda_templateIdEESt5tupleIJNSH_6TensorESM_SM_EERKSM_lbbbEUlllE0_EEPmJS6_EEE10hipError_tPvRmT3_T4_T5_T6_T7_T9_mT8_P12ihipStream_tbDpT10_ENKUlT_T0_E_clISt17integral_constantIbLb1EES1B_IbLb0EEEEDaS17_S18_EUlS17_E_NS1_11comp_targetILNS1_3genE5ELNS1_11target_archE942ELNS1_3gpuE9ELNS1_3repE0EEENS1_30default_config_static_selectorELNS0_4arch9wavefront6targetE0EEEvT1_: ; @_ZN7rocprim17ROCPRIM_400000_NS6detail17trampoline_kernelINS0_14default_configENS1_25partition_config_selectorILNS1_17partition_subalgoE8ElNS0_10empty_typeEbEEZZNS1_14partition_implILS5_8ELb0ES3_jPlPS6_PKS6_NS0_5tupleIJS9_S6_EEENSD_IJSA_SA_EEENS0_18inequality_wrapperIZN2at6native12_GLOBAL__N_124unique_dim_cuda_templateIdEESt5tupleIJNSH_6TensorESM_SM_EERKSM_lbbbEUlllE0_EEPmJS6_EEE10hipError_tPvRmT3_T4_T5_T6_T7_T9_mT8_P12ihipStream_tbDpT10_ENKUlT_T0_E_clISt17integral_constantIbLb1EES1B_IbLb0EEEEDaS17_S18_EUlS17_E_NS1_11comp_targetILNS1_3genE5ELNS1_11target_archE942ELNS1_3gpuE9ELNS1_3repE0EEENS1_30default_config_static_selectorELNS0_4arch9wavefront6targetE0EEEvT1_
; %bb.0:
	.section	.rodata,"a",@progbits
	.p2align	6, 0x0
	.amdhsa_kernel _ZN7rocprim17ROCPRIM_400000_NS6detail17trampoline_kernelINS0_14default_configENS1_25partition_config_selectorILNS1_17partition_subalgoE8ElNS0_10empty_typeEbEEZZNS1_14partition_implILS5_8ELb0ES3_jPlPS6_PKS6_NS0_5tupleIJS9_S6_EEENSD_IJSA_SA_EEENS0_18inequality_wrapperIZN2at6native12_GLOBAL__N_124unique_dim_cuda_templateIdEESt5tupleIJNSH_6TensorESM_SM_EERKSM_lbbbEUlllE0_EEPmJS6_EEE10hipError_tPvRmT3_T4_T5_T6_T7_T9_mT8_P12ihipStream_tbDpT10_ENKUlT_T0_E_clISt17integral_constantIbLb1EES1B_IbLb0EEEEDaS17_S18_EUlS17_E_NS1_11comp_targetILNS1_3genE5ELNS1_11target_archE942ELNS1_3gpuE9ELNS1_3repE0EEENS1_30default_config_static_selectorELNS0_4arch9wavefront6targetE0EEEvT1_
		.amdhsa_group_segment_fixed_size 0
		.amdhsa_private_segment_fixed_size 0
		.amdhsa_kernarg_size 120
		.amdhsa_user_sgpr_count 2
		.amdhsa_user_sgpr_dispatch_ptr 0
		.amdhsa_user_sgpr_queue_ptr 0
		.amdhsa_user_sgpr_kernarg_segment_ptr 1
		.amdhsa_user_sgpr_dispatch_id 0
		.amdhsa_user_sgpr_kernarg_preload_length 0
		.amdhsa_user_sgpr_kernarg_preload_offset 0
		.amdhsa_user_sgpr_private_segment_size 0
		.amdhsa_wavefront_size32 1
		.amdhsa_uses_dynamic_stack 0
		.amdhsa_enable_private_segment 0
		.amdhsa_system_sgpr_workgroup_id_x 1
		.amdhsa_system_sgpr_workgroup_id_y 0
		.amdhsa_system_sgpr_workgroup_id_z 0
		.amdhsa_system_sgpr_workgroup_info 0
		.amdhsa_system_vgpr_workitem_id 0
		.amdhsa_next_free_vgpr 1
		.amdhsa_next_free_sgpr 1
		.amdhsa_named_barrier_count 0
		.amdhsa_reserve_vcc 0
		.amdhsa_float_round_mode_32 0
		.amdhsa_float_round_mode_16_64 0
		.amdhsa_float_denorm_mode_32 3
		.amdhsa_float_denorm_mode_16_64 3
		.amdhsa_fp16_overflow 0
		.amdhsa_memory_ordered 1
		.amdhsa_forward_progress 1
		.amdhsa_inst_pref_size 0
		.amdhsa_round_robin_scheduling 0
		.amdhsa_exception_fp_ieee_invalid_op 0
		.amdhsa_exception_fp_denorm_src 0
		.amdhsa_exception_fp_ieee_div_zero 0
		.amdhsa_exception_fp_ieee_overflow 0
		.amdhsa_exception_fp_ieee_underflow 0
		.amdhsa_exception_fp_ieee_inexact 0
		.amdhsa_exception_int_div_zero 0
	.end_amdhsa_kernel
	.section	.text._ZN7rocprim17ROCPRIM_400000_NS6detail17trampoline_kernelINS0_14default_configENS1_25partition_config_selectorILNS1_17partition_subalgoE8ElNS0_10empty_typeEbEEZZNS1_14partition_implILS5_8ELb0ES3_jPlPS6_PKS6_NS0_5tupleIJS9_S6_EEENSD_IJSA_SA_EEENS0_18inequality_wrapperIZN2at6native12_GLOBAL__N_124unique_dim_cuda_templateIdEESt5tupleIJNSH_6TensorESM_SM_EERKSM_lbbbEUlllE0_EEPmJS6_EEE10hipError_tPvRmT3_T4_T5_T6_T7_T9_mT8_P12ihipStream_tbDpT10_ENKUlT_T0_E_clISt17integral_constantIbLb1EES1B_IbLb0EEEEDaS17_S18_EUlS17_E_NS1_11comp_targetILNS1_3genE5ELNS1_11target_archE942ELNS1_3gpuE9ELNS1_3repE0EEENS1_30default_config_static_selectorELNS0_4arch9wavefront6targetE0EEEvT1_,"axG",@progbits,_ZN7rocprim17ROCPRIM_400000_NS6detail17trampoline_kernelINS0_14default_configENS1_25partition_config_selectorILNS1_17partition_subalgoE8ElNS0_10empty_typeEbEEZZNS1_14partition_implILS5_8ELb0ES3_jPlPS6_PKS6_NS0_5tupleIJS9_S6_EEENSD_IJSA_SA_EEENS0_18inequality_wrapperIZN2at6native12_GLOBAL__N_124unique_dim_cuda_templateIdEESt5tupleIJNSH_6TensorESM_SM_EERKSM_lbbbEUlllE0_EEPmJS6_EEE10hipError_tPvRmT3_T4_T5_T6_T7_T9_mT8_P12ihipStream_tbDpT10_ENKUlT_T0_E_clISt17integral_constantIbLb1EES1B_IbLb0EEEEDaS17_S18_EUlS17_E_NS1_11comp_targetILNS1_3genE5ELNS1_11target_archE942ELNS1_3gpuE9ELNS1_3repE0EEENS1_30default_config_static_selectorELNS0_4arch9wavefront6targetE0EEEvT1_,comdat
.Lfunc_end824:
	.size	_ZN7rocprim17ROCPRIM_400000_NS6detail17trampoline_kernelINS0_14default_configENS1_25partition_config_selectorILNS1_17partition_subalgoE8ElNS0_10empty_typeEbEEZZNS1_14partition_implILS5_8ELb0ES3_jPlPS6_PKS6_NS0_5tupleIJS9_S6_EEENSD_IJSA_SA_EEENS0_18inequality_wrapperIZN2at6native12_GLOBAL__N_124unique_dim_cuda_templateIdEESt5tupleIJNSH_6TensorESM_SM_EERKSM_lbbbEUlllE0_EEPmJS6_EEE10hipError_tPvRmT3_T4_T5_T6_T7_T9_mT8_P12ihipStream_tbDpT10_ENKUlT_T0_E_clISt17integral_constantIbLb1EES1B_IbLb0EEEEDaS17_S18_EUlS17_E_NS1_11comp_targetILNS1_3genE5ELNS1_11target_archE942ELNS1_3gpuE9ELNS1_3repE0EEENS1_30default_config_static_selectorELNS0_4arch9wavefront6targetE0EEEvT1_, .Lfunc_end824-_ZN7rocprim17ROCPRIM_400000_NS6detail17trampoline_kernelINS0_14default_configENS1_25partition_config_selectorILNS1_17partition_subalgoE8ElNS0_10empty_typeEbEEZZNS1_14partition_implILS5_8ELb0ES3_jPlPS6_PKS6_NS0_5tupleIJS9_S6_EEENSD_IJSA_SA_EEENS0_18inequality_wrapperIZN2at6native12_GLOBAL__N_124unique_dim_cuda_templateIdEESt5tupleIJNSH_6TensorESM_SM_EERKSM_lbbbEUlllE0_EEPmJS6_EEE10hipError_tPvRmT3_T4_T5_T6_T7_T9_mT8_P12ihipStream_tbDpT10_ENKUlT_T0_E_clISt17integral_constantIbLb1EES1B_IbLb0EEEEDaS17_S18_EUlS17_E_NS1_11comp_targetILNS1_3genE5ELNS1_11target_archE942ELNS1_3gpuE9ELNS1_3repE0EEENS1_30default_config_static_selectorELNS0_4arch9wavefront6targetE0EEEvT1_
                                        ; -- End function
	.set _ZN7rocprim17ROCPRIM_400000_NS6detail17trampoline_kernelINS0_14default_configENS1_25partition_config_selectorILNS1_17partition_subalgoE8ElNS0_10empty_typeEbEEZZNS1_14partition_implILS5_8ELb0ES3_jPlPS6_PKS6_NS0_5tupleIJS9_S6_EEENSD_IJSA_SA_EEENS0_18inequality_wrapperIZN2at6native12_GLOBAL__N_124unique_dim_cuda_templateIdEESt5tupleIJNSH_6TensorESM_SM_EERKSM_lbbbEUlllE0_EEPmJS6_EEE10hipError_tPvRmT3_T4_T5_T6_T7_T9_mT8_P12ihipStream_tbDpT10_ENKUlT_T0_E_clISt17integral_constantIbLb1EES1B_IbLb0EEEEDaS17_S18_EUlS17_E_NS1_11comp_targetILNS1_3genE5ELNS1_11target_archE942ELNS1_3gpuE9ELNS1_3repE0EEENS1_30default_config_static_selectorELNS0_4arch9wavefront6targetE0EEEvT1_.num_vgpr, 0
	.set _ZN7rocprim17ROCPRIM_400000_NS6detail17trampoline_kernelINS0_14default_configENS1_25partition_config_selectorILNS1_17partition_subalgoE8ElNS0_10empty_typeEbEEZZNS1_14partition_implILS5_8ELb0ES3_jPlPS6_PKS6_NS0_5tupleIJS9_S6_EEENSD_IJSA_SA_EEENS0_18inequality_wrapperIZN2at6native12_GLOBAL__N_124unique_dim_cuda_templateIdEESt5tupleIJNSH_6TensorESM_SM_EERKSM_lbbbEUlllE0_EEPmJS6_EEE10hipError_tPvRmT3_T4_T5_T6_T7_T9_mT8_P12ihipStream_tbDpT10_ENKUlT_T0_E_clISt17integral_constantIbLb1EES1B_IbLb0EEEEDaS17_S18_EUlS17_E_NS1_11comp_targetILNS1_3genE5ELNS1_11target_archE942ELNS1_3gpuE9ELNS1_3repE0EEENS1_30default_config_static_selectorELNS0_4arch9wavefront6targetE0EEEvT1_.num_agpr, 0
	.set _ZN7rocprim17ROCPRIM_400000_NS6detail17trampoline_kernelINS0_14default_configENS1_25partition_config_selectorILNS1_17partition_subalgoE8ElNS0_10empty_typeEbEEZZNS1_14partition_implILS5_8ELb0ES3_jPlPS6_PKS6_NS0_5tupleIJS9_S6_EEENSD_IJSA_SA_EEENS0_18inequality_wrapperIZN2at6native12_GLOBAL__N_124unique_dim_cuda_templateIdEESt5tupleIJNSH_6TensorESM_SM_EERKSM_lbbbEUlllE0_EEPmJS6_EEE10hipError_tPvRmT3_T4_T5_T6_T7_T9_mT8_P12ihipStream_tbDpT10_ENKUlT_T0_E_clISt17integral_constantIbLb1EES1B_IbLb0EEEEDaS17_S18_EUlS17_E_NS1_11comp_targetILNS1_3genE5ELNS1_11target_archE942ELNS1_3gpuE9ELNS1_3repE0EEENS1_30default_config_static_selectorELNS0_4arch9wavefront6targetE0EEEvT1_.numbered_sgpr, 0
	.set _ZN7rocprim17ROCPRIM_400000_NS6detail17trampoline_kernelINS0_14default_configENS1_25partition_config_selectorILNS1_17partition_subalgoE8ElNS0_10empty_typeEbEEZZNS1_14partition_implILS5_8ELb0ES3_jPlPS6_PKS6_NS0_5tupleIJS9_S6_EEENSD_IJSA_SA_EEENS0_18inequality_wrapperIZN2at6native12_GLOBAL__N_124unique_dim_cuda_templateIdEESt5tupleIJNSH_6TensorESM_SM_EERKSM_lbbbEUlllE0_EEPmJS6_EEE10hipError_tPvRmT3_T4_T5_T6_T7_T9_mT8_P12ihipStream_tbDpT10_ENKUlT_T0_E_clISt17integral_constantIbLb1EES1B_IbLb0EEEEDaS17_S18_EUlS17_E_NS1_11comp_targetILNS1_3genE5ELNS1_11target_archE942ELNS1_3gpuE9ELNS1_3repE0EEENS1_30default_config_static_selectorELNS0_4arch9wavefront6targetE0EEEvT1_.num_named_barrier, 0
	.set _ZN7rocprim17ROCPRIM_400000_NS6detail17trampoline_kernelINS0_14default_configENS1_25partition_config_selectorILNS1_17partition_subalgoE8ElNS0_10empty_typeEbEEZZNS1_14partition_implILS5_8ELb0ES3_jPlPS6_PKS6_NS0_5tupleIJS9_S6_EEENSD_IJSA_SA_EEENS0_18inequality_wrapperIZN2at6native12_GLOBAL__N_124unique_dim_cuda_templateIdEESt5tupleIJNSH_6TensorESM_SM_EERKSM_lbbbEUlllE0_EEPmJS6_EEE10hipError_tPvRmT3_T4_T5_T6_T7_T9_mT8_P12ihipStream_tbDpT10_ENKUlT_T0_E_clISt17integral_constantIbLb1EES1B_IbLb0EEEEDaS17_S18_EUlS17_E_NS1_11comp_targetILNS1_3genE5ELNS1_11target_archE942ELNS1_3gpuE9ELNS1_3repE0EEENS1_30default_config_static_selectorELNS0_4arch9wavefront6targetE0EEEvT1_.private_seg_size, 0
	.set _ZN7rocprim17ROCPRIM_400000_NS6detail17trampoline_kernelINS0_14default_configENS1_25partition_config_selectorILNS1_17partition_subalgoE8ElNS0_10empty_typeEbEEZZNS1_14partition_implILS5_8ELb0ES3_jPlPS6_PKS6_NS0_5tupleIJS9_S6_EEENSD_IJSA_SA_EEENS0_18inequality_wrapperIZN2at6native12_GLOBAL__N_124unique_dim_cuda_templateIdEESt5tupleIJNSH_6TensorESM_SM_EERKSM_lbbbEUlllE0_EEPmJS6_EEE10hipError_tPvRmT3_T4_T5_T6_T7_T9_mT8_P12ihipStream_tbDpT10_ENKUlT_T0_E_clISt17integral_constantIbLb1EES1B_IbLb0EEEEDaS17_S18_EUlS17_E_NS1_11comp_targetILNS1_3genE5ELNS1_11target_archE942ELNS1_3gpuE9ELNS1_3repE0EEENS1_30default_config_static_selectorELNS0_4arch9wavefront6targetE0EEEvT1_.uses_vcc, 0
	.set _ZN7rocprim17ROCPRIM_400000_NS6detail17trampoline_kernelINS0_14default_configENS1_25partition_config_selectorILNS1_17partition_subalgoE8ElNS0_10empty_typeEbEEZZNS1_14partition_implILS5_8ELb0ES3_jPlPS6_PKS6_NS0_5tupleIJS9_S6_EEENSD_IJSA_SA_EEENS0_18inequality_wrapperIZN2at6native12_GLOBAL__N_124unique_dim_cuda_templateIdEESt5tupleIJNSH_6TensorESM_SM_EERKSM_lbbbEUlllE0_EEPmJS6_EEE10hipError_tPvRmT3_T4_T5_T6_T7_T9_mT8_P12ihipStream_tbDpT10_ENKUlT_T0_E_clISt17integral_constantIbLb1EES1B_IbLb0EEEEDaS17_S18_EUlS17_E_NS1_11comp_targetILNS1_3genE5ELNS1_11target_archE942ELNS1_3gpuE9ELNS1_3repE0EEENS1_30default_config_static_selectorELNS0_4arch9wavefront6targetE0EEEvT1_.uses_flat_scratch, 0
	.set _ZN7rocprim17ROCPRIM_400000_NS6detail17trampoline_kernelINS0_14default_configENS1_25partition_config_selectorILNS1_17partition_subalgoE8ElNS0_10empty_typeEbEEZZNS1_14partition_implILS5_8ELb0ES3_jPlPS6_PKS6_NS0_5tupleIJS9_S6_EEENSD_IJSA_SA_EEENS0_18inequality_wrapperIZN2at6native12_GLOBAL__N_124unique_dim_cuda_templateIdEESt5tupleIJNSH_6TensorESM_SM_EERKSM_lbbbEUlllE0_EEPmJS6_EEE10hipError_tPvRmT3_T4_T5_T6_T7_T9_mT8_P12ihipStream_tbDpT10_ENKUlT_T0_E_clISt17integral_constantIbLb1EES1B_IbLb0EEEEDaS17_S18_EUlS17_E_NS1_11comp_targetILNS1_3genE5ELNS1_11target_archE942ELNS1_3gpuE9ELNS1_3repE0EEENS1_30default_config_static_selectorELNS0_4arch9wavefront6targetE0EEEvT1_.has_dyn_sized_stack, 0
	.set _ZN7rocprim17ROCPRIM_400000_NS6detail17trampoline_kernelINS0_14default_configENS1_25partition_config_selectorILNS1_17partition_subalgoE8ElNS0_10empty_typeEbEEZZNS1_14partition_implILS5_8ELb0ES3_jPlPS6_PKS6_NS0_5tupleIJS9_S6_EEENSD_IJSA_SA_EEENS0_18inequality_wrapperIZN2at6native12_GLOBAL__N_124unique_dim_cuda_templateIdEESt5tupleIJNSH_6TensorESM_SM_EERKSM_lbbbEUlllE0_EEPmJS6_EEE10hipError_tPvRmT3_T4_T5_T6_T7_T9_mT8_P12ihipStream_tbDpT10_ENKUlT_T0_E_clISt17integral_constantIbLb1EES1B_IbLb0EEEEDaS17_S18_EUlS17_E_NS1_11comp_targetILNS1_3genE5ELNS1_11target_archE942ELNS1_3gpuE9ELNS1_3repE0EEENS1_30default_config_static_selectorELNS0_4arch9wavefront6targetE0EEEvT1_.has_recursion, 0
	.set _ZN7rocprim17ROCPRIM_400000_NS6detail17trampoline_kernelINS0_14default_configENS1_25partition_config_selectorILNS1_17partition_subalgoE8ElNS0_10empty_typeEbEEZZNS1_14partition_implILS5_8ELb0ES3_jPlPS6_PKS6_NS0_5tupleIJS9_S6_EEENSD_IJSA_SA_EEENS0_18inequality_wrapperIZN2at6native12_GLOBAL__N_124unique_dim_cuda_templateIdEESt5tupleIJNSH_6TensorESM_SM_EERKSM_lbbbEUlllE0_EEPmJS6_EEE10hipError_tPvRmT3_T4_T5_T6_T7_T9_mT8_P12ihipStream_tbDpT10_ENKUlT_T0_E_clISt17integral_constantIbLb1EES1B_IbLb0EEEEDaS17_S18_EUlS17_E_NS1_11comp_targetILNS1_3genE5ELNS1_11target_archE942ELNS1_3gpuE9ELNS1_3repE0EEENS1_30default_config_static_selectorELNS0_4arch9wavefront6targetE0EEEvT1_.has_indirect_call, 0
	.section	.AMDGPU.csdata,"",@progbits
; Kernel info:
; codeLenInByte = 0
; TotalNumSgprs: 0
; NumVgprs: 0
; ScratchSize: 0
; MemoryBound: 0
; FloatMode: 240
; IeeeMode: 1
; LDSByteSize: 0 bytes/workgroup (compile time only)
; SGPRBlocks: 0
; VGPRBlocks: 0
; NumSGPRsForWavesPerEU: 1
; NumVGPRsForWavesPerEU: 1
; NamedBarCnt: 0
; Occupancy: 16
; WaveLimiterHint : 0
; COMPUTE_PGM_RSRC2:SCRATCH_EN: 0
; COMPUTE_PGM_RSRC2:USER_SGPR: 2
; COMPUTE_PGM_RSRC2:TRAP_HANDLER: 0
; COMPUTE_PGM_RSRC2:TGID_X_EN: 1
; COMPUTE_PGM_RSRC2:TGID_Y_EN: 0
; COMPUTE_PGM_RSRC2:TGID_Z_EN: 0
; COMPUTE_PGM_RSRC2:TIDIG_COMP_CNT: 0
	.section	.text._ZN7rocprim17ROCPRIM_400000_NS6detail17trampoline_kernelINS0_14default_configENS1_25partition_config_selectorILNS1_17partition_subalgoE8ElNS0_10empty_typeEbEEZZNS1_14partition_implILS5_8ELb0ES3_jPlPS6_PKS6_NS0_5tupleIJS9_S6_EEENSD_IJSA_SA_EEENS0_18inequality_wrapperIZN2at6native12_GLOBAL__N_124unique_dim_cuda_templateIdEESt5tupleIJNSH_6TensorESM_SM_EERKSM_lbbbEUlllE0_EEPmJS6_EEE10hipError_tPvRmT3_T4_T5_T6_T7_T9_mT8_P12ihipStream_tbDpT10_ENKUlT_T0_E_clISt17integral_constantIbLb1EES1B_IbLb0EEEEDaS17_S18_EUlS17_E_NS1_11comp_targetILNS1_3genE4ELNS1_11target_archE910ELNS1_3gpuE8ELNS1_3repE0EEENS1_30default_config_static_selectorELNS0_4arch9wavefront6targetE0EEEvT1_,"axG",@progbits,_ZN7rocprim17ROCPRIM_400000_NS6detail17trampoline_kernelINS0_14default_configENS1_25partition_config_selectorILNS1_17partition_subalgoE8ElNS0_10empty_typeEbEEZZNS1_14partition_implILS5_8ELb0ES3_jPlPS6_PKS6_NS0_5tupleIJS9_S6_EEENSD_IJSA_SA_EEENS0_18inequality_wrapperIZN2at6native12_GLOBAL__N_124unique_dim_cuda_templateIdEESt5tupleIJNSH_6TensorESM_SM_EERKSM_lbbbEUlllE0_EEPmJS6_EEE10hipError_tPvRmT3_T4_T5_T6_T7_T9_mT8_P12ihipStream_tbDpT10_ENKUlT_T0_E_clISt17integral_constantIbLb1EES1B_IbLb0EEEEDaS17_S18_EUlS17_E_NS1_11comp_targetILNS1_3genE4ELNS1_11target_archE910ELNS1_3gpuE8ELNS1_3repE0EEENS1_30default_config_static_selectorELNS0_4arch9wavefront6targetE0EEEvT1_,comdat
	.globl	_ZN7rocprim17ROCPRIM_400000_NS6detail17trampoline_kernelINS0_14default_configENS1_25partition_config_selectorILNS1_17partition_subalgoE8ElNS0_10empty_typeEbEEZZNS1_14partition_implILS5_8ELb0ES3_jPlPS6_PKS6_NS0_5tupleIJS9_S6_EEENSD_IJSA_SA_EEENS0_18inequality_wrapperIZN2at6native12_GLOBAL__N_124unique_dim_cuda_templateIdEESt5tupleIJNSH_6TensorESM_SM_EERKSM_lbbbEUlllE0_EEPmJS6_EEE10hipError_tPvRmT3_T4_T5_T6_T7_T9_mT8_P12ihipStream_tbDpT10_ENKUlT_T0_E_clISt17integral_constantIbLb1EES1B_IbLb0EEEEDaS17_S18_EUlS17_E_NS1_11comp_targetILNS1_3genE4ELNS1_11target_archE910ELNS1_3gpuE8ELNS1_3repE0EEENS1_30default_config_static_selectorELNS0_4arch9wavefront6targetE0EEEvT1_ ; -- Begin function _ZN7rocprim17ROCPRIM_400000_NS6detail17trampoline_kernelINS0_14default_configENS1_25partition_config_selectorILNS1_17partition_subalgoE8ElNS0_10empty_typeEbEEZZNS1_14partition_implILS5_8ELb0ES3_jPlPS6_PKS6_NS0_5tupleIJS9_S6_EEENSD_IJSA_SA_EEENS0_18inequality_wrapperIZN2at6native12_GLOBAL__N_124unique_dim_cuda_templateIdEESt5tupleIJNSH_6TensorESM_SM_EERKSM_lbbbEUlllE0_EEPmJS6_EEE10hipError_tPvRmT3_T4_T5_T6_T7_T9_mT8_P12ihipStream_tbDpT10_ENKUlT_T0_E_clISt17integral_constantIbLb1EES1B_IbLb0EEEEDaS17_S18_EUlS17_E_NS1_11comp_targetILNS1_3genE4ELNS1_11target_archE910ELNS1_3gpuE8ELNS1_3repE0EEENS1_30default_config_static_selectorELNS0_4arch9wavefront6targetE0EEEvT1_
	.p2align	8
	.type	_ZN7rocprim17ROCPRIM_400000_NS6detail17trampoline_kernelINS0_14default_configENS1_25partition_config_selectorILNS1_17partition_subalgoE8ElNS0_10empty_typeEbEEZZNS1_14partition_implILS5_8ELb0ES3_jPlPS6_PKS6_NS0_5tupleIJS9_S6_EEENSD_IJSA_SA_EEENS0_18inequality_wrapperIZN2at6native12_GLOBAL__N_124unique_dim_cuda_templateIdEESt5tupleIJNSH_6TensorESM_SM_EERKSM_lbbbEUlllE0_EEPmJS6_EEE10hipError_tPvRmT3_T4_T5_T6_T7_T9_mT8_P12ihipStream_tbDpT10_ENKUlT_T0_E_clISt17integral_constantIbLb1EES1B_IbLb0EEEEDaS17_S18_EUlS17_E_NS1_11comp_targetILNS1_3genE4ELNS1_11target_archE910ELNS1_3gpuE8ELNS1_3repE0EEENS1_30default_config_static_selectorELNS0_4arch9wavefront6targetE0EEEvT1_,@function
_ZN7rocprim17ROCPRIM_400000_NS6detail17trampoline_kernelINS0_14default_configENS1_25partition_config_selectorILNS1_17partition_subalgoE8ElNS0_10empty_typeEbEEZZNS1_14partition_implILS5_8ELb0ES3_jPlPS6_PKS6_NS0_5tupleIJS9_S6_EEENSD_IJSA_SA_EEENS0_18inequality_wrapperIZN2at6native12_GLOBAL__N_124unique_dim_cuda_templateIdEESt5tupleIJNSH_6TensorESM_SM_EERKSM_lbbbEUlllE0_EEPmJS6_EEE10hipError_tPvRmT3_T4_T5_T6_T7_T9_mT8_P12ihipStream_tbDpT10_ENKUlT_T0_E_clISt17integral_constantIbLb1EES1B_IbLb0EEEEDaS17_S18_EUlS17_E_NS1_11comp_targetILNS1_3genE4ELNS1_11target_archE910ELNS1_3gpuE8ELNS1_3repE0EEENS1_30default_config_static_selectorELNS0_4arch9wavefront6targetE0EEEvT1_: ; @_ZN7rocprim17ROCPRIM_400000_NS6detail17trampoline_kernelINS0_14default_configENS1_25partition_config_selectorILNS1_17partition_subalgoE8ElNS0_10empty_typeEbEEZZNS1_14partition_implILS5_8ELb0ES3_jPlPS6_PKS6_NS0_5tupleIJS9_S6_EEENSD_IJSA_SA_EEENS0_18inequality_wrapperIZN2at6native12_GLOBAL__N_124unique_dim_cuda_templateIdEESt5tupleIJNSH_6TensorESM_SM_EERKSM_lbbbEUlllE0_EEPmJS6_EEE10hipError_tPvRmT3_T4_T5_T6_T7_T9_mT8_P12ihipStream_tbDpT10_ENKUlT_T0_E_clISt17integral_constantIbLb1EES1B_IbLb0EEEEDaS17_S18_EUlS17_E_NS1_11comp_targetILNS1_3genE4ELNS1_11target_archE910ELNS1_3gpuE8ELNS1_3repE0EEENS1_30default_config_static_selectorELNS0_4arch9wavefront6targetE0EEEvT1_
; %bb.0:
	.section	.rodata,"a",@progbits
	.p2align	6, 0x0
	.amdhsa_kernel _ZN7rocprim17ROCPRIM_400000_NS6detail17trampoline_kernelINS0_14default_configENS1_25partition_config_selectorILNS1_17partition_subalgoE8ElNS0_10empty_typeEbEEZZNS1_14partition_implILS5_8ELb0ES3_jPlPS6_PKS6_NS0_5tupleIJS9_S6_EEENSD_IJSA_SA_EEENS0_18inequality_wrapperIZN2at6native12_GLOBAL__N_124unique_dim_cuda_templateIdEESt5tupleIJNSH_6TensorESM_SM_EERKSM_lbbbEUlllE0_EEPmJS6_EEE10hipError_tPvRmT3_T4_T5_T6_T7_T9_mT8_P12ihipStream_tbDpT10_ENKUlT_T0_E_clISt17integral_constantIbLb1EES1B_IbLb0EEEEDaS17_S18_EUlS17_E_NS1_11comp_targetILNS1_3genE4ELNS1_11target_archE910ELNS1_3gpuE8ELNS1_3repE0EEENS1_30default_config_static_selectorELNS0_4arch9wavefront6targetE0EEEvT1_
		.amdhsa_group_segment_fixed_size 0
		.amdhsa_private_segment_fixed_size 0
		.amdhsa_kernarg_size 120
		.amdhsa_user_sgpr_count 2
		.amdhsa_user_sgpr_dispatch_ptr 0
		.amdhsa_user_sgpr_queue_ptr 0
		.amdhsa_user_sgpr_kernarg_segment_ptr 1
		.amdhsa_user_sgpr_dispatch_id 0
		.amdhsa_user_sgpr_kernarg_preload_length 0
		.amdhsa_user_sgpr_kernarg_preload_offset 0
		.amdhsa_user_sgpr_private_segment_size 0
		.amdhsa_wavefront_size32 1
		.amdhsa_uses_dynamic_stack 0
		.amdhsa_enable_private_segment 0
		.amdhsa_system_sgpr_workgroup_id_x 1
		.amdhsa_system_sgpr_workgroup_id_y 0
		.amdhsa_system_sgpr_workgroup_id_z 0
		.amdhsa_system_sgpr_workgroup_info 0
		.amdhsa_system_vgpr_workitem_id 0
		.amdhsa_next_free_vgpr 1
		.amdhsa_next_free_sgpr 1
		.amdhsa_named_barrier_count 0
		.amdhsa_reserve_vcc 0
		.amdhsa_float_round_mode_32 0
		.amdhsa_float_round_mode_16_64 0
		.amdhsa_float_denorm_mode_32 3
		.amdhsa_float_denorm_mode_16_64 3
		.amdhsa_fp16_overflow 0
		.amdhsa_memory_ordered 1
		.amdhsa_forward_progress 1
		.amdhsa_inst_pref_size 0
		.amdhsa_round_robin_scheduling 0
		.amdhsa_exception_fp_ieee_invalid_op 0
		.amdhsa_exception_fp_denorm_src 0
		.amdhsa_exception_fp_ieee_div_zero 0
		.amdhsa_exception_fp_ieee_overflow 0
		.amdhsa_exception_fp_ieee_underflow 0
		.amdhsa_exception_fp_ieee_inexact 0
		.amdhsa_exception_int_div_zero 0
	.end_amdhsa_kernel
	.section	.text._ZN7rocprim17ROCPRIM_400000_NS6detail17trampoline_kernelINS0_14default_configENS1_25partition_config_selectorILNS1_17partition_subalgoE8ElNS0_10empty_typeEbEEZZNS1_14partition_implILS5_8ELb0ES3_jPlPS6_PKS6_NS0_5tupleIJS9_S6_EEENSD_IJSA_SA_EEENS0_18inequality_wrapperIZN2at6native12_GLOBAL__N_124unique_dim_cuda_templateIdEESt5tupleIJNSH_6TensorESM_SM_EERKSM_lbbbEUlllE0_EEPmJS6_EEE10hipError_tPvRmT3_T4_T5_T6_T7_T9_mT8_P12ihipStream_tbDpT10_ENKUlT_T0_E_clISt17integral_constantIbLb1EES1B_IbLb0EEEEDaS17_S18_EUlS17_E_NS1_11comp_targetILNS1_3genE4ELNS1_11target_archE910ELNS1_3gpuE8ELNS1_3repE0EEENS1_30default_config_static_selectorELNS0_4arch9wavefront6targetE0EEEvT1_,"axG",@progbits,_ZN7rocprim17ROCPRIM_400000_NS6detail17trampoline_kernelINS0_14default_configENS1_25partition_config_selectorILNS1_17partition_subalgoE8ElNS0_10empty_typeEbEEZZNS1_14partition_implILS5_8ELb0ES3_jPlPS6_PKS6_NS0_5tupleIJS9_S6_EEENSD_IJSA_SA_EEENS0_18inequality_wrapperIZN2at6native12_GLOBAL__N_124unique_dim_cuda_templateIdEESt5tupleIJNSH_6TensorESM_SM_EERKSM_lbbbEUlllE0_EEPmJS6_EEE10hipError_tPvRmT3_T4_T5_T6_T7_T9_mT8_P12ihipStream_tbDpT10_ENKUlT_T0_E_clISt17integral_constantIbLb1EES1B_IbLb0EEEEDaS17_S18_EUlS17_E_NS1_11comp_targetILNS1_3genE4ELNS1_11target_archE910ELNS1_3gpuE8ELNS1_3repE0EEENS1_30default_config_static_selectorELNS0_4arch9wavefront6targetE0EEEvT1_,comdat
.Lfunc_end825:
	.size	_ZN7rocprim17ROCPRIM_400000_NS6detail17trampoline_kernelINS0_14default_configENS1_25partition_config_selectorILNS1_17partition_subalgoE8ElNS0_10empty_typeEbEEZZNS1_14partition_implILS5_8ELb0ES3_jPlPS6_PKS6_NS0_5tupleIJS9_S6_EEENSD_IJSA_SA_EEENS0_18inequality_wrapperIZN2at6native12_GLOBAL__N_124unique_dim_cuda_templateIdEESt5tupleIJNSH_6TensorESM_SM_EERKSM_lbbbEUlllE0_EEPmJS6_EEE10hipError_tPvRmT3_T4_T5_T6_T7_T9_mT8_P12ihipStream_tbDpT10_ENKUlT_T0_E_clISt17integral_constantIbLb1EES1B_IbLb0EEEEDaS17_S18_EUlS17_E_NS1_11comp_targetILNS1_3genE4ELNS1_11target_archE910ELNS1_3gpuE8ELNS1_3repE0EEENS1_30default_config_static_selectorELNS0_4arch9wavefront6targetE0EEEvT1_, .Lfunc_end825-_ZN7rocprim17ROCPRIM_400000_NS6detail17trampoline_kernelINS0_14default_configENS1_25partition_config_selectorILNS1_17partition_subalgoE8ElNS0_10empty_typeEbEEZZNS1_14partition_implILS5_8ELb0ES3_jPlPS6_PKS6_NS0_5tupleIJS9_S6_EEENSD_IJSA_SA_EEENS0_18inequality_wrapperIZN2at6native12_GLOBAL__N_124unique_dim_cuda_templateIdEESt5tupleIJNSH_6TensorESM_SM_EERKSM_lbbbEUlllE0_EEPmJS6_EEE10hipError_tPvRmT3_T4_T5_T6_T7_T9_mT8_P12ihipStream_tbDpT10_ENKUlT_T0_E_clISt17integral_constantIbLb1EES1B_IbLb0EEEEDaS17_S18_EUlS17_E_NS1_11comp_targetILNS1_3genE4ELNS1_11target_archE910ELNS1_3gpuE8ELNS1_3repE0EEENS1_30default_config_static_selectorELNS0_4arch9wavefront6targetE0EEEvT1_
                                        ; -- End function
	.set _ZN7rocprim17ROCPRIM_400000_NS6detail17trampoline_kernelINS0_14default_configENS1_25partition_config_selectorILNS1_17partition_subalgoE8ElNS0_10empty_typeEbEEZZNS1_14partition_implILS5_8ELb0ES3_jPlPS6_PKS6_NS0_5tupleIJS9_S6_EEENSD_IJSA_SA_EEENS0_18inequality_wrapperIZN2at6native12_GLOBAL__N_124unique_dim_cuda_templateIdEESt5tupleIJNSH_6TensorESM_SM_EERKSM_lbbbEUlllE0_EEPmJS6_EEE10hipError_tPvRmT3_T4_T5_T6_T7_T9_mT8_P12ihipStream_tbDpT10_ENKUlT_T0_E_clISt17integral_constantIbLb1EES1B_IbLb0EEEEDaS17_S18_EUlS17_E_NS1_11comp_targetILNS1_3genE4ELNS1_11target_archE910ELNS1_3gpuE8ELNS1_3repE0EEENS1_30default_config_static_selectorELNS0_4arch9wavefront6targetE0EEEvT1_.num_vgpr, 0
	.set _ZN7rocprim17ROCPRIM_400000_NS6detail17trampoline_kernelINS0_14default_configENS1_25partition_config_selectorILNS1_17partition_subalgoE8ElNS0_10empty_typeEbEEZZNS1_14partition_implILS5_8ELb0ES3_jPlPS6_PKS6_NS0_5tupleIJS9_S6_EEENSD_IJSA_SA_EEENS0_18inequality_wrapperIZN2at6native12_GLOBAL__N_124unique_dim_cuda_templateIdEESt5tupleIJNSH_6TensorESM_SM_EERKSM_lbbbEUlllE0_EEPmJS6_EEE10hipError_tPvRmT3_T4_T5_T6_T7_T9_mT8_P12ihipStream_tbDpT10_ENKUlT_T0_E_clISt17integral_constantIbLb1EES1B_IbLb0EEEEDaS17_S18_EUlS17_E_NS1_11comp_targetILNS1_3genE4ELNS1_11target_archE910ELNS1_3gpuE8ELNS1_3repE0EEENS1_30default_config_static_selectorELNS0_4arch9wavefront6targetE0EEEvT1_.num_agpr, 0
	.set _ZN7rocprim17ROCPRIM_400000_NS6detail17trampoline_kernelINS0_14default_configENS1_25partition_config_selectorILNS1_17partition_subalgoE8ElNS0_10empty_typeEbEEZZNS1_14partition_implILS5_8ELb0ES3_jPlPS6_PKS6_NS0_5tupleIJS9_S6_EEENSD_IJSA_SA_EEENS0_18inequality_wrapperIZN2at6native12_GLOBAL__N_124unique_dim_cuda_templateIdEESt5tupleIJNSH_6TensorESM_SM_EERKSM_lbbbEUlllE0_EEPmJS6_EEE10hipError_tPvRmT3_T4_T5_T6_T7_T9_mT8_P12ihipStream_tbDpT10_ENKUlT_T0_E_clISt17integral_constantIbLb1EES1B_IbLb0EEEEDaS17_S18_EUlS17_E_NS1_11comp_targetILNS1_3genE4ELNS1_11target_archE910ELNS1_3gpuE8ELNS1_3repE0EEENS1_30default_config_static_selectorELNS0_4arch9wavefront6targetE0EEEvT1_.numbered_sgpr, 0
	.set _ZN7rocprim17ROCPRIM_400000_NS6detail17trampoline_kernelINS0_14default_configENS1_25partition_config_selectorILNS1_17partition_subalgoE8ElNS0_10empty_typeEbEEZZNS1_14partition_implILS5_8ELb0ES3_jPlPS6_PKS6_NS0_5tupleIJS9_S6_EEENSD_IJSA_SA_EEENS0_18inequality_wrapperIZN2at6native12_GLOBAL__N_124unique_dim_cuda_templateIdEESt5tupleIJNSH_6TensorESM_SM_EERKSM_lbbbEUlllE0_EEPmJS6_EEE10hipError_tPvRmT3_T4_T5_T6_T7_T9_mT8_P12ihipStream_tbDpT10_ENKUlT_T0_E_clISt17integral_constantIbLb1EES1B_IbLb0EEEEDaS17_S18_EUlS17_E_NS1_11comp_targetILNS1_3genE4ELNS1_11target_archE910ELNS1_3gpuE8ELNS1_3repE0EEENS1_30default_config_static_selectorELNS0_4arch9wavefront6targetE0EEEvT1_.num_named_barrier, 0
	.set _ZN7rocprim17ROCPRIM_400000_NS6detail17trampoline_kernelINS0_14default_configENS1_25partition_config_selectorILNS1_17partition_subalgoE8ElNS0_10empty_typeEbEEZZNS1_14partition_implILS5_8ELb0ES3_jPlPS6_PKS6_NS0_5tupleIJS9_S6_EEENSD_IJSA_SA_EEENS0_18inequality_wrapperIZN2at6native12_GLOBAL__N_124unique_dim_cuda_templateIdEESt5tupleIJNSH_6TensorESM_SM_EERKSM_lbbbEUlllE0_EEPmJS6_EEE10hipError_tPvRmT3_T4_T5_T6_T7_T9_mT8_P12ihipStream_tbDpT10_ENKUlT_T0_E_clISt17integral_constantIbLb1EES1B_IbLb0EEEEDaS17_S18_EUlS17_E_NS1_11comp_targetILNS1_3genE4ELNS1_11target_archE910ELNS1_3gpuE8ELNS1_3repE0EEENS1_30default_config_static_selectorELNS0_4arch9wavefront6targetE0EEEvT1_.private_seg_size, 0
	.set _ZN7rocprim17ROCPRIM_400000_NS6detail17trampoline_kernelINS0_14default_configENS1_25partition_config_selectorILNS1_17partition_subalgoE8ElNS0_10empty_typeEbEEZZNS1_14partition_implILS5_8ELb0ES3_jPlPS6_PKS6_NS0_5tupleIJS9_S6_EEENSD_IJSA_SA_EEENS0_18inequality_wrapperIZN2at6native12_GLOBAL__N_124unique_dim_cuda_templateIdEESt5tupleIJNSH_6TensorESM_SM_EERKSM_lbbbEUlllE0_EEPmJS6_EEE10hipError_tPvRmT3_T4_T5_T6_T7_T9_mT8_P12ihipStream_tbDpT10_ENKUlT_T0_E_clISt17integral_constantIbLb1EES1B_IbLb0EEEEDaS17_S18_EUlS17_E_NS1_11comp_targetILNS1_3genE4ELNS1_11target_archE910ELNS1_3gpuE8ELNS1_3repE0EEENS1_30default_config_static_selectorELNS0_4arch9wavefront6targetE0EEEvT1_.uses_vcc, 0
	.set _ZN7rocprim17ROCPRIM_400000_NS6detail17trampoline_kernelINS0_14default_configENS1_25partition_config_selectorILNS1_17partition_subalgoE8ElNS0_10empty_typeEbEEZZNS1_14partition_implILS5_8ELb0ES3_jPlPS6_PKS6_NS0_5tupleIJS9_S6_EEENSD_IJSA_SA_EEENS0_18inequality_wrapperIZN2at6native12_GLOBAL__N_124unique_dim_cuda_templateIdEESt5tupleIJNSH_6TensorESM_SM_EERKSM_lbbbEUlllE0_EEPmJS6_EEE10hipError_tPvRmT3_T4_T5_T6_T7_T9_mT8_P12ihipStream_tbDpT10_ENKUlT_T0_E_clISt17integral_constantIbLb1EES1B_IbLb0EEEEDaS17_S18_EUlS17_E_NS1_11comp_targetILNS1_3genE4ELNS1_11target_archE910ELNS1_3gpuE8ELNS1_3repE0EEENS1_30default_config_static_selectorELNS0_4arch9wavefront6targetE0EEEvT1_.uses_flat_scratch, 0
	.set _ZN7rocprim17ROCPRIM_400000_NS6detail17trampoline_kernelINS0_14default_configENS1_25partition_config_selectorILNS1_17partition_subalgoE8ElNS0_10empty_typeEbEEZZNS1_14partition_implILS5_8ELb0ES3_jPlPS6_PKS6_NS0_5tupleIJS9_S6_EEENSD_IJSA_SA_EEENS0_18inequality_wrapperIZN2at6native12_GLOBAL__N_124unique_dim_cuda_templateIdEESt5tupleIJNSH_6TensorESM_SM_EERKSM_lbbbEUlllE0_EEPmJS6_EEE10hipError_tPvRmT3_T4_T5_T6_T7_T9_mT8_P12ihipStream_tbDpT10_ENKUlT_T0_E_clISt17integral_constantIbLb1EES1B_IbLb0EEEEDaS17_S18_EUlS17_E_NS1_11comp_targetILNS1_3genE4ELNS1_11target_archE910ELNS1_3gpuE8ELNS1_3repE0EEENS1_30default_config_static_selectorELNS0_4arch9wavefront6targetE0EEEvT1_.has_dyn_sized_stack, 0
	.set _ZN7rocprim17ROCPRIM_400000_NS6detail17trampoline_kernelINS0_14default_configENS1_25partition_config_selectorILNS1_17partition_subalgoE8ElNS0_10empty_typeEbEEZZNS1_14partition_implILS5_8ELb0ES3_jPlPS6_PKS6_NS0_5tupleIJS9_S6_EEENSD_IJSA_SA_EEENS0_18inequality_wrapperIZN2at6native12_GLOBAL__N_124unique_dim_cuda_templateIdEESt5tupleIJNSH_6TensorESM_SM_EERKSM_lbbbEUlllE0_EEPmJS6_EEE10hipError_tPvRmT3_T4_T5_T6_T7_T9_mT8_P12ihipStream_tbDpT10_ENKUlT_T0_E_clISt17integral_constantIbLb1EES1B_IbLb0EEEEDaS17_S18_EUlS17_E_NS1_11comp_targetILNS1_3genE4ELNS1_11target_archE910ELNS1_3gpuE8ELNS1_3repE0EEENS1_30default_config_static_selectorELNS0_4arch9wavefront6targetE0EEEvT1_.has_recursion, 0
	.set _ZN7rocprim17ROCPRIM_400000_NS6detail17trampoline_kernelINS0_14default_configENS1_25partition_config_selectorILNS1_17partition_subalgoE8ElNS0_10empty_typeEbEEZZNS1_14partition_implILS5_8ELb0ES3_jPlPS6_PKS6_NS0_5tupleIJS9_S6_EEENSD_IJSA_SA_EEENS0_18inequality_wrapperIZN2at6native12_GLOBAL__N_124unique_dim_cuda_templateIdEESt5tupleIJNSH_6TensorESM_SM_EERKSM_lbbbEUlllE0_EEPmJS6_EEE10hipError_tPvRmT3_T4_T5_T6_T7_T9_mT8_P12ihipStream_tbDpT10_ENKUlT_T0_E_clISt17integral_constantIbLb1EES1B_IbLb0EEEEDaS17_S18_EUlS17_E_NS1_11comp_targetILNS1_3genE4ELNS1_11target_archE910ELNS1_3gpuE8ELNS1_3repE0EEENS1_30default_config_static_selectorELNS0_4arch9wavefront6targetE0EEEvT1_.has_indirect_call, 0
	.section	.AMDGPU.csdata,"",@progbits
; Kernel info:
; codeLenInByte = 0
; TotalNumSgprs: 0
; NumVgprs: 0
; ScratchSize: 0
; MemoryBound: 0
; FloatMode: 240
; IeeeMode: 1
; LDSByteSize: 0 bytes/workgroup (compile time only)
; SGPRBlocks: 0
; VGPRBlocks: 0
; NumSGPRsForWavesPerEU: 1
; NumVGPRsForWavesPerEU: 1
; NamedBarCnt: 0
; Occupancy: 16
; WaveLimiterHint : 0
; COMPUTE_PGM_RSRC2:SCRATCH_EN: 0
; COMPUTE_PGM_RSRC2:USER_SGPR: 2
; COMPUTE_PGM_RSRC2:TRAP_HANDLER: 0
; COMPUTE_PGM_RSRC2:TGID_X_EN: 1
; COMPUTE_PGM_RSRC2:TGID_Y_EN: 0
; COMPUTE_PGM_RSRC2:TGID_Z_EN: 0
; COMPUTE_PGM_RSRC2:TIDIG_COMP_CNT: 0
	.section	.text._ZN7rocprim17ROCPRIM_400000_NS6detail17trampoline_kernelINS0_14default_configENS1_25partition_config_selectorILNS1_17partition_subalgoE8ElNS0_10empty_typeEbEEZZNS1_14partition_implILS5_8ELb0ES3_jPlPS6_PKS6_NS0_5tupleIJS9_S6_EEENSD_IJSA_SA_EEENS0_18inequality_wrapperIZN2at6native12_GLOBAL__N_124unique_dim_cuda_templateIdEESt5tupleIJNSH_6TensorESM_SM_EERKSM_lbbbEUlllE0_EEPmJS6_EEE10hipError_tPvRmT3_T4_T5_T6_T7_T9_mT8_P12ihipStream_tbDpT10_ENKUlT_T0_E_clISt17integral_constantIbLb1EES1B_IbLb0EEEEDaS17_S18_EUlS17_E_NS1_11comp_targetILNS1_3genE3ELNS1_11target_archE908ELNS1_3gpuE7ELNS1_3repE0EEENS1_30default_config_static_selectorELNS0_4arch9wavefront6targetE0EEEvT1_,"axG",@progbits,_ZN7rocprim17ROCPRIM_400000_NS6detail17trampoline_kernelINS0_14default_configENS1_25partition_config_selectorILNS1_17partition_subalgoE8ElNS0_10empty_typeEbEEZZNS1_14partition_implILS5_8ELb0ES3_jPlPS6_PKS6_NS0_5tupleIJS9_S6_EEENSD_IJSA_SA_EEENS0_18inequality_wrapperIZN2at6native12_GLOBAL__N_124unique_dim_cuda_templateIdEESt5tupleIJNSH_6TensorESM_SM_EERKSM_lbbbEUlllE0_EEPmJS6_EEE10hipError_tPvRmT3_T4_T5_T6_T7_T9_mT8_P12ihipStream_tbDpT10_ENKUlT_T0_E_clISt17integral_constantIbLb1EES1B_IbLb0EEEEDaS17_S18_EUlS17_E_NS1_11comp_targetILNS1_3genE3ELNS1_11target_archE908ELNS1_3gpuE7ELNS1_3repE0EEENS1_30default_config_static_selectorELNS0_4arch9wavefront6targetE0EEEvT1_,comdat
	.globl	_ZN7rocprim17ROCPRIM_400000_NS6detail17trampoline_kernelINS0_14default_configENS1_25partition_config_selectorILNS1_17partition_subalgoE8ElNS0_10empty_typeEbEEZZNS1_14partition_implILS5_8ELb0ES3_jPlPS6_PKS6_NS0_5tupleIJS9_S6_EEENSD_IJSA_SA_EEENS0_18inequality_wrapperIZN2at6native12_GLOBAL__N_124unique_dim_cuda_templateIdEESt5tupleIJNSH_6TensorESM_SM_EERKSM_lbbbEUlllE0_EEPmJS6_EEE10hipError_tPvRmT3_T4_T5_T6_T7_T9_mT8_P12ihipStream_tbDpT10_ENKUlT_T0_E_clISt17integral_constantIbLb1EES1B_IbLb0EEEEDaS17_S18_EUlS17_E_NS1_11comp_targetILNS1_3genE3ELNS1_11target_archE908ELNS1_3gpuE7ELNS1_3repE0EEENS1_30default_config_static_selectorELNS0_4arch9wavefront6targetE0EEEvT1_ ; -- Begin function _ZN7rocprim17ROCPRIM_400000_NS6detail17trampoline_kernelINS0_14default_configENS1_25partition_config_selectorILNS1_17partition_subalgoE8ElNS0_10empty_typeEbEEZZNS1_14partition_implILS5_8ELb0ES3_jPlPS6_PKS6_NS0_5tupleIJS9_S6_EEENSD_IJSA_SA_EEENS0_18inequality_wrapperIZN2at6native12_GLOBAL__N_124unique_dim_cuda_templateIdEESt5tupleIJNSH_6TensorESM_SM_EERKSM_lbbbEUlllE0_EEPmJS6_EEE10hipError_tPvRmT3_T4_T5_T6_T7_T9_mT8_P12ihipStream_tbDpT10_ENKUlT_T0_E_clISt17integral_constantIbLb1EES1B_IbLb0EEEEDaS17_S18_EUlS17_E_NS1_11comp_targetILNS1_3genE3ELNS1_11target_archE908ELNS1_3gpuE7ELNS1_3repE0EEENS1_30default_config_static_selectorELNS0_4arch9wavefront6targetE0EEEvT1_
	.p2align	8
	.type	_ZN7rocprim17ROCPRIM_400000_NS6detail17trampoline_kernelINS0_14default_configENS1_25partition_config_selectorILNS1_17partition_subalgoE8ElNS0_10empty_typeEbEEZZNS1_14partition_implILS5_8ELb0ES3_jPlPS6_PKS6_NS0_5tupleIJS9_S6_EEENSD_IJSA_SA_EEENS0_18inequality_wrapperIZN2at6native12_GLOBAL__N_124unique_dim_cuda_templateIdEESt5tupleIJNSH_6TensorESM_SM_EERKSM_lbbbEUlllE0_EEPmJS6_EEE10hipError_tPvRmT3_T4_T5_T6_T7_T9_mT8_P12ihipStream_tbDpT10_ENKUlT_T0_E_clISt17integral_constantIbLb1EES1B_IbLb0EEEEDaS17_S18_EUlS17_E_NS1_11comp_targetILNS1_3genE3ELNS1_11target_archE908ELNS1_3gpuE7ELNS1_3repE0EEENS1_30default_config_static_selectorELNS0_4arch9wavefront6targetE0EEEvT1_,@function
_ZN7rocprim17ROCPRIM_400000_NS6detail17trampoline_kernelINS0_14default_configENS1_25partition_config_selectorILNS1_17partition_subalgoE8ElNS0_10empty_typeEbEEZZNS1_14partition_implILS5_8ELb0ES3_jPlPS6_PKS6_NS0_5tupleIJS9_S6_EEENSD_IJSA_SA_EEENS0_18inequality_wrapperIZN2at6native12_GLOBAL__N_124unique_dim_cuda_templateIdEESt5tupleIJNSH_6TensorESM_SM_EERKSM_lbbbEUlllE0_EEPmJS6_EEE10hipError_tPvRmT3_T4_T5_T6_T7_T9_mT8_P12ihipStream_tbDpT10_ENKUlT_T0_E_clISt17integral_constantIbLb1EES1B_IbLb0EEEEDaS17_S18_EUlS17_E_NS1_11comp_targetILNS1_3genE3ELNS1_11target_archE908ELNS1_3gpuE7ELNS1_3repE0EEENS1_30default_config_static_selectorELNS0_4arch9wavefront6targetE0EEEvT1_: ; @_ZN7rocprim17ROCPRIM_400000_NS6detail17trampoline_kernelINS0_14default_configENS1_25partition_config_selectorILNS1_17partition_subalgoE8ElNS0_10empty_typeEbEEZZNS1_14partition_implILS5_8ELb0ES3_jPlPS6_PKS6_NS0_5tupleIJS9_S6_EEENSD_IJSA_SA_EEENS0_18inequality_wrapperIZN2at6native12_GLOBAL__N_124unique_dim_cuda_templateIdEESt5tupleIJNSH_6TensorESM_SM_EERKSM_lbbbEUlllE0_EEPmJS6_EEE10hipError_tPvRmT3_T4_T5_T6_T7_T9_mT8_P12ihipStream_tbDpT10_ENKUlT_T0_E_clISt17integral_constantIbLb1EES1B_IbLb0EEEEDaS17_S18_EUlS17_E_NS1_11comp_targetILNS1_3genE3ELNS1_11target_archE908ELNS1_3gpuE7ELNS1_3repE0EEENS1_30default_config_static_selectorELNS0_4arch9wavefront6targetE0EEEvT1_
; %bb.0:
	.section	.rodata,"a",@progbits
	.p2align	6, 0x0
	.amdhsa_kernel _ZN7rocprim17ROCPRIM_400000_NS6detail17trampoline_kernelINS0_14default_configENS1_25partition_config_selectorILNS1_17partition_subalgoE8ElNS0_10empty_typeEbEEZZNS1_14partition_implILS5_8ELb0ES3_jPlPS6_PKS6_NS0_5tupleIJS9_S6_EEENSD_IJSA_SA_EEENS0_18inequality_wrapperIZN2at6native12_GLOBAL__N_124unique_dim_cuda_templateIdEESt5tupleIJNSH_6TensorESM_SM_EERKSM_lbbbEUlllE0_EEPmJS6_EEE10hipError_tPvRmT3_T4_T5_T6_T7_T9_mT8_P12ihipStream_tbDpT10_ENKUlT_T0_E_clISt17integral_constantIbLb1EES1B_IbLb0EEEEDaS17_S18_EUlS17_E_NS1_11comp_targetILNS1_3genE3ELNS1_11target_archE908ELNS1_3gpuE7ELNS1_3repE0EEENS1_30default_config_static_selectorELNS0_4arch9wavefront6targetE0EEEvT1_
		.amdhsa_group_segment_fixed_size 0
		.amdhsa_private_segment_fixed_size 0
		.amdhsa_kernarg_size 120
		.amdhsa_user_sgpr_count 2
		.amdhsa_user_sgpr_dispatch_ptr 0
		.amdhsa_user_sgpr_queue_ptr 0
		.amdhsa_user_sgpr_kernarg_segment_ptr 1
		.amdhsa_user_sgpr_dispatch_id 0
		.amdhsa_user_sgpr_kernarg_preload_length 0
		.amdhsa_user_sgpr_kernarg_preload_offset 0
		.amdhsa_user_sgpr_private_segment_size 0
		.amdhsa_wavefront_size32 1
		.amdhsa_uses_dynamic_stack 0
		.amdhsa_enable_private_segment 0
		.amdhsa_system_sgpr_workgroup_id_x 1
		.amdhsa_system_sgpr_workgroup_id_y 0
		.amdhsa_system_sgpr_workgroup_id_z 0
		.amdhsa_system_sgpr_workgroup_info 0
		.amdhsa_system_vgpr_workitem_id 0
		.amdhsa_next_free_vgpr 1
		.amdhsa_next_free_sgpr 1
		.amdhsa_named_barrier_count 0
		.amdhsa_reserve_vcc 0
		.amdhsa_float_round_mode_32 0
		.amdhsa_float_round_mode_16_64 0
		.amdhsa_float_denorm_mode_32 3
		.amdhsa_float_denorm_mode_16_64 3
		.amdhsa_fp16_overflow 0
		.amdhsa_memory_ordered 1
		.amdhsa_forward_progress 1
		.amdhsa_inst_pref_size 0
		.amdhsa_round_robin_scheduling 0
		.amdhsa_exception_fp_ieee_invalid_op 0
		.amdhsa_exception_fp_denorm_src 0
		.amdhsa_exception_fp_ieee_div_zero 0
		.amdhsa_exception_fp_ieee_overflow 0
		.amdhsa_exception_fp_ieee_underflow 0
		.amdhsa_exception_fp_ieee_inexact 0
		.amdhsa_exception_int_div_zero 0
	.end_amdhsa_kernel
	.section	.text._ZN7rocprim17ROCPRIM_400000_NS6detail17trampoline_kernelINS0_14default_configENS1_25partition_config_selectorILNS1_17partition_subalgoE8ElNS0_10empty_typeEbEEZZNS1_14partition_implILS5_8ELb0ES3_jPlPS6_PKS6_NS0_5tupleIJS9_S6_EEENSD_IJSA_SA_EEENS0_18inequality_wrapperIZN2at6native12_GLOBAL__N_124unique_dim_cuda_templateIdEESt5tupleIJNSH_6TensorESM_SM_EERKSM_lbbbEUlllE0_EEPmJS6_EEE10hipError_tPvRmT3_T4_T5_T6_T7_T9_mT8_P12ihipStream_tbDpT10_ENKUlT_T0_E_clISt17integral_constantIbLb1EES1B_IbLb0EEEEDaS17_S18_EUlS17_E_NS1_11comp_targetILNS1_3genE3ELNS1_11target_archE908ELNS1_3gpuE7ELNS1_3repE0EEENS1_30default_config_static_selectorELNS0_4arch9wavefront6targetE0EEEvT1_,"axG",@progbits,_ZN7rocprim17ROCPRIM_400000_NS6detail17trampoline_kernelINS0_14default_configENS1_25partition_config_selectorILNS1_17partition_subalgoE8ElNS0_10empty_typeEbEEZZNS1_14partition_implILS5_8ELb0ES3_jPlPS6_PKS6_NS0_5tupleIJS9_S6_EEENSD_IJSA_SA_EEENS0_18inequality_wrapperIZN2at6native12_GLOBAL__N_124unique_dim_cuda_templateIdEESt5tupleIJNSH_6TensorESM_SM_EERKSM_lbbbEUlllE0_EEPmJS6_EEE10hipError_tPvRmT3_T4_T5_T6_T7_T9_mT8_P12ihipStream_tbDpT10_ENKUlT_T0_E_clISt17integral_constantIbLb1EES1B_IbLb0EEEEDaS17_S18_EUlS17_E_NS1_11comp_targetILNS1_3genE3ELNS1_11target_archE908ELNS1_3gpuE7ELNS1_3repE0EEENS1_30default_config_static_selectorELNS0_4arch9wavefront6targetE0EEEvT1_,comdat
.Lfunc_end826:
	.size	_ZN7rocprim17ROCPRIM_400000_NS6detail17trampoline_kernelINS0_14default_configENS1_25partition_config_selectorILNS1_17partition_subalgoE8ElNS0_10empty_typeEbEEZZNS1_14partition_implILS5_8ELb0ES3_jPlPS6_PKS6_NS0_5tupleIJS9_S6_EEENSD_IJSA_SA_EEENS0_18inequality_wrapperIZN2at6native12_GLOBAL__N_124unique_dim_cuda_templateIdEESt5tupleIJNSH_6TensorESM_SM_EERKSM_lbbbEUlllE0_EEPmJS6_EEE10hipError_tPvRmT3_T4_T5_T6_T7_T9_mT8_P12ihipStream_tbDpT10_ENKUlT_T0_E_clISt17integral_constantIbLb1EES1B_IbLb0EEEEDaS17_S18_EUlS17_E_NS1_11comp_targetILNS1_3genE3ELNS1_11target_archE908ELNS1_3gpuE7ELNS1_3repE0EEENS1_30default_config_static_selectorELNS0_4arch9wavefront6targetE0EEEvT1_, .Lfunc_end826-_ZN7rocprim17ROCPRIM_400000_NS6detail17trampoline_kernelINS0_14default_configENS1_25partition_config_selectorILNS1_17partition_subalgoE8ElNS0_10empty_typeEbEEZZNS1_14partition_implILS5_8ELb0ES3_jPlPS6_PKS6_NS0_5tupleIJS9_S6_EEENSD_IJSA_SA_EEENS0_18inequality_wrapperIZN2at6native12_GLOBAL__N_124unique_dim_cuda_templateIdEESt5tupleIJNSH_6TensorESM_SM_EERKSM_lbbbEUlllE0_EEPmJS6_EEE10hipError_tPvRmT3_T4_T5_T6_T7_T9_mT8_P12ihipStream_tbDpT10_ENKUlT_T0_E_clISt17integral_constantIbLb1EES1B_IbLb0EEEEDaS17_S18_EUlS17_E_NS1_11comp_targetILNS1_3genE3ELNS1_11target_archE908ELNS1_3gpuE7ELNS1_3repE0EEENS1_30default_config_static_selectorELNS0_4arch9wavefront6targetE0EEEvT1_
                                        ; -- End function
	.set _ZN7rocprim17ROCPRIM_400000_NS6detail17trampoline_kernelINS0_14default_configENS1_25partition_config_selectorILNS1_17partition_subalgoE8ElNS0_10empty_typeEbEEZZNS1_14partition_implILS5_8ELb0ES3_jPlPS6_PKS6_NS0_5tupleIJS9_S6_EEENSD_IJSA_SA_EEENS0_18inequality_wrapperIZN2at6native12_GLOBAL__N_124unique_dim_cuda_templateIdEESt5tupleIJNSH_6TensorESM_SM_EERKSM_lbbbEUlllE0_EEPmJS6_EEE10hipError_tPvRmT3_T4_T5_T6_T7_T9_mT8_P12ihipStream_tbDpT10_ENKUlT_T0_E_clISt17integral_constantIbLb1EES1B_IbLb0EEEEDaS17_S18_EUlS17_E_NS1_11comp_targetILNS1_3genE3ELNS1_11target_archE908ELNS1_3gpuE7ELNS1_3repE0EEENS1_30default_config_static_selectorELNS0_4arch9wavefront6targetE0EEEvT1_.num_vgpr, 0
	.set _ZN7rocprim17ROCPRIM_400000_NS6detail17trampoline_kernelINS0_14default_configENS1_25partition_config_selectorILNS1_17partition_subalgoE8ElNS0_10empty_typeEbEEZZNS1_14partition_implILS5_8ELb0ES3_jPlPS6_PKS6_NS0_5tupleIJS9_S6_EEENSD_IJSA_SA_EEENS0_18inequality_wrapperIZN2at6native12_GLOBAL__N_124unique_dim_cuda_templateIdEESt5tupleIJNSH_6TensorESM_SM_EERKSM_lbbbEUlllE0_EEPmJS6_EEE10hipError_tPvRmT3_T4_T5_T6_T7_T9_mT8_P12ihipStream_tbDpT10_ENKUlT_T0_E_clISt17integral_constantIbLb1EES1B_IbLb0EEEEDaS17_S18_EUlS17_E_NS1_11comp_targetILNS1_3genE3ELNS1_11target_archE908ELNS1_3gpuE7ELNS1_3repE0EEENS1_30default_config_static_selectorELNS0_4arch9wavefront6targetE0EEEvT1_.num_agpr, 0
	.set _ZN7rocprim17ROCPRIM_400000_NS6detail17trampoline_kernelINS0_14default_configENS1_25partition_config_selectorILNS1_17partition_subalgoE8ElNS0_10empty_typeEbEEZZNS1_14partition_implILS5_8ELb0ES3_jPlPS6_PKS6_NS0_5tupleIJS9_S6_EEENSD_IJSA_SA_EEENS0_18inequality_wrapperIZN2at6native12_GLOBAL__N_124unique_dim_cuda_templateIdEESt5tupleIJNSH_6TensorESM_SM_EERKSM_lbbbEUlllE0_EEPmJS6_EEE10hipError_tPvRmT3_T4_T5_T6_T7_T9_mT8_P12ihipStream_tbDpT10_ENKUlT_T0_E_clISt17integral_constantIbLb1EES1B_IbLb0EEEEDaS17_S18_EUlS17_E_NS1_11comp_targetILNS1_3genE3ELNS1_11target_archE908ELNS1_3gpuE7ELNS1_3repE0EEENS1_30default_config_static_selectorELNS0_4arch9wavefront6targetE0EEEvT1_.numbered_sgpr, 0
	.set _ZN7rocprim17ROCPRIM_400000_NS6detail17trampoline_kernelINS0_14default_configENS1_25partition_config_selectorILNS1_17partition_subalgoE8ElNS0_10empty_typeEbEEZZNS1_14partition_implILS5_8ELb0ES3_jPlPS6_PKS6_NS0_5tupleIJS9_S6_EEENSD_IJSA_SA_EEENS0_18inequality_wrapperIZN2at6native12_GLOBAL__N_124unique_dim_cuda_templateIdEESt5tupleIJNSH_6TensorESM_SM_EERKSM_lbbbEUlllE0_EEPmJS6_EEE10hipError_tPvRmT3_T4_T5_T6_T7_T9_mT8_P12ihipStream_tbDpT10_ENKUlT_T0_E_clISt17integral_constantIbLb1EES1B_IbLb0EEEEDaS17_S18_EUlS17_E_NS1_11comp_targetILNS1_3genE3ELNS1_11target_archE908ELNS1_3gpuE7ELNS1_3repE0EEENS1_30default_config_static_selectorELNS0_4arch9wavefront6targetE0EEEvT1_.num_named_barrier, 0
	.set _ZN7rocprim17ROCPRIM_400000_NS6detail17trampoline_kernelINS0_14default_configENS1_25partition_config_selectorILNS1_17partition_subalgoE8ElNS0_10empty_typeEbEEZZNS1_14partition_implILS5_8ELb0ES3_jPlPS6_PKS6_NS0_5tupleIJS9_S6_EEENSD_IJSA_SA_EEENS0_18inequality_wrapperIZN2at6native12_GLOBAL__N_124unique_dim_cuda_templateIdEESt5tupleIJNSH_6TensorESM_SM_EERKSM_lbbbEUlllE0_EEPmJS6_EEE10hipError_tPvRmT3_T4_T5_T6_T7_T9_mT8_P12ihipStream_tbDpT10_ENKUlT_T0_E_clISt17integral_constantIbLb1EES1B_IbLb0EEEEDaS17_S18_EUlS17_E_NS1_11comp_targetILNS1_3genE3ELNS1_11target_archE908ELNS1_3gpuE7ELNS1_3repE0EEENS1_30default_config_static_selectorELNS0_4arch9wavefront6targetE0EEEvT1_.private_seg_size, 0
	.set _ZN7rocprim17ROCPRIM_400000_NS6detail17trampoline_kernelINS0_14default_configENS1_25partition_config_selectorILNS1_17partition_subalgoE8ElNS0_10empty_typeEbEEZZNS1_14partition_implILS5_8ELb0ES3_jPlPS6_PKS6_NS0_5tupleIJS9_S6_EEENSD_IJSA_SA_EEENS0_18inequality_wrapperIZN2at6native12_GLOBAL__N_124unique_dim_cuda_templateIdEESt5tupleIJNSH_6TensorESM_SM_EERKSM_lbbbEUlllE0_EEPmJS6_EEE10hipError_tPvRmT3_T4_T5_T6_T7_T9_mT8_P12ihipStream_tbDpT10_ENKUlT_T0_E_clISt17integral_constantIbLb1EES1B_IbLb0EEEEDaS17_S18_EUlS17_E_NS1_11comp_targetILNS1_3genE3ELNS1_11target_archE908ELNS1_3gpuE7ELNS1_3repE0EEENS1_30default_config_static_selectorELNS0_4arch9wavefront6targetE0EEEvT1_.uses_vcc, 0
	.set _ZN7rocprim17ROCPRIM_400000_NS6detail17trampoline_kernelINS0_14default_configENS1_25partition_config_selectorILNS1_17partition_subalgoE8ElNS0_10empty_typeEbEEZZNS1_14partition_implILS5_8ELb0ES3_jPlPS6_PKS6_NS0_5tupleIJS9_S6_EEENSD_IJSA_SA_EEENS0_18inequality_wrapperIZN2at6native12_GLOBAL__N_124unique_dim_cuda_templateIdEESt5tupleIJNSH_6TensorESM_SM_EERKSM_lbbbEUlllE0_EEPmJS6_EEE10hipError_tPvRmT3_T4_T5_T6_T7_T9_mT8_P12ihipStream_tbDpT10_ENKUlT_T0_E_clISt17integral_constantIbLb1EES1B_IbLb0EEEEDaS17_S18_EUlS17_E_NS1_11comp_targetILNS1_3genE3ELNS1_11target_archE908ELNS1_3gpuE7ELNS1_3repE0EEENS1_30default_config_static_selectorELNS0_4arch9wavefront6targetE0EEEvT1_.uses_flat_scratch, 0
	.set _ZN7rocprim17ROCPRIM_400000_NS6detail17trampoline_kernelINS0_14default_configENS1_25partition_config_selectorILNS1_17partition_subalgoE8ElNS0_10empty_typeEbEEZZNS1_14partition_implILS5_8ELb0ES3_jPlPS6_PKS6_NS0_5tupleIJS9_S6_EEENSD_IJSA_SA_EEENS0_18inequality_wrapperIZN2at6native12_GLOBAL__N_124unique_dim_cuda_templateIdEESt5tupleIJNSH_6TensorESM_SM_EERKSM_lbbbEUlllE0_EEPmJS6_EEE10hipError_tPvRmT3_T4_T5_T6_T7_T9_mT8_P12ihipStream_tbDpT10_ENKUlT_T0_E_clISt17integral_constantIbLb1EES1B_IbLb0EEEEDaS17_S18_EUlS17_E_NS1_11comp_targetILNS1_3genE3ELNS1_11target_archE908ELNS1_3gpuE7ELNS1_3repE0EEENS1_30default_config_static_selectorELNS0_4arch9wavefront6targetE0EEEvT1_.has_dyn_sized_stack, 0
	.set _ZN7rocprim17ROCPRIM_400000_NS6detail17trampoline_kernelINS0_14default_configENS1_25partition_config_selectorILNS1_17partition_subalgoE8ElNS0_10empty_typeEbEEZZNS1_14partition_implILS5_8ELb0ES3_jPlPS6_PKS6_NS0_5tupleIJS9_S6_EEENSD_IJSA_SA_EEENS0_18inequality_wrapperIZN2at6native12_GLOBAL__N_124unique_dim_cuda_templateIdEESt5tupleIJNSH_6TensorESM_SM_EERKSM_lbbbEUlllE0_EEPmJS6_EEE10hipError_tPvRmT3_T4_T5_T6_T7_T9_mT8_P12ihipStream_tbDpT10_ENKUlT_T0_E_clISt17integral_constantIbLb1EES1B_IbLb0EEEEDaS17_S18_EUlS17_E_NS1_11comp_targetILNS1_3genE3ELNS1_11target_archE908ELNS1_3gpuE7ELNS1_3repE0EEENS1_30default_config_static_selectorELNS0_4arch9wavefront6targetE0EEEvT1_.has_recursion, 0
	.set _ZN7rocprim17ROCPRIM_400000_NS6detail17trampoline_kernelINS0_14default_configENS1_25partition_config_selectorILNS1_17partition_subalgoE8ElNS0_10empty_typeEbEEZZNS1_14partition_implILS5_8ELb0ES3_jPlPS6_PKS6_NS0_5tupleIJS9_S6_EEENSD_IJSA_SA_EEENS0_18inequality_wrapperIZN2at6native12_GLOBAL__N_124unique_dim_cuda_templateIdEESt5tupleIJNSH_6TensorESM_SM_EERKSM_lbbbEUlllE0_EEPmJS6_EEE10hipError_tPvRmT3_T4_T5_T6_T7_T9_mT8_P12ihipStream_tbDpT10_ENKUlT_T0_E_clISt17integral_constantIbLb1EES1B_IbLb0EEEEDaS17_S18_EUlS17_E_NS1_11comp_targetILNS1_3genE3ELNS1_11target_archE908ELNS1_3gpuE7ELNS1_3repE0EEENS1_30default_config_static_selectorELNS0_4arch9wavefront6targetE0EEEvT1_.has_indirect_call, 0
	.section	.AMDGPU.csdata,"",@progbits
; Kernel info:
; codeLenInByte = 0
; TotalNumSgprs: 0
; NumVgprs: 0
; ScratchSize: 0
; MemoryBound: 0
; FloatMode: 240
; IeeeMode: 1
; LDSByteSize: 0 bytes/workgroup (compile time only)
; SGPRBlocks: 0
; VGPRBlocks: 0
; NumSGPRsForWavesPerEU: 1
; NumVGPRsForWavesPerEU: 1
; NamedBarCnt: 0
; Occupancy: 16
; WaveLimiterHint : 0
; COMPUTE_PGM_RSRC2:SCRATCH_EN: 0
; COMPUTE_PGM_RSRC2:USER_SGPR: 2
; COMPUTE_PGM_RSRC2:TRAP_HANDLER: 0
; COMPUTE_PGM_RSRC2:TGID_X_EN: 1
; COMPUTE_PGM_RSRC2:TGID_Y_EN: 0
; COMPUTE_PGM_RSRC2:TGID_Z_EN: 0
; COMPUTE_PGM_RSRC2:TIDIG_COMP_CNT: 0
	.section	.text._ZN7rocprim17ROCPRIM_400000_NS6detail17trampoline_kernelINS0_14default_configENS1_25partition_config_selectorILNS1_17partition_subalgoE8ElNS0_10empty_typeEbEEZZNS1_14partition_implILS5_8ELb0ES3_jPlPS6_PKS6_NS0_5tupleIJS9_S6_EEENSD_IJSA_SA_EEENS0_18inequality_wrapperIZN2at6native12_GLOBAL__N_124unique_dim_cuda_templateIdEESt5tupleIJNSH_6TensorESM_SM_EERKSM_lbbbEUlllE0_EEPmJS6_EEE10hipError_tPvRmT3_T4_T5_T6_T7_T9_mT8_P12ihipStream_tbDpT10_ENKUlT_T0_E_clISt17integral_constantIbLb1EES1B_IbLb0EEEEDaS17_S18_EUlS17_E_NS1_11comp_targetILNS1_3genE2ELNS1_11target_archE906ELNS1_3gpuE6ELNS1_3repE0EEENS1_30default_config_static_selectorELNS0_4arch9wavefront6targetE0EEEvT1_,"axG",@progbits,_ZN7rocprim17ROCPRIM_400000_NS6detail17trampoline_kernelINS0_14default_configENS1_25partition_config_selectorILNS1_17partition_subalgoE8ElNS0_10empty_typeEbEEZZNS1_14partition_implILS5_8ELb0ES3_jPlPS6_PKS6_NS0_5tupleIJS9_S6_EEENSD_IJSA_SA_EEENS0_18inequality_wrapperIZN2at6native12_GLOBAL__N_124unique_dim_cuda_templateIdEESt5tupleIJNSH_6TensorESM_SM_EERKSM_lbbbEUlllE0_EEPmJS6_EEE10hipError_tPvRmT3_T4_T5_T6_T7_T9_mT8_P12ihipStream_tbDpT10_ENKUlT_T0_E_clISt17integral_constantIbLb1EES1B_IbLb0EEEEDaS17_S18_EUlS17_E_NS1_11comp_targetILNS1_3genE2ELNS1_11target_archE906ELNS1_3gpuE6ELNS1_3repE0EEENS1_30default_config_static_selectorELNS0_4arch9wavefront6targetE0EEEvT1_,comdat
	.globl	_ZN7rocprim17ROCPRIM_400000_NS6detail17trampoline_kernelINS0_14default_configENS1_25partition_config_selectorILNS1_17partition_subalgoE8ElNS0_10empty_typeEbEEZZNS1_14partition_implILS5_8ELb0ES3_jPlPS6_PKS6_NS0_5tupleIJS9_S6_EEENSD_IJSA_SA_EEENS0_18inequality_wrapperIZN2at6native12_GLOBAL__N_124unique_dim_cuda_templateIdEESt5tupleIJNSH_6TensorESM_SM_EERKSM_lbbbEUlllE0_EEPmJS6_EEE10hipError_tPvRmT3_T4_T5_T6_T7_T9_mT8_P12ihipStream_tbDpT10_ENKUlT_T0_E_clISt17integral_constantIbLb1EES1B_IbLb0EEEEDaS17_S18_EUlS17_E_NS1_11comp_targetILNS1_3genE2ELNS1_11target_archE906ELNS1_3gpuE6ELNS1_3repE0EEENS1_30default_config_static_selectorELNS0_4arch9wavefront6targetE0EEEvT1_ ; -- Begin function _ZN7rocprim17ROCPRIM_400000_NS6detail17trampoline_kernelINS0_14default_configENS1_25partition_config_selectorILNS1_17partition_subalgoE8ElNS0_10empty_typeEbEEZZNS1_14partition_implILS5_8ELb0ES3_jPlPS6_PKS6_NS0_5tupleIJS9_S6_EEENSD_IJSA_SA_EEENS0_18inequality_wrapperIZN2at6native12_GLOBAL__N_124unique_dim_cuda_templateIdEESt5tupleIJNSH_6TensorESM_SM_EERKSM_lbbbEUlllE0_EEPmJS6_EEE10hipError_tPvRmT3_T4_T5_T6_T7_T9_mT8_P12ihipStream_tbDpT10_ENKUlT_T0_E_clISt17integral_constantIbLb1EES1B_IbLb0EEEEDaS17_S18_EUlS17_E_NS1_11comp_targetILNS1_3genE2ELNS1_11target_archE906ELNS1_3gpuE6ELNS1_3repE0EEENS1_30default_config_static_selectorELNS0_4arch9wavefront6targetE0EEEvT1_
	.p2align	8
	.type	_ZN7rocprim17ROCPRIM_400000_NS6detail17trampoline_kernelINS0_14default_configENS1_25partition_config_selectorILNS1_17partition_subalgoE8ElNS0_10empty_typeEbEEZZNS1_14partition_implILS5_8ELb0ES3_jPlPS6_PKS6_NS0_5tupleIJS9_S6_EEENSD_IJSA_SA_EEENS0_18inequality_wrapperIZN2at6native12_GLOBAL__N_124unique_dim_cuda_templateIdEESt5tupleIJNSH_6TensorESM_SM_EERKSM_lbbbEUlllE0_EEPmJS6_EEE10hipError_tPvRmT3_T4_T5_T6_T7_T9_mT8_P12ihipStream_tbDpT10_ENKUlT_T0_E_clISt17integral_constantIbLb1EES1B_IbLb0EEEEDaS17_S18_EUlS17_E_NS1_11comp_targetILNS1_3genE2ELNS1_11target_archE906ELNS1_3gpuE6ELNS1_3repE0EEENS1_30default_config_static_selectorELNS0_4arch9wavefront6targetE0EEEvT1_,@function
_ZN7rocprim17ROCPRIM_400000_NS6detail17trampoline_kernelINS0_14default_configENS1_25partition_config_selectorILNS1_17partition_subalgoE8ElNS0_10empty_typeEbEEZZNS1_14partition_implILS5_8ELb0ES3_jPlPS6_PKS6_NS0_5tupleIJS9_S6_EEENSD_IJSA_SA_EEENS0_18inequality_wrapperIZN2at6native12_GLOBAL__N_124unique_dim_cuda_templateIdEESt5tupleIJNSH_6TensorESM_SM_EERKSM_lbbbEUlllE0_EEPmJS6_EEE10hipError_tPvRmT3_T4_T5_T6_T7_T9_mT8_P12ihipStream_tbDpT10_ENKUlT_T0_E_clISt17integral_constantIbLb1EES1B_IbLb0EEEEDaS17_S18_EUlS17_E_NS1_11comp_targetILNS1_3genE2ELNS1_11target_archE906ELNS1_3gpuE6ELNS1_3repE0EEENS1_30default_config_static_selectorELNS0_4arch9wavefront6targetE0EEEvT1_: ; @_ZN7rocprim17ROCPRIM_400000_NS6detail17trampoline_kernelINS0_14default_configENS1_25partition_config_selectorILNS1_17partition_subalgoE8ElNS0_10empty_typeEbEEZZNS1_14partition_implILS5_8ELb0ES3_jPlPS6_PKS6_NS0_5tupleIJS9_S6_EEENSD_IJSA_SA_EEENS0_18inequality_wrapperIZN2at6native12_GLOBAL__N_124unique_dim_cuda_templateIdEESt5tupleIJNSH_6TensorESM_SM_EERKSM_lbbbEUlllE0_EEPmJS6_EEE10hipError_tPvRmT3_T4_T5_T6_T7_T9_mT8_P12ihipStream_tbDpT10_ENKUlT_T0_E_clISt17integral_constantIbLb1EES1B_IbLb0EEEEDaS17_S18_EUlS17_E_NS1_11comp_targetILNS1_3genE2ELNS1_11target_archE906ELNS1_3gpuE6ELNS1_3repE0EEENS1_30default_config_static_selectorELNS0_4arch9wavefront6targetE0EEEvT1_
; %bb.0:
	.section	.rodata,"a",@progbits
	.p2align	6, 0x0
	.amdhsa_kernel _ZN7rocprim17ROCPRIM_400000_NS6detail17trampoline_kernelINS0_14default_configENS1_25partition_config_selectorILNS1_17partition_subalgoE8ElNS0_10empty_typeEbEEZZNS1_14partition_implILS5_8ELb0ES3_jPlPS6_PKS6_NS0_5tupleIJS9_S6_EEENSD_IJSA_SA_EEENS0_18inequality_wrapperIZN2at6native12_GLOBAL__N_124unique_dim_cuda_templateIdEESt5tupleIJNSH_6TensorESM_SM_EERKSM_lbbbEUlllE0_EEPmJS6_EEE10hipError_tPvRmT3_T4_T5_T6_T7_T9_mT8_P12ihipStream_tbDpT10_ENKUlT_T0_E_clISt17integral_constantIbLb1EES1B_IbLb0EEEEDaS17_S18_EUlS17_E_NS1_11comp_targetILNS1_3genE2ELNS1_11target_archE906ELNS1_3gpuE6ELNS1_3repE0EEENS1_30default_config_static_selectorELNS0_4arch9wavefront6targetE0EEEvT1_
		.amdhsa_group_segment_fixed_size 0
		.amdhsa_private_segment_fixed_size 0
		.amdhsa_kernarg_size 120
		.amdhsa_user_sgpr_count 2
		.amdhsa_user_sgpr_dispatch_ptr 0
		.amdhsa_user_sgpr_queue_ptr 0
		.amdhsa_user_sgpr_kernarg_segment_ptr 1
		.amdhsa_user_sgpr_dispatch_id 0
		.amdhsa_user_sgpr_kernarg_preload_length 0
		.amdhsa_user_sgpr_kernarg_preload_offset 0
		.amdhsa_user_sgpr_private_segment_size 0
		.amdhsa_wavefront_size32 1
		.amdhsa_uses_dynamic_stack 0
		.amdhsa_enable_private_segment 0
		.amdhsa_system_sgpr_workgroup_id_x 1
		.amdhsa_system_sgpr_workgroup_id_y 0
		.amdhsa_system_sgpr_workgroup_id_z 0
		.amdhsa_system_sgpr_workgroup_info 0
		.amdhsa_system_vgpr_workitem_id 0
		.amdhsa_next_free_vgpr 1
		.amdhsa_next_free_sgpr 1
		.amdhsa_named_barrier_count 0
		.amdhsa_reserve_vcc 0
		.amdhsa_float_round_mode_32 0
		.amdhsa_float_round_mode_16_64 0
		.amdhsa_float_denorm_mode_32 3
		.amdhsa_float_denorm_mode_16_64 3
		.amdhsa_fp16_overflow 0
		.amdhsa_memory_ordered 1
		.amdhsa_forward_progress 1
		.amdhsa_inst_pref_size 0
		.amdhsa_round_robin_scheduling 0
		.amdhsa_exception_fp_ieee_invalid_op 0
		.amdhsa_exception_fp_denorm_src 0
		.amdhsa_exception_fp_ieee_div_zero 0
		.amdhsa_exception_fp_ieee_overflow 0
		.amdhsa_exception_fp_ieee_underflow 0
		.amdhsa_exception_fp_ieee_inexact 0
		.amdhsa_exception_int_div_zero 0
	.end_amdhsa_kernel
	.section	.text._ZN7rocprim17ROCPRIM_400000_NS6detail17trampoline_kernelINS0_14default_configENS1_25partition_config_selectorILNS1_17partition_subalgoE8ElNS0_10empty_typeEbEEZZNS1_14partition_implILS5_8ELb0ES3_jPlPS6_PKS6_NS0_5tupleIJS9_S6_EEENSD_IJSA_SA_EEENS0_18inequality_wrapperIZN2at6native12_GLOBAL__N_124unique_dim_cuda_templateIdEESt5tupleIJNSH_6TensorESM_SM_EERKSM_lbbbEUlllE0_EEPmJS6_EEE10hipError_tPvRmT3_T4_T5_T6_T7_T9_mT8_P12ihipStream_tbDpT10_ENKUlT_T0_E_clISt17integral_constantIbLb1EES1B_IbLb0EEEEDaS17_S18_EUlS17_E_NS1_11comp_targetILNS1_3genE2ELNS1_11target_archE906ELNS1_3gpuE6ELNS1_3repE0EEENS1_30default_config_static_selectorELNS0_4arch9wavefront6targetE0EEEvT1_,"axG",@progbits,_ZN7rocprim17ROCPRIM_400000_NS6detail17trampoline_kernelINS0_14default_configENS1_25partition_config_selectorILNS1_17partition_subalgoE8ElNS0_10empty_typeEbEEZZNS1_14partition_implILS5_8ELb0ES3_jPlPS6_PKS6_NS0_5tupleIJS9_S6_EEENSD_IJSA_SA_EEENS0_18inequality_wrapperIZN2at6native12_GLOBAL__N_124unique_dim_cuda_templateIdEESt5tupleIJNSH_6TensorESM_SM_EERKSM_lbbbEUlllE0_EEPmJS6_EEE10hipError_tPvRmT3_T4_T5_T6_T7_T9_mT8_P12ihipStream_tbDpT10_ENKUlT_T0_E_clISt17integral_constantIbLb1EES1B_IbLb0EEEEDaS17_S18_EUlS17_E_NS1_11comp_targetILNS1_3genE2ELNS1_11target_archE906ELNS1_3gpuE6ELNS1_3repE0EEENS1_30default_config_static_selectorELNS0_4arch9wavefront6targetE0EEEvT1_,comdat
.Lfunc_end827:
	.size	_ZN7rocprim17ROCPRIM_400000_NS6detail17trampoline_kernelINS0_14default_configENS1_25partition_config_selectorILNS1_17partition_subalgoE8ElNS0_10empty_typeEbEEZZNS1_14partition_implILS5_8ELb0ES3_jPlPS6_PKS6_NS0_5tupleIJS9_S6_EEENSD_IJSA_SA_EEENS0_18inequality_wrapperIZN2at6native12_GLOBAL__N_124unique_dim_cuda_templateIdEESt5tupleIJNSH_6TensorESM_SM_EERKSM_lbbbEUlllE0_EEPmJS6_EEE10hipError_tPvRmT3_T4_T5_T6_T7_T9_mT8_P12ihipStream_tbDpT10_ENKUlT_T0_E_clISt17integral_constantIbLb1EES1B_IbLb0EEEEDaS17_S18_EUlS17_E_NS1_11comp_targetILNS1_3genE2ELNS1_11target_archE906ELNS1_3gpuE6ELNS1_3repE0EEENS1_30default_config_static_selectorELNS0_4arch9wavefront6targetE0EEEvT1_, .Lfunc_end827-_ZN7rocprim17ROCPRIM_400000_NS6detail17trampoline_kernelINS0_14default_configENS1_25partition_config_selectorILNS1_17partition_subalgoE8ElNS0_10empty_typeEbEEZZNS1_14partition_implILS5_8ELb0ES3_jPlPS6_PKS6_NS0_5tupleIJS9_S6_EEENSD_IJSA_SA_EEENS0_18inequality_wrapperIZN2at6native12_GLOBAL__N_124unique_dim_cuda_templateIdEESt5tupleIJNSH_6TensorESM_SM_EERKSM_lbbbEUlllE0_EEPmJS6_EEE10hipError_tPvRmT3_T4_T5_T6_T7_T9_mT8_P12ihipStream_tbDpT10_ENKUlT_T0_E_clISt17integral_constantIbLb1EES1B_IbLb0EEEEDaS17_S18_EUlS17_E_NS1_11comp_targetILNS1_3genE2ELNS1_11target_archE906ELNS1_3gpuE6ELNS1_3repE0EEENS1_30default_config_static_selectorELNS0_4arch9wavefront6targetE0EEEvT1_
                                        ; -- End function
	.set _ZN7rocprim17ROCPRIM_400000_NS6detail17trampoline_kernelINS0_14default_configENS1_25partition_config_selectorILNS1_17partition_subalgoE8ElNS0_10empty_typeEbEEZZNS1_14partition_implILS5_8ELb0ES3_jPlPS6_PKS6_NS0_5tupleIJS9_S6_EEENSD_IJSA_SA_EEENS0_18inequality_wrapperIZN2at6native12_GLOBAL__N_124unique_dim_cuda_templateIdEESt5tupleIJNSH_6TensorESM_SM_EERKSM_lbbbEUlllE0_EEPmJS6_EEE10hipError_tPvRmT3_T4_T5_T6_T7_T9_mT8_P12ihipStream_tbDpT10_ENKUlT_T0_E_clISt17integral_constantIbLb1EES1B_IbLb0EEEEDaS17_S18_EUlS17_E_NS1_11comp_targetILNS1_3genE2ELNS1_11target_archE906ELNS1_3gpuE6ELNS1_3repE0EEENS1_30default_config_static_selectorELNS0_4arch9wavefront6targetE0EEEvT1_.num_vgpr, 0
	.set _ZN7rocprim17ROCPRIM_400000_NS6detail17trampoline_kernelINS0_14default_configENS1_25partition_config_selectorILNS1_17partition_subalgoE8ElNS0_10empty_typeEbEEZZNS1_14partition_implILS5_8ELb0ES3_jPlPS6_PKS6_NS0_5tupleIJS9_S6_EEENSD_IJSA_SA_EEENS0_18inequality_wrapperIZN2at6native12_GLOBAL__N_124unique_dim_cuda_templateIdEESt5tupleIJNSH_6TensorESM_SM_EERKSM_lbbbEUlllE0_EEPmJS6_EEE10hipError_tPvRmT3_T4_T5_T6_T7_T9_mT8_P12ihipStream_tbDpT10_ENKUlT_T0_E_clISt17integral_constantIbLb1EES1B_IbLb0EEEEDaS17_S18_EUlS17_E_NS1_11comp_targetILNS1_3genE2ELNS1_11target_archE906ELNS1_3gpuE6ELNS1_3repE0EEENS1_30default_config_static_selectorELNS0_4arch9wavefront6targetE0EEEvT1_.num_agpr, 0
	.set _ZN7rocprim17ROCPRIM_400000_NS6detail17trampoline_kernelINS0_14default_configENS1_25partition_config_selectorILNS1_17partition_subalgoE8ElNS0_10empty_typeEbEEZZNS1_14partition_implILS5_8ELb0ES3_jPlPS6_PKS6_NS0_5tupleIJS9_S6_EEENSD_IJSA_SA_EEENS0_18inequality_wrapperIZN2at6native12_GLOBAL__N_124unique_dim_cuda_templateIdEESt5tupleIJNSH_6TensorESM_SM_EERKSM_lbbbEUlllE0_EEPmJS6_EEE10hipError_tPvRmT3_T4_T5_T6_T7_T9_mT8_P12ihipStream_tbDpT10_ENKUlT_T0_E_clISt17integral_constantIbLb1EES1B_IbLb0EEEEDaS17_S18_EUlS17_E_NS1_11comp_targetILNS1_3genE2ELNS1_11target_archE906ELNS1_3gpuE6ELNS1_3repE0EEENS1_30default_config_static_selectorELNS0_4arch9wavefront6targetE0EEEvT1_.numbered_sgpr, 0
	.set _ZN7rocprim17ROCPRIM_400000_NS6detail17trampoline_kernelINS0_14default_configENS1_25partition_config_selectorILNS1_17partition_subalgoE8ElNS0_10empty_typeEbEEZZNS1_14partition_implILS5_8ELb0ES3_jPlPS6_PKS6_NS0_5tupleIJS9_S6_EEENSD_IJSA_SA_EEENS0_18inequality_wrapperIZN2at6native12_GLOBAL__N_124unique_dim_cuda_templateIdEESt5tupleIJNSH_6TensorESM_SM_EERKSM_lbbbEUlllE0_EEPmJS6_EEE10hipError_tPvRmT3_T4_T5_T6_T7_T9_mT8_P12ihipStream_tbDpT10_ENKUlT_T0_E_clISt17integral_constantIbLb1EES1B_IbLb0EEEEDaS17_S18_EUlS17_E_NS1_11comp_targetILNS1_3genE2ELNS1_11target_archE906ELNS1_3gpuE6ELNS1_3repE0EEENS1_30default_config_static_selectorELNS0_4arch9wavefront6targetE0EEEvT1_.num_named_barrier, 0
	.set _ZN7rocprim17ROCPRIM_400000_NS6detail17trampoline_kernelINS0_14default_configENS1_25partition_config_selectorILNS1_17partition_subalgoE8ElNS0_10empty_typeEbEEZZNS1_14partition_implILS5_8ELb0ES3_jPlPS6_PKS6_NS0_5tupleIJS9_S6_EEENSD_IJSA_SA_EEENS0_18inequality_wrapperIZN2at6native12_GLOBAL__N_124unique_dim_cuda_templateIdEESt5tupleIJNSH_6TensorESM_SM_EERKSM_lbbbEUlllE0_EEPmJS6_EEE10hipError_tPvRmT3_T4_T5_T6_T7_T9_mT8_P12ihipStream_tbDpT10_ENKUlT_T0_E_clISt17integral_constantIbLb1EES1B_IbLb0EEEEDaS17_S18_EUlS17_E_NS1_11comp_targetILNS1_3genE2ELNS1_11target_archE906ELNS1_3gpuE6ELNS1_3repE0EEENS1_30default_config_static_selectorELNS0_4arch9wavefront6targetE0EEEvT1_.private_seg_size, 0
	.set _ZN7rocprim17ROCPRIM_400000_NS6detail17trampoline_kernelINS0_14default_configENS1_25partition_config_selectorILNS1_17partition_subalgoE8ElNS0_10empty_typeEbEEZZNS1_14partition_implILS5_8ELb0ES3_jPlPS6_PKS6_NS0_5tupleIJS9_S6_EEENSD_IJSA_SA_EEENS0_18inequality_wrapperIZN2at6native12_GLOBAL__N_124unique_dim_cuda_templateIdEESt5tupleIJNSH_6TensorESM_SM_EERKSM_lbbbEUlllE0_EEPmJS6_EEE10hipError_tPvRmT3_T4_T5_T6_T7_T9_mT8_P12ihipStream_tbDpT10_ENKUlT_T0_E_clISt17integral_constantIbLb1EES1B_IbLb0EEEEDaS17_S18_EUlS17_E_NS1_11comp_targetILNS1_3genE2ELNS1_11target_archE906ELNS1_3gpuE6ELNS1_3repE0EEENS1_30default_config_static_selectorELNS0_4arch9wavefront6targetE0EEEvT1_.uses_vcc, 0
	.set _ZN7rocprim17ROCPRIM_400000_NS6detail17trampoline_kernelINS0_14default_configENS1_25partition_config_selectorILNS1_17partition_subalgoE8ElNS0_10empty_typeEbEEZZNS1_14partition_implILS5_8ELb0ES3_jPlPS6_PKS6_NS0_5tupleIJS9_S6_EEENSD_IJSA_SA_EEENS0_18inequality_wrapperIZN2at6native12_GLOBAL__N_124unique_dim_cuda_templateIdEESt5tupleIJNSH_6TensorESM_SM_EERKSM_lbbbEUlllE0_EEPmJS6_EEE10hipError_tPvRmT3_T4_T5_T6_T7_T9_mT8_P12ihipStream_tbDpT10_ENKUlT_T0_E_clISt17integral_constantIbLb1EES1B_IbLb0EEEEDaS17_S18_EUlS17_E_NS1_11comp_targetILNS1_3genE2ELNS1_11target_archE906ELNS1_3gpuE6ELNS1_3repE0EEENS1_30default_config_static_selectorELNS0_4arch9wavefront6targetE0EEEvT1_.uses_flat_scratch, 0
	.set _ZN7rocprim17ROCPRIM_400000_NS6detail17trampoline_kernelINS0_14default_configENS1_25partition_config_selectorILNS1_17partition_subalgoE8ElNS0_10empty_typeEbEEZZNS1_14partition_implILS5_8ELb0ES3_jPlPS6_PKS6_NS0_5tupleIJS9_S6_EEENSD_IJSA_SA_EEENS0_18inequality_wrapperIZN2at6native12_GLOBAL__N_124unique_dim_cuda_templateIdEESt5tupleIJNSH_6TensorESM_SM_EERKSM_lbbbEUlllE0_EEPmJS6_EEE10hipError_tPvRmT3_T4_T5_T6_T7_T9_mT8_P12ihipStream_tbDpT10_ENKUlT_T0_E_clISt17integral_constantIbLb1EES1B_IbLb0EEEEDaS17_S18_EUlS17_E_NS1_11comp_targetILNS1_3genE2ELNS1_11target_archE906ELNS1_3gpuE6ELNS1_3repE0EEENS1_30default_config_static_selectorELNS0_4arch9wavefront6targetE0EEEvT1_.has_dyn_sized_stack, 0
	.set _ZN7rocprim17ROCPRIM_400000_NS6detail17trampoline_kernelINS0_14default_configENS1_25partition_config_selectorILNS1_17partition_subalgoE8ElNS0_10empty_typeEbEEZZNS1_14partition_implILS5_8ELb0ES3_jPlPS6_PKS6_NS0_5tupleIJS9_S6_EEENSD_IJSA_SA_EEENS0_18inequality_wrapperIZN2at6native12_GLOBAL__N_124unique_dim_cuda_templateIdEESt5tupleIJNSH_6TensorESM_SM_EERKSM_lbbbEUlllE0_EEPmJS6_EEE10hipError_tPvRmT3_T4_T5_T6_T7_T9_mT8_P12ihipStream_tbDpT10_ENKUlT_T0_E_clISt17integral_constantIbLb1EES1B_IbLb0EEEEDaS17_S18_EUlS17_E_NS1_11comp_targetILNS1_3genE2ELNS1_11target_archE906ELNS1_3gpuE6ELNS1_3repE0EEENS1_30default_config_static_selectorELNS0_4arch9wavefront6targetE0EEEvT1_.has_recursion, 0
	.set _ZN7rocprim17ROCPRIM_400000_NS6detail17trampoline_kernelINS0_14default_configENS1_25partition_config_selectorILNS1_17partition_subalgoE8ElNS0_10empty_typeEbEEZZNS1_14partition_implILS5_8ELb0ES3_jPlPS6_PKS6_NS0_5tupleIJS9_S6_EEENSD_IJSA_SA_EEENS0_18inequality_wrapperIZN2at6native12_GLOBAL__N_124unique_dim_cuda_templateIdEESt5tupleIJNSH_6TensorESM_SM_EERKSM_lbbbEUlllE0_EEPmJS6_EEE10hipError_tPvRmT3_T4_T5_T6_T7_T9_mT8_P12ihipStream_tbDpT10_ENKUlT_T0_E_clISt17integral_constantIbLb1EES1B_IbLb0EEEEDaS17_S18_EUlS17_E_NS1_11comp_targetILNS1_3genE2ELNS1_11target_archE906ELNS1_3gpuE6ELNS1_3repE0EEENS1_30default_config_static_selectorELNS0_4arch9wavefront6targetE0EEEvT1_.has_indirect_call, 0
	.section	.AMDGPU.csdata,"",@progbits
; Kernel info:
; codeLenInByte = 0
; TotalNumSgprs: 0
; NumVgprs: 0
; ScratchSize: 0
; MemoryBound: 0
; FloatMode: 240
; IeeeMode: 1
; LDSByteSize: 0 bytes/workgroup (compile time only)
; SGPRBlocks: 0
; VGPRBlocks: 0
; NumSGPRsForWavesPerEU: 1
; NumVGPRsForWavesPerEU: 1
; NamedBarCnt: 0
; Occupancy: 16
; WaveLimiterHint : 0
; COMPUTE_PGM_RSRC2:SCRATCH_EN: 0
; COMPUTE_PGM_RSRC2:USER_SGPR: 2
; COMPUTE_PGM_RSRC2:TRAP_HANDLER: 0
; COMPUTE_PGM_RSRC2:TGID_X_EN: 1
; COMPUTE_PGM_RSRC2:TGID_Y_EN: 0
; COMPUTE_PGM_RSRC2:TGID_Z_EN: 0
; COMPUTE_PGM_RSRC2:TIDIG_COMP_CNT: 0
	.section	.text._ZN7rocprim17ROCPRIM_400000_NS6detail17trampoline_kernelINS0_14default_configENS1_25partition_config_selectorILNS1_17partition_subalgoE8ElNS0_10empty_typeEbEEZZNS1_14partition_implILS5_8ELb0ES3_jPlPS6_PKS6_NS0_5tupleIJS9_S6_EEENSD_IJSA_SA_EEENS0_18inequality_wrapperIZN2at6native12_GLOBAL__N_124unique_dim_cuda_templateIdEESt5tupleIJNSH_6TensorESM_SM_EERKSM_lbbbEUlllE0_EEPmJS6_EEE10hipError_tPvRmT3_T4_T5_T6_T7_T9_mT8_P12ihipStream_tbDpT10_ENKUlT_T0_E_clISt17integral_constantIbLb1EES1B_IbLb0EEEEDaS17_S18_EUlS17_E_NS1_11comp_targetILNS1_3genE10ELNS1_11target_archE1200ELNS1_3gpuE4ELNS1_3repE0EEENS1_30default_config_static_selectorELNS0_4arch9wavefront6targetE0EEEvT1_,"axG",@progbits,_ZN7rocprim17ROCPRIM_400000_NS6detail17trampoline_kernelINS0_14default_configENS1_25partition_config_selectorILNS1_17partition_subalgoE8ElNS0_10empty_typeEbEEZZNS1_14partition_implILS5_8ELb0ES3_jPlPS6_PKS6_NS0_5tupleIJS9_S6_EEENSD_IJSA_SA_EEENS0_18inequality_wrapperIZN2at6native12_GLOBAL__N_124unique_dim_cuda_templateIdEESt5tupleIJNSH_6TensorESM_SM_EERKSM_lbbbEUlllE0_EEPmJS6_EEE10hipError_tPvRmT3_T4_T5_T6_T7_T9_mT8_P12ihipStream_tbDpT10_ENKUlT_T0_E_clISt17integral_constantIbLb1EES1B_IbLb0EEEEDaS17_S18_EUlS17_E_NS1_11comp_targetILNS1_3genE10ELNS1_11target_archE1200ELNS1_3gpuE4ELNS1_3repE0EEENS1_30default_config_static_selectorELNS0_4arch9wavefront6targetE0EEEvT1_,comdat
	.globl	_ZN7rocprim17ROCPRIM_400000_NS6detail17trampoline_kernelINS0_14default_configENS1_25partition_config_selectorILNS1_17partition_subalgoE8ElNS0_10empty_typeEbEEZZNS1_14partition_implILS5_8ELb0ES3_jPlPS6_PKS6_NS0_5tupleIJS9_S6_EEENSD_IJSA_SA_EEENS0_18inequality_wrapperIZN2at6native12_GLOBAL__N_124unique_dim_cuda_templateIdEESt5tupleIJNSH_6TensorESM_SM_EERKSM_lbbbEUlllE0_EEPmJS6_EEE10hipError_tPvRmT3_T4_T5_T6_T7_T9_mT8_P12ihipStream_tbDpT10_ENKUlT_T0_E_clISt17integral_constantIbLb1EES1B_IbLb0EEEEDaS17_S18_EUlS17_E_NS1_11comp_targetILNS1_3genE10ELNS1_11target_archE1200ELNS1_3gpuE4ELNS1_3repE0EEENS1_30default_config_static_selectorELNS0_4arch9wavefront6targetE0EEEvT1_ ; -- Begin function _ZN7rocprim17ROCPRIM_400000_NS6detail17trampoline_kernelINS0_14default_configENS1_25partition_config_selectorILNS1_17partition_subalgoE8ElNS0_10empty_typeEbEEZZNS1_14partition_implILS5_8ELb0ES3_jPlPS6_PKS6_NS0_5tupleIJS9_S6_EEENSD_IJSA_SA_EEENS0_18inequality_wrapperIZN2at6native12_GLOBAL__N_124unique_dim_cuda_templateIdEESt5tupleIJNSH_6TensorESM_SM_EERKSM_lbbbEUlllE0_EEPmJS6_EEE10hipError_tPvRmT3_T4_T5_T6_T7_T9_mT8_P12ihipStream_tbDpT10_ENKUlT_T0_E_clISt17integral_constantIbLb1EES1B_IbLb0EEEEDaS17_S18_EUlS17_E_NS1_11comp_targetILNS1_3genE10ELNS1_11target_archE1200ELNS1_3gpuE4ELNS1_3repE0EEENS1_30default_config_static_selectorELNS0_4arch9wavefront6targetE0EEEvT1_
	.p2align	8
	.type	_ZN7rocprim17ROCPRIM_400000_NS6detail17trampoline_kernelINS0_14default_configENS1_25partition_config_selectorILNS1_17partition_subalgoE8ElNS0_10empty_typeEbEEZZNS1_14partition_implILS5_8ELb0ES3_jPlPS6_PKS6_NS0_5tupleIJS9_S6_EEENSD_IJSA_SA_EEENS0_18inequality_wrapperIZN2at6native12_GLOBAL__N_124unique_dim_cuda_templateIdEESt5tupleIJNSH_6TensorESM_SM_EERKSM_lbbbEUlllE0_EEPmJS6_EEE10hipError_tPvRmT3_T4_T5_T6_T7_T9_mT8_P12ihipStream_tbDpT10_ENKUlT_T0_E_clISt17integral_constantIbLb1EES1B_IbLb0EEEEDaS17_S18_EUlS17_E_NS1_11comp_targetILNS1_3genE10ELNS1_11target_archE1200ELNS1_3gpuE4ELNS1_3repE0EEENS1_30default_config_static_selectorELNS0_4arch9wavefront6targetE0EEEvT1_,@function
_ZN7rocprim17ROCPRIM_400000_NS6detail17trampoline_kernelINS0_14default_configENS1_25partition_config_selectorILNS1_17partition_subalgoE8ElNS0_10empty_typeEbEEZZNS1_14partition_implILS5_8ELb0ES3_jPlPS6_PKS6_NS0_5tupleIJS9_S6_EEENSD_IJSA_SA_EEENS0_18inequality_wrapperIZN2at6native12_GLOBAL__N_124unique_dim_cuda_templateIdEESt5tupleIJNSH_6TensorESM_SM_EERKSM_lbbbEUlllE0_EEPmJS6_EEE10hipError_tPvRmT3_T4_T5_T6_T7_T9_mT8_P12ihipStream_tbDpT10_ENKUlT_T0_E_clISt17integral_constantIbLb1EES1B_IbLb0EEEEDaS17_S18_EUlS17_E_NS1_11comp_targetILNS1_3genE10ELNS1_11target_archE1200ELNS1_3gpuE4ELNS1_3repE0EEENS1_30default_config_static_selectorELNS0_4arch9wavefront6targetE0EEEvT1_: ; @_ZN7rocprim17ROCPRIM_400000_NS6detail17trampoline_kernelINS0_14default_configENS1_25partition_config_selectorILNS1_17partition_subalgoE8ElNS0_10empty_typeEbEEZZNS1_14partition_implILS5_8ELb0ES3_jPlPS6_PKS6_NS0_5tupleIJS9_S6_EEENSD_IJSA_SA_EEENS0_18inequality_wrapperIZN2at6native12_GLOBAL__N_124unique_dim_cuda_templateIdEESt5tupleIJNSH_6TensorESM_SM_EERKSM_lbbbEUlllE0_EEPmJS6_EEE10hipError_tPvRmT3_T4_T5_T6_T7_T9_mT8_P12ihipStream_tbDpT10_ENKUlT_T0_E_clISt17integral_constantIbLb1EES1B_IbLb0EEEEDaS17_S18_EUlS17_E_NS1_11comp_targetILNS1_3genE10ELNS1_11target_archE1200ELNS1_3gpuE4ELNS1_3repE0EEENS1_30default_config_static_selectorELNS0_4arch9wavefront6targetE0EEEvT1_
; %bb.0:
	.section	.rodata,"a",@progbits
	.p2align	6, 0x0
	.amdhsa_kernel _ZN7rocprim17ROCPRIM_400000_NS6detail17trampoline_kernelINS0_14default_configENS1_25partition_config_selectorILNS1_17partition_subalgoE8ElNS0_10empty_typeEbEEZZNS1_14partition_implILS5_8ELb0ES3_jPlPS6_PKS6_NS0_5tupleIJS9_S6_EEENSD_IJSA_SA_EEENS0_18inequality_wrapperIZN2at6native12_GLOBAL__N_124unique_dim_cuda_templateIdEESt5tupleIJNSH_6TensorESM_SM_EERKSM_lbbbEUlllE0_EEPmJS6_EEE10hipError_tPvRmT3_T4_T5_T6_T7_T9_mT8_P12ihipStream_tbDpT10_ENKUlT_T0_E_clISt17integral_constantIbLb1EES1B_IbLb0EEEEDaS17_S18_EUlS17_E_NS1_11comp_targetILNS1_3genE10ELNS1_11target_archE1200ELNS1_3gpuE4ELNS1_3repE0EEENS1_30default_config_static_selectorELNS0_4arch9wavefront6targetE0EEEvT1_
		.amdhsa_group_segment_fixed_size 0
		.amdhsa_private_segment_fixed_size 0
		.amdhsa_kernarg_size 120
		.amdhsa_user_sgpr_count 2
		.amdhsa_user_sgpr_dispatch_ptr 0
		.amdhsa_user_sgpr_queue_ptr 0
		.amdhsa_user_sgpr_kernarg_segment_ptr 1
		.amdhsa_user_sgpr_dispatch_id 0
		.amdhsa_user_sgpr_kernarg_preload_length 0
		.amdhsa_user_sgpr_kernarg_preload_offset 0
		.amdhsa_user_sgpr_private_segment_size 0
		.amdhsa_wavefront_size32 1
		.amdhsa_uses_dynamic_stack 0
		.amdhsa_enable_private_segment 0
		.amdhsa_system_sgpr_workgroup_id_x 1
		.amdhsa_system_sgpr_workgroup_id_y 0
		.amdhsa_system_sgpr_workgroup_id_z 0
		.amdhsa_system_sgpr_workgroup_info 0
		.amdhsa_system_vgpr_workitem_id 0
		.amdhsa_next_free_vgpr 1
		.amdhsa_next_free_sgpr 1
		.amdhsa_named_barrier_count 0
		.amdhsa_reserve_vcc 0
		.amdhsa_float_round_mode_32 0
		.amdhsa_float_round_mode_16_64 0
		.amdhsa_float_denorm_mode_32 3
		.amdhsa_float_denorm_mode_16_64 3
		.amdhsa_fp16_overflow 0
		.amdhsa_memory_ordered 1
		.amdhsa_forward_progress 1
		.amdhsa_inst_pref_size 0
		.amdhsa_round_robin_scheduling 0
		.amdhsa_exception_fp_ieee_invalid_op 0
		.amdhsa_exception_fp_denorm_src 0
		.amdhsa_exception_fp_ieee_div_zero 0
		.amdhsa_exception_fp_ieee_overflow 0
		.amdhsa_exception_fp_ieee_underflow 0
		.amdhsa_exception_fp_ieee_inexact 0
		.amdhsa_exception_int_div_zero 0
	.end_amdhsa_kernel
	.section	.text._ZN7rocprim17ROCPRIM_400000_NS6detail17trampoline_kernelINS0_14default_configENS1_25partition_config_selectorILNS1_17partition_subalgoE8ElNS0_10empty_typeEbEEZZNS1_14partition_implILS5_8ELb0ES3_jPlPS6_PKS6_NS0_5tupleIJS9_S6_EEENSD_IJSA_SA_EEENS0_18inequality_wrapperIZN2at6native12_GLOBAL__N_124unique_dim_cuda_templateIdEESt5tupleIJNSH_6TensorESM_SM_EERKSM_lbbbEUlllE0_EEPmJS6_EEE10hipError_tPvRmT3_T4_T5_T6_T7_T9_mT8_P12ihipStream_tbDpT10_ENKUlT_T0_E_clISt17integral_constantIbLb1EES1B_IbLb0EEEEDaS17_S18_EUlS17_E_NS1_11comp_targetILNS1_3genE10ELNS1_11target_archE1200ELNS1_3gpuE4ELNS1_3repE0EEENS1_30default_config_static_selectorELNS0_4arch9wavefront6targetE0EEEvT1_,"axG",@progbits,_ZN7rocprim17ROCPRIM_400000_NS6detail17trampoline_kernelINS0_14default_configENS1_25partition_config_selectorILNS1_17partition_subalgoE8ElNS0_10empty_typeEbEEZZNS1_14partition_implILS5_8ELb0ES3_jPlPS6_PKS6_NS0_5tupleIJS9_S6_EEENSD_IJSA_SA_EEENS0_18inequality_wrapperIZN2at6native12_GLOBAL__N_124unique_dim_cuda_templateIdEESt5tupleIJNSH_6TensorESM_SM_EERKSM_lbbbEUlllE0_EEPmJS6_EEE10hipError_tPvRmT3_T4_T5_T6_T7_T9_mT8_P12ihipStream_tbDpT10_ENKUlT_T0_E_clISt17integral_constantIbLb1EES1B_IbLb0EEEEDaS17_S18_EUlS17_E_NS1_11comp_targetILNS1_3genE10ELNS1_11target_archE1200ELNS1_3gpuE4ELNS1_3repE0EEENS1_30default_config_static_selectorELNS0_4arch9wavefront6targetE0EEEvT1_,comdat
.Lfunc_end828:
	.size	_ZN7rocprim17ROCPRIM_400000_NS6detail17trampoline_kernelINS0_14default_configENS1_25partition_config_selectorILNS1_17partition_subalgoE8ElNS0_10empty_typeEbEEZZNS1_14partition_implILS5_8ELb0ES3_jPlPS6_PKS6_NS0_5tupleIJS9_S6_EEENSD_IJSA_SA_EEENS0_18inequality_wrapperIZN2at6native12_GLOBAL__N_124unique_dim_cuda_templateIdEESt5tupleIJNSH_6TensorESM_SM_EERKSM_lbbbEUlllE0_EEPmJS6_EEE10hipError_tPvRmT3_T4_T5_T6_T7_T9_mT8_P12ihipStream_tbDpT10_ENKUlT_T0_E_clISt17integral_constantIbLb1EES1B_IbLb0EEEEDaS17_S18_EUlS17_E_NS1_11comp_targetILNS1_3genE10ELNS1_11target_archE1200ELNS1_3gpuE4ELNS1_3repE0EEENS1_30default_config_static_selectorELNS0_4arch9wavefront6targetE0EEEvT1_, .Lfunc_end828-_ZN7rocprim17ROCPRIM_400000_NS6detail17trampoline_kernelINS0_14default_configENS1_25partition_config_selectorILNS1_17partition_subalgoE8ElNS0_10empty_typeEbEEZZNS1_14partition_implILS5_8ELb0ES3_jPlPS6_PKS6_NS0_5tupleIJS9_S6_EEENSD_IJSA_SA_EEENS0_18inequality_wrapperIZN2at6native12_GLOBAL__N_124unique_dim_cuda_templateIdEESt5tupleIJNSH_6TensorESM_SM_EERKSM_lbbbEUlllE0_EEPmJS6_EEE10hipError_tPvRmT3_T4_T5_T6_T7_T9_mT8_P12ihipStream_tbDpT10_ENKUlT_T0_E_clISt17integral_constantIbLb1EES1B_IbLb0EEEEDaS17_S18_EUlS17_E_NS1_11comp_targetILNS1_3genE10ELNS1_11target_archE1200ELNS1_3gpuE4ELNS1_3repE0EEENS1_30default_config_static_selectorELNS0_4arch9wavefront6targetE0EEEvT1_
                                        ; -- End function
	.set _ZN7rocprim17ROCPRIM_400000_NS6detail17trampoline_kernelINS0_14default_configENS1_25partition_config_selectorILNS1_17partition_subalgoE8ElNS0_10empty_typeEbEEZZNS1_14partition_implILS5_8ELb0ES3_jPlPS6_PKS6_NS0_5tupleIJS9_S6_EEENSD_IJSA_SA_EEENS0_18inequality_wrapperIZN2at6native12_GLOBAL__N_124unique_dim_cuda_templateIdEESt5tupleIJNSH_6TensorESM_SM_EERKSM_lbbbEUlllE0_EEPmJS6_EEE10hipError_tPvRmT3_T4_T5_T6_T7_T9_mT8_P12ihipStream_tbDpT10_ENKUlT_T0_E_clISt17integral_constantIbLb1EES1B_IbLb0EEEEDaS17_S18_EUlS17_E_NS1_11comp_targetILNS1_3genE10ELNS1_11target_archE1200ELNS1_3gpuE4ELNS1_3repE0EEENS1_30default_config_static_selectorELNS0_4arch9wavefront6targetE0EEEvT1_.num_vgpr, 0
	.set _ZN7rocprim17ROCPRIM_400000_NS6detail17trampoline_kernelINS0_14default_configENS1_25partition_config_selectorILNS1_17partition_subalgoE8ElNS0_10empty_typeEbEEZZNS1_14partition_implILS5_8ELb0ES3_jPlPS6_PKS6_NS0_5tupleIJS9_S6_EEENSD_IJSA_SA_EEENS0_18inequality_wrapperIZN2at6native12_GLOBAL__N_124unique_dim_cuda_templateIdEESt5tupleIJNSH_6TensorESM_SM_EERKSM_lbbbEUlllE0_EEPmJS6_EEE10hipError_tPvRmT3_T4_T5_T6_T7_T9_mT8_P12ihipStream_tbDpT10_ENKUlT_T0_E_clISt17integral_constantIbLb1EES1B_IbLb0EEEEDaS17_S18_EUlS17_E_NS1_11comp_targetILNS1_3genE10ELNS1_11target_archE1200ELNS1_3gpuE4ELNS1_3repE0EEENS1_30default_config_static_selectorELNS0_4arch9wavefront6targetE0EEEvT1_.num_agpr, 0
	.set _ZN7rocprim17ROCPRIM_400000_NS6detail17trampoline_kernelINS0_14default_configENS1_25partition_config_selectorILNS1_17partition_subalgoE8ElNS0_10empty_typeEbEEZZNS1_14partition_implILS5_8ELb0ES3_jPlPS6_PKS6_NS0_5tupleIJS9_S6_EEENSD_IJSA_SA_EEENS0_18inequality_wrapperIZN2at6native12_GLOBAL__N_124unique_dim_cuda_templateIdEESt5tupleIJNSH_6TensorESM_SM_EERKSM_lbbbEUlllE0_EEPmJS6_EEE10hipError_tPvRmT3_T4_T5_T6_T7_T9_mT8_P12ihipStream_tbDpT10_ENKUlT_T0_E_clISt17integral_constantIbLb1EES1B_IbLb0EEEEDaS17_S18_EUlS17_E_NS1_11comp_targetILNS1_3genE10ELNS1_11target_archE1200ELNS1_3gpuE4ELNS1_3repE0EEENS1_30default_config_static_selectorELNS0_4arch9wavefront6targetE0EEEvT1_.numbered_sgpr, 0
	.set _ZN7rocprim17ROCPRIM_400000_NS6detail17trampoline_kernelINS0_14default_configENS1_25partition_config_selectorILNS1_17partition_subalgoE8ElNS0_10empty_typeEbEEZZNS1_14partition_implILS5_8ELb0ES3_jPlPS6_PKS6_NS0_5tupleIJS9_S6_EEENSD_IJSA_SA_EEENS0_18inequality_wrapperIZN2at6native12_GLOBAL__N_124unique_dim_cuda_templateIdEESt5tupleIJNSH_6TensorESM_SM_EERKSM_lbbbEUlllE0_EEPmJS6_EEE10hipError_tPvRmT3_T4_T5_T6_T7_T9_mT8_P12ihipStream_tbDpT10_ENKUlT_T0_E_clISt17integral_constantIbLb1EES1B_IbLb0EEEEDaS17_S18_EUlS17_E_NS1_11comp_targetILNS1_3genE10ELNS1_11target_archE1200ELNS1_3gpuE4ELNS1_3repE0EEENS1_30default_config_static_selectorELNS0_4arch9wavefront6targetE0EEEvT1_.num_named_barrier, 0
	.set _ZN7rocprim17ROCPRIM_400000_NS6detail17trampoline_kernelINS0_14default_configENS1_25partition_config_selectorILNS1_17partition_subalgoE8ElNS0_10empty_typeEbEEZZNS1_14partition_implILS5_8ELb0ES3_jPlPS6_PKS6_NS0_5tupleIJS9_S6_EEENSD_IJSA_SA_EEENS0_18inequality_wrapperIZN2at6native12_GLOBAL__N_124unique_dim_cuda_templateIdEESt5tupleIJNSH_6TensorESM_SM_EERKSM_lbbbEUlllE0_EEPmJS6_EEE10hipError_tPvRmT3_T4_T5_T6_T7_T9_mT8_P12ihipStream_tbDpT10_ENKUlT_T0_E_clISt17integral_constantIbLb1EES1B_IbLb0EEEEDaS17_S18_EUlS17_E_NS1_11comp_targetILNS1_3genE10ELNS1_11target_archE1200ELNS1_3gpuE4ELNS1_3repE0EEENS1_30default_config_static_selectorELNS0_4arch9wavefront6targetE0EEEvT1_.private_seg_size, 0
	.set _ZN7rocprim17ROCPRIM_400000_NS6detail17trampoline_kernelINS0_14default_configENS1_25partition_config_selectorILNS1_17partition_subalgoE8ElNS0_10empty_typeEbEEZZNS1_14partition_implILS5_8ELb0ES3_jPlPS6_PKS6_NS0_5tupleIJS9_S6_EEENSD_IJSA_SA_EEENS0_18inequality_wrapperIZN2at6native12_GLOBAL__N_124unique_dim_cuda_templateIdEESt5tupleIJNSH_6TensorESM_SM_EERKSM_lbbbEUlllE0_EEPmJS6_EEE10hipError_tPvRmT3_T4_T5_T6_T7_T9_mT8_P12ihipStream_tbDpT10_ENKUlT_T0_E_clISt17integral_constantIbLb1EES1B_IbLb0EEEEDaS17_S18_EUlS17_E_NS1_11comp_targetILNS1_3genE10ELNS1_11target_archE1200ELNS1_3gpuE4ELNS1_3repE0EEENS1_30default_config_static_selectorELNS0_4arch9wavefront6targetE0EEEvT1_.uses_vcc, 0
	.set _ZN7rocprim17ROCPRIM_400000_NS6detail17trampoline_kernelINS0_14default_configENS1_25partition_config_selectorILNS1_17partition_subalgoE8ElNS0_10empty_typeEbEEZZNS1_14partition_implILS5_8ELb0ES3_jPlPS6_PKS6_NS0_5tupleIJS9_S6_EEENSD_IJSA_SA_EEENS0_18inequality_wrapperIZN2at6native12_GLOBAL__N_124unique_dim_cuda_templateIdEESt5tupleIJNSH_6TensorESM_SM_EERKSM_lbbbEUlllE0_EEPmJS6_EEE10hipError_tPvRmT3_T4_T5_T6_T7_T9_mT8_P12ihipStream_tbDpT10_ENKUlT_T0_E_clISt17integral_constantIbLb1EES1B_IbLb0EEEEDaS17_S18_EUlS17_E_NS1_11comp_targetILNS1_3genE10ELNS1_11target_archE1200ELNS1_3gpuE4ELNS1_3repE0EEENS1_30default_config_static_selectorELNS0_4arch9wavefront6targetE0EEEvT1_.uses_flat_scratch, 0
	.set _ZN7rocprim17ROCPRIM_400000_NS6detail17trampoline_kernelINS0_14default_configENS1_25partition_config_selectorILNS1_17partition_subalgoE8ElNS0_10empty_typeEbEEZZNS1_14partition_implILS5_8ELb0ES3_jPlPS6_PKS6_NS0_5tupleIJS9_S6_EEENSD_IJSA_SA_EEENS0_18inequality_wrapperIZN2at6native12_GLOBAL__N_124unique_dim_cuda_templateIdEESt5tupleIJNSH_6TensorESM_SM_EERKSM_lbbbEUlllE0_EEPmJS6_EEE10hipError_tPvRmT3_T4_T5_T6_T7_T9_mT8_P12ihipStream_tbDpT10_ENKUlT_T0_E_clISt17integral_constantIbLb1EES1B_IbLb0EEEEDaS17_S18_EUlS17_E_NS1_11comp_targetILNS1_3genE10ELNS1_11target_archE1200ELNS1_3gpuE4ELNS1_3repE0EEENS1_30default_config_static_selectorELNS0_4arch9wavefront6targetE0EEEvT1_.has_dyn_sized_stack, 0
	.set _ZN7rocprim17ROCPRIM_400000_NS6detail17trampoline_kernelINS0_14default_configENS1_25partition_config_selectorILNS1_17partition_subalgoE8ElNS0_10empty_typeEbEEZZNS1_14partition_implILS5_8ELb0ES3_jPlPS6_PKS6_NS0_5tupleIJS9_S6_EEENSD_IJSA_SA_EEENS0_18inequality_wrapperIZN2at6native12_GLOBAL__N_124unique_dim_cuda_templateIdEESt5tupleIJNSH_6TensorESM_SM_EERKSM_lbbbEUlllE0_EEPmJS6_EEE10hipError_tPvRmT3_T4_T5_T6_T7_T9_mT8_P12ihipStream_tbDpT10_ENKUlT_T0_E_clISt17integral_constantIbLb1EES1B_IbLb0EEEEDaS17_S18_EUlS17_E_NS1_11comp_targetILNS1_3genE10ELNS1_11target_archE1200ELNS1_3gpuE4ELNS1_3repE0EEENS1_30default_config_static_selectorELNS0_4arch9wavefront6targetE0EEEvT1_.has_recursion, 0
	.set _ZN7rocprim17ROCPRIM_400000_NS6detail17trampoline_kernelINS0_14default_configENS1_25partition_config_selectorILNS1_17partition_subalgoE8ElNS0_10empty_typeEbEEZZNS1_14partition_implILS5_8ELb0ES3_jPlPS6_PKS6_NS0_5tupleIJS9_S6_EEENSD_IJSA_SA_EEENS0_18inequality_wrapperIZN2at6native12_GLOBAL__N_124unique_dim_cuda_templateIdEESt5tupleIJNSH_6TensorESM_SM_EERKSM_lbbbEUlllE0_EEPmJS6_EEE10hipError_tPvRmT3_T4_T5_T6_T7_T9_mT8_P12ihipStream_tbDpT10_ENKUlT_T0_E_clISt17integral_constantIbLb1EES1B_IbLb0EEEEDaS17_S18_EUlS17_E_NS1_11comp_targetILNS1_3genE10ELNS1_11target_archE1200ELNS1_3gpuE4ELNS1_3repE0EEENS1_30default_config_static_selectorELNS0_4arch9wavefront6targetE0EEEvT1_.has_indirect_call, 0
	.section	.AMDGPU.csdata,"",@progbits
; Kernel info:
; codeLenInByte = 0
; TotalNumSgprs: 0
; NumVgprs: 0
; ScratchSize: 0
; MemoryBound: 0
; FloatMode: 240
; IeeeMode: 1
; LDSByteSize: 0 bytes/workgroup (compile time only)
; SGPRBlocks: 0
; VGPRBlocks: 0
; NumSGPRsForWavesPerEU: 1
; NumVGPRsForWavesPerEU: 1
; NamedBarCnt: 0
; Occupancy: 16
; WaveLimiterHint : 0
; COMPUTE_PGM_RSRC2:SCRATCH_EN: 0
; COMPUTE_PGM_RSRC2:USER_SGPR: 2
; COMPUTE_PGM_RSRC2:TRAP_HANDLER: 0
; COMPUTE_PGM_RSRC2:TGID_X_EN: 1
; COMPUTE_PGM_RSRC2:TGID_Y_EN: 0
; COMPUTE_PGM_RSRC2:TGID_Z_EN: 0
; COMPUTE_PGM_RSRC2:TIDIG_COMP_CNT: 0
	.section	.text._ZN7rocprim17ROCPRIM_400000_NS6detail17trampoline_kernelINS0_14default_configENS1_25partition_config_selectorILNS1_17partition_subalgoE8ElNS0_10empty_typeEbEEZZNS1_14partition_implILS5_8ELb0ES3_jPlPS6_PKS6_NS0_5tupleIJS9_S6_EEENSD_IJSA_SA_EEENS0_18inequality_wrapperIZN2at6native12_GLOBAL__N_124unique_dim_cuda_templateIdEESt5tupleIJNSH_6TensorESM_SM_EERKSM_lbbbEUlllE0_EEPmJS6_EEE10hipError_tPvRmT3_T4_T5_T6_T7_T9_mT8_P12ihipStream_tbDpT10_ENKUlT_T0_E_clISt17integral_constantIbLb1EES1B_IbLb0EEEEDaS17_S18_EUlS17_E_NS1_11comp_targetILNS1_3genE9ELNS1_11target_archE1100ELNS1_3gpuE3ELNS1_3repE0EEENS1_30default_config_static_selectorELNS0_4arch9wavefront6targetE0EEEvT1_,"axG",@progbits,_ZN7rocprim17ROCPRIM_400000_NS6detail17trampoline_kernelINS0_14default_configENS1_25partition_config_selectorILNS1_17partition_subalgoE8ElNS0_10empty_typeEbEEZZNS1_14partition_implILS5_8ELb0ES3_jPlPS6_PKS6_NS0_5tupleIJS9_S6_EEENSD_IJSA_SA_EEENS0_18inequality_wrapperIZN2at6native12_GLOBAL__N_124unique_dim_cuda_templateIdEESt5tupleIJNSH_6TensorESM_SM_EERKSM_lbbbEUlllE0_EEPmJS6_EEE10hipError_tPvRmT3_T4_T5_T6_T7_T9_mT8_P12ihipStream_tbDpT10_ENKUlT_T0_E_clISt17integral_constantIbLb1EES1B_IbLb0EEEEDaS17_S18_EUlS17_E_NS1_11comp_targetILNS1_3genE9ELNS1_11target_archE1100ELNS1_3gpuE3ELNS1_3repE0EEENS1_30default_config_static_selectorELNS0_4arch9wavefront6targetE0EEEvT1_,comdat
	.globl	_ZN7rocprim17ROCPRIM_400000_NS6detail17trampoline_kernelINS0_14default_configENS1_25partition_config_selectorILNS1_17partition_subalgoE8ElNS0_10empty_typeEbEEZZNS1_14partition_implILS5_8ELb0ES3_jPlPS6_PKS6_NS0_5tupleIJS9_S6_EEENSD_IJSA_SA_EEENS0_18inequality_wrapperIZN2at6native12_GLOBAL__N_124unique_dim_cuda_templateIdEESt5tupleIJNSH_6TensorESM_SM_EERKSM_lbbbEUlllE0_EEPmJS6_EEE10hipError_tPvRmT3_T4_T5_T6_T7_T9_mT8_P12ihipStream_tbDpT10_ENKUlT_T0_E_clISt17integral_constantIbLb1EES1B_IbLb0EEEEDaS17_S18_EUlS17_E_NS1_11comp_targetILNS1_3genE9ELNS1_11target_archE1100ELNS1_3gpuE3ELNS1_3repE0EEENS1_30default_config_static_selectorELNS0_4arch9wavefront6targetE0EEEvT1_ ; -- Begin function _ZN7rocprim17ROCPRIM_400000_NS6detail17trampoline_kernelINS0_14default_configENS1_25partition_config_selectorILNS1_17partition_subalgoE8ElNS0_10empty_typeEbEEZZNS1_14partition_implILS5_8ELb0ES3_jPlPS6_PKS6_NS0_5tupleIJS9_S6_EEENSD_IJSA_SA_EEENS0_18inequality_wrapperIZN2at6native12_GLOBAL__N_124unique_dim_cuda_templateIdEESt5tupleIJNSH_6TensorESM_SM_EERKSM_lbbbEUlllE0_EEPmJS6_EEE10hipError_tPvRmT3_T4_T5_T6_T7_T9_mT8_P12ihipStream_tbDpT10_ENKUlT_T0_E_clISt17integral_constantIbLb1EES1B_IbLb0EEEEDaS17_S18_EUlS17_E_NS1_11comp_targetILNS1_3genE9ELNS1_11target_archE1100ELNS1_3gpuE3ELNS1_3repE0EEENS1_30default_config_static_selectorELNS0_4arch9wavefront6targetE0EEEvT1_
	.p2align	8
	.type	_ZN7rocprim17ROCPRIM_400000_NS6detail17trampoline_kernelINS0_14default_configENS1_25partition_config_selectorILNS1_17partition_subalgoE8ElNS0_10empty_typeEbEEZZNS1_14partition_implILS5_8ELb0ES3_jPlPS6_PKS6_NS0_5tupleIJS9_S6_EEENSD_IJSA_SA_EEENS0_18inequality_wrapperIZN2at6native12_GLOBAL__N_124unique_dim_cuda_templateIdEESt5tupleIJNSH_6TensorESM_SM_EERKSM_lbbbEUlllE0_EEPmJS6_EEE10hipError_tPvRmT3_T4_T5_T6_T7_T9_mT8_P12ihipStream_tbDpT10_ENKUlT_T0_E_clISt17integral_constantIbLb1EES1B_IbLb0EEEEDaS17_S18_EUlS17_E_NS1_11comp_targetILNS1_3genE9ELNS1_11target_archE1100ELNS1_3gpuE3ELNS1_3repE0EEENS1_30default_config_static_selectorELNS0_4arch9wavefront6targetE0EEEvT1_,@function
_ZN7rocprim17ROCPRIM_400000_NS6detail17trampoline_kernelINS0_14default_configENS1_25partition_config_selectorILNS1_17partition_subalgoE8ElNS0_10empty_typeEbEEZZNS1_14partition_implILS5_8ELb0ES3_jPlPS6_PKS6_NS0_5tupleIJS9_S6_EEENSD_IJSA_SA_EEENS0_18inequality_wrapperIZN2at6native12_GLOBAL__N_124unique_dim_cuda_templateIdEESt5tupleIJNSH_6TensorESM_SM_EERKSM_lbbbEUlllE0_EEPmJS6_EEE10hipError_tPvRmT3_T4_T5_T6_T7_T9_mT8_P12ihipStream_tbDpT10_ENKUlT_T0_E_clISt17integral_constantIbLb1EES1B_IbLb0EEEEDaS17_S18_EUlS17_E_NS1_11comp_targetILNS1_3genE9ELNS1_11target_archE1100ELNS1_3gpuE3ELNS1_3repE0EEENS1_30default_config_static_selectorELNS0_4arch9wavefront6targetE0EEEvT1_: ; @_ZN7rocprim17ROCPRIM_400000_NS6detail17trampoline_kernelINS0_14default_configENS1_25partition_config_selectorILNS1_17partition_subalgoE8ElNS0_10empty_typeEbEEZZNS1_14partition_implILS5_8ELb0ES3_jPlPS6_PKS6_NS0_5tupleIJS9_S6_EEENSD_IJSA_SA_EEENS0_18inequality_wrapperIZN2at6native12_GLOBAL__N_124unique_dim_cuda_templateIdEESt5tupleIJNSH_6TensorESM_SM_EERKSM_lbbbEUlllE0_EEPmJS6_EEE10hipError_tPvRmT3_T4_T5_T6_T7_T9_mT8_P12ihipStream_tbDpT10_ENKUlT_T0_E_clISt17integral_constantIbLb1EES1B_IbLb0EEEEDaS17_S18_EUlS17_E_NS1_11comp_targetILNS1_3genE9ELNS1_11target_archE1100ELNS1_3gpuE3ELNS1_3repE0EEENS1_30default_config_static_selectorELNS0_4arch9wavefront6targetE0EEEvT1_
; %bb.0:
	.section	.rodata,"a",@progbits
	.p2align	6, 0x0
	.amdhsa_kernel _ZN7rocprim17ROCPRIM_400000_NS6detail17trampoline_kernelINS0_14default_configENS1_25partition_config_selectorILNS1_17partition_subalgoE8ElNS0_10empty_typeEbEEZZNS1_14partition_implILS5_8ELb0ES3_jPlPS6_PKS6_NS0_5tupleIJS9_S6_EEENSD_IJSA_SA_EEENS0_18inequality_wrapperIZN2at6native12_GLOBAL__N_124unique_dim_cuda_templateIdEESt5tupleIJNSH_6TensorESM_SM_EERKSM_lbbbEUlllE0_EEPmJS6_EEE10hipError_tPvRmT3_T4_T5_T6_T7_T9_mT8_P12ihipStream_tbDpT10_ENKUlT_T0_E_clISt17integral_constantIbLb1EES1B_IbLb0EEEEDaS17_S18_EUlS17_E_NS1_11comp_targetILNS1_3genE9ELNS1_11target_archE1100ELNS1_3gpuE3ELNS1_3repE0EEENS1_30default_config_static_selectorELNS0_4arch9wavefront6targetE0EEEvT1_
		.amdhsa_group_segment_fixed_size 0
		.amdhsa_private_segment_fixed_size 0
		.amdhsa_kernarg_size 120
		.amdhsa_user_sgpr_count 2
		.amdhsa_user_sgpr_dispatch_ptr 0
		.amdhsa_user_sgpr_queue_ptr 0
		.amdhsa_user_sgpr_kernarg_segment_ptr 1
		.amdhsa_user_sgpr_dispatch_id 0
		.amdhsa_user_sgpr_kernarg_preload_length 0
		.amdhsa_user_sgpr_kernarg_preload_offset 0
		.amdhsa_user_sgpr_private_segment_size 0
		.amdhsa_wavefront_size32 1
		.amdhsa_uses_dynamic_stack 0
		.amdhsa_enable_private_segment 0
		.amdhsa_system_sgpr_workgroup_id_x 1
		.amdhsa_system_sgpr_workgroup_id_y 0
		.amdhsa_system_sgpr_workgroup_id_z 0
		.amdhsa_system_sgpr_workgroup_info 0
		.amdhsa_system_vgpr_workitem_id 0
		.amdhsa_next_free_vgpr 1
		.amdhsa_next_free_sgpr 1
		.amdhsa_named_barrier_count 0
		.amdhsa_reserve_vcc 0
		.amdhsa_float_round_mode_32 0
		.amdhsa_float_round_mode_16_64 0
		.amdhsa_float_denorm_mode_32 3
		.amdhsa_float_denorm_mode_16_64 3
		.amdhsa_fp16_overflow 0
		.amdhsa_memory_ordered 1
		.amdhsa_forward_progress 1
		.amdhsa_inst_pref_size 0
		.amdhsa_round_robin_scheduling 0
		.amdhsa_exception_fp_ieee_invalid_op 0
		.amdhsa_exception_fp_denorm_src 0
		.amdhsa_exception_fp_ieee_div_zero 0
		.amdhsa_exception_fp_ieee_overflow 0
		.amdhsa_exception_fp_ieee_underflow 0
		.amdhsa_exception_fp_ieee_inexact 0
		.amdhsa_exception_int_div_zero 0
	.end_amdhsa_kernel
	.section	.text._ZN7rocprim17ROCPRIM_400000_NS6detail17trampoline_kernelINS0_14default_configENS1_25partition_config_selectorILNS1_17partition_subalgoE8ElNS0_10empty_typeEbEEZZNS1_14partition_implILS5_8ELb0ES3_jPlPS6_PKS6_NS0_5tupleIJS9_S6_EEENSD_IJSA_SA_EEENS0_18inequality_wrapperIZN2at6native12_GLOBAL__N_124unique_dim_cuda_templateIdEESt5tupleIJNSH_6TensorESM_SM_EERKSM_lbbbEUlllE0_EEPmJS6_EEE10hipError_tPvRmT3_T4_T5_T6_T7_T9_mT8_P12ihipStream_tbDpT10_ENKUlT_T0_E_clISt17integral_constantIbLb1EES1B_IbLb0EEEEDaS17_S18_EUlS17_E_NS1_11comp_targetILNS1_3genE9ELNS1_11target_archE1100ELNS1_3gpuE3ELNS1_3repE0EEENS1_30default_config_static_selectorELNS0_4arch9wavefront6targetE0EEEvT1_,"axG",@progbits,_ZN7rocprim17ROCPRIM_400000_NS6detail17trampoline_kernelINS0_14default_configENS1_25partition_config_selectorILNS1_17partition_subalgoE8ElNS0_10empty_typeEbEEZZNS1_14partition_implILS5_8ELb0ES3_jPlPS6_PKS6_NS0_5tupleIJS9_S6_EEENSD_IJSA_SA_EEENS0_18inequality_wrapperIZN2at6native12_GLOBAL__N_124unique_dim_cuda_templateIdEESt5tupleIJNSH_6TensorESM_SM_EERKSM_lbbbEUlllE0_EEPmJS6_EEE10hipError_tPvRmT3_T4_T5_T6_T7_T9_mT8_P12ihipStream_tbDpT10_ENKUlT_T0_E_clISt17integral_constantIbLb1EES1B_IbLb0EEEEDaS17_S18_EUlS17_E_NS1_11comp_targetILNS1_3genE9ELNS1_11target_archE1100ELNS1_3gpuE3ELNS1_3repE0EEENS1_30default_config_static_selectorELNS0_4arch9wavefront6targetE0EEEvT1_,comdat
.Lfunc_end829:
	.size	_ZN7rocprim17ROCPRIM_400000_NS6detail17trampoline_kernelINS0_14default_configENS1_25partition_config_selectorILNS1_17partition_subalgoE8ElNS0_10empty_typeEbEEZZNS1_14partition_implILS5_8ELb0ES3_jPlPS6_PKS6_NS0_5tupleIJS9_S6_EEENSD_IJSA_SA_EEENS0_18inequality_wrapperIZN2at6native12_GLOBAL__N_124unique_dim_cuda_templateIdEESt5tupleIJNSH_6TensorESM_SM_EERKSM_lbbbEUlllE0_EEPmJS6_EEE10hipError_tPvRmT3_T4_T5_T6_T7_T9_mT8_P12ihipStream_tbDpT10_ENKUlT_T0_E_clISt17integral_constantIbLb1EES1B_IbLb0EEEEDaS17_S18_EUlS17_E_NS1_11comp_targetILNS1_3genE9ELNS1_11target_archE1100ELNS1_3gpuE3ELNS1_3repE0EEENS1_30default_config_static_selectorELNS0_4arch9wavefront6targetE0EEEvT1_, .Lfunc_end829-_ZN7rocprim17ROCPRIM_400000_NS6detail17trampoline_kernelINS0_14default_configENS1_25partition_config_selectorILNS1_17partition_subalgoE8ElNS0_10empty_typeEbEEZZNS1_14partition_implILS5_8ELb0ES3_jPlPS6_PKS6_NS0_5tupleIJS9_S6_EEENSD_IJSA_SA_EEENS0_18inequality_wrapperIZN2at6native12_GLOBAL__N_124unique_dim_cuda_templateIdEESt5tupleIJNSH_6TensorESM_SM_EERKSM_lbbbEUlllE0_EEPmJS6_EEE10hipError_tPvRmT3_T4_T5_T6_T7_T9_mT8_P12ihipStream_tbDpT10_ENKUlT_T0_E_clISt17integral_constantIbLb1EES1B_IbLb0EEEEDaS17_S18_EUlS17_E_NS1_11comp_targetILNS1_3genE9ELNS1_11target_archE1100ELNS1_3gpuE3ELNS1_3repE0EEENS1_30default_config_static_selectorELNS0_4arch9wavefront6targetE0EEEvT1_
                                        ; -- End function
	.set _ZN7rocprim17ROCPRIM_400000_NS6detail17trampoline_kernelINS0_14default_configENS1_25partition_config_selectorILNS1_17partition_subalgoE8ElNS0_10empty_typeEbEEZZNS1_14partition_implILS5_8ELb0ES3_jPlPS6_PKS6_NS0_5tupleIJS9_S6_EEENSD_IJSA_SA_EEENS0_18inequality_wrapperIZN2at6native12_GLOBAL__N_124unique_dim_cuda_templateIdEESt5tupleIJNSH_6TensorESM_SM_EERKSM_lbbbEUlllE0_EEPmJS6_EEE10hipError_tPvRmT3_T4_T5_T6_T7_T9_mT8_P12ihipStream_tbDpT10_ENKUlT_T0_E_clISt17integral_constantIbLb1EES1B_IbLb0EEEEDaS17_S18_EUlS17_E_NS1_11comp_targetILNS1_3genE9ELNS1_11target_archE1100ELNS1_3gpuE3ELNS1_3repE0EEENS1_30default_config_static_selectorELNS0_4arch9wavefront6targetE0EEEvT1_.num_vgpr, 0
	.set _ZN7rocprim17ROCPRIM_400000_NS6detail17trampoline_kernelINS0_14default_configENS1_25partition_config_selectorILNS1_17partition_subalgoE8ElNS0_10empty_typeEbEEZZNS1_14partition_implILS5_8ELb0ES3_jPlPS6_PKS6_NS0_5tupleIJS9_S6_EEENSD_IJSA_SA_EEENS0_18inequality_wrapperIZN2at6native12_GLOBAL__N_124unique_dim_cuda_templateIdEESt5tupleIJNSH_6TensorESM_SM_EERKSM_lbbbEUlllE0_EEPmJS6_EEE10hipError_tPvRmT3_T4_T5_T6_T7_T9_mT8_P12ihipStream_tbDpT10_ENKUlT_T0_E_clISt17integral_constantIbLb1EES1B_IbLb0EEEEDaS17_S18_EUlS17_E_NS1_11comp_targetILNS1_3genE9ELNS1_11target_archE1100ELNS1_3gpuE3ELNS1_3repE0EEENS1_30default_config_static_selectorELNS0_4arch9wavefront6targetE0EEEvT1_.num_agpr, 0
	.set _ZN7rocprim17ROCPRIM_400000_NS6detail17trampoline_kernelINS0_14default_configENS1_25partition_config_selectorILNS1_17partition_subalgoE8ElNS0_10empty_typeEbEEZZNS1_14partition_implILS5_8ELb0ES3_jPlPS6_PKS6_NS0_5tupleIJS9_S6_EEENSD_IJSA_SA_EEENS0_18inequality_wrapperIZN2at6native12_GLOBAL__N_124unique_dim_cuda_templateIdEESt5tupleIJNSH_6TensorESM_SM_EERKSM_lbbbEUlllE0_EEPmJS6_EEE10hipError_tPvRmT3_T4_T5_T6_T7_T9_mT8_P12ihipStream_tbDpT10_ENKUlT_T0_E_clISt17integral_constantIbLb1EES1B_IbLb0EEEEDaS17_S18_EUlS17_E_NS1_11comp_targetILNS1_3genE9ELNS1_11target_archE1100ELNS1_3gpuE3ELNS1_3repE0EEENS1_30default_config_static_selectorELNS0_4arch9wavefront6targetE0EEEvT1_.numbered_sgpr, 0
	.set _ZN7rocprim17ROCPRIM_400000_NS6detail17trampoline_kernelINS0_14default_configENS1_25partition_config_selectorILNS1_17partition_subalgoE8ElNS0_10empty_typeEbEEZZNS1_14partition_implILS5_8ELb0ES3_jPlPS6_PKS6_NS0_5tupleIJS9_S6_EEENSD_IJSA_SA_EEENS0_18inequality_wrapperIZN2at6native12_GLOBAL__N_124unique_dim_cuda_templateIdEESt5tupleIJNSH_6TensorESM_SM_EERKSM_lbbbEUlllE0_EEPmJS6_EEE10hipError_tPvRmT3_T4_T5_T6_T7_T9_mT8_P12ihipStream_tbDpT10_ENKUlT_T0_E_clISt17integral_constantIbLb1EES1B_IbLb0EEEEDaS17_S18_EUlS17_E_NS1_11comp_targetILNS1_3genE9ELNS1_11target_archE1100ELNS1_3gpuE3ELNS1_3repE0EEENS1_30default_config_static_selectorELNS0_4arch9wavefront6targetE0EEEvT1_.num_named_barrier, 0
	.set _ZN7rocprim17ROCPRIM_400000_NS6detail17trampoline_kernelINS0_14default_configENS1_25partition_config_selectorILNS1_17partition_subalgoE8ElNS0_10empty_typeEbEEZZNS1_14partition_implILS5_8ELb0ES3_jPlPS6_PKS6_NS0_5tupleIJS9_S6_EEENSD_IJSA_SA_EEENS0_18inequality_wrapperIZN2at6native12_GLOBAL__N_124unique_dim_cuda_templateIdEESt5tupleIJNSH_6TensorESM_SM_EERKSM_lbbbEUlllE0_EEPmJS6_EEE10hipError_tPvRmT3_T4_T5_T6_T7_T9_mT8_P12ihipStream_tbDpT10_ENKUlT_T0_E_clISt17integral_constantIbLb1EES1B_IbLb0EEEEDaS17_S18_EUlS17_E_NS1_11comp_targetILNS1_3genE9ELNS1_11target_archE1100ELNS1_3gpuE3ELNS1_3repE0EEENS1_30default_config_static_selectorELNS0_4arch9wavefront6targetE0EEEvT1_.private_seg_size, 0
	.set _ZN7rocprim17ROCPRIM_400000_NS6detail17trampoline_kernelINS0_14default_configENS1_25partition_config_selectorILNS1_17partition_subalgoE8ElNS0_10empty_typeEbEEZZNS1_14partition_implILS5_8ELb0ES3_jPlPS6_PKS6_NS0_5tupleIJS9_S6_EEENSD_IJSA_SA_EEENS0_18inequality_wrapperIZN2at6native12_GLOBAL__N_124unique_dim_cuda_templateIdEESt5tupleIJNSH_6TensorESM_SM_EERKSM_lbbbEUlllE0_EEPmJS6_EEE10hipError_tPvRmT3_T4_T5_T6_T7_T9_mT8_P12ihipStream_tbDpT10_ENKUlT_T0_E_clISt17integral_constantIbLb1EES1B_IbLb0EEEEDaS17_S18_EUlS17_E_NS1_11comp_targetILNS1_3genE9ELNS1_11target_archE1100ELNS1_3gpuE3ELNS1_3repE0EEENS1_30default_config_static_selectorELNS0_4arch9wavefront6targetE0EEEvT1_.uses_vcc, 0
	.set _ZN7rocprim17ROCPRIM_400000_NS6detail17trampoline_kernelINS0_14default_configENS1_25partition_config_selectorILNS1_17partition_subalgoE8ElNS0_10empty_typeEbEEZZNS1_14partition_implILS5_8ELb0ES3_jPlPS6_PKS6_NS0_5tupleIJS9_S6_EEENSD_IJSA_SA_EEENS0_18inequality_wrapperIZN2at6native12_GLOBAL__N_124unique_dim_cuda_templateIdEESt5tupleIJNSH_6TensorESM_SM_EERKSM_lbbbEUlllE0_EEPmJS6_EEE10hipError_tPvRmT3_T4_T5_T6_T7_T9_mT8_P12ihipStream_tbDpT10_ENKUlT_T0_E_clISt17integral_constantIbLb1EES1B_IbLb0EEEEDaS17_S18_EUlS17_E_NS1_11comp_targetILNS1_3genE9ELNS1_11target_archE1100ELNS1_3gpuE3ELNS1_3repE0EEENS1_30default_config_static_selectorELNS0_4arch9wavefront6targetE0EEEvT1_.uses_flat_scratch, 0
	.set _ZN7rocprim17ROCPRIM_400000_NS6detail17trampoline_kernelINS0_14default_configENS1_25partition_config_selectorILNS1_17partition_subalgoE8ElNS0_10empty_typeEbEEZZNS1_14partition_implILS5_8ELb0ES3_jPlPS6_PKS6_NS0_5tupleIJS9_S6_EEENSD_IJSA_SA_EEENS0_18inequality_wrapperIZN2at6native12_GLOBAL__N_124unique_dim_cuda_templateIdEESt5tupleIJNSH_6TensorESM_SM_EERKSM_lbbbEUlllE0_EEPmJS6_EEE10hipError_tPvRmT3_T4_T5_T6_T7_T9_mT8_P12ihipStream_tbDpT10_ENKUlT_T0_E_clISt17integral_constantIbLb1EES1B_IbLb0EEEEDaS17_S18_EUlS17_E_NS1_11comp_targetILNS1_3genE9ELNS1_11target_archE1100ELNS1_3gpuE3ELNS1_3repE0EEENS1_30default_config_static_selectorELNS0_4arch9wavefront6targetE0EEEvT1_.has_dyn_sized_stack, 0
	.set _ZN7rocprim17ROCPRIM_400000_NS6detail17trampoline_kernelINS0_14default_configENS1_25partition_config_selectorILNS1_17partition_subalgoE8ElNS0_10empty_typeEbEEZZNS1_14partition_implILS5_8ELb0ES3_jPlPS6_PKS6_NS0_5tupleIJS9_S6_EEENSD_IJSA_SA_EEENS0_18inequality_wrapperIZN2at6native12_GLOBAL__N_124unique_dim_cuda_templateIdEESt5tupleIJNSH_6TensorESM_SM_EERKSM_lbbbEUlllE0_EEPmJS6_EEE10hipError_tPvRmT3_T4_T5_T6_T7_T9_mT8_P12ihipStream_tbDpT10_ENKUlT_T0_E_clISt17integral_constantIbLb1EES1B_IbLb0EEEEDaS17_S18_EUlS17_E_NS1_11comp_targetILNS1_3genE9ELNS1_11target_archE1100ELNS1_3gpuE3ELNS1_3repE0EEENS1_30default_config_static_selectorELNS0_4arch9wavefront6targetE0EEEvT1_.has_recursion, 0
	.set _ZN7rocprim17ROCPRIM_400000_NS6detail17trampoline_kernelINS0_14default_configENS1_25partition_config_selectorILNS1_17partition_subalgoE8ElNS0_10empty_typeEbEEZZNS1_14partition_implILS5_8ELb0ES3_jPlPS6_PKS6_NS0_5tupleIJS9_S6_EEENSD_IJSA_SA_EEENS0_18inequality_wrapperIZN2at6native12_GLOBAL__N_124unique_dim_cuda_templateIdEESt5tupleIJNSH_6TensorESM_SM_EERKSM_lbbbEUlllE0_EEPmJS6_EEE10hipError_tPvRmT3_T4_T5_T6_T7_T9_mT8_P12ihipStream_tbDpT10_ENKUlT_T0_E_clISt17integral_constantIbLb1EES1B_IbLb0EEEEDaS17_S18_EUlS17_E_NS1_11comp_targetILNS1_3genE9ELNS1_11target_archE1100ELNS1_3gpuE3ELNS1_3repE0EEENS1_30default_config_static_selectorELNS0_4arch9wavefront6targetE0EEEvT1_.has_indirect_call, 0
	.section	.AMDGPU.csdata,"",@progbits
; Kernel info:
; codeLenInByte = 0
; TotalNumSgprs: 0
; NumVgprs: 0
; ScratchSize: 0
; MemoryBound: 0
; FloatMode: 240
; IeeeMode: 1
; LDSByteSize: 0 bytes/workgroup (compile time only)
; SGPRBlocks: 0
; VGPRBlocks: 0
; NumSGPRsForWavesPerEU: 1
; NumVGPRsForWavesPerEU: 1
; NamedBarCnt: 0
; Occupancy: 16
; WaveLimiterHint : 0
; COMPUTE_PGM_RSRC2:SCRATCH_EN: 0
; COMPUTE_PGM_RSRC2:USER_SGPR: 2
; COMPUTE_PGM_RSRC2:TRAP_HANDLER: 0
; COMPUTE_PGM_RSRC2:TGID_X_EN: 1
; COMPUTE_PGM_RSRC2:TGID_Y_EN: 0
; COMPUTE_PGM_RSRC2:TGID_Z_EN: 0
; COMPUTE_PGM_RSRC2:TIDIG_COMP_CNT: 0
	.section	.text._ZN7rocprim17ROCPRIM_400000_NS6detail17trampoline_kernelINS0_14default_configENS1_25partition_config_selectorILNS1_17partition_subalgoE8ElNS0_10empty_typeEbEEZZNS1_14partition_implILS5_8ELb0ES3_jPlPS6_PKS6_NS0_5tupleIJS9_S6_EEENSD_IJSA_SA_EEENS0_18inequality_wrapperIZN2at6native12_GLOBAL__N_124unique_dim_cuda_templateIdEESt5tupleIJNSH_6TensorESM_SM_EERKSM_lbbbEUlllE0_EEPmJS6_EEE10hipError_tPvRmT3_T4_T5_T6_T7_T9_mT8_P12ihipStream_tbDpT10_ENKUlT_T0_E_clISt17integral_constantIbLb1EES1B_IbLb0EEEEDaS17_S18_EUlS17_E_NS1_11comp_targetILNS1_3genE8ELNS1_11target_archE1030ELNS1_3gpuE2ELNS1_3repE0EEENS1_30default_config_static_selectorELNS0_4arch9wavefront6targetE0EEEvT1_,"axG",@progbits,_ZN7rocprim17ROCPRIM_400000_NS6detail17trampoline_kernelINS0_14default_configENS1_25partition_config_selectorILNS1_17partition_subalgoE8ElNS0_10empty_typeEbEEZZNS1_14partition_implILS5_8ELb0ES3_jPlPS6_PKS6_NS0_5tupleIJS9_S6_EEENSD_IJSA_SA_EEENS0_18inequality_wrapperIZN2at6native12_GLOBAL__N_124unique_dim_cuda_templateIdEESt5tupleIJNSH_6TensorESM_SM_EERKSM_lbbbEUlllE0_EEPmJS6_EEE10hipError_tPvRmT3_T4_T5_T6_T7_T9_mT8_P12ihipStream_tbDpT10_ENKUlT_T0_E_clISt17integral_constantIbLb1EES1B_IbLb0EEEEDaS17_S18_EUlS17_E_NS1_11comp_targetILNS1_3genE8ELNS1_11target_archE1030ELNS1_3gpuE2ELNS1_3repE0EEENS1_30default_config_static_selectorELNS0_4arch9wavefront6targetE0EEEvT1_,comdat
	.globl	_ZN7rocprim17ROCPRIM_400000_NS6detail17trampoline_kernelINS0_14default_configENS1_25partition_config_selectorILNS1_17partition_subalgoE8ElNS0_10empty_typeEbEEZZNS1_14partition_implILS5_8ELb0ES3_jPlPS6_PKS6_NS0_5tupleIJS9_S6_EEENSD_IJSA_SA_EEENS0_18inequality_wrapperIZN2at6native12_GLOBAL__N_124unique_dim_cuda_templateIdEESt5tupleIJNSH_6TensorESM_SM_EERKSM_lbbbEUlllE0_EEPmJS6_EEE10hipError_tPvRmT3_T4_T5_T6_T7_T9_mT8_P12ihipStream_tbDpT10_ENKUlT_T0_E_clISt17integral_constantIbLb1EES1B_IbLb0EEEEDaS17_S18_EUlS17_E_NS1_11comp_targetILNS1_3genE8ELNS1_11target_archE1030ELNS1_3gpuE2ELNS1_3repE0EEENS1_30default_config_static_selectorELNS0_4arch9wavefront6targetE0EEEvT1_ ; -- Begin function _ZN7rocprim17ROCPRIM_400000_NS6detail17trampoline_kernelINS0_14default_configENS1_25partition_config_selectorILNS1_17partition_subalgoE8ElNS0_10empty_typeEbEEZZNS1_14partition_implILS5_8ELb0ES3_jPlPS6_PKS6_NS0_5tupleIJS9_S6_EEENSD_IJSA_SA_EEENS0_18inequality_wrapperIZN2at6native12_GLOBAL__N_124unique_dim_cuda_templateIdEESt5tupleIJNSH_6TensorESM_SM_EERKSM_lbbbEUlllE0_EEPmJS6_EEE10hipError_tPvRmT3_T4_T5_T6_T7_T9_mT8_P12ihipStream_tbDpT10_ENKUlT_T0_E_clISt17integral_constantIbLb1EES1B_IbLb0EEEEDaS17_S18_EUlS17_E_NS1_11comp_targetILNS1_3genE8ELNS1_11target_archE1030ELNS1_3gpuE2ELNS1_3repE0EEENS1_30default_config_static_selectorELNS0_4arch9wavefront6targetE0EEEvT1_
	.p2align	8
	.type	_ZN7rocprim17ROCPRIM_400000_NS6detail17trampoline_kernelINS0_14default_configENS1_25partition_config_selectorILNS1_17partition_subalgoE8ElNS0_10empty_typeEbEEZZNS1_14partition_implILS5_8ELb0ES3_jPlPS6_PKS6_NS0_5tupleIJS9_S6_EEENSD_IJSA_SA_EEENS0_18inequality_wrapperIZN2at6native12_GLOBAL__N_124unique_dim_cuda_templateIdEESt5tupleIJNSH_6TensorESM_SM_EERKSM_lbbbEUlllE0_EEPmJS6_EEE10hipError_tPvRmT3_T4_T5_T6_T7_T9_mT8_P12ihipStream_tbDpT10_ENKUlT_T0_E_clISt17integral_constantIbLb1EES1B_IbLb0EEEEDaS17_S18_EUlS17_E_NS1_11comp_targetILNS1_3genE8ELNS1_11target_archE1030ELNS1_3gpuE2ELNS1_3repE0EEENS1_30default_config_static_selectorELNS0_4arch9wavefront6targetE0EEEvT1_,@function
_ZN7rocprim17ROCPRIM_400000_NS6detail17trampoline_kernelINS0_14default_configENS1_25partition_config_selectorILNS1_17partition_subalgoE8ElNS0_10empty_typeEbEEZZNS1_14partition_implILS5_8ELb0ES3_jPlPS6_PKS6_NS0_5tupleIJS9_S6_EEENSD_IJSA_SA_EEENS0_18inequality_wrapperIZN2at6native12_GLOBAL__N_124unique_dim_cuda_templateIdEESt5tupleIJNSH_6TensorESM_SM_EERKSM_lbbbEUlllE0_EEPmJS6_EEE10hipError_tPvRmT3_T4_T5_T6_T7_T9_mT8_P12ihipStream_tbDpT10_ENKUlT_T0_E_clISt17integral_constantIbLb1EES1B_IbLb0EEEEDaS17_S18_EUlS17_E_NS1_11comp_targetILNS1_3genE8ELNS1_11target_archE1030ELNS1_3gpuE2ELNS1_3repE0EEENS1_30default_config_static_selectorELNS0_4arch9wavefront6targetE0EEEvT1_: ; @_ZN7rocprim17ROCPRIM_400000_NS6detail17trampoline_kernelINS0_14default_configENS1_25partition_config_selectorILNS1_17partition_subalgoE8ElNS0_10empty_typeEbEEZZNS1_14partition_implILS5_8ELb0ES3_jPlPS6_PKS6_NS0_5tupleIJS9_S6_EEENSD_IJSA_SA_EEENS0_18inequality_wrapperIZN2at6native12_GLOBAL__N_124unique_dim_cuda_templateIdEESt5tupleIJNSH_6TensorESM_SM_EERKSM_lbbbEUlllE0_EEPmJS6_EEE10hipError_tPvRmT3_T4_T5_T6_T7_T9_mT8_P12ihipStream_tbDpT10_ENKUlT_T0_E_clISt17integral_constantIbLb1EES1B_IbLb0EEEEDaS17_S18_EUlS17_E_NS1_11comp_targetILNS1_3genE8ELNS1_11target_archE1030ELNS1_3gpuE2ELNS1_3repE0EEENS1_30default_config_static_selectorELNS0_4arch9wavefront6targetE0EEEvT1_
; %bb.0:
	.section	.rodata,"a",@progbits
	.p2align	6, 0x0
	.amdhsa_kernel _ZN7rocprim17ROCPRIM_400000_NS6detail17trampoline_kernelINS0_14default_configENS1_25partition_config_selectorILNS1_17partition_subalgoE8ElNS0_10empty_typeEbEEZZNS1_14partition_implILS5_8ELb0ES3_jPlPS6_PKS6_NS0_5tupleIJS9_S6_EEENSD_IJSA_SA_EEENS0_18inequality_wrapperIZN2at6native12_GLOBAL__N_124unique_dim_cuda_templateIdEESt5tupleIJNSH_6TensorESM_SM_EERKSM_lbbbEUlllE0_EEPmJS6_EEE10hipError_tPvRmT3_T4_T5_T6_T7_T9_mT8_P12ihipStream_tbDpT10_ENKUlT_T0_E_clISt17integral_constantIbLb1EES1B_IbLb0EEEEDaS17_S18_EUlS17_E_NS1_11comp_targetILNS1_3genE8ELNS1_11target_archE1030ELNS1_3gpuE2ELNS1_3repE0EEENS1_30default_config_static_selectorELNS0_4arch9wavefront6targetE0EEEvT1_
		.amdhsa_group_segment_fixed_size 0
		.amdhsa_private_segment_fixed_size 0
		.amdhsa_kernarg_size 120
		.amdhsa_user_sgpr_count 2
		.amdhsa_user_sgpr_dispatch_ptr 0
		.amdhsa_user_sgpr_queue_ptr 0
		.amdhsa_user_sgpr_kernarg_segment_ptr 1
		.amdhsa_user_sgpr_dispatch_id 0
		.amdhsa_user_sgpr_kernarg_preload_length 0
		.amdhsa_user_sgpr_kernarg_preload_offset 0
		.amdhsa_user_sgpr_private_segment_size 0
		.amdhsa_wavefront_size32 1
		.amdhsa_uses_dynamic_stack 0
		.amdhsa_enable_private_segment 0
		.amdhsa_system_sgpr_workgroup_id_x 1
		.amdhsa_system_sgpr_workgroup_id_y 0
		.amdhsa_system_sgpr_workgroup_id_z 0
		.amdhsa_system_sgpr_workgroup_info 0
		.amdhsa_system_vgpr_workitem_id 0
		.amdhsa_next_free_vgpr 1
		.amdhsa_next_free_sgpr 1
		.amdhsa_named_barrier_count 0
		.amdhsa_reserve_vcc 0
		.amdhsa_float_round_mode_32 0
		.amdhsa_float_round_mode_16_64 0
		.amdhsa_float_denorm_mode_32 3
		.amdhsa_float_denorm_mode_16_64 3
		.amdhsa_fp16_overflow 0
		.amdhsa_memory_ordered 1
		.amdhsa_forward_progress 1
		.amdhsa_inst_pref_size 0
		.amdhsa_round_robin_scheduling 0
		.amdhsa_exception_fp_ieee_invalid_op 0
		.amdhsa_exception_fp_denorm_src 0
		.amdhsa_exception_fp_ieee_div_zero 0
		.amdhsa_exception_fp_ieee_overflow 0
		.amdhsa_exception_fp_ieee_underflow 0
		.amdhsa_exception_fp_ieee_inexact 0
		.amdhsa_exception_int_div_zero 0
	.end_amdhsa_kernel
	.section	.text._ZN7rocprim17ROCPRIM_400000_NS6detail17trampoline_kernelINS0_14default_configENS1_25partition_config_selectorILNS1_17partition_subalgoE8ElNS0_10empty_typeEbEEZZNS1_14partition_implILS5_8ELb0ES3_jPlPS6_PKS6_NS0_5tupleIJS9_S6_EEENSD_IJSA_SA_EEENS0_18inequality_wrapperIZN2at6native12_GLOBAL__N_124unique_dim_cuda_templateIdEESt5tupleIJNSH_6TensorESM_SM_EERKSM_lbbbEUlllE0_EEPmJS6_EEE10hipError_tPvRmT3_T4_T5_T6_T7_T9_mT8_P12ihipStream_tbDpT10_ENKUlT_T0_E_clISt17integral_constantIbLb1EES1B_IbLb0EEEEDaS17_S18_EUlS17_E_NS1_11comp_targetILNS1_3genE8ELNS1_11target_archE1030ELNS1_3gpuE2ELNS1_3repE0EEENS1_30default_config_static_selectorELNS0_4arch9wavefront6targetE0EEEvT1_,"axG",@progbits,_ZN7rocprim17ROCPRIM_400000_NS6detail17trampoline_kernelINS0_14default_configENS1_25partition_config_selectorILNS1_17partition_subalgoE8ElNS0_10empty_typeEbEEZZNS1_14partition_implILS5_8ELb0ES3_jPlPS6_PKS6_NS0_5tupleIJS9_S6_EEENSD_IJSA_SA_EEENS0_18inequality_wrapperIZN2at6native12_GLOBAL__N_124unique_dim_cuda_templateIdEESt5tupleIJNSH_6TensorESM_SM_EERKSM_lbbbEUlllE0_EEPmJS6_EEE10hipError_tPvRmT3_T4_T5_T6_T7_T9_mT8_P12ihipStream_tbDpT10_ENKUlT_T0_E_clISt17integral_constantIbLb1EES1B_IbLb0EEEEDaS17_S18_EUlS17_E_NS1_11comp_targetILNS1_3genE8ELNS1_11target_archE1030ELNS1_3gpuE2ELNS1_3repE0EEENS1_30default_config_static_selectorELNS0_4arch9wavefront6targetE0EEEvT1_,comdat
.Lfunc_end830:
	.size	_ZN7rocprim17ROCPRIM_400000_NS6detail17trampoline_kernelINS0_14default_configENS1_25partition_config_selectorILNS1_17partition_subalgoE8ElNS0_10empty_typeEbEEZZNS1_14partition_implILS5_8ELb0ES3_jPlPS6_PKS6_NS0_5tupleIJS9_S6_EEENSD_IJSA_SA_EEENS0_18inequality_wrapperIZN2at6native12_GLOBAL__N_124unique_dim_cuda_templateIdEESt5tupleIJNSH_6TensorESM_SM_EERKSM_lbbbEUlllE0_EEPmJS6_EEE10hipError_tPvRmT3_T4_T5_T6_T7_T9_mT8_P12ihipStream_tbDpT10_ENKUlT_T0_E_clISt17integral_constantIbLb1EES1B_IbLb0EEEEDaS17_S18_EUlS17_E_NS1_11comp_targetILNS1_3genE8ELNS1_11target_archE1030ELNS1_3gpuE2ELNS1_3repE0EEENS1_30default_config_static_selectorELNS0_4arch9wavefront6targetE0EEEvT1_, .Lfunc_end830-_ZN7rocprim17ROCPRIM_400000_NS6detail17trampoline_kernelINS0_14default_configENS1_25partition_config_selectorILNS1_17partition_subalgoE8ElNS0_10empty_typeEbEEZZNS1_14partition_implILS5_8ELb0ES3_jPlPS6_PKS6_NS0_5tupleIJS9_S6_EEENSD_IJSA_SA_EEENS0_18inequality_wrapperIZN2at6native12_GLOBAL__N_124unique_dim_cuda_templateIdEESt5tupleIJNSH_6TensorESM_SM_EERKSM_lbbbEUlllE0_EEPmJS6_EEE10hipError_tPvRmT3_T4_T5_T6_T7_T9_mT8_P12ihipStream_tbDpT10_ENKUlT_T0_E_clISt17integral_constantIbLb1EES1B_IbLb0EEEEDaS17_S18_EUlS17_E_NS1_11comp_targetILNS1_3genE8ELNS1_11target_archE1030ELNS1_3gpuE2ELNS1_3repE0EEENS1_30default_config_static_selectorELNS0_4arch9wavefront6targetE0EEEvT1_
                                        ; -- End function
	.set _ZN7rocprim17ROCPRIM_400000_NS6detail17trampoline_kernelINS0_14default_configENS1_25partition_config_selectorILNS1_17partition_subalgoE8ElNS0_10empty_typeEbEEZZNS1_14partition_implILS5_8ELb0ES3_jPlPS6_PKS6_NS0_5tupleIJS9_S6_EEENSD_IJSA_SA_EEENS0_18inequality_wrapperIZN2at6native12_GLOBAL__N_124unique_dim_cuda_templateIdEESt5tupleIJNSH_6TensorESM_SM_EERKSM_lbbbEUlllE0_EEPmJS6_EEE10hipError_tPvRmT3_T4_T5_T6_T7_T9_mT8_P12ihipStream_tbDpT10_ENKUlT_T0_E_clISt17integral_constantIbLb1EES1B_IbLb0EEEEDaS17_S18_EUlS17_E_NS1_11comp_targetILNS1_3genE8ELNS1_11target_archE1030ELNS1_3gpuE2ELNS1_3repE0EEENS1_30default_config_static_selectorELNS0_4arch9wavefront6targetE0EEEvT1_.num_vgpr, 0
	.set _ZN7rocprim17ROCPRIM_400000_NS6detail17trampoline_kernelINS0_14default_configENS1_25partition_config_selectorILNS1_17partition_subalgoE8ElNS0_10empty_typeEbEEZZNS1_14partition_implILS5_8ELb0ES3_jPlPS6_PKS6_NS0_5tupleIJS9_S6_EEENSD_IJSA_SA_EEENS0_18inequality_wrapperIZN2at6native12_GLOBAL__N_124unique_dim_cuda_templateIdEESt5tupleIJNSH_6TensorESM_SM_EERKSM_lbbbEUlllE0_EEPmJS6_EEE10hipError_tPvRmT3_T4_T5_T6_T7_T9_mT8_P12ihipStream_tbDpT10_ENKUlT_T0_E_clISt17integral_constantIbLb1EES1B_IbLb0EEEEDaS17_S18_EUlS17_E_NS1_11comp_targetILNS1_3genE8ELNS1_11target_archE1030ELNS1_3gpuE2ELNS1_3repE0EEENS1_30default_config_static_selectorELNS0_4arch9wavefront6targetE0EEEvT1_.num_agpr, 0
	.set _ZN7rocprim17ROCPRIM_400000_NS6detail17trampoline_kernelINS0_14default_configENS1_25partition_config_selectorILNS1_17partition_subalgoE8ElNS0_10empty_typeEbEEZZNS1_14partition_implILS5_8ELb0ES3_jPlPS6_PKS6_NS0_5tupleIJS9_S6_EEENSD_IJSA_SA_EEENS0_18inequality_wrapperIZN2at6native12_GLOBAL__N_124unique_dim_cuda_templateIdEESt5tupleIJNSH_6TensorESM_SM_EERKSM_lbbbEUlllE0_EEPmJS6_EEE10hipError_tPvRmT3_T4_T5_T6_T7_T9_mT8_P12ihipStream_tbDpT10_ENKUlT_T0_E_clISt17integral_constantIbLb1EES1B_IbLb0EEEEDaS17_S18_EUlS17_E_NS1_11comp_targetILNS1_3genE8ELNS1_11target_archE1030ELNS1_3gpuE2ELNS1_3repE0EEENS1_30default_config_static_selectorELNS0_4arch9wavefront6targetE0EEEvT1_.numbered_sgpr, 0
	.set _ZN7rocprim17ROCPRIM_400000_NS6detail17trampoline_kernelINS0_14default_configENS1_25partition_config_selectorILNS1_17partition_subalgoE8ElNS0_10empty_typeEbEEZZNS1_14partition_implILS5_8ELb0ES3_jPlPS6_PKS6_NS0_5tupleIJS9_S6_EEENSD_IJSA_SA_EEENS0_18inequality_wrapperIZN2at6native12_GLOBAL__N_124unique_dim_cuda_templateIdEESt5tupleIJNSH_6TensorESM_SM_EERKSM_lbbbEUlllE0_EEPmJS6_EEE10hipError_tPvRmT3_T4_T5_T6_T7_T9_mT8_P12ihipStream_tbDpT10_ENKUlT_T0_E_clISt17integral_constantIbLb1EES1B_IbLb0EEEEDaS17_S18_EUlS17_E_NS1_11comp_targetILNS1_3genE8ELNS1_11target_archE1030ELNS1_3gpuE2ELNS1_3repE0EEENS1_30default_config_static_selectorELNS0_4arch9wavefront6targetE0EEEvT1_.num_named_barrier, 0
	.set _ZN7rocprim17ROCPRIM_400000_NS6detail17trampoline_kernelINS0_14default_configENS1_25partition_config_selectorILNS1_17partition_subalgoE8ElNS0_10empty_typeEbEEZZNS1_14partition_implILS5_8ELb0ES3_jPlPS6_PKS6_NS0_5tupleIJS9_S6_EEENSD_IJSA_SA_EEENS0_18inequality_wrapperIZN2at6native12_GLOBAL__N_124unique_dim_cuda_templateIdEESt5tupleIJNSH_6TensorESM_SM_EERKSM_lbbbEUlllE0_EEPmJS6_EEE10hipError_tPvRmT3_T4_T5_T6_T7_T9_mT8_P12ihipStream_tbDpT10_ENKUlT_T0_E_clISt17integral_constantIbLb1EES1B_IbLb0EEEEDaS17_S18_EUlS17_E_NS1_11comp_targetILNS1_3genE8ELNS1_11target_archE1030ELNS1_3gpuE2ELNS1_3repE0EEENS1_30default_config_static_selectorELNS0_4arch9wavefront6targetE0EEEvT1_.private_seg_size, 0
	.set _ZN7rocprim17ROCPRIM_400000_NS6detail17trampoline_kernelINS0_14default_configENS1_25partition_config_selectorILNS1_17partition_subalgoE8ElNS0_10empty_typeEbEEZZNS1_14partition_implILS5_8ELb0ES3_jPlPS6_PKS6_NS0_5tupleIJS9_S6_EEENSD_IJSA_SA_EEENS0_18inequality_wrapperIZN2at6native12_GLOBAL__N_124unique_dim_cuda_templateIdEESt5tupleIJNSH_6TensorESM_SM_EERKSM_lbbbEUlllE0_EEPmJS6_EEE10hipError_tPvRmT3_T4_T5_T6_T7_T9_mT8_P12ihipStream_tbDpT10_ENKUlT_T0_E_clISt17integral_constantIbLb1EES1B_IbLb0EEEEDaS17_S18_EUlS17_E_NS1_11comp_targetILNS1_3genE8ELNS1_11target_archE1030ELNS1_3gpuE2ELNS1_3repE0EEENS1_30default_config_static_selectorELNS0_4arch9wavefront6targetE0EEEvT1_.uses_vcc, 0
	.set _ZN7rocprim17ROCPRIM_400000_NS6detail17trampoline_kernelINS0_14default_configENS1_25partition_config_selectorILNS1_17partition_subalgoE8ElNS0_10empty_typeEbEEZZNS1_14partition_implILS5_8ELb0ES3_jPlPS6_PKS6_NS0_5tupleIJS9_S6_EEENSD_IJSA_SA_EEENS0_18inequality_wrapperIZN2at6native12_GLOBAL__N_124unique_dim_cuda_templateIdEESt5tupleIJNSH_6TensorESM_SM_EERKSM_lbbbEUlllE0_EEPmJS6_EEE10hipError_tPvRmT3_T4_T5_T6_T7_T9_mT8_P12ihipStream_tbDpT10_ENKUlT_T0_E_clISt17integral_constantIbLb1EES1B_IbLb0EEEEDaS17_S18_EUlS17_E_NS1_11comp_targetILNS1_3genE8ELNS1_11target_archE1030ELNS1_3gpuE2ELNS1_3repE0EEENS1_30default_config_static_selectorELNS0_4arch9wavefront6targetE0EEEvT1_.uses_flat_scratch, 0
	.set _ZN7rocprim17ROCPRIM_400000_NS6detail17trampoline_kernelINS0_14default_configENS1_25partition_config_selectorILNS1_17partition_subalgoE8ElNS0_10empty_typeEbEEZZNS1_14partition_implILS5_8ELb0ES3_jPlPS6_PKS6_NS0_5tupleIJS9_S6_EEENSD_IJSA_SA_EEENS0_18inequality_wrapperIZN2at6native12_GLOBAL__N_124unique_dim_cuda_templateIdEESt5tupleIJNSH_6TensorESM_SM_EERKSM_lbbbEUlllE0_EEPmJS6_EEE10hipError_tPvRmT3_T4_T5_T6_T7_T9_mT8_P12ihipStream_tbDpT10_ENKUlT_T0_E_clISt17integral_constantIbLb1EES1B_IbLb0EEEEDaS17_S18_EUlS17_E_NS1_11comp_targetILNS1_3genE8ELNS1_11target_archE1030ELNS1_3gpuE2ELNS1_3repE0EEENS1_30default_config_static_selectorELNS0_4arch9wavefront6targetE0EEEvT1_.has_dyn_sized_stack, 0
	.set _ZN7rocprim17ROCPRIM_400000_NS6detail17trampoline_kernelINS0_14default_configENS1_25partition_config_selectorILNS1_17partition_subalgoE8ElNS0_10empty_typeEbEEZZNS1_14partition_implILS5_8ELb0ES3_jPlPS6_PKS6_NS0_5tupleIJS9_S6_EEENSD_IJSA_SA_EEENS0_18inequality_wrapperIZN2at6native12_GLOBAL__N_124unique_dim_cuda_templateIdEESt5tupleIJNSH_6TensorESM_SM_EERKSM_lbbbEUlllE0_EEPmJS6_EEE10hipError_tPvRmT3_T4_T5_T6_T7_T9_mT8_P12ihipStream_tbDpT10_ENKUlT_T0_E_clISt17integral_constantIbLb1EES1B_IbLb0EEEEDaS17_S18_EUlS17_E_NS1_11comp_targetILNS1_3genE8ELNS1_11target_archE1030ELNS1_3gpuE2ELNS1_3repE0EEENS1_30default_config_static_selectorELNS0_4arch9wavefront6targetE0EEEvT1_.has_recursion, 0
	.set _ZN7rocprim17ROCPRIM_400000_NS6detail17trampoline_kernelINS0_14default_configENS1_25partition_config_selectorILNS1_17partition_subalgoE8ElNS0_10empty_typeEbEEZZNS1_14partition_implILS5_8ELb0ES3_jPlPS6_PKS6_NS0_5tupleIJS9_S6_EEENSD_IJSA_SA_EEENS0_18inequality_wrapperIZN2at6native12_GLOBAL__N_124unique_dim_cuda_templateIdEESt5tupleIJNSH_6TensorESM_SM_EERKSM_lbbbEUlllE0_EEPmJS6_EEE10hipError_tPvRmT3_T4_T5_T6_T7_T9_mT8_P12ihipStream_tbDpT10_ENKUlT_T0_E_clISt17integral_constantIbLb1EES1B_IbLb0EEEEDaS17_S18_EUlS17_E_NS1_11comp_targetILNS1_3genE8ELNS1_11target_archE1030ELNS1_3gpuE2ELNS1_3repE0EEENS1_30default_config_static_selectorELNS0_4arch9wavefront6targetE0EEEvT1_.has_indirect_call, 0
	.section	.AMDGPU.csdata,"",@progbits
; Kernel info:
; codeLenInByte = 0
; TotalNumSgprs: 0
; NumVgprs: 0
; ScratchSize: 0
; MemoryBound: 0
; FloatMode: 240
; IeeeMode: 1
; LDSByteSize: 0 bytes/workgroup (compile time only)
; SGPRBlocks: 0
; VGPRBlocks: 0
; NumSGPRsForWavesPerEU: 1
; NumVGPRsForWavesPerEU: 1
; NamedBarCnt: 0
; Occupancy: 16
; WaveLimiterHint : 0
; COMPUTE_PGM_RSRC2:SCRATCH_EN: 0
; COMPUTE_PGM_RSRC2:USER_SGPR: 2
; COMPUTE_PGM_RSRC2:TRAP_HANDLER: 0
; COMPUTE_PGM_RSRC2:TGID_X_EN: 1
; COMPUTE_PGM_RSRC2:TGID_Y_EN: 0
; COMPUTE_PGM_RSRC2:TGID_Z_EN: 0
; COMPUTE_PGM_RSRC2:TIDIG_COMP_CNT: 0
	.section	.text._ZN7rocprim17ROCPRIM_400000_NS6detail17trampoline_kernelINS0_14default_configENS1_25partition_config_selectorILNS1_17partition_subalgoE8ElNS0_10empty_typeEbEEZZNS1_14partition_implILS5_8ELb0ES3_jPlPS6_PKS6_NS0_5tupleIJS9_S6_EEENSD_IJSA_SA_EEENS0_18inequality_wrapperIZN2at6native12_GLOBAL__N_124unique_dim_cuda_templateIdEESt5tupleIJNSH_6TensorESM_SM_EERKSM_lbbbEUlllE0_EEPmJS6_EEE10hipError_tPvRmT3_T4_T5_T6_T7_T9_mT8_P12ihipStream_tbDpT10_ENKUlT_T0_E_clISt17integral_constantIbLb0EES1B_IbLb1EEEEDaS17_S18_EUlS17_E_NS1_11comp_targetILNS1_3genE0ELNS1_11target_archE4294967295ELNS1_3gpuE0ELNS1_3repE0EEENS1_30default_config_static_selectorELNS0_4arch9wavefront6targetE0EEEvT1_,"axG",@progbits,_ZN7rocprim17ROCPRIM_400000_NS6detail17trampoline_kernelINS0_14default_configENS1_25partition_config_selectorILNS1_17partition_subalgoE8ElNS0_10empty_typeEbEEZZNS1_14partition_implILS5_8ELb0ES3_jPlPS6_PKS6_NS0_5tupleIJS9_S6_EEENSD_IJSA_SA_EEENS0_18inequality_wrapperIZN2at6native12_GLOBAL__N_124unique_dim_cuda_templateIdEESt5tupleIJNSH_6TensorESM_SM_EERKSM_lbbbEUlllE0_EEPmJS6_EEE10hipError_tPvRmT3_T4_T5_T6_T7_T9_mT8_P12ihipStream_tbDpT10_ENKUlT_T0_E_clISt17integral_constantIbLb0EES1B_IbLb1EEEEDaS17_S18_EUlS17_E_NS1_11comp_targetILNS1_3genE0ELNS1_11target_archE4294967295ELNS1_3gpuE0ELNS1_3repE0EEENS1_30default_config_static_selectorELNS0_4arch9wavefront6targetE0EEEvT1_,comdat
	.globl	_ZN7rocprim17ROCPRIM_400000_NS6detail17trampoline_kernelINS0_14default_configENS1_25partition_config_selectorILNS1_17partition_subalgoE8ElNS0_10empty_typeEbEEZZNS1_14partition_implILS5_8ELb0ES3_jPlPS6_PKS6_NS0_5tupleIJS9_S6_EEENSD_IJSA_SA_EEENS0_18inequality_wrapperIZN2at6native12_GLOBAL__N_124unique_dim_cuda_templateIdEESt5tupleIJNSH_6TensorESM_SM_EERKSM_lbbbEUlllE0_EEPmJS6_EEE10hipError_tPvRmT3_T4_T5_T6_T7_T9_mT8_P12ihipStream_tbDpT10_ENKUlT_T0_E_clISt17integral_constantIbLb0EES1B_IbLb1EEEEDaS17_S18_EUlS17_E_NS1_11comp_targetILNS1_3genE0ELNS1_11target_archE4294967295ELNS1_3gpuE0ELNS1_3repE0EEENS1_30default_config_static_selectorELNS0_4arch9wavefront6targetE0EEEvT1_ ; -- Begin function _ZN7rocprim17ROCPRIM_400000_NS6detail17trampoline_kernelINS0_14default_configENS1_25partition_config_selectorILNS1_17partition_subalgoE8ElNS0_10empty_typeEbEEZZNS1_14partition_implILS5_8ELb0ES3_jPlPS6_PKS6_NS0_5tupleIJS9_S6_EEENSD_IJSA_SA_EEENS0_18inequality_wrapperIZN2at6native12_GLOBAL__N_124unique_dim_cuda_templateIdEESt5tupleIJNSH_6TensorESM_SM_EERKSM_lbbbEUlllE0_EEPmJS6_EEE10hipError_tPvRmT3_T4_T5_T6_T7_T9_mT8_P12ihipStream_tbDpT10_ENKUlT_T0_E_clISt17integral_constantIbLb0EES1B_IbLb1EEEEDaS17_S18_EUlS17_E_NS1_11comp_targetILNS1_3genE0ELNS1_11target_archE4294967295ELNS1_3gpuE0ELNS1_3repE0EEENS1_30default_config_static_selectorELNS0_4arch9wavefront6targetE0EEEvT1_
	.p2align	8
	.type	_ZN7rocprim17ROCPRIM_400000_NS6detail17trampoline_kernelINS0_14default_configENS1_25partition_config_selectorILNS1_17partition_subalgoE8ElNS0_10empty_typeEbEEZZNS1_14partition_implILS5_8ELb0ES3_jPlPS6_PKS6_NS0_5tupleIJS9_S6_EEENSD_IJSA_SA_EEENS0_18inequality_wrapperIZN2at6native12_GLOBAL__N_124unique_dim_cuda_templateIdEESt5tupleIJNSH_6TensorESM_SM_EERKSM_lbbbEUlllE0_EEPmJS6_EEE10hipError_tPvRmT3_T4_T5_T6_T7_T9_mT8_P12ihipStream_tbDpT10_ENKUlT_T0_E_clISt17integral_constantIbLb0EES1B_IbLb1EEEEDaS17_S18_EUlS17_E_NS1_11comp_targetILNS1_3genE0ELNS1_11target_archE4294967295ELNS1_3gpuE0ELNS1_3repE0EEENS1_30default_config_static_selectorELNS0_4arch9wavefront6targetE0EEEvT1_,@function
_ZN7rocprim17ROCPRIM_400000_NS6detail17trampoline_kernelINS0_14default_configENS1_25partition_config_selectorILNS1_17partition_subalgoE8ElNS0_10empty_typeEbEEZZNS1_14partition_implILS5_8ELb0ES3_jPlPS6_PKS6_NS0_5tupleIJS9_S6_EEENSD_IJSA_SA_EEENS0_18inequality_wrapperIZN2at6native12_GLOBAL__N_124unique_dim_cuda_templateIdEESt5tupleIJNSH_6TensorESM_SM_EERKSM_lbbbEUlllE0_EEPmJS6_EEE10hipError_tPvRmT3_T4_T5_T6_T7_T9_mT8_P12ihipStream_tbDpT10_ENKUlT_T0_E_clISt17integral_constantIbLb0EES1B_IbLb1EEEEDaS17_S18_EUlS17_E_NS1_11comp_targetILNS1_3genE0ELNS1_11target_archE4294967295ELNS1_3gpuE0ELNS1_3repE0EEENS1_30default_config_static_selectorELNS0_4arch9wavefront6targetE0EEEvT1_: ; @_ZN7rocprim17ROCPRIM_400000_NS6detail17trampoline_kernelINS0_14default_configENS1_25partition_config_selectorILNS1_17partition_subalgoE8ElNS0_10empty_typeEbEEZZNS1_14partition_implILS5_8ELb0ES3_jPlPS6_PKS6_NS0_5tupleIJS9_S6_EEENSD_IJSA_SA_EEENS0_18inequality_wrapperIZN2at6native12_GLOBAL__N_124unique_dim_cuda_templateIdEESt5tupleIJNSH_6TensorESM_SM_EERKSM_lbbbEUlllE0_EEPmJS6_EEE10hipError_tPvRmT3_T4_T5_T6_T7_T9_mT8_P12ihipStream_tbDpT10_ENKUlT_T0_E_clISt17integral_constantIbLb0EES1B_IbLb1EEEEDaS17_S18_EUlS17_E_NS1_11comp_targetILNS1_3genE0ELNS1_11target_archE4294967295ELNS1_3gpuE0ELNS1_3repE0EEENS1_30default_config_static_selectorELNS0_4arch9wavefront6targetE0EEEvT1_
; %bb.0:
	s_clause 0x1
	s_load_b256 s[12:19], s[0:1], 0x40
	s_load_b128 s[8:11], s[0:1], 0x60
	v_cmp_ne_u32_e64 s3, 0, v0
	v_cmp_eq_u32_e64 s2, 0, v0
	s_and_saveexec_b32 s4, s2
	s_cbranch_execz .LBB831_4
; %bb.1:
	s_mov_b32 s6, exec_lo
	s_mov_b32 s5, exec_lo
	v_mbcnt_lo_u32_b32 v1, s6, 0
                                        ; implicit-def: $vgpr2
	s_delay_alu instid0(VALU_DEP_1)
	v_cmpx_eq_u32_e32 0, v1
	s_cbranch_execz .LBB831_3
; %bb.2:
	s_load_b64 s[20:21], s[0:1], 0x78
	s_bcnt1_i32_b32 s6, s6
	s_delay_alu instid0(SALU_CYCLE_1)
	v_dual_mov_b32 v2, 0 :: v_dual_mov_b32 v3, s6
	s_wait_xcnt 0x0
	s_wait_kmcnt 0x0
	global_atomic_add_u32 v2, v2, v3, s[20:21] th:TH_ATOMIC_RETURN scope:SCOPE_DEV
.LBB831_3:
	s_wait_xcnt 0x0
	s_or_b32 exec_lo, exec_lo, s5
	s_wait_loadcnt 0x0
	v_readfirstlane_b32 s5, v2
	s_delay_alu instid0(VALU_DEP_1)
	v_dual_mov_b32 v2, 0 :: v_dual_add_nc_u32 v1, s5, v1
	ds_store_b32 v2, v1
.LBB831_4:
	s_or_b32 exec_lo, exec_lo, s4
	v_dual_mov_b32 v3, 0 :: v_dual_lshlrev_b32 v18, 3, v0
	s_clause 0x2
	s_load_b128 s[4:7], s[0:1], 0x8
	s_load_b64 s[20:21], s[0:1], 0x28
	s_load_b32 s22, s[0:1], 0x70
	s_wait_dscnt 0x0
	s_barrier_signal -1
	s_barrier_wait -1
	ds_load_b32 v1, v3
	s_wait_dscnt 0x0
	s_barrier_signal -1
	s_barrier_wait -1
	s_wait_kmcnt 0x0
	global_load_b64 v[4:5], v3, s[14:15]
	s_mov_b32 s1, 0
	s_wait_xcnt 0x0
	s_lshl_b64 s[14:15], s[6:7], 3
	s_mul_i32 s0, s22, 0xe00
	s_add_co_i32 s26, s22, -1
	s_add_nc_u64 s[24:25], s[6:7], s[0:1]
	s_add_co_i32 s0, s0, s6
	v_cmp_le_u64_e64 s1, s[16:17], s[24:25]
	v_mul_lo_u32 v2, 0xe00, v1
	v_readfirstlane_b32 s22, v1
	s_sub_co_i32 s23, s16, s0
	s_add_nc_u64 s[4:5], s[4:5], s[14:15]
	s_mov_b32 s0, -1
	s_cmp_eq_u32 s22, s26
	s_cselect_b32 s16, -1, 0
	s_delay_alu instid0(SALU_CYCLE_1) | instskip(SKIP_2) | instid1(SALU_CYCLE_1)
	s_and_b32 s1, s1, s16
	v_lshlrev_b64_e32 v[2:3], 3, v[2:3]
	s_xor_b32 s17, s1, -1
	s_and_b32 vcc_lo, exec_lo, s17
	s_delay_alu instid0(VALU_DEP_1)
	v_add_nc_u64_e32 v[20:21], s[4:5], v[2:3]
	s_wait_loadcnt 0x0
	v_readfirstlane_b32 s14, v4
	v_readfirstlane_b32 s15, v5
	s_cbranch_vccz .LBB831_6
; %bb.5:
	v_readfirstlane_b32 s4, v20
	v_readfirstlane_b32 s5, v21
	v_lshlrev_b32_e32 v1, 3, v0
	s_mov_b32 s0, 0
	s_clause 0x6
	global_load_b64 v[2:3], v0, s[4:5] scale_offset
	global_load_b64 v[4:5], v0, s[4:5] offset:4096 scale_offset
	global_load_b64 v[6:7], v0, s[4:5] offset:8192 scale_offset
	;; [unrolled: 1-line block ×6, first 2 shown]
	s_wait_loadcnt 0x5
	ds_store_2addr_stride64_b64 v1, v[2:3], v[4:5] offset1:8
	s_wait_loadcnt 0x3
	ds_store_2addr_stride64_b64 v1, v[6:7], v[8:9] offset0:16 offset1:24
	s_wait_loadcnt 0x1
	ds_store_2addr_stride64_b64 v1, v[10:11], v[12:13] offset0:32 offset1:40
	s_wait_loadcnt 0x0
	ds_store_b64 v1, v[14:15] offset:24576
	s_wait_dscnt 0x0
	s_barrier_signal -1
	s_barrier_wait -1
.LBB831_6:
	s_and_not1_b32 vcc_lo, exec_lo, s0
	s_addk_co_i32 s23, 0xe00
	s_cbranch_vccnz .LBB831_22
; %bb.7:
	v_mov_b32_e32 v2, 0
	s_mov_b32 s0, exec_lo
	s_delay_alu instid0(VALU_DEP_1)
	v_dual_mov_b32 v3, v2 :: v_dual_mov_b32 v4, v2
	v_dual_mov_b32 v5, v2 :: v_dual_mov_b32 v6, v2
	;; [unrolled: 1-line block ×6, first 2 shown]
	v_mov_b32_e32 v15, v2
	v_cmpx_gt_u32_e64 s23, v0
	s_cbranch_execz .LBB831_9
; %bb.8:
	v_readfirstlane_b32 s4, v20
	v_readfirstlane_b32 s5, v21
	v_dual_mov_b32 v6, v2 :: v_dual_mov_b32 v7, v2
	v_dual_mov_b32 v8, v2 :: v_dual_mov_b32 v9, v2
	global_load_b64 v[4:5], v0, s[4:5] scale_offset
	v_dual_mov_b32 v10, v2 :: v_dual_mov_b32 v11, v2
	v_dual_mov_b32 v12, v2 :: v_dual_mov_b32 v13, v2
	;; [unrolled: 1-line block ×4, first 2 shown]
	s_wait_loadcnt 0x0
	v_mov_b64_e32 v[2:3], v[4:5]
	v_mov_b64_e32 v[4:5], v[6:7]
	;; [unrolled: 1-line block ×8, first 2 shown]
.LBB831_9:
	s_or_b32 exec_lo, exec_lo, s0
	v_or_b32_e32 v1, 0x200, v0
	s_mov_b32 s0, exec_lo
	s_delay_alu instid0(VALU_DEP_1)
	v_cmpx_gt_u32_e64 s23, v1
	s_cbranch_execz .LBB831_11
; %bb.10:
	v_readfirstlane_b32 s4, v20
	v_readfirstlane_b32 s5, v21
	global_load_b64 v[4:5], v0, s[4:5] offset:4096 scale_offset
.LBB831_11:
	s_wait_xcnt 0x0
	s_or_b32 exec_lo, exec_lo, s0
	v_or_b32_e32 v1, 0x400, v0
	s_mov_b32 s0, exec_lo
	s_delay_alu instid0(VALU_DEP_1)
	v_cmpx_gt_u32_e64 s23, v1
	s_cbranch_execz .LBB831_13
; %bb.12:
	v_readfirstlane_b32 s4, v20
	v_readfirstlane_b32 s5, v21
	global_load_b64 v[6:7], v0, s[4:5] offset:8192 scale_offset
.LBB831_13:
	s_wait_xcnt 0x0
	;; [unrolled: 12-line block ×6, first 2 shown]
	s_or_b32 exec_lo, exec_lo, s0
	v_lshlrev_b32_e32 v1, 3, v0
	s_wait_loadcnt 0x0
	ds_store_2addr_stride64_b64 v1, v[2:3], v[4:5] offset1:8
	ds_store_2addr_stride64_b64 v1, v[6:7], v[8:9] offset0:16 offset1:24
	ds_store_2addr_stride64_b64 v1, v[10:11], v[12:13] offset0:32 offset1:40
	ds_store_b64 v1, v[14:15] offset:24576
	s_wait_dscnt 0x0
	s_barrier_signal -1
	s_barrier_wait -1
.LBB831_22:
	v_mul_u32_u24_e32 v1, 7, v0
	s_cmp_lg_u32 s22, 0
	v_cmp_gt_i64_e64 s26, s[18:19], 0
	s_cselect_b32 s24, -1, 0
	v_lshlrev_b32_e32 v26, 3, v1
	s_cmp_lg_u64 s[6:7], 0
	s_mov_b32 s25, 0
	s_cselect_b32 s0, -1, 0
	ds_load_2addr_b64 v[10:13], v26 offset1:1
	ds_load_2addr_b64 v[6:9], v26 offset0:2 offset1:3
	ds_load_2addr_b64 v[2:5], v26 offset0:4 offset1:5
	ds_load_b64 v[14:15], v26 offset:48
	s_or_b32 s0, s0, s24
	s_wait_dscnt 0x0
	s_and_b32 vcc_lo, exec_lo, s0
	s_barrier_signal -1
	s_barrier_wait -1
	s_cbranch_vccz .LBB831_38
; %bb.23:
	global_load_b64 v[20:21], v[20:21], off offset:-8
	v_cndmask_b32_e64 v27, 0, 1, s26
	v_lshlrev_b32_e32 v28, 3, v0
	s_and_b32 vcc_lo, exec_lo, s17
	s_delay_alu instid0(VALU_DEP_2)
	v_cmp_ne_u32_e64 s0, 1, v27
	ds_store_b64 v28, v[14:15]
	s_cbranch_vccz .LBB831_40
; %bb.24:
	s_and_b32 vcc_lo, exec_lo, s0
	s_cbranch_vccnz .LBB831_41
; %bb.25:
	v_mul_u64_e32 v[16:17], s[18:19], v[4:5]
	v_mul_u64_e32 v[22:23], s[18:19], v[14:15]
	s_add_nc_u64 s[4:5], s[18:19], -1
	s_mov_b32 s27, 0
	s_mov_b64 s[6:7], s[4:5]
                                        ; implicit-def: $sgpr25
	s_delay_alu instid0(VALU_DEP_2) | instskip(NEXT) | instid1(VALU_DEP_2)
	v_lshl_add_u64 v[16:17], v[16:17], 3, s[8:9]
	v_lshl_add_u64 v[22:23], v[22:23], 3, s[8:9]
	s_delay_alu instid0(VALU_DEP_2)
	v_mov_b64_e32 v[24:25], v[16:17]
.LBB831_26:                             ; =>This Inner Loop Header: Depth=1
	global_load_b64 v[30:31], v[24:25], off
	global_load_b64 v[32:33], v[22:23], off
	s_cmp_eq_u64 s[6:7], 0
	s_add_nc_u64 s[28:29], s[6:7], -1
	s_cselect_b32 s6, -1, 0
	s_wait_xcnt 0x1
	v_add_nc_u64_e32 v[24:25], 8, v[24:25]
	s_wait_xcnt 0x0
	v_add_nc_u64_e32 v[22:23], 8, v[22:23]
	s_wait_loadcnt 0x0
	v_cmp_neq_f64_e32 vcc_lo, v[30:31], v[32:33]
	v_cmp_eq_f64_e64 s0, v[30:31], v[32:33]
	s_or_b32 s6, vcc_lo, s6
	s_delay_alu instid0(SALU_CYCLE_1) | instskip(NEXT) | instid1(SALU_CYCLE_1)
	s_and_b32 s6, exec_lo, s6
	s_or_b32 s27, s6, s27
	s_and_not1_b32 s25, s25, exec_lo
	s_and_b32 s0, s0, exec_lo
	s_mov_b64 s[6:7], s[28:29]
	s_or_b32 s25, s25, s0
	s_and_not1_b32 exec_lo, exec_lo, s27
	s_cbranch_execnz .LBB831_26
; %bb.27:
	s_or_b32 exec_lo, exec_lo, s27
	v_mul_u64_e32 v[22:23], s[18:19], v[2:3]
	s_mov_b32 s28, 0
	s_mov_b64 s[6:7], s[4:5]
                                        ; implicit-def: $sgpr27
	s_delay_alu instid0(VALU_DEP_1) | instskip(NEXT) | instid1(VALU_DEP_1)
	v_lshl_add_u64 v[22:23], v[22:23], 3, s[8:9]
	v_mov_b64_e32 v[24:25], v[22:23]
.LBB831_28:                             ; =>This Inner Loop Header: Depth=1
	global_load_b64 v[30:31], v[24:25], off
	global_load_b64 v[32:33], v[16:17], off
	s_cmp_eq_u64 s[6:7], 0
	s_add_nc_u64 s[30:31], s[6:7], -1
	s_cselect_b32 s6, -1, 0
	s_wait_xcnt 0x1
	v_add_nc_u64_e32 v[24:25], 8, v[24:25]
	s_wait_xcnt 0x0
	v_add_nc_u64_e32 v[16:17], 8, v[16:17]
	s_wait_loadcnt 0x0
	v_cmp_neq_f64_e32 vcc_lo, v[30:31], v[32:33]
	v_cmp_eq_f64_e64 s0, v[30:31], v[32:33]
	s_or_b32 s6, vcc_lo, s6
	s_delay_alu instid0(SALU_CYCLE_1) | instskip(NEXT) | instid1(SALU_CYCLE_1)
	s_and_b32 s6, exec_lo, s6
	s_or_b32 s28, s6, s28
	s_and_not1_b32 s27, s27, exec_lo
	s_and_b32 s0, s0, exec_lo
	s_mov_b64 s[6:7], s[30:31]
	s_or_b32 s27, s27, s0
	s_and_not1_b32 exec_lo, exec_lo, s28
	s_cbranch_execnz .LBB831_28
; %bb.29:
	s_or_b32 exec_lo, exec_lo, s28
	v_mul_u64_e32 v[16:17], s[18:19], v[8:9]
	s_mov_b32 s29, 0
	s_mov_b64 s[6:7], s[4:5]
                                        ; implicit-def: $sgpr28
	s_delay_alu instid0(VALU_DEP_1) | instskip(NEXT) | instid1(VALU_DEP_1)
	v_lshl_add_u64 v[16:17], v[16:17], 3, s[8:9]
	v_mov_b64_e32 v[24:25], v[16:17]
.LBB831_30:                             ; =>This Inner Loop Header: Depth=1
	global_load_b64 v[30:31], v[24:25], off
	global_load_b64 v[32:33], v[22:23], off
	s_cmp_eq_u64 s[6:7], 0
	s_add_nc_u64 s[30:31], s[6:7], -1
	s_cselect_b32 s6, -1, 0
	s_wait_xcnt 0x1
	v_add_nc_u64_e32 v[24:25], 8, v[24:25]
	s_wait_xcnt 0x0
	v_add_nc_u64_e32 v[22:23], 8, v[22:23]
	s_wait_loadcnt 0x0
	v_cmp_neq_f64_e32 vcc_lo, v[30:31], v[32:33]
	v_cmp_eq_f64_e64 s0, v[30:31], v[32:33]
	s_or_b32 s6, vcc_lo, s6
	s_delay_alu instid0(SALU_CYCLE_1) | instskip(NEXT) | instid1(SALU_CYCLE_1)
	s_and_b32 s6, exec_lo, s6
	s_or_b32 s29, s6, s29
	s_and_not1_b32 s28, s28, exec_lo
	s_and_b32 s0, s0, exec_lo
	s_mov_b64 s[6:7], s[30:31]
	s_or_b32 s28, s28, s0
	s_and_not1_b32 exec_lo, exec_lo, s29
	s_cbranch_execnz .LBB831_30
; %bb.31:
	s_or_b32 exec_lo, exec_lo, s29
	v_mul_u64_e32 v[22:23], s[18:19], v[6:7]
	s_mov_b32 s30, 0
	s_mov_b64 s[6:7], s[4:5]
                                        ; implicit-def: $sgpr29
	s_delay_alu instid0(VALU_DEP_1) | instskip(NEXT) | instid1(VALU_DEP_1)
	v_lshl_add_u64 v[22:23], v[22:23], 3, s[8:9]
	v_mov_b64_e32 v[24:25], v[22:23]
.LBB831_32:                             ; =>This Inner Loop Header: Depth=1
	global_load_b64 v[30:31], v[24:25], off
	global_load_b64 v[32:33], v[16:17], off
	s_cmp_eq_u64 s[6:7], 0
	s_add_nc_u64 s[34:35], s[6:7], -1
	s_cselect_b32 s6, -1, 0
	s_wait_xcnt 0x1
	v_add_nc_u64_e32 v[24:25], 8, v[24:25]
	s_wait_xcnt 0x0
	v_add_nc_u64_e32 v[16:17], 8, v[16:17]
	s_wait_loadcnt 0x0
	v_cmp_neq_f64_e32 vcc_lo, v[30:31], v[32:33]
	v_cmp_eq_f64_e64 s0, v[30:31], v[32:33]
	s_or_b32 s6, vcc_lo, s6
	s_delay_alu instid0(SALU_CYCLE_1) | instskip(NEXT) | instid1(SALU_CYCLE_1)
	s_and_b32 s6, exec_lo, s6
	s_or_b32 s30, s6, s30
	s_and_not1_b32 s29, s29, exec_lo
	s_and_b32 s0, s0, exec_lo
	s_mov_b64 s[6:7], s[34:35]
	s_or_b32 s29, s29, s0
	s_and_not1_b32 exec_lo, exec_lo, s30
	s_cbranch_execnz .LBB831_32
; %bb.33:
	s_or_b32 exec_lo, exec_lo, s30
	v_mul_u64_e32 v[16:17], s[18:19], v[12:13]
	s_mov_b32 s31, 0
	s_mov_b64 s[6:7], s[4:5]
                                        ; implicit-def: $sgpr30
	s_delay_alu instid0(VALU_DEP_1) | instskip(NEXT) | instid1(VALU_DEP_1)
	v_lshl_add_u64 v[16:17], v[16:17], 3, s[8:9]
	v_mov_b64_e32 v[24:25], v[16:17]
.LBB831_34:                             ; =>This Inner Loop Header: Depth=1
	global_load_b64 v[30:31], v[24:25], off
	global_load_b64 v[32:33], v[22:23], off
	s_cmp_eq_u64 s[6:7], 0
	s_add_nc_u64 s[34:35], s[6:7], -1
	s_cselect_b32 s6, -1, 0
	s_wait_xcnt 0x1
	v_add_nc_u64_e32 v[24:25], 8, v[24:25]
	s_wait_xcnt 0x0
	v_add_nc_u64_e32 v[22:23], 8, v[22:23]
	s_wait_loadcnt 0x0
	v_cmp_neq_f64_e32 vcc_lo, v[30:31], v[32:33]
	v_cmp_eq_f64_e64 s0, v[30:31], v[32:33]
	s_or_b32 s6, vcc_lo, s6
	s_delay_alu instid0(SALU_CYCLE_1) | instskip(NEXT) | instid1(SALU_CYCLE_1)
	s_and_b32 s6, exec_lo, s6
	s_or_b32 s31, s6, s31
	s_and_not1_b32 s30, s30, exec_lo
	s_and_b32 s0, s0, exec_lo
	s_mov_b64 s[6:7], s[34:35]
	s_or_b32 s30, s30, s0
	s_and_not1_b32 exec_lo, exec_lo, s31
	s_cbranch_execnz .LBB831_34
; %bb.35:
	s_or_b32 exec_lo, exec_lo, s31
	v_mul_u64_e32 v[22:23], s[18:19], v[10:11]
	s_mov_b32 s7, 0
                                        ; implicit-def: $sgpr6
	s_delay_alu instid0(VALU_DEP_1)
	v_lshl_add_u64 v[22:23], v[22:23], 3, s[8:9]
.LBB831_36:                             ; =>This Inner Loop Header: Depth=1
	global_load_b64 v[24:25], v[22:23], off
	global_load_b64 v[30:31], v[16:17], off
	s_cmp_eq_u64 s[4:5], 0
	s_add_nc_u64 s[34:35], s[4:5], -1
	s_cselect_b32 s4, -1, 0
	s_wait_xcnt 0x1
	v_add_nc_u64_e32 v[22:23], 8, v[22:23]
	s_wait_xcnt 0x0
	v_add_nc_u64_e32 v[16:17], 8, v[16:17]
	s_wait_loadcnt 0x0
	v_cmp_neq_f64_e32 vcc_lo, v[24:25], v[30:31]
	v_cmp_eq_f64_e64 s0, v[24:25], v[30:31]
	s_or_b32 s4, vcc_lo, s4
	s_delay_alu instid0(SALU_CYCLE_1) | instskip(NEXT) | instid1(SALU_CYCLE_1)
	s_and_b32 s4, exec_lo, s4
	s_or_b32 s7, s4, s7
	s_and_not1_b32 s6, s6, exec_lo
	s_and_b32 s0, s0, exec_lo
	s_mov_b64 s[4:5], s[34:35]
	s_or_b32 s6, s6, s0
	s_and_not1_b32 exec_lo, exec_lo, s7
	s_cbranch_execnz .LBB831_36
; %bb.37:
	s_or_b32 exec_lo, exec_lo, s7
	s_xor_b32 s0, s29, -1
	s_delay_alu instid0(SALU_CYCLE_1) | instskip(SKIP_1) | instid1(SALU_CYCLE_1)
	v_cndmask_b32_e64 v16, 0, 1, s0
	s_xor_b32 s0, s30, -1
	v_cndmask_b32_e64 v17, 0, 1, s0
	s_xor_b32 s0, s27, -1
	s_delay_alu instid0(VALU_DEP_2) | instskip(SKIP_2) | instid1(SALU_CYCLE_1)
	v_lshlrev_b16 v16, 8, v16
	v_cndmask_b32_e64 v30, 0, 1, s0
	s_xor_b32 s0, s25, -1
	v_cndmask_b32_e64 v19, 0, 1, s0
	s_delay_alu instid0(VALU_DEP_3) | instskip(SKIP_1) | instid1(VALU_DEP_1)
	v_lshrrev_b32_e32 v16, 8, v16
	s_xor_b32 s0, s28, -1
	v_and_b32_e32 v16, 1, v16
	s_delay_alu instid0(VALU_DEP_1) | instskip(NEXT) | instid1(VALU_DEP_1)
	v_lshlrev_b16 v16, 8, v16
	v_or_b32_e32 v16, v17, v16
	v_cndmask_b32_e64 v17, 0, 1, s0
	s_xor_b32 s0, s6, -1
	s_delay_alu instid0(VALU_DEP_2)
	v_lshlrev_b32_e32 v16, 16, v16
	s_branch .LBB831_42
.LBB831_38:
                                        ; implicit-def: $sgpr0
                                        ; implicit-def: $vgpr19
                                        ; implicit-def: $vgpr30
                                        ; implicit-def: $vgpr17
                                        ; implicit-def: $vgpr22
	s_branch .LBB831_95
.LBB831_39:
                                        ; implicit-def: $vgpr32
                                        ; implicit-def: $vgpr31
                                        ; implicit-def: $vgpr20
	s_branch .LBB831_164
.LBB831_40:
                                        ; implicit-def: $sgpr0
                                        ; implicit-def: $vgpr19
                                        ; implicit-def: $vgpr30
                                        ; implicit-def: $vgpr17
                                        ; implicit-def: $vgpr22
	s_cbranch_execnz .LBB831_49
	s_branch .LBB831_94
.LBB831_41:
	v_dual_mov_b32 v16, 0 :: v_dual_mov_b32 v19, 0
	v_dual_mov_b32 v30, 0 :: v_dual_mov_b32 v17, 0
	s_mov_b32 s0, 0
.LBB831_42:
	s_wait_loadcnt 0x0
	v_mov_b64_e32 v[22:23], v[20:21]
	s_wait_dscnt 0x0
	s_barrier_signal -1
	s_barrier_wait -1
	s_and_saveexec_b32 s4, s3
; %bb.43:
	v_add_nc_u32_e32 v22, -8, v28
	ds_load_b64 v[22:23], v22
; %bb.44:
	s_or_b32 exec_lo, exec_lo, s4
	v_cndmask_b32_e64 v24, 0, 1, s0
	v_lshrrev_b32_e32 v25, 16, v16
	s_mov_b32 s6, 0
	s_and_not1_b32 vcc_lo, exec_lo, s26
	s_mov_b32 s0, 0
	v_lshlrev_b16 v24, 8, v24
	s_delay_alu instid0(VALU_DEP_1) | instskip(SKIP_1) | instid1(VALU_DEP_2)
	v_bitop3_b16 v24, v16, v24, 0xff bitop3:0xec
	v_perm_b32 v16, v25, v16, 0xc0c0304
	v_and_b32_e32 v29, 0xffff, v24
	s_cbranch_vccnz .LBB831_48
; %bb.45:
	s_wait_dscnt 0x0
	v_mul_u64_e32 v[22:23], s[18:19], v[22:23]
	v_mul_u64_e32 v[24:25], s[18:19], v[10:11]
	s_add_nc_u64 s[4:5], s[18:19], -1
	s_mov_b32 s7, 0
                                        ; implicit-def: $sgpr25
	s_delay_alu instid0(VALU_DEP_2) | instskip(NEXT) | instid1(VALU_DEP_2)
	v_lshl_add_u64 v[22:23], v[22:23], 3, s[8:9]
	v_lshl_add_u64 v[24:25], v[24:25], 3, s[8:9]
.LBB831_46:                             ; =>This Inner Loop Header: Depth=1
	global_load_b64 v[32:33], v[22:23], off
	global_load_b64 v[34:35], v[24:25], off
	s_cmp_eq_u64 s[4:5], 0
	s_add_nc_u64 s[28:29], s[4:5], -1
	s_cselect_b32 s4, -1, 0
	s_wait_xcnt 0x1
	v_add_nc_u64_e32 v[22:23], 8, v[22:23]
	s_wait_xcnt 0x0
	v_add_nc_u64_e32 v[24:25], 8, v[24:25]
	s_wait_loadcnt 0x0
	v_cmp_neq_f64_e32 vcc_lo, v[32:33], v[34:35]
	v_cmp_eq_f64_e64 s0, v[32:33], v[34:35]
	s_or_b32 s4, vcc_lo, s4
	s_delay_alu instid0(SALU_CYCLE_1) | instskip(NEXT) | instid1(SALU_CYCLE_1)
	s_and_b32 s4, exec_lo, s4
	s_or_b32 s7, s4, s7
	s_and_not1_b32 s25, s25, exec_lo
	s_and_b32 s0, s0, exec_lo
	s_mov_b64 s[4:5], s[28:29]
	s_or_b32 s25, s25, s0
	s_and_not1_b32 exec_lo, exec_lo, s7
	s_cbranch_execnz .LBB831_46
; %bb.47:
	s_or_b32 exec_lo, exec_lo, s7
	s_xor_b32 s0, s25, -1
.LBB831_48:
	s_wait_dscnt 0x0
	s_delay_alu instid0(VALU_DEP_1)
	v_lshl_or_b32 v22, v16, 16, v29
	s_and_b32 vcc_lo, exec_lo, s6
	s_cbranch_vccz .LBB831_94
.LBB831_49:
	v_add_nc_u32_e32 v16, 6, v1
	s_mov_b32 s7, 0
	s_mov_b32 s6, 0
	s_mov_b32 s25, exec_lo
	s_wait_xcnt 0x0
	v_cmpx_gt_u32_e64 s23, v16
	s_cbranch_execz .LBB831_55
; %bb.50:
	s_and_not1_b32 vcc_lo, exec_lo, s26
	s_mov_b32 s0, 0
	s_cbranch_vccnz .LBB831_54
; %bb.51:
	v_mul_u64_e32 v[16:17], s[18:19], v[4:5]
	v_mul_u64_e32 v[22:23], s[18:19], v[14:15]
	s_add_nc_u64 s[4:5], s[18:19], -1
                                        ; implicit-def: $sgpr26
	s_delay_alu instid0(VALU_DEP_2) | instskip(NEXT) | instid1(VALU_DEP_2)
	v_lshl_add_u64 v[16:17], v[16:17], 3, s[8:9]
	v_lshl_add_u64 v[22:23], v[22:23], 3, s[8:9]
.LBB831_52:                             ; =>This Inner Loop Header: Depth=1
	global_load_b64 v[24:25], v[16:17], off
	global_load_b64 v[30:31], v[22:23], off
	s_cmp_eq_u64 s[4:5], 0
	s_add_nc_u64 s[28:29], s[4:5], -1
	s_cselect_b32 s4, -1, 0
	s_wait_xcnt 0x1
	v_add_nc_u64_e32 v[16:17], 8, v[16:17]
	s_wait_xcnt 0x0
	v_add_nc_u64_e32 v[22:23], 8, v[22:23]
	s_wait_loadcnt 0x0
	v_cmp_neq_f64_e32 vcc_lo, v[24:25], v[30:31]
	v_cmp_eq_f64_e64 s0, v[24:25], v[30:31]
	s_or_b32 s4, vcc_lo, s4
	s_delay_alu instid0(SALU_CYCLE_1) | instskip(NEXT) | instid1(SALU_CYCLE_1)
	s_and_b32 s4, exec_lo, s4
	s_or_b32 s6, s4, s6
	s_and_not1_b32 s26, s26, exec_lo
	s_and_b32 s0, s0, exec_lo
	s_mov_b64 s[4:5], s[28:29]
	s_or_b32 s26, s26, s0
	s_and_not1_b32 exec_lo, exec_lo, s6
	s_cbranch_execnz .LBB831_52
; %bb.53:
	s_or_b32 exec_lo, exec_lo, s6
	s_xor_b32 s0, s26, -1
.LBB831_54:
	s_delay_alu instid0(SALU_CYCLE_1)
	s_and_b32 s6, s0, exec_lo
.LBB831_55:
	s_or_b32 exec_lo, exec_lo, s25
	v_add_nc_u32_e32 v16, 5, v1
	s_mov_b32 s25, exec_lo
	s_delay_alu instid0(VALU_DEP_1)
	v_cmpx_gt_u32_e64 s23, v16
	s_cbranch_execz .LBB831_61
; %bb.56:
	v_cmp_ne_u32_e32 vcc_lo, 1, v27
	s_mov_b32 s0, 0
	s_cbranch_vccnz .LBB831_60
; %bb.57:
	v_mul_u64_e32 v[16:17], s[18:19], v[2:3]
	v_mul_u64_e32 v[22:23], s[18:19], v[4:5]
	s_add_nc_u64 s[4:5], s[18:19], -1
	s_mov_b32 s7, 0
                                        ; implicit-def: $sgpr26
	s_delay_alu instid0(VALU_DEP_2) | instskip(NEXT) | instid1(VALU_DEP_2)
	v_lshl_add_u64 v[16:17], v[16:17], 3, s[8:9]
	v_lshl_add_u64 v[22:23], v[22:23], 3, s[8:9]
.LBB831_58:                             ; =>This Inner Loop Header: Depth=1
	global_load_b64 v[24:25], v[16:17], off
	global_load_b64 v[30:31], v[22:23], off
	s_cmp_eq_u64 s[4:5], 0
	s_add_nc_u64 s[28:29], s[4:5], -1
	s_cselect_b32 s4, -1, 0
	s_wait_xcnt 0x1
	v_add_nc_u64_e32 v[16:17], 8, v[16:17]
	s_wait_xcnt 0x0
	v_add_nc_u64_e32 v[22:23], 8, v[22:23]
	s_wait_loadcnt 0x0
	v_cmp_neq_f64_e32 vcc_lo, v[24:25], v[30:31]
	v_cmp_eq_f64_e64 s0, v[24:25], v[30:31]
	s_or_b32 s4, vcc_lo, s4
	s_delay_alu instid0(SALU_CYCLE_1) | instskip(NEXT) | instid1(SALU_CYCLE_1)
	s_and_b32 s4, exec_lo, s4
	s_or_b32 s7, s4, s7
	s_and_not1_b32 s26, s26, exec_lo
	s_and_b32 s0, s0, exec_lo
	s_mov_b64 s[4:5], s[28:29]
	s_or_b32 s26, s26, s0
	s_and_not1_b32 exec_lo, exec_lo, s7
	s_cbranch_execnz .LBB831_58
; %bb.59:
	s_or_b32 exec_lo, exec_lo, s7
	s_xor_b32 s0, s26, -1
.LBB831_60:
	s_delay_alu instid0(SALU_CYCLE_1)
	s_and_b32 s7, s0, exec_lo
.LBB831_61:
	s_or_b32 exec_lo, exec_lo, s25
	v_add_nc_u32_e32 v16, 4, v1
	s_mov_b32 s26, 0
	s_mov_b32 s25, 0
	s_mov_b32 s27, exec_lo
	s_delay_alu instid0(VALU_DEP_1)
	v_cmpx_gt_u32_e64 s23, v16
	s_cbranch_execz .LBB831_67
; %bb.62:
	v_cmp_ne_u32_e32 vcc_lo, 1, v27
	s_mov_b32 s0, 0
	s_cbranch_vccnz .LBB831_66
; %bb.63:
	v_mul_u64_e32 v[16:17], s[18:19], v[8:9]
	v_mul_u64_e32 v[22:23], s[18:19], v[2:3]
	s_add_nc_u64 s[4:5], s[18:19], -1
                                        ; implicit-def: $sgpr28
	s_delay_alu instid0(VALU_DEP_2) | instskip(NEXT) | instid1(VALU_DEP_2)
	v_lshl_add_u64 v[16:17], v[16:17], 3, s[8:9]
	v_lshl_add_u64 v[22:23], v[22:23], 3, s[8:9]
.LBB831_64:                             ; =>This Inner Loop Header: Depth=1
	global_load_b64 v[24:25], v[16:17], off
	global_load_b64 v[30:31], v[22:23], off
	s_cmp_eq_u64 s[4:5], 0
	s_add_nc_u64 s[30:31], s[4:5], -1
	s_cselect_b32 s4, -1, 0
	s_wait_xcnt 0x1
	v_add_nc_u64_e32 v[16:17], 8, v[16:17]
	s_wait_xcnt 0x0
	v_add_nc_u64_e32 v[22:23], 8, v[22:23]
	s_wait_loadcnt 0x0
	v_cmp_neq_f64_e32 vcc_lo, v[24:25], v[30:31]
	v_cmp_eq_f64_e64 s0, v[24:25], v[30:31]
	s_or_b32 s4, vcc_lo, s4
	s_delay_alu instid0(SALU_CYCLE_1) | instskip(NEXT) | instid1(SALU_CYCLE_1)
	s_and_b32 s4, exec_lo, s4
	s_or_b32 s25, s4, s25
	s_and_not1_b32 s28, s28, exec_lo
	s_and_b32 s0, s0, exec_lo
	s_mov_b64 s[4:5], s[30:31]
	s_or_b32 s28, s28, s0
	s_and_not1_b32 exec_lo, exec_lo, s25
	s_cbranch_execnz .LBB831_64
; %bb.65:
	s_or_b32 exec_lo, exec_lo, s25
	s_xor_b32 s0, s28, -1
.LBB831_66:
	s_delay_alu instid0(SALU_CYCLE_1)
	s_and_b32 s25, s0, exec_lo
.LBB831_67:
	s_or_b32 exec_lo, exec_lo, s27
	v_add_nc_u32_e32 v16, 3, v1
	s_mov_b32 s27, exec_lo
	s_delay_alu instid0(VALU_DEP_1)
	v_cmpx_gt_u32_e64 s23, v16
	s_cbranch_execz .LBB831_73
; %bb.68:
	v_cmp_ne_u32_e32 vcc_lo, 1, v27
	s_mov_b32 s0, 0
	s_cbranch_vccnz .LBB831_72
; %bb.69:
	v_mul_u64_e32 v[16:17], s[18:19], v[6:7]
	v_mul_u64_e32 v[22:23], s[18:19], v[8:9]
	s_add_nc_u64 s[4:5], s[18:19], -1
	s_mov_b32 s26, 0
                                        ; implicit-def: $sgpr28
	s_delay_alu instid0(VALU_DEP_2) | instskip(NEXT) | instid1(VALU_DEP_2)
	v_lshl_add_u64 v[16:17], v[16:17], 3, s[8:9]
	v_lshl_add_u64 v[22:23], v[22:23], 3, s[8:9]
.LBB831_70:                             ; =>This Inner Loop Header: Depth=1
	global_load_b64 v[24:25], v[16:17], off
	global_load_b64 v[30:31], v[22:23], off
	s_cmp_eq_u64 s[4:5], 0
	s_add_nc_u64 s[30:31], s[4:5], -1
	s_cselect_b32 s4, -1, 0
	s_wait_xcnt 0x1
	v_add_nc_u64_e32 v[16:17], 8, v[16:17]
	s_wait_xcnt 0x0
	v_add_nc_u64_e32 v[22:23], 8, v[22:23]
	s_wait_loadcnt 0x0
	v_cmp_neq_f64_e32 vcc_lo, v[24:25], v[30:31]
	v_cmp_eq_f64_e64 s0, v[24:25], v[30:31]
	s_or_b32 s4, vcc_lo, s4
	s_delay_alu instid0(SALU_CYCLE_1) | instskip(NEXT) | instid1(SALU_CYCLE_1)
	s_and_b32 s4, exec_lo, s4
	s_or_b32 s26, s4, s26
	s_and_not1_b32 s28, s28, exec_lo
	s_and_b32 s0, s0, exec_lo
	s_mov_b64 s[4:5], s[30:31]
	s_or_b32 s28, s28, s0
	s_and_not1_b32 exec_lo, exec_lo, s26
	s_cbranch_execnz .LBB831_70
; %bb.71:
	s_or_b32 exec_lo, exec_lo, s26
	s_xor_b32 s0, s28, -1
.LBB831_72:
	s_delay_alu instid0(SALU_CYCLE_1)
	s_and_b32 s26, s0, exec_lo
.LBB831_73:
	s_or_b32 exec_lo, exec_lo, s27
	v_add_nc_u32_e32 v16, 2, v1
	s_mov_b32 s27, 0
	s_mov_b32 s28, 0
	s_mov_b32 s29, exec_lo
	s_delay_alu instid0(VALU_DEP_1)
	v_cmpx_gt_u32_e64 s23, v16
	s_cbranch_execz .LBB831_79
; %bb.74:
	v_cmp_ne_u32_e32 vcc_lo, 1, v27
	s_mov_b32 s0, 0
	s_cbranch_vccnz .LBB831_78
; %bb.75:
	v_mul_u64_e32 v[16:17], s[18:19], v[12:13]
	v_mul_u64_e32 v[22:23], s[18:19], v[6:7]
	s_add_nc_u64 s[4:5], s[18:19], -1
                                        ; implicit-def: $sgpr30
	s_delay_alu instid0(VALU_DEP_2) | instskip(NEXT) | instid1(VALU_DEP_2)
	v_lshl_add_u64 v[16:17], v[16:17], 3, s[8:9]
	v_lshl_add_u64 v[22:23], v[22:23], 3, s[8:9]
.LBB831_76:                             ; =>This Inner Loop Header: Depth=1
	global_load_b64 v[24:25], v[16:17], off
	global_load_b64 v[30:31], v[22:23], off
	s_cmp_eq_u64 s[4:5], 0
	s_add_nc_u64 s[34:35], s[4:5], -1
	s_cselect_b32 s4, -1, 0
	s_wait_xcnt 0x1
	v_add_nc_u64_e32 v[16:17], 8, v[16:17]
	s_wait_xcnt 0x0
	v_add_nc_u64_e32 v[22:23], 8, v[22:23]
	s_wait_loadcnt 0x0
	v_cmp_neq_f64_e32 vcc_lo, v[24:25], v[30:31]
	v_cmp_eq_f64_e64 s0, v[24:25], v[30:31]
	s_or_b32 s4, vcc_lo, s4
	s_delay_alu instid0(SALU_CYCLE_1) | instskip(NEXT) | instid1(SALU_CYCLE_1)
	s_and_b32 s4, exec_lo, s4
	s_or_b32 s28, s4, s28
	s_and_not1_b32 s30, s30, exec_lo
	s_and_b32 s0, s0, exec_lo
	s_mov_b64 s[4:5], s[34:35]
	s_or_b32 s30, s30, s0
	s_and_not1_b32 exec_lo, exec_lo, s28
	s_cbranch_execnz .LBB831_76
; %bb.77:
	s_or_b32 exec_lo, exec_lo, s28
	s_xor_b32 s0, s30, -1
.LBB831_78:
	s_delay_alu instid0(SALU_CYCLE_1)
	s_and_b32 s28, s0, exec_lo
.LBB831_79:
	s_or_b32 exec_lo, exec_lo, s29
	v_add_nc_u32_e32 v16, 1, v1
	s_mov_b32 s29, exec_lo
	s_delay_alu instid0(VALU_DEP_1)
	v_cmpx_gt_u32_e64 s23, v16
	s_cbranch_execz .LBB831_85
; %bb.80:
	v_cmp_ne_u32_e32 vcc_lo, 1, v27
	s_mov_b32 s0, 0
	s_cbranch_vccnz .LBB831_84
; %bb.81:
	v_mul_u64_e32 v[16:17], s[18:19], v[10:11]
	v_mul_u64_e32 v[22:23], s[18:19], v[12:13]
	s_add_nc_u64 s[4:5], s[18:19], -1
	s_mov_b32 s27, 0
                                        ; implicit-def: $sgpr30
	s_delay_alu instid0(VALU_DEP_2) | instskip(NEXT) | instid1(VALU_DEP_2)
	v_lshl_add_u64 v[16:17], v[16:17], 3, s[8:9]
	v_lshl_add_u64 v[22:23], v[22:23], 3, s[8:9]
.LBB831_82:                             ; =>This Inner Loop Header: Depth=1
	global_load_b64 v[24:25], v[16:17], off
	global_load_b64 v[30:31], v[22:23], off
	s_cmp_eq_u64 s[4:5], 0
	s_add_nc_u64 s[34:35], s[4:5], -1
	s_cselect_b32 s4, -1, 0
	s_wait_xcnt 0x1
	v_add_nc_u64_e32 v[16:17], 8, v[16:17]
	s_wait_xcnt 0x0
	v_add_nc_u64_e32 v[22:23], 8, v[22:23]
	s_wait_loadcnt 0x0
	v_cmp_neq_f64_e32 vcc_lo, v[24:25], v[30:31]
	v_cmp_eq_f64_e64 s0, v[24:25], v[30:31]
	s_or_b32 s4, vcc_lo, s4
	s_delay_alu instid0(SALU_CYCLE_1) | instskip(NEXT) | instid1(SALU_CYCLE_1)
	s_and_b32 s4, exec_lo, s4
	s_or_b32 s27, s4, s27
	s_and_not1_b32 s30, s30, exec_lo
	s_and_b32 s0, s0, exec_lo
	s_mov_b64 s[4:5], s[34:35]
	s_or_b32 s30, s30, s0
	s_and_not1_b32 exec_lo, exec_lo, s27
	s_cbranch_execnz .LBB831_82
; %bb.83:
	s_or_b32 exec_lo, exec_lo, s27
	s_xor_b32 s0, s30, -1
.LBB831_84:
	s_delay_alu instid0(SALU_CYCLE_1)
	s_and_b32 s27, s0, exec_lo
.LBB831_85:
	s_or_b32 exec_lo, exec_lo, s29
	s_wait_loadcnt_dscnt 0x0
	s_barrier_signal -1
	s_barrier_wait -1
	s_and_saveexec_b32 s0, s3
; %bb.86:
	v_add_nc_u32_e32 v16, -8, v28
	ds_load_b64 v[20:21], v16
; %bb.87:
	s_or_b32 exec_lo, exec_lo, s0
	v_cndmask_b32_e64 v16, 0, 1, s26
	v_cndmask_b32_e64 v17, 0, 1, s28
	;; [unrolled: 1-line block ×3, first 2 shown]
	s_mov_b32 s0, 0
	s_mov_b32 s26, exec_lo
	v_lshlrev_b16 v16, 8, v16
	s_delay_alu instid0(VALU_DEP_2) | instskip(NEXT) | instid1(VALU_DEP_2)
	v_lshlrev_b16 v19, 8, v19
	v_or_b32_e32 v16, v17, v16
	s_delay_alu instid0(VALU_DEP_2) | instskip(NEXT) | instid1(VALU_DEP_2)
	v_and_b32_e32 v22, 0xffff, v19
	v_lshlrev_b32_e32 v23, 16, v16
	v_cmpx_gt_u32_e64 s23, v1
	s_cbranch_execz .LBB831_93
; %bb.88:
	v_cmp_ne_u32_e32 vcc_lo, 1, v27
	s_cbranch_vccnz .LBB831_92
; %bb.89:
	s_wait_dscnt 0x0
	v_mul_u64_e32 v[16:17], s[18:19], v[20:21]
	v_mul_u64_e32 v[20:21], s[18:19], v[10:11]
	s_add_nc_u64 s[4:5], s[18:19], -1
	s_mov_b32 s27, 0
                                        ; implicit-def: $sgpr28
	s_delay_alu instid0(VALU_DEP_2) | instskip(NEXT) | instid1(VALU_DEP_2)
	v_lshl_add_u64 v[16:17], v[16:17], 3, s[8:9]
	v_lshl_add_u64 v[20:21], v[20:21], 3, s[8:9]
.LBB831_90:                             ; =>This Inner Loop Header: Depth=1
	global_load_b64 v[24:25], v[16:17], off
	global_load_b64 v[28:29], v[20:21], off
	s_cmp_eq_u64 s[4:5], 0
	s_add_nc_u64 s[30:31], s[4:5], -1
	s_cselect_b32 s4, -1, 0
	s_wait_xcnt 0x1
	v_add_nc_u64_e32 v[16:17], 8, v[16:17]
	s_wait_xcnt 0x0
	v_add_nc_u64_e32 v[20:21], 8, v[20:21]
	s_wait_loadcnt 0x0
	v_cmp_neq_f64_e32 vcc_lo, v[24:25], v[28:29]
	v_cmp_eq_f64_e64 s0, v[24:25], v[28:29]
	s_or_b32 s4, vcc_lo, s4
	s_delay_alu instid0(SALU_CYCLE_1) | instskip(NEXT) | instid1(SALU_CYCLE_1)
	s_and_b32 s4, exec_lo, s4
	s_or_b32 s27, s4, s27
	s_and_not1_b32 s28, s28, exec_lo
	s_and_b32 s0, s0, exec_lo
	s_mov_b64 s[4:5], s[30:31]
	s_or_b32 s28, s28, s0
	s_and_not1_b32 exec_lo, exec_lo, s27
	s_cbranch_execnz .LBB831_90
; %bb.91:
	s_or_b32 exec_lo, exec_lo, s27
	s_xor_b32 s0, s28, -1
.LBB831_92:
	s_delay_alu instid0(SALU_CYCLE_1)
	s_and_b32 s0, s0, exec_lo
.LBB831_93:
	s_or_b32 exec_lo, exec_lo, s26
	v_cndmask_b32_e64 v17, 0, 1, s25
	v_cndmask_b32_e64 v30, 0, 1, s7
	;; [unrolled: 1-line block ×3, first 2 shown]
	v_or_b32_e32 v22, v22, v23
.LBB831_94:
	s_mov_b32 s25, -1
	s_cbranch_execnz .LBB831_39
.LBB831_95:
	v_cmp_gt_i64_e64 s26, s[18:19], 0
	v_mad_i32_i24 v26, 0xffffffd0, v0, v26
	s_and_b32 vcc_lo, exec_lo, s17
	ds_store_b64 v26, v[14:15]
	s_cbranch_vccz .LBB831_110
; %bb.96:
	s_and_not1_b32 vcc_lo, exec_lo, s26
	s_cbranch_vccnz .LBB831_111
; %bb.97:
	v_mul_u64_e32 v[16:17], s[18:19], v[4:5]
	s_wait_loadcnt_dscnt 0x1
	v_mul_u64_e32 v[20:21], s[18:19], v[14:15]
	s_add_nc_u64 s[4:5], s[18:19], -1
	s_mov_b32 s28, 0
	s_mov_b64 s[6:7], s[4:5]
                                        ; implicit-def: $sgpr27
	s_delay_alu instid0(VALU_DEP_2) | instskip(NEXT) | instid1(VALU_DEP_2)
	v_lshl_add_u64 v[16:17], v[16:17], 3, s[8:9]
	v_lshl_add_u64 v[20:21], v[20:21], 3, s[8:9]
	s_delay_alu instid0(VALU_DEP_2)
	v_mov_b64_e32 v[22:23], v[16:17]
.LBB831_98:                             ; =>This Inner Loop Header: Depth=1
	global_load_b64 v[24:25], v[22:23], off
	global_load_b64 v[28:29], v[20:21], off
	s_cmp_eq_u64 s[6:7], 0
	s_add_nc_u64 s[30:31], s[6:7], -1
	s_cselect_b32 s6, -1, 0
	s_wait_xcnt 0x1
	v_add_nc_u64_e32 v[22:23], 8, v[22:23]
	s_wait_xcnt 0x0
	v_add_nc_u64_e32 v[20:21], 8, v[20:21]
	s_wait_loadcnt 0x0
	v_cmp_neq_f64_e32 vcc_lo, v[24:25], v[28:29]
	v_cmp_eq_f64_e64 s0, v[24:25], v[28:29]
	s_or_b32 s6, vcc_lo, s6
	s_delay_alu instid0(SALU_CYCLE_1) | instskip(NEXT) | instid1(SALU_CYCLE_1)
	s_and_b32 s6, exec_lo, s6
	s_or_b32 s28, s6, s28
	s_and_not1_b32 s27, s27, exec_lo
	s_and_b32 s0, s0, exec_lo
	s_mov_b64 s[6:7], s[30:31]
	s_or_b32 s27, s27, s0
	s_and_not1_b32 exec_lo, exec_lo, s28
	s_cbranch_execnz .LBB831_98
; %bb.99:
	s_or_b32 exec_lo, exec_lo, s28
	v_mul_u64_e32 v[20:21], s[18:19], v[2:3]
	s_mov_b32 s29, 0
	s_mov_b64 s[6:7], s[4:5]
                                        ; implicit-def: $sgpr28
	s_delay_alu instid0(VALU_DEP_1) | instskip(NEXT) | instid1(VALU_DEP_1)
	v_lshl_add_u64 v[20:21], v[20:21], 3, s[8:9]
	v_mov_b64_e32 v[22:23], v[20:21]
.LBB831_100:                            ; =>This Inner Loop Header: Depth=1
	global_load_b64 v[24:25], v[22:23], off
	global_load_b64 v[28:29], v[16:17], off
	s_cmp_eq_u64 s[6:7], 0
	s_add_nc_u64 s[30:31], s[6:7], -1
	s_cselect_b32 s6, -1, 0
	s_wait_xcnt 0x1
	v_add_nc_u64_e32 v[22:23], 8, v[22:23]
	s_wait_xcnt 0x0
	v_add_nc_u64_e32 v[16:17], 8, v[16:17]
	s_wait_loadcnt 0x0
	v_cmp_neq_f64_e32 vcc_lo, v[24:25], v[28:29]
	v_cmp_eq_f64_e64 s0, v[24:25], v[28:29]
	s_or_b32 s6, vcc_lo, s6
	s_delay_alu instid0(SALU_CYCLE_1) | instskip(NEXT) | instid1(SALU_CYCLE_1)
	s_and_b32 s6, exec_lo, s6
	s_or_b32 s29, s6, s29
	s_and_not1_b32 s28, s28, exec_lo
	s_and_b32 s0, s0, exec_lo
	s_mov_b64 s[6:7], s[30:31]
	s_or_b32 s28, s28, s0
	s_and_not1_b32 exec_lo, exec_lo, s29
	s_cbranch_execnz .LBB831_100
; %bb.101:
	s_or_b32 exec_lo, exec_lo, s29
	v_mul_u64_e32 v[16:17], s[18:19], v[8:9]
	s_mov_b32 s30, 0
	s_mov_b64 s[6:7], s[4:5]
                                        ; implicit-def: $sgpr29
	s_delay_alu instid0(VALU_DEP_1) | instskip(NEXT) | instid1(VALU_DEP_1)
	v_lshl_add_u64 v[16:17], v[16:17], 3, s[8:9]
	v_mov_b64_e32 v[22:23], v[16:17]
.LBB831_102:                            ; =>This Inner Loop Header: Depth=1
	global_load_b64 v[24:25], v[22:23], off
	global_load_b64 v[28:29], v[20:21], off
	s_cmp_eq_u64 s[6:7], 0
	s_add_nc_u64 s[34:35], s[6:7], -1
	s_cselect_b32 s6, -1, 0
	s_wait_xcnt 0x1
	v_add_nc_u64_e32 v[22:23], 8, v[22:23]
	s_wait_xcnt 0x0
	v_add_nc_u64_e32 v[20:21], 8, v[20:21]
	s_wait_loadcnt 0x0
	v_cmp_neq_f64_e32 vcc_lo, v[24:25], v[28:29]
	v_cmp_eq_f64_e64 s0, v[24:25], v[28:29]
	s_or_b32 s6, vcc_lo, s6
	s_delay_alu instid0(SALU_CYCLE_1) | instskip(NEXT) | instid1(SALU_CYCLE_1)
	s_and_b32 s6, exec_lo, s6
	s_or_b32 s30, s6, s30
	s_and_not1_b32 s29, s29, exec_lo
	s_and_b32 s0, s0, exec_lo
	s_mov_b64 s[6:7], s[34:35]
	s_or_b32 s29, s29, s0
	s_and_not1_b32 exec_lo, exec_lo, s30
	s_cbranch_execnz .LBB831_102
; %bb.103:
	s_or_b32 exec_lo, exec_lo, s30
	v_mul_u64_e32 v[20:21], s[18:19], v[6:7]
	s_mov_b32 s31, 0
	s_mov_b64 s[6:7], s[4:5]
                                        ; implicit-def: $sgpr30
	s_delay_alu instid0(VALU_DEP_1) | instskip(NEXT) | instid1(VALU_DEP_1)
	v_lshl_add_u64 v[20:21], v[20:21], 3, s[8:9]
	v_mov_b64_e32 v[22:23], v[20:21]
.LBB831_104:                            ; =>This Inner Loop Header: Depth=1
	global_load_b64 v[24:25], v[22:23], off
	global_load_b64 v[28:29], v[16:17], off
	s_cmp_eq_u64 s[6:7], 0
	s_add_nc_u64 s[34:35], s[6:7], -1
	s_cselect_b32 s6, -1, 0
	s_wait_xcnt 0x1
	v_add_nc_u64_e32 v[22:23], 8, v[22:23]
	s_wait_xcnt 0x0
	v_add_nc_u64_e32 v[16:17], 8, v[16:17]
	s_wait_loadcnt 0x0
	v_cmp_neq_f64_e32 vcc_lo, v[24:25], v[28:29]
	v_cmp_eq_f64_e64 s0, v[24:25], v[28:29]
	s_or_b32 s6, vcc_lo, s6
	s_delay_alu instid0(SALU_CYCLE_1) | instskip(NEXT) | instid1(SALU_CYCLE_1)
	s_and_b32 s6, exec_lo, s6
	s_or_b32 s31, s6, s31
	s_and_not1_b32 s30, s30, exec_lo
	s_and_b32 s0, s0, exec_lo
	s_mov_b64 s[6:7], s[34:35]
	s_or_b32 s30, s30, s0
	s_and_not1_b32 exec_lo, exec_lo, s31
	s_cbranch_execnz .LBB831_104
; %bb.105:
	s_or_b32 exec_lo, exec_lo, s31
	v_mul_u64_e32 v[16:17], s[18:19], v[12:13]
	s_mov_b32 s33, 0
	s_mov_b64 s[6:7], s[4:5]
                                        ; implicit-def: $sgpr31
	s_delay_alu instid0(VALU_DEP_1) | instskip(NEXT) | instid1(VALU_DEP_1)
	v_lshl_add_u64 v[16:17], v[16:17], 3, s[8:9]
	v_mov_b64_e32 v[22:23], v[16:17]
.LBB831_106:                            ; =>This Inner Loop Header: Depth=1
	global_load_b64 v[24:25], v[22:23], off
	global_load_b64 v[28:29], v[20:21], off
	s_cmp_eq_u64 s[6:7], 0
	s_add_nc_u64 s[34:35], s[6:7], -1
	s_cselect_b32 s6, -1, 0
	s_wait_xcnt 0x1
	v_add_nc_u64_e32 v[22:23], 8, v[22:23]
	s_wait_xcnt 0x0
	v_add_nc_u64_e32 v[20:21], 8, v[20:21]
	s_wait_loadcnt 0x0
	v_cmp_neq_f64_e32 vcc_lo, v[24:25], v[28:29]
	v_cmp_eq_f64_e64 s0, v[24:25], v[28:29]
	s_or_b32 s6, vcc_lo, s6
	s_delay_alu instid0(SALU_CYCLE_1) | instskip(NEXT) | instid1(SALU_CYCLE_1)
	s_and_b32 s6, exec_lo, s6
	s_or_b32 s33, s6, s33
	s_and_not1_b32 s31, s31, exec_lo
	s_and_b32 s0, s0, exec_lo
	s_mov_b64 s[6:7], s[34:35]
	s_or_b32 s31, s31, s0
	s_and_not1_b32 exec_lo, exec_lo, s33
	s_cbranch_execnz .LBB831_106
; %bb.107:
	s_or_b32 exec_lo, exec_lo, s33
	v_mul_u64_e32 v[20:21], s[18:19], v[10:11]
	s_mov_b32 s7, 0
                                        ; implicit-def: $sgpr6
	s_delay_alu instid0(VALU_DEP_1)
	v_lshl_add_u64 v[20:21], v[20:21], 3, s[8:9]
.LBB831_108:                            ; =>This Inner Loop Header: Depth=1
	global_load_b64 v[22:23], v[20:21], off
	global_load_b64 v[24:25], v[16:17], off
	s_cmp_eq_u64 s[4:5], 0
	s_add_nc_u64 s[34:35], s[4:5], -1
	s_cselect_b32 s4, -1, 0
	s_wait_xcnt 0x1
	v_add_nc_u64_e32 v[20:21], 8, v[20:21]
	s_wait_xcnt 0x0
	v_add_nc_u64_e32 v[16:17], 8, v[16:17]
	s_wait_loadcnt 0x0
	v_cmp_neq_f64_e32 vcc_lo, v[22:23], v[24:25]
	v_cmp_eq_f64_e64 s0, v[22:23], v[24:25]
	s_or_b32 s4, vcc_lo, s4
	s_delay_alu instid0(SALU_CYCLE_1) | instskip(NEXT) | instid1(SALU_CYCLE_1)
	s_and_b32 s4, exec_lo, s4
	s_or_b32 s7, s4, s7
	s_and_not1_b32 s6, s6, exec_lo
	s_and_b32 s0, s0, exec_lo
	s_mov_b64 s[4:5], s[34:35]
	s_or_b32 s6, s6, s0
	s_and_not1_b32 exec_lo, exec_lo, s7
	s_cbranch_execnz .LBB831_108
; %bb.109:
	s_or_b32 exec_lo, exec_lo, s7
	s_xor_b32 s0, s30, -1
	s_delay_alu instid0(SALU_CYCLE_1) | instskip(SKIP_1) | instid1(SALU_CYCLE_1)
	v_cndmask_b32_e64 v16, 0, 1, s0
	s_xor_b32 s0, s31, -1
	v_cndmask_b32_e64 v17, 0, 1, s0
	s_xor_b32 s0, s28, -1
	s_delay_alu instid0(VALU_DEP_2) | instskip(SKIP_2) | instid1(SALU_CYCLE_1)
	v_lshlrev_b16 v16, 8, v16
	v_cndmask_b32_e64 v30, 0, 1, s0
	s_xor_b32 s0, s27, -1
	v_cndmask_b32_e64 v19, 0, 1, s0
	s_delay_alu instid0(VALU_DEP_3) | instskip(SKIP_1) | instid1(VALU_DEP_1)
	v_lshrrev_b32_e32 v16, 8, v16
	s_xor_b32 s0, s29, -1
	v_and_b32_e32 v16, 1, v16
	s_delay_alu instid0(VALU_DEP_1) | instskip(NEXT) | instid1(VALU_DEP_1)
	v_lshlrev_b16 v16, 8, v16
	v_or_b32_e32 v16, v17, v16
	v_cndmask_b32_e64 v17, 0, 1, s0
	s_xor_b32 s0, s6, -1
	s_delay_alu instid0(VALU_DEP_2)
	v_lshlrev_b32_e32 v16, 16, v16
	s_branch .LBB831_112
.LBB831_110:
                                        ; implicit-def: $sgpr0
                                        ; implicit-def: $vgpr19
                                        ; implicit-def: $vgpr30
                                        ; implicit-def: $vgpr17
                                        ; implicit-def: $vgpr22
                                        ; implicit-def: $vgpr32
                                        ; implicit-def: $vgpr31
                                        ; implicit-def: $vgpr20
	s_cbranch_execnz .LBB831_119
	s_branch .LBB831_164
.LBB831_111:
	v_dual_mov_b32 v16, 0 :: v_dual_mov_b32 v19, 0
	v_dual_mov_b32 v30, 0 :: v_dual_mov_b32 v17, 0
	s_mov_b32 s0, 0
.LBB831_112:
	s_wait_loadcnt_dscnt 0x1
	s_delay_alu instid0(VALU_DEP_1)
	v_dual_lshrrev_b32 v31, 16, v16 :: v_dual_lshrrev_b32 v20, 24, v16
	v_cndmask_b32_e64 v32, 0, 1, s0
	v_mov_b32_e32 v16, 1
	s_wait_dscnt 0x0
	s_barrier_signal -1
	s_barrier_wait -1
                                        ; implicit-def: $sgpr0
                                        ; implicit-def: $vgpr22
	s_and_saveexec_b32 s4, s3
	s_delay_alu instid0(SALU_CYCLE_1)
	s_xor_b32 s6, exec_lo, s4
	s_cbranch_execz .LBB831_118
; %bb.113:
	v_lshlrev_b16 v21, 8, v20
	v_lshlrev_b16 v22, 8, v32
	s_and_not1_b32 vcc_lo, exec_lo, s26
	s_mov_b32 s0, 0
	s_delay_alu instid0(VALU_DEP_2) | instskip(NEXT) | instid1(VALU_DEP_1)
	v_bitop3_b16 v21, v31, v21, 0xff bitop3:0xec
	v_dual_lshlrev_b32 v21, 16, v21 :: v_dual_bitop2_b32 v22, 1, v22 bitop3:0x54
	s_delay_alu instid0(VALU_DEP_1) | instskip(NEXT) | instid1(VALU_DEP_1)
	v_and_b32_e32 v22, 0xffff, v22
	v_or_b32_e32 v21, v22, v21
	s_cbranch_vccnz .LBB831_117
; %bb.114:
	v_add_nc_u32_e32 v22, -8, v26
	v_mul_u64_e32 v[24:25], s[18:19], v[10:11]
	s_add_nc_u64 s[4:5], s[18:19], -1
	s_mov_b32 s7, 0
                                        ; implicit-def: $sgpr27
	ds_load_b64 v[22:23], v22
	s_wait_dscnt 0x0
	v_mul_u64_e32 v[22:23], s[18:19], v[22:23]
	v_lshl_add_u64 v[24:25], v[24:25], 3, s[8:9]
	s_delay_alu instid0(VALU_DEP_2)
	v_lshl_add_u64 v[22:23], v[22:23], 3, s[8:9]
.LBB831_115:                            ; =>This Inner Loop Header: Depth=1
	global_load_b64 v[28:29], v[22:23], off
	global_load_b64 v[34:35], v[24:25], off
	s_cmp_eq_u64 s[4:5], 0
	s_add_nc_u64 s[28:29], s[4:5], -1
	s_cselect_b32 s4, -1, 0
	s_wait_xcnt 0x1
	v_add_nc_u64_e32 v[22:23], 8, v[22:23]
	s_wait_xcnt 0x0
	v_add_nc_u64_e32 v[24:25], 8, v[24:25]
	s_wait_loadcnt 0x0
	v_cmp_neq_f64_e32 vcc_lo, v[28:29], v[34:35]
	v_cmp_eq_f64_e64 s0, v[28:29], v[34:35]
	s_or_b32 s4, vcc_lo, s4
	s_delay_alu instid0(SALU_CYCLE_1) | instskip(NEXT) | instid1(SALU_CYCLE_1)
	s_and_b32 s4, exec_lo, s4
	s_or_b32 s7, s4, s7
	s_and_not1_b32 s27, s27, exec_lo
	s_and_b32 s0, s0, exec_lo
	s_mov_b64 s[4:5], s[28:29]
	s_or_b32 s27, s27, s0
	s_and_not1_b32 exec_lo, exec_lo, s7
	s_cbranch_execnz .LBB831_115
; %bb.116:
	s_or_b32 exec_lo, exec_lo, s7
	s_xor_b32 s0, s27, -1
.LBB831_117:
	s_delay_alu instid0(VALU_DEP_1)
	v_perm_b32 v22, v21, v21, 0x3020104
	s_or_b32 s25, s25, exec_lo
.LBB831_118:
	s_or_b32 exec_lo, exec_lo, s6
	s_branch .LBB831_164
.LBB831_119:
	v_add_nc_u32_e32 v16, 6, v1
	s_mov_b32 s7, 0
	s_mov_b32 s6, 0
	s_mov_b32 s27, exec_lo
	s_wait_xcnt 0x0
	v_cmpx_gt_u32_e64 s23, v16
	s_cbranch_execz .LBB831_125
; %bb.120:
	s_and_not1_b32 vcc_lo, exec_lo, s26
	s_mov_b32 s0, 0
	s_cbranch_vccnz .LBB831_124
; %bb.121:
	v_mul_u64_e32 v[16:17], s[18:19], v[4:5]
	s_wait_loadcnt_dscnt 0x1
	v_mul_u64_e32 v[20:21], s[18:19], v[14:15]
	s_add_nc_u64 s[4:5], s[18:19], -1
                                        ; implicit-def: $sgpr28
	s_delay_alu instid0(VALU_DEP_2) | instskip(NEXT) | instid1(VALU_DEP_2)
	v_lshl_add_u64 v[16:17], v[16:17], 3, s[8:9]
	v_lshl_add_u64 v[20:21], v[20:21], 3, s[8:9]
.LBB831_122:                            ; =>This Inner Loop Header: Depth=1
	global_load_b64 v[22:23], v[16:17], off
	global_load_b64 v[24:25], v[20:21], off
	s_cmp_eq_u64 s[4:5], 0
	s_add_nc_u64 s[30:31], s[4:5], -1
	s_cselect_b32 s4, -1, 0
	s_wait_xcnt 0x1
	v_add_nc_u64_e32 v[16:17], 8, v[16:17]
	s_wait_xcnt 0x0
	v_add_nc_u64_e32 v[20:21], 8, v[20:21]
	s_wait_loadcnt 0x0
	v_cmp_neq_f64_e32 vcc_lo, v[22:23], v[24:25]
	v_cmp_eq_f64_e64 s0, v[22:23], v[24:25]
	s_or_b32 s4, vcc_lo, s4
	s_delay_alu instid0(SALU_CYCLE_1) | instskip(NEXT) | instid1(SALU_CYCLE_1)
	s_and_b32 s4, exec_lo, s4
	s_or_b32 s6, s4, s6
	s_and_not1_b32 s28, s28, exec_lo
	s_and_b32 s0, s0, exec_lo
	s_mov_b64 s[4:5], s[30:31]
	s_or_b32 s28, s28, s0
	s_and_not1_b32 exec_lo, exec_lo, s6
	s_cbranch_execnz .LBB831_122
; %bb.123:
	s_or_b32 exec_lo, exec_lo, s6
	s_xor_b32 s0, s28, -1
.LBB831_124:
	s_delay_alu instid0(SALU_CYCLE_1)
	s_and_b32 s6, s0, exec_lo
.LBB831_125:
	s_or_b32 exec_lo, exec_lo, s27
	v_add_nc_u32_e32 v16, 5, v1
	s_mov_b32 s27, exec_lo
	s_delay_alu instid0(VALU_DEP_1)
	v_cmpx_gt_u32_e64 s23, v16
	s_cbranch_execz .LBB831_131
; %bb.126:
	s_and_not1_b32 vcc_lo, exec_lo, s26
	s_mov_b32 s0, 0
	s_cbranch_vccnz .LBB831_130
; %bb.127:
	v_mul_u64_e32 v[16:17], s[18:19], v[2:3]
	s_wait_loadcnt_dscnt 0x1
	v_mul_u64_e32 v[20:21], s[18:19], v[4:5]
	s_add_nc_u64 s[4:5], s[18:19], -1
	s_mov_b32 s7, 0
                                        ; implicit-def: $sgpr28
	s_delay_alu instid0(VALU_DEP_2) | instskip(NEXT) | instid1(VALU_DEP_2)
	v_lshl_add_u64 v[16:17], v[16:17], 3, s[8:9]
	v_lshl_add_u64 v[20:21], v[20:21], 3, s[8:9]
.LBB831_128:                            ; =>This Inner Loop Header: Depth=1
	global_load_b64 v[22:23], v[16:17], off
	global_load_b64 v[24:25], v[20:21], off
	s_cmp_eq_u64 s[4:5], 0
	s_add_nc_u64 s[30:31], s[4:5], -1
	s_cselect_b32 s4, -1, 0
	s_wait_xcnt 0x1
	v_add_nc_u64_e32 v[16:17], 8, v[16:17]
	s_wait_xcnt 0x0
	v_add_nc_u64_e32 v[20:21], 8, v[20:21]
	s_wait_loadcnt 0x0
	v_cmp_neq_f64_e32 vcc_lo, v[22:23], v[24:25]
	v_cmp_eq_f64_e64 s0, v[22:23], v[24:25]
	s_or_b32 s4, vcc_lo, s4
	s_delay_alu instid0(SALU_CYCLE_1) | instskip(NEXT) | instid1(SALU_CYCLE_1)
	s_and_b32 s4, exec_lo, s4
	s_or_b32 s7, s4, s7
	s_and_not1_b32 s28, s28, exec_lo
	s_and_b32 s0, s0, exec_lo
	s_mov_b64 s[4:5], s[30:31]
	s_or_b32 s28, s28, s0
	s_and_not1_b32 exec_lo, exec_lo, s7
	s_cbranch_execnz .LBB831_128
; %bb.129:
	s_or_b32 exec_lo, exec_lo, s7
	s_xor_b32 s0, s28, -1
.LBB831_130:
	s_delay_alu instid0(SALU_CYCLE_1)
	s_and_b32 s7, s0, exec_lo
.LBB831_131:
	s_or_b32 exec_lo, exec_lo, s27
	v_add_nc_u32_e32 v16, 4, v1
	s_mov_b32 s27, 0
	s_mov_b32 s28, 0
	s_mov_b32 s29, exec_lo
	s_delay_alu instid0(VALU_DEP_1)
	v_cmpx_gt_u32_e64 s23, v16
	s_cbranch_execz .LBB831_137
; %bb.132:
	s_and_not1_b32 vcc_lo, exec_lo, s26
	s_mov_b32 s0, 0
	s_cbranch_vccnz .LBB831_136
; %bb.133:
	v_mul_u64_e32 v[16:17], s[18:19], v[8:9]
	s_wait_loadcnt_dscnt 0x1
	v_mul_u64_e32 v[20:21], s[18:19], v[2:3]
	s_add_nc_u64 s[4:5], s[18:19], -1
                                        ; implicit-def: $sgpr30
	s_delay_alu instid0(VALU_DEP_2) | instskip(NEXT) | instid1(VALU_DEP_2)
	v_lshl_add_u64 v[16:17], v[16:17], 3, s[8:9]
	v_lshl_add_u64 v[20:21], v[20:21], 3, s[8:9]
.LBB831_134:                            ; =>This Inner Loop Header: Depth=1
	global_load_b64 v[22:23], v[16:17], off
	global_load_b64 v[24:25], v[20:21], off
	s_cmp_eq_u64 s[4:5], 0
	s_add_nc_u64 s[34:35], s[4:5], -1
	s_cselect_b32 s4, -1, 0
	s_wait_xcnt 0x1
	v_add_nc_u64_e32 v[16:17], 8, v[16:17]
	s_wait_xcnt 0x0
	v_add_nc_u64_e32 v[20:21], 8, v[20:21]
	s_wait_loadcnt 0x0
	v_cmp_neq_f64_e32 vcc_lo, v[22:23], v[24:25]
	v_cmp_eq_f64_e64 s0, v[22:23], v[24:25]
	s_or_b32 s4, vcc_lo, s4
	s_delay_alu instid0(SALU_CYCLE_1) | instskip(NEXT) | instid1(SALU_CYCLE_1)
	s_and_b32 s4, exec_lo, s4
	s_or_b32 s28, s4, s28
	s_and_not1_b32 s30, s30, exec_lo
	s_and_b32 s0, s0, exec_lo
	s_mov_b64 s[4:5], s[34:35]
	s_or_b32 s30, s30, s0
	s_and_not1_b32 exec_lo, exec_lo, s28
	s_cbranch_execnz .LBB831_134
; %bb.135:
	s_or_b32 exec_lo, exec_lo, s28
	s_xor_b32 s0, s30, -1
.LBB831_136:
	s_delay_alu instid0(SALU_CYCLE_1)
	s_and_b32 s28, s0, exec_lo
.LBB831_137:
	s_or_b32 exec_lo, exec_lo, s29
	v_add_nc_u32_e32 v16, 3, v1
	s_mov_b32 s29, exec_lo
	s_delay_alu instid0(VALU_DEP_1)
	v_cmpx_gt_u32_e64 s23, v16
	s_cbranch_execz .LBB831_143
; %bb.138:
	s_and_not1_b32 vcc_lo, exec_lo, s26
	s_mov_b32 s0, 0
	s_cbranch_vccnz .LBB831_142
; %bb.139:
	v_mul_u64_e32 v[16:17], s[18:19], v[6:7]
	s_wait_loadcnt_dscnt 0x1
	v_mul_u64_e32 v[20:21], s[18:19], v[8:9]
	s_add_nc_u64 s[4:5], s[18:19], -1
	s_mov_b32 s27, 0
                                        ; implicit-def: $sgpr30
	s_delay_alu instid0(VALU_DEP_2) | instskip(NEXT) | instid1(VALU_DEP_2)
	v_lshl_add_u64 v[16:17], v[16:17], 3, s[8:9]
	v_lshl_add_u64 v[20:21], v[20:21], 3, s[8:9]
.LBB831_140:                            ; =>This Inner Loop Header: Depth=1
	global_load_b64 v[22:23], v[16:17], off
	global_load_b64 v[24:25], v[20:21], off
	s_cmp_eq_u64 s[4:5], 0
	s_add_nc_u64 s[34:35], s[4:5], -1
	s_cselect_b32 s4, -1, 0
	s_wait_xcnt 0x1
	v_add_nc_u64_e32 v[16:17], 8, v[16:17]
	s_wait_xcnt 0x0
	v_add_nc_u64_e32 v[20:21], 8, v[20:21]
	s_wait_loadcnt 0x0
	v_cmp_neq_f64_e32 vcc_lo, v[22:23], v[24:25]
	v_cmp_eq_f64_e64 s0, v[22:23], v[24:25]
	s_or_b32 s4, vcc_lo, s4
	s_delay_alu instid0(SALU_CYCLE_1) | instskip(NEXT) | instid1(SALU_CYCLE_1)
	s_and_b32 s4, exec_lo, s4
	s_or_b32 s27, s4, s27
	s_and_not1_b32 s30, s30, exec_lo
	s_and_b32 s0, s0, exec_lo
	s_mov_b64 s[4:5], s[34:35]
	s_or_b32 s30, s30, s0
	s_and_not1_b32 exec_lo, exec_lo, s27
	s_cbranch_execnz .LBB831_140
; %bb.141:
	s_or_b32 exec_lo, exec_lo, s27
	s_xor_b32 s0, s30, -1
.LBB831_142:
	s_delay_alu instid0(SALU_CYCLE_1)
	s_and_b32 s27, s0, exec_lo
.LBB831_143:
	s_or_b32 exec_lo, exec_lo, s29
	v_add_nc_u32_e32 v16, 2, v1
	s_mov_b32 s29, 0
	s_mov_b32 s30, 0
	s_mov_b32 s31, exec_lo
	s_delay_alu instid0(VALU_DEP_1)
	v_cmpx_gt_u32_e64 s23, v16
	s_cbranch_execz .LBB831_149
; %bb.144:
	s_and_not1_b32 vcc_lo, exec_lo, s26
	s_mov_b32 s0, 0
	s_cbranch_vccnz .LBB831_148
; %bb.145:
	v_mul_u64_e32 v[16:17], s[18:19], v[12:13]
	s_wait_loadcnt_dscnt 0x1
	v_mul_u64_e32 v[20:21], s[18:19], v[6:7]
	s_add_nc_u64 s[4:5], s[18:19], -1
                                        ; implicit-def: $sgpr33
	s_delay_alu instid0(VALU_DEP_2) | instskip(NEXT) | instid1(VALU_DEP_2)
	v_lshl_add_u64 v[16:17], v[16:17], 3, s[8:9]
	v_lshl_add_u64 v[20:21], v[20:21], 3, s[8:9]
.LBB831_146:                            ; =>This Inner Loop Header: Depth=1
	global_load_b64 v[22:23], v[16:17], off
	global_load_b64 v[24:25], v[20:21], off
	s_cmp_eq_u64 s[4:5], 0
	s_add_nc_u64 s[34:35], s[4:5], -1
	s_cselect_b32 s4, -1, 0
	s_wait_xcnt 0x1
	v_add_nc_u64_e32 v[16:17], 8, v[16:17]
	s_wait_xcnt 0x0
	v_add_nc_u64_e32 v[20:21], 8, v[20:21]
	s_wait_loadcnt 0x0
	v_cmp_neq_f64_e32 vcc_lo, v[22:23], v[24:25]
	v_cmp_eq_f64_e64 s0, v[22:23], v[24:25]
	s_or_b32 s4, vcc_lo, s4
	s_delay_alu instid0(SALU_CYCLE_1) | instskip(NEXT) | instid1(SALU_CYCLE_1)
	s_and_b32 s4, exec_lo, s4
	s_or_b32 s30, s4, s30
	s_and_not1_b32 s33, s33, exec_lo
	s_and_b32 s0, s0, exec_lo
	s_mov_b64 s[4:5], s[34:35]
	s_or_b32 s33, s33, s0
	s_and_not1_b32 exec_lo, exec_lo, s30
	s_cbranch_execnz .LBB831_146
; %bb.147:
	s_or_b32 exec_lo, exec_lo, s30
	s_xor_b32 s0, s33, -1
.LBB831_148:
	s_delay_alu instid0(SALU_CYCLE_1)
	s_and_b32 s30, s0, exec_lo
.LBB831_149:
	s_or_b32 exec_lo, exec_lo, s31
	v_add_nc_u32_e32 v16, 1, v1
	s_mov_b32 s31, exec_lo
	s_delay_alu instid0(VALU_DEP_1)
	v_cmpx_gt_u32_e64 s23, v16
	s_cbranch_execz .LBB831_155
; %bb.150:
	s_and_not1_b32 vcc_lo, exec_lo, s26
	s_mov_b32 s0, 0
	s_cbranch_vccnz .LBB831_154
; %bb.151:
	v_mul_u64_e32 v[16:17], s[18:19], v[10:11]
	s_wait_loadcnt_dscnt 0x1
	v_mul_u64_e32 v[20:21], s[18:19], v[12:13]
	s_add_nc_u64 s[4:5], s[18:19], -1
	s_mov_b32 s29, 0
                                        ; implicit-def: $sgpr33
	s_delay_alu instid0(VALU_DEP_2) | instskip(NEXT) | instid1(VALU_DEP_2)
	v_lshl_add_u64 v[16:17], v[16:17], 3, s[8:9]
	v_lshl_add_u64 v[20:21], v[20:21], 3, s[8:9]
.LBB831_152:                            ; =>This Inner Loop Header: Depth=1
	global_load_b64 v[22:23], v[16:17], off
	global_load_b64 v[24:25], v[20:21], off
	s_cmp_eq_u64 s[4:5], 0
	s_add_nc_u64 s[34:35], s[4:5], -1
	s_cselect_b32 s4, -1, 0
	s_wait_xcnt 0x1
	v_add_nc_u64_e32 v[16:17], 8, v[16:17]
	s_wait_xcnt 0x0
	v_add_nc_u64_e32 v[20:21], 8, v[20:21]
	s_wait_loadcnt 0x0
	v_cmp_neq_f64_e32 vcc_lo, v[22:23], v[24:25]
	v_cmp_eq_f64_e64 s0, v[22:23], v[24:25]
	s_or_b32 s4, vcc_lo, s4
	s_delay_alu instid0(SALU_CYCLE_1) | instskip(NEXT) | instid1(SALU_CYCLE_1)
	s_and_b32 s4, exec_lo, s4
	s_or_b32 s29, s4, s29
	s_and_not1_b32 s33, s33, exec_lo
	s_and_b32 s0, s0, exec_lo
	s_mov_b64 s[4:5], s[34:35]
	s_or_b32 s33, s33, s0
	s_and_not1_b32 exec_lo, exec_lo, s29
	s_cbranch_execnz .LBB831_152
; %bb.153:
	s_or_b32 exec_lo, exec_lo, s29
	s_xor_b32 s0, s33, -1
.LBB831_154:
	s_delay_alu instid0(SALU_CYCLE_1)
	s_and_b32 s29, s0, exec_lo
.LBB831_155:
	s_or_b32 exec_lo, exec_lo, s31
	v_cndmask_b32_e64 v17, 0, 1, s28
	v_cndmask_b32_e64 v30, 0, 1, s7
	;; [unrolled: 1-line block ×4, first 2 shown]
	s_wait_loadcnt_dscnt 0x1
	v_cndmask_b32_e64 v20, 0, 1, s27
	v_cndmask_b32_e64 v32, 0, 1, s29
	v_mov_b32_e32 v16, 1
	s_wait_dscnt 0x0
	s_barrier_signal -1
	s_barrier_wait -1
                                        ; implicit-def: $sgpr0
                                        ; implicit-def: $vgpr22
	s_and_saveexec_b32 s6, s3
	s_cbranch_execz .LBB831_163
; %bb.156:
	v_lshlrev_b16 v21, 8, v32
	v_lshlrev_b16 v22, 8, v20
	s_mov_b32 s0, 0
	s_mov_b32 s3, exec_lo
	s_delay_alu instid0(VALU_DEP_1) | instskip(NEXT) | instid1(VALU_DEP_1)
	v_or_b32_e32 v22, v31, v22
	v_dual_lshlrev_b32 v22, 16, v22 :: v_dual_bitop2_b32 v21, 1, v21 bitop3:0x54
	s_delay_alu instid0(VALU_DEP_1) | instskip(NEXT) | instid1(VALU_DEP_1)
	v_and_b32_e32 v21, 0xffff, v21
	v_or_b32_e32 v21, v21, v22
	v_cmpx_gt_u32_e64 s23, v1
	s_cbranch_execz .LBB831_162
; %bb.157:
	s_and_not1_b32 vcc_lo, exec_lo, s26
	s_cbranch_vccnz .LBB831_161
; %bb.158:
	v_add_nc_u32_e32 v22, -8, v26
	v_mul_u64_e32 v[24:25], s[18:19], v[10:11]
	s_add_nc_u64 s[4:5], s[18:19], -1
	s_mov_b32 s7, 0
	ds_load_b64 v[22:23], v22
	s_wait_dscnt 0x0
	v_mul_u64_e32 v[22:23], s[18:19], v[22:23]
	v_lshl_add_u64 v[24:25], v[24:25], 3, s[8:9]
	s_delay_alu instid0(VALU_DEP_2)
	v_lshl_add_u64 v[22:23], v[22:23], 3, s[8:9]
                                        ; implicit-def: $sgpr8
.LBB831_159:                            ; =>This Inner Loop Header: Depth=1
	global_load_b64 v[26:27], v[22:23], off
	global_load_b64 v[28:29], v[24:25], off
	s_cmp_eq_u64 s[4:5], 0
	s_add_nc_u64 s[18:19], s[4:5], -1
	s_cselect_b32 s4, -1, 0
	s_wait_xcnt 0x1
	v_add_nc_u64_e32 v[22:23], 8, v[22:23]
	s_wait_xcnt 0x0
	v_add_nc_u64_e32 v[24:25], 8, v[24:25]
	s_wait_loadcnt 0x0
	v_cmp_neq_f64_e32 vcc_lo, v[26:27], v[28:29]
	v_cmp_eq_f64_e64 s0, v[26:27], v[28:29]
	s_or_b32 s4, vcc_lo, s4
	s_delay_alu instid0(SALU_CYCLE_1) | instskip(NEXT) | instid1(SALU_CYCLE_1)
	s_and_b32 s4, exec_lo, s4
	s_or_b32 s7, s4, s7
	s_and_not1_b32 s8, s8, exec_lo
	s_and_b32 s0, s0, exec_lo
	s_mov_b64 s[4:5], s[18:19]
	s_or_b32 s8, s8, s0
	s_and_not1_b32 exec_lo, exec_lo, s7
	s_cbranch_execnz .LBB831_159
; %bb.160:
	s_or_b32 exec_lo, exec_lo, s7
	s_xor_b32 s0, s8, -1
.LBB831_161:
	s_delay_alu instid0(SALU_CYCLE_1)
	s_and_b32 s0, s0, exec_lo
.LBB831_162:
	s_or_b32 exec_lo, exec_lo, s3
	s_delay_alu instid0(VALU_DEP_2)
	v_perm_b32 v22, v21, v21, 0x3020104
	s_or_b32 s25, s25, exec_lo
.LBB831_163:
	s_or_b32 exec_lo, exec_lo, s6
.LBB831_164:
	s_wait_xcnt 0x0
	s_and_saveexec_b32 s3, s25
	s_cbranch_execz .LBB831_166
; %bb.165:
	s_wait_loadcnt_dscnt 0x0
	v_dual_lshrrev_b32 v20, 24, v22 :: v_dual_lshrrev_b32 v31, 16, v22
	v_lshrrev_b32_e32 v32, 8, v22
	v_cndmask_b32_e64 v16, 0, 1, s0
.LBB831_166:
	s_or_b32 exec_lo, exec_lo, s3
	s_delay_alu instid0(SALU_CYCLE_1)
	s_and_not1_b32 vcc_lo, exec_lo, s1
	s_cbranch_vccnz .LBB831_170
; %bb.167:
	s_delay_alu instid0(VALU_DEP_1)
	v_perm_b32 v16, v16, v32, 0xc0c0004
	s_wait_loadcnt_dscnt 0x0
	v_perm_b32 v20, v31, v20, 0xc0c0004
	v_cmp_gt_u32_e32 vcc_lo, s23, v1
	v_and_b32_e32 v19, 0xff, v19
	v_perm_b32 v17, v17, v30, 0xc0c0004
	v_add_nc_u32_e32 v21, 1, v1
	v_lshl_or_b32 v16, v20, 16, v16
	s_delay_alu instid0(VALU_DEP_4) | instskip(NEXT) | instid1(VALU_DEP_2)
	v_dual_add_nc_u32 v22, 4, v1 :: v_dual_lshlrev_b32 v19, 16, v19
	v_cndmask_b32_e32 v20, 0, v16, vcc_lo
	s_delay_alu instid0(VALU_DEP_4) | instskip(SKIP_1) | instid1(VALU_DEP_3)
	v_cmp_gt_u32_e32 vcc_lo, s23, v21
	v_add_nc_u32_e32 v21, 2, v1
	v_and_b32_e32 v20, 0xff, v20
	s_delay_alu instid0(VALU_DEP_1) | instskip(NEXT) | instid1(VALU_DEP_3)
	v_cndmask_b32_e32 v20, v20, v16, vcc_lo
	v_cmp_gt_u32_e32 vcc_lo, s23, v21
	s_delay_alu instid0(VALU_DEP_2) | instskip(SKIP_2) | instid1(VALU_DEP_3)
	v_and_b32_e32 v20, 0xffff, v20
	v_or_b32_e32 v23, v17, v19
	v_bitop3_b32 v17, v17, 0xffff00, v19 bitop3:0xc8
	v_cndmask_b32_e32 v19, v20, v16, vcc_lo
	v_cmp_gt_u32_e32 vcc_lo, s23, v22
	v_add_nc_u32_e32 v20, 5, v1
	s_delay_alu instid0(VALU_DEP_3) | instskip(SKIP_1) | instid1(VALU_DEP_3)
	v_and_b32_e32 v19, 0xffffff, v19
	v_dual_add_nc_u32 v21, 3, v1 :: v_dual_cndmask_b32 v17, v17, v23, vcc_lo
	v_cmp_gt_u32_e64 s0, s23, v20
	s_delay_alu instid0(VALU_DEP_2) | instskip(NEXT) | instid1(VALU_DEP_3)
	v_cmp_gt_u32_e64 s1, s23, v21
	v_and_b32_e32 v17, 0xffff00ff, v17
	s_or_b32 vcc_lo, s0, vcc_lo
	s_delay_alu instid0(VALU_DEP_1) | instskip(SKIP_1) | instid1(VALU_DEP_1)
	v_dual_cndmask_b32 v19, v19, v16, s1 :: v_dual_cndmask_b32 v17, v17, v23, s0
	s_mov_b32 s0, exec_lo
	v_dual_cndmask_b32 v16, v19, v16 :: v_dual_add_nc_u32 v1, 6, v1
	s_delay_alu instid0(VALU_DEP_2) | instskip(NEXT) | instid1(VALU_DEP_2)
	v_dual_lshrrev_b32 v30, 8, v17 :: v_dual_lshrrev_b32 v19, 16, v17
	v_lshrrev_b32_e32 v32, 8, v16
	v_lshrrev_b64 v[20:21], 24, v[16:17]
	v_lshrrev_b32_e32 v31, 16, v16
	v_cmpx_le_u32_e64 s23, v1
; %bb.168:
	v_mov_b32_e32 v19, 0
; %bb.169:
	s_or_b32 exec_lo, exec_lo, s0
.LBB831_170:
	s_delay_alu instid0(VALU_DEP_1)
	v_and_b32_e32 v1, 0xff, v16
	s_wait_loadcnt_dscnt 0x0
	v_and_b32_e32 v21, 0xff, v32
	v_and_b32_e32 v33, 0xff, v31
	;; [unrolled: 1-line block ×4, first 2 shown]
	v_mbcnt_lo_u32_b32 v37, -1, 0
	v_and_b32_e32 v36, 0xff, v30
	v_add3_u32 v22, v21, v1, v33
	v_and_b32_e32 v23, 0xff, v19
	s_delay_alu instid0(VALU_DEP_4) | instskip(SKIP_1) | instid1(VALU_DEP_3)
	v_dual_lshrrev_b32 v38, 5, v0 :: v_dual_bitop2_b32 v24, 15, v37 bitop3:0x40
	s_and_b32 vcc_lo, exec_lo, s24
	v_add3_u32 v22, v22, v34, v35
	s_mov_b32 s7, -1
	s_delay_alu instid0(VALU_DEP_2) | instskip(SKIP_1) | instid1(VALU_DEP_3)
	v_cmp_eq_u32_e64 s0, 0, v24
	v_cmp_lt_u32_e64 s3, 1, v24
	v_add3_u32 v39, v22, v36, v23
	v_and_b32_e32 v22, 16, v37
	v_or_b32_e32 v23, 31, v0
	v_cmp_lt_u32_e64 s4, 3, v24
	v_cmp_lt_u32_e64 s1, 7, v24
	s_barrier_signal -1
	v_cmp_eq_u32_e64 s6, 0, v22
	v_cmp_eq_u32_e64 s5, v0, v23
	s_barrier_wait -1
                                        ; implicit-def: $vgpr25
                                        ; implicit-def: $vgpr26
                                        ; implicit-def: $vgpr27
                                        ; implicit-def: $vgpr28
                                        ; implicit-def: $vgpr29
                                        ; implicit-def: $vgpr40
                                        ; implicit-def: $vgpr41
                                        ; implicit-def: $vgpr24
                                        ; implicit-def: $vgpr22
	s_cbranch_vccz .LBB831_197
; %bb.171:
	v_mov_b32_dpp v22, v39 row_shr:1 row_mask:0xf bank_mask:0xf
	s_delay_alu instid0(VALU_DEP_1) | instskip(NEXT) | instid1(VALU_DEP_1)
	v_cndmask_b32_e64 v22, v22, 0, s0
	v_add_nc_u32_e32 v22, v22, v39
	s_delay_alu instid0(VALU_DEP_1) | instskip(NEXT) | instid1(VALU_DEP_1)
	v_mov_b32_dpp v23, v22 row_shr:2 row_mask:0xf bank_mask:0xf
	v_cndmask_b32_e64 v23, 0, v23, s3
	s_delay_alu instid0(VALU_DEP_1) | instskip(NEXT) | instid1(VALU_DEP_1)
	v_add_nc_u32_e32 v22, v22, v23
	v_mov_b32_dpp v23, v22 row_shr:4 row_mask:0xf bank_mask:0xf
	s_delay_alu instid0(VALU_DEP_1) | instskip(NEXT) | instid1(VALU_DEP_1)
	v_cndmask_b32_e64 v23, 0, v23, s4
	v_add_nc_u32_e32 v22, v22, v23
	s_delay_alu instid0(VALU_DEP_1) | instskip(NEXT) | instid1(VALU_DEP_1)
	v_mov_b32_dpp v23, v22 row_shr:8 row_mask:0xf bank_mask:0xf
	v_cndmask_b32_e64 v23, 0, v23, s1
	s_delay_alu instid0(VALU_DEP_1) | instskip(SKIP_3) | instid1(VALU_DEP_1)
	v_add_nc_u32_e32 v22, v22, v23
	ds_swizzle_b32 v23, v22 offset:swizzle(BROADCAST,32,15)
	s_wait_dscnt 0x0
	v_cndmask_b32_e64 v23, v23, 0, s6
	v_add_nc_u32_e32 v22, v22, v23
	s_and_saveexec_b32 s7, s5
; %bb.172:
	v_lshlrev_b32_e32 v23, 2, v38
	ds_store_b32 v23, v22
; %bb.173:
	s_or_b32 exec_lo, exec_lo, s7
	s_delay_alu instid0(SALU_CYCLE_1)
	s_mov_b32 s7, exec_lo
	s_wait_dscnt 0x0
	s_barrier_signal -1
	s_barrier_wait -1
	v_cmpx_gt_u32_e32 16, v0
	s_cbranch_execz .LBB831_175
; %bb.174:
	v_lshlrev_b32_e32 v23, 2, v0
	ds_load_b32 v24, v23
	s_wait_dscnt 0x0
	v_mov_b32_dpp v25, v24 row_shr:1 row_mask:0xf bank_mask:0xf
	s_delay_alu instid0(VALU_DEP_1) | instskip(NEXT) | instid1(VALU_DEP_1)
	v_cndmask_b32_e64 v25, v25, 0, s0
	v_add_nc_u32_e32 v24, v25, v24
	s_delay_alu instid0(VALU_DEP_1) | instskip(NEXT) | instid1(VALU_DEP_1)
	v_mov_b32_dpp v25, v24 row_shr:2 row_mask:0xf bank_mask:0xf
	v_cndmask_b32_e64 v25, 0, v25, s3
	s_delay_alu instid0(VALU_DEP_1) | instskip(NEXT) | instid1(VALU_DEP_1)
	v_add_nc_u32_e32 v24, v24, v25
	v_mov_b32_dpp v25, v24 row_shr:4 row_mask:0xf bank_mask:0xf
	s_delay_alu instid0(VALU_DEP_1) | instskip(NEXT) | instid1(VALU_DEP_1)
	v_cndmask_b32_e64 v25, 0, v25, s4
	v_add_nc_u32_e32 v24, v24, v25
	s_delay_alu instid0(VALU_DEP_1) | instskip(NEXT) | instid1(VALU_DEP_1)
	v_mov_b32_dpp v25, v24 row_shr:8 row_mask:0xf bank_mask:0xf
	v_cndmask_b32_e64 v25, 0, v25, s1
	s_delay_alu instid0(VALU_DEP_1)
	v_add_nc_u32_e32 v24, v24, v25
	ds_store_b32 v23, v24
.LBB831_175:
	s_or_b32 exec_lo, exec_lo, s7
	s_delay_alu instid0(SALU_CYCLE_1)
	s_mov_b32 s8, exec_lo
	v_cmp_gt_u32_e32 vcc_lo, 32, v0
	s_wait_dscnt 0x0
	s_barrier_signal -1
	s_barrier_wait -1
                                        ; implicit-def: $vgpr40
	v_cmpx_lt_u32_e32 31, v0
	s_cbranch_execz .LBB831_177
; %bb.176:
	v_lshl_add_u32 v23, v38, 2, -4
	ds_load_b32 v40, v23
	s_wait_dscnt 0x0
	v_add_nc_u32_e32 v22, v40, v22
.LBB831_177:
	s_or_b32 exec_lo, exec_lo, s8
	v_sub_co_u32 v23, s7, v37, 1
	s_delay_alu instid0(VALU_DEP_1) | instskip(NEXT) | instid1(VALU_DEP_1)
	v_cmp_gt_i32_e64 s8, 0, v23
	v_cndmask_b32_e64 v23, v23, v37, s8
	s_delay_alu instid0(VALU_DEP_1)
	v_lshlrev_b32_e32 v23, 2, v23
	ds_bpermute_b32 v41, v23, v22
	s_and_saveexec_b32 s8, vcc_lo
	s_cbranch_execz .LBB831_196
; %bb.178:
	v_mov_b32_e32 v29, 0
	ds_load_b32 v22, v29 offset:60
	s_and_saveexec_b32 s9, s7
	s_cbranch_execz .LBB831_180
; %bb.179:
	s_add_co_i32 s18, s22, 32
	s_delay_alu instid0(SALU_CYCLE_1)
	v_dual_mov_b32 v23, 1 :: v_dual_mov_b32 v24, s18
	s_wait_dscnt 0x0
	global_store_b64 v24, v[22:23], s[10:11] scale_offset scope:SCOPE_DEV
.LBB831_180:
	s_wait_xcnt 0x0
	s_or_b32 exec_lo, exec_lo, s9
	v_xad_u32 v24, v37, -1, s22
	s_mov_b32 s18, 0
	s_mov_b32 s9, exec_lo
	s_delay_alu instid0(VALU_DEP_1) | instskip(SKIP_4) | instid1(VALU_DEP_1)
	v_add_nc_u32_e32 v28, 32, v24
	global_load_b64 v[26:27], v28, s[10:11] scale_offset scope:SCOPE_DEV
	s_wait_loadcnt 0x0
	v_and_b32_e32 v23, 0xff, v27
	s_wait_xcnt 0x0
	v_cmpx_eq_u16_e32 0, v23
	s_cbranch_execz .LBB831_184
; %bb.181:
	v_lshl_add_u64 v[28:29], v[28:29], 3, s[10:11]
.LBB831_182:                            ; =>This Inner Loop Header: Depth=1
	global_load_b64 v[26:27], v[28:29], off scope:SCOPE_DEV
	s_wait_loadcnt 0x0
	v_and_b32_e32 v23, 0xff, v27
	s_delay_alu instid0(VALU_DEP_1)
	v_cmp_ne_u16_e32 vcc_lo, 0, v23
	s_or_b32 s18, vcc_lo, s18
	s_wait_xcnt 0x0
	s_and_not1_b32 exec_lo, exec_lo, s18
	s_cbranch_execnz .LBB831_182
; %bb.183:
	s_or_b32 exec_lo, exec_lo, s18
.LBB831_184:
	s_delay_alu instid0(SALU_CYCLE_1)
	s_or_b32 exec_lo, exec_lo, s9
	v_cmp_ne_u32_e32 vcc_lo, 31, v37
	v_lshlrev_b32_e64 v43, v37, -1
	v_lshl_or_b32 v50, v37, 2, 64
	v_dual_add_nc_u32 v45, 2, v37 :: v_dual_add_nc_u32 v47, 4, v37
	v_add_co_ci_u32_e64 v23, null, 0, v37, vcc_lo
	v_dual_add_nc_u32 v49, 8, v37 :: v_dual_add_nc_u32 v51, 16, v37
	s_delay_alu instid0(VALU_DEP_2)
	v_lshlrev_b32_e32 v42, 2, v23
	v_and_b32_e32 v23, 0xff, v27
	ds_bpermute_b32 v25, v42, v26
	v_cmp_eq_u16_e32 vcc_lo, 2, v23
	v_and_or_b32 v23, vcc_lo, v43, 0x80000000
	v_cmp_gt_u32_e32 vcc_lo, 30, v37
	s_delay_alu instid0(VALU_DEP_2) | instskip(SKIP_1) | instid1(VALU_DEP_2)
	v_ctz_i32_b32_e32 v23, v23
	v_cndmask_b32_e64 v28, 0, 2, vcc_lo
	v_cmp_lt_u32_e32 vcc_lo, v37, v23
	s_delay_alu instid0(VALU_DEP_2) | instskip(SKIP_3) | instid1(VALU_DEP_2)
	v_add_lshl_u32 v44, v28, v37, 2
	s_wait_dscnt 0x0
	v_cndmask_b32_e32 v25, 0, v25, vcc_lo
	v_cmp_gt_u32_e32 vcc_lo, 28, v37
	v_add_nc_u32_e32 v25, v25, v26
	v_cndmask_b32_e64 v28, 0, 4, vcc_lo
	v_cmp_le_u32_e32 vcc_lo, v45, v23
	ds_bpermute_b32 v26, v44, v25
	v_add_lshl_u32 v46, v28, v37, 2
	s_wait_dscnt 0x0
	v_cndmask_b32_e32 v26, 0, v26, vcc_lo
	v_cmp_gt_u32_e32 vcc_lo, 24, v37
	v_cndmask_b32_e64 v28, 0, 8, vcc_lo
	v_cmp_le_u32_e32 vcc_lo, v47, v23
	s_delay_alu instid0(VALU_DEP_4) | instskip(NEXT) | instid1(VALU_DEP_3)
	v_add_nc_u32_e32 v25, v25, v26
	v_add_lshl_u32 v48, v28, v37, 2
	ds_bpermute_b32 v26, v46, v25
	s_wait_dscnt 0x0
	v_cndmask_b32_e32 v26, 0, v26, vcc_lo
	v_cmp_le_u32_e32 vcc_lo, v49, v23
	s_delay_alu instid0(VALU_DEP_2) | instskip(SKIP_4) | instid1(VALU_DEP_2)
	v_add_nc_u32_e32 v25, v25, v26
	ds_bpermute_b32 v26, v48, v25
	s_wait_dscnt 0x0
	v_cndmask_b32_e32 v26, 0, v26, vcc_lo
	v_cmp_le_u32_e32 vcc_lo, v51, v23
	v_add_nc_u32_e32 v25, v25, v26
	ds_bpermute_b32 v26, v50, v25
	s_wait_dscnt 0x0
	v_cndmask_b32_e32 v23, 0, v26, vcc_lo
	s_delay_alu instid0(VALU_DEP_1)
	v_dual_mov_b32 v25, 0 :: v_dual_add_nc_u32 v26, v25, v23
	s_branch .LBB831_187
.LBB831_185:                            ;   in Loop: Header=BB831_187 Depth=1
	s_or_b32 exec_lo, exec_lo, s9
	v_and_b32_e32 v28, 0xff, v27
	ds_bpermute_b32 v29, v42, v26
	v_subrev_nc_u32_e32 v24, 32, v24
	s_mov_b32 s9, 0
	v_cmp_eq_u16_e32 vcc_lo, 2, v28
	v_and_or_b32 v28, vcc_lo, v43, 0x80000000
	s_delay_alu instid0(VALU_DEP_1) | instskip(NEXT) | instid1(VALU_DEP_1)
	v_ctz_i32_b32_e32 v28, v28
	v_cmp_lt_u32_e32 vcc_lo, v37, v28
	s_wait_dscnt 0x0
	v_cndmask_b32_e32 v29, 0, v29, vcc_lo
	v_cmp_le_u32_e32 vcc_lo, v45, v28
	s_delay_alu instid0(VALU_DEP_2) | instskip(SKIP_4) | instid1(VALU_DEP_2)
	v_add_nc_u32_e32 v26, v29, v26
	ds_bpermute_b32 v29, v44, v26
	s_wait_dscnt 0x0
	v_cndmask_b32_e32 v29, 0, v29, vcc_lo
	v_cmp_le_u32_e32 vcc_lo, v47, v28
	v_add_nc_u32_e32 v26, v26, v29
	ds_bpermute_b32 v29, v46, v26
	s_wait_dscnt 0x0
	v_cndmask_b32_e32 v29, 0, v29, vcc_lo
	v_cmp_le_u32_e32 vcc_lo, v49, v28
	s_delay_alu instid0(VALU_DEP_2) | instskip(SKIP_4) | instid1(VALU_DEP_2)
	v_add_nc_u32_e32 v26, v26, v29
	ds_bpermute_b32 v29, v48, v26
	s_wait_dscnt 0x0
	v_cndmask_b32_e32 v29, 0, v29, vcc_lo
	v_cmp_le_u32_e32 vcc_lo, v51, v28
	v_add_nc_u32_e32 v26, v26, v29
	ds_bpermute_b32 v29, v50, v26
	s_wait_dscnt 0x0
	v_cndmask_b32_e32 v28, 0, v29, vcc_lo
	s_delay_alu instid0(VALU_DEP_1)
	v_add3_u32 v26, v28, v23, v26
.LBB831_186:                            ;   in Loop: Header=BB831_187 Depth=1
	s_and_b32 vcc_lo, exec_lo, s9
	s_cbranch_vccnz .LBB831_192
.LBB831_187:                            ; =>This Loop Header: Depth=1
                                        ;     Child Loop BB831_190 Depth 2
	v_and_b32_e32 v23, 0xff, v27
	s_mov_b32 s9, -1
                                        ; implicit-def: $vgpr27
	s_delay_alu instid0(VALU_DEP_1)
	v_cmp_ne_u16_e32 vcc_lo, 2, v23
	v_mov_b32_e32 v23, v26
                                        ; implicit-def: $vgpr26
	s_cmp_lg_u32 vcc_lo, exec_lo
	s_cbranch_scc1 .LBB831_186
; %bb.188:                              ;   in Loop: Header=BB831_187 Depth=1
	global_load_b64 v[26:27], v24, s[10:11] scale_offset scope:SCOPE_DEV
	s_mov_b32 s9, exec_lo
	s_wait_loadcnt 0x0
	v_and_b32_e32 v28, 0xff, v27
	s_wait_xcnt 0x0
	s_delay_alu instid0(VALU_DEP_1)
	v_cmpx_eq_u16_e32 0, v28
	s_cbranch_execz .LBB831_185
; %bb.189:                              ;   in Loop: Header=BB831_187 Depth=1
	v_lshl_add_u64 v[28:29], v[24:25], 3, s[10:11]
	s_mov_b32 s18, 0
.LBB831_190:                            ;   Parent Loop BB831_187 Depth=1
                                        ; =>  This Inner Loop Header: Depth=2
	global_load_b64 v[26:27], v[28:29], off scope:SCOPE_DEV
	s_wait_loadcnt 0x0
	v_and_b32_e32 v52, 0xff, v27
	s_delay_alu instid0(VALU_DEP_1)
	v_cmp_ne_u16_e32 vcc_lo, 0, v52
	s_or_b32 s18, vcc_lo, s18
	s_wait_xcnt 0x0
	s_and_not1_b32 exec_lo, exec_lo, s18
	s_cbranch_execnz .LBB831_190
; %bb.191:                              ;   in Loop: Header=BB831_187 Depth=1
	s_or_b32 exec_lo, exec_lo, s18
	s_branch .LBB831_185
.LBB831_192:
	s_and_saveexec_b32 s9, s7
	s_cbranch_execz .LBB831_194
; %bb.193:
	s_add_co_i32 s18, s22, 32
	v_dual_mov_b32 v25, 2 :: v_dual_add_nc_u32 v24, v23, v22
	v_dual_mov_b32 v26, s18 :: v_dual_mov_b32 v27, 0
	global_store_b64 v26, v[24:25], s[10:11] scale_offset scope:SCOPE_DEV
	ds_store_b64 v27, v[22:23] offset:28672
.LBB831_194:
	s_wait_xcnt 0x0
	s_or_b32 exec_lo, exec_lo, s9
	s_delay_alu instid0(SALU_CYCLE_1)
	s_and_b32 exec_lo, exec_lo, s2
; %bb.195:
	v_mov_b32_e32 v22, 0
	ds_store_b32 v22, v23 offset:60
.LBB831_196:
	s_or_b32 exec_lo, exec_lo, s8
	s_wait_dscnt 0x0
	v_dual_mov_b32 v22, 0 :: v_dual_cndmask_b32 v24, v41, v40, s7
	s_wait_storecnt 0x0
	s_barrier_signal -1
	s_barrier_wait -1
	ds_load_b32 v23, v22 offset:60
	v_cndmask_b32_e64 v24, v24, 0, s2
	s_wait_dscnt 0x0
	s_barrier_signal -1
	s_barrier_wait -1
	s_mov_b32 s7, 0
	v_add_nc_u32_e32 v41, v23, v24
	ds_load_b64 v[22:23], v22 offset:28672
	v_add_nc_u32_e32 v40, v41, v1
	s_delay_alu instid0(VALU_DEP_1) | instskip(NEXT) | instid1(VALU_DEP_1)
	v_add_nc_u32_e32 v29, v40, v21
	v_add_nc_u32_e32 v28, v29, v33
	s_wait_dscnt 0x0
	s_delay_alu instid0(VALU_DEP_1) | instskip(NEXT) | instid1(VALU_DEP_1)
	v_dual_mov_b32 v24, v23 :: v_dual_add_nc_u32 v27, v28, v34
	v_add_nc_u32_e32 v26, v27, v35
	s_delay_alu instid0(VALU_DEP_1)
	v_add_nc_u32_e32 v25, v26, v36
.LBB831_197:
	s_and_b32 vcc_lo, exec_lo, s7
	s_cbranch_vccz .LBB831_207
; %bb.198:
	v_mov_b32_dpp v22, v39 row_shr:1 row_mask:0xf bank_mask:0xf
	s_delay_alu instid0(VALU_DEP_1) | instskip(NEXT) | instid1(VALU_DEP_1)
	v_cndmask_b32_e64 v22, v22, 0, s0
	v_add_nc_u32_e32 v22, v22, v39
	s_delay_alu instid0(VALU_DEP_1) | instskip(NEXT) | instid1(VALU_DEP_1)
	v_mov_b32_dpp v23, v22 row_shr:2 row_mask:0xf bank_mask:0xf
	v_cndmask_b32_e64 v23, 0, v23, s3
	s_delay_alu instid0(VALU_DEP_1) | instskip(NEXT) | instid1(VALU_DEP_1)
	v_add_nc_u32_e32 v22, v22, v23
	v_mov_b32_dpp v23, v22 row_shr:4 row_mask:0xf bank_mask:0xf
	s_delay_alu instid0(VALU_DEP_1) | instskip(NEXT) | instid1(VALU_DEP_1)
	v_cndmask_b32_e64 v23, 0, v23, s4
	v_add_nc_u32_e32 v22, v22, v23
	s_delay_alu instid0(VALU_DEP_1) | instskip(NEXT) | instid1(VALU_DEP_1)
	v_mov_b32_dpp v23, v22 row_shr:8 row_mask:0xf bank_mask:0xf
	v_cndmask_b32_e64 v23, 0, v23, s1
	s_delay_alu instid0(VALU_DEP_1) | instskip(SKIP_3) | instid1(VALU_DEP_1)
	v_add_nc_u32_e32 v22, v22, v23
	ds_swizzle_b32 v23, v22 offset:swizzle(BROADCAST,32,15)
	s_wait_dscnt 0x0
	v_cndmask_b32_e64 v23, v23, 0, s6
	v_add_nc_u32_e32 v22, v22, v23
	s_and_saveexec_b32 s6, s5
; %bb.199:
	v_lshlrev_b32_e32 v23, 2, v38
	ds_store_b32 v23, v22
; %bb.200:
	s_or_b32 exec_lo, exec_lo, s6
	s_delay_alu instid0(SALU_CYCLE_1)
	s_mov_b32 s5, exec_lo
	s_wait_dscnt 0x0
	s_barrier_signal -1
	s_barrier_wait -1
	v_cmpx_gt_u32_e32 16, v0
	s_cbranch_execz .LBB831_202
; %bb.201:
	v_lshlrev_b32_e32 v23, 2, v0
	ds_load_b32 v24, v23
	s_wait_dscnt 0x0
	v_mov_b32_dpp v25, v24 row_shr:1 row_mask:0xf bank_mask:0xf
	s_delay_alu instid0(VALU_DEP_1) | instskip(NEXT) | instid1(VALU_DEP_1)
	v_cndmask_b32_e64 v25, v25, 0, s0
	v_add_nc_u32_e32 v24, v25, v24
	s_delay_alu instid0(VALU_DEP_1) | instskip(NEXT) | instid1(VALU_DEP_1)
	v_mov_b32_dpp v25, v24 row_shr:2 row_mask:0xf bank_mask:0xf
	v_cndmask_b32_e64 v25, 0, v25, s3
	s_delay_alu instid0(VALU_DEP_1) | instskip(NEXT) | instid1(VALU_DEP_1)
	v_add_nc_u32_e32 v24, v24, v25
	v_mov_b32_dpp v25, v24 row_shr:4 row_mask:0xf bank_mask:0xf
	s_delay_alu instid0(VALU_DEP_1) | instskip(NEXT) | instid1(VALU_DEP_1)
	v_cndmask_b32_e64 v25, 0, v25, s4
	v_add_nc_u32_e32 v24, v24, v25
	s_delay_alu instid0(VALU_DEP_1) | instskip(NEXT) | instid1(VALU_DEP_1)
	v_mov_b32_dpp v25, v24 row_shr:8 row_mask:0xf bank_mask:0xf
	v_cndmask_b32_e64 v25, 0, v25, s1
	s_delay_alu instid0(VALU_DEP_1)
	v_add_nc_u32_e32 v24, v24, v25
	ds_store_b32 v23, v24
.LBB831_202:
	s_or_b32 exec_lo, exec_lo, s5
	v_dual_mov_b32 v23, 0 :: v_dual_mov_b32 v24, 0
	s_mov_b32 s0, exec_lo
	s_wait_dscnt 0x0
	s_barrier_signal -1
	s_barrier_wait -1
	v_cmpx_lt_u32_e32 31, v0
; %bb.203:
	v_lshl_add_u32 v24, v38, 2, -4
	ds_load_b32 v24, v24
; %bb.204:
	s_or_b32 exec_lo, exec_lo, s0
	v_sub_co_u32 v25, vcc_lo, v37, 1
	s_wait_dscnt 0x0
	v_add_nc_u32_e32 v22, v24, v22
	s_delay_alu instid0(VALU_DEP_2) | instskip(NEXT) | instid1(VALU_DEP_1)
	v_cmp_gt_i32_e64 s0, 0, v25
	v_cndmask_b32_e64 v25, v25, v37, s0
	s_delay_alu instid0(VALU_DEP_1)
	v_lshlrev_b32_e32 v25, 2, v25
	ds_bpermute_b32 v25, v25, v22
	ds_load_b32 v22, v23 offset:60
	s_and_saveexec_b32 s0, s2
	s_cbranch_execz .LBB831_206
; %bb.205:
	v_dual_mov_b32 v26, 0 :: v_dual_mov_b32 v23, 2
	s_wait_dscnt 0x0
	global_store_b64 v26, v[22:23], s[10:11] offset:256 scope:SCOPE_DEV
.LBB831_206:
	s_wait_xcnt 0x0
	s_or_b32 exec_lo, exec_lo, s0
	s_wait_dscnt 0x1
	v_cndmask_b32_e32 v23, v25, v24, vcc_lo
	s_wait_storecnt_dscnt 0x0
	s_barrier_signal -1
	s_barrier_wait -1
	s_delay_alu instid0(VALU_DEP_1) | instskip(NEXT) | instid1(VALU_DEP_1)
	v_cndmask_b32_e64 v41, v23, 0, s2
	v_dual_mov_b32 v24, 0 :: v_dual_add_nc_u32 v40, v41, v1
	s_delay_alu instid0(VALU_DEP_1) | instskip(NEXT) | instid1(VALU_DEP_1)
	v_add_nc_u32_e32 v29, v40, v21
	v_add_nc_u32_e32 v28, v29, v33
	s_delay_alu instid0(VALU_DEP_1) | instskip(NEXT) | instid1(VALU_DEP_1)
	v_add_nc_u32_e32 v27, v28, v34
	v_add_nc_u32_e32 v26, v27, v35
	s_delay_alu instid0(VALU_DEP_1)
	v_add_nc_u32_e32 v25, v26, v36
.LBB831_207:
	v_and_b32_e32 v1, 1, v16
	v_cmp_gt_u32_e32 vcc_lo, 0x201, v22
	s_mov_b32 s1, -1
	s_delay_alu instid0(VALU_DEP_2)
	v_cmp_eq_u32_e64 s0, 1, v1
	s_cbranch_vccnz .LBB831_211
; %bb.208:
	s_and_b32 vcc_lo, exec_lo, s1
	s_cbranch_vccnz .LBB831_226
.LBB831_209:
	s_and_b32 s0, s2, s16
	s_delay_alu instid0(SALU_CYCLE_1)
	s_and_saveexec_b32 s1, s0
	s_cbranch_execnz .LBB831_243
.LBB831_210:
	s_endpgm
.LBB831_211:
	v_add_nc_u32_e32 v16, v24, v22
	s_delay_alu instid0(VALU_DEP_1) | instskip(SKIP_1) | instid1(SALU_CYCLE_1)
	v_cmp_lt_u32_e32 vcc_lo, v41, v16
	s_or_b32 s1, s17, vcc_lo
	s_and_b32 s1, s1, s0
	s_delay_alu instid0(SALU_CYCLE_1)
	s_and_saveexec_b32 s0, s1
	s_cbranch_execz .LBB831_213
; %bb.212:
	s_lshl_b64 s[4:5], s[14:15], 3
	s_delay_alu instid0(SALU_CYCLE_1)
	s_add_nc_u64 s[4:5], s[20:21], s[4:5]
	global_store_b64 v41, v[10:11], s[4:5] scale_offset
.LBB831_213:
	s_wait_xcnt 0x0
	s_or_b32 exec_lo, exec_lo, s0
	v_and_b32_e32 v21, 1, v32
	v_cmp_lt_u32_e32 vcc_lo, v40, v16
	s_delay_alu instid0(VALU_DEP_2) | instskip(SKIP_1) | instid1(SALU_CYCLE_1)
	v_cmp_eq_u32_e64 s0, 1, v21
	s_or_b32 s1, s17, vcc_lo
	s_and_b32 s1, s1, s0
	s_delay_alu instid0(SALU_CYCLE_1)
	s_and_saveexec_b32 s0, s1
	s_cbranch_execz .LBB831_215
; %bb.214:
	s_lshl_b64 s[4:5], s[14:15], 3
	s_delay_alu instid0(SALU_CYCLE_1)
	s_add_nc_u64 s[4:5], s[20:21], s[4:5]
	global_store_b64 v40, v[12:13], s[4:5] scale_offset
.LBB831_215:
	s_wait_xcnt 0x0
	s_or_b32 exec_lo, exec_lo, s0
	v_and_b32_e32 v21, 1, v31
	v_cmp_lt_u32_e32 vcc_lo, v29, v16
	s_delay_alu instid0(VALU_DEP_2) | instskip(SKIP_1) | instid1(SALU_CYCLE_1)
	v_cmp_eq_u32_e64 s0, 1, v21
	;; [unrolled: 17-line block ×6, first 2 shown]
	s_or_b32 s1, s17, vcc_lo
	s_and_b32 s1, s1, s0
	s_delay_alu instid0(SALU_CYCLE_1)
	s_and_saveexec_b32 s0, s1
	s_cbranch_execz .LBB831_225
; %bb.224:
	s_lshl_b64 s[4:5], s[14:15], 3
	s_delay_alu instid0(SALU_CYCLE_1)
	s_add_nc_u64 s[4:5], s[20:21], s[4:5]
	global_store_b64 v25, v[14:15], s[4:5] scale_offset
.LBB831_225:
	s_wait_xcnt 0x0
	s_or_b32 exec_lo, exec_lo, s0
	s_branch .LBB831_209
.LBB831_226:
	s_mov_b32 s0, exec_lo
	v_cmpx_eq_u32_e32 1, v1
; %bb.227:
	v_sub_nc_u32_e32 v1, v41, v24
	s_delay_alu instid0(VALU_DEP_1)
	v_lshlrev_b32_e32 v1, 3, v1
	ds_store_b64 v1, v[10:11]
; %bb.228:
	s_or_b32 exec_lo, exec_lo, s0
	v_and_b32_e32 v1, 1, v32
	s_mov_b32 s0, exec_lo
	s_delay_alu instid0(VALU_DEP_1)
	v_cmpx_eq_u32_e32 1, v1
; %bb.229:
	v_sub_nc_u32_e32 v1, v40, v24
	s_delay_alu instid0(VALU_DEP_1)
	v_lshlrev_b32_e32 v1, 3, v1
	ds_store_b64 v1, v[12:13]
; %bb.230:
	s_or_b32 exec_lo, exec_lo, s0
	v_and_b32_e32 v1, 1, v31
	s_mov_b32 s0, exec_lo
	s_delay_alu instid0(VALU_DEP_1)
	v_cmpx_eq_u32_e32 1, v1
; %bb.231:
	v_sub_nc_u32_e32 v1, v29, v24
	s_delay_alu instid0(VALU_DEP_1)
	v_lshlrev_b32_e32 v1, 3, v1
	ds_store_b64 v1, v[6:7]
; %bb.232:
	s_or_b32 exec_lo, exec_lo, s0
	v_and_b32_e32 v1, 1, v20
	s_mov_b32 s0, exec_lo
	s_delay_alu instid0(VALU_DEP_1)
	v_cmpx_eq_u32_e32 1, v1
; %bb.233:
	v_sub_nc_u32_e32 v1, v28, v24
	s_delay_alu instid0(VALU_DEP_1)
	v_lshlrev_b32_e32 v1, 3, v1
	ds_store_b64 v1, v[8:9]
; %bb.234:
	s_or_b32 exec_lo, exec_lo, s0
	v_and_b32_e32 v1, 1, v17
	s_mov_b32 s0, exec_lo
	s_delay_alu instid0(VALU_DEP_1)
	v_cmpx_eq_u32_e32 1, v1
; %bb.235:
	v_sub_nc_u32_e32 v1, v27, v24
	s_delay_alu instid0(VALU_DEP_1)
	v_lshlrev_b32_e32 v1, 3, v1
	ds_store_b64 v1, v[2:3]
; %bb.236:
	s_or_b32 exec_lo, exec_lo, s0
	v_and_b32_e32 v1, 1, v30
	s_mov_b32 s0, exec_lo
	s_delay_alu instid0(VALU_DEP_1)
	v_cmpx_eq_u32_e32 1, v1
; %bb.237:
	v_sub_nc_u32_e32 v1, v26, v24
	s_delay_alu instid0(VALU_DEP_1)
	v_lshlrev_b32_e32 v1, 3, v1
	ds_store_b64 v1, v[4:5]
; %bb.238:
	s_or_b32 exec_lo, exec_lo, s0
	v_and_b32_e32 v1, 1, v19
	s_mov_b32 s0, exec_lo
	s_delay_alu instid0(VALU_DEP_1)
	v_cmpx_eq_u32_e32 1, v1
; %bb.239:
	v_sub_nc_u32_e32 v1, v25, v24
	s_delay_alu instid0(VALU_DEP_1)
	v_lshlrev_b32_e32 v1, 3, v1
	ds_store_b64 v1, v[14:15]
; %bb.240:
	s_or_b32 exec_lo, exec_lo, s0
	v_mov_b32_e32 v25, 0
	s_lshl_b64 s[0:1], s[14:15], 3
	s_wait_storecnt_dscnt 0x0
	s_barrier_signal -1
	s_barrier_wait -1
	v_lshlrev_b64_e32 v[2:3], 3, v[24:25]
	v_mov_b32_e32 v19, v25
	s_delay_alu instid0(VALU_DEP_2) | instskip(SKIP_1) | instid1(VALU_DEP_1)
	v_add_nc_u64_e32 v[2:3], s[0:1], v[2:3]
	s_mov_b32 s0, 0
	v_add_nc_u64_e32 v[2:3], s[20:21], v[2:3]
	s_delay_alu instid0(VALU_DEP_1)
	v_add_nc_u64_e32 v[2:3], v[2:3], v[18:19]
.LBB831_241:                            ; =>This Inner Loop Header: Depth=1
	ds_load_b64 v[4:5], v18
	v_add_nc_u32_e32 v0, 0x200, v0
	v_add_nc_u32_e32 v18, 0x1000, v18
	s_delay_alu instid0(VALU_DEP_2)
	v_cmp_ge_u32_e32 vcc_lo, v0, v22
	s_or_b32 s0, vcc_lo, s0
	s_wait_dscnt 0x0
	global_store_b64 v[2:3], v[4:5], off
	s_wait_xcnt 0x0
	v_add_nc_u64_e32 v[2:3], 0x1000, v[2:3]
	s_and_not1_b32 exec_lo, exec_lo, s0
	s_cbranch_execnz .LBB831_241
; %bb.242:
	s_or_b32 exec_lo, exec_lo, s0
	s_and_b32 s0, s2, s16
	s_delay_alu instid0(SALU_CYCLE_1)
	s_and_saveexec_b32 s1, s0
	s_cbranch_execz .LBB831_210
.LBB831_243:
	v_mov_b32_e32 v23, 0
	s_delay_alu instid0(VALU_DEP_1) | instskip(SKIP_1) | instid1(VALU_DEP_1)
	v_add_nc_u64_e32 v[0:1], s[14:15], v[22:23]
	v_mov_b32_e32 v25, v23
	v_add_nc_u64_e32 v[0:1], v[0:1], v[24:25]
	global_store_b64 v23, v[0:1], s[12:13]
	s_endpgm
	.section	.rodata,"a",@progbits
	.p2align	6, 0x0
	.amdhsa_kernel _ZN7rocprim17ROCPRIM_400000_NS6detail17trampoline_kernelINS0_14default_configENS1_25partition_config_selectorILNS1_17partition_subalgoE8ElNS0_10empty_typeEbEEZZNS1_14partition_implILS5_8ELb0ES3_jPlPS6_PKS6_NS0_5tupleIJS9_S6_EEENSD_IJSA_SA_EEENS0_18inequality_wrapperIZN2at6native12_GLOBAL__N_124unique_dim_cuda_templateIdEESt5tupleIJNSH_6TensorESM_SM_EERKSM_lbbbEUlllE0_EEPmJS6_EEE10hipError_tPvRmT3_T4_T5_T6_T7_T9_mT8_P12ihipStream_tbDpT10_ENKUlT_T0_E_clISt17integral_constantIbLb0EES1B_IbLb1EEEEDaS17_S18_EUlS17_E_NS1_11comp_targetILNS1_3genE0ELNS1_11target_archE4294967295ELNS1_3gpuE0ELNS1_3repE0EEENS1_30default_config_static_selectorELNS0_4arch9wavefront6targetE0EEEvT1_
		.amdhsa_group_segment_fixed_size 28680
		.amdhsa_private_segment_fixed_size 0
		.amdhsa_kernarg_size 136
		.amdhsa_user_sgpr_count 2
		.amdhsa_user_sgpr_dispatch_ptr 0
		.amdhsa_user_sgpr_queue_ptr 0
		.amdhsa_user_sgpr_kernarg_segment_ptr 1
		.amdhsa_user_sgpr_dispatch_id 0
		.amdhsa_user_sgpr_kernarg_preload_length 0
		.amdhsa_user_sgpr_kernarg_preload_offset 0
		.amdhsa_user_sgpr_private_segment_size 0
		.amdhsa_wavefront_size32 1
		.amdhsa_uses_dynamic_stack 0
		.amdhsa_enable_private_segment 0
		.amdhsa_system_sgpr_workgroup_id_x 1
		.amdhsa_system_sgpr_workgroup_id_y 0
		.amdhsa_system_sgpr_workgroup_id_z 0
		.amdhsa_system_sgpr_workgroup_info 0
		.amdhsa_system_vgpr_workitem_id 0
		.amdhsa_next_free_vgpr 53
		.amdhsa_next_free_sgpr 36
		.amdhsa_named_barrier_count 0
		.amdhsa_reserve_vcc 1
		.amdhsa_float_round_mode_32 0
		.amdhsa_float_round_mode_16_64 0
		.amdhsa_float_denorm_mode_32 3
		.amdhsa_float_denorm_mode_16_64 3
		.amdhsa_fp16_overflow 0
		.amdhsa_memory_ordered 1
		.amdhsa_forward_progress 1
		.amdhsa_inst_pref_size 83
		.amdhsa_round_robin_scheduling 0
		.amdhsa_exception_fp_ieee_invalid_op 0
		.amdhsa_exception_fp_denorm_src 0
		.amdhsa_exception_fp_ieee_div_zero 0
		.amdhsa_exception_fp_ieee_overflow 0
		.amdhsa_exception_fp_ieee_underflow 0
		.amdhsa_exception_fp_ieee_inexact 0
		.amdhsa_exception_int_div_zero 0
	.end_amdhsa_kernel
	.section	.text._ZN7rocprim17ROCPRIM_400000_NS6detail17trampoline_kernelINS0_14default_configENS1_25partition_config_selectorILNS1_17partition_subalgoE8ElNS0_10empty_typeEbEEZZNS1_14partition_implILS5_8ELb0ES3_jPlPS6_PKS6_NS0_5tupleIJS9_S6_EEENSD_IJSA_SA_EEENS0_18inequality_wrapperIZN2at6native12_GLOBAL__N_124unique_dim_cuda_templateIdEESt5tupleIJNSH_6TensorESM_SM_EERKSM_lbbbEUlllE0_EEPmJS6_EEE10hipError_tPvRmT3_T4_T5_T6_T7_T9_mT8_P12ihipStream_tbDpT10_ENKUlT_T0_E_clISt17integral_constantIbLb0EES1B_IbLb1EEEEDaS17_S18_EUlS17_E_NS1_11comp_targetILNS1_3genE0ELNS1_11target_archE4294967295ELNS1_3gpuE0ELNS1_3repE0EEENS1_30default_config_static_selectorELNS0_4arch9wavefront6targetE0EEEvT1_,"axG",@progbits,_ZN7rocprim17ROCPRIM_400000_NS6detail17trampoline_kernelINS0_14default_configENS1_25partition_config_selectorILNS1_17partition_subalgoE8ElNS0_10empty_typeEbEEZZNS1_14partition_implILS5_8ELb0ES3_jPlPS6_PKS6_NS0_5tupleIJS9_S6_EEENSD_IJSA_SA_EEENS0_18inequality_wrapperIZN2at6native12_GLOBAL__N_124unique_dim_cuda_templateIdEESt5tupleIJNSH_6TensorESM_SM_EERKSM_lbbbEUlllE0_EEPmJS6_EEE10hipError_tPvRmT3_T4_T5_T6_T7_T9_mT8_P12ihipStream_tbDpT10_ENKUlT_T0_E_clISt17integral_constantIbLb0EES1B_IbLb1EEEEDaS17_S18_EUlS17_E_NS1_11comp_targetILNS1_3genE0ELNS1_11target_archE4294967295ELNS1_3gpuE0ELNS1_3repE0EEENS1_30default_config_static_selectorELNS0_4arch9wavefront6targetE0EEEvT1_,comdat
.Lfunc_end831:
	.size	_ZN7rocprim17ROCPRIM_400000_NS6detail17trampoline_kernelINS0_14default_configENS1_25partition_config_selectorILNS1_17partition_subalgoE8ElNS0_10empty_typeEbEEZZNS1_14partition_implILS5_8ELb0ES3_jPlPS6_PKS6_NS0_5tupleIJS9_S6_EEENSD_IJSA_SA_EEENS0_18inequality_wrapperIZN2at6native12_GLOBAL__N_124unique_dim_cuda_templateIdEESt5tupleIJNSH_6TensorESM_SM_EERKSM_lbbbEUlllE0_EEPmJS6_EEE10hipError_tPvRmT3_T4_T5_T6_T7_T9_mT8_P12ihipStream_tbDpT10_ENKUlT_T0_E_clISt17integral_constantIbLb0EES1B_IbLb1EEEEDaS17_S18_EUlS17_E_NS1_11comp_targetILNS1_3genE0ELNS1_11target_archE4294967295ELNS1_3gpuE0ELNS1_3repE0EEENS1_30default_config_static_selectorELNS0_4arch9wavefront6targetE0EEEvT1_, .Lfunc_end831-_ZN7rocprim17ROCPRIM_400000_NS6detail17trampoline_kernelINS0_14default_configENS1_25partition_config_selectorILNS1_17partition_subalgoE8ElNS0_10empty_typeEbEEZZNS1_14partition_implILS5_8ELb0ES3_jPlPS6_PKS6_NS0_5tupleIJS9_S6_EEENSD_IJSA_SA_EEENS0_18inequality_wrapperIZN2at6native12_GLOBAL__N_124unique_dim_cuda_templateIdEESt5tupleIJNSH_6TensorESM_SM_EERKSM_lbbbEUlllE0_EEPmJS6_EEE10hipError_tPvRmT3_T4_T5_T6_T7_T9_mT8_P12ihipStream_tbDpT10_ENKUlT_T0_E_clISt17integral_constantIbLb0EES1B_IbLb1EEEEDaS17_S18_EUlS17_E_NS1_11comp_targetILNS1_3genE0ELNS1_11target_archE4294967295ELNS1_3gpuE0ELNS1_3repE0EEENS1_30default_config_static_selectorELNS0_4arch9wavefront6targetE0EEEvT1_
                                        ; -- End function
	.set _ZN7rocprim17ROCPRIM_400000_NS6detail17trampoline_kernelINS0_14default_configENS1_25partition_config_selectorILNS1_17partition_subalgoE8ElNS0_10empty_typeEbEEZZNS1_14partition_implILS5_8ELb0ES3_jPlPS6_PKS6_NS0_5tupleIJS9_S6_EEENSD_IJSA_SA_EEENS0_18inequality_wrapperIZN2at6native12_GLOBAL__N_124unique_dim_cuda_templateIdEESt5tupleIJNSH_6TensorESM_SM_EERKSM_lbbbEUlllE0_EEPmJS6_EEE10hipError_tPvRmT3_T4_T5_T6_T7_T9_mT8_P12ihipStream_tbDpT10_ENKUlT_T0_E_clISt17integral_constantIbLb0EES1B_IbLb1EEEEDaS17_S18_EUlS17_E_NS1_11comp_targetILNS1_3genE0ELNS1_11target_archE4294967295ELNS1_3gpuE0ELNS1_3repE0EEENS1_30default_config_static_selectorELNS0_4arch9wavefront6targetE0EEEvT1_.num_vgpr, 53
	.set _ZN7rocprim17ROCPRIM_400000_NS6detail17trampoline_kernelINS0_14default_configENS1_25partition_config_selectorILNS1_17partition_subalgoE8ElNS0_10empty_typeEbEEZZNS1_14partition_implILS5_8ELb0ES3_jPlPS6_PKS6_NS0_5tupleIJS9_S6_EEENSD_IJSA_SA_EEENS0_18inequality_wrapperIZN2at6native12_GLOBAL__N_124unique_dim_cuda_templateIdEESt5tupleIJNSH_6TensorESM_SM_EERKSM_lbbbEUlllE0_EEPmJS6_EEE10hipError_tPvRmT3_T4_T5_T6_T7_T9_mT8_P12ihipStream_tbDpT10_ENKUlT_T0_E_clISt17integral_constantIbLb0EES1B_IbLb1EEEEDaS17_S18_EUlS17_E_NS1_11comp_targetILNS1_3genE0ELNS1_11target_archE4294967295ELNS1_3gpuE0ELNS1_3repE0EEENS1_30default_config_static_selectorELNS0_4arch9wavefront6targetE0EEEvT1_.num_agpr, 0
	.set _ZN7rocprim17ROCPRIM_400000_NS6detail17trampoline_kernelINS0_14default_configENS1_25partition_config_selectorILNS1_17partition_subalgoE8ElNS0_10empty_typeEbEEZZNS1_14partition_implILS5_8ELb0ES3_jPlPS6_PKS6_NS0_5tupleIJS9_S6_EEENSD_IJSA_SA_EEENS0_18inequality_wrapperIZN2at6native12_GLOBAL__N_124unique_dim_cuda_templateIdEESt5tupleIJNSH_6TensorESM_SM_EERKSM_lbbbEUlllE0_EEPmJS6_EEE10hipError_tPvRmT3_T4_T5_T6_T7_T9_mT8_P12ihipStream_tbDpT10_ENKUlT_T0_E_clISt17integral_constantIbLb0EES1B_IbLb1EEEEDaS17_S18_EUlS17_E_NS1_11comp_targetILNS1_3genE0ELNS1_11target_archE4294967295ELNS1_3gpuE0ELNS1_3repE0EEENS1_30default_config_static_selectorELNS0_4arch9wavefront6targetE0EEEvT1_.numbered_sgpr, 36
	.set _ZN7rocprim17ROCPRIM_400000_NS6detail17trampoline_kernelINS0_14default_configENS1_25partition_config_selectorILNS1_17partition_subalgoE8ElNS0_10empty_typeEbEEZZNS1_14partition_implILS5_8ELb0ES3_jPlPS6_PKS6_NS0_5tupleIJS9_S6_EEENSD_IJSA_SA_EEENS0_18inequality_wrapperIZN2at6native12_GLOBAL__N_124unique_dim_cuda_templateIdEESt5tupleIJNSH_6TensorESM_SM_EERKSM_lbbbEUlllE0_EEPmJS6_EEE10hipError_tPvRmT3_T4_T5_T6_T7_T9_mT8_P12ihipStream_tbDpT10_ENKUlT_T0_E_clISt17integral_constantIbLb0EES1B_IbLb1EEEEDaS17_S18_EUlS17_E_NS1_11comp_targetILNS1_3genE0ELNS1_11target_archE4294967295ELNS1_3gpuE0ELNS1_3repE0EEENS1_30default_config_static_selectorELNS0_4arch9wavefront6targetE0EEEvT1_.num_named_barrier, 0
	.set _ZN7rocprim17ROCPRIM_400000_NS6detail17trampoline_kernelINS0_14default_configENS1_25partition_config_selectorILNS1_17partition_subalgoE8ElNS0_10empty_typeEbEEZZNS1_14partition_implILS5_8ELb0ES3_jPlPS6_PKS6_NS0_5tupleIJS9_S6_EEENSD_IJSA_SA_EEENS0_18inequality_wrapperIZN2at6native12_GLOBAL__N_124unique_dim_cuda_templateIdEESt5tupleIJNSH_6TensorESM_SM_EERKSM_lbbbEUlllE0_EEPmJS6_EEE10hipError_tPvRmT3_T4_T5_T6_T7_T9_mT8_P12ihipStream_tbDpT10_ENKUlT_T0_E_clISt17integral_constantIbLb0EES1B_IbLb1EEEEDaS17_S18_EUlS17_E_NS1_11comp_targetILNS1_3genE0ELNS1_11target_archE4294967295ELNS1_3gpuE0ELNS1_3repE0EEENS1_30default_config_static_selectorELNS0_4arch9wavefront6targetE0EEEvT1_.private_seg_size, 0
	.set _ZN7rocprim17ROCPRIM_400000_NS6detail17trampoline_kernelINS0_14default_configENS1_25partition_config_selectorILNS1_17partition_subalgoE8ElNS0_10empty_typeEbEEZZNS1_14partition_implILS5_8ELb0ES3_jPlPS6_PKS6_NS0_5tupleIJS9_S6_EEENSD_IJSA_SA_EEENS0_18inequality_wrapperIZN2at6native12_GLOBAL__N_124unique_dim_cuda_templateIdEESt5tupleIJNSH_6TensorESM_SM_EERKSM_lbbbEUlllE0_EEPmJS6_EEE10hipError_tPvRmT3_T4_T5_T6_T7_T9_mT8_P12ihipStream_tbDpT10_ENKUlT_T0_E_clISt17integral_constantIbLb0EES1B_IbLb1EEEEDaS17_S18_EUlS17_E_NS1_11comp_targetILNS1_3genE0ELNS1_11target_archE4294967295ELNS1_3gpuE0ELNS1_3repE0EEENS1_30default_config_static_selectorELNS0_4arch9wavefront6targetE0EEEvT1_.uses_vcc, 1
	.set _ZN7rocprim17ROCPRIM_400000_NS6detail17trampoline_kernelINS0_14default_configENS1_25partition_config_selectorILNS1_17partition_subalgoE8ElNS0_10empty_typeEbEEZZNS1_14partition_implILS5_8ELb0ES3_jPlPS6_PKS6_NS0_5tupleIJS9_S6_EEENSD_IJSA_SA_EEENS0_18inequality_wrapperIZN2at6native12_GLOBAL__N_124unique_dim_cuda_templateIdEESt5tupleIJNSH_6TensorESM_SM_EERKSM_lbbbEUlllE0_EEPmJS6_EEE10hipError_tPvRmT3_T4_T5_T6_T7_T9_mT8_P12ihipStream_tbDpT10_ENKUlT_T0_E_clISt17integral_constantIbLb0EES1B_IbLb1EEEEDaS17_S18_EUlS17_E_NS1_11comp_targetILNS1_3genE0ELNS1_11target_archE4294967295ELNS1_3gpuE0ELNS1_3repE0EEENS1_30default_config_static_selectorELNS0_4arch9wavefront6targetE0EEEvT1_.uses_flat_scratch, 0
	.set _ZN7rocprim17ROCPRIM_400000_NS6detail17trampoline_kernelINS0_14default_configENS1_25partition_config_selectorILNS1_17partition_subalgoE8ElNS0_10empty_typeEbEEZZNS1_14partition_implILS5_8ELb0ES3_jPlPS6_PKS6_NS0_5tupleIJS9_S6_EEENSD_IJSA_SA_EEENS0_18inequality_wrapperIZN2at6native12_GLOBAL__N_124unique_dim_cuda_templateIdEESt5tupleIJNSH_6TensorESM_SM_EERKSM_lbbbEUlllE0_EEPmJS6_EEE10hipError_tPvRmT3_T4_T5_T6_T7_T9_mT8_P12ihipStream_tbDpT10_ENKUlT_T0_E_clISt17integral_constantIbLb0EES1B_IbLb1EEEEDaS17_S18_EUlS17_E_NS1_11comp_targetILNS1_3genE0ELNS1_11target_archE4294967295ELNS1_3gpuE0ELNS1_3repE0EEENS1_30default_config_static_selectorELNS0_4arch9wavefront6targetE0EEEvT1_.has_dyn_sized_stack, 0
	.set _ZN7rocprim17ROCPRIM_400000_NS6detail17trampoline_kernelINS0_14default_configENS1_25partition_config_selectorILNS1_17partition_subalgoE8ElNS0_10empty_typeEbEEZZNS1_14partition_implILS5_8ELb0ES3_jPlPS6_PKS6_NS0_5tupleIJS9_S6_EEENSD_IJSA_SA_EEENS0_18inequality_wrapperIZN2at6native12_GLOBAL__N_124unique_dim_cuda_templateIdEESt5tupleIJNSH_6TensorESM_SM_EERKSM_lbbbEUlllE0_EEPmJS6_EEE10hipError_tPvRmT3_T4_T5_T6_T7_T9_mT8_P12ihipStream_tbDpT10_ENKUlT_T0_E_clISt17integral_constantIbLb0EES1B_IbLb1EEEEDaS17_S18_EUlS17_E_NS1_11comp_targetILNS1_3genE0ELNS1_11target_archE4294967295ELNS1_3gpuE0ELNS1_3repE0EEENS1_30default_config_static_selectorELNS0_4arch9wavefront6targetE0EEEvT1_.has_recursion, 0
	.set _ZN7rocprim17ROCPRIM_400000_NS6detail17trampoline_kernelINS0_14default_configENS1_25partition_config_selectorILNS1_17partition_subalgoE8ElNS0_10empty_typeEbEEZZNS1_14partition_implILS5_8ELb0ES3_jPlPS6_PKS6_NS0_5tupleIJS9_S6_EEENSD_IJSA_SA_EEENS0_18inequality_wrapperIZN2at6native12_GLOBAL__N_124unique_dim_cuda_templateIdEESt5tupleIJNSH_6TensorESM_SM_EERKSM_lbbbEUlllE0_EEPmJS6_EEE10hipError_tPvRmT3_T4_T5_T6_T7_T9_mT8_P12ihipStream_tbDpT10_ENKUlT_T0_E_clISt17integral_constantIbLb0EES1B_IbLb1EEEEDaS17_S18_EUlS17_E_NS1_11comp_targetILNS1_3genE0ELNS1_11target_archE4294967295ELNS1_3gpuE0ELNS1_3repE0EEENS1_30default_config_static_selectorELNS0_4arch9wavefront6targetE0EEEvT1_.has_indirect_call, 0
	.section	.AMDGPU.csdata,"",@progbits
; Kernel info:
; codeLenInByte = 10596
; TotalNumSgprs: 38
; NumVgprs: 53
; ScratchSize: 0
; MemoryBound: 0
; FloatMode: 240
; IeeeMode: 1
; LDSByteSize: 28680 bytes/workgroup (compile time only)
; SGPRBlocks: 0
; VGPRBlocks: 3
; NumSGPRsForWavesPerEU: 38
; NumVGPRsForWavesPerEU: 53
; NamedBarCnt: 0
; Occupancy: 16
; WaveLimiterHint : 1
; COMPUTE_PGM_RSRC2:SCRATCH_EN: 0
; COMPUTE_PGM_RSRC2:USER_SGPR: 2
; COMPUTE_PGM_RSRC2:TRAP_HANDLER: 0
; COMPUTE_PGM_RSRC2:TGID_X_EN: 1
; COMPUTE_PGM_RSRC2:TGID_Y_EN: 0
; COMPUTE_PGM_RSRC2:TGID_Z_EN: 0
; COMPUTE_PGM_RSRC2:TIDIG_COMP_CNT: 0
	.section	.text._ZN7rocprim17ROCPRIM_400000_NS6detail17trampoline_kernelINS0_14default_configENS1_25partition_config_selectorILNS1_17partition_subalgoE8ElNS0_10empty_typeEbEEZZNS1_14partition_implILS5_8ELb0ES3_jPlPS6_PKS6_NS0_5tupleIJS9_S6_EEENSD_IJSA_SA_EEENS0_18inequality_wrapperIZN2at6native12_GLOBAL__N_124unique_dim_cuda_templateIdEESt5tupleIJNSH_6TensorESM_SM_EERKSM_lbbbEUlllE0_EEPmJS6_EEE10hipError_tPvRmT3_T4_T5_T6_T7_T9_mT8_P12ihipStream_tbDpT10_ENKUlT_T0_E_clISt17integral_constantIbLb0EES1B_IbLb1EEEEDaS17_S18_EUlS17_E_NS1_11comp_targetILNS1_3genE5ELNS1_11target_archE942ELNS1_3gpuE9ELNS1_3repE0EEENS1_30default_config_static_selectorELNS0_4arch9wavefront6targetE0EEEvT1_,"axG",@progbits,_ZN7rocprim17ROCPRIM_400000_NS6detail17trampoline_kernelINS0_14default_configENS1_25partition_config_selectorILNS1_17partition_subalgoE8ElNS0_10empty_typeEbEEZZNS1_14partition_implILS5_8ELb0ES3_jPlPS6_PKS6_NS0_5tupleIJS9_S6_EEENSD_IJSA_SA_EEENS0_18inequality_wrapperIZN2at6native12_GLOBAL__N_124unique_dim_cuda_templateIdEESt5tupleIJNSH_6TensorESM_SM_EERKSM_lbbbEUlllE0_EEPmJS6_EEE10hipError_tPvRmT3_T4_T5_T6_T7_T9_mT8_P12ihipStream_tbDpT10_ENKUlT_T0_E_clISt17integral_constantIbLb0EES1B_IbLb1EEEEDaS17_S18_EUlS17_E_NS1_11comp_targetILNS1_3genE5ELNS1_11target_archE942ELNS1_3gpuE9ELNS1_3repE0EEENS1_30default_config_static_selectorELNS0_4arch9wavefront6targetE0EEEvT1_,comdat
	.globl	_ZN7rocprim17ROCPRIM_400000_NS6detail17trampoline_kernelINS0_14default_configENS1_25partition_config_selectorILNS1_17partition_subalgoE8ElNS0_10empty_typeEbEEZZNS1_14partition_implILS5_8ELb0ES3_jPlPS6_PKS6_NS0_5tupleIJS9_S6_EEENSD_IJSA_SA_EEENS0_18inequality_wrapperIZN2at6native12_GLOBAL__N_124unique_dim_cuda_templateIdEESt5tupleIJNSH_6TensorESM_SM_EERKSM_lbbbEUlllE0_EEPmJS6_EEE10hipError_tPvRmT3_T4_T5_T6_T7_T9_mT8_P12ihipStream_tbDpT10_ENKUlT_T0_E_clISt17integral_constantIbLb0EES1B_IbLb1EEEEDaS17_S18_EUlS17_E_NS1_11comp_targetILNS1_3genE5ELNS1_11target_archE942ELNS1_3gpuE9ELNS1_3repE0EEENS1_30default_config_static_selectorELNS0_4arch9wavefront6targetE0EEEvT1_ ; -- Begin function _ZN7rocprim17ROCPRIM_400000_NS6detail17trampoline_kernelINS0_14default_configENS1_25partition_config_selectorILNS1_17partition_subalgoE8ElNS0_10empty_typeEbEEZZNS1_14partition_implILS5_8ELb0ES3_jPlPS6_PKS6_NS0_5tupleIJS9_S6_EEENSD_IJSA_SA_EEENS0_18inequality_wrapperIZN2at6native12_GLOBAL__N_124unique_dim_cuda_templateIdEESt5tupleIJNSH_6TensorESM_SM_EERKSM_lbbbEUlllE0_EEPmJS6_EEE10hipError_tPvRmT3_T4_T5_T6_T7_T9_mT8_P12ihipStream_tbDpT10_ENKUlT_T0_E_clISt17integral_constantIbLb0EES1B_IbLb1EEEEDaS17_S18_EUlS17_E_NS1_11comp_targetILNS1_3genE5ELNS1_11target_archE942ELNS1_3gpuE9ELNS1_3repE0EEENS1_30default_config_static_selectorELNS0_4arch9wavefront6targetE0EEEvT1_
	.p2align	8
	.type	_ZN7rocprim17ROCPRIM_400000_NS6detail17trampoline_kernelINS0_14default_configENS1_25partition_config_selectorILNS1_17partition_subalgoE8ElNS0_10empty_typeEbEEZZNS1_14partition_implILS5_8ELb0ES3_jPlPS6_PKS6_NS0_5tupleIJS9_S6_EEENSD_IJSA_SA_EEENS0_18inequality_wrapperIZN2at6native12_GLOBAL__N_124unique_dim_cuda_templateIdEESt5tupleIJNSH_6TensorESM_SM_EERKSM_lbbbEUlllE0_EEPmJS6_EEE10hipError_tPvRmT3_T4_T5_T6_T7_T9_mT8_P12ihipStream_tbDpT10_ENKUlT_T0_E_clISt17integral_constantIbLb0EES1B_IbLb1EEEEDaS17_S18_EUlS17_E_NS1_11comp_targetILNS1_3genE5ELNS1_11target_archE942ELNS1_3gpuE9ELNS1_3repE0EEENS1_30default_config_static_selectorELNS0_4arch9wavefront6targetE0EEEvT1_,@function
_ZN7rocprim17ROCPRIM_400000_NS6detail17trampoline_kernelINS0_14default_configENS1_25partition_config_selectorILNS1_17partition_subalgoE8ElNS0_10empty_typeEbEEZZNS1_14partition_implILS5_8ELb0ES3_jPlPS6_PKS6_NS0_5tupleIJS9_S6_EEENSD_IJSA_SA_EEENS0_18inequality_wrapperIZN2at6native12_GLOBAL__N_124unique_dim_cuda_templateIdEESt5tupleIJNSH_6TensorESM_SM_EERKSM_lbbbEUlllE0_EEPmJS6_EEE10hipError_tPvRmT3_T4_T5_T6_T7_T9_mT8_P12ihipStream_tbDpT10_ENKUlT_T0_E_clISt17integral_constantIbLb0EES1B_IbLb1EEEEDaS17_S18_EUlS17_E_NS1_11comp_targetILNS1_3genE5ELNS1_11target_archE942ELNS1_3gpuE9ELNS1_3repE0EEENS1_30default_config_static_selectorELNS0_4arch9wavefront6targetE0EEEvT1_: ; @_ZN7rocprim17ROCPRIM_400000_NS6detail17trampoline_kernelINS0_14default_configENS1_25partition_config_selectorILNS1_17partition_subalgoE8ElNS0_10empty_typeEbEEZZNS1_14partition_implILS5_8ELb0ES3_jPlPS6_PKS6_NS0_5tupleIJS9_S6_EEENSD_IJSA_SA_EEENS0_18inequality_wrapperIZN2at6native12_GLOBAL__N_124unique_dim_cuda_templateIdEESt5tupleIJNSH_6TensorESM_SM_EERKSM_lbbbEUlllE0_EEPmJS6_EEE10hipError_tPvRmT3_T4_T5_T6_T7_T9_mT8_P12ihipStream_tbDpT10_ENKUlT_T0_E_clISt17integral_constantIbLb0EES1B_IbLb1EEEEDaS17_S18_EUlS17_E_NS1_11comp_targetILNS1_3genE5ELNS1_11target_archE942ELNS1_3gpuE9ELNS1_3repE0EEENS1_30default_config_static_selectorELNS0_4arch9wavefront6targetE0EEEvT1_
; %bb.0:
	.section	.rodata,"a",@progbits
	.p2align	6, 0x0
	.amdhsa_kernel _ZN7rocprim17ROCPRIM_400000_NS6detail17trampoline_kernelINS0_14default_configENS1_25partition_config_selectorILNS1_17partition_subalgoE8ElNS0_10empty_typeEbEEZZNS1_14partition_implILS5_8ELb0ES3_jPlPS6_PKS6_NS0_5tupleIJS9_S6_EEENSD_IJSA_SA_EEENS0_18inequality_wrapperIZN2at6native12_GLOBAL__N_124unique_dim_cuda_templateIdEESt5tupleIJNSH_6TensorESM_SM_EERKSM_lbbbEUlllE0_EEPmJS6_EEE10hipError_tPvRmT3_T4_T5_T6_T7_T9_mT8_P12ihipStream_tbDpT10_ENKUlT_T0_E_clISt17integral_constantIbLb0EES1B_IbLb1EEEEDaS17_S18_EUlS17_E_NS1_11comp_targetILNS1_3genE5ELNS1_11target_archE942ELNS1_3gpuE9ELNS1_3repE0EEENS1_30default_config_static_selectorELNS0_4arch9wavefront6targetE0EEEvT1_
		.amdhsa_group_segment_fixed_size 0
		.amdhsa_private_segment_fixed_size 0
		.amdhsa_kernarg_size 136
		.amdhsa_user_sgpr_count 2
		.amdhsa_user_sgpr_dispatch_ptr 0
		.amdhsa_user_sgpr_queue_ptr 0
		.amdhsa_user_sgpr_kernarg_segment_ptr 1
		.amdhsa_user_sgpr_dispatch_id 0
		.amdhsa_user_sgpr_kernarg_preload_length 0
		.amdhsa_user_sgpr_kernarg_preload_offset 0
		.amdhsa_user_sgpr_private_segment_size 0
		.amdhsa_wavefront_size32 1
		.amdhsa_uses_dynamic_stack 0
		.amdhsa_enable_private_segment 0
		.amdhsa_system_sgpr_workgroup_id_x 1
		.amdhsa_system_sgpr_workgroup_id_y 0
		.amdhsa_system_sgpr_workgroup_id_z 0
		.amdhsa_system_sgpr_workgroup_info 0
		.amdhsa_system_vgpr_workitem_id 0
		.amdhsa_next_free_vgpr 1
		.amdhsa_next_free_sgpr 1
		.amdhsa_named_barrier_count 0
		.amdhsa_reserve_vcc 0
		.amdhsa_float_round_mode_32 0
		.amdhsa_float_round_mode_16_64 0
		.amdhsa_float_denorm_mode_32 3
		.amdhsa_float_denorm_mode_16_64 3
		.amdhsa_fp16_overflow 0
		.amdhsa_memory_ordered 1
		.amdhsa_forward_progress 1
		.amdhsa_inst_pref_size 0
		.amdhsa_round_robin_scheduling 0
		.amdhsa_exception_fp_ieee_invalid_op 0
		.amdhsa_exception_fp_denorm_src 0
		.amdhsa_exception_fp_ieee_div_zero 0
		.amdhsa_exception_fp_ieee_overflow 0
		.amdhsa_exception_fp_ieee_underflow 0
		.amdhsa_exception_fp_ieee_inexact 0
		.amdhsa_exception_int_div_zero 0
	.end_amdhsa_kernel
	.section	.text._ZN7rocprim17ROCPRIM_400000_NS6detail17trampoline_kernelINS0_14default_configENS1_25partition_config_selectorILNS1_17partition_subalgoE8ElNS0_10empty_typeEbEEZZNS1_14partition_implILS5_8ELb0ES3_jPlPS6_PKS6_NS0_5tupleIJS9_S6_EEENSD_IJSA_SA_EEENS0_18inequality_wrapperIZN2at6native12_GLOBAL__N_124unique_dim_cuda_templateIdEESt5tupleIJNSH_6TensorESM_SM_EERKSM_lbbbEUlllE0_EEPmJS6_EEE10hipError_tPvRmT3_T4_T5_T6_T7_T9_mT8_P12ihipStream_tbDpT10_ENKUlT_T0_E_clISt17integral_constantIbLb0EES1B_IbLb1EEEEDaS17_S18_EUlS17_E_NS1_11comp_targetILNS1_3genE5ELNS1_11target_archE942ELNS1_3gpuE9ELNS1_3repE0EEENS1_30default_config_static_selectorELNS0_4arch9wavefront6targetE0EEEvT1_,"axG",@progbits,_ZN7rocprim17ROCPRIM_400000_NS6detail17trampoline_kernelINS0_14default_configENS1_25partition_config_selectorILNS1_17partition_subalgoE8ElNS0_10empty_typeEbEEZZNS1_14partition_implILS5_8ELb0ES3_jPlPS6_PKS6_NS0_5tupleIJS9_S6_EEENSD_IJSA_SA_EEENS0_18inequality_wrapperIZN2at6native12_GLOBAL__N_124unique_dim_cuda_templateIdEESt5tupleIJNSH_6TensorESM_SM_EERKSM_lbbbEUlllE0_EEPmJS6_EEE10hipError_tPvRmT3_T4_T5_T6_T7_T9_mT8_P12ihipStream_tbDpT10_ENKUlT_T0_E_clISt17integral_constantIbLb0EES1B_IbLb1EEEEDaS17_S18_EUlS17_E_NS1_11comp_targetILNS1_3genE5ELNS1_11target_archE942ELNS1_3gpuE9ELNS1_3repE0EEENS1_30default_config_static_selectorELNS0_4arch9wavefront6targetE0EEEvT1_,comdat
.Lfunc_end832:
	.size	_ZN7rocprim17ROCPRIM_400000_NS6detail17trampoline_kernelINS0_14default_configENS1_25partition_config_selectorILNS1_17partition_subalgoE8ElNS0_10empty_typeEbEEZZNS1_14partition_implILS5_8ELb0ES3_jPlPS6_PKS6_NS0_5tupleIJS9_S6_EEENSD_IJSA_SA_EEENS0_18inequality_wrapperIZN2at6native12_GLOBAL__N_124unique_dim_cuda_templateIdEESt5tupleIJNSH_6TensorESM_SM_EERKSM_lbbbEUlllE0_EEPmJS6_EEE10hipError_tPvRmT3_T4_T5_T6_T7_T9_mT8_P12ihipStream_tbDpT10_ENKUlT_T0_E_clISt17integral_constantIbLb0EES1B_IbLb1EEEEDaS17_S18_EUlS17_E_NS1_11comp_targetILNS1_3genE5ELNS1_11target_archE942ELNS1_3gpuE9ELNS1_3repE0EEENS1_30default_config_static_selectorELNS0_4arch9wavefront6targetE0EEEvT1_, .Lfunc_end832-_ZN7rocprim17ROCPRIM_400000_NS6detail17trampoline_kernelINS0_14default_configENS1_25partition_config_selectorILNS1_17partition_subalgoE8ElNS0_10empty_typeEbEEZZNS1_14partition_implILS5_8ELb0ES3_jPlPS6_PKS6_NS0_5tupleIJS9_S6_EEENSD_IJSA_SA_EEENS0_18inequality_wrapperIZN2at6native12_GLOBAL__N_124unique_dim_cuda_templateIdEESt5tupleIJNSH_6TensorESM_SM_EERKSM_lbbbEUlllE0_EEPmJS6_EEE10hipError_tPvRmT3_T4_T5_T6_T7_T9_mT8_P12ihipStream_tbDpT10_ENKUlT_T0_E_clISt17integral_constantIbLb0EES1B_IbLb1EEEEDaS17_S18_EUlS17_E_NS1_11comp_targetILNS1_3genE5ELNS1_11target_archE942ELNS1_3gpuE9ELNS1_3repE0EEENS1_30default_config_static_selectorELNS0_4arch9wavefront6targetE0EEEvT1_
                                        ; -- End function
	.set _ZN7rocprim17ROCPRIM_400000_NS6detail17trampoline_kernelINS0_14default_configENS1_25partition_config_selectorILNS1_17partition_subalgoE8ElNS0_10empty_typeEbEEZZNS1_14partition_implILS5_8ELb0ES3_jPlPS6_PKS6_NS0_5tupleIJS9_S6_EEENSD_IJSA_SA_EEENS0_18inequality_wrapperIZN2at6native12_GLOBAL__N_124unique_dim_cuda_templateIdEESt5tupleIJNSH_6TensorESM_SM_EERKSM_lbbbEUlllE0_EEPmJS6_EEE10hipError_tPvRmT3_T4_T5_T6_T7_T9_mT8_P12ihipStream_tbDpT10_ENKUlT_T0_E_clISt17integral_constantIbLb0EES1B_IbLb1EEEEDaS17_S18_EUlS17_E_NS1_11comp_targetILNS1_3genE5ELNS1_11target_archE942ELNS1_3gpuE9ELNS1_3repE0EEENS1_30default_config_static_selectorELNS0_4arch9wavefront6targetE0EEEvT1_.num_vgpr, 0
	.set _ZN7rocprim17ROCPRIM_400000_NS6detail17trampoline_kernelINS0_14default_configENS1_25partition_config_selectorILNS1_17partition_subalgoE8ElNS0_10empty_typeEbEEZZNS1_14partition_implILS5_8ELb0ES3_jPlPS6_PKS6_NS0_5tupleIJS9_S6_EEENSD_IJSA_SA_EEENS0_18inequality_wrapperIZN2at6native12_GLOBAL__N_124unique_dim_cuda_templateIdEESt5tupleIJNSH_6TensorESM_SM_EERKSM_lbbbEUlllE0_EEPmJS6_EEE10hipError_tPvRmT3_T4_T5_T6_T7_T9_mT8_P12ihipStream_tbDpT10_ENKUlT_T0_E_clISt17integral_constantIbLb0EES1B_IbLb1EEEEDaS17_S18_EUlS17_E_NS1_11comp_targetILNS1_3genE5ELNS1_11target_archE942ELNS1_3gpuE9ELNS1_3repE0EEENS1_30default_config_static_selectorELNS0_4arch9wavefront6targetE0EEEvT1_.num_agpr, 0
	.set _ZN7rocprim17ROCPRIM_400000_NS6detail17trampoline_kernelINS0_14default_configENS1_25partition_config_selectorILNS1_17partition_subalgoE8ElNS0_10empty_typeEbEEZZNS1_14partition_implILS5_8ELb0ES3_jPlPS6_PKS6_NS0_5tupleIJS9_S6_EEENSD_IJSA_SA_EEENS0_18inequality_wrapperIZN2at6native12_GLOBAL__N_124unique_dim_cuda_templateIdEESt5tupleIJNSH_6TensorESM_SM_EERKSM_lbbbEUlllE0_EEPmJS6_EEE10hipError_tPvRmT3_T4_T5_T6_T7_T9_mT8_P12ihipStream_tbDpT10_ENKUlT_T0_E_clISt17integral_constantIbLb0EES1B_IbLb1EEEEDaS17_S18_EUlS17_E_NS1_11comp_targetILNS1_3genE5ELNS1_11target_archE942ELNS1_3gpuE9ELNS1_3repE0EEENS1_30default_config_static_selectorELNS0_4arch9wavefront6targetE0EEEvT1_.numbered_sgpr, 0
	.set _ZN7rocprim17ROCPRIM_400000_NS6detail17trampoline_kernelINS0_14default_configENS1_25partition_config_selectorILNS1_17partition_subalgoE8ElNS0_10empty_typeEbEEZZNS1_14partition_implILS5_8ELb0ES3_jPlPS6_PKS6_NS0_5tupleIJS9_S6_EEENSD_IJSA_SA_EEENS0_18inequality_wrapperIZN2at6native12_GLOBAL__N_124unique_dim_cuda_templateIdEESt5tupleIJNSH_6TensorESM_SM_EERKSM_lbbbEUlllE0_EEPmJS6_EEE10hipError_tPvRmT3_T4_T5_T6_T7_T9_mT8_P12ihipStream_tbDpT10_ENKUlT_T0_E_clISt17integral_constantIbLb0EES1B_IbLb1EEEEDaS17_S18_EUlS17_E_NS1_11comp_targetILNS1_3genE5ELNS1_11target_archE942ELNS1_3gpuE9ELNS1_3repE0EEENS1_30default_config_static_selectorELNS0_4arch9wavefront6targetE0EEEvT1_.num_named_barrier, 0
	.set _ZN7rocprim17ROCPRIM_400000_NS6detail17trampoline_kernelINS0_14default_configENS1_25partition_config_selectorILNS1_17partition_subalgoE8ElNS0_10empty_typeEbEEZZNS1_14partition_implILS5_8ELb0ES3_jPlPS6_PKS6_NS0_5tupleIJS9_S6_EEENSD_IJSA_SA_EEENS0_18inequality_wrapperIZN2at6native12_GLOBAL__N_124unique_dim_cuda_templateIdEESt5tupleIJNSH_6TensorESM_SM_EERKSM_lbbbEUlllE0_EEPmJS6_EEE10hipError_tPvRmT3_T4_T5_T6_T7_T9_mT8_P12ihipStream_tbDpT10_ENKUlT_T0_E_clISt17integral_constantIbLb0EES1B_IbLb1EEEEDaS17_S18_EUlS17_E_NS1_11comp_targetILNS1_3genE5ELNS1_11target_archE942ELNS1_3gpuE9ELNS1_3repE0EEENS1_30default_config_static_selectorELNS0_4arch9wavefront6targetE0EEEvT1_.private_seg_size, 0
	.set _ZN7rocprim17ROCPRIM_400000_NS6detail17trampoline_kernelINS0_14default_configENS1_25partition_config_selectorILNS1_17partition_subalgoE8ElNS0_10empty_typeEbEEZZNS1_14partition_implILS5_8ELb0ES3_jPlPS6_PKS6_NS0_5tupleIJS9_S6_EEENSD_IJSA_SA_EEENS0_18inequality_wrapperIZN2at6native12_GLOBAL__N_124unique_dim_cuda_templateIdEESt5tupleIJNSH_6TensorESM_SM_EERKSM_lbbbEUlllE0_EEPmJS6_EEE10hipError_tPvRmT3_T4_T5_T6_T7_T9_mT8_P12ihipStream_tbDpT10_ENKUlT_T0_E_clISt17integral_constantIbLb0EES1B_IbLb1EEEEDaS17_S18_EUlS17_E_NS1_11comp_targetILNS1_3genE5ELNS1_11target_archE942ELNS1_3gpuE9ELNS1_3repE0EEENS1_30default_config_static_selectorELNS0_4arch9wavefront6targetE0EEEvT1_.uses_vcc, 0
	.set _ZN7rocprim17ROCPRIM_400000_NS6detail17trampoline_kernelINS0_14default_configENS1_25partition_config_selectorILNS1_17partition_subalgoE8ElNS0_10empty_typeEbEEZZNS1_14partition_implILS5_8ELb0ES3_jPlPS6_PKS6_NS0_5tupleIJS9_S6_EEENSD_IJSA_SA_EEENS0_18inequality_wrapperIZN2at6native12_GLOBAL__N_124unique_dim_cuda_templateIdEESt5tupleIJNSH_6TensorESM_SM_EERKSM_lbbbEUlllE0_EEPmJS6_EEE10hipError_tPvRmT3_T4_T5_T6_T7_T9_mT8_P12ihipStream_tbDpT10_ENKUlT_T0_E_clISt17integral_constantIbLb0EES1B_IbLb1EEEEDaS17_S18_EUlS17_E_NS1_11comp_targetILNS1_3genE5ELNS1_11target_archE942ELNS1_3gpuE9ELNS1_3repE0EEENS1_30default_config_static_selectorELNS0_4arch9wavefront6targetE0EEEvT1_.uses_flat_scratch, 0
	.set _ZN7rocprim17ROCPRIM_400000_NS6detail17trampoline_kernelINS0_14default_configENS1_25partition_config_selectorILNS1_17partition_subalgoE8ElNS0_10empty_typeEbEEZZNS1_14partition_implILS5_8ELb0ES3_jPlPS6_PKS6_NS0_5tupleIJS9_S6_EEENSD_IJSA_SA_EEENS0_18inequality_wrapperIZN2at6native12_GLOBAL__N_124unique_dim_cuda_templateIdEESt5tupleIJNSH_6TensorESM_SM_EERKSM_lbbbEUlllE0_EEPmJS6_EEE10hipError_tPvRmT3_T4_T5_T6_T7_T9_mT8_P12ihipStream_tbDpT10_ENKUlT_T0_E_clISt17integral_constantIbLb0EES1B_IbLb1EEEEDaS17_S18_EUlS17_E_NS1_11comp_targetILNS1_3genE5ELNS1_11target_archE942ELNS1_3gpuE9ELNS1_3repE0EEENS1_30default_config_static_selectorELNS0_4arch9wavefront6targetE0EEEvT1_.has_dyn_sized_stack, 0
	.set _ZN7rocprim17ROCPRIM_400000_NS6detail17trampoline_kernelINS0_14default_configENS1_25partition_config_selectorILNS1_17partition_subalgoE8ElNS0_10empty_typeEbEEZZNS1_14partition_implILS5_8ELb0ES3_jPlPS6_PKS6_NS0_5tupleIJS9_S6_EEENSD_IJSA_SA_EEENS0_18inequality_wrapperIZN2at6native12_GLOBAL__N_124unique_dim_cuda_templateIdEESt5tupleIJNSH_6TensorESM_SM_EERKSM_lbbbEUlllE0_EEPmJS6_EEE10hipError_tPvRmT3_T4_T5_T6_T7_T9_mT8_P12ihipStream_tbDpT10_ENKUlT_T0_E_clISt17integral_constantIbLb0EES1B_IbLb1EEEEDaS17_S18_EUlS17_E_NS1_11comp_targetILNS1_3genE5ELNS1_11target_archE942ELNS1_3gpuE9ELNS1_3repE0EEENS1_30default_config_static_selectorELNS0_4arch9wavefront6targetE0EEEvT1_.has_recursion, 0
	.set _ZN7rocprim17ROCPRIM_400000_NS6detail17trampoline_kernelINS0_14default_configENS1_25partition_config_selectorILNS1_17partition_subalgoE8ElNS0_10empty_typeEbEEZZNS1_14partition_implILS5_8ELb0ES3_jPlPS6_PKS6_NS0_5tupleIJS9_S6_EEENSD_IJSA_SA_EEENS0_18inequality_wrapperIZN2at6native12_GLOBAL__N_124unique_dim_cuda_templateIdEESt5tupleIJNSH_6TensorESM_SM_EERKSM_lbbbEUlllE0_EEPmJS6_EEE10hipError_tPvRmT3_T4_T5_T6_T7_T9_mT8_P12ihipStream_tbDpT10_ENKUlT_T0_E_clISt17integral_constantIbLb0EES1B_IbLb1EEEEDaS17_S18_EUlS17_E_NS1_11comp_targetILNS1_3genE5ELNS1_11target_archE942ELNS1_3gpuE9ELNS1_3repE0EEENS1_30default_config_static_selectorELNS0_4arch9wavefront6targetE0EEEvT1_.has_indirect_call, 0
	.section	.AMDGPU.csdata,"",@progbits
; Kernel info:
; codeLenInByte = 0
; TotalNumSgprs: 0
; NumVgprs: 0
; ScratchSize: 0
; MemoryBound: 0
; FloatMode: 240
; IeeeMode: 1
; LDSByteSize: 0 bytes/workgroup (compile time only)
; SGPRBlocks: 0
; VGPRBlocks: 0
; NumSGPRsForWavesPerEU: 1
; NumVGPRsForWavesPerEU: 1
; NamedBarCnt: 0
; Occupancy: 16
; WaveLimiterHint : 0
; COMPUTE_PGM_RSRC2:SCRATCH_EN: 0
; COMPUTE_PGM_RSRC2:USER_SGPR: 2
; COMPUTE_PGM_RSRC2:TRAP_HANDLER: 0
; COMPUTE_PGM_RSRC2:TGID_X_EN: 1
; COMPUTE_PGM_RSRC2:TGID_Y_EN: 0
; COMPUTE_PGM_RSRC2:TGID_Z_EN: 0
; COMPUTE_PGM_RSRC2:TIDIG_COMP_CNT: 0
	.section	.text._ZN7rocprim17ROCPRIM_400000_NS6detail17trampoline_kernelINS0_14default_configENS1_25partition_config_selectorILNS1_17partition_subalgoE8ElNS0_10empty_typeEbEEZZNS1_14partition_implILS5_8ELb0ES3_jPlPS6_PKS6_NS0_5tupleIJS9_S6_EEENSD_IJSA_SA_EEENS0_18inequality_wrapperIZN2at6native12_GLOBAL__N_124unique_dim_cuda_templateIdEESt5tupleIJNSH_6TensorESM_SM_EERKSM_lbbbEUlllE0_EEPmJS6_EEE10hipError_tPvRmT3_T4_T5_T6_T7_T9_mT8_P12ihipStream_tbDpT10_ENKUlT_T0_E_clISt17integral_constantIbLb0EES1B_IbLb1EEEEDaS17_S18_EUlS17_E_NS1_11comp_targetILNS1_3genE4ELNS1_11target_archE910ELNS1_3gpuE8ELNS1_3repE0EEENS1_30default_config_static_selectorELNS0_4arch9wavefront6targetE0EEEvT1_,"axG",@progbits,_ZN7rocprim17ROCPRIM_400000_NS6detail17trampoline_kernelINS0_14default_configENS1_25partition_config_selectorILNS1_17partition_subalgoE8ElNS0_10empty_typeEbEEZZNS1_14partition_implILS5_8ELb0ES3_jPlPS6_PKS6_NS0_5tupleIJS9_S6_EEENSD_IJSA_SA_EEENS0_18inequality_wrapperIZN2at6native12_GLOBAL__N_124unique_dim_cuda_templateIdEESt5tupleIJNSH_6TensorESM_SM_EERKSM_lbbbEUlllE0_EEPmJS6_EEE10hipError_tPvRmT3_T4_T5_T6_T7_T9_mT8_P12ihipStream_tbDpT10_ENKUlT_T0_E_clISt17integral_constantIbLb0EES1B_IbLb1EEEEDaS17_S18_EUlS17_E_NS1_11comp_targetILNS1_3genE4ELNS1_11target_archE910ELNS1_3gpuE8ELNS1_3repE0EEENS1_30default_config_static_selectorELNS0_4arch9wavefront6targetE0EEEvT1_,comdat
	.globl	_ZN7rocprim17ROCPRIM_400000_NS6detail17trampoline_kernelINS0_14default_configENS1_25partition_config_selectorILNS1_17partition_subalgoE8ElNS0_10empty_typeEbEEZZNS1_14partition_implILS5_8ELb0ES3_jPlPS6_PKS6_NS0_5tupleIJS9_S6_EEENSD_IJSA_SA_EEENS0_18inequality_wrapperIZN2at6native12_GLOBAL__N_124unique_dim_cuda_templateIdEESt5tupleIJNSH_6TensorESM_SM_EERKSM_lbbbEUlllE0_EEPmJS6_EEE10hipError_tPvRmT3_T4_T5_T6_T7_T9_mT8_P12ihipStream_tbDpT10_ENKUlT_T0_E_clISt17integral_constantIbLb0EES1B_IbLb1EEEEDaS17_S18_EUlS17_E_NS1_11comp_targetILNS1_3genE4ELNS1_11target_archE910ELNS1_3gpuE8ELNS1_3repE0EEENS1_30default_config_static_selectorELNS0_4arch9wavefront6targetE0EEEvT1_ ; -- Begin function _ZN7rocprim17ROCPRIM_400000_NS6detail17trampoline_kernelINS0_14default_configENS1_25partition_config_selectorILNS1_17partition_subalgoE8ElNS0_10empty_typeEbEEZZNS1_14partition_implILS5_8ELb0ES3_jPlPS6_PKS6_NS0_5tupleIJS9_S6_EEENSD_IJSA_SA_EEENS0_18inequality_wrapperIZN2at6native12_GLOBAL__N_124unique_dim_cuda_templateIdEESt5tupleIJNSH_6TensorESM_SM_EERKSM_lbbbEUlllE0_EEPmJS6_EEE10hipError_tPvRmT3_T4_T5_T6_T7_T9_mT8_P12ihipStream_tbDpT10_ENKUlT_T0_E_clISt17integral_constantIbLb0EES1B_IbLb1EEEEDaS17_S18_EUlS17_E_NS1_11comp_targetILNS1_3genE4ELNS1_11target_archE910ELNS1_3gpuE8ELNS1_3repE0EEENS1_30default_config_static_selectorELNS0_4arch9wavefront6targetE0EEEvT1_
	.p2align	8
	.type	_ZN7rocprim17ROCPRIM_400000_NS6detail17trampoline_kernelINS0_14default_configENS1_25partition_config_selectorILNS1_17partition_subalgoE8ElNS0_10empty_typeEbEEZZNS1_14partition_implILS5_8ELb0ES3_jPlPS6_PKS6_NS0_5tupleIJS9_S6_EEENSD_IJSA_SA_EEENS0_18inequality_wrapperIZN2at6native12_GLOBAL__N_124unique_dim_cuda_templateIdEESt5tupleIJNSH_6TensorESM_SM_EERKSM_lbbbEUlllE0_EEPmJS6_EEE10hipError_tPvRmT3_T4_T5_T6_T7_T9_mT8_P12ihipStream_tbDpT10_ENKUlT_T0_E_clISt17integral_constantIbLb0EES1B_IbLb1EEEEDaS17_S18_EUlS17_E_NS1_11comp_targetILNS1_3genE4ELNS1_11target_archE910ELNS1_3gpuE8ELNS1_3repE0EEENS1_30default_config_static_selectorELNS0_4arch9wavefront6targetE0EEEvT1_,@function
_ZN7rocprim17ROCPRIM_400000_NS6detail17trampoline_kernelINS0_14default_configENS1_25partition_config_selectorILNS1_17partition_subalgoE8ElNS0_10empty_typeEbEEZZNS1_14partition_implILS5_8ELb0ES3_jPlPS6_PKS6_NS0_5tupleIJS9_S6_EEENSD_IJSA_SA_EEENS0_18inequality_wrapperIZN2at6native12_GLOBAL__N_124unique_dim_cuda_templateIdEESt5tupleIJNSH_6TensorESM_SM_EERKSM_lbbbEUlllE0_EEPmJS6_EEE10hipError_tPvRmT3_T4_T5_T6_T7_T9_mT8_P12ihipStream_tbDpT10_ENKUlT_T0_E_clISt17integral_constantIbLb0EES1B_IbLb1EEEEDaS17_S18_EUlS17_E_NS1_11comp_targetILNS1_3genE4ELNS1_11target_archE910ELNS1_3gpuE8ELNS1_3repE0EEENS1_30default_config_static_selectorELNS0_4arch9wavefront6targetE0EEEvT1_: ; @_ZN7rocprim17ROCPRIM_400000_NS6detail17trampoline_kernelINS0_14default_configENS1_25partition_config_selectorILNS1_17partition_subalgoE8ElNS0_10empty_typeEbEEZZNS1_14partition_implILS5_8ELb0ES3_jPlPS6_PKS6_NS0_5tupleIJS9_S6_EEENSD_IJSA_SA_EEENS0_18inequality_wrapperIZN2at6native12_GLOBAL__N_124unique_dim_cuda_templateIdEESt5tupleIJNSH_6TensorESM_SM_EERKSM_lbbbEUlllE0_EEPmJS6_EEE10hipError_tPvRmT3_T4_T5_T6_T7_T9_mT8_P12ihipStream_tbDpT10_ENKUlT_T0_E_clISt17integral_constantIbLb0EES1B_IbLb1EEEEDaS17_S18_EUlS17_E_NS1_11comp_targetILNS1_3genE4ELNS1_11target_archE910ELNS1_3gpuE8ELNS1_3repE0EEENS1_30default_config_static_selectorELNS0_4arch9wavefront6targetE0EEEvT1_
; %bb.0:
	.section	.rodata,"a",@progbits
	.p2align	6, 0x0
	.amdhsa_kernel _ZN7rocprim17ROCPRIM_400000_NS6detail17trampoline_kernelINS0_14default_configENS1_25partition_config_selectorILNS1_17partition_subalgoE8ElNS0_10empty_typeEbEEZZNS1_14partition_implILS5_8ELb0ES3_jPlPS6_PKS6_NS0_5tupleIJS9_S6_EEENSD_IJSA_SA_EEENS0_18inequality_wrapperIZN2at6native12_GLOBAL__N_124unique_dim_cuda_templateIdEESt5tupleIJNSH_6TensorESM_SM_EERKSM_lbbbEUlllE0_EEPmJS6_EEE10hipError_tPvRmT3_T4_T5_T6_T7_T9_mT8_P12ihipStream_tbDpT10_ENKUlT_T0_E_clISt17integral_constantIbLb0EES1B_IbLb1EEEEDaS17_S18_EUlS17_E_NS1_11comp_targetILNS1_3genE4ELNS1_11target_archE910ELNS1_3gpuE8ELNS1_3repE0EEENS1_30default_config_static_selectorELNS0_4arch9wavefront6targetE0EEEvT1_
		.amdhsa_group_segment_fixed_size 0
		.amdhsa_private_segment_fixed_size 0
		.amdhsa_kernarg_size 136
		.amdhsa_user_sgpr_count 2
		.amdhsa_user_sgpr_dispatch_ptr 0
		.amdhsa_user_sgpr_queue_ptr 0
		.amdhsa_user_sgpr_kernarg_segment_ptr 1
		.amdhsa_user_sgpr_dispatch_id 0
		.amdhsa_user_sgpr_kernarg_preload_length 0
		.amdhsa_user_sgpr_kernarg_preload_offset 0
		.amdhsa_user_sgpr_private_segment_size 0
		.amdhsa_wavefront_size32 1
		.amdhsa_uses_dynamic_stack 0
		.amdhsa_enable_private_segment 0
		.amdhsa_system_sgpr_workgroup_id_x 1
		.amdhsa_system_sgpr_workgroup_id_y 0
		.amdhsa_system_sgpr_workgroup_id_z 0
		.amdhsa_system_sgpr_workgroup_info 0
		.amdhsa_system_vgpr_workitem_id 0
		.amdhsa_next_free_vgpr 1
		.amdhsa_next_free_sgpr 1
		.amdhsa_named_barrier_count 0
		.amdhsa_reserve_vcc 0
		.amdhsa_float_round_mode_32 0
		.amdhsa_float_round_mode_16_64 0
		.amdhsa_float_denorm_mode_32 3
		.amdhsa_float_denorm_mode_16_64 3
		.amdhsa_fp16_overflow 0
		.amdhsa_memory_ordered 1
		.amdhsa_forward_progress 1
		.amdhsa_inst_pref_size 0
		.amdhsa_round_robin_scheduling 0
		.amdhsa_exception_fp_ieee_invalid_op 0
		.amdhsa_exception_fp_denorm_src 0
		.amdhsa_exception_fp_ieee_div_zero 0
		.amdhsa_exception_fp_ieee_overflow 0
		.amdhsa_exception_fp_ieee_underflow 0
		.amdhsa_exception_fp_ieee_inexact 0
		.amdhsa_exception_int_div_zero 0
	.end_amdhsa_kernel
	.section	.text._ZN7rocprim17ROCPRIM_400000_NS6detail17trampoline_kernelINS0_14default_configENS1_25partition_config_selectorILNS1_17partition_subalgoE8ElNS0_10empty_typeEbEEZZNS1_14partition_implILS5_8ELb0ES3_jPlPS6_PKS6_NS0_5tupleIJS9_S6_EEENSD_IJSA_SA_EEENS0_18inequality_wrapperIZN2at6native12_GLOBAL__N_124unique_dim_cuda_templateIdEESt5tupleIJNSH_6TensorESM_SM_EERKSM_lbbbEUlllE0_EEPmJS6_EEE10hipError_tPvRmT3_T4_T5_T6_T7_T9_mT8_P12ihipStream_tbDpT10_ENKUlT_T0_E_clISt17integral_constantIbLb0EES1B_IbLb1EEEEDaS17_S18_EUlS17_E_NS1_11comp_targetILNS1_3genE4ELNS1_11target_archE910ELNS1_3gpuE8ELNS1_3repE0EEENS1_30default_config_static_selectorELNS0_4arch9wavefront6targetE0EEEvT1_,"axG",@progbits,_ZN7rocprim17ROCPRIM_400000_NS6detail17trampoline_kernelINS0_14default_configENS1_25partition_config_selectorILNS1_17partition_subalgoE8ElNS0_10empty_typeEbEEZZNS1_14partition_implILS5_8ELb0ES3_jPlPS6_PKS6_NS0_5tupleIJS9_S6_EEENSD_IJSA_SA_EEENS0_18inequality_wrapperIZN2at6native12_GLOBAL__N_124unique_dim_cuda_templateIdEESt5tupleIJNSH_6TensorESM_SM_EERKSM_lbbbEUlllE0_EEPmJS6_EEE10hipError_tPvRmT3_T4_T5_T6_T7_T9_mT8_P12ihipStream_tbDpT10_ENKUlT_T0_E_clISt17integral_constantIbLb0EES1B_IbLb1EEEEDaS17_S18_EUlS17_E_NS1_11comp_targetILNS1_3genE4ELNS1_11target_archE910ELNS1_3gpuE8ELNS1_3repE0EEENS1_30default_config_static_selectorELNS0_4arch9wavefront6targetE0EEEvT1_,comdat
.Lfunc_end833:
	.size	_ZN7rocprim17ROCPRIM_400000_NS6detail17trampoline_kernelINS0_14default_configENS1_25partition_config_selectorILNS1_17partition_subalgoE8ElNS0_10empty_typeEbEEZZNS1_14partition_implILS5_8ELb0ES3_jPlPS6_PKS6_NS0_5tupleIJS9_S6_EEENSD_IJSA_SA_EEENS0_18inequality_wrapperIZN2at6native12_GLOBAL__N_124unique_dim_cuda_templateIdEESt5tupleIJNSH_6TensorESM_SM_EERKSM_lbbbEUlllE0_EEPmJS6_EEE10hipError_tPvRmT3_T4_T5_T6_T7_T9_mT8_P12ihipStream_tbDpT10_ENKUlT_T0_E_clISt17integral_constantIbLb0EES1B_IbLb1EEEEDaS17_S18_EUlS17_E_NS1_11comp_targetILNS1_3genE4ELNS1_11target_archE910ELNS1_3gpuE8ELNS1_3repE0EEENS1_30default_config_static_selectorELNS0_4arch9wavefront6targetE0EEEvT1_, .Lfunc_end833-_ZN7rocprim17ROCPRIM_400000_NS6detail17trampoline_kernelINS0_14default_configENS1_25partition_config_selectorILNS1_17partition_subalgoE8ElNS0_10empty_typeEbEEZZNS1_14partition_implILS5_8ELb0ES3_jPlPS6_PKS6_NS0_5tupleIJS9_S6_EEENSD_IJSA_SA_EEENS0_18inequality_wrapperIZN2at6native12_GLOBAL__N_124unique_dim_cuda_templateIdEESt5tupleIJNSH_6TensorESM_SM_EERKSM_lbbbEUlllE0_EEPmJS6_EEE10hipError_tPvRmT3_T4_T5_T6_T7_T9_mT8_P12ihipStream_tbDpT10_ENKUlT_T0_E_clISt17integral_constantIbLb0EES1B_IbLb1EEEEDaS17_S18_EUlS17_E_NS1_11comp_targetILNS1_3genE4ELNS1_11target_archE910ELNS1_3gpuE8ELNS1_3repE0EEENS1_30default_config_static_selectorELNS0_4arch9wavefront6targetE0EEEvT1_
                                        ; -- End function
	.set _ZN7rocprim17ROCPRIM_400000_NS6detail17trampoline_kernelINS0_14default_configENS1_25partition_config_selectorILNS1_17partition_subalgoE8ElNS0_10empty_typeEbEEZZNS1_14partition_implILS5_8ELb0ES3_jPlPS6_PKS6_NS0_5tupleIJS9_S6_EEENSD_IJSA_SA_EEENS0_18inequality_wrapperIZN2at6native12_GLOBAL__N_124unique_dim_cuda_templateIdEESt5tupleIJNSH_6TensorESM_SM_EERKSM_lbbbEUlllE0_EEPmJS6_EEE10hipError_tPvRmT3_T4_T5_T6_T7_T9_mT8_P12ihipStream_tbDpT10_ENKUlT_T0_E_clISt17integral_constantIbLb0EES1B_IbLb1EEEEDaS17_S18_EUlS17_E_NS1_11comp_targetILNS1_3genE4ELNS1_11target_archE910ELNS1_3gpuE8ELNS1_3repE0EEENS1_30default_config_static_selectorELNS0_4arch9wavefront6targetE0EEEvT1_.num_vgpr, 0
	.set _ZN7rocprim17ROCPRIM_400000_NS6detail17trampoline_kernelINS0_14default_configENS1_25partition_config_selectorILNS1_17partition_subalgoE8ElNS0_10empty_typeEbEEZZNS1_14partition_implILS5_8ELb0ES3_jPlPS6_PKS6_NS0_5tupleIJS9_S6_EEENSD_IJSA_SA_EEENS0_18inequality_wrapperIZN2at6native12_GLOBAL__N_124unique_dim_cuda_templateIdEESt5tupleIJNSH_6TensorESM_SM_EERKSM_lbbbEUlllE0_EEPmJS6_EEE10hipError_tPvRmT3_T4_T5_T6_T7_T9_mT8_P12ihipStream_tbDpT10_ENKUlT_T0_E_clISt17integral_constantIbLb0EES1B_IbLb1EEEEDaS17_S18_EUlS17_E_NS1_11comp_targetILNS1_3genE4ELNS1_11target_archE910ELNS1_3gpuE8ELNS1_3repE0EEENS1_30default_config_static_selectorELNS0_4arch9wavefront6targetE0EEEvT1_.num_agpr, 0
	.set _ZN7rocprim17ROCPRIM_400000_NS6detail17trampoline_kernelINS0_14default_configENS1_25partition_config_selectorILNS1_17partition_subalgoE8ElNS0_10empty_typeEbEEZZNS1_14partition_implILS5_8ELb0ES3_jPlPS6_PKS6_NS0_5tupleIJS9_S6_EEENSD_IJSA_SA_EEENS0_18inequality_wrapperIZN2at6native12_GLOBAL__N_124unique_dim_cuda_templateIdEESt5tupleIJNSH_6TensorESM_SM_EERKSM_lbbbEUlllE0_EEPmJS6_EEE10hipError_tPvRmT3_T4_T5_T6_T7_T9_mT8_P12ihipStream_tbDpT10_ENKUlT_T0_E_clISt17integral_constantIbLb0EES1B_IbLb1EEEEDaS17_S18_EUlS17_E_NS1_11comp_targetILNS1_3genE4ELNS1_11target_archE910ELNS1_3gpuE8ELNS1_3repE0EEENS1_30default_config_static_selectorELNS0_4arch9wavefront6targetE0EEEvT1_.numbered_sgpr, 0
	.set _ZN7rocprim17ROCPRIM_400000_NS6detail17trampoline_kernelINS0_14default_configENS1_25partition_config_selectorILNS1_17partition_subalgoE8ElNS0_10empty_typeEbEEZZNS1_14partition_implILS5_8ELb0ES3_jPlPS6_PKS6_NS0_5tupleIJS9_S6_EEENSD_IJSA_SA_EEENS0_18inequality_wrapperIZN2at6native12_GLOBAL__N_124unique_dim_cuda_templateIdEESt5tupleIJNSH_6TensorESM_SM_EERKSM_lbbbEUlllE0_EEPmJS6_EEE10hipError_tPvRmT3_T4_T5_T6_T7_T9_mT8_P12ihipStream_tbDpT10_ENKUlT_T0_E_clISt17integral_constantIbLb0EES1B_IbLb1EEEEDaS17_S18_EUlS17_E_NS1_11comp_targetILNS1_3genE4ELNS1_11target_archE910ELNS1_3gpuE8ELNS1_3repE0EEENS1_30default_config_static_selectorELNS0_4arch9wavefront6targetE0EEEvT1_.num_named_barrier, 0
	.set _ZN7rocprim17ROCPRIM_400000_NS6detail17trampoline_kernelINS0_14default_configENS1_25partition_config_selectorILNS1_17partition_subalgoE8ElNS0_10empty_typeEbEEZZNS1_14partition_implILS5_8ELb0ES3_jPlPS6_PKS6_NS0_5tupleIJS9_S6_EEENSD_IJSA_SA_EEENS0_18inequality_wrapperIZN2at6native12_GLOBAL__N_124unique_dim_cuda_templateIdEESt5tupleIJNSH_6TensorESM_SM_EERKSM_lbbbEUlllE0_EEPmJS6_EEE10hipError_tPvRmT3_T4_T5_T6_T7_T9_mT8_P12ihipStream_tbDpT10_ENKUlT_T0_E_clISt17integral_constantIbLb0EES1B_IbLb1EEEEDaS17_S18_EUlS17_E_NS1_11comp_targetILNS1_3genE4ELNS1_11target_archE910ELNS1_3gpuE8ELNS1_3repE0EEENS1_30default_config_static_selectorELNS0_4arch9wavefront6targetE0EEEvT1_.private_seg_size, 0
	.set _ZN7rocprim17ROCPRIM_400000_NS6detail17trampoline_kernelINS0_14default_configENS1_25partition_config_selectorILNS1_17partition_subalgoE8ElNS0_10empty_typeEbEEZZNS1_14partition_implILS5_8ELb0ES3_jPlPS6_PKS6_NS0_5tupleIJS9_S6_EEENSD_IJSA_SA_EEENS0_18inequality_wrapperIZN2at6native12_GLOBAL__N_124unique_dim_cuda_templateIdEESt5tupleIJNSH_6TensorESM_SM_EERKSM_lbbbEUlllE0_EEPmJS6_EEE10hipError_tPvRmT3_T4_T5_T6_T7_T9_mT8_P12ihipStream_tbDpT10_ENKUlT_T0_E_clISt17integral_constantIbLb0EES1B_IbLb1EEEEDaS17_S18_EUlS17_E_NS1_11comp_targetILNS1_3genE4ELNS1_11target_archE910ELNS1_3gpuE8ELNS1_3repE0EEENS1_30default_config_static_selectorELNS0_4arch9wavefront6targetE0EEEvT1_.uses_vcc, 0
	.set _ZN7rocprim17ROCPRIM_400000_NS6detail17trampoline_kernelINS0_14default_configENS1_25partition_config_selectorILNS1_17partition_subalgoE8ElNS0_10empty_typeEbEEZZNS1_14partition_implILS5_8ELb0ES3_jPlPS6_PKS6_NS0_5tupleIJS9_S6_EEENSD_IJSA_SA_EEENS0_18inequality_wrapperIZN2at6native12_GLOBAL__N_124unique_dim_cuda_templateIdEESt5tupleIJNSH_6TensorESM_SM_EERKSM_lbbbEUlllE0_EEPmJS6_EEE10hipError_tPvRmT3_T4_T5_T6_T7_T9_mT8_P12ihipStream_tbDpT10_ENKUlT_T0_E_clISt17integral_constantIbLb0EES1B_IbLb1EEEEDaS17_S18_EUlS17_E_NS1_11comp_targetILNS1_3genE4ELNS1_11target_archE910ELNS1_3gpuE8ELNS1_3repE0EEENS1_30default_config_static_selectorELNS0_4arch9wavefront6targetE0EEEvT1_.uses_flat_scratch, 0
	.set _ZN7rocprim17ROCPRIM_400000_NS6detail17trampoline_kernelINS0_14default_configENS1_25partition_config_selectorILNS1_17partition_subalgoE8ElNS0_10empty_typeEbEEZZNS1_14partition_implILS5_8ELb0ES3_jPlPS6_PKS6_NS0_5tupleIJS9_S6_EEENSD_IJSA_SA_EEENS0_18inequality_wrapperIZN2at6native12_GLOBAL__N_124unique_dim_cuda_templateIdEESt5tupleIJNSH_6TensorESM_SM_EERKSM_lbbbEUlllE0_EEPmJS6_EEE10hipError_tPvRmT3_T4_T5_T6_T7_T9_mT8_P12ihipStream_tbDpT10_ENKUlT_T0_E_clISt17integral_constantIbLb0EES1B_IbLb1EEEEDaS17_S18_EUlS17_E_NS1_11comp_targetILNS1_3genE4ELNS1_11target_archE910ELNS1_3gpuE8ELNS1_3repE0EEENS1_30default_config_static_selectorELNS0_4arch9wavefront6targetE0EEEvT1_.has_dyn_sized_stack, 0
	.set _ZN7rocprim17ROCPRIM_400000_NS6detail17trampoline_kernelINS0_14default_configENS1_25partition_config_selectorILNS1_17partition_subalgoE8ElNS0_10empty_typeEbEEZZNS1_14partition_implILS5_8ELb0ES3_jPlPS6_PKS6_NS0_5tupleIJS9_S6_EEENSD_IJSA_SA_EEENS0_18inequality_wrapperIZN2at6native12_GLOBAL__N_124unique_dim_cuda_templateIdEESt5tupleIJNSH_6TensorESM_SM_EERKSM_lbbbEUlllE0_EEPmJS6_EEE10hipError_tPvRmT3_T4_T5_T6_T7_T9_mT8_P12ihipStream_tbDpT10_ENKUlT_T0_E_clISt17integral_constantIbLb0EES1B_IbLb1EEEEDaS17_S18_EUlS17_E_NS1_11comp_targetILNS1_3genE4ELNS1_11target_archE910ELNS1_3gpuE8ELNS1_3repE0EEENS1_30default_config_static_selectorELNS0_4arch9wavefront6targetE0EEEvT1_.has_recursion, 0
	.set _ZN7rocprim17ROCPRIM_400000_NS6detail17trampoline_kernelINS0_14default_configENS1_25partition_config_selectorILNS1_17partition_subalgoE8ElNS0_10empty_typeEbEEZZNS1_14partition_implILS5_8ELb0ES3_jPlPS6_PKS6_NS0_5tupleIJS9_S6_EEENSD_IJSA_SA_EEENS0_18inequality_wrapperIZN2at6native12_GLOBAL__N_124unique_dim_cuda_templateIdEESt5tupleIJNSH_6TensorESM_SM_EERKSM_lbbbEUlllE0_EEPmJS6_EEE10hipError_tPvRmT3_T4_T5_T6_T7_T9_mT8_P12ihipStream_tbDpT10_ENKUlT_T0_E_clISt17integral_constantIbLb0EES1B_IbLb1EEEEDaS17_S18_EUlS17_E_NS1_11comp_targetILNS1_3genE4ELNS1_11target_archE910ELNS1_3gpuE8ELNS1_3repE0EEENS1_30default_config_static_selectorELNS0_4arch9wavefront6targetE0EEEvT1_.has_indirect_call, 0
	.section	.AMDGPU.csdata,"",@progbits
; Kernel info:
; codeLenInByte = 0
; TotalNumSgprs: 0
; NumVgprs: 0
; ScratchSize: 0
; MemoryBound: 0
; FloatMode: 240
; IeeeMode: 1
; LDSByteSize: 0 bytes/workgroup (compile time only)
; SGPRBlocks: 0
; VGPRBlocks: 0
; NumSGPRsForWavesPerEU: 1
; NumVGPRsForWavesPerEU: 1
; NamedBarCnt: 0
; Occupancy: 16
; WaveLimiterHint : 0
; COMPUTE_PGM_RSRC2:SCRATCH_EN: 0
; COMPUTE_PGM_RSRC2:USER_SGPR: 2
; COMPUTE_PGM_RSRC2:TRAP_HANDLER: 0
; COMPUTE_PGM_RSRC2:TGID_X_EN: 1
; COMPUTE_PGM_RSRC2:TGID_Y_EN: 0
; COMPUTE_PGM_RSRC2:TGID_Z_EN: 0
; COMPUTE_PGM_RSRC2:TIDIG_COMP_CNT: 0
	.section	.text._ZN7rocprim17ROCPRIM_400000_NS6detail17trampoline_kernelINS0_14default_configENS1_25partition_config_selectorILNS1_17partition_subalgoE8ElNS0_10empty_typeEbEEZZNS1_14partition_implILS5_8ELb0ES3_jPlPS6_PKS6_NS0_5tupleIJS9_S6_EEENSD_IJSA_SA_EEENS0_18inequality_wrapperIZN2at6native12_GLOBAL__N_124unique_dim_cuda_templateIdEESt5tupleIJNSH_6TensorESM_SM_EERKSM_lbbbEUlllE0_EEPmJS6_EEE10hipError_tPvRmT3_T4_T5_T6_T7_T9_mT8_P12ihipStream_tbDpT10_ENKUlT_T0_E_clISt17integral_constantIbLb0EES1B_IbLb1EEEEDaS17_S18_EUlS17_E_NS1_11comp_targetILNS1_3genE3ELNS1_11target_archE908ELNS1_3gpuE7ELNS1_3repE0EEENS1_30default_config_static_selectorELNS0_4arch9wavefront6targetE0EEEvT1_,"axG",@progbits,_ZN7rocprim17ROCPRIM_400000_NS6detail17trampoline_kernelINS0_14default_configENS1_25partition_config_selectorILNS1_17partition_subalgoE8ElNS0_10empty_typeEbEEZZNS1_14partition_implILS5_8ELb0ES3_jPlPS6_PKS6_NS0_5tupleIJS9_S6_EEENSD_IJSA_SA_EEENS0_18inequality_wrapperIZN2at6native12_GLOBAL__N_124unique_dim_cuda_templateIdEESt5tupleIJNSH_6TensorESM_SM_EERKSM_lbbbEUlllE0_EEPmJS6_EEE10hipError_tPvRmT3_T4_T5_T6_T7_T9_mT8_P12ihipStream_tbDpT10_ENKUlT_T0_E_clISt17integral_constantIbLb0EES1B_IbLb1EEEEDaS17_S18_EUlS17_E_NS1_11comp_targetILNS1_3genE3ELNS1_11target_archE908ELNS1_3gpuE7ELNS1_3repE0EEENS1_30default_config_static_selectorELNS0_4arch9wavefront6targetE0EEEvT1_,comdat
	.globl	_ZN7rocprim17ROCPRIM_400000_NS6detail17trampoline_kernelINS0_14default_configENS1_25partition_config_selectorILNS1_17partition_subalgoE8ElNS0_10empty_typeEbEEZZNS1_14partition_implILS5_8ELb0ES3_jPlPS6_PKS6_NS0_5tupleIJS9_S6_EEENSD_IJSA_SA_EEENS0_18inequality_wrapperIZN2at6native12_GLOBAL__N_124unique_dim_cuda_templateIdEESt5tupleIJNSH_6TensorESM_SM_EERKSM_lbbbEUlllE0_EEPmJS6_EEE10hipError_tPvRmT3_T4_T5_T6_T7_T9_mT8_P12ihipStream_tbDpT10_ENKUlT_T0_E_clISt17integral_constantIbLb0EES1B_IbLb1EEEEDaS17_S18_EUlS17_E_NS1_11comp_targetILNS1_3genE3ELNS1_11target_archE908ELNS1_3gpuE7ELNS1_3repE0EEENS1_30default_config_static_selectorELNS0_4arch9wavefront6targetE0EEEvT1_ ; -- Begin function _ZN7rocprim17ROCPRIM_400000_NS6detail17trampoline_kernelINS0_14default_configENS1_25partition_config_selectorILNS1_17partition_subalgoE8ElNS0_10empty_typeEbEEZZNS1_14partition_implILS5_8ELb0ES3_jPlPS6_PKS6_NS0_5tupleIJS9_S6_EEENSD_IJSA_SA_EEENS0_18inequality_wrapperIZN2at6native12_GLOBAL__N_124unique_dim_cuda_templateIdEESt5tupleIJNSH_6TensorESM_SM_EERKSM_lbbbEUlllE0_EEPmJS6_EEE10hipError_tPvRmT3_T4_T5_T6_T7_T9_mT8_P12ihipStream_tbDpT10_ENKUlT_T0_E_clISt17integral_constantIbLb0EES1B_IbLb1EEEEDaS17_S18_EUlS17_E_NS1_11comp_targetILNS1_3genE3ELNS1_11target_archE908ELNS1_3gpuE7ELNS1_3repE0EEENS1_30default_config_static_selectorELNS0_4arch9wavefront6targetE0EEEvT1_
	.p2align	8
	.type	_ZN7rocprim17ROCPRIM_400000_NS6detail17trampoline_kernelINS0_14default_configENS1_25partition_config_selectorILNS1_17partition_subalgoE8ElNS0_10empty_typeEbEEZZNS1_14partition_implILS5_8ELb0ES3_jPlPS6_PKS6_NS0_5tupleIJS9_S6_EEENSD_IJSA_SA_EEENS0_18inequality_wrapperIZN2at6native12_GLOBAL__N_124unique_dim_cuda_templateIdEESt5tupleIJNSH_6TensorESM_SM_EERKSM_lbbbEUlllE0_EEPmJS6_EEE10hipError_tPvRmT3_T4_T5_T6_T7_T9_mT8_P12ihipStream_tbDpT10_ENKUlT_T0_E_clISt17integral_constantIbLb0EES1B_IbLb1EEEEDaS17_S18_EUlS17_E_NS1_11comp_targetILNS1_3genE3ELNS1_11target_archE908ELNS1_3gpuE7ELNS1_3repE0EEENS1_30default_config_static_selectorELNS0_4arch9wavefront6targetE0EEEvT1_,@function
_ZN7rocprim17ROCPRIM_400000_NS6detail17trampoline_kernelINS0_14default_configENS1_25partition_config_selectorILNS1_17partition_subalgoE8ElNS0_10empty_typeEbEEZZNS1_14partition_implILS5_8ELb0ES3_jPlPS6_PKS6_NS0_5tupleIJS9_S6_EEENSD_IJSA_SA_EEENS0_18inequality_wrapperIZN2at6native12_GLOBAL__N_124unique_dim_cuda_templateIdEESt5tupleIJNSH_6TensorESM_SM_EERKSM_lbbbEUlllE0_EEPmJS6_EEE10hipError_tPvRmT3_T4_T5_T6_T7_T9_mT8_P12ihipStream_tbDpT10_ENKUlT_T0_E_clISt17integral_constantIbLb0EES1B_IbLb1EEEEDaS17_S18_EUlS17_E_NS1_11comp_targetILNS1_3genE3ELNS1_11target_archE908ELNS1_3gpuE7ELNS1_3repE0EEENS1_30default_config_static_selectorELNS0_4arch9wavefront6targetE0EEEvT1_: ; @_ZN7rocprim17ROCPRIM_400000_NS6detail17trampoline_kernelINS0_14default_configENS1_25partition_config_selectorILNS1_17partition_subalgoE8ElNS0_10empty_typeEbEEZZNS1_14partition_implILS5_8ELb0ES3_jPlPS6_PKS6_NS0_5tupleIJS9_S6_EEENSD_IJSA_SA_EEENS0_18inequality_wrapperIZN2at6native12_GLOBAL__N_124unique_dim_cuda_templateIdEESt5tupleIJNSH_6TensorESM_SM_EERKSM_lbbbEUlllE0_EEPmJS6_EEE10hipError_tPvRmT3_T4_T5_T6_T7_T9_mT8_P12ihipStream_tbDpT10_ENKUlT_T0_E_clISt17integral_constantIbLb0EES1B_IbLb1EEEEDaS17_S18_EUlS17_E_NS1_11comp_targetILNS1_3genE3ELNS1_11target_archE908ELNS1_3gpuE7ELNS1_3repE0EEENS1_30default_config_static_selectorELNS0_4arch9wavefront6targetE0EEEvT1_
; %bb.0:
	.section	.rodata,"a",@progbits
	.p2align	6, 0x0
	.amdhsa_kernel _ZN7rocprim17ROCPRIM_400000_NS6detail17trampoline_kernelINS0_14default_configENS1_25partition_config_selectorILNS1_17partition_subalgoE8ElNS0_10empty_typeEbEEZZNS1_14partition_implILS5_8ELb0ES3_jPlPS6_PKS6_NS0_5tupleIJS9_S6_EEENSD_IJSA_SA_EEENS0_18inequality_wrapperIZN2at6native12_GLOBAL__N_124unique_dim_cuda_templateIdEESt5tupleIJNSH_6TensorESM_SM_EERKSM_lbbbEUlllE0_EEPmJS6_EEE10hipError_tPvRmT3_T4_T5_T6_T7_T9_mT8_P12ihipStream_tbDpT10_ENKUlT_T0_E_clISt17integral_constantIbLb0EES1B_IbLb1EEEEDaS17_S18_EUlS17_E_NS1_11comp_targetILNS1_3genE3ELNS1_11target_archE908ELNS1_3gpuE7ELNS1_3repE0EEENS1_30default_config_static_selectorELNS0_4arch9wavefront6targetE0EEEvT1_
		.amdhsa_group_segment_fixed_size 0
		.amdhsa_private_segment_fixed_size 0
		.amdhsa_kernarg_size 136
		.amdhsa_user_sgpr_count 2
		.amdhsa_user_sgpr_dispatch_ptr 0
		.amdhsa_user_sgpr_queue_ptr 0
		.amdhsa_user_sgpr_kernarg_segment_ptr 1
		.amdhsa_user_sgpr_dispatch_id 0
		.amdhsa_user_sgpr_kernarg_preload_length 0
		.amdhsa_user_sgpr_kernarg_preload_offset 0
		.amdhsa_user_sgpr_private_segment_size 0
		.amdhsa_wavefront_size32 1
		.amdhsa_uses_dynamic_stack 0
		.amdhsa_enable_private_segment 0
		.amdhsa_system_sgpr_workgroup_id_x 1
		.amdhsa_system_sgpr_workgroup_id_y 0
		.amdhsa_system_sgpr_workgroup_id_z 0
		.amdhsa_system_sgpr_workgroup_info 0
		.amdhsa_system_vgpr_workitem_id 0
		.amdhsa_next_free_vgpr 1
		.amdhsa_next_free_sgpr 1
		.amdhsa_named_barrier_count 0
		.amdhsa_reserve_vcc 0
		.amdhsa_float_round_mode_32 0
		.amdhsa_float_round_mode_16_64 0
		.amdhsa_float_denorm_mode_32 3
		.amdhsa_float_denorm_mode_16_64 3
		.amdhsa_fp16_overflow 0
		.amdhsa_memory_ordered 1
		.amdhsa_forward_progress 1
		.amdhsa_inst_pref_size 0
		.amdhsa_round_robin_scheduling 0
		.amdhsa_exception_fp_ieee_invalid_op 0
		.amdhsa_exception_fp_denorm_src 0
		.amdhsa_exception_fp_ieee_div_zero 0
		.amdhsa_exception_fp_ieee_overflow 0
		.amdhsa_exception_fp_ieee_underflow 0
		.amdhsa_exception_fp_ieee_inexact 0
		.amdhsa_exception_int_div_zero 0
	.end_amdhsa_kernel
	.section	.text._ZN7rocprim17ROCPRIM_400000_NS6detail17trampoline_kernelINS0_14default_configENS1_25partition_config_selectorILNS1_17partition_subalgoE8ElNS0_10empty_typeEbEEZZNS1_14partition_implILS5_8ELb0ES3_jPlPS6_PKS6_NS0_5tupleIJS9_S6_EEENSD_IJSA_SA_EEENS0_18inequality_wrapperIZN2at6native12_GLOBAL__N_124unique_dim_cuda_templateIdEESt5tupleIJNSH_6TensorESM_SM_EERKSM_lbbbEUlllE0_EEPmJS6_EEE10hipError_tPvRmT3_T4_T5_T6_T7_T9_mT8_P12ihipStream_tbDpT10_ENKUlT_T0_E_clISt17integral_constantIbLb0EES1B_IbLb1EEEEDaS17_S18_EUlS17_E_NS1_11comp_targetILNS1_3genE3ELNS1_11target_archE908ELNS1_3gpuE7ELNS1_3repE0EEENS1_30default_config_static_selectorELNS0_4arch9wavefront6targetE0EEEvT1_,"axG",@progbits,_ZN7rocprim17ROCPRIM_400000_NS6detail17trampoline_kernelINS0_14default_configENS1_25partition_config_selectorILNS1_17partition_subalgoE8ElNS0_10empty_typeEbEEZZNS1_14partition_implILS5_8ELb0ES3_jPlPS6_PKS6_NS0_5tupleIJS9_S6_EEENSD_IJSA_SA_EEENS0_18inequality_wrapperIZN2at6native12_GLOBAL__N_124unique_dim_cuda_templateIdEESt5tupleIJNSH_6TensorESM_SM_EERKSM_lbbbEUlllE0_EEPmJS6_EEE10hipError_tPvRmT3_T4_T5_T6_T7_T9_mT8_P12ihipStream_tbDpT10_ENKUlT_T0_E_clISt17integral_constantIbLb0EES1B_IbLb1EEEEDaS17_S18_EUlS17_E_NS1_11comp_targetILNS1_3genE3ELNS1_11target_archE908ELNS1_3gpuE7ELNS1_3repE0EEENS1_30default_config_static_selectorELNS0_4arch9wavefront6targetE0EEEvT1_,comdat
.Lfunc_end834:
	.size	_ZN7rocprim17ROCPRIM_400000_NS6detail17trampoline_kernelINS0_14default_configENS1_25partition_config_selectorILNS1_17partition_subalgoE8ElNS0_10empty_typeEbEEZZNS1_14partition_implILS5_8ELb0ES3_jPlPS6_PKS6_NS0_5tupleIJS9_S6_EEENSD_IJSA_SA_EEENS0_18inequality_wrapperIZN2at6native12_GLOBAL__N_124unique_dim_cuda_templateIdEESt5tupleIJNSH_6TensorESM_SM_EERKSM_lbbbEUlllE0_EEPmJS6_EEE10hipError_tPvRmT3_T4_T5_T6_T7_T9_mT8_P12ihipStream_tbDpT10_ENKUlT_T0_E_clISt17integral_constantIbLb0EES1B_IbLb1EEEEDaS17_S18_EUlS17_E_NS1_11comp_targetILNS1_3genE3ELNS1_11target_archE908ELNS1_3gpuE7ELNS1_3repE0EEENS1_30default_config_static_selectorELNS0_4arch9wavefront6targetE0EEEvT1_, .Lfunc_end834-_ZN7rocprim17ROCPRIM_400000_NS6detail17trampoline_kernelINS0_14default_configENS1_25partition_config_selectorILNS1_17partition_subalgoE8ElNS0_10empty_typeEbEEZZNS1_14partition_implILS5_8ELb0ES3_jPlPS6_PKS6_NS0_5tupleIJS9_S6_EEENSD_IJSA_SA_EEENS0_18inequality_wrapperIZN2at6native12_GLOBAL__N_124unique_dim_cuda_templateIdEESt5tupleIJNSH_6TensorESM_SM_EERKSM_lbbbEUlllE0_EEPmJS6_EEE10hipError_tPvRmT3_T4_T5_T6_T7_T9_mT8_P12ihipStream_tbDpT10_ENKUlT_T0_E_clISt17integral_constantIbLb0EES1B_IbLb1EEEEDaS17_S18_EUlS17_E_NS1_11comp_targetILNS1_3genE3ELNS1_11target_archE908ELNS1_3gpuE7ELNS1_3repE0EEENS1_30default_config_static_selectorELNS0_4arch9wavefront6targetE0EEEvT1_
                                        ; -- End function
	.set _ZN7rocprim17ROCPRIM_400000_NS6detail17trampoline_kernelINS0_14default_configENS1_25partition_config_selectorILNS1_17partition_subalgoE8ElNS0_10empty_typeEbEEZZNS1_14partition_implILS5_8ELb0ES3_jPlPS6_PKS6_NS0_5tupleIJS9_S6_EEENSD_IJSA_SA_EEENS0_18inequality_wrapperIZN2at6native12_GLOBAL__N_124unique_dim_cuda_templateIdEESt5tupleIJNSH_6TensorESM_SM_EERKSM_lbbbEUlllE0_EEPmJS6_EEE10hipError_tPvRmT3_T4_T5_T6_T7_T9_mT8_P12ihipStream_tbDpT10_ENKUlT_T0_E_clISt17integral_constantIbLb0EES1B_IbLb1EEEEDaS17_S18_EUlS17_E_NS1_11comp_targetILNS1_3genE3ELNS1_11target_archE908ELNS1_3gpuE7ELNS1_3repE0EEENS1_30default_config_static_selectorELNS0_4arch9wavefront6targetE0EEEvT1_.num_vgpr, 0
	.set _ZN7rocprim17ROCPRIM_400000_NS6detail17trampoline_kernelINS0_14default_configENS1_25partition_config_selectorILNS1_17partition_subalgoE8ElNS0_10empty_typeEbEEZZNS1_14partition_implILS5_8ELb0ES3_jPlPS6_PKS6_NS0_5tupleIJS9_S6_EEENSD_IJSA_SA_EEENS0_18inequality_wrapperIZN2at6native12_GLOBAL__N_124unique_dim_cuda_templateIdEESt5tupleIJNSH_6TensorESM_SM_EERKSM_lbbbEUlllE0_EEPmJS6_EEE10hipError_tPvRmT3_T4_T5_T6_T7_T9_mT8_P12ihipStream_tbDpT10_ENKUlT_T0_E_clISt17integral_constantIbLb0EES1B_IbLb1EEEEDaS17_S18_EUlS17_E_NS1_11comp_targetILNS1_3genE3ELNS1_11target_archE908ELNS1_3gpuE7ELNS1_3repE0EEENS1_30default_config_static_selectorELNS0_4arch9wavefront6targetE0EEEvT1_.num_agpr, 0
	.set _ZN7rocprim17ROCPRIM_400000_NS6detail17trampoline_kernelINS0_14default_configENS1_25partition_config_selectorILNS1_17partition_subalgoE8ElNS0_10empty_typeEbEEZZNS1_14partition_implILS5_8ELb0ES3_jPlPS6_PKS6_NS0_5tupleIJS9_S6_EEENSD_IJSA_SA_EEENS0_18inequality_wrapperIZN2at6native12_GLOBAL__N_124unique_dim_cuda_templateIdEESt5tupleIJNSH_6TensorESM_SM_EERKSM_lbbbEUlllE0_EEPmJS6_EEE10hipError_tPvRmT3_T4_T5_T6_T7_T9_mT8_P12ihipStream_tbDpT10_ENKUlT_T0_E_clISt17integral_constantIbLb0EES1B_IbLb1EEEEDaS17_S18_EUlS17_E_NS1_11comp_targetILNS1_3genE3ELNS1_11target_archE908ELNS1_3gpuE7ELNS1_3repE0EEENS1_30default_config_static_selectorELNS0_4arch9wavefront6targetE0EEEvT1_.numbered_sgpr, 0
	.set _ZN7rocprim17ROCPRIM_400000_NS6detail17trampoline_kernelINS0_14default_configENS1_25partition_config_selectorILNS1_17partition_subalgoE8ElNS0_10empty_typeEbEEZZNS1_14partition_implILS5_8ELb0ES3_jPlPS6_PKS6_NS0_5tupleIJS9_S6_EEENSD_IJSA_SA_EEENS0_18inequality_wrapperIZN2at6native12_GLOBAL__N_124unique_dim_cuda_templateIdEESt5tupleIJNSH_6TensorESM_SM_EERKSM_lbbbEUlllE0_EEPmJS6_EEE10hipError_tPvRmT3_T4_T5_T6_T7_T9_mT8_P12ihipStream_tbDpT10_ENKUlT_T0_E_clISt17integral_constantIbLb0EES1B_IbLb1EEEEDaS17_S18_EUlS17_E_NS1_11comp_targetILNS1_3genE3ELNS1_11target_archE908ELNS1_3gpuE7ELNS1_3repE0EEENS1_30default_config_static_selectorELNS0_4arch9wavefront6targetE0EEEvT1_.num_named_barrier, 0
	.set _ZN7rocprim17ROCPRIM_400000_NS6detail17trampoline_kernelINS0_14default_configENS1_25partition_config_selectorILNS1_17partition_subalgoE8ElNS0_10empty_typeEbEEZZNS1_14partition_implILS5_8ELb0ES3_jPlPS6_PKS6_NS0_5tupleIJS9_S6_EEENSD_IJSA_SA_EEENS0_18inequality_wrapperIZN2at6native12_GLOBAL__N_124unique_dim_cuda_templateIdEESt5tupleIJNSH_6TensorESM_SM_EERKSM_lbbbEUlllE0_EEPmJS6_EEE10hipError_tPvRmT3_T4_T5_T6_T7_T9_mT8_P12ihipStream_tbDpT10_ENKUlT_T0_E_clISt17integral_constantIbLb0EES1B_IbLb1EEEEDaS17_S18_EUlS17_E_NS1_11comp_targetILNS1_3genE3ELNS1_11target_archE908ELNS1_3gpuE7ELNS1_3repE0EEENS1_30default_config_static_selectorELNS0_4arch9wavefront6targetE0EEEvT1_.private_seg_size, 0
	.set _ZN7rocprim17ROCPRIM_400000_NS6detail17trampoline_kernelINS0_14default_configENS1_25partition_config_selectorILNS1_17partition_subalgoE8ElNS0_10empty_typeEbEEZZNS1_14partition_implILS5_8ELb0ES3_jPlPS6_PKS6_NS0_5tupleIJS9_S6_EEENSD_IJSA_SA_EEENS0_18inequality_wrapperIZN2at6native12_GLOBAL__N_124unique_dim_cuda_templateIdEESt5tupleIJNSH_6TensorESM_SM_EERKSM_lbbbEUlllE0_EEPmJS6_EEE10hipError_tPvRmT3_T4_T5_T6_T7_T9_mT8_P12ihipStream_tbDpT10_ENKUlT_T0_E_clISt17integral_constantIbLb0EES1B_IbLb1EEEEDaS17_S18_EUlS17_E_NS1_11comp_targetILNS1_3genE3ELNS1_11target_archE908ELNS1_3gpuE7ELNS1_3repE0EEENS1_30default_config_static_selectorELNS0_4arch9wavefront6targetE0EEEvT1_.uses_vcc, 0
	.set _ZN7rocprim17ROCPRIM_400000_NS6detail17trampoline_kernelINS0_14default_configENS1_25partition_config_selectorILNS1_17partition_subalgoE8ElNS0_10empty_typeEbEEZZNS1_14partition_implILS5_8ELb0ES3_jPlPS6_PKS6_NS0_5tupleIJS9_S6_EEENSD_IJSA_SA_EEENS0_18inequality_wrapperIZN2at6native12_GLOBAL__N_124unique_dim_cuda_templateIdEESt5tupleIJNSH_6TensorESM_SM_EERKSM_lbbbEUlllE0_EEPmJS6_EEE10hipError_tPvRmT3_T4_T5_T6_T7_T9_mT8_P12ihipStream_tbDpT10_ENKUlT_T0_E_clISt17integral_constantIbLb0EES1B_IbLb1EEEEDaS17_S18_EUlS17_E_NS1_11comp_targetILNS1_3genE3ELNS1_11target_archE908ELNS1_3gpuE7ELNS1_3repE0EEENS1_30default_config_static_selectorELNS0_4arch9wavefront6targetE0EEEvT1_.uses_flat_scratch, 0
	.set _ZN7rocprim17ROCPRIM_400000_NS6detail17trampoline_kernelINS0_14default_configENS1_25partition_config_selectorILNS1_17partition_subalgoE8ElNS0_10empty_typeEbEEZZNS1_14partition_implILS5_8ELb0ES3_jPlPS6_PKS6_NS0_5tupleIJS9_S6_EEENSD_IJSA_SA_EEENS0_18inequality_wrapperIZN2at6native12_GLOBAL__N_124unique_dim_cuda_templateIdEESt5tupleIJNSH_6TensorESM_SM_EERKSM_lbbbEUlllE0_EEPmJS6_EEE10hipError_tPvRmT3_T4_T5_T6_T7_T9_mT8_P12ihipStream_tbDpT10_ENKUlT_T0_E_clISt17integral_constantIbLb0EES1B_IbLb1EEEEDaS17_S18_EUlS17_E_NS1_11comp_targetILNS1_3genE3ELNS1_11target_archE908ELNS1_3gpuE7ELNS1_3repE0EEENS1_30default_config_static_selectorELNS0_4arch9wavefront6targetE0EEEvT1_.has_dyn_sized_stack, 0
	.set _ZN7rocprim17ROCPRIM_400000_NS6detail17trampoline_kernelINS0_14default_configENS1_25partition_config_selectorILNS1_17partition_subalgoE8ElNS0_10empty_typeEbEEZZNS1_14partition_implILS5_8ELb0ES3_jPlPS6_PKS6_NS0_5tupleIJS9_S6_EEENSD_IJSA_SA_EEENS0_18inequality_wrapperIZN2at6native12_GLOBAL__N_124unique_dim_cuda_templateIdEESt5tupleIJNSH_6TensorESM_SM_EERKSM_lbbbEUlllE0_EEPmJS6_EEE10hipError_tPvRmT3_T4_T5_T6_T7_T9_mT8_P12ihipStream_tbDpT10_ENKUlT_T0_E_clISt17integral_constantIbLb0EES1B_IbLb1EEEEDaS17_S18_EUlS17_E_NS1_11comp_targetILNS1_3genE3ELNS1_11target_archE908ELNS1_3gpuE7ELNS1_3repE0EEENS1_30default_config_static_selectorELNS0_4arch9wavefront6targetE0EEEvT1_.has_recursion, 0
	.set _ZN7rocprim17ROCPRIM_400000_NS6detail17trampoline_kernelINS0_14default_configENS1_25partition_config_selectorILNS1_17partition_subalgoE8ElNS0_10empty_typeEbEEZZNS1_14partition_implILS5_8ELb0ES3_jPlPS6_PKS6_NS0_5tupleIJS9_S6_EEENSD_IJSA_SA_EEENS0_18inequality_wrapperIZN2at6native12_GLOBAL__N_124unique_dim_cuda_templateIdEESt5tupleIJNSH_6TensorESM_SM_EERKSM_lbbbEUlllE0_EEPmJS6_EEE10hipError_tPvRmT3_T4_T5_T6_T7_T9_mT8_P12ihipStream_tbDpT10_ENKUlT_T0_E_clISt17integral_constantIbLb0EES1B_IbLb1EEEEDaS17_S18_EUlS17_E_NS1_11comp_targetILNS1_3genE3ELNS1_11target_archE908ELNS1_3gpuE7ELNS1_3repE0EEENS1_30default_config_static_selectorELNS0_4arch9wavefront6targetE0EEEvT1_.has_indirect_call, 0
	.section	.AMDGPU.csdata,"",@progbits
; Kernel info:
; codeLenInByte = 0
; TotalNumSgprs: 0
; NumVgprs: 0
; ScratchSize: 0
; MemoryBound: 0
; FloatMode: 240
; IeeeMode: 1
; LDSByteSize: 0 bytes/workgroup (compile time only)
; SGPRBlocks: 0
; VGPRBlocks: 0
; NumSGPRsForWavesPerEU: 1
; NumVGPRsForWavesPerEU: 1
; NamedBarCnt: 0
; Occupancy: 16
; WaveLimiterHint : 0
; COMPUTE_PGM_RSRC2:SCRATCH_EN: 0
; COMPUTE_PGM_RSRC2:USER_SGPR: 2
; COMPUTE_PGM_RSRC2:TRAP_HANDLER: 0
; COMPUTE_PGM_RSRC2:TGID_X_EN: 1
; COMPUTE_PGM_RSRC2:TGID_Y_EN: 0
; COMPUTE_PGM_RSRC2:TGID_Z_EN: 0
; COMPUTE_PGM_RSRC2:TIDIG_COMP_CNT: 0
	.section	.text._ZN7rocprim17ROCPRIM_400000_NS6detail17trampoline_kernelINS0_14default_configENS1_25partition_config_selectorILNS1_17partition_subalgoE8ElNS0_10empty_typeEbEEZZNS1_14partition_implILS5_8ELb0ES3_jPlPS6_PKS6_NS0_5tupleIJS9_S6_EEENSD_IJSA_SA_EEENS0_18inequality_wrapperIZN2at6native12_GLOBAL__N_124unique_dim_cuda_templateIdEESt5tupleIJNSH_6TensorESM_SM_EERKSM_lbbbEUlllE0_EEPmJS6_EEE10hipError_tPvRmT3_T4_T5_T6_T7_T9_mT8_P12ihipStream_tbDpT10_ENKUlT_T0_E_clISt17integral_constantIbLb0EES1B_IbLb1EEEEDaS17_S18_EUlS17_E_NS1_11comp_targetILNS1_3genE2ELNS1_11target_archE906ELNS1_3gpuE6ELNS1_3repE0EEENS1_30default_config_static_selectorELNS0_4arch9wavefront6targetE0EEEvT1_,"axG",@progbits,_ZN7rocprim17ROCPRIM_400000_NS6detail17trampoline_kernelINS0_14default_configENS1_25partition_config_selectorILNS1_17partition_subalgoE8ElNS0_10empty_typeEbEEZZNS1_14partition_implILS5_8ELb0ES3_jPlPS6_PKS6_NS0_5tupleIJS9_S6_EEENSD_IJSA_SA_EEENS0_18inequality_wrapperIZN2at6native12_GLOBAL__N_124unique_dim_cuda_templateIdEESt5tupleIJNSH_6TensorESM_SM_EERKSM_lbbbEUlllE0_EEPmJS6_EEE10hipError_tPvRmT3_T4_T5_T6_T7_T9_mT8_P12ihipStream_tbDpT10_ENKUlT_T0_E_clISt17integral_constantIbLb0EES1B_IbLb1EEEEDaS17_S18_EUlS17_E_NS1_11comp_targetILNS1_3genE2ELNS1_11target_archE906ELNS1_3gpuE6ELNS1_3repE0EEENS1_30default_config_static_selectorELNS0_4arch9wavefront6targetE0EEEvT1_,comdat
	.globl	_ZN7rocprim17ROCPRIM_400000_NS6detail17trampoline_kernelINS0_14default_configENS1_25partition_config_selectorILNS1_17partition_subalgoE8ElNS0_10empty_typeEbEEZZNS1_14partition_implILS5_8ELb0ES3_jPlPS6_PKS6_NS0_5tupleIJS9_S6_EEENSD_IJSA_SA_EEENS0_18inequality_wrapperIZN2at6native12_GLOBAL__N_124unique_dim_cuda_templateIdEESt5tupleIJNSH_6TensorESM_SM_EERKSM_lbbbEUlllE0_EEPmJS6_EEE10hipError_tPvRmT3_T4_T5_T6_T7_T9_mT8_P12ihipStream_tbDpT10_ENKUlT_T0_E_clISt17integral_constantIbLb0EES1B_IbLb1EEEEDaS17_S18_EUlS17_E_NS1_11comp_targetILNS1_3genE2ELNS1_11target_archE906ELNS1_3gpuE6ELNS1_3repE0EEENS1_30default_config_static_selectorELNS0_4arch9wavefront6targetE0EEEvT1_ ; -- Begin function _ZN7rocprim17ROCPRIM_400000_NS6detail17trampoline_kernelINS0_14default_configENS1_25partition_config_selectorILNS1_17partition_subalgoE8ElNS0_10empty_typeEbEEZZNS1_14partition_implILS5_8ELb0ES3_jPlPS6_PKS6_NS0_5tupleIJS9_S6_EEENSD_IJSA_SA_EEENS0_18inequality_wrapperIZN2at6native12_GLOBAL__N_124unique_dim_cuda_templateIdEESt5tupleIJNSH_6TensorESM_SM_EERKSM_lbbbEUlllE0_EEPmJS6_EEE10hipError_tPvRmT3_T4_T5_T6_T7_T9_mT8_P12ihipStream_tbDpT10_ENKUlT_T0_E_clISt17integral_constantIbLb0EES1B_IbLb1EEEEDaS17_S18_EUlS17_E_NS1_11comp_targetILNS1_3genE2ELNS1_11target_archE906ELNS1_3gpuE6ELNS1_3repE0EEENS1_30default_config_static_selectorELNS0_4arch9wavefront6targetE0EEEvT1_
	.p2align	8
	.type	_ZN7rocprim17ROCPRIM_400000_NS6detail17trampoline_kernelINS0_14default_configENS1_25partition_config_selectorILNS1_17partition_subalgoE8ElNS0_10empty_typeEbEEZZNS1_14partition_implILS5_8ELb0ES3_jPlPS6_PKS6_NS0_5tupleIJS9_S6_EEENSD_IJSA_SA_EEENS0_18inequality_wrapperIZN2at6native12_GLOBAL__N_124unique_dim_cuda_templateIdEESt5tupleIJNSH_6TensorESM_SM_EERKSM_lbbbEUlllE0_EEPmJS6_EEE10hipError_tPvRmT3_T4_T5_T6_T7_T9_mT8_P12ihipStream_tbDpT10_ENKUlT_T0_E_clISt17integral_constantIbLb0EES1B_IbLb1EEEEDaS17_S18_EUlS17_E_NS1_11comp_targetILNS1_3genE2ELNS1_11target_archE906ELNS1_3gpuE6ELNS1_3repE0EEENS1_30default_config_static_selectorELNS0_4arch9wavefront6targetE0EEEvT1_,@function
_ZN7rocprim17ROCPRIM_400000_NS6detail17trampoline_kernelINS0_14default_configENS1_25partition_config_selectorILNS1_17partition_subalgoE8ElNS0_10empty_typeEbEEZZNS1_14partition_implILS5_8ELb0ES3_jPlPS6_PKS6_NS0_5tupleIJS9_S6_EEENSD_IJSA_SA_EEENS0_18inequality_wrapperIZN2at6native12_GLOBAL__N_124unique_dim_cuda_templateIdEESt5tupleIJNSH_6TensorESM_SM_EERKSM_lbbbEUlllE0_EEPmJS6_EEE10hipError_tPvRmT3_T4_T5_T6_T7_T9_mT8_P12ihipStream_tbDpT10_ENKUlT_T0_E_clISt17integral_constantIbLb0EES1B_IbLb1EEEEDaS17_S18_EUlS17_E_NS1_11comp_targetILNS1_3genE2ELNS1_11target_archE906ELNS1_3gpuE6ELNS1_3repE0EEENS1_30default_config_static_selectorELNS0_4arch9wavefront6targetE0EEEvT1_: ; @_ZN7rocprim17ROCPRIM_400000_NS6detail17trampoline_kernelINS0_14default_configENS1_25partition_config_selectorILNS1_17partition_subalgoE8ElNS0_10empty_typeEbEEZZNS1_14partition_implILS5_8ELb0ES3_jPlPS6_PKS6_NS0_5tupleIJS9_S6_EEENSD_IJSA_SA_EEENS0_18inequality_wrapperIZN2at6native12_GLOBAL__N_124unique_dim_cuda_templateIdEESt5tupleIJNSH_6TensorESM_SM_EERKSM_lbbbEUlllE0_EEPmJS6_EEE10hipError_tPvRmT3_T4_T5_T6_T7_T9_mT8_P12ihipStream_tbDpT10_ENKUlT_T0_E_clISt17integral_constantIbLb0EES1B_IbLb1EEEEDaS17_S18_EUlS17_E_NS1_11comp_targetILNS1_3genE2ELNS1_11target_archE906ELNS1_3gpuE6ELNS1_3repE0EEENS1_30default_config_static_selectorELNS0_4arch9wavefront6targetE0EEEvT1_
; %bb.0:
	.section	.rodata,"a",@progbits
	.p2align	6, 0x0
	.amdhsa_kernel _ZN7rocprim17ROCPRIM_400000_NS6detail17trampoline_kernelINS0_14default_configENS1_25partition_config_selectorILNS1_17partition_subalgoE8ElNS0_10empty_typeEbEEZZNS1_14partition_implILS5_8ELb0ES3_jPlPS6_PKS6_NS0_5tupleIJS9_S6_EEENSD_IJSA_SA_EEENS0_18inequality_wrapperIZN2at6native12_GLOBAL__N_124unique_dim_cuda_templateIdEESt5tupleIJNSH_6TensorESM_SM_EERKSM_lbbbEUlllE0_EEPmJS6_EEE10hipError_tPvRmT3_T4_T5_T6_T7_T9_mT8_P12ihipStream_tbDpT10_ENKUlT_T0_E_clISt17integral_constantIbLb0EES1B_IbLb1EEEEDaS17_S18_EUlS17_E_NS1_11comp_targetILNS1_3genE2ELNS1_11target_archE906ELNS1_3gpuE6ELNS1_3repE0EEENS1_30default_config_static_selectorELNS0_4arch9wavefront6targetE0EEEvT1_
		.amdhsa_group_segment_fixed_size 0
		.amdhsa_private_segment_fixed_size 0
		.amdhsa_kernarg_size 136
		.amdhsa_user_sgpr_count 2
		.amdhsa_user_sgpr_dispatch_ptr 0
		.amdhsa_user_sgpr_queue_ptr 0
		.amdhsa_user_sgpr_kernarg_segment_ptr 1
		.amdhsa_user_sgpr_dispatch_id 0
		.amdhsa_user_sgpr_kernarg_preload_length 0
		.amdhsa_user_sgpr_kernarg_preload_offset 0
		.amdhsa_user_sgpr_private_segment_size 0
		.amdhsa_wavefront_size32 1
		.amdhsa_uses_dynamic_stack 0
		.amdhsa_enable_private_segment 0
		.amdhsa_system_sgpr_workgroup_id_x 1
		.amdhsa_system_sgpr_workgroup_id_y 0
		.amdhsa_system_sgpr_workgroup_id_z 0
		.amdhsa_system_sgpr_workgroup_info 0
		.amdhsa_system_vgpr_workitem_id 0
		.amdhsa_next_free_vgpr 1
		.amdhsa_next_free_sgpr 1
		.amdhsa_named_barrier_count 0
		.amdhsa_reserve_vcc 0
		.amdhsa_float_round_mode_32 0
		.amdhsa_float_round_mode_16_64 0
		.amdhsa_float_denorm_mode_32 3
		.amdhsa_float_denorm_mode_16_64 3
		.amdhsa_fp16_overflow 0
		.amdhsa_memory_ordered 1
		.amdhsa_forward_progress 1
		.amdhsa_inst_pref_size 0
		.amdhsa_round_robin_scheduling 0
		.amdhsa_exception_fp_ieee_invalid_op 0
		.amdhsa_exception_fp_denorm_src 0
		.amdhsa_exception_fp_ieee_div_zero 0
		.amdhsa_exception_fp_ieee_overflow 0
		.amdhsa_exception_fp_ieee_underflow 0
		.amdhsa_exception_fp_ieee_inexact 0
		.amdhsa_exception_int_div_zero 0
	.end_amdhsa_kernel
	.section	.text._ZN7rocprim17ROCPRIM_400000_NS6detail17trampoline_kernelINS0_14default_configENS1_25partition_config_selectorILNS1_17partition_subalgoE8ElNS0_10empty_typeEbEEZZNS1_14partition_implILS5_8ELb0ES3_jPlPS6_PKS6_NS0_5tupleIJS9_S6_EEENSD_IJSA_SA_EEENS0_18inequality_wrapperIZN2at6native12_GLOBAL__N_124unique_dim_cuda_templateIdEESt5tupleIJNSH_6TensorESM_SM_EERKSM_lbbbEUlllE0_EEPmJS6_EEE10hipError_tPvRmT3_T4_T5_T6_T7_T9_mT8_P12ihipStream_tbDpT10_ENKUlT_T0_E_clISt17integral_constantIbLb0EES1B_IbLb1EEEEDaS17_S18_EUlS17_E_NS1_11comp_targetILNS1_3genE2ELNS1_11target_archE906ELNS1_3gpuE6ELNS1_3repE0EEENS1_30default_config_static_selectorELNS0_4arch9wavefront6targetE0EEEvT1_,"axG",@progbits,_ZN7rocprim17ROCPRIM_400000_NS6detail17trampoline_kernelINS0_14default_configENS1_25partition_config_selectorILNS1_17partition_subalgoE8ElNS0_10empty_typeEbEEZZNS1_14partition_implILS5_8ELb0ES3_jPlPS6_PKS6_NS0_5tupleIJS9_S6_EEENSD_IJSA_SA_EEENS0_18inequality_wrapperIZN2at6native12_GLOBAL__N_124unique_dim_cuda_templateIdEESt5tupleIJNSH_6TensorESM_SM_EERKSM_lbbbEUlllE0_EEPmJS6_EEE10hipError_tPvRmT3_T4_T5_T6_T7_T9_mT8_P12ihipStream_tbDpT10_ENKUlT_T0_E_clISt17integral_constantIbLb0EES1B_IbLb1EEEEDaS17_S18_EUlS17_E_NS1_11comp_targetILNS1_3genE2ELNS1_11target_archE906ELNS1_3gpuE6ELNS1_3repE0EEENS1_30default_config_static_selectorELNS0_4arch9wavefront6targetE0EEEvT1_,comdat
.Lfunc_end835:
	.size	_ZN7rocprim17ROCPRIM_400000_NS6detail17trampoline_kernelINS0_14default_configENS1_25partition_config_selectorILNS1_17partition_subalgoE8ElNS0_10empty_typeEbEEZZNS1_14partition_implILS5_8ELb0ES3_jPlPS6_PKS6_NS0_5tupleIJS9_S6_EEENSD_IJSA_SA_EEENS0_18inequality_wrapperIZN2at6native12_GLOBAL__N_124unique_dim_cuda_templateIdEESt5tupleIJNSH_6TensorESM_SM_EERKSM_lbbbEUlllE0_EEPmJS6_EEE10hipError_tPvRmT3_T4_T5_T6_T7_T9_mT8_P12ihipStream_tbDpT10_ENKUlT_T0_E_clISt17integral_constantIbLb0EES1B_IbLb1EEEEDaS17_S18_EUlS17_E_NS1_11comp_targetILNS1_3genE2ELNS1_11target_archE906ELNS1_3gpuE6ELNS1_3repE0EEENS1_30default_config_static_selectorELNS0_4arch9wavefront6targetE0EEEvT1_, .Lfunc_end835-_ZN7rocprim17ROCPRIM_400000_NS6detail17trampoline_kernelINS0_14default_configENS1_25partition_config_selectorILNS1_17partition_subalgoE8ElNS0_10empty_typeEbEEZZNS1_14partition_implILS5_8ELb0ES3_jPlPS6_PKS6_NS0_5tupleIJS9_S6_EEENSD_IJSA_SA_EEENS0_18inequality_wrapperIZN2at6native12_GLOBAL__N_124unique_dim_cuda_templateIdEESt5tupleIJNSH_6TensorESM_SM_EERKSM_lbbbEUlllE0_EEPmJS6_EEE10hipError_tPvRmT3_T4_T5_T6_T7_T9_mT8_P12ihipStream_tbDpT10_ENKUlT_T0_E_clISt17integral_constantIbLb0EES1B_IbLb1EEEEDaS17_S18_EUlS17_E_NS1_11comp_targetILNS1_3genE2ELNS1_11target_archE906ELNS1_3gpuE6ELNS1_3repE0EEENS1_30default_config_static_selectorELNS0_4arch9wavefront6targetE0EEEvT1_
                                        ; -- End function
	.set _ZN7rocprim17ROCPRIM_400000_NS6detail17trampoline_kernelINS0_14default_configENS1_25partition_config_selectorILNS1_17partition_subalgoE8ElNS0_10empty_typeEbEEZZNS1_14partition_implILS5_8ELb0ES3_jPlPS6_PKS6_NS0_5tupleIJS9_S6_EEENSD_IJSA_SA_EEENS0_18inequality_wrapperIZN2at6native12_GLOBAL__N_124unique_dim_cuda_templateIdEESt5tupleIJNSH_6TensorESM_SM_EERKSM_lbbbEUlllE0_EEPmJS6_EEE10hipError_tPvRmT3_T4_T5_T6_T7_T9_mT8_P12ihipStream_tbDpT10_ENKUlT_T0_E_clISt17integral_constantIbLb0EES1B_IbLb1EEEEDaS17_S18_EUlS17_E_NS1_11comp_targetILNS1_3genE2ELNS1_11target_archE906ELNS1_3gpuE6ELNS1_3repE0EEENS1_30default_config_static_selectorELNS0_4arch9wavefront6targetE0EEEvT1_.num_vgpr, 0
	.set _ZN7rocprim17ROCPRIM_400000_NS6detail17trampoline_kernelINS0_14default_configENS1_25partition_config_selectorILNS1_17partition_subalgoE8ElNS0_10empty_typeEbEEZZNS1_14partition_implILS5_8ELb0ES3_jPlPS6_PKS6_NS0_5tupleIJS9_S6_EEENSD_IJSA_SA_EEENS0_18inequality_wrapperIZN2at6native12_GLOBAL__N_124unique_dim_cuda_templateIdEESt5tupleIJNSH_6TensorESM_SM_EERKSM_lbbbEUlllE0_EEPmJS6_EEE10hipError_tPvRmT3_T4_T5_T6_T7_T9_mT8_P12ihipStream_tbDpT10_ENKUlT_T0_E_clISt17integral_constantIbLb0EES1B_IbLb1EEEEDaS17_S18_EUlS17_E_NS1_11comp_targetILNS1_3genE2ELNS1_11target_archE906ELNS1_3gpuE6ELNS1_3repE0EEENS1_30default_config_static_selectorELNS0_4arch9wavefront6targetE0EEEvT1_.num_agpr, 0
	.set _ZN7rocprim17ROCPRIM_400000_NS6detail17trampoline_kernelINS0_14default_configENS1_25partition_config_selectorILNS1_17partition_subalgoE8ElNS0_10empty_typeEbEEZZNS1_14partition_implILS5_8ELb0ES3_jPlPS6_PKS6_NS0_5tupleIJS9_S6_EEENSD_IJSA_SA_EEENS0_18inequality_wrapperIZN2at6native12_GLOBAL__N_124unique_dim_cuda_templateIdEESt5tupleIJNSH_6TensorESM_SM_EERKSM_lbbbEUlllE0_EEPmJS6_EEE10hipError_tPvRmT3_T4_T5_T6_T7_T9_mT8_P12ihipStream_tbDpT10_ENKUlT_T0_E_clISt17integral_constantIbLb0EES1B_IbLb1EEEEDaS17_S18_EUlS17_E_NS1_11comp_targetILNS1_3genE2ELNS1_11target_archE906ELNS1_3gpuE6ELNS1_3repE0EEENS1_30default_config_static_selectorELNS0_4arch9wavefront6targetE0EEEvT1_.numbered_sgpr, 0
	.set _ZN7rocprim17ROCPRIM_400000_NS6detail17trampoline_kernelINS0_14default_configENS1_25partition_config_selectorILNS1_17partition_subalgoE8ElNS0_10empty_typeEbEEZZNS1_14partition_implILS5_8ELb0ES3_jPlPS6_PKS6_NS0_5tupleIJS9_S6_EEENSD_IJSA_SA_EEENS0_18inequality_wrapperIZN2at6native12_GLOBAL__N_124unique_dim_cuda_templateIdEESt5tupleIJNSH_6TensorESM_SM_EERKSM_lbbbEUlllE0_EEPmJS6_EEE10hipError_tPvRmT3_T4_T5_T6_T7_T9_mT8_P12ihipStream_tbDpT10_ENKUlT_T0_E_clISt17integral_constantIbLb0EES1B_IbLb1EEEEDaS17_S18_EUlS17_E_NS1_11comp_targetILNS1_3genE2ELNS1_11target_archE906ELNS1_3gpuE6ELNS1_3repE0EEENS1_30default_config_static_selectorELNS0_4arch9wavefront6targetE0EEEvT1_.num_named_barrier, 0
	.set _ZN7rocprim17ROCPRIM_400000_NS6detail17trampoline_kernelINS0_14default_configENS1_25partition_config_selectorILNS1_17partition_subalgoE8ElNS0_10empty_typeEbEEZZNS1_14partition_implILS5_8ELb0ES3_jPlPS6_PKS6_NS0_5tupleIJS9_S6_EEENSD_IJSA_SA_EEENS0_18inequality_wrapperIZN2at6native12_GLOBAL__N_124unique_dim_cuda_templateIdEESt5tupleIJNSH_6TensorESM_SM_EERKSM_lbbbEUlllE0_EEPmJS6_EEE10hipError_tPvRmT3_T4_T5_T6_T7_T9_mT8_P12ihipStream_tbDpT10_ENKUlT_T0_E_clISt17integral_constantIbLb0EES1B_IbLb1EEEEDaS17_S18_EUlS17_E_NS1_11comp_targetILNS1_3genE2ELNS1_11target_archE906ELNS1_3gpuE6ELNS1_3repE0EEENS1_30default_config_static_selectorELNS0_4arch9wavefront6targetE0EEEvT1_.private_seg_size, 0
	.set _ZN7rocprim17ROCPRIM_400000_NS6detail17trampoline_kernelINS0_14default_configENS1_25partition_config_selectorILNS1_17partition_subalgoE8ElNS0_10empty_typeEbEEZZNS1_14partition_implILS5_8ELb0ES3_jPlPS6_PKS6_NS0_5tupleIJS9_S6_EEENSD_IJSA_SA_EEENS0_18inequality_wrapperIZN2at6native12_GLOBAL__N_124unique_dim_cuda_templateIdEESt5tupleIJNSH_6TensorESM_SM_EERKSM_lbbbEUlllE0_EEPmJS6_EEE10hipError_tPvRmT3_T4_T5_T6_T7_T9_mT8_P12ihipStream_tbDpT10_ENKUlT_T0_E_clISt17integral_constantIbLb0EES1B_IbLb1EEEEDaS17_S18_EUlS17_E_NS1_11comp_targetILNS1_3genE2ELNS1_11target_archE906ELNS1_3gpuE6ELNS1_3repE0EEENS1_30default_config_static_selectorELNS0_4arch9wavefront6targetE0EEEvT1_.uses_vcc, 0
	.set _ZN7rocprim17ROCPRIM_400000_NS6detail17trampoline_kernelINS0_14default_configENS1_25partition_config_selectorILNS1_17partition_subalgoE8ElNS0_10empty_typeEbEEZZNS1_14partition_implILS5_8ELb0ES3_jPlPS6_PKS6_NS0_5tupleIJS9_S6_EEENSD_IJSA_SA_EEENS0_18inequality_wrapperIZN2at6native12_GLOBAL__N_124unique_dim_cuda_templateIdEESt5tupleIJNSH_6TensorESM_SM_EERKSM_lbbbEUlllE0_EEPmJS6_EEE10hipError_tPvRmT3_T4_T5_T6_T7_T9_mT8_P12ihipStream_tbDpT10_ENKUlT_T0_E_clISt17integral_constantIbLb0EES1B_IbLb1EEEEDaS17_S18_EUlS17_E_NS1_11comp_targetILNS1_3genE2ELNS1_11target_archE906ELNS1_3gpuE6ELNS1_3repE0EEENS1_30default_config_static_selectorELNS0_4arch9wavefront6targetE0EEEvT1_.uses_flat_scratch, 0
	.set _ZN7rocprim17ROCPRIM_400000_NS6detail17trampoline_kernelINS0_14default_configENS1_25partition_config_selectorILNS1_17partition_subalgoE8ElNS0_10empty_typeEbEEZZNS1_14partition_implILS5_8ELb0ES3_jPlPS6_PKS6_NS0_5tupleIJS9_S6_EEENSD_IJSA_SA_EEENS0_18inequality_wrapperIZN2at6native12_GLOBAL__N_124unique_dim_cuda_templateIdEESt5tupleIJNSH_6TensorESM_SM_EERKSM_lbbbEUlllE0_EEPmJS6_EEE10hipError_tPvRmT3_T4_T5_T6_T7_T9_mT8_P12ihipStream_tbDpT10_ENKUlT_T0_E_clISt17integral_constantIbLb0EES1B_IbLb1EEEEDaS17_S18_EUlS17_E_NS1_11comp_targetILNS1_3genE2ELNS1_11target_archE906ELNS1_3gpuE6ELNS1_3repE0EEENS1_30default_config_static_selectorELNS0_4arch9wavefront6targetE0EEEvT1_.has_dyn_sized_stack, 0
	.set _ZN7rocprim17ROCPRIM_400000_NS6detail17trampoline_kernelINS0_14default_configENS1_25partition_config_selectorILNS1_17partition_subalgoE8ElNS0_10empty_typeEbEEZZNS1_14partition_implILS5_8ELb0ES3_jPlPS6_PKS6_NS0_5tupleIJS9_S6_EEENSD_IJSA_SA_EEENS0_18inequality_wrapperIZN2at6native12_GLOBAL__N_124unique_dim_cuda_templateIdEESt5tupleIJNSH_6TensorESM_SM_EERKSM_lbbbEUlllE0_EEPmJS6_EEE10hipError_tPvRmT3_T4_T5_T6_T7_T9_mT8_P12ihipStream_tbDpT10_ENKUlT_T0_E_clISt17integral_constantIbLb0EES1B_IbLb1EEEEDaS17_S18_EUlS17_E_NS1_11comp_targetILNS1_3genE2ELNS1_11target_archE906ELNS1_3gpuE6ELNS1_3repE0EEENS1_30default_config_static_selectorELNS0_4arch9wavefront6targetE0EEEvT1_.has_recursion, 0
	.set _ZN7rocprim17ROCPRIM_400000_NS6detail17trampoline_kernelINS0_14default_configENS1_25partition_config_selectorILNS1_17partition_subalgoE8ElNS0_10empty_typeEbEEZZNS1_14partition_implILS5_8ELb0ES3_jPlPS6_PKS6_NS0_5tupleIJS9_S6_EEENSD_IJSA_SA_EEENS0_18inequality_wrapperIZN2at6native12_GLOBAL__N_124unique_dim_cuda_templateIdEESt5tupleIJNSH_6TensorESM_SM_EERKSM_lbbbEUlllE0_EEPmJS6_EEE10hipError_tPvRmT3_T4_T5_T6_T7_T9_mT8_P12ihipStream_tbDpT10_ENKUlT_T0_E_clISt17integral_constantIbLb0EES1B_IbLb1EEEEDaS17_S18_EUlS17_E_NS1_11comp_targetILNS1_3genE2ELNS1_11target_archE906ELNS1_3gpuE6ELNS1_3repE0EEENS1_30default_config_static_selectorELNS0_4arch9wavefront6targetE0EEEvT1_.has_indirect_call, 0
	.section	.AMDGPU.csdata,"",@progbits
; Kernel info:
; codeLenInByte = 0
; TotalNumSgprs: 0
; NumVgprs: 0
; ScratchSize: 0
; MemoryBound: 0
; FloatMode: 240
; IeeeMode: 1
; LDSByteSize: 0 bytes/workgroup (compile time only)
; SGPRBlocks: 0
; VGPRBlocks: 0
; NumSGPRsForWavesPerEU: 1
; NumVGPRsForWavesPerEU: 1
; NamedBarCnt: 0
; Occupancy: 16
; WaveLimiterHint : 0
; COMPUTE_PGM_RSRC2:SCRATCH_EN: 0
; COMPUTE_PGM_RSRC2:USER_SGPR: 2
; COMPUTE_PGM_RSRC2:TRAP_HANDLER: 0
; COMPUTE_PGM_RSRC2:TGID_X_EN: 1
; COMPUTE_PGM_RSRC2:TGID_Y_EN: 0
; COMPUTE_PGM_RSRC2:TGID_Z_EN: 0
; COMPUTE_PGM_RSRC2:TIDIG_COMP_CNT: 0
	.section	.text._ZN7rocprim17ROCPRIM_400000_NS6detail17trampoline_kernelINS0_14default_configENS1_25partition_config_selectorILNS1_17partition_subalgoE8ElNS0_10empty_typeEbEEZZNS1_14partition_implILS5_8ELb0ES3_jPlPS6_PKS6_NS0_5tupleIJS9_S6_EEENSD_IJSA_SA_EEENS0_18inequality_wrapperIZN2at6native12_GLOBAL__N_124unique_dim_cuda_templateIdEESt5tupleIJNSH_6TensorESM_SM_EERKSM_lbbbEUlllE0_EEPmJS6_EEE10hipError_tPvRmT3_T4_T5_T6_T7_T9_mT8_P12ihipStream_tbDpT10_ENKUlT_T0_E_clISt17integral_constantIbLb0EES1B_IbLb1EEEEDaS17_S18_EUlS17_E_NS1_11comp_targetILNS1_3genE10ELNS1_11target_archE1200ELNS1_3gpuE4ELNS1_3repE0EEENS1_30default_config_static_selectorELNS0_4arch9wavefront6targetE0EEEvT1_,"axG",@progbits,_ZN7rocprim17ROCPRIM_400000_NS6detail17trampoline_kernelINS0_14default_configENS1_25partition_config_selectorILNS1_17partition_subalgoE8ElNS0_10empty_typeEbEEZZNS1_14partition_implILS5_8ELb0ES3_jPlPS6_PKS6_NS0_5tupleIJS9_S6_EEENSD_IJSA_SA_EEENS0_18inequality_wrapperIZN2at6native12_GLOBAL__N_124unique_dim_cuda_templateIdEESt5tupleIJNSH_6TensorESM_SM_EERKSM_lbbbEUlllE0_EEPmJS6_EEE10hipError_tPvRmT3_T4_T5_T6_T7_T9_mT8_P12ihipStream_tbDpT10_ENKUlT_T0_E_clISt17integral_constantIbLb0EES1B_IbLb1EEEEDaS17_S18_EUlS17_E_NS1_11comp_targetILNS1_3genE10ELNS1_11target_archE1200ELNS1_3gpuE4ELNS1_3repE0EEENS1_30default_config_static_selectorELNS0_4arch9wavefront6targetE0EEEvT1_,comdat
	.globl	_ZN7rocprim17ROCPRIM_400000_NS6detail17trampoline_kernelINS0_14default_configENS1_25partition_config_selectorILNS1_17partition_subalgoE8ElNS0_10empty_typeEbEEZZNS1_14partition_implILS5_8ELb0ES3_jPlPS6_PKS6_NS0_5tupleIJS9_S6_EEENSD_IJSA_SA_EEENS0_18inequality_wrapperIZN2at6native12_GLOBAL__N_124unique_dim_cuda_templateIdEESt5tupleIJNSH_6TensorESM_SM_EERKSM_lbbbEUlllE0_EEPmJS6_EEE10hipError_tPvRmT3_T4_T5_T6_T7_T9_mT8_P12ihipStream_tbDpT10_ENKUlT_T0_E_clISt17integral_constantIbLb0EES1B_IbLb1EEEEDaS17_S18_EUlS17_E_NS1_11comp_targetILNS1_3genE10ELNS1_11target_archE1200ELNS1_3gpuE4ELNS1_3repE0EEENS1_30default_config_static_selectorELNS0_4arch9wavefront6targetE0EEEvT1_ ; -- Begin function _ZN7rocprim17ROCPRIM_400000_NS6detail17trampoline_kernelINS0_14default_configENS1_25partition_config_selectorILNS1_17partition_subalgoE8ElNS0_10empty_typeEbEEZZNS1_14partition_implILS5_8ELb0ES3_jPlPS6_PKS6_NS0_5tupleIJS9_S6_EEENSD_IJSA_SA_EEENS0_18inequality_wrapperIZN2at6native12_GLOBAL__N_124unique_dim_cuda_templateIdEESt5tupleIJNSH_6TensorESM_SM_EERKSM_lbbbEUlllE0_EEPmJS6_EEE10hipError_tPvRmT3_T4_T5_T6_T7_T9_mT8_P12ihipStream_tbDpT10_ENKUlT_T0_E_clISt17integral_constantIbLb0EES1B_IbLb1EEEEDaS17_S18_EUlS17_E_NS1_11comp_targetILNS1_3genE10ELNS1_11target_archE1200ELNS1_3gpuE4ELNS1_3repE0EEENS1_30default_config_static_selectorELNS0_4arch9wavefront6targetE0EEEvT1_
	.p2align	8
	.type	_ZN7rocprim17ROCPRIM_400000_NS6detail17trampoline_kernelINS0_14default_configENS1_25partition_config_selectorILNS1_17partition_subalgoE8ElNS0_10empty_typeEbEEZZNS1_14partition_implILS5_8ELb0ES3_jPlPS6_PKS6_NS0_5tupleIJS9_S6_EEENSD_IJSA_SA_EEENS0_18inequality_wrapperIZN2at6native12_GLOBAL__N_124unique_dim_cuda_templateIdEESt5tupleIJNSH_6TensorESM_SM_EERKSM_lbbbEUlllE0_EEPmJS6_EEE10hipError_tPvRmT3_T4_T5_T6_T7_T9_mT8_P12ihipStream_tbDpT10_ENKUlT_T0_E_clISt17integral_constantIbLb0EES1B_IbLb1EEEEDaS17_S18_EUlS17_E_NS1_11comp_targetILNS1_3genE10ELNS1_11target_archE1200ELNS1_3gpuE4ELNS1_3repE0EEENS1_30default_config_static_selectorELNS0_4arch9wavefront6targetE0EEEvT1_,@function
_ZN7rocprim17ROCPRIM_400000_NS6detail17trampoline_kernelINS0_14default_configENS1_25partition_config_selectorILNS1_17partition_subalgoE8ElNS0_10empty_typeEbEEZZNS1_14partition_implILS5_8ELb0ES3_jPlPS6_PKS6_NS0_5tupleIJS9_S6_EEENSD_IJSA_SA_EEENS0_18inequality_wrapperIZN2at6native12_GLOBAL__N_124unique_dim_cuda_templateIdEESt5tupleIJNSH_6TensorESM_SM_EERKSM_lbbbEUlllE0_EEPmJS6_EEE10hipError_tPvRmT3_T4_T5_T6_T7_T9_mT8_P12ihipStream_tbDpT10_ENKUlT_T0_E_clISt17integral_constantIbLb0EES1B_IbLb1EEEEDaS17_S18_EUlS17_E_NS1_11comp_targetILNS1_3genE10ELNS1_11target_archE1200ELNS1_3gpuE4ELNS1_3repE0EEENS1_30default_config_static_selectorELNS0_4arch9wavefront6targetE0EEEvT1_: ; @_ZN7rocprim17ROCPRIM_400000_NS6detail17trampoline_kernelINS0_14default_configENS1_25partition_config_selectorILNS1_17partition_subalgoE8ElNS0_10empty_typeEbEEZZNS1_14partition_implILS5_8ELb0ES3_jPlPS6_PKS6_NS0_5tupleIJS9_S6_EEENSD_IJSA_SA_EEENS0_18inequality_wrapperIZN2at6native12_GLOBAL__N_124unique_dim_cuda_templateIdEESt5tupleIJNSH_6TensorESM_SM_EERKSM_lbbbEUlllE0_EEPmJS6_EEE10hipError_tPvRmT3_T4_T5_T6_T7_T9_mT8_P12ihipStream_tbDpT10_ENKUlT_T0_E_clISt17integral_constantIbLb0EES1B_IbLb1EEEEDaS17_S18_EUlS17_E_NS1_11comp_targetILNS1_3genE10ELNS1_11target_archE1200ELNS1_3gpuE4ELNS1_3repE0EEENS1_30default_config_static_selectorELNS0_4arch9wavefront6targetE0EEEvT1_
; %bb.0:
	.section	.rodata,"a",@progbits
	.p2align	6, 0x0
	.amdhsa_kernel _ZN7rocprim17ROCPRIM_400000_NS6detail17trampoline_kernelINS0_14default_configENS1_25partition_config_selectorILNS1_17partition_subalgoE8ElNS0_10empty_typeEbEEZZNS1_14partition_implILS5_8ELb0ES3_jPlPS6_PKS6_NS0_5tupleIJS9_S6_EEENSD_IJSA_SA_EEENS0_18inequality_wrapperIZN2at6native12_GLOBAL__N_124unique_dim_cuda_templateIdEESt5tupleIJNSH_6TensorESM_SM_EERKSM_lbbbEUlllE0_EEPmJS6_EEE10hipError_tPvRmT3_T4_T5_T6_T7_T9_mT8_P12ihipStream_tbDpT10_ENKUlT_T0_E_clISt17integral_constantIbLb0EES1B_IbLb1EEEEDaS17_S18_EUlS17_E_NS1_11comp_targetILNS1_3genE10ELNS1_11target_archE1200ELNS1_3gpuE4ELNS1_3repE0EEENS1_30default_config_static_selectorELNS0_4arch9wavefront6targetE0EEEvT1_
		.amdhsa_group_segment_fixed_size 0
		.amdhsa_private_segment_fixed_size 0
		.amdhsa_kernarg_size 136
		.amdhsa_user_sgpr_count 2
		.amdhsa_user_sgpr_dispatch_ptr 0
		.amdhsa_user_sgpr_queue_ptr 0
		.amdhsa_user_sgpr_kernarg_segment_ptr 1
		.amdhsa_user_sgpr_dispatch_id 0
		.amdhsa_user_sgpr_kernarg_preload_length 0
		.amdhsa_user_sgpr_kernarg_preload_offset 0
		.amdhsa_user_sgpr_private_segment_size 0
		.amdhsa_wavefront_size32 1
		.amdhsa_uses_dynamic_stack 0
		.amdhsa_enable_private_segment 0
		.amdhsa_system_sgpr_workgroup_id_x 1
		.amdhsa_system_sgpr_workgroup_id_y 0
		.amdhsa_system_sgpr_workgroup_id_z 0
		.amdhsa_system_sgpr_workgroup_info 0
		.amdhsa_system_vgpr_workitem_id 0
		.amdhsa_next_free_vgpr 1
		.amdhsa_next_free_sgpr 1
		.amdhsa_named_barrier_count 0
		.amdhsa_reserve_vcc 0
		.amdhsa_float_round_mode_32 0
		.amdhsa_float_round_mode_16_64 0
		.amdhsa_float_denorm_mode_32 3
		.amdhsa_float_denorm_mode_16_64 3
		.amdhsa_fp16_overflow 0
		.amdhsa_memory_ordered 1
		.amdhsa_forward_progress 1
		.amdhsa_inst_pref_size 0
		.amdhsa_round_robin_scheduling 0
		.amdhsa_exception_fp_ieee_invalid_op 0
		.amdhsa_exception_fp_denorm_src 0
		.amdhsa_exception_fp_ieee_div_zero 0
		.amdhsa_exception_fp_ieee_overflow 0
		.amdhsa_exception_fp_ieee_underflow 0
		.amdhsa_exception_fp_ieee_inexact 0
		.amdhsa_exception_int_div_zero 0
	.end_amdhsa_kernel
	.section	.text._ZN7rocprim17ROCPRIM_400000_NS6detail17trampoline_kernelINS0_14default_configENS1_25partition_config_selectorILNS1_17partition_subalgoE8ElNS0_10empty_typeEbEEZZNS1_14partition_implILS5_8ELb0ES3_jPlPS6_PKS6_NS0_5tupleIJS9_S6_EEENSD_IJSA_SA_EEENS0_18inequality_wrapperIZN2at6native12_GLOBAL__N_124unique_dim_cuda_templateIdEESt5tupleIJNSH_6TensorESM_SM_EERKSM_lbbbEUlllE0_EEPmJS6_EEE10hipError_tPvRmT3_T4_T5_T6_T7_T9_mT8_P12ihipStream_tbDpT10_ENKUlT_T0_E_clISt17integral_constantIbLb0EES1B_IbLb1EEEEDaS17_S18_EUlS17_E_NS1_11comp_targetILNS1_3genE10ELNS1_11target_archE1200ELNS1_3gpuE4ELNS1_3repE0EEENS1_30default_config_static_selectorELNS0_4arch9wavefront6targetE0EEEvT1_,"axG",@progbits,_ZN7rocprim17ROCPRIM_400000_NS6detail17trampoline_kernelINS0_14default_configENS1_25partition_config_selectorILNS1_17partition_subalgoE8ElNS0_10empty_typeEbEEZZNS1_14partition_implILS5_8ELb0ES3_jPlPS6_PKS6_NS0_5tupleIJS9_S6_EEENSD_IJSA_SA_EEENS0_18inequality_wrapperIZN2at6native12_GLOBAL__N_124unique_dim_cuda_templateIdEESt5tupleIJNSH_6TensorESM_SM_EERKSM_lbbbEUlllE0_EEPmJS6_EEE10hipError_tPvRmT3_T4_T5_T6_T7_T9_mT8_P12ihipStream_tbDpT10_ENKUlT_T0_E_clISt17integral_constantIbLb0EES1B_IbLb1EEEEDaS17_S18_EUlS17_E_NS1_11comp_targetILNS1_3genE10ELNS1_11target_archE1200ELNS1_3gpuE4ELNS1_3repE0EEENS1_30default_config_static_selectorELNS0_4arch9wavefront6targetE0EEEvT1_,comdat
.Lfunc_end836:
	.size	_ZN7rocprim17ROCPRIM_400000_NS6detail17trampoline_kernelINS0_14default_configENS1_25partition_config_selectorILNS1_17partition_subalgoE8ElNS0_10empty_typeEbEEZZNS1_14partition_implILS5_8ELb0ES3_jPlPS6_PKS6_NS0_5tupleIJS9_S6_EEENSD_IJSA_SA_EEENS0_18inequality_wrapperIZN2at6native12_GLOBAL__N_124unique_dim_cuda_templateIdEESt5tupleIJNSH_6TensorESM_SM_EERKSM_lbbbEUlllE0_EEPmJS6_EEE10hipError_tPvRmT3_T4_T5_T6_T7_T9_mT8_P12ihipStream_tbDpT10_ENKUlT_T0_E_clISt17integral_constantIbLb0EES1B_IbLb1EEEEDaS17_S18_EUlS17_E_NS1_11comp_targetILNS1_3genE10ELNS1_11target_archE1200ELNS1_3gpuE4ELNS1_3repE0EEENS1_30default_config_static_selectorELNS0_4arch9wavefront6targetE0EEEvT1_, .Lfunc_end836-_ZN7rocprim17ROCPRIM_400000_NS6detail17trampoline_kernelINS0_14default_configENS1_25partition_config_selectorILNS1_17partition_subalgoE8ElNS0_10empty_typeEbEEZZNS1_14partition_implILS5_8ELb0ES3_jPlPS6_PKS6_NS0_5tupleIJS9_S6_EEENSD_IJSA_SA_EEENS0_18inequality_wrapperIZN2at6native12_GLOBAL__N_124unique_dim_cuda_templateIdEESt5tupleIJNSH_6TensorESM_SM_EERKSM_lbbbEUlllE0_EEPmJS6_EEE10hipError_tPvRmT3_T4_T5_T6_T7_T9_mT8_P12ihipStream_tbDpT10_ENKUlT_T0_E_clISt17integral_constantIbLb0EES1B_IbLb1EEEEDaS17_S18_EUlS17_E_NS1_11comp_targetILNS1_3genE10ELNS1_11target_archE1200ELNS1_3gpuE4ELNS1_3repE0EEENS1_30default_config_static_selectorELNS0_4arch9wavefront6targetE0EEEvT1_
                                        ; -- End function
	.set _ZN7rocprim17ROCPRIM_400000_NS6detail17trampoline_kernelINS0_14default_configENS1_25partition_config_selectorILNS1_17partition_subalgoE8ElNS0_10empty_typeEbEEZZNS1_14partition_implILS5_8ELb0ES3_jPlPS6_PKS6_NS0_5tupleIJS9_S6_EEENSD_IJSA_SA_EEENS0_18inequality_wrapperIZN2at6native12_GLOBAL__N_124unique_dim_cuda_templateIdEESt5tupleIJNSH_6TensorESM_SM_EERKSM_lbbbEUlllE0_EEPmJS6_EEE10hipError_tPvRmT3_T4_T5_T6_T7_T9_mT8_P12ihipStream_tbDpT10_ENKUlT_T0_E_clISt17integral_constantIbLb0EES1B_IbLb1EEEEDaS17_S18_EUlS17_E_NS1_11comp_targetILNS1_3genE10ELNS1_11target_archE1200ELNS1_3gpuE4ELNS1_3repE0EEENS1_30default_config_static_selectorELNS0_4arch9wavefront6targetE0EEEvT1_.num_vgpr, 0
	.set _ZN7rocprim17ROCPRIM_400000_NS6detail17trampoline_kernelINS0_14default_configENS1_25partition_config_selectorILNS1_17partition_subalgoE8ElNS0_10empty_typeEbEEZZNS1_14partition_implILS5_8ELb0ES3_jPlPS6_PKS6_NS0_5tupleIJS9_S6_EEENSD_IJSA_SA_EEENS0_18inequality_wrapperIZN2at6native12_GLOBAL__N_124unique_dim_cuda_templateIdEESt5tupleIJNSH_6TensorESM_SM_EERKSM_lbbbEUlllE0_EEPmJS6_EEE10hipError_tPvRmT3_T4_T5_T6_T7_T9_mT8_P12ihipStream_tbDpT10_ENKUlT_T0_E_clISt17integral_constantIbLb0EES1B_IbLb1EEEEDaS17_S18_EUlS17_E_NS1_11comp_targetILNS1_3genE10ELNS1_11target_archE1200ELNS1_3gpuE4ELNS1_3repE0EEENS1_30default_config_static_selectorELNS0_4arch9wavefront6targetE0EEEvT1_.num_agpr, 0
	.set _ZN7rocprim17ROCPRIM_400000_NS6detail17trampoline_kernelINS0_14default_configENS1_25partition_config_selectorILNS1_17partition_subalgoE8ElNS0_10empty_typeEbEEZZNS1_14partition_implILS5_8ELb0ES3_jPlPS6_PKS6_NS0_5tupleIJS9_S6_EEENSD_IJSA_SA_EEENS0_18inequality_wrapperIZN2at6native12_GLOBAL__N_124unique_dim_cuda_templateIdEESt5tupleIJNSH_6TensorESM_SM_EERKSM_lbbbEUlllE0_EEPmJS6_EEE10hipError_tPvRmT3_T4_T5_T6_T7_T9_mT8_P12ihipStream_tbDpT10_ENKUlT_T0_E_clISt17integral_constantIbLb0EES1B_IbLb1EEEEDaS17_S18_EUlS17_E_NS1_11comp_targetILNS1_3genE10ELNS1_11target_archE1200ELNS1_3gpuE4ELNS1_3repE0EEENS1_30default_config_static_selectorELNS0_4arch9wavefront6targetE0EEEvT1_.numbered_sgpr, 0
	.set _ZN7rocprim17ROCPRIM_400000_NS6detail17trampoline_kernelINS0_14default_configENS1_25partition_config_selectorILNS1_17partition_subalgoE8ElNS0_10empty_typeEbEEZZNS1_14partition_implILS5_8ELb0ES3_jPlPS6_PKS6_NS0_5tupleIJS9_S6_EEENSD_IJSA_SA_EEENS0_18inequality_wrapperIZN2at6native12_GLOBAL__N_124unique_dim_cuda_templateIdEESt5tupleIJNSH_6TensorESM_SM_EERKSM_lbbbEUlllE0_EEPmJS6_EEE10hipError_tPvRmT3_T4_T5_T6_T7_T9_mT8_P12ihipStream_tbDpT10_ENKUlT_T0_E_clISt17integral_constantIbLb0EES1B_IbLb1EEEEDaS17_S18_EUlS17_E_NS1_11comp_targetILNS1_3genE10ELNS1_11target_archE1200ELNS1_3gpuE4ELNS1_3repE0EEENS1_30default_config_static_selectorELNS0_4arch9wavefront6targetE0EEEvT1_.num_named_barrier, 0
	.set _ZN7rocprim17ROCPRIM_400000_NS6detail17trampoline_kernelINS0_14default_configENS1_25partition_config_selectorILNS1_17partition_subalgoE8ElNS0_10empty_typeEbEEZZNS1_14partition_implILS5_8ELb0ES3_jPlPS6_PKS6_NS0_5tupleIJS9_S6_EEENSD_IJSA_SA_EEENS0_18inequality_wrapperIZN2at6native12_GLOBAL__N_124unique_dim_cuda_templateIdEESt5tupleIJNSH_6TensorESM_SM_EERKSM_lbbbEUlllE0_EEPmJS6_EEE10hipError_tPvRmT3_T4_T5_T6_T7_T9_mT8_P12ihipStream_tbDpT10_ENKUlT_T0_E_clISt17integral_constantIbLb0EES1B_IbLb1EEEEDaS17_S18_EUlS17_E_NS1_11comp_targetILNS1_3genE10ELNS1_11target_archE1200ELNS1_3gpuE4ELNS1_3repE0EEENS1_30default_config_static_selectorELNS0_4arch9wavefront6targetE0EEEvT1_.private_seg_size, 0
	.set _ZN7rocprim17ROCPRIM_400000_NS6detail17trampoline_kernelINS0_14default_configENS1_25partition_config_selectorILNS1_17partition_subalgoE8ElNS0_10empty_typeEbEEZZNS1_14partition_implILS5_8ELb0ES3_jPlPS6_PKS6_NS0_5tupleIJS9_S6_EEENSD_IJSA_SA_EEENS0_18inequality_wrapperIZN2at6native12_GLOBAL__N_124unique_dim_cuda_templateIdEESt5tupleIJNSH_6TensorESM_SM_EERKSM_lbbbEUlllE0_EEPmJS6_EEE10hipError_tPvRmT3_T4_T5_T6_T7_T9_mT8_P12ihipStream_tbDpT10_ENKUlT_T0_E_clISt17integral_constantIbLb0EES1B_IbLb1EEEEDaS17_S18_EUlS17_E_NS1_11comp_targetILNS1_3genE10ELNS1_11target_archE1200ELNS1_3gpuE4ELNS1_3repE0EEENS1_30default_config_static_selectorELNS0_4arch9wavefront6targetE0EEEvT1_.uses_vcc, 0
	.set _ZN7rocprim17ROCPRIM_400000_NS6detail17trampoline_kernelINS0_14default_configENS1_25partition_config_selectorILNS1_17partition_subalgoE8ElNS0_10empty_typeEbEEZZNS1_14partition_implILS5_8ELb0ES3_jPlPS6_PKS6_NS0_5tupleIJS9_S6_EEENSD_IJSA_SA_EEENS0_18inequality_wrapperIZN2at6native12_GLOBAL__N_124unique_dim_cuda_templateIdEESt5tupleIJNSH_6TensorESM_SM_EERKSM_lbbbEUlllE0_EEPmJS6_EEE10hipError_tPvRmT3_T4_T5_T6_T7_T9_mT8_P12ihipStream_tbDpT10_ENKUlT_T0_E_clISt17integral_constantIbLb0EES1B_IbLb1EEEEDaS17_S18_EUlS17_E_NS1_11comp_targetILNS1_3genE10ELNS1_11target_archE1200ELNS1_3gpuE4ELNS1_3repE0EEENS1_30default_config_static_selectorELNS0_4arch9wavefront6targetE0EEEvT1_.uses_flat_scratch, 0
	.set _ZN7rocprim17ROCPRIM_400000_NS6detail17trampoline_kernelINS0_14default_configENS1_25partition_config_selectorILNS1_17partition_subalgoE8ElNS0_10empty_typeEbEEZZNS1_14partition_implILS5_8ELb0ES3_jPlPS6_PKS6_NS0_5tupleIJS9_S6_EEENSD_IJSA_SA_EEENS0_18inequality_wrapperIZN2at6native12_GLOBAL__N_124unique_dim_cuda_templateIdEESt5tupleIJNSH_6TensorESM_SM_EERKSM_lbbbEUlllE0_EEPmJS6_EEE10hipError_tPvRmT3_T4_T5_T6_T7_T9_mT8_P12ihipStream_tbDpT10_ENKUlT_T0_E_clISt17integral_constantIbLb0EES1B_IbLb1EEEEDaS17_S18_EUlS17_E_NS1_11comp_targetILNS1_3genE10ELNS1_11target_archE1200ELNS1_3gpuE4ELNS1_3repE0EEENS1_30default_config_static_selectorELNS0_4arch9wavefront6targetE0EEEvT1_.has_dyn_sized_stack, 0
	.set _ZN7rocprim17ROCPRIM_400000_NS6detail17trampoline_kernelINS0_14default_configENS1_25partition_config_selectorILNS1_17partition_subalgoE8ElNS0_10empty_typeEbEEZZNS1_14partition_implILS5_8ELb0ES3_jPlPS6_PKS6_NS0_5tupleIJS9_S6_EEENSD_IJSA_SA_EEENS0_18inequality_wrapperIZN2at6native12_GLOBAL__N_124unique_dim_cuda_templateIdEESt5tupleIJNSH_6TensorESM_SM_EERKSM_lbbbEUlllE0_EEPmJS6_EEE10hipError_tPvRmT3_T4_T5_T6_T7_T9_mT8_P12ihipStream_tbDpT10_ENKUlT_T0_E_clISt17integral_constantIbLb0EES1B_IbLb1EEEEDaS17_S18_EUlS17_E_NS1_11comp_targetILNS1_3genE10ELNS1_11target_archE1200ELNS1_3gpuE4ELNS1_3repE0EEENS1_30default_config_static_selectorELNS0_4arch9wavefront6targetE0EEEvT1_.has_recursion, 0
	.set _ZN7rocprim17ROCPRIM_400000_NS6detail17trampoline_kernelINS0_14default_configENS1_25partition_config_selectorILNS1_17partition_subalgoE8ElNS0_10empty_typeEbEEZZNS1_14partition_implILS5_8ELb0ES3_jPlPS6_PKS6_NS0_5tupleIJS9_S6_EEENSD_IJSA_SA_EEENS0_18inequality_wrapperIZN2at6native12_GLOBAL__N_124unique_dim_cuda_templateIdEESt5tupleIJNSH_6TensorESM_SM_EERKSM_lbbbEUlllE0_EEPmJS6_EEE10hipError_tPvRmT3_T4_T5_T6_T7_T9_mT8_P12ihipStream_tbDpT10_ENKUlT_T0_E_clISt17integral_constantIbLb0EES1B_IbLb1EEEEDaS17_S18_EUlS17_E_NS1_11comp_targetILNS1_3genE10ELNS1_11target_archE1200ELNS1_3gpuE4ELNS1_3repE0EEENS1_30default_config_static_selectorELNS0_4arch9wavefront6targetE0EEEvT1_.has_indirect_call, 0
	.section	.AMDGPU.csdata,"",@progbits
; Kernel info:
; codeLenInByte = 0
; TotalNumSgprs: 0
; NumVgprs: 0
; ScratchSize: 0
; MemoryBound: 0
; FloatMode: 240
; IeeeMode: 1
; LDSByteSize: 0 bytes/workgroup (compile time only)
; SGPRBlocks: 0
; VGPRBlocks: 0
; NumSGPRsForWavesPerEU: 1
; NumVGPRsForWavesPerEU: 1
; NamedBarCnt: 0
; Occupancy: 16
; WaveLimiterHint : 0
; COMPUTE_PGM_RSRC2:SCRATCH_EN: 0
; COMPUTE_PGM_RSRC2:USER_SGPR: 2
; COMPUTE_PGM_RSRC2:TRAP_HANDLER: 0
; COMPUTE_PGM_RSRC2:TGID_X_EN: 1
; COMPUTE_PGM_RSRC2:TGID_Y_EN: 0
; COMPUTE_PGM_RSRC2:TGID_Z_EN: 0
; COMPUTE_PGM_RSRC2:TIDIG_COMP_CNT: 0
	.section	.text._ZN7rocprim17ROCPRIM_400000_NS6detail17trampoline_kernelINS0_14default_configENS1_25partition_config_selectorILNS1_17partition_subalgoE8ElNS0_10empty_typeEbEEZZNS1_14partition_implILS5_8ELb0ES3_jPlPS6_PKS6_NS0_5tupleIJS9_S6_EEENSD_IJSA_SA_EEENS0_18inequality_wrapperIZN2at6native12_GLOBAL__N_124unique_dim_cuda_templateIdEESt5tupleIJNSH_6TensorESM_SM_EERKSM_lbbbEUlllE0_EEPmJS6_EEE10hipError_tPvRmT3_T4_T5_T6_T7_T9_mT8_P12ihipStream_tbDpT10_ENKUlT_T0_E_clISt17integral_constantIbLb0EES1B_IbLb1EEEEDaS17_S18_EUlS17_E_NS1_11comp_targetILNS1_3genE9ELNS1_11target_archE1100ELNS1_3gpuE3ELNS1_3repE0EEENS1_30default_config_static_selectorELNS0_4arch9wavefront6targetE0EEEvT1_,"axG",@progbits,_ZN7rocprim17ROCPRIM_400000_NS6detail17trampoline_kernelINS0_14default_configENS1_25partition_config_selectorILNS1_17partition_subalgoE8ElNS0_10empty_typeEbEEZZNS1_14partition_implILS5_8ELb0ES3_jPlPS6_PKS6_NS0_5tupleIJS9_S6_EEENSD_IJSA_SA_EEENS0_18inequality_wrapperIZN2at6native12_GLOBAL__N_124unique_dim_cuda_templateIdEESt5tupleIJNSH_6TensorESM_SM_EERKSM_lbbbEUlllE0_EEPmJS6_EEE10hipError_tPvRmT3_T4_T5_T6_T7_T9_mT8_P12ihipStream_tbDpT10_ENKUlT_T0_E_clISt17integral_constantIbLb0EES1B_IbLb1EEEEDaS17_S18_EUlS17_E_NS1_11comp_targetILNS1_3genE9ELNS1_11target_archE1100ELNS1_3gpuE3ELNS1_3repE0EEENS1_30default_config_static_selectorELNS0_4arch9wavefront6targetE0EEEvT1_,comdat
	.globl	_ZN7rocprim17ROCPRIM_400000_NS6detail17trampoline_kernelINS0_14default_configENS1_25partition_config_selectorILNS1_17partition_subalgoE8ElNS0_10empty_typeEbEEZZNS1_14partition_implILS5_8ELb0ES3_jPlPS6_PKS6_NS0_5tupleIJS9_S6_EEENSD_IJSA_SA_EEENS0_18inequality_wrapperIZN2at6native12_GLOBAL__N_124unique_dim_cuda_templateIdEESt5tupleIJNSH_6TensorESM_SM_EERKSM_lbbbEUlllE0_EEPmJS6_EEE10hipError_tPvRmT3_T4_T5_T6_T7_T9_mT8_P12ihipStream_tbDpT10_ENKUlT_T0_E_clISt17integral_constantIbLb0EES1B_IbLb1EEEEDaS17_S18_EUlS17_E_NS1_11comp_targetILNS1_3genE9ELNS1_11target_archE1100ELNS1_3gpuE3ELNS1_3repE0EEENS1_30default_config_static_selectorELNS0_4arch9wavefront6targetE0EEEvT1_ ; -- Begin function _ZN7rocprim17ROCPRIM_400000_NS6detail17trampoline_kernelINS0_14default_configENS1_25partition_config_selectorILNS1_17partition_subalgoE8ElNS0_10empty_typeEbEEZZNS1_14partition_implILS5_8ELb0ES3_jPlPS6_PKS6_NS0_5tupleIJS9_S6_EEENSD_IJSA_SA_EEENS0_18inequality_wrapperIZN2at6native12_GLOBAL__N_124unique_dim_cuda_templateIdEESt5tupleIJNSH_6TensorESM_SM_EERKSM_lbbbEUlllE0_EEPmJS6_EEE10hipError_tPvRmT3_T4_T5_T6_T7_T9_mT8_P12ihipStream_tbDpT10_ENKUlT_T0_E_clISt17integral_constantIbLb0EES1B_IbLb1EEEEDaS17_S18_EUlS17_E_NS1_11comp_targetILNS1_3genE9ELNS1_11target_archE1100ELNS1_3gpuE3ELNS1_3repE0EEENS1_30default_config_static_selectorELNS0_4arch9wavefront6targetE0EEEvT1_
	.p2align	8
	.type	_ZN7rocprim17ROCPRIM_400000_NS6detail17trampoline_kernelINS0_14default_configENS1_25partition_config_selectorILNS1_17partition_subalgoE8ElNS0_10empty_typeEbEEZZNS1_14partition_implILS5_8ELb0ES3_jPlPS6_PKS6_NS0_5tupleIJS9_S6_EEENSD_IJSA_SA_EEENS0_18inequality_wrapperIZN2at6native12_GLOBAL__N_124unique_dim_cuda_templateIdEESt5tupleIJNSH_6TensorESM_SM_EERKSM_lbbbEUlllE0_EEPmJS6_EEE10hipError_tPvRmT3_T4_T5_T6_T7_T9_mT8_P12ihipStream_tbDpT10_ENKUlT_T0_E_clISt17integral_constantIbLb0EES1B_IbLb1EEEEDaS17_S18_EUlS17_E_NS1_11comp_targetILNS1_3genE9ELNS1_11target_archE1100ELNS1_3gpuE3ELNS1_3repE0EEENS1_30default_config_static_selectorELNS0_4arch9wavefront6targetE0EEEvT1_,@function
_ZN7rocprim17ROCPRIM_400000_NS6detail17trampoline_kernelINS0_14default_configENS1_25partition_config_selectorILNS1_17partition_subalgoE8ElNS0_10empty_typeEbEEZZNS1_14partition_implILS5_8ELb0ES3_jPlPS6_PKS6_NS0_5tupleIJS9_S6_EEENSD_IJSA_SA_EEENS0_18inequality_wrapperIZN2at6native12_GLOBAL__N_124unique_dim_cuda_templateIdEESt5tupleIJNSH_6TensorESM_SM_EERKSM_lbbbEUlllE0_EEPmJS6_EEE10hipError_tPvRmT3_T4_T5_T6_T7_T9_mT8_P12ihipStream_tbDpT10_ENKUlT_T0_E_clISt17integral_constantIbLb0EES1B_IbLb1EEEEDaS17_S18_EUlS17_E_NS1_11comp_targetILNS1_3genE9ELNS1_11target_archE1100ELNS1_3gpuE3ELNS1_3repE0EEENS1_30default_config_static_selectorELNS0_4arch9wavefront6targetE0EEEvT1_: ; @_ZN7rocprim17ROCPRIM_400000_NS6detail17trampoline_kernelINS0_14default_configENS1_25partition_config_selectorILNS1_17partition_subalgoE8ElNS0_10empty_typeEbEEZZNS1_14partition_implILS5_8ELb0ES3_jPlPS6_PKS6_NS0_5tupleIJS9_S6_EEENSD_IJSA_SA_EEENS0_18inequality_wrapperIZN2at6native12_GLOBAL__N_124unique_dim_cuda_templateIdEESt5tupleIJNSH_6TensorESM_SM_EERKSM_lbbbEUlllE0_EEPmJS6_EEE10hipError_tPvRmT3_T4_T5_T6_T7_T9_mT8_P12ihipStream_tbDpT10_ENKUlT_T0_E_clISt17integral_constantIbLb0EES1B_IbLb1EEEEDaS17_S18_EUlS17_E_NS1_11comp_targetILNS1_3genE9ELNS1_11target_archE1100ELNS1_3gpuE3ELNS1_3repE0EEENS1_30default_config_static_selectorELNS0_4arch9wavefront6targetE0EEEvT1_
; %bb.0:
	.section	.rodata,"a",@progbits
	.p2align	6, 0x0
	.amdhsa_kernel _ZN7rocprim17ROCPRIM_400000_NS6detail17trampoline_kernelINS0_14default_configENS1_25partition_config_selectorILNS1_17partition_subalgoE8ElNS0_10empty_typeEbEEZZNS1_14partition_implILS5_8ELb0ES3_jPlPS6_PKS6_NS0_5tupleIJS9_S6_EEENSD_IJSA_SA_EEENS0_18inequality_wrapperIZN2at6native12_GLOBAL__N_124unique_dim_cuda_templateIdEESt5tupleIJNSH_6TensorESM_SM_EERKSM_lbbbEUlllE0_EEPmJS6_EEE10hipError_tPvRmT3_T4_T5_T6_T7_T9_mT8_P12ihipStream_tbDpT10_ENKUlT_T0_E_clISt17integral_constantIbLb0EES1B_IbLb1EEEEDaS17_S18_EUlS17_E_NS1_11comp_targetILNS1_3genE9ELNS1_11target_archE1100ELNS1_3gpuE3ELNS1_3repE0EEENS1_30default_config_static_selectorELNS0_4arch9wavefront6targetE0EEEvT1_
		.amdhsa_group_segment_fixed_size 0
		.amdhsa_private_segment_fixed_size 0
		.amdhsa_kernarg_size 136
		.amdhsa_user_sgpr_count 2
		.amdhsa_user_sgpr_dispatch_ptr 0
		.amdhsa_user_sgpr_queue_ptr 0
		.amdhsa_user_sgpr_kernarg_segment_ptr 1
		.amdhsa_user_sgpr_dispatch_id 0
		.amdhsa_user_sgpr_kernarg_preload_length 0
		.amdhsa_user_sgpr_kernarg_preload_offset 0
		.amdhsa_user_sgpr_private_segment_size 0
		.amdhsa_wavefront_size32 1
		.amdhsa_uses_dynamic_stack 0
		.amdhsa_enable_private_segment 0
		.amdhsa_system_sgpr_workgroup_id_x 1
		.amdhsa_system_sgpr_workgroup_id_y 0
		.amdhsa_system_sgpr_workgroup_id_z 0
		.amdhsa_system_sgpr_workgroup_info 0
		.amdhsa_system_vgpr_workitem_id 0
		.amdhsa_next_free_vgpr 1
		.amdhsa_next_free_sgpr 1
		.amdhsa_named_barrier_count 0
		.amdhsa_reserve_vcc 0
		.amdhsa_float_round_mode_32 0
		.amdhsa_float_round_mode_16_64 0
		.amdhsa_float_denorm_mode_32 3
		.amdhsa_float_denorm_mode_16_64 3
		.amdhsa_fp16_overflow 0
		.amdhsa_memory_ordered 1
		.amdhsa_forward_progress 1
		.amdhsa_inst_pref_size 0
		.amdhsa_round_robin_scheduling 0
		.amdhsa_exception_fp_ieee_invalid_op 0
		.amdhsa_exception_fp_denorm_src 0
		.amdhsa_exception_fp_ieee_div_zero 0
		.amdhsa_exception_fp_ieee_overflow 0
		.amdhsa_exception_fp_ieee_underflow 0
		.amdhsa_exception_fp_ieee_inexact 0
		.amdhsa_exception_int_div_zero 0
	.end_amdhsa_kernel
	.section	.text._ZN7rocprim17ROCPRIM_400000_NS6detail17trampoline_kernelINS0_14default_configENS1_25partition_config_selectorILNS1_17partition_subalgoE8ElNS0_10empty_typeEbEEZZNS1_14partition_implILS5_8ELb0ES3_jPlPS6_PKS6_NS0_5tupleIJS9_S6_EEENSD_IJSA_SA_EEENS0_18inequality_wrapperIZN2at6native12_GLOBAL__N_124unique_dim_cuda_templateIdEESt5tupleIJNSH_6TensorESM_SM_EERKSM_lbbbEUlllE0_EEPmJS6_EEE10hipError_tPvRmT3_T4_T5_T6_T7_T9_mT8_P12ihipStream_tbDpT10_ENKUlT_T0_E_clISt17integral_constantIbLb0EES1B_IbLb1EEEEDaS17_S18_EUlS17_E_NS1_11comp_targetILNS1_3genE9ELNS1_11target_archE1100ELNS1_3gpuE3ELNS1_3repE0EEENS1_30default_config_static_selectorELNS0_4arch9wavefront6targetE0EEEvT1_,"axG",@progbits,_ZN7rocprim17ROCPRIM_400000_NS6detail17trampoline_kernelINS0_14default_configENS1_25partition_config_selectorILNS1_17partition_subalgoE8ElNS0_10empty_typeEbEEZZNS1_14partition_implILS5_8ELb0ES3_jPlPS6_PKS6_NS0_5tupleIJS9_S6_EEENSD_IJSA_SA_EEENS0_18inequality_wrapperIZN2at6native12_GLOBAL__N_124unique_dim_cuda_templateIdEESt5tupleIJNSH_6TensorESM_SM_EERKSM_lbbbEUlllE0_EEPmJS6_EEE10hipError_tPvRmT3_T4_T5_T6_T7_T9_mT8_P12ihipStream_tbDpT10_ENKUlT_T0_E_clISt17integral_constantIbLb0EES1B_IbLb1EEEEDaS17_S18_EUlS17_E_NS1_11comp_targetILNS1_3genE9ELNS1_11target_archE1100ELNS1_3gpuE3ELNS1_3repE0EEENS1_30default_config_static_selectorELNS0_4arch9wavefront6targetE0EEEvT1_,comdat
.Lfunc_end837:
	.size	_ZN7rocprim17ROCPRIM_400000_NS6detail17trampoline_kernelINS0_14default_configENS1_25partition_config_selectorILNS1_17partition_subalgoE8ElNS0_10empty_typeEbEEZZNS1_14partition_implILS5_8ELb0ES3_jPlPS6_PKS6_NS0_5tupleIJS9_S6_EEENSD_IJSA_SA_EEENS0_18inequality_wrapperIZN2at6native12_GLOBAL__N_124unique_dim_cuda_templateIdEESt5tupleIJNSH_6TensorESM_SM_EERKSM_lbbbEUlllE0_EEPmJS6_EEE10hipError_tPvRmT3_T4_T5_T6_T7_T9_mT8_P12ihipStream_tbDpT10_ENKUlT_T0_E_clISt17integral_constantIbLb0EES1B_IbLb1EEEEDaS17_S18_EUlS17_E_NS1_11comp_targetILNS1_3genE9ELNS1_11target_archE1100ELNS1_3gpuE3ELNS1_3repE0EEENS1_30default_config_static_selectorELNS0_4arch9wavefront6targetE0EEEvT1_, .Lfunc_end837-_ZN7rocprim17ROCPRIM_400000_NS6detail17trampoline_kernelINS0_14default_configENS1_25partition_config_selectorILNS1_17partition_subalgoE8ElNS0_10empty_typeEbEEZZNS1_14partition_implILS5_8ELb0ES3_jPlPS6_PKS6_NS0_5tupleIJS9_S6_EEENSD_IJSA_SA_EEENS0_18inequality_wrapperIZN2at6native12_GLOBAL__N_124unique_dim_cuda_templateIdEESt5tupleIJNSH_6TensorESM_SM_EERKSM_lbbbEUlllE0_EEPmJS6_EEE10hipError_tPvRmT3_T4_T5_T6_T7_T9_mT8_P12ihipStream_tbDpT10_ENKUlT_T0_E_clISt17integral_constantIbLb0EES1B_IbLb1EEEEDaS17_S18_EUlS17_E_NS1_11comp_targetILNS1_3genE9ELNS1_11target_archE1100ELNS1_3gpuE3ELNS1_3repE0EEENS1_30default_config_static_selectorELNS0_4arch9wavefront6targetE0EEEvT1_
                                        ; -- End function
	.set _ZN7rocprim17ROCPRIM_400000_NS6detail17trampoline_kernelINS0_14default_configENS1_25partition_config_selectorILNS1_17partition_subalgoE8ElNS0_10empty_typeEbEEZZNS1_14partition_implILS5_8ELb0ES3_jPlPS6_PKS6_NS0_5tupleIJS9_S6_EEENSD_IJSA_SA_EEENS0_18inequality_wrapperIZN2at6native12_GLOBAL__N_124unique_dim_cuda_templateIdEESt5tupleIJNSH_6TensorESM_SM_EERKSM_lbbbEUlllE0_EEPmJS6_EEE10hipError_tPvRmT3_T4_T5_T6_T7_T9_mT8_P12ihipStream_tbDpT10_ENKUlT_T0_E_clISt17integral_constantIbLb0EES1B_IbLb1EEEEDaS17_S18_EUlS17_E_NS1_11comp_targetILNS1_3genE9ELNS1_11target_archE1100ELNS1_3gpuE3ELNS1_3repE0EEENS1_30default_config_static_selectorELNS0_4arch9wavefront6targetE0EEEvT1_.num_vgpr, 0
	.set _ZN7rocprim17ROCPRIM_400000_NS6detail17trampoline_kernelINS0_14default_configENS1_25partition_config_selectorILNS1_17partition_subalgoE8ElNS0_10empty_typeEbEEZZNS1_14partition_implILS5_8ELb0ES3_jPlPS6_PKS6_NS0_5tupleIJS9_S6_EEENSD_IJSA_SA_EEENS0_18inequality_wrapperIZN2at6native12_GLOBAL__N_124unique_dim_cuda_templateIdEESt5tupleIJNSH_6TensorESM_SM_EERKSM_lbbbEUlllE0_EEPmJS6_EEE10hipError_tPvRmT3_T4_T5_T6_T7_T9_mT8_P12ihipStream_tbDpT10_ENKUlT_T0_E_clISt17integral_constantIbLb0EES1B_IbLb1EEEEDaS17_S18_EUlS17_E_NS1_11comp_targetILNS1_3genE9ELNS1_11target_archE1100ELNS1_3gpuE3ELNS1_3repE0EEENS1_30default_config_static_selectorELNS0_4arch9wavefront6targetE0EEEvT1_.num_agpr, 0
	.set _ZN7rocprim17ROCPRIM_400000_NS6detail17trampoline_kernelINS0_14default_configENS1_25partition_config_selectorILNS1_17partition_subalgoE8ElNS0_10empty_typeEbEEZZNS1_14partition_implILS5_8ELb0ES3_jPlPS6_PKS6_NS0_5tupleIJS9_S6_EEENSD_IJSA_SA_EEENS0_18inequality_wrapperIZN2at6native12_GLOBAL__N_124unique_dim_cuda_templateIdEESt5tupleIJNSH_6TensorESM_SM_EERKSM_lbbbEUlllE0_EEPmJS6_EEE10hipError_tPvRmT3_T4_T5_T6_T7_T9_mT8_P12ihipStream_tbDpT10_ENKUlT_T0_E_clISt17integral_constantIbLb0EES1B_IbLb1EEEEDaS17_S18_EUlS17_E_NS1_11comp_targetILNS1_3genE9ELNS1_11target_archE1100ELNS1_3gpuE3ELNS1_3repE0EEENS1_30default_config_static_selectorELNS0_4arch9wavefront6targetE0EEEvT1_.numbered_sgpr, 0
	.set _ZN7rocprim17ROCPRIM_400000_NS6detail17trampoline_kernelINS0_14default_configENS1_25partition_config_selectorILNS1_17partition_subalgoE8ElNS0_10empty_typeEbEEZZNS1_14partition_implILS5_8ELb0ES3_jPlPS6_PKS6_NS0_5tupleIJS9_S6_EEENSD_IJSA_SA_EEENS0_18inequality_wrapperIZN2at6native12_GLOBAL__N_124unique_dim_cuda_templateIdEESt5tupleIJNSH_6TensorESM_SM_EERKSM_lbbbEUlllE0_EEPmJS6_EEE10hipError_tPvRmT3_T4_T5_T6_T7_T9_mT8_P12ihipStream_tbDpT10_ENKUlT_T0_E_clISt17integral_constantIbLb0EES1B_IbLb1EEEEDaS17_S18_EUlS17_E_NS1_11comp_targetILNS1_3genE9ELNS1_11target_archE1100ELNS1_3gpuE3ELNS1_3repE0EEENS1_30default_config_static_selectorELNS0_4arch9wavefront6targetE0EEEvT1_.num_named_barrier, 0
	.set _ZN7rocprim17ROCPRIM_400000_NS6detail17trampoline_kernelINS0_14default_configENS1_25partition_config_selectorILNS1_17partition_subalgoE8ElNS0_10empty_typeEbEEZZNS1_14partition_implILS5_8ELb0ES3_jPlPS6_PKS6_NS0_5tupleIJS9_S6_EEENSD_IJSA_SA_EEENS0_18inequality_wrapperIZN2at6native12_GLOBAL__N_124unique_dim_cuda_templateIdEESt5tupleIJNSH_6TensorESM_SM_EERKSM_lbbbEUlllE0_EEPmJS6_EEE10hipError_tPvRmT3_T4_T5_T6_T7_T9_mT8_P12ihipStream_tbDpT10_ENKUlT_T0_E_clISt17integral_constantIbLb0EES1B_IbLb1EEEEDaS17_S18_EUlS17_E_NS1_11comp_targetILNS1_3genE9ELNS1_11target_archE1100ELNS1_3gpuE3ELNS1_3repE0EEENS1_30default_config_static_selectorELNS0_4arch9wavefront6targetE0EEEvT1_.private_seg_size, 0
	.set _ZN7rocprim17ROCPRIM_400000_NS6detail17trampoline_kernelINS0_14default_configENS1_25partition_config_selectorILNS1_17partition_subalgoE8ElNS0_10empty_typeEbEEZZNS1_14partition_implILS5_8ELb0ES3_jPlPS6_PKS6_NS0_5tupleIJS9_S6_EEENSD_IJSA_SA_EEENS0_18inequality_wrapperIZN2at6native12_GLOBAL__N_124unique_dim_cuda_templateIdEESt5tupleIJNSH_6TensorESM_SM_EERKSM_lbbbEUlllE0_EEPmJS6_EEE10hipError_tPvRmT3_T4_T5_T6_T7_T9_mT8_P12ihipStream_tbDpT10_ENKUlT_T0_E_clISt17integral_constantIbLb0EES1B_IbLb1EEEEDaS17_S18_EUlS17_E_NS1_11comp_targetILNS1_3genE9ELNS1_11target_archE1100ELNS1_3gpuE3ELNS1_3repE0EEENS1_30default_config_static_selectorELNS0_4arch9wavefront6targetE0EEEvT1_.uses_vcc, 0
	.set _ZN7rocprim17ROCPRIM_400000_NS6detail17trampoline_kernelINS0_14default_configENS1_25partition_config_selectorILNS1_17partition_subalgoE8ElNS0_10empty_typeEbEEZZNS1_14partition_implILS5_8ELb0ES3_jPlPS6_PKS6_NS0_5tupleIJS9_S6_EEENSD_IJSA_SA_EEENS0_18inequality_wrapperIZN2at6native12_GLOBAL__N_124unique_dim_cuda_templateIdEESt5tupleIJNSH_6TensorESM_SM_EERKSM_lbbbEUlllE0_EEPmJS6_EEE10hipError_tPvRmT3_T4_T5_T6_T7_T9_mT8_P12ihipStream_tbDpT10_ENKUlT_T0_E_clISt17integral_constantIbLb0EES1B_IbLb1EEEEDaS17_S18_EUlS17_E_NS1_11comp_targetILNS1_3genE9ELNS1_11target_archE1100ELNS1_3gpuE3ELNS1_3repE0EEENS1_30default_config_static_selectorELNS0_4arch9wavefront6targetE0EEEvT1_.uses_flat_scratch, 0
	.set _ZN7rocprim17ROCPRIM_400000_NS6detail17trampoline_kernelINS0_14default_configENS1_25partition_config_selectorILNS1_17partition_subalgoE8ElNS0_10empty_typeEbEEZZNS1_14partition_implILS5_8ELb0ES3_jPlPS6_PKS6_NS0_5tupleIJS9_S6_EEENSD_IJSA_SA_EEENS0_18inequality_wrapperIZN2at6native12_GLOBAL__N_124unique_dim_cuda_templateIdEESt5tupleIJNSH_6TensorESM_SM_EERKSM_lbbbEUlllE0_EEPmJS6_EEE10hipError_tPvRmT3_T4_T5_T6_T7_T9_mT8_P12ihipStream_tbDpT10_ENKUlT_T0_E_clISt17integral_constantIbLb0EES1B_IbLb1EEEEDaS17_S18_EUlS17_E_NS1_11comp_targetILNS1_3genE9ELNS1_11target_archE1100ELNS1_3gpuE3ELNS1_3repE0EEENS1_30default_config_static_selectorELNS0_4arch9wavefront6targetE0EEEvT1_.has_dyn_sized_stack, 0
	.set _ZN7rocprim17ROCPRIM_400000_NS6detail17trampoline_kernelINS0_14default_configENS1_25partition_config_selectorILNS1_17partition_subalgoE8ElNS0_10empty_typeEbEEZZNS1_14partition_implILS5_8ELb0ES3_jPlPS6_PKS6_NS0_5tupleIJS9_S6_EEENSD_IJSA_SA_EEENS0_18inequality_wrapperIZN2at6native12_GLOBAL__N_124unique_dim_cuda_templateIdEESt5tupleIJNSH_6TensorESM_SM_EERKSM_lbbbEUlllE0_EEPmJS6_EEE10hipError_tPvRmT3_T4_T5_T6_T7_T9_mT8_P12ihipStream_tbDpT10_ENKUlT_T0_E_clISt17integral_constantIbLb0EES1B_IbLb1EEEEDaS17_S18_EUlS17_E_NS1_11comp_targetILNS1_3genE9ELNS1_11target_archE1100ELNS1_3gpuE3ELNS1_3repE0EEENS1_30default_config_static_selectorELNS0_4arch9wavefront6targetE0EEEvT1_.has_recursion, 0
	.set _ZN7rocprim17ROCPRIM_400000_NS6detail17trampoline_kernelINS0_14default_configENS1_25partition_config_selectorILNS1_17partition_subalgoE8ElNS0_10empty_typeEbEEZZNS1_14partition_implILS5_8ELb0ES3_jPlPS6_PKS6_NS0_5tupleIJS9_S6_EEENSD_IJSA_SA_EEENS0_18inequality_wrapperIZN2at6native12_GLOBAL__N_124unique_dim_cuda_templateIdEESt5tupleIJNSH_6TensorESM_SM_EERKSM_lbbbEUlllE0_EEPmJS6_EEE10hipError_tPvRmT3_T4_T5_T6_T7_T9_mT8_P12ihipStream_tbDpT10_ENKUlT_T0_E_clISt17integral_constantIbLb0EES1B_IbLb1EEEEDaS17_S18_EUlS17_E_NS1_11comp_targetILNS1_3genE9ELNS1_11target_archE1100ELNS1_3gpuE3ELNS1_3repE0EEENS1_30default_config_static_selectorELNS0_4arch9wavefront6targetE0EEEvT1_.has_indirect_call, 0
	.section	.AMDGPU.csdata,"",@progbits
; Kernel info:
; codeLenInByte = 0
; TotalNumSgprs: 0
; NumVgprs: 0
; ScratchSize: 0
; MemoryBound: 0
; FloatMode: 240
; IeeeMode: 1
; LDSByteSize: 0 bytes/workgroup (compile time only)
; SGPRBlocks: 0
; VGPRBlocks: 0
; NumSGPRsForWavesPerEU: 1
; NumVGPRsForWavesPerEU: 1
; NamedBarCnt: 0
; Occupancy: 16
; WaveLimiterHint : 0
; COMPUTE_PGM_RSRC2:SCRATCH_EN: 0
; COMPUTE_PGM_RSRC2:USER_SGPR: 2
; COMPUTE_PGM_RSRC2:TRAP_HANDLER: 0
; COMPUTE_PGM_RSRC2:TGID_X_EN: 1
; COMPUTE_PGM_RSRC2:TGID_Y_EN: 0
; COMPUTE_PGM_RSRC2:TGID_Z_EN: 0
; COMPUTE_PGM_RSRC2:TIDIG_COMP_CNT: 0
	.section	.text._ZN7rocprim17ROCPRIM_400000_NS6detail17trampoline_kernelINS0_14default_configENS1_25partition_config_selectorILNS1_17partition_subalgoE8ElNS0_10empty_typeEbEEZZNS1_14partition_implILS5_8ELb0ES3_jPlPS6_PKS6_NS0_5tupleIJS9_S6_EEENSD_IJSA_SA_EEENS0_18inequality_wrapperIZN2at6native12_GLOBAL__N_124unique_dim_cuda_templateIdEESt5tupleIJNSH_6TensorESM_SM_EERKSM_lbbbEUlllE0_EEPmJS6_EEE10hipError_tPvRmT3_T4_T5_T6_T7_T9_mT8_P12ihipStream_tbDpT10_ENKUlT_T0_E_clISt17integral_constantIbLb0EES1B_IbLb1EEEEDaS17_S18_EUlS17_E_NS1_11comp_targetILNS1_3genE8ELNS1_11target_archE1030ELNS1_3gpuE2ELNS1_3repE0EEENS1_30default_config_static_selectorELNS0_4arch9wavefront6targetE0EEEvT1_,"axG",@progbits,_ZN7rocprim17ROCPRIM_400000_NS6detail17trampoline_kernelINS0_14default_configENS1_25partition_config_selectorILNS1_17partition_subalgoE8ElNS0_10empty_typeEbEEZZNS1_14partition_implILS5_8ELb0ES3_jPlPS6_PKS6_NS0_5tupleIJS9_S6_EEENSD_IJSA_SA_EEENS0_18inequality_wrapperIZN2at6native12_GLOBAL__N_124unique_dim_cuda_templateIdEESt5tupleIJNSH_6TensorESM_SM_EERKSM_lbbbEUlllE0_EEPmJS6_EEE10hipError_tPvRmT3_T4_T5_T6_T7_T9_mT8_P12ihipStream_tbDpT10_ENKUlT_T0_E_clISt17integral_constantIbLb0EES1B_IbLb1EEEEDaS17_S18_EUlS17_E_NS1_11comp_targetILNS1_3genE8ELNS1_11target_archE1030ELNS1_3gpuE2ELNS1_3repE0EEENS1_30default_config_static_selectorELNS0_4arch9wavefront6targetE0EEEvT1_,comdat
	.globl	_ZN7rocprim17ROCPRIM_400000_NS6detail17trampoline_kernelINS0_14default_configENS1_25partition_config_selectorILNS1_17partition_subalgoE8ElNS0_10empty_typeEbEEZZNS1_14partition_implILS5_8ELb0ES3_jPlPS6_PKS6_NS0_5tupleIJS9_S6_EEENSD_IJSA_SA_EEENS0_18inequality_wrapperIZN2at6native12_GLOBAL__N_124unique_dim_cuda_templateIdEESt5tupleIJNSH_6TensorESM_SM_EERKSM_lbbbEUlllE0_EEPmJS6_EEE10hipError_tPvRmT3_T4_T5_T6_T7_T9_mT8_P12ihipStream_tbDpT10_ENKUlT_T0_E_clISt17integral_constantIbLb0EES1B_IbLb1EEEEDaS17_S18_EUlS17_E_NS1_11comp_targetILNS1_3genE8ELNS1_11target_archE1030ELNS1_3gpuE2ELNS1_3repE0EEENS1_30default_config_static_selectorELNS0_4arch9wavefront6targetE0EEEvT1_ ; -- Begin function _ZN7rocprim17ROCPRIM_400000_NS6detail17trampoline_kernelINS0_14default_configENS1_25partition_config_selectorILNS1_17partition_subalgoE8ElNS0_10empty_typeEbEEZZNS1_14partition_implILS5_8ELb0ES3_jPlPS6_PKS6_NS0_5tupleIJS9_S6_EEENSD_IJSA_SA_EEENS0_18inequality_wrapperIZN2at6native12_GLOBAL__N_124unique_dim_cuda_templateIdEESt5tupleIJNSH_6TensorESM_SM_EERKSM_lbbbEUlllE0_EEPmJS6_EEE10hipError_tPvRmT3_T4_T5_T6_T7_T9_mT8_P12ihipStream_tbDpT10_ENKUlT_T0_E_clISt17integral_constantIbLb0EES1B_IbLb1EEEEDaS17_S18_EUlS17_E_NS1_11comp_targetILNS1_3genE8ELNS1_11target_archE1030ELNS1_3gpuE2ELNS1_3repE0EEENS1_30default_config_static_selectorELNS0_4arch9wavefront6targetE0EEEvT1_
	.p2align	8
	.type	_ZN7rocprim17ROCPRIM_400000_NS6detail17trampoline_kernelINS0_14default_configENS1_25partition_config_selectorILNS1_17partition_subalgoE8ElNS0_10empty_typeEbEEZZNS1_14partition_implILS5_8ELb0ES3_jPlPS6_PKS6_NS0_5tupleIJS9_S6_EEENSD_IJSA_SA_EEENS0_18inequality_wrapperIZN2at6native12_GLOBAL__N_124unique_dim_cuda_templateIdEESt5tupleIJNSH_6TensorESM_SM_EERKSM_lbbbEUlllE0_EEPmJS6_EEE10hipError_tPvRmT3_T4_T5_T6_T7_T9_mT8_P12ihipStream_tbDpT10_ENKUlT_T0_E_clISt17integral_constantIbLb0EES1B_IbLb1EEEEDaS17_S18_EUlS17_E_NS1_11comp_targetILNS1_3genE8ELNS1_11target_archE1030ELNS1_3gpuE2ELNS1_3repE0EEENS1_30default_config_static_selectorELNS0_4arch9wavefront6targetE0EEEvT1_,@function
_ZN7rocprim17ROCPRIM_400000_NS6detail17trampoline_kernelINS0_14default_configENS1_25partition_config_selectorILNS1_17partition_subalgoE8ElNS0_10empty_typeEbEEZZNS1_14partition_implILS5_8ELb0ES3_jPlPS6_PKS6_NS0_5tupleIJS9_S6_EEENSD_IJSA_SA_EEENS0_18inequality_wrapperIZN2at6native12_GLOBAL__N_124unique_dim_cuda_templateIdEESt5tupleIJNSH_6TensorESM_SM_EERKSM_lbbbEUlllE0_EEPmJS6_EEE10hipError_tPvRmT3_T4_T5_T6_T7_T9_mT8_P12ihipStream_tbDpT10_ENKUlT_T0_E_clISt17integral_constantIbLb0EES1B_IbLb1EEEEDaS17_S18_EUlS17_E_NS1_11comp_targetILNS1_3genE8ELNS1_11target_archE1030ELNS1_3gpuE2ELNS1_3repE0EEENS1_30default_config_static_selectorELNS0_4arch9wavefront6targetE0EEEvT1_: ; @_ZN7rocprim17ROCPRIM_400000_NS6detail17trampoline_kernelINS0_14default_configENS1_25partition_config_selectorILNS1_17partition_subalgoE8ElNS0_10empty_typeEbEEZZNS1_14partition_implILS5_8ELb0ES3_jPlPS6_PKS6_NS0_5tupleIJS9_S6_EEENSD_IJSA_SA_EEENS0_18inequality_wrapperIZN2at6native12_GLOBAL__N_124unique_dim_cuda_templateIdEESt5tupleIJNSH_6TensorESM_SM_EERKSM_lbbbEUlllE0_EEPmJS6_EEE10hipError_tPvRmT3_T4_T5_T6_T7_T9_mT8_P12ihipStream_tbDpT10_ENKUlT_T0_E_clISt17integral_constantIbLb0EES1B_IbLb1EEEEDaS17_S18_EUlS17_E_NS1_11comp_targetILNS1_3genE8ELNS1_11target_archE1030ELNS1_3gpuE2ELNS1_3repE0EEENS1_30default_config_static_selectorELNS0_4arch9wavefront6targetE0EEEvT1_
; %bb.0:
	.section	.rodata,"a",@progbits
	.p2align	6, 0x0
	.amdhsa_kernel _ZN7rocprim17ROCPRIM_400000_NS6detail17trampoline_kernelINS0_14default_configENS1_25partition_config_selectorILNS1_17partition_subalgoE8ElNS0_10empty_typeEbEEZZNS1_14partition_implILS5_8ELb0ES3_jPlPS6_PKS6_NS0_5tupleIJS9_S6_EEENSD_IJSA_SA_EEENS0_18inequality_wrapperIZN2at6native12_GLOBAL__N_124unique_dim_cuda_templateIdEESt5tupleIJNSH_6TensorESM_SM_EERKSM_lbbbEUlllE0_EEPmJS6_EEE10hipError_tPvRmT3_T4_T5_T6_T7_T9_mT8_P12ihipStream_tbDpT10_ENKUlT_T0_E_clISt17integral_constantIbLb0EES1B_IbLb1EEEEDaS17_S18_EUlS17_E_NS1_11comp_targetILNS1_3genE8ELNS1_11target_archE1030ELNS1_3gpuE2ELNS1_3repE0EEENS1_30default_config_static_selectorELNS0_4arch9wavefront6targetE0EEEvT1_
		.amdhsa_group_segment_fixed_size 0
		.amdhsa_private_segment_fixed_size 0
		.amdhsa_kernarg_size 136
		.amdhsa_user_sgpr_count 2
		.amdhsa_user_sgpr_dispatch_ptr 0
		.amdhsa_user_sgpr_queue_ptr 0
		.amdhsa_user_sgpr_kernarg_segment_ptr 1
		.amdhsa_user_sgpr_dispatch_id 0
		.amdhsa_user_sgpr_kernarg_preload_length 0
		.amdhsa_user_sgpr_kernarg_preload_offset 0
		.amdhsa_user_sgpr_private_segment_size 0
		.amdhsa_wavefront_size32 1
		.amdhsa_uses_dynamic_stack 0
		.amdhsa_enable_private_segment 0
		.amdhsa_system_sgpr_workgroup_id_x 1
		.amdhsa_system_sgpr_workgroup_id_y 0
		.amdhsa_system_sgpr_workgroup_id_z 0
		.amdhsa_system_sgpr_workgroup_info 0
		.amdhsa_system_vgpr_workitem_id 0
		.amdhsa_next_free_vgpr 1
		.amdhsa_next_free_sgpr 1
		.amdhsa_named_barrier_count 0
		.amdhsa_reserve_vcc 0
		.amdhsa_float_round_mode_32 0
		.amdhsa_float_round_mode_16_64 0
		.amdhsa_float_denorm_mode_32 3
		.amdhsa_float_denorm_mode_16_64 3
		.amdhsa_fp16_overflow 0
		.amdhsa_memory_ordered 1
		.amdhsa_forward_progress 1
		.amdhsa_inst_pref_size 0
		.amdhsa_round_robin_scheduling 0
		.amdhsa_exception_fp_ieee_invalid_op 0
		.amdhsa_exception_fp_denorm_src 0
		.amdhsa_exception_fp_ieee_div_zero 0
		.amdhsa_exception_fp_ieee_overflow 0
		.amdhsa_exception_fp_ieee_underflow 0
		.amdhsa_exception_fp_ieee_inexact 0
		.amdhsa_exception_int_div_zero 0
	.end_amdhsa_kernel
	.section	.text._ZN7rocprim17ROCPRIM_400000_NS6detail17trampoline_kernelINS0_14default_configENS1_25partition_config_selectorILNS1_17partition_subalgoE8ElNS0_10empty_typeEbEEZZNS1_14partition_implILS5_8ELb0ES3_jPlPS6_PKS6_NS0_5tupleIJS9_S6_EEENSD_IJSA_SA_EEENS0_18inequality_wrapperIZN2at6native12_GLOBAL__N_124unique_dim_cuda_templateIdEESt5tupleIJNSH_6TensorESM_SM_EERKSM_lbbbEUlllE0_EEPmJS6_EEE10hipError_tPvRmT3_T4_T5_T6_T7_T9_mT8_P12ihipStream_tbDpT10_ENKUlT_T0_E_clISt17integral_constantIbLb0EES1B_IbLb1EEEEDaS17_S18_EUlS17_E_NS1_11comp_targetILNS1_3genE8ELNS1_11target_archE1030ELNS1_3gpuE2ELNS1_3repE0EEENS1_30default_config_static_selectorELNS0_4arch9wavefront6targetE0EEEvT1_,"axG",@progbits,_ZN7rocprim17ROCPRIM_400000_NS6detail17trampoline_kernelINS0_14default_configENS1_25partition_config_selectorILNS1_17partition_subalgoE8ElNS0_10empty_typeEbEEZZNS1_14partition_implILS5_8ELb0ES3_jPlPS6_PKS6_NS0_5tupleIJS9_S6_EEENSD_IJSA_SA_EEENS0_18inequality_wrapperIZN2at6native12_GLOBAL__N_124unique_dim_cuda_templateIdEESt5tupleIJNSH_6TensorESM_SM_EERKSM_lbbbEUlllE0_EEPmJS6_EEE10hipError_tPvRmT3_T4_T5_T6_T7_T9_mT8_P12ihipStream_tbDpT10_ENKUlT_T0_E_clISt17integral_constantIbLb0EES1B_IbLb1EEEEDaS17_S18_EUlS17_E_NS1_11comp_targetILNS1_3genE8ELNS1_11target_archE1030ELNS1_3gpuE2ELNS1_3repE0EEENS1_30default_config_static_selectorELNS0_4arch9wavefront6targetE0EEEvT1_,comdat
.Lfunc_end838:
	.size	_ZN7rocprim17ROCPRIM_400000_NS6detail17trampoline_kernelINS0_14default_configENS1_25partition_config_selectorILNS1_17partition_subalgoE8ElNS0_10empty_typeEbEEZZNS1_14partition_implILS5_8ELb0ES3_jPlPS6_PKS6_NS0_5tupleIJS9_S6_EEENSD_IJSA_SA_EEENS0_18inequality_wrapperIZN2at6native12_GLOBAL__N_124unique_dim_cuda_templateIdEESt5tupleIJNSH_6TensorESM_SM_EERKSM_lbbbEUlllE0_EEPmJS6_EEE10hipError_tPvRmT3_T4_T5_T6_T7_T9_mT8_P12ihipStream_tbDpT10_ENKUlT_T0_E_clISt17integral_constantIbLb0EES1B_IbLb1EEEEDaS17_S18_EUlS17_E_NS1_11comp_targetILNS1_3genE8ELNS1_11target_archE1030ELNS1_3gpuE2ELNS1_3repE0EEENS1_30default_config_static_selectorELNS0_4arch9wavefront6targetE0EEEvT1_, .Lfunc_end838-_ZN7rocprim17ROCPRIM_400000_NS6detail17trampoline_kernelINS0_14default_configENS1_25partition_config_selectorILNS1_17partition_subalgoE8ElNS0_10empty_typeEbEEZZNS1_14partition_implILS5_8ELb0ES3_jPlPS6_PKS6_NS0_5tupleIJS9_S6_EEENSD_IJSA_SA_EEENS0_18inequality_wrapperIZN2at6native12_GLOBAL__N_124unique_dim_cuda_templateIdEESt5tupleIJNSH_6TensorESM_SM_EERKSM_lbbbEUlllE0_EEPmJS6_EEE10hipError_tPvRmT3_T4_T5_T6_T7_T9_mT8_P12ihipStream_tbDpT10_ENKUlT_T0_E_clISt17integral_constantIbLb0EES1B_IbLb1EEEEDaS17_S18_EUlS17_E_NS1_11comp_targetILNS1_3genE8ELNS1_11target_archE1030ELNS1_3gpuE2ELNS1_3repE0EEENS1_30default_config_static_selectorELNS0_4arch9wavefront6targetE0EEEvT1_
                                        ; -- End function
	.set _ZN7rocprim17ROCPRIM_400000_NS6detail17trampoline_kernelINS0_14default_configENS1_25partition_config_selectorILNS1_17partition_subalgoE8ElNS0_10empty_typeEbEEZZNS1_14partition_implILS5_8ELb0ES3_jPlPS6_PKS6_NS0_5tupleIJS9_S6_EEENSD_IJSA_SA_EEENS0_18inequality_wrapperIZN2at6native12_GLOBAL__N_124unique_dim_cuda_templateIdEESt5tupleIJNSH_6TensorESM_SM_EERKSM_lbbbEUlllE0_EEPmJS6_EEE10hipError_tPvRmT3_T4_T5_T6_T7_T9_mT8_P12ihipStream_tbDpT10_ENKUlT_T0_E_clISt17integral_constantIbLb0EES1B_IbLb1EEEEDaS17_S18_EUlS17_E_NS1_11comp_targetILNS1_3genE8ELNS1_11target_archE1030ELNS1_3gpuE2ELNS1_3repE0EEENS1_30default_config_static_selectorELNS0_4arch9wavefront6targetE0EEEvT1_.num_vgpr, 0
	.set _ZN7rocprim17ROCPRIM_400000_NS6detail17trampoline_kernelINS0_14default_configENS1_25partition_config_selectorILNS1_17partition_subalgoE8ElNS0_10empty_typeEbEEZZNS1_14partition_implILS5_8ELb0ES3_jPlPS6_PKS6_NS0_5tupleIJS9_S6_EEENSD_IJSA_SA_EEENS0_18inequality_wrapperIZN2at6native12_GLOBAL__N_124unique_dim_cuda_templateIdEESt5tupleIJNSH_6TensorESM_SM_EERKSM_lbbbEUlllE0_EEPmJS6_EEE10hipError_tPvRmT3_T4_T5_T6_T7_T9_mT8_P12ihipStream_tbDpT10_ENKUlT_T0_E_clISt17integral_constantIbLb0EES1B_IbLb1EEEEDaS17_S18_EUlS17_E_NS1_11comp_targetILNS1_3genE8ELNS1_11target_archE1030ELNS1_3gpuE2ELNS1_3repE0EEENS1_30default_config_static_selectorELNS0_4arch9wavefront6targetE0EEEvT1_.num_agpr, 0
	.set _ZN7rocprim17ROCPRIM_400000_NS6detail17trampoline_kernelINS0_14default_configENS1_25partition_config_selectorILNS1_17partition_subalgoE8ElNS0_10empty_typeEbEEZZNS1_14partition_implILS5_8ELb0ES3_jPlPS6_PKS6_NS0_5tupleIJS9_S6_EEENSD_IJSA_SA_EEENS0_18inequality_wrapperIZN2at6native12_GLOBAL__N_124unique_dim_cuda_templateIdEESt5tupleIJNSH_6TensorESM_SM_EERKSM_lbbbEUlllE0_EEPmJS6_EEE10hipError_tPvRmT3_T4_T5_T6_T7_T9_mT8_P12ihipStream_tbDpT10_ENKUlT_T0_E_clISt17integral_constantIbLb0EES1B_IbLb1EEEEDaS17_S18_EUlS17_E_NS1_11comp_targetILNS1_3genE8ELNS1_11target_archE1030ELNS1_3gpuE2ELNS1_3repE0EEENS1_30default_config_static_selectorELNS0_4arch9wavefront6targetE0EEEvT1_.numbered_sgpr, 0
	.set _ZN7rocprim17ROCPRIM_400000_NS6detail17trampoline_kernelINS0_14default_configENS1_25partition_config_selectorILNS1_17partition_subalgoE8ElNS0_10empty_typeEbEEZZNS1_14partition_implILS5_8ELb0ES3_jPlPS6_PKS6_NS0_5tupleIJS9_S6_EEENSD_IJSA_SA_EEENS0_18inequality_wrapperIZN2at6native12_GLOBAL__N_124unique_dim_cuda_templateIdEESt5tupleIJNSH_6TensorESM_SM_EERKSM_lbbbEUlllE0_EEPmJS6_EEE10hipError_tPvRmT3_T4_T5_T6_T7_T9_mT8_P12ihipStream_tbDpT10_ENKUlT_T0_E_clISt17integral_constantIbLb0EES1B_IbLb1EEEEDaS17_S18_EUlS17_E_NS1_11comp_targetILNS1_3genE8ELNS1_11target_archE1030ELNS1_3gpuE2ELNS1_3repE0EEENS1_30default_config_static_selectorELNS0_4arch9wavefront6targetE0EEEvT1_.num_named_barrier, 0
	.set _ZN7rocprim17ROCPRIM_400000_NS6detail17trampoline_kernelINS0_14default_configENS1_25partition_config_selectorILNS1_17partition_subalgoE8ElNS0_10empty_typeEbEEZZNS1_14partition_implILS5_8ELb0ES3_jPlPS6_PKS6_NS0_5tupleIJS9_S6_EEENSD_IJSA_SA_EEENS0_18inequality_wrapperIZN2at6native12_GLOBAL__N_124unique_dim_cuda_templateIdEESt5tupleIJNSH_6TensorESM_SM_EERKSM_lbbbEUlllE0_EEPmJS6_EEE10hipError_tPvRmT3_T4_T5_T6_T7_T9_mT8_P12ihipStream_tbDpT10_ENKUlT_T0_E_clISt17integral_constantIbLb0EES1B_IbLb1EEEEDaS17_S18_EUlS17_E_NS1_11comp_targetILNS1_3genE8ELNS1_11target_archE1030ELNS1_3gpuE2ELNS1_3repE0EEENS1_30default_config_static_selectorELNS0_4arch9wavefront6targetE0EEEvT1_.private_seg_size, 0
	.set _ZN7rocprim17ROCPRIM_400000_NS6detail17trampoline_kernelINS0_14default_configENS1_25partition_config_selectorILNS1_17partition_subalgoE8ElNS0_10empty_typeEbEEZZNS1_14partition_implILS5_8ELb0ES3_jPlPS6_PKS6_NS0_5tupleIJS9_S6_EEENSD_IJSA_SA_EEENS0_18inequality_wrapperIZN2at6native12_GLOBAL__N_124unique_dim_cuda_templateIdEESt5tupleIJNSH_6TensorESM_SM_EERKSM_lbbbEUlllE0_EEPmJS6_EEE10hipError_tPvRmT3_T4_T5_T6_T7_T9_mT8_P12ihipStream_tbDpT10_ENKUlT_T0_E_clISt17integral_constantIbLb0EES1B_IbLb1EEEEDaS17_S18_EUlS17_E_NS1_11comp_targetILNS1_3genE8ELNS1_11target_archE1030ELNS1_3gpuE2ELNS1_3repE0EEENS1_30default_config_static_selectorELNS0_4arch9wavefront6targetE0EEEvT1_.uses_vcc, 0
	.set _ZN7rocprim17ROCPRIM_400000_NS6detail17trampoline_kernelINS0_14default_configENS1_25partition_config_selectorILNS1_17partition_subalgoE8ElNS0_10empty_typeEbEEZZNS1_14partition_implILS5_8ELb0ES3_jPlPS6_PKS6_NS0_5tupleIJS9_S6_EEENSD_IJSA_SA_EEENS0_18inequality_wrapperIZN2at6native12_GLOBAL__N_124unique_dim_cuda_templateIdEESt5tupleIJNSH_6TensorESM_SM_EERKSM_lbbbEUlllE0_EEPmJS6_EEE10hipError_tPvRmT3_T4_T5_T6_T7_T9_mT8_P12ihipStream_tbDpT10_ENKUlT_T0_E_clISt17integral_constantIbLb0EES1B_IbLb1EEEEDaS17_S18_EUlS17_E_NS1_11comp_targetILNS1_3genE8ELNS1_11target_archE1030ELNS1_3gpuE2ELNS1_3repE0EEENS1_30default_config_static_selectorELNS0_4arch9wavefront6targetE0EEEvT1_.uses_flat_scratch, 0
	.set _ZN7rocprim17ROCPRIM_400000_NS6detail17trampoline_kernelINS0_14default_configENS1_25partition_config_selectorILNS1_17partition_subalgoE8ElNS0_10empty_typeEbEEZZNS1_14partition_implILS5_8ELb0ES3_jPlPS6_PKS6_NS0_5tupleIJS9_S6_EEENSD_IJSA_SA_EEENS0_18inequality_wrapperIZN2at6native12_GLOBAL__N_124unique_dim_cuda_templateIdEESt5tupleIJNSH_6TensorESM_SM_EERKSM_lbbbEUlllE0_EEPmJS6_EEE10hipError_tPvRmT3_T4_T5_T6_T7_T9_mT8_P12ihipStream_tbDpT10_ENKUlT_T0_E_clISt17integral_constantIbLb0EES1B_IbLb1EEEEDaS17_S18_EUlS17_E_NS1_11comp_targetILNS1_3genE8ELNS1_11target_archE1030ELNS1_3gpuE2ELNS1_3repE0EEENS1_30default_config_static_selectorELNS0_4arch9wavefront6targetE0EEEvT1_.has_dyn_sized_stack, 0
	.set _ZN7rocprim17ROCPRIM_400000_NS6detail17trampoline_kernelINS0_14default_configENS1_25partition_config_selectorILNS1_17partition_subalgoE8ElNS0_10empty_typeEbEEZZNS1_14partition_implILS5_8ELb0ES3_jPlPS6_PKS6_NS0_5tupleIJS9_S6_EEENSD_IJSA_SA_EEENS0_18inequality_wrapperIZN2at6native12_GLOBAL__N_124unique_dim_cuda_templateIdEESt5tupleIJNSH_6TensorESM_SM_EERKSM_lbbbEUlllE0_EEPmJS6_EEE10hipError_tPvRmT3_T4_T5_T6_T7_T9_mT8_P12ihipStream_tbDpT10_ENKUlT_T0_E_clISt17integral_constantIbLb0EES1B_IbLb1EEEEDaS17_S18_EUlS17_E_NS1_11comp_targetILNS1_3genE8ELNS1_11target_archE1030ELNS1_3gpuE2ELNS1_3repE0EEENS1_30default_config_static_selectorELNS0_4arch9wavefront6targetE0EEEvT1_.has_recursion, 0
	.set _ZN7rocprim17ROCPRIM_400000_NS6detail17trampoline_kernelINS0_14default_configENS1_25partition_config_selectorILNS1_17partition_subalgoE8ElNS0_10empty_typeEbEEZZNS1_14partition_implILS5_8ELb0ES3_jPlPS6_PKS6_NS0_5tupleIJS9_S6_EEENSD_IJSA_SA_EEENS0_18inequality_wrapperIZN2at6native12_GLOBAL__N_124unique_dim_cuda_templateIdEESt5tupleIJNSH_6TensorESM_SM_EERKSM_lbbbEUlllE0_EEPmJS6_EEE10hipError_tPvRmT3_T4_T5_T6_T7_T9_mT8_P12ihipStream_tbDpT10_ENKUlT_T0_E_clISt17integral_constantIbLb0EES1B_IbLb1EEEEDaS17_S18_EUlS17_E_NS1_11comp_targetILNS1_3genE8ELNS1_11target_archE1030ELNS1_3gpuE2ELNS1_3repE0EEENS1_30default_config_static_selectorELNS0_4arch9wavefront6targetE0EEEvT1_.has_indirect_call, 0
	.section	.AMDGPU.csdata,"",@progbits
; Kernel info:
; codeLenInByte = 0
; TotalNumSgprs: 0
; NumVgprs: 0
; ScratchSize: 0
; MemoryBound: 0
; FloatMode: 240
; IeeeMode: 1
; LDSByteSize: 0 bytes/workgroup (compile time only)
; SGPRBlocks: 0
; VGPRBlocks: 0
; NumSGPRsForWavesPerEU: 1
; NumVGPRsForWavesPerEU: 1
; NamedBarCnt: 0
; Occupancy: 16
; WaveLimiterHint : 0
; COMPUTE_PGM_RSRC2:SCRATCH_EN: 0
; COMPUTE_PGM_RSRC2:USER_SGPR: 2
; COMPUTE_PGM_RSRC2:TRAP_HANDLER: 0
; COMPUTE_PGM_RSRC2:TGID_X_EN: 1
; COMPUTE_PGM_RSRC2:TGID_Y_EN: 0
; COMPUTE_PGM_RSRC2:TGID_Z_EN: 0
; COMPUTE_PGM_RSRC2:TIDIG_COMP_CNT: 0
	.section	.text._ZN7rocprim17ROCPRIM_400000_NS6detail17trampoline_kernelINS0_14default_configENS1_25partition_config_selectorILNS1_17partition_subalgoE9EllbEEZZNS1_14partition_implILS5_9ELb0ES3_jPlS8_PNS0_10empty_typeENS0_5tupleIJS8_S9_EEENSB_IJS8_SA_EEENS0_18inequality_wrapperIZN2at6native12_GLOBAL__N_124unique_dim_cuda_templateIdEESt5tupleIJNSF_6TensorESK_SK_EERKSK_lbbbEUlllE0_EEPmJS9_EEE10hipError_tPvRmT3_T4_T5_T6_T7_T9_mT8_P12ihipStream_tbDpT10_ENKUlT_T0_E_clISt17integral_constantIbLb0EES1A_EEDaS15_S16_EUlS15_E_NS1_11comp_targetILNS1_3genE0ELNS1_11target_archE4294967295ELNS1_3gpuE0ELNS1_3repE0EEENS1_30default_config_static_selectorELNS0_4arch9wavefront6targetE0EEEvT1_,"axG",@progbits,_ZN7rocprim17ROCPRIM_400000_NS6detail17trampoline_kernelINS0_14default_configENS1_25partition_config_selectorILNS1_17partition_subalgoE9EllbEEZZNS1_14partition_implILS5_9ELb0ES3_jPlS8_PNS0_10empty_typeENS0_5tupleIJS8_S9_EEENSB_IJS8_SA_EEENS0_18inequality_wrapperIZN2at6native12_GLOBAL__N_124unique_dim_cuda_templateIdEESt5tupleIJNSF_6TensorESK_SK_EERKSK_lbbbEUlllE0_EEPmJS9_EEE10hipError_tPvRmT3_T4_T5_T6_T7_T9_mT8_P12ihipStream_tbDpT10_ENKUlT_T0_E_clISt17integral_constantIbLb0EES1A_EEDaS15_S16_EUlS15_E_NS1_11comp_targetILNS1_3genE0ELNS1_11target_archE4294967295ELNS1_3gpuE0ELNS1_3repE0EEENS1_30default_config_static_selectorELNS0_4arch9wavefront6targetE0EEEvT1_,comdat
	.globl	_ZN7rocprim17ROCPRIM_400000_NS6detail17trampoline_kernelINS0_14default_configENS1_25partition_config_selectorILNS1_17partition_subalgoE9EllbEEZZNS1_14partition_implILS5_9ELb0ES3_jPlS8_PNS0_10empty_typeENS0_5tupleIJS8_S9_EEENSB_IJS8_SA_EEENS0_18inequality_wrapperIZN2at6native12_GLOBAL__N_124unique_dim_cuda_templateIdEESt5tupleIJNSF_6TensorESK_SK_EERKSK_lbbbEUlllE0_EEPmJS9_EEE10hipError_tPvRmT3_T4_T5_T6_T7_T9_mT8_P12ihipStream_tbDpT10_ENKUlT_T0_E_clISt17integral_constantIbLb0EES1A_EEDaS15_S16_EUlS15_E_NS1_11comp_targetILNS1_3genE0ELNS1_11target_archE4294967295ELNS1_3gpuE0ELNS1_3repE0EEENS1_30default_config_static_selectorELNS0_4arch9wavefront6targetE0EEEvT1_ ; -- Begin function _ZN7rocprim17ROCPRIM_400000_NS6detail17trampoline_kernelINS0_14default_configENS1_25partition_config_selectorILNS1_17partition_subalgoE9EllbEEZZNS1_14partition_implILS5_9ELb0ES3_jPlS8_PNS0_10empty_typeENS0_5tupleIJS8_S9_EEENSB_IJS8_SA_EEENS0_18inequality_wrapperIZN2at6native12_GLOBAL__N_124unique_dim_cuda_templateIdEESt5tupleIJNSF_6TensorESK_SK_EERKSK_lbbbEUlllE0_EEPmJS9_EEE10hipError_tPvRmT3_T4_T5_T6_T7_T9_mT8_P12ihipStream_tbDpT10_ENKUlT_T0_E_clISt17integral_constantIbLb0EES1A_EEDaS15_S16_EUlS15_E_NS1_11comp_targetILNS1_3genE0ELNS1_11target_archE4294967295ELNS1_3gpuE0ELNS1_3repE0EEENS1_30default_config_static_selectorELNS0_4arch9wavefront6targetE0EEEvT1_
	.p2align	8
	.type	_ZN7rocprim17ROCPRIM_400000_NS6detail17trampoline_kernelINS0_14default_configENS1_25partition_config_selectorILNS1_17partition_subalgoE9EllbEEZZNS1_14partition_implILS5_9ELb0ES3_jPlS8_PNS0_10empty_typeENS0_5tupleIJS8_S9_EEENSB_IJS8_SA_EEENS0_18inequality_wrapperIZN2at6native12_GLOBAL__N_124unique_dim_cuda_templateIdEESt5tupleIJNSF_6TensorESK_SK_EERKSK_lbbbEUlllE0_EEPmJS9_EEE10hipError_tPvRmT3_T4_T5_T6_T7_T9_mT8_P12ihipStream_tbDpT10_ENKUlT_T0_E_clISt17integral_constantIbLb0EES1A_EEDaS15_S16_EUlS15_E_NS1_11comp_targetILNS1_3genE0ELNS1_11target_archE4294967295ELNS1_3gpuE0ELNS1_3repE0EEENS1_30default_config_static_selectorELNS0_4arch9wavefront6targetE0EEEvT1_,@function
_ZN7rocprim17ROCPRIM_400000_NS6detail17trampoline_kernelINS0_14default_configENS1_25partition_config_selectorILNS1_17partition_subalgoE9EllbEEZZNS1_14partition_implILS5_9ELb0ES3_jPlS8_PNS0_10empty_typeENS0_5tupleIJS8_S9_EEENSB_IJS8_SA_EEENS0_18inequality_wrapperIZN2at6native12_GLOBAL__N_124unique_dim_cuda_templateIdEESt5tupleIJNSF_6TensorESK_SK_EERKSK_lbbbEUlllE0_EEPmJS9_EEE10hipError_tPvRmT3_T4_T5_T6_T7_T9_mT8_P12ihipStream_tbDpT10_ENKUlT_T0_E_clISt17integral_constantIbLb0EES1A_EEDaS15_S16_EUlS15_E_NS1_11comp_targetILNS1_3genE0ELNS1_11target_archE4294967295ELNS1_3gpuE0ELNS1_3repE0EEENS1_30default_config_static_selectorELNS0_4arch9wavefront6targetE0EEEvT1_: ; @_ZN7rocprim17ROCPRIM_400000_NS6detail17trampoline_kernelINS0_14default_configENS1_25partition_config_selectorILNS1_17partition_subalgoE9EllbEEZZNS1_14partition_implILS5_9ELb0ES3_jPlS8_PNS0_10empty_typeENS0_5tupleIJS8_S9_EEENSB_IJS8_SA_EEENS0_18inequality_wrapperIZN2at6native12_GLOBAL__N_124unique_dim_cuda_templateIdEESt5tupleIJNSF_6TensorESK_SK_EERKSK_lbbbEUlllE0_EEPmJS9_EEE10hipError_tPvRmT3_T4_T5_T6_T7_T9_mT8_P12ihipStream_tbDpT10_ENKUlT_T0_E_clISt17integral_constantIbLb0EES1A_EEDaS15_S16_EUlS15_E_NS1_11comp_targetILNS1_3genE0ELNS1_11target_archE4294967295ELNS1_3gpuE0ELNS1_3repE0EEENS1_30default_config_static_selectorELNS0_4arch9wavefront6targetE0EEEvT1_
; %bb.0:
	s_clause 0x2
	s_load_b128 s[4:7], s[0:1], 0x8
	s_load_b256 s[12:19], s[0:1], 0x40
	s_load_b32 s2, s[0:1], 0x70
	s_bfe_u32 s10, ttmp6, 0x4000c
	s_and_b32 s8, ttmp6, 15
	s_add_co_i32 s10, s10, 1
	s_load_b64 s[20:21], s[0:1], 0x18
	s_mul_i32 s10, ttmp9, s10
	s_getreg_b32 s24, hwreg(HW_REG_IB_STS2, 6, 4)
	s_add_co_i32 s10, s8, s10
	s_mov_b32 s9, 0
	v_dual_mov_b32 v1, v0 :: v_dual_lshlrev_b32 v34, 3, v0
	s_mov_b32 s11, s9
	s_mov_b32 s3, -1
	s_wait_kmcnt 0x0
	s_lshl_b64 s[22:23], s[6:7], 3
	s_load_b64 s[14:15], s[14:15], 0x0
	s_mul_i32 s8, s2, 0x280
	s_cmp_eq_u32 s24, 0
	s_add_nc_u64 s[24:25], s[6:7], s[8:9]
	s_cselect_b32 s26, ttmp9, s10
	s_add_co_i32 s8, s8, s6
	v_cmp_le_u64_e64 s9, s[16:17], s[24:25]
	s_sub_co_i32 s27, s16, s8
	s_add_co_i32 s2, s2, -1
	s_addk_co_i32 s27, 0x280
	s_cmp_eq_u32 s26, s2
	s_mul_i32 s10, s26, 0x280
	s_cselect_b32 s24, -1, 0
	s_add_nc_u64 s[4:5], s[4:5], s[22:23]
	s_and_b32 s28, s24, s9
	s_lshl_b64 s[16:17], s[10:11], 3
	s_xor_b32 s25, s28, -1
	s_add_nc_u64 s[4:5], s[4:5], s[16:17]
	s_and_b32 vcc_lo, exec_lo, s25
	s_cbranch_vccz .LBB839_2
; %bb.1:
	s_clause 0x4
	global_load_b64 v[2:3], v0, s[4:5] scale_offset
	global_load_b64 v[4:5], v0, s[4:5] offset:1024 scale_offset
	global_load_b64 v[6:7], v0, s[4:5] offset:2048 scale_offset
	;; [unrolled: 1-line block ×4, first 2 shown]
	v_lshlrev_b32_e32 v12, 3, v0
	s_mov_b32 s3, 0
	s_wait_loadcnt 0x3
	ds_store_2addr_stride64_b64 v12, v[2:3], v[4:5] offset1:2
	s_wait_loadcnt 0x1
	ds_store_2addr_stride64_b64 v12, v[6:7], v[8:9] offset0:4 offset1:6
	s_wait_loadcnt 0x0
	ds_store_b64 v12, v[10:11] offset:4096
	s_wait_dscnt 0x0
	s_barrier_signal -1
	s_barrier_wait -1
.LBB839_2:
	s_load_b128 s[8:11], s[0:1], 0x60
	v_cmp_gt_u32_e64 s2, s27, v0
	s_and_not1_b32 vcc_lo, exec_lo, s3
	s_cbranch_vccnz .LBB839_14
; %bb.3:
	v_mov_b32_e32 v2, 0
	s_delay_alu instid0(VALU_DEP_1)
	v_dual_mov_b32 v3, v2 :: v_dual_mov_b32 v4, v2
	v_dual_mov_b32 v5, v2 :: v_dual_mov_b32 v6, v2
	;; [unrolled: 1-line block ×4, first 2 shown]
	v_mov_b32_e32 v11, v2
	s_and_saveexec_b32 s3, s2
	s_cbranch_execz .LBB839_5
; %bb.4:
	global_load_b64 v[4:5], v0, s[4:5] scale_offset
	v_dual_mov_b32 v6, v2 :: v_dual_mov_b32 v7, v2
	v_dual_mov_b32 v8, v2 :: v_dual_mov_b32 v9, v2
	;; [unrolled: 1-line block ×4, first 2 shown]
	s_wait_loadcnt 0x0
	v_mov_b64_e32 v[2:3], v[4:5]
	v_mov_b64_e32 v[4:5], v[6:7]
	;; [unrolled: 1-line block ×8, first 2 shown]
.LBB839_5:
	s_or_b32 exec_lo, exec_lo, s3
	v_or_b32_e32 v12, 0x80, v0
	s_mov_b32 s2, exec_lo
	s_delay_alu instid0(VALU_DEP_1)
	v_cmpx_gt_u32_e64 s27, v12
	s_cbranch_execz .LBB839_7
; %bb.6:
	global_load_b64 v[4:5], v0, s[4:5] offset:1024 scale_offset
.LBB839_7:
	s_wait_xcnt 0x0
	s_or_b32 exec_lo, exec_lo, s2
	v_or_b32_e32 v12, 0x100, v0
	s_mov_b32 s2, exec_lo
	s_delay_alu instid0(VALU_DEP_1)
	v_cmpx_gt_u32_e64 s27, v12
	s_cbranch_execz .LBB839_9
; %bb.8:
	global_load_b64 v[6:7], v0, s[4:5] offset:2048 scale_offset
.LBB839_9:
	s_wait_xcnt 0x0
	;; [unrolled: 10-line block ×4, first 2 shown]
	s_or_b32 exec_lo, exec_lo, s2
	v_lshlrev_b32_e32 v12, 3, v0
	s_wait_loadcnt 0x0
	ds_store_2addr_stride64_b64 v12, v[2:3], v[4:5] offset1:2
	ds_store_2addr_stride64_b64 v12, v[6:7], v[8:9] offset0:4 offset1:6
	ds_store_b64 v12, v[10:11] offset:4096
	s_wait_dscnt 0x0
	s_barrier_signal -1
	s_barrier_wait -1
.LBB839_14:
	v_mul_u32_u24_e32 v30, 5, v0
	s_add_nc_u64 s[2:3], s[20:21], s[22:23]
	s_and_b32 vcc_lo, exec_lo, s25
	s_add_nc_u64 s[2:3], s[2:3], s[16:17]
	s_delay_alu instid0(VALU_DEP_1)
	v_lshlrev_b32_e32 v28, 3, v30
	s_mov_b32 s16, -1
	ds_load_2addr_b64 v[14:17], v28 offset1:1
	ds_load_2addr_b64 v[10:13], v28 offset0:2 offset1:3
	ds_load_b64 v[20:21], v28 offset:32
	s_wait_dscnt 0x0
	s_barrier_signal -1
	s_barrier_wait -1
	s_cbranch_vccz .LBB839_16
; %bb.15:
	s_clause 0x4
	global_load_b64 v[2:3], v0, s[2:3] scale_offset
	global_load_b64 v[4:5], v0, s[2:3] offset:1024 scale_offset
	global_load_b64 v[6:7], v0, s[2:3] offset:2048 scale_offset
	;; [unrolled: 1-line block ×4, first 2 shown]
	v_lshlrev_b32_e32 v22, 3, v0
	s_mov_b32 s16, 0
	s_wait_loadcnt 0x3
	ds_store_2addr_stride64_b64 v22, v[2:3], v[4:5] offset1:2
	s_wait_loadcnt 0x1
	ds_store_2addr_stride64_b64 v22, v[6:7], v[8:9] offset0:4 offset1:6
	s_wait_loadcnt 0x0
	ds_store_b64 v22, v[18:19] offset:4096
	s_wait_dscnt 0x0
	s_barrier_signal -1
	s_barrier_wait -1
.LBB839_16:
	s_and_not1_b32 vcc_lo, exec_lo, s16
	s_cbranch_vccnz .LBB839_28
; %bb.17:
	s_mov_b32 s16, exec_lo
                                        ; implicit-def: $vgpr2_vgpr3
	v_cmpx_gt_u32_e64 s27, v0
	s_cbranch_execz .LBB839_19
; %bb.18:
	global_load_b64 v[2:3], v0, s[2:3] scale_offset
.LBB839_19:
	s_wait_xcnt 0x0
	s_or_b32 exec_lo, exec_lo, s16
	v_or_b32_e32 v4, 0x80, v0
	s_delay_alu instid0(VALU_DEP_1)
	v_cmp_gt_u32_e32 vcc_lo, s27, v4
                                        ; implicit-def: $vgpr4_vgpr5
	s_and_saveexec_b32 s16, vcc_lo
	s_cbranch_execz .LBB839_21
; %bb.20:
	global_load_b64 v[4:5], v0, s[2:3] offset:1024 scale_offset
.LBB839_21:
	s_wait_xcnt 0x0
	s_or_b32 exec_lo, exec_lo, s16
	v_or_b32_e32 v6, 0x100, v0
	s_delay_alu instid0(VALU_DEP_1)
	v_cmp_gt_u32_e32 vcc_lo, s27, v6
                                        ; implicit-def: $vgpr6_vgpr7
	s_and_saveexec_b32 s16, vcc_lo
	s_cbranch_execz .LBB839_23
; %bb.22:
	global_load_b64 v[6:7], v0, s[2:3] offset:2048 scale_offset
.LBB839_23:
	s_wait_xcnt 0x0
	s_or_b32 exec_lo, exec_lo, s16
	v_or_b32_e32 v8, 0x180, v0
	s_delay_alu instid0(VALU_DEP_1)
	v_cmp_gt_u32_e32 vcc_lo, s27, v8
                                        ; implicit-def: $vgpr8_vgpr9
	s_and_saveexec_b32 s16, vcc_lo
	s_cbranch_execz .LBB839_25
; %bb.24:
	global_load_b64 v[8:9], v0, s[2:3] offset:3072 scale_offset
.LBB839_25:
	s_wait_xcnt 0x0
	s_or_b32 exec_lo, exec_lo, s16
	v_or_b32_e32 v18, 0x200, v0
	s_delay_alu instid0(VALU_DEP_1)
	v_cmp_gt_u32_e32 vcc_lo, s27, v18
                                        ; implicit-def: $vgpr18_vgpr19
	s_and_saveexec_b32 s16, vcc_lo
	s_cbranch_execz .LBB839_27
; %bb.26:
	global_load_b64 v[18:19], v0, s[2:3] offset:4096 scale_offset
.LBB839_27:
	s_wait_xcnt 0x0
	s_or_b32 exec_lo, exec_lo, s16
	v_lshlrev_b32_e32 v22, 5, v0
	s_delay_alu instid0(VALU_DEP_1)
	v_sub_nc_u32_e32 v22, v28, v22
	s_wait_loadcnt 0x0
	ds_store_2addr_stride64_b64 v22, v[2:3], v[4:5] offset1:2
	ds_store_2addr_stride64_b64 v22, v[6:7], v[8:9] offset0:4 offset1:6
	ds_store_b64 v22, v[18:19] offset:4096
	s_wait_dscnt 0x0
	s_barrier_signal -1
	s_barrier_wait -1
.LBB839_28:
	ds_load_b64 v[18:19], v28 offset:32
	ds_load_2addr_b64 v[2:5], v28 offset0:2 offset1:3
	ds_load_2addr_b64 v[6:9], v28 offset1:1
	s_cmp_lg_u32 s26, 0
	v_cmp_gt_i64_e64 s21, s[18:19], 0
	s_cselect_b32 s20, -1, 0
	s_cmp_lg_u64 s[6:7], 0
	s_mov_b32 s3, 0
	s_cselect_b32 s2, -1, 0
	s_wait_dscnt 0x0
	s_or_b32 s2, s20, s2
	s_barrier_signal -1
	s_and_b32 vcc_lo, exec_lo, s2
	s_barrier_wait -1
	s_cbranch_vccz .LBB839_40
; %bb.29:
	s_add_nc_u64 s[2:3], s[4:5], -8
	v_cndmask_b32_e64 v29, 0, 1, s21
	s_load_b64 s[4:5], s[2:3], 0x0
	v_lshlrev_b32_e32 v31, 3, v0
	s_and_b32 vcc_lo, exec_lo, s25
	s_wait_xcnt 0x0
	v_cmp_ne_u32_e64 s2, 1, v29
	ds_store_b64 v31, v[20:21]
	s_cbranch_vccz .LBB839_42
; %bb.30:
	s_and_b32 vcc_lo, exec_lo, s2
	s_cbranch_vccnz .LBB839_43
; %bb.31:
	v_mul_u64_e32 v[22:23], s[18:19], v[12:13]
	v_mul_u64_e32 v[24:25], s[18:19], v[20:21]
	s_add_nc_u64 s[6:7], s[18:19], -1
	s_mov_b32 s22, 0
	s_mov_b64 s[16:17], s[6:7]
                                        ; implicit-def: $sgpr3
	s_wait_kmcnt 0x0
	s_delay_alu instid0(VALU_DEP_2) | instskip(NEXT) | instid1(VALU_DEP_2)
	v_lshl_add_u64 v[22:23], v[22:23], 3, s[8:9]
	v_lshl_add_u64 v[24:25], v[24:25], 3, s[8:9]
	s_delay_alu instid0(VALU_DEP_2)
	v_mov_b64_e32 v[26:27], v[22:23]
.LBB839_32:                             ; =>This Inner Loop Header: Depth=1
	global_load_b64 v[32:33], v[26:27], off
	global_load_b64 v[36:37], v[24:25], off
	s_cmp_eq_u64 s[16:17], 0
	s_add_nc_u64 s[30:31], s[16:17], -1
	s_cselect_b32 s16, -1, 0
	s_wait_xcnt 0x1
	v_add_nc_u64_e32 v[26:27], 8, v[26:27]
	s_wait_xcnt 0x0
	v_add_nc_u64_e32 v[24:25], 8, v[24:25]
	s_wait_loadcnt 0x0
	v_cmp_neq_f64_e32 vcc_lo, v[32:33], v[36:37]
	v_cmp_eq_f64_e64 s2, v[32:33], v[36:37]
	s_or_b32 s16, vcc_lo, s16
	s_delay_alu instid0(SALU_CYCLE_1) | instskip(NEXT) | instid1(SALU_CYCLE_1)
	s_and_b32 s16, exec_lo, s16
	s_or_b32 s22, s16, s22
	s_and_not1_b32 s3, s3, exec_lo
	s_and_b32 s2, s2, exec_lo
	s_mov_b64 s[16:17], s[30:31]
	s_or_b32 s3, s3, s2
	s_and_not1_b32 exec_lo, exec_lo, s22
	s_cbranch_execnz .LBB839_32
; %bb.33:
	s_or_b32 exec_lo, exec_lo, s22
	v_mul_u64_e32 v[24:25], s[18:19], v[10:11]
	s_mov_b32 s23, 0
	s_mov_b64 s[16:17], s[6:7]
                                        ; implicit-def: $sgpr22
	s_delay_alu instid0(VALU_DEP_1) | instskip(NEXT) | instid1(VALU_DEP_1)
	v_lshl_add_u64 v[24:25], v[24:25], 3, s[8:9]
	v_mov_b64_e32 v[26:27], v[24:25]
.LBB839_34:                             ; =>This Inner Loop Header: Depth=1
	global_load_b64 v[32:33], v[26:27], off
	global_load_b64 v[36:37], v[22:23], off
	s_cmp_eq_u64 s[16:17], 0
	s_add_nc_u64 s[30:31], s[16:17], -1
	s_cselect_b32 s16, -1, 0
	s_wait_xcnt 0x1
	v_add_nc_u64_e32 v[26:27], 8, v[26:27]
	s_wait_xcnt 0x0
	v_add_nc_u64_e32 v[22:23], 8, v[22:23]
	s_wait_loadcnt 0x0
	v_cmp_neq_f64_e32 vcc_lo, v[32:33], v[36:37]
	v_cmp_eq_f64_e64 s2, v[32:33], v[36:37]
	s_or_b32 s16, vcc_lo, s16
	s_delay_alu instid0(SALU_CYCLE_1) | instskip(NEXT) | instid1(SALU_CYCLE_1)
	s_and_b32 s16, exec_lo, s16
	s_or_b32 s23, s16, s23
	s_and_not1_b32 s22, s22, exec_lo
	s_and_b32 s2, s2, exec_lo
	s_mov_b64 s[16:17], s[30:31]
	s_or_b32 s22, s22, s2
	s_and_not1_b32 exec_lo, exec_lo, s23
	s_cbranch_execnz .LBB839_34
; %bb.35:
	s_or_b32 exec_lo, exec_lo, s23
	v_mul_u64_e32 v[22:23], s[18:19], v[16:17]
	s_mov_b32 s29, 0
	s_mov_b64 s[16:17], s[6:7]
                                        ; implicit-def: $sgpr23
	s_delay_alu instid0(VALU_DEP_1) | instskip(NEXT) | instid1(VALU_DEP_1)
	v_lshl_add_u64 v[22:23], v[22:23], 3, s[8:9]
	v_mov_b64_e32 v[26:27], v[22:23]
.LBB839_36:                             ; =>This Inner Loop Header: Depth=1
	global_load_b64 v[32:33], v[26:27], off
	global_load_b64 v[36:37], v[24:25], off
	s_cmp_eq_u64 s[16:17], 0
	s_add_nc_u64 s[30:31], s[16:17], -1
	s_cselect_b32 s16, -1, 0
	s_wait_xcnt 0x1
	v_add_nc_u64_e32 v[26:27], 8, v[26:27]
	s_wait_xcnt 0x0
	v_add_nc_u64_e32 v[24:25], 8, v[24:25]
	s_wait_loadcnt 0x0
	v_cmp_neq_f64_e32 vcc_lo, v[32:33], v[36:37]
	v_cmp_eq_f64_e64 s2, v[32:33], v[36:37]
	s_or_b32 s16, vcc_lo, s16
	s_delay_alu instid0(SALU_CYCLE_1) | instskip(NEXT) | instid1(SALU_CYCLE_1)
	s_and_b32 s16, exec_lo, s16
	s_or_b32 s29, s16, s29
	s_and_not1_b32 s23, s23, exec_lo
	s_and_b32 s2, s2, exec_lo
	s_mov_b64 s[16:17], s[30:31]
	s_or_b32 s23, s23, s2
	s_and_not1_b32 exec_lo, exec_lo, s29
	s_cbranch_execnz .LBB839_36
; %bb.37:
	s_or_b32 exec_lo, exec_lo, s29
	v_mul_u64_e32 v[24:25], s[18:19], v[14:15]
	s_mov_b32 s17, 0
                                        ; implicit-def: $sgpr16
	s_delay_alu instid0(VALU_DEP_1)
	v_lshl_add_u64 v[24:25], v[24:25], 3, s[8:9]
.LBB839_38:                             ; =>This Inner Loop Header: Depth=1
	global_load_b64 v[26:27], v[24:25], off
	global_load_b64 v[32:33], v[22:23], off
	s_cmp_eq_u64 s[6:7], 0
	s_add_nc_u64 s[30:31], s[6:7], -1
	s_cselect_b32 s6, -1, 0
	s_wait_xcnt 0x1
	v_add_nc_u64_e32 v[24:25], 8, v[24:25]
	s_wait_xcnt 0x0
	v_add_nc_u64_e32 v[22:23], 8, v[22:23]
	s_wait_loadcnt 0x0
	v_cmp_neq_f64_e32 vcc_lo, v[26:27], v[32:33]
	v_cmp_eq_f64_e64 s2, v[26:27], v[32:33]
	s_or_b32 s6, vcc_lo, s6
	s_delay_alu instid0(SALU_CYCLE_1) | instskip(NEXT) | instid1(SALU_CYCLE_1)
	s_and_b32 s6, exec_lo, s6
	s_or_b32 s17, s6, s17
	s_and_not1_b32 s16, s16, exec_lo
	s_and_b32 s2, s2, exec_lo
	s_mov_b64 s[6:7], s[30:31]
	s_or_b32 s16, s16, s2
	s_and_not1_b32 exec_lo, exec_lo, s17
	s_cbranch_execnz .LBB839_38
; %bb.39:
	s_or_b32 exec_lo, exec_lo, s17
	s_xor_b32 s2, s22, -1
	s_delay_alu instid0(SALU_CYCLE_1) | instskip(SKIP_1) | instid1(SALU_CYCLE_1)
	v_cndmask_b32_e64 v22, 0, 1, s2
	s_xor_b32 s2, s23, -1
	v_cndmask_b32_e64 v23, 0, 1, s2
	s_xor_b32 s2, s3, -1
	s_delay_alu instid0(VALU_DEP_2) | instskip(SKIP_2) | instid1(VALU_DEP_2)
	v_lshlrev_b16 v22, 8, v22
	v_cndmask_b32_e64 v35, 0, 1, s2
	s_xor_b32 s3, s16, -1
	v_lshrrev_b32_e32 v22, 8, v22
	s_delay_alu instid0(VALU_DEP_1) | instskip(NEXT) | instid1(VALU_DEP_1)
	v_lshlrev_b16 v22, 8, v22
	v_or_b32_e32 v22, v23, v22
	s_delay_alu instid0(VALU_DEP_1)
	v_lshlrev_b32_e32 v24, 16, v22
	s_branch .LBB839_44
.LBB839_40:
                                        ; implicit-def: $sgpr2
                                        ; implicit-def: $vgpr35
                                        ; implicit-def: $vgpr25
	s_branch .LBB839_85
.LBB839_41:
                                        ; implicit-def: $vgpr24
                                        ; implicit-def: $vgpr23
                                        ; implicit-def: $vgpr36
                                        ; implicit-def: $vgpr22
	s_branch .LBB839_138
.LBB839_42:
                                        ; implicit-def: $sgpr2
                                        ; implicit-def: $vgpr35
                                        ; implicit-def: $vgpr25
	s_cbranch_execnz .LBB839_51
	s_branch .LBB839_84
.LBB839_43:
	v_dual_mov_b32 v24, 0 :: v_dual_mov_b32 v35, 0
	s_mov_b32 s3, 0
.LBB839_44:
	s_wait_kmcnt 0x0
	v_mov_b64_e32 v[22:23], s[4:5]
	s_mov_b32 s2, 0
	s_mov_b32 s6, exec_lo
	s_wait_dscnt 0x0
	s_barrier_signal -1
	s_barrier_wait -1
	v_cmpx_ne_u32_e32 0, v0
; %bb.45:
	v_add_nc_u32_e32 v22, -8, v31
	ds_load_b64 v[22:23], v22
; %bb.46:
	s_or_b32 exec_lo, exec_lo, s6
	v_cndmask_b32_e64 v25, 0, 1, s3
	v_lshrrev_b32_e32 v26, 16, v24
	s_and_not1_b32 vcc_lo, exec_lo, s21
	s_delay_alu instid0(VALU_DEP_2) | instskip(NEXT) | instid1(VALU_DEP_2)
	v_lshlrev_b16 v25, 8, v25
	v_perm_b32 v26, v26, v24, 0xc0c0304
	s_delay_alu instid0(VALU_DEP_2) | instskip(NEXT) | instid1(VALU_DEP_1)
	v_bitop3_b16 v25, v24, v25, 0xff bitop3:0xec
	v_and_b32_e32 v27, 0xffff, v25
	s_cbranch_vccnz .LBB839_50
; %bb.47:
	s_wait_dscnt 0x0
	v_mul_u64_e32 v[22:23], s[18:19], v[22:23]
	v_mul_u64_e32 v[24:25], s[18:19], v[14:15]
	s_add_nc_u64 s[6:7], s[18:19], -1
	s_mov_b32 s3, 0
                                        ; implicit-def: $sgpr16
	s_delay_alu instid0(VALU_DEP_2) | instskip(NEXT) | instid1(VALU_DEP_2)
	v_lshl_add_u64 v[22:23], v[22:23], 3, s[8:9]
	v_lshl_add_u64 v[24:25], v[24:25], 3, s[8:9]
.LBB839_48:                             ; =>This Inner Loop Header: Depth=1
	global_load_b64 v[32:33], v[22:23], off
	global_load_b64 v[36:37], v[24:25], off
	s_cmp_eq_u64 s[6:7], 0
	s_add_nc_u64 s[22:23], s[6:7], -1
	s_cselect_b32 s6, -1, 0
	s_wait_xcnt 0x1
	v_add_nc_u64_e32 v[22:23], 8, v[22:23]
	s_wait_xcnt 0x0
	v_add_nc_u64_e32 v[24:25], 8, v[24:25]
	s_wait_loadcnt 0x0
	v_cmp_neq_f64_e32 vcc_lo, v[32:33], v[36:37]
	v_cmp_eq_f64_e64 s2, v[32:33], v[36:37]
	s_or_b32 s6, vcc_lo, s6
	s_delay_alu instid0(SALU_CYCLE_1) | instskip(NEXT) | instid1(SALU_CYCLE_1)
	s_and_b32 s6, exec_lo, s6
	s_or_b32 s3, s6, s3
	s_and_not1_b32 s16, s16, exec_lo
	s_and_b32 s2, s2, exec_lo
	s_mov_b64 s[6:7], s[22:23]
	s_or_b32 s16, s16, s2
	s_and_not1_b32 exec_lo, exec_lo, s3
	s_cbranch_execnz .LBB839_48
; %bb.49:
	s_or_b32 exec_lo, exec_lo, s3
	s_xor_b32 s2, s16, -1
.LBB839_50:
	s_delay_alu instid0(VALU_DEP_1)
	v_lshl_or_b32 v25, v26, 16, v27
	s_branch .LBB839_84
.LBB839_51:
	s_wait_dscnt 0x0
	v_add_nc_u32_e32 v22, 4, v30
	s_mov_b32 s16, 0
	s_mov_b32 s3, 0
	s_mov_b32 s17, exec_lo
	s_delay_alu instid0(VALU_DEP_1)
	v_cmpx_gt_u32_e64 s27, v22
	s_cbranch_execz .LBB839_57
; %bb.52:
	s_and_not1_b32 vcc_lo, exec_lo, s21
	s_mov_b32 s2, 0
	s_cbranch_vccnz .LBB839_56
; %bb.53:
	v_mul_u64_e32 v[22:23], s[18:19], v[12:13]
	v_mul_u64_e32 v[24:25], s[18:19], v[20:21]
	s_add_nc_u64 s[6:7], s[18:19], -1
                                        ; implicit-def: $sgpr21
	s_wait_kmcnt 0x0
	s_delay_alu instid0(VALU_DEP_2) | instskip(NEXT) | instid1(VALU_DEP_2)
	v_lshl_add_u64 v[22:23], v[22:23], 3, s[8:9]
	v_lshl_add_u64 v[24:25], v[24:25], 3, s[8:9]
.LBB839_54:                             ; =>This Inner Loop Header: Depth=1
	global_load_b64 v[26:27], v[22:23], off
	global_load_b64 v[32:33], v[24:25], off
	s_cmp_eq_u64 s[6:7], 0
	s_add_nc_u64 s[22:23], s[6:7], -1
	s_cselect_b32 s6, -1, 0
	s_wait_xcnt 0x1
	v_add_nc_u64_e32 v[22:23], 8, v[22:23]
	s_wait_xcnt 0x0
	v_add_nc_u64_e32 v[24:25], 8, v[24:25]
	s_wait_loadcnt 0x0
	v_cmp_neq_f64_e32 vcc_lo, v[26:27], v[32:33]
	v_cmp_eq_f64_e64 s2, v[26:27], v[32:33]
	s_or_b32 s6, vcc_lo, s6
	s_delay_alu instid0(SALU_CYCLE_1) | instskip(NEXT) | instid1(SALU_CYCLE_1)
	s_and_b32 s6, exec_lo, s6
	s_or_b32 s3, s6, s3
	s_and_not1_b32 s21, s21, exec_lo
	s_and_b32 s2, s2, exec_lo
	s_mov_b64 s[6:7], s[22:23]
	s_or_b32 s21, s21, s2
	s_and_not1_b32 exec_lo, exec_lo, s3
	s_cbranch_execnz .LBB839_54
; %bb.55:
	s_or_b32 exec_lo, exec_lo, s3
	s_xor_b32 s2, s21, -1
.LBB839_56:
	s_delay_alu instid0(SALU_CYCLE_1)
	s_and_b32 s3, s2, exec_lo
.LBB839_57:
	s_or_b32 exec_lo, exec_lo, s17
	v_add_nc_u32_e32 v22, 3, v30
	s_mov_b32 s17, exec_lo
	s_delay_alu instid0(VALU_DEP_1)
	v_cmpx_gt_u32_e64 s27, v22
	s_cbranch_execz .LBB839_63
; %bb.58:
	v_cmp_ne_u32_e32 vcc_lo, 1, v29
	s_mov_b32 s2, 0
	s_cbranch_vccnz .LBB839_62
; %bb.59:
	v_mul_u64_e32 v[22:23], s[18:19], v[10:11]
	v_mul_u64_e32 v[24:25], s[18:19], v[12:13]
	s_add_nc_u64 s[6:7], s[18:19], -1
	s_mov_b32 s16, 0
                                        ; implicit-def: $sgpr21
	s_wait_kmcnt 0x0
	s_delay_alu instid0(VALU_DEP_2) | instskip(NEXT) | instid1(VALU_DEP_2)
	v_lshl_add_u64 v[22:23], v[22:23], 3, s[8:9]
	v_lshl_add_u64 v[24:25], v[24:25], 3, s[8:9]
.LBB839_60:                             ; =>This Inner Loop Header: Depth=1
	global_load_b64 v[26:27], v[22:23], off
	global_load_b64 v[32:33], v[24:25], off
	s_cmp_eq_u64 s[6:7], 0
	s_add_nc_u64 s[22:23], s[6:7], -1
	s_cselect_b32 s6, -1, 0
	s_wait_xcnt 0x1
	v_add_nc_u64_e32 v[22:23], 8, v[22:23]
	s_wait_xcnt 0x0
	v_add_nc_u64_e32 v[24:25], 8, v[24:25]
	s_wait_loadcnt 0x0
	v_cmp_neq_f64_e32 vcc_lo, v[26:27], v[32:33]
	v_cmp_eq_f64_e64 s2, v[26:27], v[32:33]
	s_or_b32 s6, vcc_lo, s6
	s_delay_alu instid0(SALU_CYCLE_1) | instskip(NEXT) | instid1(SALU_CYCLE_1)
	s_and_b32 s6, exec_lo, s6
	s_or_b32 s16, s6, s16
	s_and_not1_b32 s21, s21, exec_lo
	s_and_b32 s2, s2, exec_lo
	s_mov_b64 s[6:7], s[22:23]
	s_or_b32 s21, s21, s2
	s_and_not1_b32 exec_lo, exec_lo, s16
	s_cbranch_execnz .LBB839_60
; %bb.61:
	s_or_b32 exec_lo, exec_lo, s16
	s_xor_b32 s2, s21, -1
.LBB839_62:
	s_delay_alu instid0(SALU_CYCLE_1)
	s_and_b32 s16, s2, exec_lo
.LBB839_63:
	s_or_b32 exec_lo, exec_lo, s17
	v_add_nc_u32_e32 v22, 2, v30
	s_mov_b32 s17, 0
	s_mov_b32 s21, 0
	s_mov_b32 s22, exec_lo
	s_delay_alu instid0(VALU_DEP_1)
	v_cmpx_gt_u32_e64 s27, v22
	s_cbranch_execz .LBB839_69
; %bb.64:
	v_cmp_ne_u32_e32 vcc_lo, 1, v29
	s_mov_b32 s2, 0
	s_cbranch_vccnz .LBB839_68
; %bb.65:
	v_mul_u64_e32 v[22:23], s[18:19], v[16:17]
	v_mul_u64_e32 v[24:25], s[18:19], v[10:11]
	s_add_nc_u64 s[6:7], s[18:19], -1
                                        ; implicit-def: $sgpr23
	s_wait_kmcnt 0x0
	s_delay_alu instid0(VALU_DEP_2) | instskip(NEXT) | instid1(VALU_DEP_2)
	v_lshl_add_u64 v[22:23], v[22:23], 3, s[8:9]
	v_lshl_add_u64 v[24:25], v[24:25], 3, s[8:9]
.LBB839_66:                             ; =>This Inner Loop Header: Depth=1
	global_load_b64 v[26:27], v[22:23], off
	global_load_b64 v[32:33], v[24:25], off
	s_cmp_eq_u64 s[6:7], 0
	s_add_nc_u64 s[30:31], s[6:7], -1
	s_cselect_b32 s6, -1, 0
	s_wait_xcnt 0x1
	v_add_nc_u64_e32 v[22:23], 8, v[22:23]
	s_wait_xcnt 0x0
	v_add_nc_u64_e32 v[24:25], 8, v[24:25]
	s_wait_loadcnt 0x0
	v_cmp_neq_f64_e32 vcc_lo, v[26:27], v[32:33]
	v_cmp_eq_f64_e64 s2, v[26:27], v[32:33]
	s_or_b32 s6, vcc_lo, s6
	s_delay_alu instid0(SALU_CYCLE_1) | instskip(NEXT) | instid1(SALU_CYCLE_1)
	s_and_b32 s6, exec_lo, s6
	s_or_b32 s21, s6, s21
	s_and_not1_b32 s23, s23, exec_lo
	s_and_b32 s2, s2, exec_lo
	s_mov_b64 s[6:7], s[30:31]
	s_or_b32 s23, s23, s2
	s_and_not1_b32 exec_lo, exec_lo, s21
	s_cbranch_execnz .LBB839_66
; %bb.67:
	s_or_b32 exec_lo, exec_lo, s21
	s_xor_b32 s2, s23, -1
.LBB839_68:
	s_delay_alu instid0(SALU_CYCLE_1)
	s_and_b32 s21, s2, exec_lo
.LBB839_69:
	s_or_b32 exec_lo, exec_lo, s22
	v_add_nc_u32_e32 v22, 1, v30
	s_mov_b32 s22, exec_lo
	s_delay_alu instid0(VALU_DEP_1)
	v_cmpx_gt_u32_e64 s27, v22
	s_cbranch_execz .LBB839_75
; %bb.70:
	v_cmp_ne_u32_e32 vcc_lo, 1, v29
	s_mov_b32 s2, 0
	s_cbranch_vccnz .LBB839_74
; %bb.71:
	v_mul_u64_e32 v[22:23], s[18:19], v[14:15]
	v_mul_u64_e32 v[24:25], s[18:19], v[16:17]
	s_add_nc_u64 s[6:7], s[18:19], -1
	s_mov_b32 s17, 0
                                        ; implicit-def: $sgpr23
	s_wait_kmcnt 0x0
	s_delay_alu instid0(VALU_DEP_2) | instskip(NEXT) | instid1(VALU_DEP_2)
	v_lshl_add_u64 v[22:23], v[22:23], 3, s[8:9]
	v_lshl_add_u64 v[24:25], v[24:25], 3, s[8:9]
.LBB839_72:                             ; =>This Inner Loop Header: Depth=1
	global_load_b64 v[26:27], v[22:23], off
	global_load_b64 v[32:33], v[24:25], off
	s_cmp_eq_u64 s[6:7], 0
	s_add_nc_u64 s[30:31], s[6:7], -1
	s_cselect_b32 s6, -1, 0
	s_wait_xcnt 0x1
	v_add_nc_u64_e32 v[22:23], 8, v[22:23]
	s_wait_xcnt 0x0
	v_add_nc_u64_e32 v[24:25], 8, v[24:25]
	s_wait_loadcnt 0x0
	v_cmp_neq_f64_e32 vcc_lo, v[26:27], v[32:33]
	v_cmp_eq_f64_e64 s2, v[26:27], v[32:33]
	s_or_b32 s6, vcc_lo, s6
	s_delay_alu instid0(SALU_CYCLE_1) | instskip(NEXT) | instid1(SALU_CYCLE_1)
	s_and_b32 s6, exec_lo, s6
	s_or_b32 s17, s6, s17
	s_and_not1_b32 s23, s23, exec_lo
	s_and_b32 s2, s2, exec_lo
	s_mov_b64 s[6:7], s[30:31]
	s_or_b32 s23, s23, s2
	s_and_not1_b32 exec_lo, exec_lo, s17
	s_cbranch_execnz .LBB839_72
; %bb.73:
	s_or_b32 exec_lo, exec_lo, s17
	s_xor_b32 s2, s23, -1
.LBB839_74:
	s_delay_alu instid0(SALU_CYCLE_1)
	s_and_b32 s17, s2, exec_lo
.LBB839_75:
	s_or_b32 exec_lo, exec_lo, s22
	s_wait_kmcnt 0x0
	v_mov_b64_e32 v[22:23], s[4:5]
	s_mov_b32 s2, 0
	s_mov_b32 s4, exec_lo
	s_barrier_signal -1
	s_barrier_wait -1
	v_cmpx_ne_u32_e32 0, v0
; %bb.76:
	v_add_nc_u32_e32 v22, -8, v31
	ds_load_b64 v[22:23], v22
; %bb.77:
	s_or_b32 exec_lo, exec_lo, s4
	v_cndmask_b32_e64 v24, 0, 1, s16
	v_cndmask_b32_e64 v25, 0, 1, s21
	;; [unrolled: 1-line block ×3, first 2 shown]
	s_mov_b32 s6, exec_lo
	s_delay_alu instid0(VALU_DEP_3) | instskip(NEXT) | instid1(VALU_DEP_2)
	v_lshlrev_b16 v24, 8, v24
	v_lshlrev_b16 v26, 8, v26
	s_delay_alu instid0(VALU_DEP_2) | instskip(NEXT) | instid1(VALU_DEP_2)
	v_or_b32_e32 v24, v25, v24
	v_and_b32_e32 v26, 0xffff, v26
	s_delay_alu instid0(VALU_DEP_2)
	v_lshlrev_b32_e32 v27, 16, v24
	v_cmpx_gt_u32_e64 s27, v30
	s_cbranch_execz .LBB839_83
; %bb.78:
	v_cmp_ne_u32_e32 vcc_lo, 1, v29
	s_cbranch_vccnz .LBB839_82
; %bb.79:
	s_wait_dscnt 0x0
	v_mul_u64_e32 v[22:23], s[18:19], v[22:23]
	v_mul_u64_e32 v[24:25], s[18:19], v[14:15]
	s_add_nc_u64 s[4:5], s[18:19], -1
	s_mov_b32 s7, 0
                                        ; implicit-def: $sgpr16
	s_delay_alu instid0(VALU_DEP_2) | instskip(NEXT) | instid1(VALU_DEP_2)
	v_lshl_add_u64 v[22:23], v[22:23], 3, s[8:9]
	v_lshl_add_u64 v[24:25], v[24:25], 3, s[8:9]
.LBB839_80:                             ; =>This Inner Loop Header: Depth=1
	global_load_b64 v[32:33], v[22:23], off
	global_load_b64 v[36:37], v[24:25], off
	s_cmp_eq_u64 s[4:5], 0
	s_add_nc_u64 s[22:23], s[4:5], -1
	s_cselect_b32 s4, -1, 0
	s_wait_xcnt 0x1
	v_add_nc_u64_e32 v[22:23], 8, v[22:23]
	s_wait_xcnt 0x0
	v_add_nc_u64_e32 v[24:25], 8, v[24:25]
	s_wait_loadcnt 0x0
	v_cmp_neq_f64_e32 vcc_lo, v[32:33], v[36:37]
	v_cmp_eq_f64_e64 s2, v[32:33], v[36:37]
	s_or_b32 s4, vcc_lo, s4
	s_delay_alu instid0(SALU_CYCLE_1) | instskip(NEXT) | instid1(SALU_CYCLE_1)
	s_and_b32 s4, exec_lo, s4
	s_or_b32 s7, s4, s7
	s_and_not1_b32 s16, s16, exec_lo
	s_and_b32 s2, s2, exec_lo
	s_mov_b64 s[4:5], s[22:23]
	s_or_b32 s16, s16, s2
	s_and_not1_b32 exec_lo, exec_lo, s7
	s_cbranch_execnz .LBB839_80
; %bb.81:
	s_or_b32 exec_lo, exec_lo, s7
	s_xor_b32 s2, s16, -1
.LBB839_82:
	s_delay_alu instid0(SALU_CYCLE_1)
	s_and_b32 s2, s2, exec_lo
.LBB839_83:
	s_or_b32 exec_lo, exec_lo, s6
	v_cndmask_b32_e64 v35, 0, 1, s3
	v_or_b32_e32 v25, v26, v27
.LBB839_84:
	s_wait_kmcnt 0x0
	s_mov_b32 s3, -1
	s_cbranch_execnz .LBB839_41
.LBB839_85:
	s_wait_dscnt 0x0
	v_lshlrev_b32_e32 v22, 5, v0
	v_cmp_gt_i64_e64 s16, s[18:19], 0
	s_and_b32 vcc_lo, exec_lo, s25
	v_sub_nc_u32_e32 v31, v28, v22
	ds_store_b64 v31, v[20:21]
	s_cbranch_vccz .LBB839_96
; %bb.86:
	s_and_not1_b32 vcc_lo, exec_lo, s16
	s_cbranch_vccnz .LBB839_97
; %bb.87:
	v_mul_u64_e32 v[22:23], s[18:19], v[12:13]
	v_mul_u64_e32 v[24:25], s[18:19], v[20:21]
	s_add_nc_u64 s[4:5], s[18:19], -1
	s_mov_b32 s21, 0
	s_mov_b64 s[6:7], s[4:5]
                                        ; implicit-def: $sgpr17
	s_wait_kmcnt 0x0
	s_delay_alu instid0(VALU_DEP_2) | instskip(NEXT) | instid1(VALU_DEP_2)
	v_lshl_add_u64 v[22:23], v[22:23], 3, s[8:9]
	v_lshl_add_u64 v[24:25], v[24:25], 3, s[8:9]
	s_delay_alu instid0(VALU_DEP_2)
	v_mov_b64_e32 v[26:27], v[22:23]
.LBB839_88:                             ; =>This Inner Loop Header: Depth=1
	global_load_b64 v[28:29], v[26:27], off
	global_load_b64 v[32:33], v[24:25], off
	s_cmp_eq_u64 s[6:7], 0
	s_add_nc_u64 s[22:23], s[6:7], -1
	s_cselect_b32 s6, -1, 0
	s_wait_xcnt 0x1
	v_add_nc_u64_e32 v[26:27], 8, v[26:27]
	s_wait_xcnt 0x0
	v_add_nc_u64_e32 v[24:25], 8, v[24:25]
	s_wait_loadcnt 0x0
	v_cmp_neq_f64_e32 vcc_lo, v[28:29], v[32:33]
	v_cmp_eq_f64_e64 s2, v[28:29], v[32:33]
	s_or_b32 s6, vcc_lo, s6
	s_delay_alu instid0(SALU_CYCLE_1) | instskip(NEXT) | instid1(SALU_CYCLE_1)
	s_and_b32 s6, exec_lo, s6
	s_or_b32 s21, s6, s21
	s_and_not1_b32 s17, s17, exec_lo
	s_and_b32 s2, s2, exec_lo
	s_mov_b64 s[6:7], s[22:23]
	s_or_b32 s17, s17, s2
	s_and_not1_b32 exec_lo, exec_lo, s21
	s_cbranch_execnz .LBB839_88
; %bb.89:
	s_or_b32 exec_lo, exec_lo, s21
	v_mul_u64_e32 v[24:25], s[18:19], v[10:11]
	s_mov_b32 s22, 0
	s_mov_b64 s[6:7], s[4:5]
                                        ; implicit-def: $sgpr21
	s_delay_alu instid0(VALU_DEP_1) | instskip(NEXT) | instid1(VALU_DEP_1)
	v_lshl_add_u64 v[24:25], v[24:25], 3, s[8:9]
	v_mov_b64_e32 v[26:27], v[24:25]
.LBB839_90:                             ; =>This Inner Loop Header: Depth=1
	global_load_b64 v[28:29], v[26:27], off
	global_load_b64 v[32:33], v[22:23], off
	s_cmp_eq_u64 s[6:7], 0
	s_add_nc_u64 s[30:31], s[6:7], -1
	s_cselect_b32 s6, -1, 0
	s_wait_xcnt 0x1
	v_add_nc_u64_e32 v[26:27], 8, v[26:27]
	s_wait_xcnt 0x0
	v_add_nc_u64_e32 v[22:23], 8, v[22:23]
	s_wait_loadcnt 0x0
	v_cmp_neq_f64_e32 vcc_lo, v[28:29], v[32:33]
	v_cmp_eq_f64_e64 s2, v[28:29], v[32:33]
	s_or_b32 s6, vcc_lo, s6
	s_delay_alu instid0(SALU_CYCLE_1) | instskip(NEXT) | instid1(SALU_CYCLE_1)
	s_and_b32 s6, exec_lo, s6
	s_or_b32 s22, s6, s22
	s_and_not1_b32 s21, s21, exec_lo
	s_and_b32 s2, s2, exec_lo
	s_mov_b64 s[6:7], s[30:31]
	s_or_b32 s21, s21, s2
	s_and_not1_b32 exec_lo, exec_lo, s22
	s_cbranch_execnz .LBB839_90
; %bb.91:
	s_or_b32 exec_lo, exec_lo, s22
	v_mul_u64_e32 v[22:23], s[18:19], v[16:17]
	s_mov_b32 s23, 0
	s_mov_b64 s[6:7], s[4:5]
                                        ; implicit-def: $sgpr22
	s_delay_alu instid0(VALU_DEP_1) | instskip(NEXT) | instid1(VALU_DEP_1)
	v_lshl_add_u64 v[22:23], v[22:23], 3, s[8:9]
	v_mov_b64_e32 v[26:27], v[22:23]
.LBB839_92:                             ; =>This Inner Loop Header: Depth=1
	global_load_b64 v[28:29], v[26:27], off
	global_load_b64 v[32:33], v[24:25], off
	s_cmp_eq_u64 s[6:7], 0
	s_add_nc_u64 s[30:31], s[6:7], -1
	s_cselect_b32 s6, -1, 0
	s_wait_xcnt 0x1
	v_add_nc_u64_e32 v[26:27], 8, v[26:27]
	s_wait_xcnt 0x0
	v_add_nc_u64_e32 v[24:25], 8, v[24:25]
	s_wait_loadcnt 0x0
	v_cmp_neq_f64_e32 vcc_lo, v[28:29], v[32:33]
	v_cmp_eq_f64_e64 s2, v[28:29], v[32:33]
	s_or_b32 s6, vcc_lo, s6
	s_delay_alu instid0(SALU_CYCLE_1) | instskip(NEXT) | instid1(SALU_CYCLE_1)
	s_and_b32 s6, exec_lo, s6
	s_or_b32 s23, s6, s23
	s_and_not1_b32 s22, s22, exec_lo
	s_and_b32 s2, s2, exec_lo
	s_mov_b64 s[6:7], s[30:31]
	s_or_b32 s22, s22, s2
	s_and_not1_b32 exec_lo, exec_lo, s23
	s_cbranch_execnz .LBB839_92
; %bb.93:
	s_or_b32 exec_lo, exec_lo, s23
	v_mul_u64_e32 v[24:25], s[18:19], v[14:15]
	s_mov_b32 s7, 0
                                        ; implicit-def: $sgpr6
	s_delay_alu instid0(VALU_DEP_1)
	v_lshl_add_u64 v[24:25], v[24:25], 3, s[8:9]
.LBB839_94:                             ; =>This Inner Loop Header: Depth=1
	global_load_b64 v[26:27], v[24:25], off
	global_load_b64 v[28:29], v[22:23], off
	s_cmp_eq_u64 s[4:5], 0
	s_add_nc_u64 s[30:31], s[4:5], -1
	s_cselect_b32 s4, -1, 0
	s_wait_xcnt 0x1
	v_add_nc_u64_e32 v[24:25], 8, v[24:25]
	s_wait_xcnt 0x0
	v_add_nc_u64_e32 v[22:23], 8, v[22:23]
	s_wait_loadcnt 0x0
	v_cmp_neq_f64_e32 vcc_lo, v[26:27], v[28:29]
	v_cmp_eq_f64_e64 s2, v[26:27], v[28:29]
	s_or_b32 s4, vcc_lo, s4
	s_delay_alu instid0(SALU_CYCLE_1) | instskip(NEXT) | instid1(SALU_CYCLE_1)
	s_and_b32 s4, exec_lo, s4
	s_or_b32 s7, s4, s7
	s_and_not1_b32 s6, s6, exec_lo
	s_and_b32 s2, s2, exec_lo
	s_mov_b64 s[4:5], s[30:31]
	s_or_b32 s6, s6, s2
	s_and_not1_b32 exec_lo, exec_lo, s7
	s_cbranch_execnz .LBB839_94
; %bb.95:
	s_or_b32 exec_lo, exec_lo, s7
	s_xor_b32 s2, s21, -1
	s_delay_alu instid0(SALU_CYCLE_1) | instskip(SKIP_1) | instid1(SALU_CYCLE_1)
	v_cndmask_b32_e64 v22, 0, 1, s2
	s_xor_b32 s2, s22, -1
	v_cndmask_b32_e64 v23, 0, 1, s2
	s_xor_b32 s2, s17, -1
	s_delay_alu instid0(VALU_DEP_2) | instskip(SKIP_2) | instid1(VALU_DEP_2)
	v_lshlrev_b16 v22, 8, v22
	v_cndmask_b32_e64 v35, 0, 1, s2
	s_xor_b32 s2, s6, -1
	v_lshrrev_b32_e32 v22, 8, v22
	s_delay_alu instid0(VALU_DEP_1) | instskip(NEXT) | instid1(VALU_DEP_1)
	v_lshlrev_b16 v22, 8, v22
	v_or_b32_e32 v22, v23, v22
	s_delay_alu instid0(VALU_DEP_1)
	v_lshlrev_b32_e32 v22, 16, v22
	s_branch .LBB839_98
.LBB839_96:
                                        ; implicit-def: $sgpr2
                                        ; implicit-def: $vgpr35
                                        ; implicit-def: $vgpr25
                                        ; implicit-def: $vgpr24
                                        ; implicit-def: $vgpr23
                                        ; implicit-def: $vgpr36
                                        ; implicit-def: $vgpr22
	s_cbranch_execnz .LBB839_105
	s_branch .LBB839_138
.LBB839_97:
	v_dual_mov_b32 v22, 0 :: v_dual_mov_b32 v35, 0
	s_mov_b32 s2, 0
.LBB839_98:
	s_delay_alu instid0(VALU_DEP_1)
	v_dual_lshrrev_b32 v36, 16, v22 :: v_dual_lshrrev_b32 v22, 24, v22
	v_cndmask_b32_e64 v23, 0, 1, s2
	v_mov_b32_e32 v24, 1
	s_mov_b32 s6, 0
	s_wait_dscnt 0x0
	s_barrier_signal -1
	s_barrier_wait -1
                                        ; implicit-def: $sgpr2
                                        ; implicit-def: $vgpr25
	s_mov_b32 s4, exec_lo
	v_cmpx_ne_u32_e32 0, v0
	s_xor_b32 s7, exec_lo, s4
	s_cbranch_execz .LBB839_104
; %bb.99:
	v_lshlrev_b16 v25, 8, v22
	v_lshlrev_b16 v26, 8, v23
	s_and_not1_b32 vcc_lo, exec_lo, s16
	s_mov_b32 s2, 0
	s_delay_alu instid0(VALU_DEP_2) | instskip(NEXT) | instid1(VALU_DEP_1)
	v_bitop3_b16 v25, v36, v25, 0xff bitop3:0xec
	v_dual_lshlrev_b32 v25, 16, v25 :: v_dual_bitop2_b32 v26, 1, v26 bitop3:0x54
	s_delay_alu instid0(VALU_DEP_1) | instskip(NEXT) | instid1(VALU_DEP_1)
	v_and_b32_e32 v26, 0xffff, v26
	v_or_b32_e32 v25, v26, v25
	s_cbranch_vccnz .LBB839_103
; %bb.100:
	v_add_nc_u32_e32 v26, -8, v31
	v_mul_u64_e32 v[28:29], s[18:19], v[14:15]
	s_add_nc_u64 s[4:5], s[18:19], -1
	s_mov_b32 s17, 0
                                        ; implicit-def: $sgpr21
	ds_load_b64 v[26:27], v26
	s_wait_dscnt 0x0
	v_mul_u64_e32 v[26:27], s[18:19], v[26:27]
	s_wait_kmcnt 0x0
	v_lshl_add_u64 v[28:29], v[28:29], 3, s[8:9]
	s_delay_alu instid0(VALU_DEP_2)
	v_lshl_add_u64 v[26:27], v[26:27], 3, s[8:9]
.LBB839_101:                            ; =>This Inner Loop Header: Depth=1
	global_load_b64 v[32:33], v[26:27], off
	global_load_b64 v[38:39], v[28:29], off
	s_cmp_eq_u64 s[4:5], 0
	s_add_nc_u64 s[22:23], s[4:5], -1
	s_cselect_b32 s4, -1, 0
	s_wait_xcnt 0x1
	v_add_nc_u64_e32 v[26:27], 8, v[26:27]
	s_wait_xcnt 0x0
	v_add_nc_u64_e32 v[28:29], 8, v[28:29]
	s_wait_loadcnt 0x0
	v_cmp_neq_f64_e32 vcc_lo, v[32:33], v[38:39]
	v_cmp_eq_f64_e64 s2, v[32:33], v[38:39]
	s_or_b32 s4, vcc_lo, s4
	s_delay_alu instid0(SALU_CYCLE_1) | instskip(NEXT) | instid1(SALU_CYCLE_1)
	s_and_b32 s4, exec_lo, s4
	s_or_b32 s17, s4, s17
	s_and_not1_b32 s21, s21, exec_lo
	s_and_b32 s2, s2, exec_lo
	s_mov_b64 s[4:5], s[22:23]
	s_or_b32 s21, s21, s2
	s_and_not1_b32 exec_lo, exec_lo, s17
	s_cbranch_execnz .LBB839_101
; %bb.102:
	s_or_b32 exec_lo, exec_lo, s17
	s_xor_b32 s2, s21, -1
.LBB839_103:
	s_delay_alu instid0(VALU_DEP_1)
	v_perm_b32 v25, v25, v25, 0x3020104
	s_or_b32 s3, s3, exec_lo
.LBB839_104:
	s_or_b32 exec_lo, exec_lo, s7
	s_delay_alu instid0(SALU_CYCLE_1)
	s_and_b32 vcc_lo, exec_lo, s6
	s_cbranch_vccz .LBB839_138
.LBB839_105:
	v_add_nc_u32_e32 v22, 4, v30
	s_mov_b32 s6, 0
	s_mov_b32 s7, 0
	s_mov_b32 s17, exec_lo
	s_delay_alu instid0(VALU_DEP_1)
	v_cmpx_gt_u32_e64 s27, v22
	s_cbranch_execz .LBB839_111
; %bb.106:
	s_and_not1_b32 vcc_lo, exec_lo, s16
	s_mov_b32 s2, 0
	s_cbranch_vccnz .LBB839_110
; %bb.107:
	v_mul_u64_e32 v[22:23], s[18:19], v[12:13]
	v_mul_u64_e32 v[24:25], s[18:19], v[20:21]
	s_add_nc_u64 s[4:5], s[18:19], -1
                                        ; implicit-def: $sgpr21
	s_wait_kmcnt 0x0
	s_delay_alu instid0(VALU_DEP_2) | instskip(NEXT) | instid1(VALU_DEP_2)
	v_lshl_add_u64 v[22:23], v[22:23], 3, s[8:9]
	v_lshl_add_u64 v[24:25], v[24:25], 3, s[8:9]
.LBB839_108:                            ; =>This Inner Loop Header: Depth=1
	global_load_b64 v[26:27], v[22:23], off
	global_load_b64 v[28:29], v[24:25], off
	s_cmp_eq_u64 s[4:5], 0
	s_add_nc_u64 s[22:23], s[4:5], -1
	s_cselect_b32 s4, -1, 0
	s_wait_xcnt 0x1
	v_add_nc_u64_e32 v[22:23], 8, v[22:23]
	s_wait_xcnt 0x0
	v_add_nc_u64_e32 v[24:25], 8, v[24:25]
	s_wait_loadcnt 0x0
	v_cmp_neq_f64_e32 vcc_lo, v[26:27], v[28:29]
	v_cmp_eq_f64_e64 s2, v[26:27], v[28:29]
	s_or_b32 s4, vcc_lo, s4
	s_delay_alu instid0(SALU_CYCLE_1) | instskip(NEXT) | instid1(SALU_CYCLE_1)
	s_and_b32 s4, exec_lo, s4
	s_or_b32 s7, s4, s7
	s_and_not1_b32 s21, s21, exec_lo
	s_and_b32 s2, s2, exec_lo
	s_mov_b64 s[4:5], s[22:23]
	s_or_b32 s21, s21, s2
	s_and_not1_b32 exec_lo, exec_lo, s7
	s_cbranch_execnz .LBB839_108
; %bb.109:
	s_or_b32 exec_lo, exec_lo, s7
	s_xor_b32 s2, s21, -1
.LBB839_110:
	s_delay_alu instid0(SALU_CYCLE_1)
	s_and_b32 s7, s2, exec_lo
.LBB839_111:
	s_or_b32 exec_lo, exec_lo, s17
	v_add_nc_u32_e32 v22, 3, v30
	s_mov_b32 s17, exec_lo
	s_delay_alu instid0(VALU_DEP_1)
	v_cmpx_gt_u32_e64 s27, v22
	s_cbranch_execz .LBB839_117
; %bb.112:
	s_and_not1_b32 vcc_lo, exec_lo, s16
	s_mov_b32 s2, 0
	s_cbranch_vccnz .LBB839_116
; %bb.113:
	v_mul_u64_e32 v[22:23], s[18:19], v[10:11]
	v_mul_u64_e32 v[24:25], s[18:19], v[12:13]
	s_add_nc_u64 s[4:5], s[18:19], -1
	s_mov_b32 s6, 0
                                        ; implicit-def: $sgpr21
	s_wait_kmcnt 0x0
	s_delay_alu instid0(VALU_DEP_2) | instskip(NEXT) | instid1(VALU_DEP_2)
	v_lshl_add_u64 v[22:23], v[22:23], 3, s[8:9]
	v_lshl_add_u64 v[24:25], v[24:25], 3, s[8:9]
.LBB839_114:                            ; =>This Inner Loop Header: Depth=1
	global_load_b64 v[26:27], v[22:23], off
	global_load_b64 v[28:29], v[24:25], off
	s_cmp_eq_u64 s[4:5], 0
	s_add_nc_u64 s[22:23], s[4:5], -1
	s_cselect_b32 s4, -1, 0
	s_wait_xcnt 0x1
	v_add_nc_u64_e32 v[22:23], 8, v[22:23]
	s_wait_xcnt 0x0
	v_add_nc_u64_e32 v[24:25], 8, v[24:25]
	s_wait_loadcnt 0x0
	v_cmp_neq_f64_e32 vcc_lo, v[26:27], v[28:29]
	v_cmp_eq_f64_e64 s2, v[26:27], v[28:29]
	s_or_b32 s4, vcc_lo, s4
	s_delay_alu instid0(SALU_CYCLE_1) | instskip(NEXT) | instid1(SALU_CYCLE_1)
	s_and_b32 s4, exec_lo, s4
	s_or_b32 s6, s4, s6
	s_and_not1_b32 s21, s21, exec_lo
	s_and_b32 s2, s2, exec_lo
	s_mov_b64 s[4:5], s[22:23]
	s_or_b32 s21, s21, s2
	s_and_not1_b32 exec_lo, exec_lo, s6
	s_cbranch_execnz .LBB839_114
; %bb.115:
	s_or_b32 exec_lo, exec_lo, s6
	s_xor_b32 s2, s21, -1
.LBB839_116:
	s_delay_alu instid0(SALU_CYCLE_1)
	s_and_b32 s6, s2, exec_lo
.LBB839_117:
	s_or_b32 exec_lo, exec_lo, s17
	v_add_nc_u32_e32 v22, 2, v30
	s_mov_b32 s17, 0
	s_mov_b32 s21, 0
	s_mov_b32 s22, exec_lo
	s_delay_alu instid0(VALU_DEP_1)
	v_cmpx_gt_u32_e64 s27, v22
	s_cbranch_execz .LBB839_123
; %bb.118:
	s_and_not1_b32 vcc_lo, exec_lo, s16
	s_mov_b32 s2, 0
	s_cbranch_vccnz .LBB839_122
; %bb.119:
	v_mul_u64_e32 v[22:23], s[18:19], v[16:17]
	v_mul_u64_e32 v[24:25], s[18:19], v[10:11]
	s_add_nc_u64 s[4:5], s[18:19], -1
                                        ; implicit-def: $sgpr23
	s_wait_kmcnt 0x0
	s_delay_alu instid0(VALU_DEP_2) | instskip(NEXT) | instid1(VALU_DEP_2)
	v_lshl_add_u64 v[22:23], v[22:23], 3, s[8:9]
	v_lshl_add_u64 v[24:25], v[24:25], 3, s[8:9]
.LBB839_120:                            ; =>This Inner Loop Header: Depth=1
	global_load_b64 v[26:27], v[22:23], off
	global_load_b64 v[28:29], v[24:25], off
	s_cmp_eq_u64 s[4:5], 0
	s_add_nc_u64 s[30:31], s[4:5], -1
	s_cselect_b32 s4, -1, 0
	s_wait_xcnt 0x1
	v_add_nc_u64_e32 v[22:23], 8, v[22:23]
	s_wait_xcnt 0x0
	v_add_nc_u64_e32 v[24:25], 8, v[24:25]
	s_wait_loadcnt 0x0
	v_cmp_neq_f64_e32 vcc_lo, v[26:27], v[28:29]
	v_cmp_eq_f64_e64 s2, v[26:27], v[28:29]
	s_or_b32 s4, vcc_lo, s4
	s_delay_alu instid0(SALU_CYCLE_1) | instskip(NEXT) | instid1(SALU_CYCLE_1)
	s_and_b32 s4, exec_lo, s4
	s_or_b32 s21, s4, s21
	s_and_not1_b32 s23, s23, exec_lo
	s_and_b32 s2, s2, exec_lo
	s_mov_b64 s[4:5], s[30:31]
	s_or_b32 s23, s23, s2
	s_and_not1_b32 exec_lo, exec_lo, s21
	s_cbranch_execnz .LBB839_120
; %bb.121:
	s_or_b32 exec_lo, exec_lo, s21
	s_xor_b32 s2, s23, -1
.LBB839_122:
	s_delay_alu instid0(SALU_CYCLE_1)
	s_and_b32 s21, s2, exec_lo
.LBB839_123:
	s_or_b32 exec_lo, exec_lo, s22
	v_add_nc_u32_e32 v22, 1, v30
	s_mov_b32 s22, exec_lo
	s_delay_alu instid0(VALU_DEP_1)
	v_cmpx_gt_u32_e64 s27, v22
	s_cbranch_execz .LBB839_129
; %bb.124:
	s_and_not1_b32 vcc_lo, exec_lo, s16
	s_mov_b32 s2, 0
	s_cbranch_vccnz .LBB839_128
; %bb.125:
	v_mul_u64_e32 v[22:23], s[18:19], v[14:15]
	v_mul_u64_e32 v[24:25], s[18:19], v[16:17]
	s_add_nc_u64 s[4:5], s[18:19], -1
	s_mov_b32 s17, 0
                                        ; implicit-def: $sgpr23
	s_wait_kmcnt 0x0
	s_delay_alu instid0(VALU_DEP_2) | instskip(NEXT) | instid1(VALU_DEP_2)
	v_lshl_add_u64 v[22:23], v[22:23], 3, s[8:9]
	v_lshl_add_u64 v[24:25], v[24:25], 3, s[8:9]
.LBB839_126:                            ; =>This Inner Loop Header: Depth=1
	global_load_b64 v[26:27], v[22:23], off
	global_load_b64 v[28:29], v[24:25], off
	s_cmp_eq_u64 s[4:5], 0
	s_add_nc_u64 s[30:31], s[4:5], -1
	s_cselect_b32 s4, -1, 0
	s_wait_xcnt 0x1
	v_add_nc_u64_e32 v[22:23], 8, v[22:23]
	s_wait_xcnt 0x0
	v_add_nc_u64_e32 v[24:25], 8, v[24:25]
	s_wait_loadcnt 0x0
	v_cmp_neq_f64_e32 vcc_lo, v[26:27], v[28:29]
	v_cmp_eq_f64_e64 s2, v[26:27], v[28:29]
	s_or_b32 s4, vcc_lo, s4
	s_delay_alu instid0(SALU_CYCLE_1) | instskip(NEXT) | instid1(SALU_CYCLE_1)
	s_and_b32 s4, exec_lo, s4
	s_or_b32 s17, s4, s17
	s_and_not1_b32 s23, s23, exec_lo
	s_and_b32 s2, s2, exec_lo
	s_mov_b64 s[4:5], s[30:31]
	s_or_b32 s23, s23, s2
	s_and_not1_b32 exec_lo, exec_lo, s17
	s_cbranch_execnz .LBB839_126
; %bb.127:
	s_or_b32 exec_lo, exec_lo, s17
	s_xor_b32 s2, s23, -1
.LBB839_128:
	s_delay_alu instid0(SALU_CYCLE_1)
	s_and_b32 s17, s2, exec_lo
.LBB839_129:
	s_or_b32 exec_lo, exec_lo, s22
	v_cndmask_b32_e64 v35, 0, 1, s7
	v_cndmask_b32_e64 v36, 0, 1, s21
	;; [unrolled: 1-line block ×4, first 2 shown]
	v_mov_b32_e32 v24, 1
	s_mov_b32 s2, 0
	s_mov_b32 s6, exec_lo
	s_wait_dscnt 0x0
	s_barrier_signal -1
	s_barrier_wait -1
                                        ; implicit-def: $vgpr25
	v_cmpx_ne_u32_e32 0, v0
	s_cbranch_execz .LBB839_137
; %bb.130:
	v_lshlrev_b16 v25, 8, v23
	v_lshlrev_b16 v26, 8, v22
	s_mov_b32 s7, exec_lo
	s_delay_alu instid0(VALU_DEP_1) | instskip(NEXT) | instid1(VALU_DEP_1)
	v_or_b32_e32 v26, v36, v26
	v_dual_lshlrev_b32 v26, 16, v26 :: v_dual_bitop2_b32 v25, 1, v25 bitop3:0x54
	s_delay_alu instid0(VALU_DEP_1) | instskip(NEXT) | instid1(VALU_DEP_1)
	v_and_b32_e32 v25, 0xffff, v25
	v_or_b32_e32 v25, v25, v26
	v_cmpx_gt_u32_e64 s27, v30
	s_cbranch_execz .LBB839_136
; %bb.131:
	s_and_not1_b32 vcc_lo, exec_lo, s16
	s_cbranch_vccnz .LBB839_135
; %bb.132:
	v_add_nc_u32_e32 v26, -8, v31
	v_mul_u64_e32 v[28:29], s[18:19], v[14:15]
	s_add_nc_u64 s[4:5], s[18:19], -1
	ds_load_b64 v[26:27], v26
	s_wait_dscnt 0x0
	v_mul_u64_e32 v[26:27], s[18:19], v[26:27]
	s_wait_kmcnt 0x0
	v_lshl_add_u64 v[28:29], v[28:29], 3, s[8:9]
	s_delay_alu instid0(VALU_DEP_2)
	v_lshl_add_u64 v[26:27], v[26:27], 3, s[8:9]
	s_mov_b32 s8, 0
                                        ; implicit-def: $sgpr9
.LBB839_133:                            ; =>This Inner Loop Header: Depth=1
	global_load_b64 v[32:33], v[26:27], off
	global_load_b64 v[38:39], v[28:29], off
	s_cmp_eq_u64 s[4:5], 0
	s_add_nc_u64 s[16:17], s[4:5], -1
	s_cselect_b32 s4, -1, 0
	s_wait_xcnt 0x1
	v_add_nc_u64_e32 v[26:27], 8, v[26:27]
	s_wait_xcnt 0x0
	v_add_nc_u64_e32 v[28:29], 8, v[28:29]
	s_wait_loadcnt 0x0
	v_cmp_neq_f64_e32 vcc_lo, v[32:33], v[38:39]
	v_cmp_eq_f64_e64 s2, v[32:33], v[38:39]
	s_or_b32 s4, vcc_lo, s4
	s_delay_alu instid0(SALU_CYCLE_1) | instskip(NEXT) | instid1(SALU_CYCLE_1)
	s_and_b32 s4, exec_lo, s4
	s_or_b32 s8, s4, s8
	s_and_not1_b32 s9, s9, exec_lo
	s_and_b32 s2, s2, exec_lo
	s_mov_b64 s[4:5], s[16:17]
	s_or_b32 s9, s9, s2
	s_and_not1_b32 exec_lo, exec_lo, s8
	s_cbranch_execnz .LBB839_133
; %bb.134:
	s_or_b32 exec_lo, exec_lo, s8
	s_xor_b32 s2, s9, -1
.LBB839_135:
	s_delay_alu instid0(SALU_CYCLE_1)
	s_and_b32 s2, s2, exec_lo
.LBB839_136:
	s_or_b32 exec_lo, exec_lo, s7
	s_delay_alu instid0(VALU_DEP_2)
	v_perm_b32 v25, v25, v25, 0x3020104
	s_or_b32 s3, s3, exec_lo
.LBB839_137:
	s_or_b32 exec_lo, exec_lo, s6
.LBB839_138:
	s_and_saveexec_b32 s4, s3
	s_cbranch_execz .LBB839_140
; %bb.139:
	s_wait_dscnt 0x0
	v_dual_lshrrev_b32 v22, 24, v25 :: v_dual_lshrrev_b32 v36, 16, v25
	v_lshrrev_b32_e32 v23, 8, v25
	v_cndmask_b32_e64 v24, 0, 1, s2
.LBB839_140:
	s_or_b32 exec_lo, exec_lo, s4
	s_delay_alu instid0(SALU_CYCLE_1)
	s_and_not1_b32 vcc_lo, exec_lo, s28
	s_cbranch_vccnz .LBB839_144
; %bb.141:
	s_wait_dscnt 0x0
	v_perm_b32 v23, v24, v23, 0xc0c0004
	v_perm_b32 v22, v36, v22, 0xc0c0004
	v_cmp_gt_u32_e32 vcc_lo, s27, v30
	v_dual_add_nc_u32 v24, 1, v30 :: v_dual_add_nc_u32 v26, 4, v30
	v_and_b32_e32 v35, 0xff, v35
	s_delay_alu instid0(VALU_DEP_4) | instskip(SKIP_1) | instid1(VALU_DEP_2)
	v_lshl_or_b32 v22, v22, 16, v23
	s_mov_b32 s2, exec_lo
	v_and_b32_e32 v25, 0xffff, v35
	s_delay_alu instid0(VALU_DEP_2) | instskip(SKIP_2) | instid1(VALU_DEP_3)
	v_cndmask_b32_e32 v23, 0, v22, vcc_lo
	v_cmp_gt_u32_e32 vcc_lo, s27, v24
	v_add_nc_u32_e32 v24, 2, v30
	v_and_b32_e32 v23, 0xff, v23
	s_delay_alu instid0(VALU_DEP_1) | instskip(NEXT) | instid1(VALU_DEP_3)
	v_cndmask_b32_e32 v23, v23, v22, vcc_lo
	v_cmp_gt_u32_e32 vcc_lo, s27, v24
	v_add_nc_u32_e32 v24, 3, v30
	s_delay_alu instid0(VALU_DEP_3) | instskip(NEXT) | instid1(VALU_DEP_1)
	v_and_b32_e32 v23, 0xffff, v23
	v_cndmask_b32_e32 v23, v23, v22, vcc_lo
	s_delay_alu instid0(VALU_DEP_3) | instskip(NEXT) | instid1(VALU_DEP_2)
	v_cmp_gt_u32_e32 vcc_lo, s27, v24
	v_and_b32_e32 v23, 0xffffff, v23
	s_delay_alu instid0(VALU_DEP_1) | instskip(NEXT) | instid1(VALU_DEP_1)
	v_cndmask_b32_e32 v24, v23, v22, vcc_lo
	v_lshrrev_b64 v[22:23], 24, v[24:25]
	v_dual_lshrrev_b32 v36, 16, v24 :: v_dual_lshrrev_b32 v23, 8, v24
	v_cmpx_le_u32_e64 s27, v26
; %bb.142:
	v_mov_b32_e32 v35, 0
; %bb.143:
	s_or_b32 exec_lo, exec_lo, s2
.LBB839_144:
	s_delay_alu instid0(VALU_DEP_1)
	v_and_b32_e32 v25, 0xff, v24
	s_wait_dscnt 0x0
	v_and_b32_e32 v37, 0xff, v23
	v_and_b32_e32 v38, 0xff, v36
	v_mbcnt_lo_u32_b32 v40, -1, 0
	v_and_b32_e32 v39, 0xff, v22
	v_and_b32_e32 v26, 0xff, v35
	s_wait_kmcnt 0x0
	v_readfirstlane_b32 s8, v0
	v_add3_u32 v27, v37, v25, v38
	v_and_b32_e32 v28, 15, v40
	s_and_b32 vcc_lo, exec_lo, s20
	v_lshrrev_b32_e32 v41, 5, v0
	s_mov_b32 s9, -1
	v_add3_u32 v42, v27, v39, v26
	v_and_b32_e32 v26, 16, v40
	v_or_b32_e32 v27, 31, v0
	v_cmp_eq_u32_e64 s4, 0, v28
	v_cmp_lt_u32_e64 s6, 1, v28
	v_cmp_lt_u32_e64 s7, 3, v28
	;; [unrolled: 1-line block ×3, first 2 shown]
	v_cmp_eq_u32_e64 s3, 0, v26
	v_cmp_eq_u32_e64 s2, v0, v27
	s_barrier_signal -1
	s_barrier_wait -1
                                        ; implicit-def: $vgpr28
                                        ; implicit-def: $vgpr29
                                        ; implicit-def: $vgpr30
                                        ; implicit-def: $vgpr31
                                        ; implicit-def: $vgpr32
                                        ; implicit-def: $vgpr26
	s_cbranch_vccz .LBB839_171
; %bb.145:
	v_mov_b32_dpp v26, v42 row_shr:1 row_mask:0xf bank_mask:0xf
	s_delay_alu instid0(VALU_DEP_1) | instskip(NEXT) | instid1(VALU_DEP_1)
	v_cndmask_b32_e64 v26, v26, 0, s4
	v_add_nc_u32_e32 v26, v26, v42
	s_delay_alu instid0(VALU_DEP_1) | instskip(NEXT) | instid1(VALU_DEP_1)
	v_mov_b32_dpp v27, v26 row_shr:2 row_mask:0xf bank_mask:0xf
	v_cndmask_b32_e64 v27, 0, v27, s6
	s_delay_alu instid0(VALU_DEP_1) | instskip(NEXT) | instid1(VALU_DEP_1)
	v_add_nc_u32_e32 v26, v26, v27
	v_mov_b32_dpp v27, v26 row_shr:4 row_mask:0xf bank_mask:0xf
	s_delay_alu instid0(VALU_DEP_1) | instskip(NEXT) | instid1(VALU_DEP_1)
	v_cndmask_b32_e64 v27, 0, v27, s7
	v_add_nc_u32_e32 v26, v26, v27
	s_delay_alu instid0(VALU_DEP_1) | instskip(NEXT) | instid1(VALU_DEP_1)
	v_mov_b32_dpp v27, v26 row_shr:8 row_mask:0xf bank_mask:0xf
	v_cndmask_b32_e64 v27, 0, v27, s5
	s_delay_alu instid0(VALU_DEP_1) | instskip(SKIP_3) | instid1(VALU_DEP_1)
	v_add_nc_u32_e32 v26, v26, v27
	ds_swizzle_b32 v27, v26 offset:swizzle(BROADCAST,32,15)
	s_wait_dscnt 0x0
	v_cndmask_b32_e64 v27, v27, 0, s3
	v_add_nc_u32_e32 v26, v26, v27
	s_and_saveexec_b32 s8, s2
; %bb.146:
	v_lshlrev_b32_e32 v27, 2, v41
	ds_store_b32 v27, v26
; %bb.147:
	s_or_b32 exec_lo, exec_lo, s8
	s_delay_alu instid0(SALU_CYCLE_1)
	s_mov_b32 s8, exec_lo
	s_wait_dscnt 0x0
	s_barrier_signal -1
	s_barrier_wait -1
	v_cmpx_gt_u32_e32 4, v0
	s_cbranch_execz .LBB839_149
; %bb.148:
	v_and_b32_e32 v29, 3, v40
	s_delay_alu instid0(VALU_DEP_1) | instskip(SKIP_4) | instid1(VALU_DEP_1)
	v_cmp_ne_u32_e32 vcc_lo, 0, v29
	v_lshlrev_b32_e32 v27, 2, v0
	ds_load_b32 v28, v27
	s_wait_dscnt 0x0
	v_mov_b32_dpp v30, v28 row_shr:1 row_mask:0xf bank_mask:0xf
	v_cndmask_b32_e32 v30, 0, v30, vcc_lo
	v_cmp_lt_u32_e32 vcc_lo, 1, v29
	s_delay_alu instid0(VALU_DEP_2) | instskip(NEXT) | instid1(VALU_DEP_1)
	v_add_nc_u32_e32 v28, v30, v28
	v_mov_b32_dpp v30, v28 row_shr:2 row_mask:0xf bank_mask:0xf
	s_delay_alu instid0(VALU_DEP_1) | instskip(NEXT) | instid1(VALU_DEP_1)
	v_cndmask_b32_e32 v29, 0, v30, vcc_lo
	v_add_nc_u32_e32 v28, v28, v29
	ds_store_b32 v27, v28
.LBB839_149:
	s_or_b32 exec_lo, exec_lo, s8
	s_delay_alu instid0(SALU_CYCLE_1)
	s_mov_b32 s9, exec_lo
	v_cmp_gt_u32_e32 vcc_lo, 32, v0
	s_wait_dscnt 0x0
	s_barrier_signal -1
	s_barrier_wait -1
                                        ; implicit-def: $vgpr43
	v_cmpx_lt_u32_e32 31, v0
	s_cbranch_execz .LBB839_151
; %bb.150:
	v_lshl_add_u32 v27, v41, 2, -4
	ds_load_b32 v43, v27
	s_wait_dscnt 0x0
	v_add_nc_u32_e32 v26, v43, v26
.LBB839_151:
	s_or_b32 exec_lo, exec_lo, s9
	v_sub_co_u32 v27, s8, v40, 1
	s_delay_alu instid0(VALU_DEP_1) | instskip(NEXT) | instid1(VALU_DEP_1)
	v_cmp_gt_i32_e64 s9, 0, v27
	v_cndmask_b32_e64 v27, v27, v40, s9
	s_delay_alu instid0(VALU_DEP_1)
	v_lshlrev_b32_e32 v27, 2, v27
	ds_bpermute_b32 v44, v27, v26
	s_and_saveexec_b32 s9, vcc_lo
	s_cbranch_execz .LBB839_170
; %bb.152:
	v_mov_b32_e32 v33, 0
	ds_load_b32 v26, v33 offset:12
	s_and_saveexec_b32 s16, s8
	s_cbranch_execz .LBB839_154
; %bb.153:
	s_add_co_i32 s17, s26, 32
	s_delay_alu instid0(SALU_CYCLE_1)
	v_dual_mov_b32 v27, 1 :: v_dual_mov_b32 v28, s17
	s_wait_dscnt 0x0
	global_store_b64 v28, v[26:27], s[10:11] scale_offset scope:SCOPE_DEV
.LBB839_154:
	s_wait_xcnt 0x0
	s_or_b32 exec_lo, exec_lo, s16
	v_xad_u32 v28, v40, -1, s26
	s_mov_b32 s17, 0
	s_mov_b32 s16, exec_lo
	s_delay_alu instid0(VALU_DEP_1) | instskip(SKIP_4) | instid1(VALU_DEP_1)
	v_add_nc_u32_e32 v32, 32, v28
	global_load_b64 v[30:31], v32, s[10:11] scale_offset scope:SCOPE_DEV
	s_wait_loadcnt 0x0
	v_and_b32_e32 v27, 0xff, v31
	s_wait_xcnt 0x0
	v_cmpx_eq_u16_e32 0, v27
	s_cbranch_execz .LBB839_158
; %bb.155:
	v_lshl_add_u64 v[32:33], v[32:33], 3, s[10:11]
.LBB839_156:                            ; =>This Inner Loop Header: Depth=1
	global_load_b64 v[30:31], v[32:33], off scope:SCOPE_DEV
	s_wait_loadcnt 0x0
	v_and_b32_e32 v27, 0xff, v31
	s_delay_alu instid0(VALU_DEP_1)
	v_cmp_ne_u16_e32 vcc_lo, 0, v27
	s_or_b32 s17, vcc_lo, s17
	s_wait_xcnt 0x0
	s_and_not1_b32 exec_lo, exec_lo, s17
	s_cbranch_execnz .LBB839_156
; %bb.157:
	s_or_b32 exec_lo, exec_lo, s17
.LBB839_158:
	s_delay_alu instid0(SALU_CYCLE_1)
	s_or_b32 exec_lo, exec_lo, s16
	v_cmp_ne_u32_e32 vcc_lo, 31, v40
	v_lshlrev_b32_e64 v46, v40, -1
	v_lshl_or_b32 v53, v40, 2, 64
	v_dual_add_nc_u32 v48, 2, v40 :: v_dual_add_nc_u32 v50, 4, v40
	v_add_co_ci_u32_e64 v27, null, 0, v40, vcc_lo
	v_dual_add_nc_u32 v52, 8, v40 :: v_dual_add_nc_u32 v54, 16, v40
	s_delay_alu instid0(VALU_DEP_2)
	v_lshlrev_b32_e32 v45, 2, v27
	v_and_b32_e32 v27, 0xff, v31
	ds_bpermute_b32 v29, v45, v30
	v_cmp_eq_u16_e32 vcc_lo, 2, v27
	v_and_or_b32 v27, vcc_lo, v46, 0x80000000
	v_cmp_gt_u32_e32 vcc_lo, 30, v40
	s_delay_alu instid0(VALU_DEP_2) | instskip(SKIP_1) | instid1(VALU_DEP_2)
	v_ctz_i32_b32_e32 v27, v27
	v_cndmask_b32_e64 v32, 0, 2, vcc_lo
	v_cmp_lt_u32_e32 vcc_lo, v40, v27
	s_delay_alu instid0(VALU_DEP_2) | instskip(SKIP_3) | instid1(VALU_DEP_2)
	v_add_lshl_u32 v47, v32, v40, 2
	s_wait_dscnt 0x0
	v_cndmask_b32_e32 v29, 0, v29, vcc_lo
	v_cmp_gt_u32_e32 vcc_lo, 28, v40
	v_add_nc_u32_e32 v29, v29, v30
	v_cndmask_b32_e64 v32, 0, 4, vcc_lo
	v_cmp_le_u32_e32 vcc_lo, v48, v27
	ds_bpermute_b32 v30, v47, v29
	v_add_lshl_u32 v49, v32, v40, 2
	s_wait_dscnt 0x0
	v_cndmask_b32_e32 v30, 0, v30, vcc_lo
	v_cmp_gt_u32_e32 vcc_lo, 24, v40
	v_cndmask_b32_e64 v32, 0, 8, vcc_lo
	v_cmp_le_u32_e32 vcc_lo, v50, v27
	s_delay_alu instid0(VALU_DEP_4) | instskip(NEXT) | instid1(VALU_DEP_3)
	v_add_nc_u32_e32 v29, v29, v30
	v_add_lshl_u32 v51, v32, v40, 2
	ds_bpermute_b32 v30, v49, v29
	s_wait_dscnt 0x0
	v_cndmask_b32_e32 v30, 0, v30, vcc_lo
	v_cmp_le_u32_e32 vcc_lo, v52, v27
	s_delay_alu instid0(VALU_DEP_2) | instskip(SKIP_4) | instid1(VALU_DEP_2)
	v_add_nc_u32_e32 v29, v29, v30
	ds_bpermute_b32 v30, v51, v29
	s_wait_dscnt 0x0
	v_cndmask_b32_e32 v30, 0, v30, vcc_lo
	v_cmp_le_u32_e32 vcc_lo, v54, v27
	v_add_nc_u32_e32 v29, v29, v30
	ds_bpermute_b32 v30, v53, v29
	s_wait_dscnt 0x0
	v_cndmask_b32_e32 v27, 0, v30, vcc_lo
	s_delay_alu instid0(VALU_DEP_1)
	v_dual_mov_b32 v29, 0 :: v_dual_add_nc_u32 v30, v29, v27
	s_branch .LBB839_161
.LBB839_159:                            ;   in Loop: Header=BB839_161 Depth=1
	s_or_b32 exec_lo, exec_lo, s16
	v_and_b32_e32 v32, 0xff, v31
	ds_bpermute_b32 v33, v45, v30
	v_subrev_nc_u32_e32 v28, 32, v28
	s_mov_b32 s16, 0
	v_cmp_eq_u16_e32 vcc_lo, 2, v32
	v_and_or_b32 v32, vcc_lo, v46, 0x80000000
	s_delay_alu instid0(VALU_DEP_1) | instskip(NEXT) | instid1(VALU_DEP_1)
	v_ctz_i32_b32_e32 v32, v32
	v_cmp_lt_u32_e32 vcc_lo, v40, v32
	s_wait_dscnt 0x0
	v_cndmask_b32_e32 v33, 0, v33, vcc_lo
	v_cmp_le_u32_e32 vcc_lo, v48, v32
	s_delay_alu instid0(VALU_DEP_2) | instskip(SKIP_4) | instid1(VALU_DEP_2)
	v_add_nc_u32_e32 v30, v33, v30
	ds_bpermute_b32 v33, v47, v30
	s_wait_dscnt 0x0
	v_cndmask_b32_e32 v33, 0, v33, vcc_lo
	v_cmp_le_u32_e32 vcc_lo, v50, v32
	v_add_nc_u32_e32 v30, v30, v33
	ds_bpermute_b32 v33, v49, v30
	s_wait_dscnt 0x0
	v_cndmask_b32_e32 v33, 0, v33, vcc_lo
	v_cmp_le_u32_e32 vcc_lo, v52, v32
	s_delay_alu instid0(VALU_DEP_2) | instskip(SKIP_4) | instid1(VALU_DEP_2)
	v_add_nc_u32_e32 v30, v30, v33
	ds_bpermute_b32 v33, v51, v30
	s_wait_dscnt 0x0
	v_cndmask_b32_e32 v33, 0, v33, vcc_lo
	v_cmp_le_u32_e32 vcc_lo, v54, v32
	v_add_nc_u32_e32 v30, v30, v33
	ds_bpermute_b32 v33, v53, v30
	s_wait_dscnt 0x0
	v_cndmask_b32_e32 v32, 0, v33, vcc_lo
	s_delay_alu instid0(VALU_DEP_1)
	v_add3_u32 v30, v32, v27, v30
.LBB839_160:                            ;   in Loop: Header=BB839_161 Depth=1
	s_and_b32 vcc_lo, exec_lo, s16
	s_cbranch_vccnz .LBB839_166
.LBB839_161:                            ; =>This Loop Header: Depth=1
                                        ;     Child Loop BB839_164 Depth 2
	v_and_b32_e32 v27, 0xff, v31
	s_mov_b32 s16, -1
                                        ; implicit-def: $vgpr31
	s_delay_alu instid0(VALU_DEP_1)
	v_cmp_ne_u16_e32 vcc_lo, 2, v27
	v_mov_b32_e32 v27, v30
                                        ; implicit-def: $vgpr30
	s_cmp_lg_u32 vcc_lo, exec_lo
	s_cbranch_scc1 .LBB839_160
; %bb.162:                              ;   in Loop: Header=BB839_161 Depth=1
	global_load_b64 v[30:31], v28, s[10:11] scale_offset scope:SCOPE_DEV
	s_mov_b32 s16, exec_lo
	s_wait_loadcnt 0x0
	v_and_b32_e32 v32, 0xff, v31
	s_wait_xcnt 0x0
	s_delay_alu instid0(VALU_DEP_1)
	v_cmpx_eq_u16_e32 0, v32
	s_cbranch_execz .LBB839_159
; %bb.163:                              ;   in Loop: Header=BB839_161 Depth=1
	v_lshl_add_u64 v[32:33], v[28:29], 3, s[10:11]
	s_mov_b32 s17, 0
.LBB839_164:                            ;   Parent Loop BB839_161 Depth=1
                                        ; =>  This Inner Loop Header: Depth=2
	global_load_b64 v[30:31], v[32:33], off scope:SCOPE_DEV
	s_wait_loadcnt 0x0
	v_and_b32_e32 v55, 0xff, v31
	s_delay_alu instid0(VALU_DEP_1)
	v_cmp_ne_u16_e32 vcc_lo, 0, v55
	s_or_b32 s17, vcc_lo, s17
	s_wait_xcnt 0x0
	s_and_not1_b32 exec_lo, exec_lo, s17
	s_cbranch_execnz .LBB839_164
; %bb.165:                              ;   in Loop: Header=BB839_161 Depth=1
	s_or_b32 exec_lo, exec_lo, s17
	s_branch .LBB839_159
.LBB839_166:
	s_and_saveexec_b32 s16, s8
	s_cbranch_execz .LBB839_168
; %bb.167:
	s_add_co_i32 s17, s26, 32
	v_dual_mov_b32 v29, 2 :: v_dual_add_nc_u32 v28, v27, v26
	v_dual_mov_b32 v30, s17 :: v_dual_mov_b32 v31, 0
	global_store_b64 v30, v[28:29], s[10:11] scale_offset scope:SCOPE_DEV
	ds_store_b64 v31, v[26:27] offset:5120
.LBB839_168:
	s_wait_xcnt 0x0
	s_or_b32 exec_lo, exec_lo, s16
	v_cmp_eq_u32_e32 vcc_lo, 0, v0
	s_and_b32 exec_lo, exec_lo, vcc_lo
; %bb.169:
	v_mov_b32_e32 v26, 0
	ds_store_b32 v26, v27 offset:12
.LBB839_170:
	s_or_b32 exec_lo, exec_lo, s9
	s_wait_dscnt 0x0
	v_dual_mov_b32 v26, 0 :: v_dual_cndmask_b32 v28, v44, v43, s8
	s_wait_storecnt 0x0
	s_barrier_signal -1
	s_barrier_wait -1
	ds_load_b32 v27, v26 offset:12
	v_cmp_ne_u32_e32 vcc_lo, 0, v0
	s_wait_dscnt 0x0
	s_barrier_signal -1
	s_barrier_wait -1
	v_cndmask_b32_e32 v28, 0, v28, vcc_lo
	s_mov_b32 s9, 0
	s_delay_alu instid0(VALU_DEP_1) | instskip(SKIP_2) | instid1(VALU_DEP_1)
	v_add_nc_u32_e32 v32, v27, v28
	ds_load_b64 v[26:27], v26 offset:5120
	v_add_nc_u32_e32 v31, v32, v25
	v_add_nc_u32_e32 v30, v31, v37
	s_delay_alu instid0(VALU_DEP_1) | instskip(NEXT) | instid1(VALU_DEP_1)
	v_add_nc_u32_e32 v29, v30, v38
	v_add_nc_u32_e32 v28, v29, v39
	s_wait_dscnt 0x0
	v_readfirstlane_b32 s8, v27
.LBB839_171:
	s_and_b32 vcc_lo, exec_lo, s9
	s_cbranch_vccz .LBB839_181
; %bb.172:
	v_mov_b32_dpp v26, v42 row_shr:1 row_mask:0xf bank_mask:0xf
	s_delay_alu instid0(VALU_DEP_1) | instskip(NEXT) | instid1(VALU_DEP_1)
	v_cndmask_b32_e64 v26, v26, 0, s4
	v_add_nc_u32_e32 v26, v26, v42
	s_delay_alu instid0(VALU_DEP_1) | instskip(NEXT) | instid1(VALU_DEP_1)
	v_mov_b32_dpp v27, v26 row_shr:2 row_mask:0xf bank_mask:0xf
	v_cndmask_b32_e64 v27, 0, v27, s6
	s_delay_alu instid0(VALU_DEP_1) | instskip(NEXT) | instid1(VALU_DEP_1)
	v_add_nc_u32_e32 v26, v26, v27
	v_mov_b32_dpp v27, v26 row_shr:4 row_mask:0xf bank_mask:0xf
	s_delay_alu instid0(VALU_DEP_1) | instskip(NEXT) | instid1(VALU_DEP_1)
	v_cndmask_b32_e64 v27, 0, v27, s7
	v_add_nc_u32_e32 v26, v26, v27
	s_delay_alu instid0(VALU_DEP_1) | instskip(NEXT) | instid1(VALU_DEP_1)
	v_mov_b32_dpp v27, v26 row_shr:8 row_mask:0xf bank_mask:0xf
	v_cndmask_b32_e64 v27, 0, v27, s5
	s_delay_alu instid0(VALU_DEP_1) | instskip(SKIP_3) | instid1(VALU_DEP_1)
	v_add_nc_u32_e32 v26, v26, v27
	ds_swizzle_b32 v27, v26 offset:swizzle(BROADCAST,32,15)
	s_wait_dscnt 0x0
	v_cndmask_b32_e64 v27, v27, 0, s3
	v_add_nc_u32_e32 v26, v26, v27
	s_and_saveexec_b32 s3, s2
; %bb.173:
	v_lshlrev_b32_e32 v27, 2, v41
	ds_store_b32 v27, v26
; %bb.174:
	s_or_b32 exec_lo, exec_lo, s3
	s_delay_alu instid0(SALU_CYCLE_1)
	s_mov_b32 s2, exec_lo
	s_wait_dscnt 0x0
	s_barrier_signal -1
	s_barrier_wait -1
	v_cmpx_gt_u32_e32 4, v0
	s_cbranch_execz .LBB839_176
; %bb.175:
	v_and_b32_e32 v29, 3, v40
	s_delay_alu instid0(VALU_DEP_1) | instskip(SKIP_4) | instid1(VALU_DEP_1)
	v_cmp_ne_u32_e32 vcc_lo, 0, v29
	v_lshlrev_b32_e32 v27, 2, v0
	ds_load_b32 v28, v27
	s_wait_dscnt 0x0
	v_mov_b32_dpp v30, v28 row_shr:1 row_mask:0xf bank_mask:0xf
	v_cndmask_b32_e32 v30, 0, v30, vcc_lo
	v_cmp_lt_u32_e32 vcc_lo, 1, v29
	s_delay_alu instid0(VALU_DEP_2) | instskip(NEXT) | instid1(VALU_DEP_1)
	v_add_nc_u32_e32 v28, v30, v28
	v_mov_b32_dpp v30, v28 row_shr:2 row_mask:0xf bank_mask:0xf
	s_delay_alu instid0(VALU_DEP_1) | instskip(NEXT) | instid1(VALU_DEP_1)
	v_cndmask_b32_e32 v29, 0, v30, vcc_lo
	v_add_nc_u32_e32 v28, v28, v29
	ds_store_b32 v27, v28
.LBB839_176:
	s_or_b32 exec_lo, exec_lo, s2
	v_dual_mov_b32 v27, 0 :: v_dual_mov_b32 v28, 0
	s_mov_b32 s2, exec_lo
	s_wait_dscnt 0x0
	s_barrier_signal -1
	s_barrier_wait -1
	v_cmpx_lt_u32_e32 31, v0
; %bb.177:
	v_lshl_add_u32 v28, v41, 2, -4
	ds_load_b32 v28, v28
; %bb.178:
	s_or_b32 exec_lo, exec_lo, s2
	v_sub_co_u32 v29, vcc_lo, v40, 1
	s_mov_b32 s8, 0
	s_wait_dscnt 0x0
	v_add_nc_u32_e32 v26, v28, v26
	v_cmp_gt_i32_e64 s2, 0, v29
	s_delay_alu instid0(VALU_DEP_1) | instskip(SKIP_1) | instid1(VALU_DEP_2)
	v_cndmask_b32_e64 v29, v29, v40, s2
	v_cmp_eq_u32_e64 s2, 0, v0
	v_lshlrev_b32_e32 v29, 2, v29
	ds_bpermute_b32 v29, v29, v26
	ds_load_b32 v26, v27 offset:12
	s_and_saveexec_b32 s3, s2
	s_cbranch_execz .LBB839_180
; %bb.179:
	v_dual_mov_b32 v30, 0 :: v_dual_mov_b32 v27, 2
	s_wait_dscnt 0x0
	global_store_b64 v30, v[26:27], s[10:11] offset:256 scope:SCOPE_DEV
.LBB839_180:
	s_wait_xcnt 0x0
	s_or_b32 exec_lo, exec_lo, s3
	s_wait_dscnt 0x1
	v_cndmask_b32_e32 v27, v29, v28, vcc_lo
	s_wait_storecnt_dscnt 0x0
	s_barrier_signal -1
	s_barrier_wait -1
	s_delay_alu instid0(VALU_DEP_1) | instskip(NEXT) | instid1(VALU_DEP_1)
	v_cndmask_b32_e64 v32, v27, 0, s2
	v_add_nc_u32_e32 v31, v32, v25
	s_delay_alu instid0(VALU_DEP_1) | instskip(NEXT) | instid1(VALU_DEP_1)
	v_add_nc_u32_e32 v30, v31, v37
	v_add_nc_u32_e32 v29, v30, v38
	s_delay_alu instid0(VALU_DEP_1)
	v_add_nc_u32_e32 v28, v29, v39
.LBB839_181:
	s_load_b128 s[4:7], s[0:1], 0x28
	s_delay_alu instid0(VALU_DEP_1)
	v_dual_add_nc_u32 v25, s8, v26 :: v_dual_bitop2_b32 v24, 1, v24 bitop3:0x40
	s_wait_xcnt 0x0
	v_cmp_gt_u32_e64 s0, 0x81, v26
	s_mov_b32 s3, -1
	v_cmp_lt_u32_e64 s1, v32, v25
	v_cmp_eq_u32_e64 s2, 1, v24
	s_and_b32 vcc_lo, exec_lo, s0
	s_cbranch_vccz .LBB839_193
; %bb.182:
	s_or_b32 s1, s25, s1
	s_delay_alu instid0(SALU_CYCLE_1) | instskip(NEXT) | instid1(SALU_CYCLE_1)
	s_and_b32 s2, s1, s2
	s_and_saveexec_b32 s1, s2
	s_cbranch_execz .LBB839_184
; %bb.183:
	s_lshl_b64 s[2:3], s[14:15], 3
	s_wait_kmcnt 0x0
	s_add_nc_u64 s[2:3], s[4:5], s[2:3]
	global_store_b64 v32, v[14:15], s[2:3] scale_offset
.LBB839_184:
	s_wait_xcnt 0x0
	s_or_b32 exec_lo, exec_lo, s1
	v_and_b32_e32 v27, 1, v23
	v_cmp_lt_u32_e32 vcc_lo, v31, v25
	s_delay_alu instid0(VALU_DEP_2) | instskip(SKIP_1) | instid1(SALU_CYCLE_1)
	v_cmp_eq_u32_e64 s1, 1, v27
	s_or_b32 s2, s25, vcc_lo
	s_and_b32 s2, s2, s1
	s_delay_alu instid0(SALU_CYCLE_1)
	s_and_saveexec_b32 s1, s2
	s_cbranch_execz .LBB839_186
; %bb.185:
	s_lshl_b64 s[2:3], s[14:15], 3
	s_wait_kmcnt 0x0
	s_add_nc_u64 s[2:3], s[4:5], s[2:3]
	global_store_b64 v31, v[16:17], s[2:3] scale_offset
.LBB839_186:
	s_wait_xcnt 0x0
	s_or_b32 exec_lo, exec_lo, s1
	v_and_b32_e32 v27, 1, v36
	v_cmp_lt_u32_e32 vcc_lo, v30, v25
	s_delay_alu instid0(VALU_DEP_2) | instskip(SKIP_1) | instid1(SALU_CYCLE_1)
	v_cmp_eq_u32_e64 s1, 1, v27
	s_or_b32 s2, s25, vcc_lo
	s_and_b32 s2, s2, s1
	s_delay_alu instid0(SALU_CYCLE_1)
	;; [unrolled: 17-line block ×4, first 2 shown]
	s_and_saveexec_b32 s1, s2
	s_cbranch_execz .LBB839_192
; %bb.191:
	s_lshl_b64 s[2:3], s[14:15], 3
	s_wait_kmcnt 0x0
	s_add_nc_u64 s[2:3], s[4:5], s[2:3]
	global_store_b64 v28, v[20:21], s[2:3] scale_offset
.LBB839_192:
	s_wait_xcnt 0x0
	s_or_b32 exec_lo, exec_lo, s1
	s_mov_b32 s3, 0
.LBB839_193:
	s_delay_alu instid0(SALU_CYCLE_1)
	s_and_b32 vcc_lo, exec_lo, s3
	s_cbranch_vccz .LBB839_207
; %bb.194:
	s_mov_b32 s1, exec_lo
	v_cmpx_eq_u32_e32 1, v24
; %bb.195:
	v_subrev_nc_u32_e32 v27, s8, v32
	s_delay_alu instid0(VALU_DEP_1)
	v_lshlrev_b32_e32 v27, 3, v27
	ds_store_b64 v27, v[14:15]
; %bb.196:
	s_or_b32 exec_lo, exec_lo, s1
	v_and_b32_e32 v14, 1, v23
	s_mov_b32 s1, exec_lo
	s_delay_alu instid0(VALU_DEP_1)
	v_cmpx_eq_u32_e32 1, v14
; %bb.197:
	v_subrev_nc_u32_e32 v14, s8, v31
	s_delay_alu instid0(VALU_DEP_1)
	v_lshlrev_b32_e32 v14, 3, v14
	ds_store_b64 v14, v[16:17]
; %bb.198:
	s_or_b32 exec_lo, exec_lo, s1
	v_and_b32_e32 v14, 1, v36
	s_mov_b32 s1, exec_lo
	s_delay_alu instid0(VALU_DEP_1)
	;; [unrolled: 11-line block ×4, first 2 shown]
	v_cmpx_eq_u32_e32 1, v10
; %bb.203:
	v_subrev_nc_u32_e32 v10, s8, v28
	s_delay_alu instid0(VALU_DEP_1)
	v_lshlrev_b32_e32 v10, 3, v10
	ds_store_b64 v10, v[20:21]
; %bb.204:
	s_or_b32 exec_lo, exec_lo, s1
	s_mov_b32 s9, 0
	v_dual_mov_b32 v11, v1 :: v_dual_lshlrev_b32 v10, 3, v0
	s_lshl_b64 s[2:3], s[8:9], 3
	s_wait_storecnt_dscnt 0x0
	s_wait_kmcnt 0x0
	s_add_nc_u64 s[2:3], s[4:5], s[2:3]
	s_lshl_b64 s[4:5], s[14:15], 3
	s_barrier_signal -1
	s_add_nc_u64 s[2:3], s[2:3], s[4:5]
	s_barrier_wait -1
.LBB839_205:                            ; =>This Inner Loop Header: Depth=1
	ds_load_b64 v[12:13], v10
	v_add_nc_u32_e32 v10, 0x400, v10
	s_wait_dscnt 0x0
	global_store_b64 v11, v[12:13], s[2:3] scale_offset
	s_wait_xcnt 0x0
	v_add_nc_u32_e32 v11, 0x80, v11
	s_delay_alu instid0(VALU_DEP_1) | instskip(SKIP_1) | instid1(SALU_CYCLE_1)
	v_cmp_ge_u32_e32 vcc_lo, v11, v26
	s_or_b32 s9, vcc_lo, s9
	s_and_not1_b32 exec_lo, exec_lo, s9
	s_cbranch_execnz .LBB839_205
; %bb.206:
	s_or_b32 exec_lo, exec_lo, s9
.LBB839_207:
	s_delay_alu instid0(SALU_CYCLE_1)
	s_and_b32 vcc_lo, exec_lo, s0
	s_mov_b32 s0, -1
	s_wait_storecnt 0x0
	s_barrier_signal -1
	s_barrier_wait -1
	s_cbranch_vccz .LBB839_219
; %bb.208:
	v_cmp_lt_u32_e32 vcc_lo, v32, v25
	v_cmp_eq_u32_e64 s0, 1, v24
	s_or_b32 s1, s25, vcc_lo
	s_delay_alu instid0(SALU_CYCLE_1) | instskip(NEXT) | instid1(SALU_CYCLE_1)
	s_and_b32 s1, s1, s0
	s_and_saveexec_b32 s0, s1
	s_cbranch_execz .LBB839_210
; %bb.209:
	s_lshl_b64 s[2:3], s[14:15], 3
	s_wait_kmcnt 0x0
	s_add_nc_u64 s[2:3], s[6:7], s[2:3]
	global_store_b64 v32, v[6:7], s[2:3] scale_offset
.LBB839_210:
	s_wait_xcnt 0x0
	s_or_b32 exec_lo, exec_lo, s0
	v_and_b32_e32 v10, 1, v23
	v_cmp_lt_u32_e32 vcc_lo, v31, v25
	s_delay_alu instid0(VALU_DEP_2) | instskip(SKIP_1) | instid1(SALU_CYCLE_1)
	v_cmp_eq_u32_e64 s0, 1, v10
	s_or_b32 s1, s25, vcc_lo
	s_and_b32 s1, s1, s0
	s_delay_alu instid0(SALU_CYCLE_1)
	s_and_saveexec_b32 s0, s1
	s_cbranch_execz .LBB839_212
; %bb.211:
	s_lshl_b64 s[2:3], s[14:15], 3
	s_wait_kmcnt 0x0
	s_add_nc_u64 s[2:3], s[6:7], s[2:3]
	global_store_b64 v31, v[8:9], s[2:3] scale_offset
.LBB839_212:
	s_wait_xcnt 0x0
	s_or_b32 exec_lo, exec_lo, s0
	v_and_b32_e32 v10, 1, v36
	v_cmp_lt_u32_e32 vcc_lo, v30, v25
	s_delay_alu instid0(VALU_DEP_2) | instskip(SKIP_1) | instid1(SALU_CYCLE_1)
	v_cmp_eq_u32_e64 s0, 1, v10
	s_or_b32 s1, s25, vcc_lo
	s_and_b32 s1, s1, s0
	s_delay_alu instid0(SALU_CYCLE_1)
	;; [unrolled: 17-line block ×4, first 2 shown]
	s_and_saveexec_b32 s0, s1
	s_cbranch_execz .LBB839_218
; %bb.217:
	s_lshl_b64 s[2:3], s[14:15], 3
	s_wait_kmcnt 0x0
	s_add_nc_u64 s[2:3], s[6:7], s[2:3]
	global_store_b64 v28, v[18:19], s[2:3] scale_offset
.LBB839_218:
	s_wait_xcnt 0x0
	s_or_b32 exec_lo, exec_lo, s0
	s_mov_b32 s0, 0
.LBB839_219:
	s_delay_alu instid0(SALU_CYCLE_1)
	s_and_b32 vcc_lo, exec_lo, s0
	s_cbranch_vccz .LBB839_233
; %bb.220:
	s_mov_b32 s0, exec_lo
	v_cmpx_eq_u32_e32 1, v24
; %bb.221:
	v_subrev_nc_u32_e32 v10, s8, v32
	s_delay_alu instid0(VALU_DEP_1)
	v_lshlrev_b32_e32 v10, 3, v10
	ds_store_b64 v10, v[6:7]
; %bb.222:
	s_or_b32 exec_lo, exec_lo, s0
	v_and_b32_e32 v6, 1, v23
	s_mov_b32 s0, exec_lo
	s_delay_alu instid0(VALU_DEP_1)
	v_cmpx_eq_u32_e32 1, v6
; %bb.223:
	v_subrev_nc_u32_e32 v6, s8, v31
	s_delay_alu instid0(VALU_DEP_1)
	v_lshlrev_b32_e32 v6, 3, v6
	ds_store_b64 v6, v[8:9]
; %bb.224:
	s_or_b32 exec_lo, exec_lo, s0
	v_and_b32_e32 v6, 1, v36
	s_mov_b32 s0, exec_lo
	s_delay_alu instid0(VALU_DEP_1)
	;; [unrolled: 11-line block ×4, first 2 shown]
	v_cmpx_eq_u32_e32 1, v2
; %bb.229:
	v_subrev_nc_u32_e32 v2, s8, v28
	s_delay_alu instid0(VALU_DEP_1)
	v_lshlrev_b32_e32 v2, 3, v2
	ds_store_b64 v2, v[18:19]
; %bb.230:
	s_or_b32 exec_lo, exec_lo, s0
	s_mov_b32 s9, 0
	s_lshl_b64 s[2:3], s[14:15], 3
	s_lshl_b64 s[0:1], s[8:9], 3
	s_wait_storecnt_dscnt 0x0
	s_wait_kmcnt 0x0
	s_add_nc_u64 s[0:1], s[6:7], s[0:1]
	s_barrier_signal -1
	s_add_nc_u64 s[0:1], s[0:1], s[2:3]
	s_barrier_wait -1
.LBB839_231:                            ; =>This Inner Loop Header: Depth=1
	ds_load_b64 v[2:3], v34
	v_add_nc_u32_e32 v34, 0x400, v34
	s_wait_dscnt 0x0
	global_store_b64 v1, v[2:3], s[0:1] scale_offset
	s_wait_xcnt 0x0
	v_add_nc_u32_e32 v1, 0x80, v1
	s_delay_alu instid0(VALU_DEP_1) | instskip(SKIP_1) | instid1(SALU_CYCLE_1)
	v_cmp_ge_u32_e32 vcc_lo, v1, v26
	s_or_b32 s9, vcc_lo, s9
	s_and_not1_b32 exec_lo, exec_lo, s9
	s_cbranch_execnz .LBB839_231
; %bb.232:
	s_or_b32 exec_lo, exec_lo, s9
.LBB839_233:
	v_cmp_eq_u32_e32 vcc_lo, 0, v0
	s_mov_b32 s9, 0
	s_and_b32 s0, vcc_lo, s24
	s_delay_alu instid0(SALU_CYCLE_1)
	s_and_saveexec_b32 s1, s0
	s_cbranch_execz .LBB839_235
; %bb.234:
	v_mov_b32_e32 v27, 0
	s_delay_alu instid0(VALU_DEP_1) | instskip(NEXT) | instid1(VALU_DEP_1)
	v_add_nc_u64_e32 v[0:1], s[14:15], v[26:27]
	v_add_nc_u64_e32 v[0:1], s[8:9], v[0:1]
	global_store_b64 v27, v[0:1], s[12:13]
.LBB839_235:
	s_endpgm
	.section	.rodata,"a",@progbits
	.p2align	6, 0x0
	.amdhsa_kernel _ZN7rocprim17ROCPRIM_400000_NS6detail17trampoline_kernelINS0_14default_configENS1_25partition_config_selectorILNS1_17partition_subalgoE9EllbEEZZNS1_14partition_implILS5_9ELb0ES3_jPlS8_PNS0_10empty_typeENS0_5tupleIJS8_S9_EEENSB_IJS8_SA_EEENS0_18inequality_wrapperIZN2at6native12_GLOBAL__N_124unique_dim_cuda_templateIdEESt5tupleIJNSF_6TensorESK_SK_EERKSK_lbbbEUlllE0_EEPmJS9_EEE10hipError_tPvRmT3_T4_T5_T6_T7_T9_mT8_P12ihipStream_tbDpT10_ENKUlT_T0_E_clISt17integral_constantIbLb0EES1A_EEDaS15_S16_EUlS15_E_NS1_11comp_targetILNS1_3genE0ELNS1_11target_archE4294967295ELNS1_3gpuE0ELNS1_3repE0EEENS1_30default_config_static_selectorELNS0_4arch9wavefront6targetE0EEEvT1_
		.amdhsa_group_segment_fixed_size 5128
		.amdhsa_private_segment_fixed_size 0
		.amdhsa_kernarg_size 120
		.amdhsa_user_sgpr_count 2
		.amdhsa_user_sgpr_dispatch_ptr 0
		.amdhsa_user_sgpr_queue_ptr 0
		.amdhsa_user_sgpr_kernarg_segment_ptr 1
		.amdhsa_user_sgpr_dispatch_id 0
		.amdhsa_user_sgpr_kernarg_preload_length 0
		.amdhsa_user_sgpr_kernarg_preload_offset 0
		.amdhsa_user_sgpr_private_segment_size 0
		.amdhsa_wavefront_size32 1
		.amdhsa_uses_dynamic_stack 0
		.amdhsa_enable_private_segment 0
		.amdhsa_system_sgpr_workgroup_id_x 1
		.amdhsa_system_sgpr_workgroup_id_y 0
		.amdhsa_system_sgpr_workgroup_id_z 0
		.amdhsa_system_sgpr_workgroup_info 0
		.amdhsa_system_vgpr_workitem_id 0
		.amdhsa_next_free_vgpr 56
		.amdhsa_next_free_sgpr 32
		.amdhsa_named_barrier_count 0
		.amdhsa_reserve_vcc 1
		.amdhsa_float_round_mode_32 0
		.amdhsa_float_round_mode_16_64 0
		.amdhsa_float_denorm_mode_32 3
		.amdhsa_float_denorm_mode_16_64 3
		.amdhsa_fp16_overflow 0
		.amdhsa_memory_ordered 1
		.amdhsa_forward_progress 1
		.amdhsa_inst_pref_size 74
		.amdhsa_round_robin_scheduling 0
		.amdhsa_exception_fp_ieee_invalid_op 0
		.amdhsa_exception_fp_denorm_src 0
		.amdhsa_exception_fp_ieee_div_zero 0
		.amdhsa_exception_fp_ieee_overflow 0
		.amdhsa_exception_fp_ieee_underflow 0
		.amdhsa_exception_fp_ieee_inexact 0
		.amdhsa_exception_int_div_zero 0
	.end_amdhsa_kernel
	.section	.text._ZN7rocprim17ROCPRIM_400000_NS6detail17trampoline_kernelINS0_14default_configENS1_25partition_config_selectorILNS1_17partition_subalgoE9EllbEEZZNS1_14partition_implILS5_9ELb0ES3_jPlS8_PNS0_10empty_typeENS0_5tupleIJS8_S9_EEENSB_IJS8_SA_EEENS0_18inequality_wrapperIZN2at6native12_GLOBAL__N_124unique_dim_cuda_templateIdEESt5tupleIJNSF_6TensorESK_SK_EERKSK_lbbbEUlllE0_EEPmJS9_EEE10hipError_tPvRmT3_T4_T5_T6_T7_T9_mT8_P12ihipStream_tbDpT10_ENKUlT_T0_E_clISt17integral_constantIbLb0EES1A_EEDaS15_S16_EUlS15_E_NS1_11comp_targetILNS1_3genE0ELNS1_11target_archE4294967295ELNS1_3gpuE0ELNS1_3repE0EEENS1_30default_config_static_selectorELNS0_4arch9wavefront6targetE0EEEvT1_,"axG",@progbits,_ZN7rocprim17ROCPRIM_400000_NS6detail17trampoline_kernelINS0_14default_configENS1_25partition_config_selectorILNS1_17partition_subalgoE9EllbEEZZNS1_14partition_implILS5_9ELb0ES3_jPlS8_PNS0_10empty_typeENS0_5tupleIJS8_S9_EEENSB_IJS8_SA_EEENS0_18inequality_wrapperIZN2at6native12_GLOBAL__N_124unique_dim_cuda_templateIdEESt5tupleIJNSF_6TensorESK_SK_EERKSK_lbbbEUlllE0_EEPmJS9_EEE10hipError_tPvRmT3_T4_T5_T6_T7_T9_mT8_P12ihipStream_tbDpT10_ENKUlT_T0_E_clISt17integral_constantIbLb0EES1A_EEDaS15_S16_EUlS15_E_NS1_11comp_targetILNS1_3genE0ELNS1_11target_archE4294967295ELNS1_3gpuE0ELNS1_3repE0EEENS1_30default_config_static_selectorELNS0_4arch9wavefront6targetE0EEEvT1_,comdat
.Lfunc_end839:
	.size	_ZN7rocprim17ROCPRIM_400000_NS6detail17trampoline_kernelINS0_14default_configENS1_25partition_config_selectorILNS1_17partition_subalgoE9EllbEEZZNS1_14partition_implILS5_9ELb0ES3_jPlS8_PNS0_10empty_typeENS0_5tupleIJS8_S9_EEENSB_IJS8_SA_EEENS0_18inequality_wrapperIZN2at6native12_GLOBAL__N_124unique_dim_cuda_templateIdEESt5tupleIJNSF_6TensorESK_SK_EERKSK_lbbbEUlllE0_EEPmJS9_EEE10hipError_tPvRmT3_T4_T5_T6_T7_T9_mT8_P12ihipStream_tbDpT10_ENKUlT_T0_E_clISt17integral_constantIbLb0EES1A_EEDaS15_S16_EUlS15_E_NS1_11comp_targetILNS1_3genE0ELNS1_11target_archE4294967295ELNS1_3gpuE0ELNS1_3repE0EEENS1_30default_config_static_selectorELNS0_4arch9wavefront6targetE0EEEvT1_, .Lfunc_end839-_ZN7rocprim17ROCPRIM_400000_NS6detail17trampoline_kernelINS0_14default_configENS1_25partition_config_selectorILNS1_17partition_subalgoE9EllbEEZZNS1_14partition_implILS5_9ELb0ES3_jPlS8_PNS0_10empty_typeENS0_5tupleIJS8_S9_EEENSB_IJS8_SA_EEENS0_18inequality_wrapperIZN2at6native12_GLOBAL__N_124unique_dim_cuda_templateIdEESt5tupleIJNSF_6TensorESK_SK_EERKSK_lbbbEUlllE0_EEPmJS9_EEE10hipError_tPvRmT3_T4_T5_T6_T7_T9_mT8_P12ihipStream_tbDpT10_ENKUlT_T0_E_clISt17integral_constantIbLb0EES1A_EEDaS15_S16_EUlS15_E_NS1_11comp_targetILNS1_3genE0ELNS1_11target_archE4294967295ELNS1_3gpuE0ELNS1_3repE0EEENS1_30default_config_static_selectorELNS0_4arch9wavefront6targetE0EEEvT1_
                                        ; -- End function
	.set _ZN7rocprim17ROCPRIM_400000_NS6detail17trampoline_kernelINS0_14default_configENS1_25partition_config_selectorILNS1_17partition_subalgoE9EllbEEZZNS1_14partition_implILS5_9ELb0ES3_jPlS8_PNS0_10empty_typeENS0_5tupleIJS8_S9_EEENSB_IJS8_SA_EEENS0_18inequality_wrapperIZN2at6native12_GLOBAL__N_124unique_dim_cuda_templateIdEESt5tupleIJNSF_6TensorESK_SK_EERKSK_lbbbEUlllE0_EEPmJS9_EEE10hipError_tPvRmT3_T4_T5_T6_T7_T9_mT8_P12ihipStream_tbDpT10_ENKUlT_T0_E_clISt17integral_constantIbLb0EES1A_EEDaS15_S16_EUlS15_E_NS1_11comp_targetILNS1_3genE0ELNS1_11target_archE4294967295ELNS1_3gpuE0ELNS1_3repE0EEENS1_30default_config_static_selectorELNS0_4arch9wavefront6targetE0EEEvT1_.num_vgpr, 56
	.set _ZN7rocprim17ROCPRIM_400000_NS6detail17trampoline_kernelINS0_14default_configENS1_25partition_config_selectorILNS1_17partition_subalgoE9EllbEEZZNS1_14partition_implILS5_9ELb0ES3_jPlS8_PNS0_10empty_typeENS0_5tupleIJS8_S9_EEENSB_IJS8_SA_EEENS0_18inequality_wrapperIZN2at6native12_GLOBAL__N_124unique_dim_cuda_templateIdEESt5tupleIJNSF_6TensorESK_SK_EERKSK_lbbbEUlllE0_EEPmJS9_EEE10hipError_tPvRmT3_T4_T5_T6_T7_T9_mT8_P12ihipStream_tbDpT10_ENKUlT_T0_E_clISt17integral_constantIbLb0EES1A_EEDaS15_S16_EUlS15_E_NS1_11comp_targetILNS1_3genE0ELNS1_11target_archE4294967295ELNS1_3gpuE0ELNS1_3repE0EEENS1_30default_config_static_selectorELNS0_4arch9wavefront6targetE0EEEvT1_.num_agpr, 0
	.set _ZN7rocprim17ROCPRIM_400000_NS6detail17trampoline_kernelINS0_14default_configENS1_25partition_config_selectorILNS1_17partition_subalgoE9EllbEEZZNS1_14partition_implILS5_9ELb0ES3_jPlS8_PNS0_10empty_typeENS0_5tupleIJS8_S9_EEENSB_IJS8_SA_EEENS0_18inequality_wrapperIZN2at6native12_GLOBAL__N_124unique_dim_cuda_templateIdEESt5tupleIJNSF_6TensorESK_SK_EERKSK_lbbbEUlllE0_EEPmJS9_EEE10hipError_tPvRmT3_T4_T5_T6_T7_T9_mT8_P12ihipStream_tbDpT10_ENKUlT_T0_E_clISt17integral_constantIbLb0EES1A_EEDaS15_S16_EUlS15_E_NS1_11comp_targetILNS1_3genE0ELNS1_11target_archE4294967295ELNS1_3gpuE0ELNS1_3repE0EEENS1_30default_config_static_selectorELNS0_4arch9wavefront6targetE0EEEvT1_.numbered_sgpr, 32
	.set _ZN7rocprim17ROCPRIM_400000_NS6detail17trampoline_kernelINS0_14default_configENS1_25partition_config_selectorILNS1_17partition_subalgoE9EllbEEZZNS1_14partition_implILS5_9ELb0ES3_jPlS8_PNS0_10empty_typeENS0_5tupleIJS8_S9_EEENSB_IJS8_SA_EEENS0_18inequality_wrapperIZN2at6native12_GLOBAL__N_124unique_dim_cuda_templateIdEESt5tupleIJNSF_6TensorESK_SK_EERKSK_lbbbEUlllE0_EEPmJS9_EEE10hipError_tPvRmT3_T4_T5_T6_T7_T9_mT8_P12ihipStream_tbDpT10_ENKUlT_T0_E_clISt17integral_constantIbLb0EES1A_EEDaS15_S16_EUlS15_E_NS1_11comp_targetILNS1_3genE0ELNS1_11target_archE4294967295ELNS1_3gpuE0ELNS1_3repE0EEENS1_30default_config_static_selectorELNS0_4arch9wavefront6targetE0EEEvT1_.num_named_barrier, 0
	.set _ZN7rocprim17ROCPRIM_400000_NS6detail17trampoline_kernelINS0_14default_configENS1_25partition_config_selectorILNS1_17partition_subalgoE9EllbEEZZNS1_14partition_implILS5_9ELb0ES3_jPlS8_PNS0_10empty_typeENS0_5tupleIJS8_S9_EEENSB_IJS8_SA_EEENS0_18inequality_wrapperIZN2at6native12_GLOBAL__N_124unique_dim_cuda_templateIdEESt5tupleIJNSF_6TensorESK_SK_EERKSK_lbbbEUlllE0_EEPmJS9_EEE10hipError_tPvRmT3_T4_T5_T6_T7_T9_mT8_P12ihipStream_tbDpT10_ENKUlT_T0_E_clISt17integral_constantIbLb0EES1A_EEDaS15_S16_EUlS15_E_NS1_11comp_targetILNS1_3genE0ELNS1_11target_archE4294967295ELNS1_3gpuE0ELNS1_3repE0EEENS1_30default_config_static_selectorELNS0_4arch9wavefront6targetE0EEEvT1_.private_seg_size, 0
	.set _ZN7rocprim17ROCPRIM_400000_NS6detail17trampoline_kernelINS0_14default_configENS1_25partition_config_selectorILNS1_17partition_subalgoE9EllbEEZZNS1_14partition_implILS5_9ELb0ES3_jPlS8_PNS0_10empty_typeENS0_5tupleIJS8_S9_EEENSB_IJS8_SA_EEENS0_18inequality_wrapperIZN2at6native12_GLOBAL__N_124unique_dim_cuda_templateIdEESt5tupleIJNSF_6TensorESK_SK_EERKSK_lbbbEUlllE0_EEPmJS9_EEE10hipError_tPvRmT3_T4_T5_T6_T7_T9_mT8_P12ihipStream_tbDpT10_ENKUlT_T0_E_clISt17integral_constantIbLb0EES1A_EEDaS15_S16_EUlS15_E_NS1_11comp_targetILNS1_3genE0ELNS1_11target_archE4294967295ELNS1_3gpuE0ELNS1_3repE0EEENS1_30default_config_static_selectorELNS0_4arch9wavefront6targetE0EEEvT1_.uses_vcc, 1
	.set _ZN7rocprim17ROCPRIM_400000_NS6detail17trampoline_kernelINS0_14default_configENS1_25partition_config_selectorILNS1_17partition_subalgoE9EllbEEZZNS1_14partition_implILS5_9ELb0ES3_jPlS8_PNS0_10empty_typeENS0_5tupleIJS8_S9_EEENSB_IJS8_SA_EEENS0_18inequality_wrapperIZN2at6native12_GLOBAL__N_124unique_dim_cuda_templateIdEESt5tupleIJNSF_6TensorESK_SK_EERKSK_lbbbEUlllE0_EEPmJS9_EEE10hipError_tPvRmT3_T4_T5_T6_T7_T9_mT8_P12ihipStream_tbDpT10_ENKUlT_T0_E_clISt17integral_constantIbLb0EES1A_EEDaS15_S16_EUlS15_E_NS1_11comp_targetILNS1_3genE0ELNS1_11target_archE4294967295ELNS1_3gpuE0ELNS1_3repE0EEENS1_30default_config_static_selectorELNS0_4arch9wavefront6targetE0EEEvT1_.uses_flat_scratch, 0
	.set _ZN7rocprim17ROCPRIM_400000_NS6detail17trampoline_kernelINS0_14default_configENS1_25partition_config_selectorILNS1_17partition_subalgoE9EllbEEZZNS1_14partition_implILS5_9ELb0ES3_jPlS8_PNS0_10empty_typeENS0_5tupleIJS8_S9_EEENSB_IJS8_SA_EEENS0_18inequality_wrapperIZN2at6native12_GLOBAL__N_124unique_dim_cuda_templateIdEESt5tupleIJNSF_6TensorESK_SK_EERKSK_lbbbEUlllE0_EEPmJS9_EEE10hipError_tPvRmT3_T4_T5_T6_T7_T9_mT8_P12ihipStream_tbDpT10_ENKUlT_T0_E_clISt17integral_constantIbLb0EES1A_EEDaS15_S16_EUlS15_E_NS1_11comp_targetILNS1_3genE0ELNS1_11target_archE4294967295ELNS1_3gpuE0ELNS1_3repE0EEENS1_30default_config_static_selectorELNS0_4arch9wavefront6targetE0EEEvT1_.has_dyn_sized_stack, 0
	.set _ZN7rocprim17ROCPRIM_400000_NS6detail17trampoline_kernelINS0_14default_configENS1_25partition_config_selectorILNS1_17partition_subalgoE9EllbEEZZNS1_14partition_implILS5_9ELb0ES3_jPlS8_PNS0_10empty_typeENS0_5tupleIJS8_S9_EEENSB_IJS8_SA_EEENS0_18inequality_wrapperIZN2at6native12_GLOBAL__N_124unique_dim_cuda_templateIdEESt5tupleIJNSF_6TensorESK_SK_EERKSK_lbbbEUlllE0_EEPmJS9_EEE10hipError_tPvRmT3_T4_T5_T6_T7_T9_mT8_P12ihipStream_tbDpT10_ENKUlT_T0_E_clISt17integral_constantIbLb0EES1A_EEDaS15_S16_EUlS15_E_NS1_11comp_targetILNS1_3genE0ELNS1_11target_archE4294967295ELNS1_3gpuE0ELNS1_3repE0EEENS1_30default_config_static_selectorELNS0_4arch9wavefront6targetE0EEEvT1_.has_recursion, 0
	.set _ZN7rocprim17ROCPRIM_400000_NS6detail17trampoline_kernelINS0_14default_configENS1_25partition_config_selectorILNS1_17partition_subalgoE9EllbEEZZNS1_14partition_implILS5_9ELb0ES3_jPlS8_PNS0_10empty_typeENS0_5tupleIJS8_S9_EEENSB_IJS8_SA_EEENS0_18inequality_wrapperIZN2at6native12_GLOBAL__N_124unique_dim_cuda_templateIdEESt5tupleIJNSF_6TensorESK_SK_EERKSK_lbbbEUlllE0_EEPmJS9_EEE10hipError_tPvRmT3_T4_T5_T6_T7_T9_mT8_P12ihipStream_tbDpT10_ENKUlT_T0_E_clISt17integral_constantIbLb0EES1A_EEDaS15_S16_EUlS15_E_NS1_11comp_targetILNS1_3genE0ELNS1_11target_archE4294967295ELNS1_3gpuE0ELNS1_3repE0EEENS1_30default_config_static_selectorELNS0_4arch9wavefront6targetE0EEEvT1_.has_indirect_call, 0
	.section	.AMDGPU.csdata,"",@progbits
; Kernel info:
; codeLenInByte = 9412
; TotalNumSgprs: 34
; NumVgprs: 56
; ScratchSize: 0
; MemoryBound: 0
; FloatMode: 240
; IeeeMode: 1
; LDSByteSize: 5128 bytes/workgroup (compile time only)
; SGPRBlocks: 0
; VGPRBlocks: 3
; NumSGPRsForWavesPerEU: 34
; NumVGPRsForWavesPerEU: 56
; NamedBarCnt: 0
; Occupancy: 16
; WaveLimiterHint : 1
; COMPUTE_PGM_RSRC2:SCRATCH_EN: 0
; COMPUTE_PGM_RSRC2:USER_SGPR: 2
; COMPUTE_PGM_RSRC2:TRAP_HANDLER: 0
; COMPUTE_PGM_RSRC2:TGID_X_EN: 1
; COMPUTE_PGM_RSRC2:TGID_Y_EN: 0
; COMPUTE_PGM_RSRC2:TGID_Z_EN: 0
; COMPUTE_PGM_RSRC2:TIDIG_COMP_CNT: 0
	.section	.text._ZN7rocprim17ROCPRIM_400000_NS6detail17trampoline_kernelINS0_14default_configENS1_25partition_config_selectorILNS1_17partition_subalgoE9EllbEEZZNS1_14partition_implILS5_9ELb0ES3_jPlS8_PNS0_10empty_typeENS0_5tupleIJS8_S9_EEENSB_IJS8_SA_EEENS0_18inequality_wrapperIZN2at6native12_GLOBAL__N_124unique_dim_cuda_templateIdEESt5tupleIJNSF_6TensorESK_SK_EERKSK_lbbbEUlllE0_EEPmJS9_EEE10hipError_tPvRmT3_T4_T5_T6_T7_T9_mT8_P12ihipStream_tbDpT10_ENKUlT_T0_E_clISt17integral_constantIbLb0EES1A_EEDaS15_S16_EUlS15_E_NS1_11comp_targetILNS1_3genE5ELNS1_11target_archE942ELNS1_3gpuE9ELNS1_3repE0EEENS1_30default_config_static_selectorELNS0_4arch9wavefront6targetE0EEEvT1_,"axG",@progbits,_ZN7rocprim17ROCPRIM_400000_NS6detail17trampoline_kernelINS0_14default_configENS1_25partition_config_selectorILNS1_17partition_subalgoE9EllbEEZZNS1_14partition_implILS5_9ELb0ES3_jPlS8_PNS0_10empty_typeENS0_5tupleIJS8_S9_EEENSB_IJS8_SA_EEENS0_18inequality_wrapperIZN2at6native12_GLOBAL__N_124unique_dim_cuda_templateIdEESt5tupleIJNSF_6TensorESK_SK_EERKSK_lbbbEUlllE0_EEPmJS9_EEE10hipError_tPvRmT3_T4_T5_T6_T7_T9_mT8_P12ihipStream_tbDpT10_ENKUlT_T0_E_clISt17integral_constantIbLb0EES1A_EEDaS15_S16_EUlS15_E_NS1_11comp_targetILNS1_3genE5ELNS1_11target_archE942ELNS1_3gpuE9ELNS1_3repE0EEENS1_30default_config_static_selectorELNS0_4arch9wavefront6targetE0EEEvT1_,comdat
	.globl	_ZN7rocprim17ROCPRIM_400000_NS6detail17trampoline_kernelINS0_14default_configENS1_25partition_config_selectorILNS1_17partition_subalgoE9EllbEEZZNS1_14partition_implILS5_9ELb0ES3_jPlS8_PNS0_10empty_typeENS0_5tupleIJS8_S9_EEENSB_IJS8_SA_EEENS0_18inequality_wrapperIZN2at6native12_GLOBAL__N_124unique_dim_cuda_templateIdEESt5tupleIJNSF_6TensorESK_SK_EERKSK_lbbbEUlllE0_EEPmJS9_EEE10hipError_tPvRmT3_T4_T5_T6_T7_T9_mT8_P12ihipStream_tbDpT10_ENKUlT_T0_E_clISt17integral_constantIbLb0EES1A_EEDaS15_S16_EUlS15_E_NS1_11comp_targetILNS1_3genE5ELNS1_11target_archE942ELNS1_3gpuE9ELNS1_3repE0EEENS1_30default_config_static_selectorELNS0_4arch9wavefront6targetE0EEEvT1_ ; -- Begin function _ZN7rocprim17ROCPRIM_400000_NS6detail17trampoline_kernelINS0_14default_configENS1_25partition_config_selectorILNS1_17partition_subalgoE9EllbEEZZNS1_14partition_implILS5_9ELb0ES3_jPlS8_PNS0_10empty_typeENS0_5tupleIJS8_S9_EEENSB_IJS8_SA_EEENS0_18inequality_wrapperIZN2at6native12_GLOBAL__N_124unique_dim_cuda_templateIdEESt5tupleIJNSF_6TensorESK_SK_EERKSK_lbbbEUlllE0_EEPmJS9_EEE10hipError_tPvRmT3_T4_T5_T6_T7_T9_mT8_P12ihipStream_tbDpT10_ENKUlT_T0_E_clISt17integral_constantIbLb0EES1A_EEDaS15_S16_EUlS15_E_NS1_11comp_targetILNS1_3genE5ELNS1_11target_archE942ELNS1_3gpuE9ELNS1_3repE0EEENS1_30default_config_static_selectorELNS0_4arch9wavefront6targetE0EEEvT1_
	.p2align	8
	.type	_ZN7rocprim17ROCPRIM_400000_NS6detail17trampoline_kernelINS0_14default_configENS1_25partition_config_selectorILNS1_17partition_subalgoE9EllbEEZZNS1_14partition_implILS5_9ELb0ES3_jPlS8_PNS0_10empty_typeENS0_5tupleIJS8_S9_EEENSB_IJS8_SA_EEENS0_18inequality_wrapperIZN2at6native12_GLOBAL__N_124unique_dim_cuda_templateIdEESt5tupleIJNSF_6TensorESK_SK_EERKSK_lbbbEUlllE0_EEPmJS9_EEE10hipError_tPvRmT3_T4_T5_T6_T7_T9_mT8_P12ihipStream_tbDpT10_ENKUlT_T0_E_clISt17integral_constantIbLb0EES1A_EEDaS15_S16_EUlS15_E_NS1_11comp_targetILNS1_3genE5ELNS1_11target_archE942ELNS1_3gpuE9ELNS1_3repE0EEENS1_30default_config_static_selectorELNS0_4arch9wavefront6targetE0EEEvT1_,@function
_ZN7rocprim17ROCPRIM_400000_NS6detail17trampoline_kernelINS0_14default_configENS1_25partition_config_selectorILNS1_17partition_subalgoE9EllbEEZZNS1_14partition_implILS5_9ELb0ES3_jPlS8_PNS0_10empty_typeENS0_5tupleIJS8_S9_EEENSB_IJS8_SA_EEENS0_18inequality_wrapperIZN2at6native12_GLOBAL__N_124unique_dim_cuda_templateIdEESt5tupleIJNSF_6TensorESK_SK_EERKSK_lbbbEUlllE0_EEPmJS9_EEE10hipError_tPvRmT3_T4_T5_T6_T7_T9_mT8_P12ihipStream_tbDpT10_ENKUlT_T0_E_clISt17integral_constantIbLb0EES1A_EEDaS15_S16_EUlS15_E_NS1_11comp_targetILNS1_3genE5ELNS1_11target_archE942ELNS1_3gpuE9ELNS1_3repE0EEENS1_30default_config_static_selectorELNS0_4arch9wavefront6targetE0EEEvT1_: ; @_ZN7rocprim17ROCPRIM_400000_NS6detail17trampoline_kernelINS0_14default_configENS1_25partition_config_selectorILNS1_17partition_subalgoE9EllbEEZZNS1_14partition_implILS5_9ELb0ES3_jPlS8_PNS0_10empty_typeENS0_5tupleIJS8_S9_EEENSB_IJS8_SA_EEENS0_18inequality_wrapperIZN2at6native12_GLOBAL__N_124unique_dim_cuda_templateIdEESt5tupleIJNSF_6TensorESK_SK_EERKSK_lbbbEUlllE0_EEPmJS9_EEE10hipError_tPvRmT3_T4_T5_T6_T7_T9_mT8_P12ihipStream_tbDpT10_ENKUlT_T0_E_clISt17integral_constantIbLb0EES1A_EEDaS15_S16_EUlS15_E_NS1_11comp_targetILNS1_3genE5ELNS1_11target_archE942ELNS1_3gpuE9ELNS1_3repE0EEENS1_30default_config_static_selectorELNS0_4arch9wavefront6targetE0EEEvT1_
; %bb.0:
	.section	.rodata,"a",@progbits
	.p2align	6, 0x0
	.amdhsa_kernel _ZN7rocprim17ROCPRIM_400000_NS6detail17trampoline_kernelINS0_14default_configENS1_25partition_config_selectorILNS1_17partition_subalgoE9EllbEEZZNS1_14partition_implILS5_9ELb0ES3_jPlS8_PNS0_10empty_typeENS0_5tupleIJS8_S9_EEENSB_IJS8_SA_EEENS0_18inequality_wrapperIZN2at6native12_GLOBAL__N_124unique_dim_cuda_templateIdEESt5tupleIJNSF_6TensorESK_SK_EERKSK_lbbbEUlllE0_EEPmJS9_EEE10hipError_tPvRmT3_T4_T5_T6_T7_T9_mT8_P12ihipStream_tbDpT10_ENKUlT_T0_E_clISt17integral_constantIbLb0EES1A_EEDaS15_S16_EUlS15_E_NS1_11comp_targetILNS1_3genE5ELNS1_11target_archE942ELNS1_3gpuE9ELNS1_3repE0EEENS1_30default_config_static_selectorELNS0_4arch9wavefront6targetE0EEEvT1_
		.amdhsa_group_segment_fixed_size 0
		.amdhsa_private_segment_fixed_size 0
		.amdhsa_kernarg_size 120
		.amdhsa_user_sgpr_count 2
		.amdhsa_user_sgpr_dispatch_ptr 0
		.amdhsa_user_sgpr_queue_ptr 0
		.amdhsa_user_sgpr_kernarg_segment_ptr 1
		.amdhsa_user_sgpr_dispatch_id 0
		.amdhsa_user_sgpr_kernarg_preload_length 0
		.amdhsa_user_sgpr_kernarg_preload_offset 0
		.amdhsa_user_sgpr_private_segment_size 0
		.amdhsa_wavefront_size32 1
		.amdhsa_uses_dynamic_stack 0
		.amdhsa_enable_private_segment 0
		.amdhsa_system_sgpr_workgroup_id_x 1
		.amdhsa_system_sgpr_workgroup_id_y 0
		.amdhsa_system_sgpr_workgroup_id_z 0
		.amdhsa_system_sgpr_workgroup_info 0
		.amdhsa_system_vgpr_workitem_id 0
		.amdhsa_next_free_vgpr 1
		.amdhsa_next_free_sgpr 1
		.amdhsa_named_barrier_count 0
		.amdhsa_reserve_vcc 0
		.amdhsa_float_round_mode_32 0
		.amdhsa_float_round_mode_16_64 0
		.amdhsa_float_denorm_mode_32 3
		.amdhsa_float_denorm_mode_16_64 3
		.amdhsa_fp16_overflow 0
		.amdhsa_memory_ordered 1
		.amdhsa_forward_progress 1
		.amdhsa_inst_pref_size 0
		.amdhsa_round_robin_scheduling 0
		.amdhsa_exception_fp_ieee_invalid_op 0
		.amdhsa_exception_fp_denorm_src 0
		.amdhsa_exception_fp_ieee_div_zero 0
		.amdhsa_exception_fp_ieee_overflow 0
		.amdhsa_exception_fp_ieee_underflow 0
		.amdhsa_exception_fp_ieee_inexact 0
		.amdhsa_exception_int_div_zero 0
	.end_amdhsa_kernel
	.section	.text._ZN7rocprim17ROCPRIM_400000_NS6detail17trampoline_kernelINS0_14default_configENS1_25partition_config_selectorILNS1_17partition_subalgoE9EllbEEZZNS1_14partition_implILS5_9ELb0ES3_jPlS8_PNS0_10empty_typeENS0_5tupleIJS8_S9_EEENSB_IJS8_SA_EEENS0_18inequality_wrapperIZN2at6native12_GLOBAL__N_124unique_dim_cuda_templateIdEESt5tupleIJNSF_6TensorESK_SK_EERKSK_lbbbEUlllE0_EEPmJS9_EEE10hipError_tPvRmT3_T4_T5_T6_T7_T9_mT8_P12ihipStream_tbDpT10_ENKUlT_T0_E_clISt17integral_constantIbLb0EES1A_EEDaS15_S16_EUlS15_E_NS1_11comp_targetILNS1_3genE5ELNS1_11target_archE942ELNS1_3gpuE9ELNS1_3repE0EEENS1_30default_config_static_selectorELNS0_4arch9wavefront6targetE0EEEvT1_,"axG",@progbits,_ZN7rocprim17ROCPRIM_400000_NS6detail17trampoline_kernelINS0_14default_configENS1_25partition_config_selectorILNS1_17partition_subalgoE9EllbEEZZNS1_14partition_implILS5_9ELb0ES3_jPlS8_PNS0_10empty_typeENS0_5tupleIJS8_S9_EEENSB_IJS8_SA_EEENS0_18inequality_wrapperIZN2at6native12_GLOBAL__N_124unique_dim_cuda_templateIdEESt5tupleIJNSF_6TensorESK_SK_EERKSK_lbbbEUlllE0_EEPmJS9_EEE10hipError_tPvRmT3_T4_T5_T6_T7_T9_mT8_P12ihipStream_tbDpT10_ENKUlT_T0_E_clISt17integral_constantIbLb0EES1A_EEDaS15_S16_EUlS15_E_NS1_11comp_targetILNS1_3genE5ELNS1_11target_archE942ELNS1_3gpuE9ELNS1_3repE0EEENS1_30default_config_static_selectorELNS0_4arch9wavefront6targetE0EEEvT1_,comdat
.Lfunc_end840:
	.size	_ZN7rocprim17ROCPRIM_400000_NS6detail17trampoline_kernelINS0_14default_configENS1_25partition_config_selectorILNS1_17partition_subalgoE9EllbEEZZNS1_14partition_implILS5_9ELb0ES3_jPlS8_PNS0_10empty_typeENS0_5tupleIJS8_S9_EEENSB_IJS8_SA_EEENS0_18inequality_wrapperIZN2at6native12_GLOBAL__N_124unique_dim_cuda_templateIdEESt5tupleIJNSF_6TensorESK_SK_EERKSK_lbbbEUlllE0_EEPmJS9_EEE10hipError_tPvRmT3_T4_T5_T6_T7_T9_mT8_P12ihipStream_tbDpT10_ENKUlT_T0_E_clISt17integral_constantIbLb0EES1A_EEDaS15_S16_EUlS15_E_NS1_11comp_targetILNS1_3genE5ELNS1_11target_archE942ELNS1_3gpuE9ELNS1_3repE0EEENS1_30default_config_static_selectorELNS0_4arch9wavefront6targetE0EEEvT1_, .Lfunc_end840-_ZN7rocprim17ROCPRIM_400000_NS6detail17trampoline_kernelINS0_14default_configENS1_25partition_config_selectorILNS1_17partition_subalgoE9EllbEEZZNS1_14partition_implILS5_9ELb0ES3_jPlS8_PNS0_10empty_typeENS0_5tupleIJS8_S9_EEENSB_IJS8_SA_EEENS0_18inequality_wrapperIZN2at6native12_GLOBAL__N_124unique_dim_cuda_templateIdEESt5tupleIJNSF_6TensorESK_SK_EERKSK_lbbbEUlllE0_EEPmJS9_EEE10hipError_tPvRmT3_T4_T5_T6_T7_T9_mT8_P12ihipStream_tbDpT10_ENKUlT_T0_E_clISt17integral_constantIbLb0EES1A_EEDaS15_S16_EUlS15_E_NS1_11comp_targetILNS1_3genE5ELNS1_11target_archE942ELNS1_3gpuE9ELNS1_3repE0EEENS1_30default_config_static_selectorELNS0_4arch9wavefront6targetE0EEEvT1_
                                        ; -- End function
	.set _ZN7rocprim17ROCPRIM_400000_NS6detail17trampoline_kernelINS0_14default_configENS1_25partition_config_selectorILNS1_17partition_subalgoE9EllbEEZZNS1_14partition_implILS5_9ELb0ES3_jPlS8_PNS0_10empty_typeENS0_5tupleIJS8_S9_EEENSB_IJS8_SA_EEENS0_18inequality_wrapperIZN2at6native12_GLOBAL__N_124unique_dim_cuda_templateIdEESt5tupleIJNSF_6TensorESK_SK_EERKSK_lbbbEUlllE0_EEPmJS9_EEE10hipError_tPvRmT3_T4_T5_T6_T7_T9_mT8_P12ihipStream_tbDpT10_ENKUlT_T0_E_clISt17integral_constantIbLb0EES1A_EEDaS15_S16_EUlS15_E_NS1_11comp_targetILNS1_3genE5ELNS1_11target_archE942ELNS1_3gpuE9ELNS1_3repE0EEENS1_30default_config_static_selectorELNS0_4arch9wavefront6targetE0EEEvT1_.num_vgpr, 0
	.set _ZN7rocprim17ROCPRIM_400000_NS6detail17trampoline_kernelINS0_14default_configENS1_25partition_config_selectorILNS1_17partition_subalgoE9EllbEEZZNS1_14partition_implILS5_9ELb0ES3_jPlS8_PNS0_10empty_typeENS0_5tupleIJS8_S9_EEENSB_IJS8_SA_EEENS0_18inequality_wrapperIZN2at6native12_GLOBAL__N_124unique_dim_cuda_templateIdEESt5tupleIJNSF_6TensorESK_SK_EERKSK_lbbbEUlllE0_EEPmJS9_EEE10hipError_tPvRmT3_T4_T5_T6_T7_T9_mT8_P12ihipStream_tbDpT10_ENKUlT_T0_E_clISt17integral_constantIbLb0EES1A_EEDaS15_S16_EUlS15_E_NS1_11comp_targetILNS1_3genE5ELNS1_11target_archE942ELNS1_3gpuE9ELNS1_3repE0EEENS1_30default_config_static_selectorELNS0_4arch9wavefront6targetE0EEEvT1_.num_agpr, 0
	.set _ZN7rocprim17ROCPRIM_400000_NS6detail17trampoline_kernelINS0_14default_configENS1_25partition_config_selectorILNS1_17partition_subalgoE9EllbEEZZNS1_14partition_implILS5_9ELb0ES3_jPlS8_PNS0_10empty_typeENS0_5tupleIJS8_S9_EEENSB_IJS8_SA_EEENS0_18inequality_wrapperIZN2at6native12_GLOBAL__N_124unique_dim_cuda_templateIdEESt5tupleIJNSF_6TensorESK_SK_EERKSK_lbbbEUlllE0_EEPmJS9_EEE10hipError_tPvRmT3_T4_T5_T6_T7_T9_mT8_P12ihipStream_tbDpT10_ENKUlT_T0_E_clISt17integral_constantIbLb0EES1A_EEDaS15_S16_EUlS15_E_NS1_11comp_targetILNS1_3genE5ELNS1_11target_archE942ELNS1_3gpuE9ELNS1_3repE0EEENS1_30default_config_static_selectorELNS0_4arch9wavefront6targetE0EEEvT1_.numbered_sgpr, 0
	.set _ZN7rocprim17ROCPRIM_400000_NS6detail17trampoline_kernelINS0_14default_configENS1_25partition_config_selectorILNS1_17partition_subalgoE9EllbEEZZNS1_14partition_implILS5_9ELb0ES3_jPlS8_PNS0_10empty_typeENS0_5tupleIJS8_S9_EEENSB_IJS8_SA_EEENS0_18inequality_wrapperIZN2at6native12_GLOBAL__N_124unique_dim_cuda_templateIdEESt5tupleIJNSF_6TensorESK_SK_EERKSK_lbbbEUlllE0_EEPmJS9_EEE10hipError_tPvRmT3_T4_T5_T6_T7_T9_mT8_P12ihipStream_tbDpT10_ENKUlT_T0_E_clISt17integral_constantIbLb0EES1A_EEDaS15_S16_EUlS15_E_NS1_11comp_targetILNS1_3genE5ELNS1_11target_archE942ELNS1_3gpuE9ELNS1_3repE0EEENS1_30default_config_static_selectorELNS0_4arch9wavefront6targetE0EEEvT1_.num_named_barrier, 0
	.set _ZN7rocprim17ROCPRIM_400000_NS6detail17trampoline_kernelINS0_14default_configENS1_25partition_config_selectorILNS1_17partition_subalgoE9EllbEEZZNS1_14partition_implILS5_9ELb0ES3_jPlS8_PNS0_10empty_typeENS0_5tupleIJS8_S9_EEENSB_IJS8_SA_EEENS0_18inequality_wrapperIZN2at6native12_GLOBAL__N_124unique_dim_cuda_templateIdEESt5tupleIJNSF_6TensorESK_SK_EERKSK_lbbbEUlllE0_EEPmJS9_EEE10hipError_tPvRmT3_T4_T5_T6_T7_T9_mT8_P12ihipStream_tbDpT10_ENKUlT_T0_E_clISt17integral_constantIbLb0EES1A_EEDaS15_S16_EUlS15_E_NS1_11comp_targetILNS1_3genE5ELNS1_11target_archE942ELNS1_3gpuE9ELNS1_3repE0EEENS1_30default_config_static_selectorELNS0_4arch9wavefront6targetE0EEEvT1_.private_seg_size, 0
	.set _ZN7rocprim17ROCPRIM_400000_NS6detail17trampoline_kernelINS0_14default_configENS1_25partition_config_selectorILNS1_17partition_subalgoE9EllbEEZZNS1_14partition_implILS5_9ELb0ES3_jPlS8_PNS0_10empty_typeENS0_5tupleIJS8_S9_EEENSB_IJS8_SA_EEENS0_18inequality_wrapperIZN2at6native12_GLOBAL__N_124unique_dim_cuda_templateIdEESt5tupleIJNSF_6TensorESK_SK_EERKSK_lbbbEUlllE0_EEPmJS9_EEE10hipError_tPvRmT3_T4_T5_T6_T7_T9_mT8_P12ihipStream_tbDpT10_ENKUlT_T0_E_clISt17integral_constantIbLb0EES1A_EEDaS15_S16_EUlS15_E_NS1_11comp_targetILNS1_3genE5ELNS1_11target_archE942ELNS1_3gpuE9ELNS1_3repE0EEENS1_30default_config_static_selectorELNS0_4arch9wavefront6targetE0EEEvT1_.uses_vcc, 0
	.set _ZN7rocprim17ROCPRIM_400000_NS6detail17trampoline_kernelINS0_14default_configENS1_25partition_config_selectorILNS1_17partition_subalgoE9EllbEEZZNS1_14partition_implILS5_9ELb0ES3_jPlS8_PNS0_10empty_typeENS0_5tupleIJS8_S9_EEENSB_IJS8_SA_EEENS0_18inequality_wrapperIZN2at6native12_GLOBAL__N_124unique_dim_cuda_templateIdEESt5tupleIJNSF_6TensorESK_SK_EERKSK_lbbbEUlllE0_EEPmJS9_EEE10hipError_tPvRmT3_T4_T5_T6_T7_T9_mT8_P12ihipStream_tbDpT10_ENKUlT_T0_E_clISt17integral_constantIbLb0EES1A_EEDaS15_S16_EUlS15_E_NS1_11comp_targetILNS1_3genE5ELNS1_11target_archE942ELNS1_3gpuE9ELNS1_3repE0EEENS1_30default_config_static_selectorELNS0_4arch9wavefront6targetE0EEEvT1_.uses_flat_scratch, 0
	.set _ZN7rocprim17ROCPRIM_400000_NS6detail17trampoline_kernelINS0_14default_configENS1_25partition_config_selectorILNS1_17partition_subalgoE9EllbEEZZNS1_14partition_implILS5_9ELb0ES3_jPlS8_PNS0_10empty_typeENS0_5tupleIJS8_S9_EEENSB_IJS8_SA_EEENS0_18inequality_wrapperIZN2at6native12_GLOBAL__N_124unique_dim_cuda_templateIdEESt5tupleIJNSF_6TensorESK_SK_EERKSK_lbbbEUlllE0_EEPmJS9_EEE10hipError_tPvRmT3_T4_T5_T6_T7_T9_mT8_P12ihipStream_tbDpT10_ENKUlT_T0_E_clISt17integral_constantIbLb0EES1A_EEDaS15_S16_EUlS15_E_NS1_11comp_targetILNS1_3genE5ELNS1_11target_archE942ELNS1_3gpuE9ELNS1_3repE0EEENS1_30default_config_static_selectorELNS0_4arch9wavefront6targetE0EEEvT1_.has_dyn_sized_stack, 0
	.set _ZN7rocprim17ROCPRIM_400000_NS6detail17trampoline_kernelINS0_14default_configENS1_25partition_config_selectorILNS1_17partition_subalgoE9EllbEEZZNS1_14partition_implILS5_9ELb0ES3_jPlS8_PNS0_10empty_typeENS0_5tupleIJS8_S9_EEENSB_IJS8_SA_EEENS0_18inequality_wrapperIZN2at6native12_GLOBAL__N_124unique_dim_cuda_templateIdEESt5tupleIJNSF_6TensorESK_SK_EERKSK_lbbbEUlllE0_EEPmJS9_EEE10hipError_tPvRmT3_T4_T5_T6_T7_T9_mT8_P12ihipStream_tbDpT10_ENKUlT_T0_E_clISt17integral_constantIbLb0EES1A_EEDaS15_S16_EUlS15_E_NS1_11comp_targetILNS1_3genE5ELNS1_11target_archE942ELNS1_3gpuE9ELNS1_3repE0EEENS1_30default_config_static_selectorELNS0_4arch9wavefront6targetE0EEEvT1_.has_recursion, 0
	.set _ZN7rocprim17ROCPRIM_400000_NS6detail17trampoline_kernelINS0_14default_configENS1_25partition_config_selectorILNS1_17partition_subalgoE9EllbEEZZNS1_14partition_implILS5_9ELb0ES3_jPlS8_PNS0_10empty_typeENS0_5tupleIJS8_S9_EEENSB_IJS8_SA_EEENS0_18inequality_wrapperIZN2at6native12_GLOBAL__N_124unique_dim_cuda_templateIdEESt5tupleIJNSF_6TensorESK_SK_EERKSK_lbbbEUlllE0_EEPmJS9_EEE10hipError_tPvRmT3_T4_T5_T6_T7_T9_mT8_P12ihipStream_tbDpT10_ENKUlT_T0_E_clISt17integral_constantIbLb0EES1A_EEDaS15_S16_EUlS15_E_NS1_11comp_targetILNS1_3genE5ELNS1_11target_archE942ELNS1_3gpuE9ELNS1_3repE0EEENS1_30default_config_static_selectorELNS0_4arch9wavefront6targetE0EEEvT1_.has_indirect_call, 0
	.section	.AMDGPU.csdata,"",@progbits
; Kernel info:
; codeLenInByte = 0
; TotalNumSgprs: 0
; NumVgprs: 0
; ScratchSize: 0
; MemoryBound: 0
; FloatMode: 240
; IeeeMode: 1
; LDSByteSize: 0 bytes/workgroup (compile time only)
; SGPRBlocks: 0
; VGPRBlocks: 0
; NumSGPRsForWavesPerEU: 1
; NumVGPRsForWavesPerEU: 1
; NamedBarCnt: 0
; Occupancy: 16
; WaveLimiterHint : 0
; COMPUTE_PGM_RSRC2:SCRATCH_EN: 0
; COMPUTE_PGM_RSRC2:USER_SGPR: 2
; COMPUTE_PGM_RSRC2:TRAP_HANDLER: 0
; COMPUTE_PGM_RSRC2:TGID_X_EN: 1
; COMPUTE_PGM_RSRC2:TGID_Y_EN: 0
; COMPUTE_PGM_RSRC2:TGID_Z_EN: 0
; COMPUTE_PGM_RSRC2:TIDIG_COMP_CNT: 0
	.section	.text._ZN7rocprim17ROCPRIM_400000_NS6detail17trampoline_kernelINS0_14default_configENS1_25partition_config_selectorILNS1_17partition_subalgoE9EllbEEZZNS1_14partition_implILS5_9ELb0ES3_jPlS8_PNS0_10empty_typeENS0_5tupleIJS8_S9_EEENSB_IJS8_SA_EEENS0_18inequality_wrapperIZN2at6native12_GLOBAL__N_124unique_dim_cuda_templateIdEESt5tupleIJNSF_6TensorESK_SK_EERKSK_lbbbEUlllE0_EEPmJS9_EEE10hipError_tPvRmT3_T4_T5_T6_T7_T9_mT8_P12ihipStream_tbDpT10_ENKUlT_T0_E_clISt17integral_constantIbLb0EES1A_EEDaS15_S16_EUlS15_E_NS1_11comp_targetILNS1_3genE4ELNS1_11target_archE910ELNS1_3gpuE8ELNS1_3repE0EEENS1_30default_config_static_selectorELNS0_4arch9wavefront6targetE0EEEvT1_,"axG",@progbits,_ZN7rocprim17ROCPRIM_400000_NS6detail17trampoline_kernelINS0_14default_configENS1_25partition_config_selectorILNS1_17partition_subalgoE9EllbEEZZNS1_14partition_implILS5_9ELb0ES3_jPlS8_PNS0_10empty_typeENS0_5tupleIJS8_S9_EEENSB_IJS8_SA_EEENS0_18inequality_wrapperIZN2at6native12_GLOBAL__N_124unique_dim_cuda_templateIdEESt5tupleIJNSF_6TensorESK_SK_EERKSK_lbbbEUlllE0_EEPmJS9_EEE10hipError_tPvRmT3_T4_T5_T6_T7_T9_mT8_P12ihipStream_tbDpT10_ENKUlT_T0_E_clISt17integral_constantIbLb0EES1A_EEDaS15_S16_EUlS15_E_NS1_11comp_targetILNS1_3genE4ELNS1_11target_archE910ELNS1_3gpuE8ELNS1_3repE0EEENS1_30default_config_static_selectorELNS0_4arch9wavefront6targetE0EEEvT1_,comdat
	.globl	_ZN7rocprim17ROCPRIM_400000_NS6detail17trampoline_kernelINS0_14default_configENS1_25partition_config_selectorILNS1_17partition_subalgoE9EllbEEZZNS1_14partition_implILS5_9ELb0ES3_jPlS8_PNS0_10empty_typeENS0_5tupleIJS8_S9_EEENSB_IJS8_SA_EEENS0_18inequality_wrapperIZN2at6native12_GLOBAL__N_124unique_dim_cuda_templateIdEESt5tupleIJNSF_6TensorESK_SK_EERKSK_lbbbEUlllE0_EEPmJS9_EEE10hipError_tPvRmT3_T4_T5_T6_T7_T9_mT8_P12ihipStream_tbDpT10_ENKUlT_T0_E_clISt17integral_constantIbLb0EES1A_EEDaS15_S16_EUlS15_E_NS1_11comp_targetILNS1_3genE4ELNS1_11target_archE910ELNS1_3gpuE8ELNS1_3repE0EEENS1_30default_config_static_selectorELNS0_4arch9wavefront6targetE0EEEvT1_ ; -- Begin function _ZN7rocprim17ROCPRIM_400000_NS6detail17trampoline_kernelINS0_14default_configENS1_25partition_config_selectorILNS1_17partition_subalgoE9EllbEEZZNS1_14partition_implILS5_9ELb0ES3_jPlS8_PNS0_10empty_typeENS0_5tupleIJS8_S9_EEENSB_IJS8_SA_EEENS0_18inequality_wrapperIZN2at6native12_GLOBAL__N_124unique_dim_cuda_templateIdEESt5tupleIJNSF_6TensorESK_SK_EERKSK_lbbbEUlllE0_EEPmJS9_EEE10hipError_tPvRmT3_T4_T5_T6_T7_T9_mT8_P12ihipStream_tbDpT10_ENKUlT_T0_E_clISt17integral_constantIbLb0EES1A_EEDaS15_S16_EUlS15_E_NS1_11comp_targetILNS1_3genE4ELNS1_11target_archE910ELNS1_3gpuE8ELNS1_3repE0EEENS1_30default_config_static_selectorELNS0_4arch9wavefront6targetE0EEEvT1_
	.p2align	8
	.type	_ZN7rocprim17ROCPRIM_400000_NS6detail17trampoline_kernelINS0_14default_configENS1_25partition_config_selectorILNS1_17partition_subalgoE9EllbEEZZNS1_14partition_implILS5_9ELb0ES3_jPlS8_PNS0_10empty_typeENS0_5tupleIJS8_S9_EEENSB_IJS8_SA_EEENS0_18inequality_wrapperIZN2at6native12_GLOBAL__N_124unique_dim_cuda_templateIdEESt5tupleIJNSF_6TensorESK_SK_EERKSK_lbbbEUlllE0_EEPmJS9_EEE10hipError_tPvRmT3_T4_T5_T6_T7_T9_mT8_P12ihipStream_tbDpT10_ENKUlT_T0_E_clISt17integral_constantIbLb0EES1A_EEDaS15_S16_EUlS15_E_NS1_11comp_targetILNS1_3genE4ELNS1_11target_archE910ELNS1_3gpuE8ELNS1_3repE0EEENS1_30default_config_static_selectorELNS0_4arch9wavefront6targetE0EEEvT1_,@function
_ZN7rocprim17ROCPRIM_400000_NS6detail17trampoline_kernelINS0_14default_configENS1_25partition_config_selectorILNS1_17partition_subalgoE9EllbEEZZNS1_14partition_implILS5_9ELb0ES3_jPlS8_PNS0_10empty_typeENS0_5tupleIJS8_S9_EEENSB_IJS8_SA_EEENS0_18inequality_wrapperIZN2at6native12_GLOBAL__N_124unique_dim_cuda_templateIdEESt5tupleIJNSF_6TensorESK_SK_EERKSK_lbbbEUlllE0_EEPmJS9_EEE10hipError_tPvRmT3_T4_T5_T6_T7_T9_mT8_P12ihipStream_tbDpT10_ENKUlT_T0_E_clISt17integral_constantIbLb0EES1A_EEDaS15_S16_EUlS15_E_NS1_11comp_targetILNS1_3genE4ELNS1_11target_archE910ELNS1_3gpuE8ELNS1_3repE0EEENS1_30default_config_static_selectorELNS0_4arch9wavefront6targetE0EEEvT1_: ; @_ZN7rocprim17ROCPRIM_400000_NS6detail17trampoline_kernelINS0_14default_configENS1_25partition_config_selectorILNS1_17partition_subalgoE9EllbEEZZNS1_14partition_implILS5_9ELb0ES3_jPlS8_PNS0_10empty_typeENS0_5tupleIJS8_S9_EEENSB_IJS8_SA_EEENS0_18inequality_wrapperIZN2at6native12_GLOBAL__N_124unique_dim_cuda_templateIdEESt5tupleIJNSF_6TensorESK_SK_EERKSK_lbbbEUlllE0_EEPmJS9_EEE10hipError_tPvRmT3_T4_T5_T6_T7_T9_mT8_P12ihipStream_tbDpT10_ENKUlT_T0_E_clISt17integral_constantIbLb0EES1A_EEDaS15_S16_EUlS15_E_NS1_11comp_targetILNS1_3genE4ELNS1_11target_archE910ELNS1_3gpuE8ELNS1_3repE0EEENS1_30default_config_static_selectorELNS0_4arch9wavefront6targetE0EEEvT1_
; %bb.0:
	.section	.rodata,"a",@progbits
	.p2align	6, 0x0
	.amdhsa_kernel _ZN7rocprim17ROCPRIM_400000_NS6detail17trampoline_kernelINS0_14default_configENS1_25partition_config_selectorILNS1_17partition_subalgoE9EllbEEZZNS1_14partition_implILS5_9ELb0ES3_jPlS8_PNS0_10empty_typeENS0_5tupleIJS8_S9_EEENSB_IJS8_SA_EEENS0_18inequality_wrapperIZN2at6native12_GLOBAL__N_124unique_dim_cuda_templateIdEESt5tupleIJNSF_6TensorESK_SK_EERKSK_lbbbEUlllE0_EEPmJS9_EEE10hipError_tPvRmT3_T4_T5_T6_T7_T9_mT8_P12ihipStream_tbDpT10_ENKUlT_T0_E_clISt17integral_constantIbLb0EES1A_EEDaS15_S16_EUlS15_E_NS1_11comp_targetILNS1_3genE4ELNS1_11target_archE910ELNS1_3gpuE8ELNS1_3repE0EEENS1_30default_config_static_selectorELNS0_4arch9wavefront6targetE0EEEvT1_
		.amdhsa_group_segment_fixed_size 0
		.amdhsa_private_segment_fixed_size 0
		.amdhsa_kernarg_size 120
		.amdhsa_user_sgpr_count 2
		.amdhsa_user_sgpr_dispatch_ptr 0
		.amdhsa_user_sgpr_queue_ptr 0
		.amdhsa_user_sgpr_kernarg_segment_ptr 1
		.amdhsa_user_sgpr_dispatch_id 0
		.amdhsa_user_sgpr_kernarg_preload_length 0
		.amdhsa_user_sgpr_kernarg_preload_offset 0
		.amdhsa_user_sgpr_private_segment_size 0
		.amdhsa_wavefront_size32 1
		.amdhsa_uses_dynamic_stack 0
		.amdhsa_enable_private_segment 0
		.amdhsa_system_sgpr_workgroup_id_x 1
		.amdhsa_system_sgpr_workgroup_id_y 0
		.amdhsa_system_sgpr_workgroup_id_z 0
		.amdhsa_system_sgpr_workgroup_info 0
		.amdhsa_system_vgpr_workitem_id 0
		.amdhsa_next_free_vgpr 1
		.amdhsa_next_free_sgpr 1
		.amdhsa_named_barrier_count 0
		.amdhsa_reserve_vcc 0
		.amdhsa_float_round_mode_32 0
		.amdhsa_float_round_mode_16_64 0
		.amdhsa_float_denorm_mode_32 3
		.amdhsa_float_denorm_mode_16_64 3
		.amdhsa_fp16_overflow 0
		.amdhsa_memory_ordered 1
		.amdhsa_forward_progress 1
		.amdhsa_inst_pref_size 0
		.amdhsa_round_robin_scheduling 0
		.amdhsa_exception_fp_ieee_invalid_op 0
		.amdhsa_exception_fp_denorm_src 0
		.amdhsa_exception_fp_ieee_div_zero 0
		.amdhsa_exception_fp_ieee_overflow 0
		.amdhsa_exception_fp_ieee_underflow 0
		.amdhsa_exception_fp_ieee_inexact 0
		.amdhsa_exception_int_div_zero 0
	.end_amdhsa_kernel
	.section	.text._ZN7rocprim17ROCPRIM_400000_NS6detail17trampoline_kernelINS0_14default_configENS1_25partition_config_selectorILNS1_17partition_subalgoE9EllbEEZZNS1_14partition_implILS5_9ELb0ES3_jPlS8_PNS0_10empty_typeENS0_5tupleIJS8_S9_EEENSB_IJS8_SA_EEENS0_18inequality_wrapperIZN2at6native12_GLOBAL__N_124unique_dim_cuda_templateIdEESt5tupleIJNSF_6TensorESK_SK_EERKSK_lbbbEUlllE0_EEPmJS9_EEE10hipError_tPvRmT3_T4_T5_T6_T7_T9_mT8_P12ihipStream_tbDpT10_ENKUlT_T0_E_clISt17integral_constantIbLb0EES1A_EEDaS15_S16_EUlS15_E_NS1_11comp_targetILNS1_3genE4ELNS1_11target_archE910ELNS1_3gpuE8ELNS1_3repE0EEENS1_30default_config_static_selectorELNS0_4arch9wavefront6targetE0EEEvT1_,"axG",@progbits,_ZN7rocprim17ROCPRIM_400000_NS6detail17trampoline_kernelINS0_14default_configENS1_25partition_config_selectorILNS1_17partition_subalgoE9EllbEEZZNS1_14partition_implILS5_9ELb0ES3_jPlS8_PNS0_10empty_typeENS0_5tupleIJS8_S9_EEENSB_IJS8_SA_EEENS0_18inequality_wrapperIZN2at6native12_GLOBAL__N_124unique_dim_cuda_templateIdEESt5tupleIJNSF_6TensorESK_SK_EERKSK_lbbbEUlllE0_EEPmJS9_EEE10hipError_tPvRmT3_T4_T5_T6_T7_T9_mT8_P12ihipStream_tbDpT10_ENKUlT_T0_E_clISt17integral_constantIbLb0EES1A_EEDaS15_S16_EUlS15_E_NS1_11comp_targetILNS1_3genE4ELNS1_11target_archE910ELNS1_3gpuE8ELNS1_3repE0EEENS1_30default_config_static_selectorELNS0_4arch9wavefront6targetE0EEEvT1_,comdat
.Lfunc_end841:
	.size	_ZN7rocprim17ROCPRIM_400000_NS6detail17trampoline_kernelINS0_14default_configENS1_25partition_config_selectorILNS1_17partition_subalgoE9EllbEEZZNS1_14partition_implILS5_9ELb0ES3_jPlS8_PNS0_10empty_typeENS0_5tupleIJS8_S9_EEENSB_IJS8_SA_EEENS0_18inequality_wrapperIZN2at6native12_GLOBAL__N_124unique_dim_cuda_templateIdEESt5tupleIJNSF_6TensorESK_SK_EERKSK_lbbbEUlllE0_EEPmJS9_EEE10hipError_tPvRmT3_T4_T5_T6_T7_T9_mT8_P12ihipStream_tbDpT10_ENKUlT_T0_E_clISt17integral_constantIbLb0EES1A_EEDaS15_S16_EUlS15_E_NS1_11comp_targetILNS1_3genE4ELNS1_11target_archE910ELNS1_3gpuE8ELNS1_3repE0EEENS1_30default_config_static_selectorELNS0_4arch9wavefront6targetE0EEEvT1_, .Lfunc_end841-_ZN7rocprim17ROCPRIM_400000_NS6detail17trampoline_kernelINS0_14default_configENS1_25partition_config_selectorILNS1_17partition_subalgoE9EllbEEZZNS1_14partition_implILS5_9ELb0ES3_jPlS8_PNS0_10empty_typeENS0_5tupleIJS8_S9_EEENSB_IJS8_SA_EEENS0_18inequality_wrapperIZN2at6native12_GLOBAL__N_124unique_dim_cuda_templateIdEESt5tupleIJNSF_6TensorESK_SK_EERKSK_lbbbEUlllE0_EEPmJS9_EEE10hipError_tPvRmT3_T4_T5_T6_T7_T9_mT8_P12ihipStream_tbDpT10_ENKUlT_T0_E_clISt17integral_constantIbLb0EES1A_EEDaS15_S16_EUlS15_E_NS1_11comp_targetILNS1_3genE4ELNS1_11target_archE910ELNS1_3gpuE8ELNS1_3repE0EEENS1_30default_config_static_selectorELNS0_4arch9wavefront6targetE0EEEvT1_
                                        ; -- End function
	.set _ZN7rocprim17ROCPRIM_400000_NS6detail17trampoline_kernelINS0_14default_configENS1_25partition_config_selectorILNS1_17partition_subalgoE9EllbEEZZNS1_14partition_implILS5_9ELb0ES3_jPlS8_PNS0_10empty_typeENS0_5tupleIJS8_S9_EEENSB_IJS8_SA_EEENS0_18inequality_wrapperIZN2at6native12_GLOBAL__N_124unique_dim_cuda_templateIdEESt5tupleIJNSF_6TensorESK_SK_EERKSK_lbbbEUlllE0_EEPmJS9_EEE10hipError_tPvRmT3_T4_T5_T6_T7_T9_mT8_P12ihipStream_tbDpT10_ENKUlT_T0_E_clISt17integral_constantIbLb0EES1A_EEDaS15_S16_EUlS15_E_NS1_11comp_targetILNS1_3genE4ELNS1_11target_archE910ELNS1_3gpuE8ELNS1_3repE0EEENS1_30default_config_static_selectorELNS0_4arch9wavefront6targetE0EEEvT1_.num_vgpr, 0
	.set _ZN7rocprim17ROCPRIM_400000_NS6detail17trampoline_kernelINS0_14default_configENS1_25partition_config_selectorILNS1_17partition_subalgoE9EllbEEZZNS1_14partition_implILS5_9ELb0ES3_jPlS8_PNS0_10empty_typeENS0_5tupleIJS8_S9_EEENSB_IJS8_SA_EEENS0_18inequality_wrapperIZN2at6native12_GLOBAL__N_124unique_dim_cuda_templateIdEESt5tupleIJNSF_6TensorESK_SK_EERKSK_lbbbEUlllE0_EEPmJS9_EEE10hipError_tPvRmT3_T4_T5_T6_T7_T9_mT8_P12ihipStream_tbDpT10_ENKUlT_T0_E_clISt17integral_constantIbLb0EES1A_EEDaS15_S16_EUlS15_E_NS1_11comp_targetILNS1_3genE4ELNS1_11target_archE910ELNS1_3gpuE8ELNS1_3repE0EEENS1_30default_config_static_selectorELNS0_4arch9wavefront6targetE0EEEvT1_.num_agpr, 0
	.set _ZN7rocprim17ROCPRIM_400000_NS6detail17trampoline_kernelINS0_14default_configENS1_25partition_config_selectorILNS1_17partition_subalgoE9EllbEEZZNS1_14partition_implILS5_9ELb0ES3_jPlS8_PNS0_10empty_typeENS0_5tupleIJS8_S9_EEENSB_IJS8_SA_EEENS0_18inequality_wrapperIZN2at6native12_GLOBAL__N_124unique_dim_cuda_templateIdEESt5tupleIJNSF_6TensorESK_SK_EERKSK_lbbbEUlllE0_EEPmJS9_EEE10hipError_tPvRmT3_T4_T5_T6_T7_T9_mT8_P12ihipStream_tbDpT10_ENKUlT_T0_E_clISt17integral_constantIbLb0EES1A_EEDaS15_S16_EUlS15_E_NS1_11comp_targetILNS1_3genE4ELNS1_11target_archE910ELNS1_3gpuE8ELNS1_3repE0EEENS1_30default_config_static_selectorELNS0_4arch9wavefront6targetE0EEEvT1_.numbered_sgpr, 0
	.set _ZN7rocprim17ROCPRIM_400000_NS6detail17trampoline_kernelINS0_14default_configENS1_25partition_config_selectorILNS1_17partition_subalgoE9EllbEEZZNS1_14partition_implILS5_9ELb0ES3_jPlS8_PNS0_10empty_typeENS0_5tupleIJS8_S9_EEENSB_IJS8_SA_EEENS0_18inequality_wrapperIZN2at6native12_GLOBAL__N_124unique_dim_cuda_templateIdEESt5tupleIJNSF_6TensorESK_SK_EERKSK_lbbbEUlllE0_EEPmJS9_EEE10hipError_tPvRmT3_T4_T5_T6_T7_T9_mT8_P12ihipStream_tbDpT10_ENKUlT_T0_E_clISt17integral_constantIbLb0EES1A_EEDaS15_S16_EUlS15_E_NS1_11comp_targetILNS1_3genE4ELNS1_11target_archE910ELNS1_3gpuE8ELNS1_3repE0EEENS1_30default_config_static_selectorELNS0_4arch9wavefront6targetE0EEEvT1_.num_named_barrier, 0
	.set _ZN7rocprim17ROCPRIM_400000_NS6detail17trampoline_kernelINS0_14default_configENS1_25partition_config_selectorILNS1_17partition_subalgoE9EllbEEZZNS1_14partition_implILS5_9ELb0ES3_jPlS8_PNS0_10empty_typeENS0_5tupleIJS8_S9_EEENSB_IJS8_SA_EEENS0_18inequality_wrapperIZN2at6native12_GLOBAL__N_124unique_dim_cuda_templateIdEESt5tupleIJNSF_6TensorESK_SK_EERKSK_lbbbEUlllE0_EEPmJS9_EEE10hipError_tPvRmT3_T4_T5_T6_T7_T9_mT8_P12ihipStream_tbDpT10_ENKUlT_T0_E_clISt17integral_constantIbLb0EES1A_EEDaS15_S16_EUlS15_E_NS1_11comp_targetILNS1_3genE4ELNS1_11target_archE910ELNS1_3gpuE8ELNS1_3repE0EEENS1_30default_config_static_selectorELNS0_4arch9wavefront6targetE0EEEvT1_.private_seg_size, 0
	.set _ZN7rocprim17ROCPRIM_400000_NS6detail17trampoline_kernelINS0_14default_configENS1_25partition_config_selectorILNS1_17partition_subalgoE9EllbEEZZNS1_14partition_implILS5_9ELb0ES3_jPlS8_PNS0_10empty_typeENS0_5tupleIJS8_S9_EEENSB_IJS8_SA_EEENS0_18inequality_wrapperIZN2at6native12_GLOBAL__N_124unique_dim_cuda_templateIdEESt5tupleIJNSF_6TensorESK_SK_EERKSK_lbbbEUlllE0_EEPmJS9_EEE10hipError_tPvRmT3_T4_T5_T6_T7_T9_mT8_P12ihipStream_tbDpT10_ENKUlT_T0_E_clISt17integral_constantIbLb0EES1A_EEDaS15_S16_EUlS15_E_NS1_11comp_targetILNS1_3genE4ELNS1_11target_archE910ELNS1_3gpuE8ELNS1_3repE0EEENS1_30default_config_static_selectorELNS0_4arch9wavefront6targetE0EEEvT1_.uses_vcc, 0
	.set _ZN7rocprim17ROCPRIM_400000_NS6detail17trampoline_kernelINS0_14default_configENS1_25partition_config_selectorILNS1_17partition_subalgoE9EllbEEZZNS1_14partition_implILS5_9ELb0ES3_jPlS8_PNS0_10empty_typeENS0_5tupleIJS8_S9_EEENSB_IJS8_SA_EEENS0_18inequality_wrapperIZN2at6native12_GLOBAL__N_124unique_dim_cuda_templateIdEESt5tupleIJNSF_6TensorESK_SK_EERKSK_lbbbEUlllE0_EEPmJS9_EEE10hipError_tPvRmT3_T4_T5_T6_T7_T9_mT8_P12ihipStream_tbDpT10_ENKUlT_T0_E_clISt17integral_constantIbLb0EES1A_EEDaS15_S16_EUlS15_E_NS1_11comp_targetILNS1_3genE4ELNS1_11target_archE910ELNS1_3gpuE8ELNS1_3repE0EEENS1_30default_config_static_selectorELNS0_4arch9wavefront6targetE0EEEvT1_.uses_flat_scratch, 0
	.set _ZN7rocprim17ROCPRIM_400000_NS6detail17trampoline_kernelINS0_14default_configENS1_25partition_config_selectorILNS1_17partition_subalgoE9EllbEEZZNS1_14partition_implILS5_9ELb0ES3_jPlS8_PNS0_10empty_typeENS0_5tupleIJS8_S9_EEENSB_IJS8_SA_EEENS0_18inequality_wrapperIZN2at6native12_GLOBAL__N_124unique_dim_cuda_templateIdEESt5tupleIJNSF_6TensorESK_SK_EERKSK_lbbbEUlllE0_EEPmJS9_EEE10hipError_tPvRmT3_T4_T5_T6_T7_T9_mT8_P12ihipStream_tbDpT10_ENKUlT_T0_E_clISt17integral_constantIbLb0EES1A_EEDaS15_S16_EUlS15_E_NS1_11comp_targetILNS1_3genE4ELNS1_11target_archE910ELNS1_3gpuE8ELNS1_3repE0EEENS1_30default_config_static_selectorELNS0_4arch9wavefront6targetE0EEEvT1_.has_dyn_sized_stack, 0
	.set _ZN7rocprim17ROCPRIM_400000_NS6detail17trampoline_kernelINS0_14default_configENS1_25partition_config_selectorILNS1_17partition_subalgoE9EllbEEZZNS1_14partition_implILS5_9ELb0ES3_jPlS8_PNS0_10empty_typeENS0_5tupleIJS8_S9_EEENSB_IJS8_SA_EEENS0_18inequality_wrapperIZN2at6native12_GLOBAL__N_124unique_dim_cuda_templateIdEESt5tupleIJNSF_6TensorESK_SK_EERKSK_lbbbEUlllE0_EEPmJS9_EEE10hipError_tPvRmT3_T4_T5_T6_T7_T9_mT8_P12ihipStream_tbDpT10_ENKUlT_T0_E_clISt17integral_constantIbLb0EES1A_EEDaS15_S16_EUlS15_E_NS1_11comp_targetILNS1_3genE4ELNS1_11target_archE910ELNS1_3gpuE8ELNS1_3repE0EEENS1_30default_config_static_selectorELNS0_4arch9wavefront6targetE0EEEvT1_.has_recursion, 0
	.set _ZN7rocprim17ROCPRIM_400000_NS6detail17trampoline_kernelINS0_14default_configENS1_25partition_config_selectorILNS1_17partition_subalgoE9EllbEEZZNS1_14partition_implILS5_9ELb0ES3_jPlS8_PNS0_10empty_typeENS0_5tupleIJS8_S9_EEENSB_IJS8_SA_EEENS0_18inequality_wrapperIZN2at6native12_GLOBAL__N_124unique_dim_cuda_templateIdEESt5tupleIJNSF_6TensorESK_SK_EERKSK_lbbbEUlllE0_EEPmJS9_EEE10hipError_tPvRmT3_T4_T5_T6_T7_T9_mT8_P12ihipStream_tbDpT10_ENKUlT_T0_E_clISt17integral_constantIbLb0EES1A_EEDaS15_S16_EUlS15_E_NS1_11comp_targetILNS1_3genE4ELNS1_11target_archE910ELNS1_3gpuE8ELNS1_3repE0EEENS1_30default_config_static_selectorELNS0_4arch9wavefront6targetE0EEEvT1_.has_indirect_call, 0
	.section	.AMDGPU.csdata,"",@progbits
; Kernel info:
; codeLenInByte = 0
; TotalNumSgprs: 0
; NumVgprs: 0
; ScratchSize: 0
; MemoryBound: 0
; FloatMode: 240
; IeeeMode: 1
; LDSByteSize: 0 bytes/workgroup (compile time only)
; SGPRBlocks: 0
; VGPRBlocks: 0
; NumSGPRsForWavesPerEU: 1
; NumVGPRsForWavesPerEU: 1
; NamedBarCnt: 0
; Occupancy: 16
; WaveLimiterHint : 0
; COMPUTE_PGM_RSRC2:SCRATCH_EN: 0
; COMPUTE_PGM_RSRC2:USER_SGPR: 2
; COMPUTE_PGM_RSRC2:TRAP_HANDLER: 0
; COMPUTE_PGM_RSRC2:TGID_X_EN: 1
; COMPUTE_PGM_RSRC2:TGID_Y_EN: 0
; COMPUTE_PGM_RSRC2:TGID_Z_EN: 0
; COMPUTE_PGM_RSRC2:TIDIG_COMP_CNT: 0
	.section	.text._ZN7rocprim17ROCPRIM_400000_NS6detail17trampoline_kernelINS0_14default_configENS1_25partition_config_selectorILNS1_17partition_subalgoE9EllbEEZZNS1_14partition_implILS5_9ELb0ES3_jPlS8_PNS0_10empty_typeENS0_5tupleIJS8_S9_EEENSB_IJS8_SA_EEENS0_18inequality_wrapperIZN2at6native12_GLOBAL__N_124unique_dim_cuda_templateIdEESt5tupleIJNSF_6TensorESK_SK_EERKSK_lbbbEUlllE0_EEPmJS9_EEE10hipError_tPvRmT3_T4_T5_T6_T7_T9_mT8_P12ihipStream_tbDpT10_ENKUlT_T0_E_clISt17integral_constantIbLb0EES1A_EEDaS15_S16_EUlS15_E_NS1_11comp_targetILNS1_3genE3ELNS1_11target_archE908ELNS1_3gpuE7ELNS1_3repE0EEENS1_30default_config_static_selectorELNS0_4arch9wavefront6targetE0EEEvT1_,"axG",@progbits,_ZN7rocprim17ROCPRIM_400000_NS6detail17trampoline_kernelINS0_14default_configENS1_25partition_config_selectorILNS1_17partition_subalgoE9EllbEEZZNS1_14partition_implILS5_9ELb0ES3_jPlS8_PNS0_10empty_typeENS0_5tupleIJS8_S9_EEENSB_IJS8_SA_EEENS0_18inequality_wrapperIZN2at6native12_GLOBAL__N_124unique_dim_cuda_templateIdEESt5tupleIJNSF_6TensorESK_SK_EERKSK_lbbbEUlllE0_EEPmJS9_EEE10hipError_tPvRmT3_T4_T5_T6_T7_T9_mT8_P12ihipStream_tbDpT10_ENKUlT_T0_E_clISt17integral_constantIbLb0EES1A_EEDaS15_S16_EUlS15_E_NS1_11comp_targetILNS1_3genE3ELNS1_11target_archE908ELNS1_3gpuE7ELNS1_3repE0EEENS1_30default_config_static_selectorELNS0_4arch9wavefront6targetE0EEEvT1_,comdat
	.globl	_ZN7rocprim17ROCPRIM_400000_NS6detail17trampoline_kernelINS0_14default_configENS1_25partition_config_selectorILNS1_17partition_subalgoE9EllbEEZZNS1_14partition_implILS5_9ELb0ES3_jPlS8_PNS0_10empty_typeENS0_5tupleIJS8_S9_EEENSB_IJS8_SA_EEENS0_18inequality_wrapperIZN2at6native12_GLOBAL__N_124unique_dim_cuda_templateIdEESt5tupleIJNSF_6TensorESK_SK_EERKSK_lbbbEUlllE0_EEPmJS9_EEE10hipError_tPvRmT3_T4_T5_T6_T7_T9_mT8_P12ihipStream_tbDpT10_ENKUlT_T0_E_clISt17integral_constantIbLb0EES1A_EEDaS15_S16_EUlS15_E_NS1_11comp_targetILNS1_3genE3ELNS1_11target_archE908ELNS1_3gpuE7ELNS1_3repE0EEENS1_30default_config_static_selectorELNS0_4arch9wavefront6targetE0EEEvT1_ ; -- Begin function _ZN7rocprim17ROCPRIM_400000_NS6detail17trampoline_kernelINS0_14default_configENS1_25partition_config_selectorILNS1_17partition_subalgoE9EllbEEZZNS1_14partition_implILS5_9ELb0ES3_jPlS8_PNS0_10empty_typeENS0_5tupleIJS8_S9_EEENSB_IJS8_SA_EEENS0_18inequality_wrapperIZN2at6native12_GLOBAL__N_124unique_dim_cuda_templateIdEESt5tupleIJNSF_6TensorESK_SK_EERKSK_lbbbEUlllE0_EEPmJS9_EEE10hipError_tPvRmT3_T4_T5_T6_T7_T9_mT8_P12ihipStream_tbDpT10_ENKUlT_T0_E_clISt17integral_constantIbLb0EES1A_EEDaS15_S16_EUlS15_E_NS1_11comp_targetILNS1_3genE3ELNS1_11target_archE908ELNS1_3gpuE7ELNS1_3repE0EEENS1_30default_config_static_selectorELNS0_4arch9wavefront6targetE0EEEvT1_
	.p2align	8
	.type	_ZN7rocprim17ROCPRIM_400000_NS6detail17trampoline_kernelINS0_14default_configENS1_25partition_config_selectorILNS1_17partition_subalgoE9EllbEEZZNS1_14partition_implILS5_9ELb0ES3_jPlS8_PNS0_10empty_typeENS0_5tupleIJS8_S9_EEENSB_IJS8_SA_EEENS0_18inequality_wrapperIZN2at6native12_GLOBAL__N_124unique_dim_cuda_templateIdEESt5tupleIJNSF_6TensorESK_SK_EERKSK_lbbbEUlllE0_EEPmJS9_EEE10hipError_tPvRmT3_T4_T5_T6_T7_T9_mT8_P12ihipStream_tbDpT10_ENKUlT_T0_E_clISt17integral_constantIbLb0EES1A_EEDaS15_S16_EUlS15_E_NS1_11comp_targetILNS1_3genE3ELNS1_11target_archE908ELNS1_3gpuE7ELNS1_3repE0EEENS1_30default_config_static_selectorELNS0_4arch9wavefront6targetE0EEEvT1_,@function
_ZN7rocprim17ROCPRIM_400000_NS6detail17trampoline_kernelINS0_14default_configENS1_25partition_config_selectorILNS1_17partition_subalgoE9EllbEEZZNS1_14partition_implILS5_9ELb0ES3_jPlS8_PNS0_10empty_typeENS0_5tupleIJS8_S9_EEENSB_IJS8_SA_EEENS0_18inequality_wrapperIZN2at6native12_GLOBAL__N_124unique_dim_cuda_templateIdEESt5tupleIJNSF_6TensorESK_SK_EERKSK_lbbbEUlllE0_EEPmJS9_EEE10hipError_tPvRmT3_T4_T5_T6_T7_T9_mT8_P12ihipStream_tbDpT10_ENKUlT_T0_E_clISt17integral_constantIbLb0EES1A_EEDaS15_S16_EUlS15_E_NS1_11comp_targetILNS1_3genE3ELNS1_11target_archE908ELNS1_3gpuE7ELNS1_3repE0EEENS1_30default_config_static_selectorELNS0_4arch9wavefront6targetE0EEEvT1_: ; @_ZN7rocprim17ROCPRIM_400000_NS6detail17trampoline_kernelINS0_14default_configENS1_25partition_config_selectorILNS1_17partition_subalgoE9EllbEEZZNS1_14partition_implILS5_9ELb0ES3_jPlS8_PNS0_10empty_typeENS0_5tupleIJS8_S9_EEENSB_IJS8_SA_EEENS0_18inequality_wrapperIZN2at6native12_GLOBAL__N_124unique_dim_cuda_templateIdEESt5tupleIJNSF_6TensorESK_SK_EERKSK_lbbbEUlllE0_EEPmJS9_EEE10hipError_tPvRmT3_T4_T5_T6_T7_T9_mT8_P12ihipStream_tbDpT10_ENKUlT_T0_E_clISt17integral_constantIbLb0EES1A_EEDaS15_S16_EUlS15_E_NS1_11comp_targetILNS1_3genE3ELNS1_11target_archE908ELNS1_3gpuE7ELNS1_3repE0EEENS1_30default_config_static_selectorELNS0_4arch9wavefront6targetE0EEEvT1_
; %bb.0:
	.section	.rodata,"a",@progbits
	.p2align	6, 0x0
	.amdhsa_kernel _ZN7rocprim17ROCPRIM_400000_NS6detail17trampoline_kernelINS0_14default_configENS1_25partition_config_selectorILNS1_17partition_subalgoE9EllbEEZZNS1_14partition_implILS5_9ELb0ES3_jPlS8_PNS0_10empty_typeENS0_5tupleIJS8_S9_EEENSB_IJS8_SA_EEENS0_18inequality_wrapperIZN2at6native12_GLOBAL__N_124unique_dim_cuda_templateIdEESt5tupleIJNSF_6TensorESK_SK_EERKSK_lbbbEUlllE0_EEPmJS9_EEE10hipError_tPvRmT3_T4_T5_T6_T7_T9_mT8_P12ihipStream_tbDpT10_ENKUlT_T0_E_clISt17integral_constantIbLb0EES1A_EEDaS15_S16_EUlS15_E_NS1_11comp_targetILNS1_3genE3ELNS1_11target_archE908ELNS1_3gpuE7ELNS1_3repE0EEENS1_30default_config_static_selectorELNS0_4arch9wavefront6targetE0EEEvT1_
		.amdhsa_group_segment_fixed_size 0
		.amdhsa_private_segment_fixed_size 0
		.amdhsa_kernarg_size 120
		.amdhsa_user_sgpr_count 2
		.amdhsa_user_sgpr_dispatch_ptr 0
		.amdhsa_user_sgpr_queue_ptr 0
		.amdhsa_user_sgpr_kernarg_segment_ptr 1
		.amdhsa_user_sgpr_dispatch_id 0
		.amdhsa_user_sgpr_kernarg_preload_length 0
		.amdhsa_user_sgpr_kernarg_preload_offset 0
		.amdhsa_user_sgpr_private_segment_size 0
		.amdhsa_wavefront_size32 1
		.amdhsa_uses_dynamic_stack 0
		.amdhsa_enable_private_segment 0
		.amdhsa_system_sgpr_workgroup_id_x 1
		.amdhsa_system_sgpr_workgroup_id_y 0
		.amdhsa_system_sgpr_workgroup_id_z 0
		.amdhsa_system_sgpr_workgroup_info 0
		.amdhsa_system_vgpr_workitem_id 0
		.amdhsa_next_free_vgpr 1
		.amdhsa_next_free_sgpr 1
		.amdhsa_named_barrier_count 0
		.amdhsa_reserve_vcc 0
		.amdhsa_float_round_mode_32 0
		.amdhsa_float_round_mode_16_64 0
		.amdhsa_float_denorm_mode_32 3
		.amdhsa_float_denorm_mode_16_64 3
		.amdhsa_fp16_overflow 0
		.amdhsa_memory_ordered 1
		.amdhsa_forward_progress 1
		.amdhsa_inst_pref_size 0
		.amdhsa_round_robin_scheduling 0
		.amdhsa_exception_fp_ieee_invalid_op 0
		.amdhsa_exception_fp_denorm_src 0
		.amdhsa_exception_fp_ieee_div_zero 0
		.amdhsa_exception_fp_ieee_overflow 0
		.amdhsa_exception_fp_ieee_underflow 0
		.amdhsa_exception_fp_ieee_inexact 0
		.amdhsa_exception_int_div_zero 0
	.end_amdhsa_kernel
	.section	.text._ZN7rocprim17ROCPRIM_400000_NS6detail17trampoline_kernelINS0_14default_configENS1_25partition_config_selectorILNS1_17partition_subalgoE9EllbEEZZNS1_14partition_implILS5_9ELb0ES3_jPlS8_PNS0_10empty_typeENS0_5tupleIJS8_S9_EEENSB_IJS8_SA_EEENS0_18inequality_wrapperIZN2at6native12_GLOBAL__N_124unique_dim_cuda_templateIdEESt5tupleIJNSF_6TensorESK_SK_EERKSK_lbbbEUlllE0_EEPmJS9_EEE10hipError_tPvRmT3_T4_T5_T6_T7_T9_mT8_P12ihipStream_tbDpT10_ENKUlT_T0_E_clISt17integral_constantIbLb0EES1A_EEDaS15_S16_EUlS15_E_NS1_11comp_targetILNS1_3genE3ELNS1_11target_archE908ELNS1_3gpuE7ELNS1_3repE0EEENS1_30default_config_static_selectorELNS0_4arch9wavefront6targetE0EEEvT1_,"axG",@progbits,_ZN7rocprim17ROCPRIM_400000_NS6detail17trampoline_kernelINS0_14default_configENS1_25partition_config_selectorILNS1_17partition_subalgoE9EllbEEZZNS1_14partition_implILS5_9ELb0ES3_jPlS8_PNS0_10empty_typeENS0_5tupleIJS8_S9_EEENSB_IJS8_SA_EEENS0_18inequality_wrapperIZN2at6native12_GLOBAL__N_124unique_dim_cuda_templateIdEESt5tupleIJNSF_6TensorESK_SK_EERKSK_lbbbEUlllE0_EEPmJS9_EEE10hipError_tPvRmT3_T4_T5_T6_T7_T9_mT8_P12ihipStream_tbDpT10_ENKUlT_T0_E_clISt17integral_constantIbLb0EES1A_EEDaS15_S16_EUlS15_E_NS1_11comp_targetILNS1_3genE3ELNS1_11target_archE908ELNS1_3gpuE7ELNS1_3repE0EEENS1_30default_config_static_selectorELNS0_4arch9wavefront6targetE0EEEvT1_,comdat
.Lfunc_end842:
	.size	_ZN7rocprim17ROCPRIM_400000_NS6detail17trampoline_kernelINS0_14default_configENS1_25partition_config_selectorILNS1_17partition_subalgoE9EllbEEZZNS1_14partition_implILS5_9ELb0ES3_jPlS8_PNS0_10empty_typeENS0_5tupleIJS8_S9_EEENSB_IJS8_SA_EEENS0_18inequality_wrapperIZN2at6native12_GLOBAL__N_124unique_dim_cuda_templateIdEESt5tupleIJNSF_6TensorESK_SK_EERKSK_lbbbEUlllE0_EEPmJS9_EEE10hipError_tPvRmT3_T4_T5_T6_T7_T9_mT8_P12ihipStream_tbDpT10_ENKUlT_T0_E_clISt17integral_constantIbLb0EES1A_EEDaS15_S16_EUlS15_E_NS1_11comp_targetILNS1_3genE3ELNS1_11target_archE908ELNS1_3gpuE7ELNS1_3repE0EEENS1_30default_config_static_selectorELNS0_4arch9wavefront6targetE0EEEvT1_, .Lfunc_end842-_ZN7rocprim17ROCPRIM_400000_NS6detail17trampoline_kernelINS0_14default_configENS1_25partition_config_selectorILNS1_17partition_subalgoE9EllbEEZZNS1_14partition_implILS5_9ELb0ES3_jPlS8_PNS0_10empty_typeENS0_5tupleIJS8_S9_EEENSB_IJS8_SA_EEENS0_18inequality_wrapperIZN2at6native12_GLOBAL__N_124unique_dim_cuda_templateIdEESt5tupleIJNSF_6TensorESK_SK_EERKSK_lbbbEUlllE0_EEPmJS9_EEE10hipError_tPvRmT3_T4_T5_T6_T7_T9_mT8_P12ihipStream_tbDpT10_ENKUlT_T0_E_clISt17integral_constantIbLb0EES1A_EEDaS15_S16_EUlS15_E_NS1_11comp_targetILNS1_3genE3ELNS1_11target_archE908ELNS1_3gpuE7ELNS1_3repE0EEENS1_30default_config_static_selectorELNS0_4arch9wavefront6targetE0EEEvT1_
                                        ; -- End function
	.set _ZN7rocprim17ROCPRIM_400000_NS6detail17trampoline_kernelINS0_14default_configENS1_25partition_config_selectorILNS1_17partition_subalgoE9EllbEEZZNS1_14partition_implILS5_9ELb0ES3_jPlS8_PNS0_10empty_typeENS0_5tupleIJS8_S9_EEENSB_IJS8_SA_EEENS0_18inequality_wrapperIZN2at6native12_GLOBAL__N_124unique_dim_cuda_templateIdEESt5tupleIJNSF_6TensorESK_SK_EERKSK_lbbbEUlllE0_EEPmJS9_EEE10hipError_tPvRmT3_T4_T5_T6_T7_T9_mT8_P12ihipStream_tbDpT10_ENKUlT_T0_E_clISt17integral_constantIbLb0EES1A_EEDaS15_S16_EUlS15_E_NS1_11comp_targetILNS1_3genE3ELNS1_11target_archE908ELNS1_3gpuE7ELNS1_3repE0EEENS1_30default_config_static_selectorELNS0_4arch9wavefront6targetE0EEEvT1_.num_vgpr, 0
	.set _ZN7rocprim17ROCPRIM_400000_NS6detail17trampoline_kernelINS0_14default_configENS1_25partition_config_selectorILNS1_17partition_subalgoE9EllbEEZZNS1_14partition_implILS5_9ELb0ES3_jPlS8_PNS0_10empty_typeENS0_5tupleIJS8_S9_EEENSB_IJS8_SA_EEENS0_18inequality_wrapperIZN2at6native12_GLOBAL__N_124unique_dim_cuda_templateIdEESt5tupleIJNSF_6TensorESK_SK_EERKSK_lbbbEUlllE0_EEPmJS9_EEE10hipError_tPvRmT3_T4_T5_T6_T7_T9_mT8_P12ihipStream_tbDpT10_ENKUlT_T0_E_clISt17integral_constantIbLb0EES1A_EEDaS15_S16_EUlS15_E_NS1_11comp_targetILNS1_3genE3ELNS1_11target_archE908ELNS1_3gpuE7ELNS1_3repE0EEENS1_30default_config_static_selectorELNS0_4arch9wavefront6targetE0EEEvT1_.num_agpr, 0
	.set _ZN7rocprim17ROCPRIM_400000_NS6detail17trampoline_kernelINS0_14default_configENS1_25partition_config_selectorILNS1_17partition_subalgoE9EllbEEZZNS1_14partition_implILS5_9ELb0ES3_jPlS8_PNS0_10empty_typeENS0_5tupleIJS8_S9_EEENSB_IJS8_SA_EEENS0_18inequality_wrapperIZN2at6native12_GLOBAL__N_124unique_dim_cuda_templateIdEESt5tupleIJNSF_6TensorESK_SK_EERKSK_lbbbEUlllE0_EEPmJS9_EEE10hipError_tPvRmT3_T4_T5_T6_T7_T9_mT8_P12ihipStream_tbDpT10_ENKUlT_T0_E_clISt17integral_constantIbLb0EES1A_EEDaS15_S16_EUlS15_E_NS1_11comp_targetILNS1_3genE3ELNS1_11target_archE908ELNS1_3gpuE7ELNS1_3repE0EEENS1_30default_config_static_selectorELNS0_4arch9wavefront6targetE0EEEvT1_.numbered_sgpr, 0
	.set _ZN7rocprim17ROCPRIM_400000_NS6detail17trampoline_kernelINS0_14default_configENS1_25partition_config_selectorILNS1_17partition_subalgoE9EllbEEZZNS1_14partition_implILS5_9ELb0ES3_jPlS8_PNS0_10empty_typeENS0_5tupleIJS8_S9_EEENSB_IJS8_SA_EEENS0_18inequality_wrapperIZN2at6native12_GLOBAL__N_124unique_dim_cuda_templateIdEESt5tupleIJNSF_6TensorESK_SK_EERKSK_lbbbEUlllE0_EEPmJS9_EEE10hipError_tPvRmT3_T4_T5_T6_T7_T9_mT8_P12ihipStream_tbDpT10_ENKUlT_T0_E_clISt17integral_constantIbLb0EES1A_EEDaS15_S16_EUlS15_E_NS1_11comp_targetILNS1_3genE3ELNS1_11target_archE908ELNS1_3gpuE7ELNS1_3repE0EEENS1_30default_config_static_selectorELNS0_4arch9wavefront6targetE0EEEvT1_.num_named_barrier, 0
	.set _ZN7rocprim17ROCPRIM_400000_NS6detail17trampoline_kernelINS0_14default_configENS1_25partition_config_selectorILNS1_17partition_subalgoE9EllbEEZZNS1_14partition_implILS5_9ELb0ES3_jPlS8_PNS0_10empty_typeENS0_5tupleIJS8_S9_EEENSB_IJS8_SA_EEENS0_18inequality_wrapperIZN2at6native12_GLOBAL__N_124unique_dim_cuda_templateIdEESt5tupleIJNSF_6TensorESK_SK_EERKSK_lbbbEUlllE0_EEPmJS9_EEE10hipError_tPvRmT3_T4_T5_T6_T7_T9_mT8_P12ihipStream_tbDpT10_ENKUlT_T0_E_clISt17integral_constantIbLb0EES1A_EEDaS15_S16_EUlS15_E_NS1_11comp_targetILNS1_3genE3ELNS1_11target_archE908ELNS1_3gpuE7ELNS1_3repE0EEENS1_30default_config_static_selectorELNS0_4arch9wavefront6targetE0EEEvT1_.private_seg_size, 0
	.set _ZN7rocprim17ROCPRIM_400000_NS6detail17trampoline_kernelINS0_14default_configENS1_25partition_config_selectorILNS1_17partition_subalgoE9EllbEEZZNS1_14partition_implILS5_9ELb0ES3_jPlS8_PNS0_10empty_typeENS0_5tupleIJS8_S9_EEENSB_IJS8_SA_EEENS0_18inequality_wrapperIZN2at6native12_GLOBAL__N_124unique_dim_cuda_templateIdEESt5tupleIJNSF_6TensorESK_SK_EERKSK_lbbbEUlllE0_EEPmJS9_EEE10hipError_tPvRmT3_T4_T5_T6_T7_T9_mT8_P12ihipStream_tbDpT10_ENKUlT_T0_E_clISt17integral_constantIbLb0EES1A_EEDaS15_S16_EUlS15_E_NS1_11comp_targetILNS1_3genE3ELNS1_11target_archE908ELNS1_3gpuE7ELNS1_3repE0EEENS1_30default_config_static_selectorELNS0_4arch9wavefront6targetE0EEEvT1_.uses_vcc, 0
	.set _ZN7rocprim17ROCPRIM_400000_NS6detail17trampoline_kernelINS0_14default_configENS1_25partition_config_selectorILNS1_17partition_subalgoE9EllbEEZZNS1_14partition_implILS5_9ELb0ES3_jPlS8_PNS0_10empty_typeENS0_5tupleIJS8_S9_EEENSB_IJS8_SA_EEENS0_18inequality_wrapperIZN2at6native12_GLOBAL__N_124unique_dim_cuda_templateIdEESt5tupleIJNSF_6TensorESK_SK_EERKSK_lbbbEUlllE0_EEPmJS9_EEE10hipError_tPvRmT3_T4_T5_T6_T7_T9_mT8_P12ihipStream_tbDpT10_ENKUlT_T0_E_clISt17integral_constantIbLb0EES1A_EEDaS15_S16_EUlS15_E_NS1_11comp_targetILNS1_3genE3ELNS1_11target_archE908ELNS1_3gpuE7ELNS1_3repE0EEENS1_30default_config_static_selectorELNS0_4arch9wavefront6targetE0EEEvT1_.uses_flat_scratch, 0
	.set _ZN7rocprim17ROCPRIM_400000_NS6detail17trampoline_kernelINS0_14default_configENS1_25partition_config_selectorILNS1_17partition_subalgoE9EllbEEZZNS1_14partition_implILS5_9ELb0ES3_jPlS8_PNS0_10empty_typeENS0_5tupleIJS8_S9_EEENSB_IJS8_SA_EEENS0_18inequality_wrapperIZN2at6native12_GLOBAL__N_124unique_dim_cuda_templateIdEESt5tupleIJNSF_6TensorESK_SK_EERKSK_lbbbEUlllE0_EEPmJS9_EEE10hipError_tPvRmT3_T4_T5_T6_T7_T9_mT8_P12ihipStream_tbDpT10_ENKUlT_T0_E_clISt17integral_constantIbLb0EES1A_EEDaS15_S16_EUlS15_E_NS1_11comp_targetILNS1_3genE3ELNS1_11target_archE908ELNS1_3gpuE7ELNS1_3repE0EEENS1_30default_config_static_selectorELNS0_4arch9wavefront6targetE0EEEvT1_.has_dyn_sized_stack, 0
	.set _ZN7rocprim17ROCPRIM_400000_NS6detail17trampoline_kernelINS0_14default_configENS1_25partition_config_selectorILNS1_17partition_subalgoE9EllbEEZZNS1_14partition_implILS5_9ELb0ES3_jPlS8_PNS0_10empty_typeENS0_5tupleIJS8_S9_EEENSB_IJS8_SA_EEENS0_18inequality_wrapperIZN2at6native12_GLOBAL__N_124unique_dim_cuda_templateIdEESt5tupleIJNSF_6TensorESK_SK_EERKSK_lbbbEUlllE0_EEPmJS9_EEE10hipError_tPvRmT3_T4_T5_T6_T7_T9_mT8_P12ihipStream_tbDpT10_ENKUlT_T0_E_clISt17integral_constantIbLb0EES1A_EEDaS15_S16_EUlS15_E_NS1_11comp_targetILNS1_3genE3ELNS1_11target_archE908ELNS1_3gpuE7ELNS1_3repE0EEENS1_30default_config_static_selectorELNS0_4arch9wavefront6targetE0EEEvT1_.has_recursion, 0
	.set _ZN7rocprim17ROCPRIM_400000_NS6detail17trampoline_kernelINS0_14default_configENS1_25partition_config_selectorILNS1_17partition_subalgoE9EllbEEZZNS1_14partition_implILS5_9ELb0ES3_jPlS8_PNS0_10empty_typeENS0_5tupleIJS8_S9_EEENSB_IJS8_SA_EEENS0_18inequality_wrapperIZN2at6native12_GLOBAL__N_124unique_dim_cuda_templateIdEESt5tupleIJNSF_6TensorESK_SK_EERKSK_lbbbEUlllE0_EEPmJS9_EEE10hipError_tPvRmT3_T4_T5_T6_T7_T9_mT8_P12ihipStream_tbDpT10_ENKUlT_T0_E_clISt17integral_constantIbLb0EES1A_EEDaS15_S16_EUlS15_E_NS1_11comp_targetILNS1_3genE3ELNS1_11target_archE908ELNS1_3gpuE7ELNS1_3repE0EEENS1_30default_config_static_selectorELNS0_4arch9wavefront6targetE0EEEvT1_.has_indirect_call, 0
	.section	.AMDGPU.csdata,"",@progbits
; Kernel info:
; codeLenInByte = 0
; TotalNumSgprs: 0
; NumVgprs: 0
; ScratchSize: 0
; MemoryBound: 0
; FloatMode: 240
; IeeeMode: 1
; LDSByteSize: 0 bytes/workgroup (compile time only)
; SGPRBlocks: 0
; VGPRBlocks: 0
; NumSGPRsForWavesPerEU: 1
; NumVGPRsForWavesPerEU: 1
; NamedBarCnt: 0
; Occupancy: 16
; WaveLimiterHint : 0
; COMPUTE_PGM_RSRC2:SCRATCH_EN: 0
; COMPUTE_PGM_RSRC2:USER_SGPR: 2
; COMPUTE_PGM_RSRC2:TRAP_HANDLER: 0
; COMPUTE_PGM_RSRC2:TGID_X_EN: 1
; COMPUTE_PGM_RSRC2:TGID_Y_EN: 0
; COMPUTE_PGM_RSRC2:TGID_Z_EN: 0
; COMPUTE_PGM_RSRC2:TIDIG_COMP_CNT: 0
	.section	.text._ZN7rocprim17ROCPRIM_400000_NS6detail17trampoline_kernelINS0_14default_configENS1_25partition_config_selectorILNS1_17partition_subalgoE9EllbEEZZNS1_14partition_implILS5_9ELb0ES3_jPlS8_PNS0_10empty_typeENS0_5tupleIJS8_S9_EEENSB_IJS8_SA_EEENS0_18inequality_wrapperIZN2at6native12_GLOBAL__N_124unique_dim_cuda_templateIdEESt5tupleIJNSF_6TensorESK_SK_EERKSK_lbbbEUlllE0_EEPmJS9_EEE10hipError_tPvRmT3_T4_T5_T6_T7_T9_mT8_P12ihipStream_tbDpT10_ENKUlT_T0_E_clISt17integral_constantIbLb0EES1A_EEDaS15_S16_EUlS15_E_NS1_11comp_targetILNS1_3genE2ELNS1_11target_archE906ELNS1_3gpuE6ELNS1_3repE0EEENS1_30default_config_static_selectorELNS0_4arch9wavefront6targetE0EEEvT1_,"axG",@progbits,_ZN7rocprim17ROCPRIM_400000_NS6detail17trampoline_kernelINS0_14default_configENS1_25partition_config_selectorILNS1_17partition_subalgoE9EllbEEZZNS1_14partition_implILS5_9ELb0ES3_jPlS8_PNS0_10empty_typeENS0_5tupleIJS8_S9_EEENSB_IJS8_SA_EEENS0_18inequality_wrapperIZN2at6native12_GLOBAL__N_124unique_dim_cuda_templateIdEESt5tupleIJNSF_6TensorESK_SK_EERKSK_lbbbEUlllE0_EEPmJS9_EEE10hipError_tPvRmT3_T4_T5_T6_T7_T9_mT8_P12ihipStream_tbDpT10_ENKUlT_T0_E_clISt17integral_constantIbLb0EES1A_EEDaS15_S16_EUlS15_E_NS1_11comp_targetILNS1_3genE2ELNS1_11target_archE906ELNS1_3gpuE6ELNS1_3repE0EEENS1_30default_config_static_selectorELNS0_4arch9wavefront6targetE0EEEvT1_,comdat
	.globl	_ZN7rocprim17ROCPRIM_400000_NS6detail17trampoline_kernelINS0_14default_configENS1_25partition_config_selectorILNS1_17partition_subalgoE9EllbEEZZNS1_14partition_implILS5_9ELb0ES3_jPlS8_PNS0_10empty_typeENS0_5tupleIJS8_S9_EEENSB_IJS8_SA_EEENS0_18inequality_wrapperIZN2at6native12_GLOBAL__N_124unique_dim_cuda_templateIdEESt5tupleIJNSF_6TensorESK_SK_EERKSK_lbbbEUlllE0_EEPmJS9_EEE10hipError_tPvRmT3_T4_T5_T6_T7_T9_mT8_P12ihipStream_tbDpT10_ENKUlT_T0_E_clISt17integral_constantIbLb0EES1A_EEDaS15_S16_EUlS15_E_NS1_11comp_targetILNS1_3genE2ELNS1_11target_archE906ELNS1_3gpuE6ELNS1_3repE0EEENS1_30default_config_static_selectorELNS0_4arch9wavefront6targetE0EEEvT1_ ; -- Begin function _ZN7rocprim17ROCPRIM_400000_NS6detail17trampoline_kernelINS0_14default_configENS1_25partition_config_selectorILNS1_17partition_subalgoE9EllbEEZZNS1_14partition_implILS5_9ELb0ES3_jPlS8_PNS0_10empty_typeENS0_5tupleIJS8_S9_EEENSB_IJS8_SA_EEENS0_18inequality_wrapperIZN2at6native12_GLOBAL__N_124unique_dim_cuda_templateIdEESt5tupleIJNSF_6TensorESK_SK_EERKSK_lbbbEUlllE0_EEPmJS9_EEE10hipError_tPvRmT3_T4_T5_T6_T7_T9_mT8_P12ihipStream_tbDpT10_ENKUlT_T0_E_clISt17integral_constantIbLb0EES1A_EEDaS15_S16_EUlS15_E_NS1_11comp_targetILNS1_3genE2ELNS1_11target_archE906ELNS1_3gpuE6ELNS1_3repE0EEENS1_30default_config_static_selectorELNS0_4arch9wavefront6targetE0EEEvT1_
	.p2align	8
	.type	_ZN7rocprim17ROCPRIM_400000_NS6detail17trampoline_kernelINS0_14default_configENS1_25partition_config_selectorILNS1_17partition_subalgoE9EllbEEZZNS1_14partition_implILS5_9ELb0ES3_jPlS8_PNS0_10empty_typeENS0_5tupleIJS8_S9_EEENSB_IJS8_SA_EEENS0_18inequality_wrapperIZN2at6native12_GLOBAL__N_124unique_dim_cuda_templateIdEESt5tupleIJNSF_6TensorESK_SK_EERKSK_lbbbEUlllE0_EEPmJS9_EEE10hipError_tPvRmT3_T4_T5_T6_T7_T9_mT8_P12ihipStream_tbDpT10_ENKUlT_T0_E_clISt17integral_constantIbLb0EES1A_EEDaS15_S16_EUlS15_E_NS1_11comp_targetILNS1_3genE2ELNS1_11target_archE906ELNS1_3gpuE6ELNS1_3repE0EEENS1_30default_config_static_selectorELNS0_4arch9wavefront6targetE0EEEvT1_,@function
_ZN7rocprim17ROCPRIM_400000_NS6detail17trampoline_kernelINS0_14default_configENS1_25partition_config_selectorILNS1_17partition_subalgoE9EllbEEZZNS1_14partition_implILS5_9ELb0ES3_jPlS8_PNS0_10empty_typeENS0_5tupleIJS8_S9_EEENSB_IJS8_SA_EEENS0_18inequality_wrapperIZN2at6native12_GLOBAL__N_124unique_dim_cuda_templateIdEESt5tupleIJNSF_6TensorESK_SK_EERKSK_lbbbEUlllE0_EEPmJS9_EEE10hipError_tPvRmT3_T4_T5_T6_T7_T9_mT8_P12ihipStream_tbDpT10_ENKUlT_T0_E_clISt17integral_constantIbLb0EES1A_EEDaS15_S16_EUlS15_E_NS1_11comp_targetILNS1_3genE2ELNS1_11target_archE906ELNS1_3gpuE6ELNS1_3repE0EEENS1_30default_config_static_selectorELNS0_4arch9wavefront6targetE0EEEvT1_: ; @_ZN7rocprim17ROCPRIM_400000_NS6detail17trampoline_kernelINS0_14default_configENS1_25partition_config_selectorILNS1_17partition_subalgoE9EllbEEZZNS1_14partition_implILS5_9ELb0ES3_jPlS8_PNS0_10empty_typeENS0_5tupleIJS8_S9_EEENSB_IJS8_SA_EEENS0_18inequality_wrapperIZN2at6native12_GLOBAL__N_124unique_dim_cuda_templateIdEESt5tupleIJNSF_6TensorESK_SK_EERKSK_lbbbEUlllE0_EEPmJS9_EEE10hipError_tPvRmT3_T4_T5_T6_T7_T9_mT8_P12ihipStream_tbDpT10_ENKUlT_T0_E_clISt17integral_constantIbLb0EES1A_EEDaS15_S16_EUlS15_E_NS1_11comp_targetILNS1_3genE2ELNS1_11target_archE906ELNS1_3gpuE6ELNS1_3repE0EEENS1_30default_config_static_selectorELNS0_4arch9wavefront6targetE0EEEvT1_
; %bb.0:
	.section	.rodata,"a",@progbits
	.p2align	6, 0x0
	.amdhsa_kernel _ZN7rocprim17ROCPRIM_400000_NS6detail17trampoline_kernelINS0_14default_configENS1_25partition_config_selectorILNS1_17partition_subalgoE9EllbEEZZNS1_14partition_implILS5_9ELb0ES3_jPlS8_PNS0_10empty_typeENS0_5tupleIJS8_S9_EEENSB_IJS8_SA_EEENS0_18inequality_wrapperIZN2at6native12_GLOBAL__N_124unique_dim_cuda_templateIdEESt5tupleIJNSF_6TensorESK_SK_EERKSK_lbbbEUlllE0_EEPmJS9_EEE10hipError_tPvRmT3_T4_T5_T6_T7_T9_mT8_P12ihipStream_tbDpT10_ENKUlT_T0_E_clISt17integral_constantIbLb0EES1A_EEDaS15_S16_EUlS15_E_NS1_11comp_targetILNS1_3genE2ELNS1_11target_archE906ELNS1_3gpuE6ELNS1_3repE0EEENS1_30default_config_static_selectorELNS0_4arch9wavefront6targetE0EEEvT1_
		.amdhsa_group_segment_fixed_size 0
		.amdhsa_private_segment_fixed_size 0
		.amdhsa_kernarg_size 120
		.amdhsa_user_sgpr_count 2
		.amdhsa_user_sgpr_dispatch_ptr 0
		.amdhsa_user_sgpr_queue_ptr 0
		.amdhsa_user_sgpr_kernarg_segment_ptr 1
		.amdhsa_user_sgpr_dispatch_id 0
		.amdhsa_user_sgpr_kernarg_preload_length 0
		.amdhsa_user_sgpr_kernarg_preload_offset 0
		.amdhsa_user_sgpr_private_segment_size 0
		.amdhsa_wavefront_size32 1
		.amdhsa_uses_dynamic_stack 0
		.amdhsa_enable_private_segment 0
		.amdhsa_system_sgpr_workgroup_id_x 1
		.amdhsa_system_sgpr_workgroup_id_y 0
		.amdhsa_system_sgpr_workgroup_id_z 0
		.amdhsa_system_sgpr_workgroup_info 0
		.amdhsa_system_vgpr_workitem_id 0
		.amdhsa_next_free_vgpr 1
		.amdhsa_next_free_sgpr 1
		.amdhsa_named_barrier_count 0
		.amdhsa_reserve_vcc 0
		.amdhsa_float_round_mode_32 0
		.amdhsa_float_round_mode_16_64 0
		.amdhsa_float_denorm_mode_32 3
		.amdhsa_float_denorm_mode_16_64 3
		.amdhsa_fp16_overflow 0
		.amdhsa_memory_ordered 1
		.amdhsa_forward_progress 1
		.amdhsa_inst_pref_size 0
		.amdhsa_round_robin_scheduling 0
		.amdhsa_exception_fp_ieee_invalid_op 0
		.amdhsa_exception_fp_denorm_src 0
		.amdhsa_exception_fp_ieee_div_zero 0
		.amdhsa_exception_fp_ieee_overflow 0
		.amdhsa_exception_fp_ieee_underflow 0
		.amdhsa_exception_fp_ieee_inexact 0
		.amdhsa_exception_int_div_zero 0
	.end_amdhsa_kernel
	.section	.text._ZN7rocprim17ROCPRIM_400000_NS6detail17trampoline_kernelINS0_14default_configENS1_25partition_config_selectorILNS1_17partition_subalgoE9EllbEEZZNS1_14partition_implILS5_9ELb0ES3_jPlS8_PNS0_10empty_typeENS0_5tupleIJS8_S9_EEENSB_IJS8_SA_EEENS0_18inequality_wrapperIZN2at6native12_GLOBAL__N_124unique_dim_cuda_templateIdEESt5tupleIJNSF_6TensorESK_SK_EERKSK_lbbbEUlllE0_EEPmJS9_EEE10hipError_tPvRmT3_T4_T5_T6_T7_T9_mT8_P12ihipStream_tbDpT10_ENKUlT_T0_E_clISt17integral_constantIbLb0EES1A_EEDaS15_S16_EUlS15_E_NS1_11comp_targetILNS1_3genE2ELNS1_11target_archE906ELNS1_3gpuE6ELNS1_3repE0EEENS1_30default_config_static_selectorELNS0_4arch9wavefront6targetE0EEEvT1_,"axG",@progbits,_ZN7rocprim17ROCPRIM_400000_NS6detail17trampoline_kernelINS0_14default_configENS1_25partition_config_selectorILNS1_17partition_subalgoE9EllbEEZZNS1_14partition_implILS5_9ELb0ES3_jPlS8_PNS0_10empty_typeENS0_5tupleIJS8_S9_EEENSB_IJS8_SA_EEENS0_18inequality_wrapperIZN2at6native12_GLOBAL__N_124unique_dim_cuda_templateIdEESt5tupleIJNSF_6TensorESK_SK_EERKSK_lbbbEUlllE0_EEPmJS9_EEE10hipError_tPvRmT3_T4_T5_T6_T7_T9_mT8_P12ihipStream_tbDpT10_ENKUlT_T0_E_clISt17integral_constantIbLb0EES1A_EEDaS15_S16_EUlS15_E_NS1_11comp_targetILNS1_3genE2ELNS1_11target_archE906ELNS1_3gpuE6ELNS1_3repE0EEENS1_30default_config_static_selectorELNS0_4arch9wavefront6targetE0EEEvT1_,comdat
.Lfunc_end843:
	.size	_ZN7rocprim17ROCPRIM_400000_NS6detail17trampoline_kernelINS0_14default_configENS1_25partition_config_selectorILNS1_17partition_subalgoE9EllbEEZZNS1_14partition_implILS5_9ELb0ES3_jPlS8_PNS0_10empty_typeENS0_5tupleIJS8_S9_EEENSB_IJS8_SA_EEENS0_18inequality_wrapperIZN2at6native12_GLOBAL__N_124unique_dim_cuda_templateIdEESt5tupleIJNSF_6TensorESK_SK_EERKSK_lbbbEUlllE0_EEPmJS9_EEE10hipError_tPvRmT3_T4_T5_T6_T7_T9_mT8_P12ihipStream_tbDpT10_ENKUlT_T0_E_clISt17integral_constantIbLb0EES1A_EEDaS15_S16_EUlS15_E_NS1_11comp_targetILNS1_3genE2ELNS1_11target_archE906ELNS1_3gpuE6ELNS1_3repE0EEENS1_30default_config_static_selectorELNS0_4arch9wavefront6targetE0EEEvT1_, .Lfunc_end843-_ZN7rocprim17ROCPRIM_400000_NS6detail17trampoline_kernelINS0_14default_configENS1_25partition_config_selectorILNS1_17partition_subalgoE9EllbEEZZNS1_14partition_implILS5_9ELb0ES3_jPlS8_PNS0_10empty_typeENS0_5tupleIJS8_S9_EEENSB_IJS8_SA_EEENS0_18inequality_wrapperIZN2at6native12_GLOBAL__N_124unique_dim_cuda_templateIdEESt5tupleIJNSF_6TensorESK_SK_EERKSK_lbbbEUlllE0_EEPmJS9_EEE10hipError_tPvRmT3_T4_T5_T6_T7_T9_mT8_P12ihipStream_tbDpT10_ENKUlT_T0_E_clISt17integral_constantIbLb0EES1A_EEDaS15_S16_EUlS15_E_NS1_11comp_targetILNS1_3genE2ELNS1_11target_archE906ELNS1_3gpuE6ELNS1_3repE0EEENS1_30default_config_static_selectorELNS0_4arch9wavefront6targetE0EEEvT1_
                                        ; -- End function
	.set _ZN7rocprim17ROCPRIM_400000_NS6detail17trampoline_kernelINS0_14default_configENS1_25partition_config_selectorILNS1_17partition_subalgoE9EllbEEZZNS1_14partition_implILS5_9ELb0ES3_jPlS8_PNS0_10empty_typeENS0_5tupleIJS8_S9_EEENSB_IJS8_SA_EEENS0_18inequality_wrapperIZN2at6native12_GLOBAL__N_124unique_dim_cuda_templateIdEESt5tupleIJNSF_6TensorESK_SK_EERKSK_lbbbEUlllE0_EEPmJS9_EEE10hipError_tPvRmT3_T4_T5_T6_T7_T9_mT8_P12ihipStream_tbDpT10_ENKUlT_T0_E_clISt17integral_constantIbLb0EES1A_EEDaS15_S16_EUlS15_E_NS1_11comp_targetILNS1_3genE2ELNS1_11target_archE906ELNS1_3gpuE6ELNS1_3repE0EEENS1_30default_config_static_selectorELNS0_4arch9wavefront6targetE0EEEvT1_.num_vgpr, 0
	.set _ZN7rocprim17ROCPRIM_400000_NS6detail17trampoline_kernelINS0_14default_configENS1_25partition_config_selectorILNS1_17partition_subalgoE9EllbEEZZNS1_14partition_implILS5_9ELb0ES3_jPlS8_PNS0_10empty_typeENS0_5tupleIJS8_S9_EEENSB_IJS8_SA_EEENS0_18inequality_wrapperIZN2at6native12_GLOBAL__N_124unique_dim_cuda_templateIdEESt5tupleIJNSF_6TensorESK_SK_EERKSK_lbbbEUlllE0_EEPmJS9_EEE10hipError_tPvRmT3_T4_T5_T6_T7_T9_mT8_P12ihipStream_tbDpT10_ENKUlT_T0_E_clISt17integral_constantIbLb0EES1A_EEDaS15_S16_EUlS15_E_NS1_11comp_targetILNS1_3genE2ELNS1_11target_archE906ELNS1_3gpuE6ELNS1_3repE0EEENS1_30default_config_static_selectorELNS0_4arch9wavefront6targetE0EEEvT1_.num_agpr, 0
	.set _ZN7rocprim17ROCPRIM_400000_NS6detail17trampoline_kernelINS0_14default_configENS1_25partition_config_selectorILNS1_17partition_subalgoE9EllbEEZZNS1_14partition_implILS5_9ELb0ES3_jPlS8_PNS0_10empty_typeENS0_5tupleIJS8_S9_EEENSB_IJS8_SA_EEENS0_18inequality_wrapperIZN2at6native12_GLOBAL__N_124unique_dim_cuda_templateIdEESt5tupleIJNSF_6TensorESK_SK_EERKSK_lbbbEUlllE0_EEPmJS9_EEE10hipError_tPvRmT3_T4_T5_T6_T7_T9_mT8_P12ihipStream_tbDpT10_ENKUlT_T0_E_clISt17integral_constantIbLb0EES1A_EEDaS15_S16_EUlS15_E_NS1_11comp_targetILNS1_3genE2ELNS1_11target_archE906ELNS1_3gpuE6ELNS1_3repE0EEENS1_30default_config_static_selectorELNS0_4arch9wavefront6targetE0EEEvT1_.numbered_sgpr, 0
	.set _ZN7rocprim17ROCPRIM_400000_NS6detail17trampoline_kernelINS0_14default_configENS1_25partition_config_selectorILNS1_17partition_subalgoE9EllbEEZZNS1_14partition_implILS5_9ELb0ES3_jPlS8_PNS0_10empty_typeENS0_5tupleIJS8_S9_EEENSB_IJS8_SA_EEENS0_18inequality_wrapperIZN2at6native12_GLOBAL__N_124unique_dim_cuda_templateIdEESt5tupleIJNSF_6TensorESK_SK_EERKSK_lbbbEUlllE0_EEPmJS9_EEE10hipError_tPvRmT3_T4_T5_T6_T7_T9_mT8_P12ihipStream_tbDpT10_ENKUlT_T0_E_clISt17integral_constantIbLb0EES1A_EEDaS15_S16_EUlS15_E_NS1_11comp_targetILNS1_3genE2ELNS1_11target_archE906ELNS1_3gpuE6ELNS1_3repE0EEENS1_30default_config_static_selectorELNS0_4arch9wavefront6targetE0EEEvT1_.num_named_barrier, 0
	.set _ZN7rocprim17ROCPRIM_400000_NS6detail17trampoline_kernelINS0_14default_configENS1_25partition_config_selectorILNS1_17partition_subalgoE9EllbEEZZNS1_14partition_implILS5_9ELb0ES3_jPlS8_PNS0_10empty_typeENS0_5tupleIJS8_S9_EEENSB_IJS8_SA_EEENS0_18inequality_wrapperIZN2at6native12_GLOBAL__N_124unique_dim_cuda_templateIdEESt5tupleIJNSF_6TensorESK_SK_EERKSK_lbbbEUlllE0_EEPmJS9_EEE10hipError_tPvRmT3_T4_T5_T6_T7_T9_mT8_P12ihipStream_tbDpT10_ENKUlT_T0_E_clISt17integral_constantIbLb0EES1A_EEDaS15_S16_EUlS15_E_NS1_11comp_targetILNS1_3genE2ELNS1_11target_archE906ELNS1_3gpuE6ELNS1_3repE0EEENS1_30default_config_static_selectorELNS0_4arch9wavefront6targetE0EEEvT1_.private_seg_size, 0
	.set _ZN7rocprim17ROCPRIM_400000_NS6detail17trampoline_kernelINS0_14default_configENS1_25partition_config_selectorILNS1_17partition_subalgoE9EllbEEZZNS1_14partition_implILS5_9ELb0ES3_jPlS8_PNS0_10empty_typeENS0_5tupleIJS8_S9_EEENSB_IJS8_SA_EEENS0_18inequality_wrapperIZN2at6native12_GLOBAL__N_124unique_dim_cuda_templateIdEESt5tupleIJNSF_6TensorESK_SK_EERKSK_lbbbEUlllE0_EEPmJS9_EEE10hipError_tPvRmT3_T4_T5_T6_T7_T9_mT8_P12ihipStream_tbDpT10_ENKUlT_T0_E_clISt17integral_constantIbLb0EES1A_EEDaS15_S16_EUlS15_E_NS1_11comp_targetILNS1_3genE2ELNS1_11target_archE906ELNS1_3gpuE6ELNS1_3repE0EEENS1_30default_config_static_selectorELNS0_4arch9wavefront6targetE0EEEvT1_.uses_vcc, 0
	.set _ZN7rocprim17ROCPRIM_400000_NS6detail17trampoline_kernelINS0_14default_configENS1_25partition_config_selectorILNS1_17partition_subalgoE9EllbEEZZNS1_14partition_implILS5_9ELb0ES3_jPlS8_PNS0_10empty_typeENS0_5tupleIJS8_S9_EEENSB_IJS8_SA_EEENS0_18inequality_wrapperIZN2at6native12_GLOBAL__N_124unique_dim_cuda_templateIdEESt5tupleIJNSF_6TensorESK_SK_EERKSK_lbbbEUlllE0_EEPmJS9_EEE10hipError_tPvRmT3_T4_T5_T6_T7_T9_mT8_P12ihipStream_tbDpT10_ENKUlT_T0_E_clISt17integral_constantIbLb0EES1A_EEDaS15_S16_EUlS15_E_NS1_11comp_targetILNS1_3genE2ELNS1_11target_archE906ELNS1_3gpuE6ELNS1_3repE0EEENS1_30default_config_static_selectorELNS0_4arch9wavefront6targetE0EEEvT1_.uses_flat_scratch, 0
	.set _ZN7rocprim17ROCPRIM_400000_NS6detail17trampoline_kernelINS0_14default_configENS1_25partition_config_selectorILNS1_17partition_subalgoE9EllbEEZZNS1_14partition_implILS5_9ELb0ES3_jPlS8_PNS0_10empty_typeENS0_5tupleIJS8_S9_EEENSB_IJS8_SA_EEENS0_18inequality_wrapperIZN2at6native12_GLOBAL__N_124unique_dim_cuda_templateIdEESt5tupleIJNSF_6TensorESK_SK_EERKSK_lbbbEUlllE0_EEPmJS9_EEE10hipError_tPvRmT3_T4_T5_T6_T7_T9_mT8_P12ihipStream_tbDpT10_ENKUlT_T0_E_clISt17integral_constantIbLb0EES1A_EEDaS15_S16_EUlS15_E_NS1_11comp_targetILNS1_3genE2ELNS1_11target_archE906ELNS1_3gpuE6ELNS1_3repE0EEENS1_30default_config_static_selectorELNS0_4arch9wavefront6targetE0EEEvT1_.has_dyn_sized_stack, 0
	.set _ZN7rocprim17ROCPRIM_400000_NS6detail17trampoline_kernelINS0_14default_configENS1_25partition_config_selectorILNS1_17partition_subalgoE9EllbEEZZNS1_14partition_implILS5_9ELb0ES3_jPlS8_PNS0_10empty_typeENS0_5tupleIJS8_S9_EEENSB_IJS8_SA_EEENS0_18inequality_wrapperIZN2at6native12_GLOBAL__N_124unique_dim_cuda_templateIdEESt5tupleIJNSF_6TensorESK_SK_EERKSK_lbbbEUlllE0_EEPmJS9_EEE10hipError_tPvRmT3_T4_T5_T6_T7_T9_mT8_P12ihipStream_tbDpT10_ENKUlT_T0_E_clISt17integral_constantIbLb0EES1A_EEDaS15_S16_EUlS15_E_NS1_11comp_targetILNS1_3genE2ELNS1_11target_archE906ELNS1_3gpuE6ELNS1_3repE0EEENS1_30default_config_static_selectorELNS0_4arch9wavefront6targetE0EEEvT1_.has_recursion, 0
	.set _ZN7rocprim17ROCPRIM_400000_NS6detail17trampoline_kernelINS0_14default_configENS1_25partition_config_selectorILNS1_17partition_subalgoE9EllbEEZZNS1_14partition_implILS5_9ELb0ES3_jPlS8_PNS0_10empty_typeENS0_5tupleIJS8_S9_EEENSB_IJS8_SA_EEENS0_18inequality_wrapperIZN2at6native12_GLOBAL__N_124unique_dim_cuda_templateIdEESt5tupleIJNSF_6TensorESK_SK_EERKSK_lbbbEUlllE0_EEPmJS9_EEE10hipError_tPvRmT3_T4_T5_T6_T7_T9_mT8_P12ihipStream_tbDpT10_ENKUlT_T0_E_clISt17integral_constantIbLb0EES1A_EEDaS15_S16_EUlS15_E_NS1_11comp_targetILNS1_3genE2ELNS1_11target_archE906ELNS1_3gpuE6ELNS1_3repE0EEENS1_30default_config_static_selectorELNS0_4arch9wavefront6targetE0EEEvT1_.has_indirect_call, 0
	.section	.AMDGPU.csdata,"",@progbits
; Kernel info:
; codeLenInByte = 0
; TotalNumSgprs: 0
; NumVgprs: 0
; ScratchSize: 0
; MemoryBound: 0
; FloatMode: 240
; IeeeMode: 1
; LDSByteSize: 0 bytes/workgroup (compile time only)
; SGPRBlocks: 0
; VGPRBlocks: 0
; NumSGPRsForWavesPerEU: 1
; NumVGPRsForWavesPerEU: 1
; NamedBarCnt: 0
; Occupancy: 16
; WaveLimiterHint : 0
; COMPUTE_PGM_RSRC2:SCRATCH_EN: 0
; COMPUTE_PGM_RSRC2:USER_SGPR: 2
; COMPUTE_PGM_RSRC2:TRAP_HANDLER: 0
; COMPUTE_PGM_RSRC2:TGID_X_EN: 1
; COMPUTE_PGM_RSRC2:TGID_Y_EN: 0
; COMPUTE_PGM_RSRC2:TGID_Z_EN: 0
; COMPUTE_PGM_RSRC2:TIDIG_COMP_CNT: 0
	.section	.text._ZN7rocprim17ROCPRIM_400000_NS6detail17trampoline_kernelINS0_14default_configENS1_25partition_config_selectorILNS1_17partition_subalgoE9EllbEEZZNS1_14partition_implILS5_9ELb0ES3_jPlS8_PNS0_10empty_typeENS0_5tupleIJS8_S9_EEENSB_IJS8_SA_EEENS0_18inequality_wrapperIZN2at6native12_GLOBAL__N_124unique_dim_cuda_templateIdEESt5tupleIJNSF_6TensorESK_SK_EERKSK_lbbbEUlllE0_EEPmJS9_EEE10hipError_tPvRmT3_T4_T5_T6_T7_T9_mT8_P12ihipStream_tbDpT10_ENKUlT_T0_E_clISt17integral_constantIbLb0EES1A_EEDaS15_S16_EUlS15_E_NS1_11comp_targetILNS1_3genE10ELNS1_11target_archE1200ELNS1_3gpuE4ELNS1_3repE0EEENS1_30default_config_static_selectorELNS0_4arch9wavefront6targetE0EEEvT1_,"axG",@progbits,_ZN7rocprim17ROCPRIM_400000_NS6detail17trampoline_kernelINS0_14default_configENS1_25partition_config_selectorILNS1_17partition_subalgoE9EllbEEZZNS1_14partition_implILS5_9ELb0ES3_jPlS8_PNS0_10empty_typeENS0_5tupleIJS8_S9_EEENSB_IJS8_SA_EEENS0_18inequality_wrapperIZN2at6native12_GLOBAL__N_124unique_dim_cuda_templateIdEESt5tupleIJNSF_6TensorESK_SK_EERKSK_lbbbEUlllE0_EEPmJS9_EEE10hipError_tPvRmT3_T4_T5_T6_T7_T9_mT8_P12ihipStream_tbDpT10_ENKUlT_T0_E_clISt17integral_constantIbLb0EES1A_EEDaS15_S16_EUlS15_E_NS1_11comp_targetILNS1_3genE10ELNS1_11target_archE1200ELNS1_3gpuE4ELNS1_3repE0EEENS1_30default_config_static_selectorELNS0_4arch9wavefront6targetE0EEEvT1_,comdat
	.globl	_ZN7rocprim17ROCPRIM_400000_NS6detail17trampoline_kernelINS0_14default_configENS1_25partition_config_selectorILNS1_17partition_subalgoE9EllbEEZZNS1_14partition_implILS5_9ELb0ES3_jPlS8_PNS0_10empty_typeENS0_5tupleIJS8_S9_EEENSB_IJS8_SA_EEENS0_18inequality_wrapperIZN2at6native12_GLOBAL__N_124unique_dim_cuda_templateIdEESt5tupleIJNSF_6TensorESK_SK_EERKSK_lbbbEUlllE0_EEPmJS9_EEE10hipError_tPvRmT3_T4_T5_T6_T7_T9_mT8_P12ihipStream_tbDpT10_ENKUlT_T0_E_clISt17integral_constantIbLb0EES1A_EEDaS15_S16_EUlS15_E_NS1_11comp_targetILNS1_3genE10ELNS1_11target_archE1200ELNS1_3gpuE4ELNS1_3repE0EEENS1_30default_config_static_selectorELNS0_4arch9wavefront6targetE0EEEvT1_ ; -- Begin function _ZN7rocprim17ROCPRIM_400000_NS6detail17trampoline_kernelINS0_14default_configENS1_25partition_config_selectorILNS1_17partition_subalgoE9EllbEEZZNS1_14partition_implILS5_9ELb0ES3_jPlS8_PNS0_10empty_typeENS0_5tupleIJS8_S9_EEENSB_IJS8_SA_EEENS0_18inequality_wrapperIZN2at6native12_GLOBAL__N_124unique_dim_cuda_templateIdEESt5tupleIJNSF_6TensorESK_SK_EERKSK_lbbbEUlllE0_EEPmJS9_EEE10hipError_tPvRmT3_T4_T5_T6_T7_T9_mT8_P12ihipStream_tbDpT10_ENKUlT_T0_E_clISt17integral_constantIbLb0EES1A_EEDaS15_S16_EUlS15_E_NS1_11comp_targetILNS1_3genE10ELNS1_11target_archE1200ELNS1_3gpuE4ELNS1_3repE0EEENS1_30default_config_static_selectorELNS0_4arch9wavefront6targetE0EEEvT1_
	.p2align	8
	.type	_ZN7rocprim17ROCPRIM_400000_NS6detail17trampoline_kernelINS0_14default_configENS1_25partition_config_selectorILNS1_17partition_subalgoE9EllbEEZZNS1_14partition_implILS5_9ELb0ES3_jPlS8_PNS0_10empty_typeENS0_5tupleIJS8_S9_EEENSB_IJS8_SA_EEENS0_18inequality_wrapperIZN2at6native12_GLOBAL__N_124unique_dim_cuda_templateIdEESt5tupleIJNSF_6TensorESK_SK_EERKSK_lbbbEUlllE0_EEPmJS9_EEE10hipError_tPvRmT3_T4_T5_T6_T7_T9_mT8_P12ihipStream_tbDpT10_ENKUlT_T0_E_clISt17integral_constantIbLb0EES1A_EEDaS15_S16_EUlS15_E_NS1_11comp_targetILNS1_3genE10ELNS1_11target_archE1200ELNS1_3gpuE4ELNS1_3repE0EEENS1_30default_config_static_selectorELNS0_4arch9wavefront6targetE0EEEvT1_,@function
_ZN7rocprim17ROCPRIM_400000_NS6detail17trampoline_kernelINS0_14default_configENS1_25partition_config_selectorILNS1_17partition_subalgoE9EllbEEZZNS1_14partition_implILS5_9ELb0ES3_jPlS8_PNS0_10empty_typeENS0_5tupleIJS8_S9_EEENSB_IJS8_SA_EEENS0_18inequality_wrapperIZN2at6native12_GLOBAL__N_124unique_dim_cuda_templateIdEESt5tupleIJNSF_6TensorESK_SK_EERKSK_lbbbEUlllE0_EEPmJS9_EEE10hipError_tPvRmT3_T4_T5_T6_T7_T9_mT8_P12ihipStream_tbDpT10_ENKUlT_T0_E_clISt17integral_constantIbLb0EES1A_EEDaS15_S16_EUlS15_E_NS1_11comp_targetILNS1_3genE10ELNS1_11target_archE1200ELNS1_3gpuE4ELNS1_3repE0EEENS1_30default_config_static_selectorELNS0_4arch9wavefront6targetE0EEEvT1_: ; @_ZN7rocprim17ROCPRIM_400000_NS6detail17trampoline_kernelINS0_14default_configENS1_25partition_config_selectorILNS1_17partition_subalgoE9EllbEEZZNS1_14partition_implILS5_9ELb0ES3_jPlS8_PNS0_10empty_typeENS0_5tupleIJS8_S9_EEENSB_IJS8_SA_EEENS0_18inequality_wrapperIZN2at6native12_GLOBAL__N_124unique_dim_cuda_templateIdEESt5tupleIJNSF_6TensorESK_SK_EERKSK_lbbbEUlllE0_EEPmJS9_EEE10hipError_tPvRmT3_T4_T5_T6_T7_T9_mT8_P12ihipStream_tbDpT10_ENKUlT_T0_E_clISt17integral_constantIbLb0EES1A_EEDaS15_S16_EUlS15_E_NS1_11comp_targetILNS1_3genE10ELNS1_11target_archE1200ELNS1_3gpuE4ELNS1_3repE0EEENS1_30default_config_static_selectorELNS0_4arch9wavefront6targetE0EEEvT1_
; %bb.0:
	.section	.rodata,"a",@progbits
	.p2align	6, 0x0
	.amdhsa_kernel _ZN7rocprim17ROCPRIM_400000_NS6detail17trampoline_kernelINS0_14default_configENS1_25partition_config_selectorILNS1_17partition_subalgoE9EllbEEZZNS1_14partition_implILS5_9ELb0ES3_jPlS8_PNS0_10empty_typeENS0_5tupleIJS8_S9_EEENSB_IJS8_SA_EEENS0_18inequality_wrapperIZN2at6native12_GLOBAL__N_124unique_dim_cuda_templateIdEESt5tupleIJNSF_6TensorESK_SK_EERKSK_lbbbEUlllE0_EEPmJS9_EEE10hipError_tPvRmT3_T4_T5_T6_T7_T9_mT8_P12ihipStream_tbDpT10_ENKUlT_T0_E_clISt17integral_constantIbLb0EES1A_EEDaS15_S16_EUlS15_E_NS1_11comp_targetILNS1_3genE10ELNS1_11target_archE1200ELNS1_3gpuE4ELNS1_3repE0EEENS1_30default_config_static_selectorELNS0_4arch9wavefront6targetE0EEEvT1_
		.amdhsa_group_segment_fixed_size 0
		.amdhsa_private_segment_fixed_size 0
		.amdhsa_kernarg_size 120
		.amdhsa_user_sgpr_count 2
		.amdhsa_user_sgpr_dispatch_ptr 0
		.amdhsa_user_sgpr_queue_ptr 0
		.amdhsa_user_sgpr_kernarg_segment_ptr 1
		.amdhsa_user_sgpr_dispatch_id 0
		.amdhsa_user_sgpr_kernarg_preload_length 0
		.amdhsa_user_sgpr_kernarg_preload_offset 0
		.amdhsa_user_sgpr_private_segment_size 0
		.amdhsa_wavefront_size32 1
		.amdhsa_uses_dynamic_stack 0
		.amdhsa_enable_private_segment 0
		.amdhsa_system_sgpr_workgroup_id_x 1
		.amdhsa_system_sgpr_workgroup_id_y 0
		.amdhsa_system_sgpr_workgroup_id_z 0
		.amdhsa_system_sgpr_workgroup_info 0
		.amdhsa_system_vgpr_workitem_id 0
		.amdhsa_next_free_vgpr 1
		.amdhsa_next_free_sgpr 1
		.amdhsa_named_barrier_count 0
		.amdhsa_reserve_vcc 0
		.amdhsa_float_round_mode_32 0
		.amdhsa_float_round_mode_16_64 0
		.amdhsa_float_denorm_mode_32 3
		.amdhsa_float_denorm_mode_16_64 3
		.amdhsa_fp16_overflow 0
		.amdhsa_memory_ordered 1
		.amdhsa_forward_progress 1
		.amdhsa_inst_pref_size 0
		.amdhsa_round_robin_scheduling 0
		.amdhsa_exception_fp_ieee_invalid_op 0
		.amdhsa_exception_fp_denorm_src 0
		.amdhsa_exception_fp_ieee_div_zero 0
		.amdhsa_exception_fp_ieee_overflow 0
		.amdhsa_exception_fp_ieee_underflow 0
		.amdhsa_exception_fp_ieee_inexact 0
		.amdhsa_exception_int_div_zero 0
	.end_amdhsa_kernel
	.section	.text._ZN7rocprim17ROCPRIM_400000_NS6detail17trampoline_kernelINS0_14default_configENS1_25partition_config_selectorILNS1_17partition_subalgoE9EllbEEZZNS1_14partition_implILS5_9ELb0ES3_jPlS8_PNS0_10empty_typeENS0_5tupleIJS8_S9_EEENSB_IJS8_SA_EEENS0_18inequality_wrapperIZN2at6native12_GLOBAL__N_124unique_dim_cuda_templateIdEESt5tupleIJNSF_6TensorESK_SK_EERKSK_lbbbEUlllE0_EEPmJS9_EEE10hipError_tPvRmT3_T4_T5_T6_T7_T9_mT8_P12ihipStream_tbDpT10_ENKUlT_T0_E_clISt17integral_constantIbLb0EES1A_EEDaS15_S16_EUlS15_E_NS1_11comp_targetILNS1_3genE10ELNS1_11target_archE1200ELNS1_3gpuE4ELNS1_3repE0EEENS1_30default_config_static_selectorELNS0_4arch9wavefront6targetE0EEEvT1_,"axG",@progbits,_ZN7rocprim17ROCPRIM_400000_NS6detail17trampoline_kernelINS0_14default_configENS1_25partition_config_selectorILNS1_17partition_subalgoE9EllbEEZZNS1_14partition_implILS5_9ELb0ES3_jPlS8_PNS0_10empty_typeENS0_5tupleIJS8_S9_EEENSB_IJS8_SA_EEENS0_18inequality_wrapperIZN2at6native12_GLOBAL__N_124unique_dim_cuda_templateIdEESt5tupleIJNSF_6TensorESK_SK_EERKSK_lbbbEUlllE0_EEPmJS9_EEE10hipError_tPvRmT3_T4_T5_T6_T7_T9_mT8_P12ihipStream_tbDpT10_ENKUlT_T0_E_clISt17integral_constantIbLb0EES1A_EEDaS15_S16_EUlS15_E_NS1_11comp_targetILNS1_3genE10ELNS1_11target_archE1200ELNS1_3gpuE4ELNS1_3repE0EEENS1_30default_config_static_selectorELNS0_4arch9wavefront6targetE0EEEvT1_,comdat
.Lfunc_end844:
	.size	_ZN7rocprim17ROCPRIM_400000_NS6detail17trampoline_kernelINS0_14default_configENS1_25partition_config_selectorILNS1_17partition_subalgoE9EllbEEZZNS1_14partition_implILS5_9ELb0ES3_jPlS8_PNS0_10empty_typeENS0_5tupleIJS8_S9_EEENSB_IJS8_SA_EEENS0_18inequality_wrapperIZN2at6native12_GLOBAL__N_124unique_dim_cuda_templateIdEESt5tupleIJNSF_6TensorESK_SK_EERKSK_lbbbEUlllE0_EEPmJS9_EEE10hipError_tPvRmT3_T4_T5_T6_T7_T9_mT8_P12ihipStream_tbDpT10_ENKUlT_T0_E_clISt17integral_constantIbLb0EES1A_EEDaS15_S16_EUlS15_E_NS1_11comp_targetILNS1_3genE10ELNS1_11target_archE1200ELNS1_3gpuE4ELNS1_3repE0EEENS1_30default_config_static_selectorELNS0_4arch9wavefront6targetE0EEEvT1_, .Lfunc_end844-_ZN7rocprim17ROCPRIM_400000_NS6detail17trampoline_kernelINS0_14default_configENS1_25partition_config_selectorILNS1_17partition_subalgoE9EllbEEZZNS1_14partition_implILS5_9ELb0ES3_jPlS8_PNS0_10empty_typeENS0_5tupleIJS8_S9_EEENSB_IJS8_SA_EEENS0_18inequality_wrapperIZN2at6native12_GLOBAL__N_124unique_dim_cuda_templateIdEESt5tupleIJNSF_6TensorESK_SK_EERKSK_lbbbEUlllE0_EEPmJS9_EEE10hipError_tPvRmT3_T4_T5_T6_T7_T9_mT8_P12ihipStream_tbDpT10_ENKUlT_T0_E_clISt17integral_constantIbLb0EES1A_EEDaS15_S16_EUlS15_E_NS1_11comp_targetILNS1_3genE10ELNS1_11target_archE1200ELNS1_3gpuE4ELNS1_3repE0EEENS1_30default_config_static_selectorELNS0_4arch9wavefront6targetE0EEEvT1_
                                        ; -- End function
	.set _ZN7rocprim17ROCPRIM_400000_NS6detail17trampoline_kernelINS0_14default_configENS1_25partition_config_selectorILNS1_17partition_subalgoE9EllbEEZZNS1_14partition_implILS5_9ELb0ES3_jPlS8_PNS0_10empty_typeENS0_5tupleIJS8_S9_EEENSB_IJS8_SA_EEENS0_18inequality_wrapperIZN2at6native12_GLOBAL__N_124unique_dim_cuda_templateIdEESt5tupleIJNSF_6TensorESK_SK_EERKSK_lbbbEUlllE0_EEPmJS9_EEE10hipError_tPvRmT3_T4_T5_T6_T7_T9_mT8_P12ihipStream_tbDpT10_ENKUlT_T0_E_clISt17integral_constantIbLb0EES1A_EEDaS15_S16_EUlS15_E_NS1_11comp_targetILNS1_3genE10ELNS1_11target_archE1200ELNS1_3gpuE4ELNS1_3repE0EEENS1_30default_config_static_selectorELNS0_4arch9wavefront6targetE0EEEvT1_.num_vgpr, 0
	.set _ZN7rocprim17ROCPRIM_400000_NS6detail17trampoline_kernelINS0_14default_configENS1_25partition_config_selectorILNS1_17partition_subalgoE9EllbEEZZNS1_14partition_implILS5_9ELb0ES3_jPlS8_PNS0_10empty_typeENS0_5tupleIJS8_S9_EEENSB_IJS8_SA_EEENS0_18inequality_wrapperIZN2at6native12_GLOBAL__N_124unique_dim_cuda_templateIdEESt5tupleIJNSF_6TensorESK_SK_EERKSK_lbbbEUlllE0_EEPmJS9_EEE10hipError_tPvRmT3_T4_T5_T6_T7_T9_mT8_P12ihipStream_tbDpT10_ENKUlT_T0_E_clISt17integral_constantIbLb0EES1A_EEDaS15_S16_EUlS15_E_NS1_11comp_targetILNS1_3genE10ELNS1_11target_archE1200ELNS1_3gpuE4ELNS1_3repE0EEENS1_30default_config_static_selectorELNS0_4arch9wavefront6targetE0EEEvT1_.num_agpr, 0
	.set _ZN7rocprim17ROCPRIM_400000_NS6detail17trampoline_kernelINS0_14default_configENS1_25partition_config_selectorILNS1_17partition_subalgoE9EllbEEZZNS1_14partition_implILS5_9ELb0ES3_jPlS8_PNS0_10empty_typeENS0_5tupleIJS8_S9_EEENSB_IJS8_SA_EEENS0_18inequality_wrapperIZN2at6native12_GLOBAL__N_124unique_dim_cuda_templateIdEESt5tupleIJNSF_6TensorESK_SK_EERKSK_lbbbEUlllE0_EEPmJS9_EEE10hipError_tPvRmT3_T4_T5_T6_T7_T9_mT8_P12ihipStream_tbDpT10_ENKUlT_T0_E_clISt17integral_constantIbLb0EES1A_EEDaS15_S16_EUlS15_E_NS1_11comp_targetILNS1_3genE10ELNS1_11target_archE1200ELNS1_3gpuE4ELNS1_3repE0EEENS1_30default_config_static_selectorELNS0_4arch9wavefront6targetE0EEEvT1_.numbered_sgpr, 0
	.set _ZN7rocprim17ROCPRIM_400000_NS6detail17trampoline_kernelINS0_14default_configENS1_25partition_config_selectorILNS1_17partition_subalgoE9EllbEEZZNS1_14partition_implILS5_9ELb0ES3_jPlS8_PNS0_10empty_typeENS0_5tupleIJS8_S9_EEENSB_IJS8_SA_EEENS0_18inequality_wrapperIZN2at6native12_GLOBAL__N_124unique_dim_cuda_templateIdEESt5tupleIJNSF_6TensorESK_SK_EERKSK_lbbbEUlllE0_EEPmJS9_EEE10hipError_tPvRmT3_T4_T5_T6_T7_T9_mT8_P12ihipStream_tbDpT10_ENKUlT_T0_E_clISt17integral_constantIbLb0EES1A_EEDaS15_S16_EUlS15_E_NS1_11comp_targetILNS1_3genE10ELNS1_11target_archE1200ELNS1_3gpuE4ELNS1_3repE0EEENS1_30default_config_static_selectorELNS0_4arch9wavefront6targetE0EEEvT1_.num_named_barrier, 0
	.set _ZN7rocprim17ROCPRIM_400000_NS6detail17trampoline_kernelINS0_14default_configENS1_25partition_config_selectorILNS1_17partition_subalgoE9EllbEEZZNS1_14partition_implILS5_9ELb0ES3_jPlS8_PNS0_10empty_typeENS0_5tupleIJS8_S9_EEENSB_IJS8_SA_EEENS0_18inequality_wrapperIZN2at6native12_GLOBAL__N_124unique_dim_cuda_templateIdEESt5tupleIJNSF_6TensorESK_SK_EERKSK_lbbbEUlllE0_EEPmJS9_EEE10hipError_tPvRmT3_T4_T5_T6_T7_T9_mT8_P12ihipStream_tbDpT10_ENKUlT_T0_E_clISt17integral_constantIbLb0EES1A_EEDaS15_S16_EUlS15_E_NS1_11comp_targetILNS1_3genE10ELNS1_11target_archE1200ELNS1_3gpuE4ELNS1_3repE0EEENS1_30default_config_static_selectorELNS0_4arch9wavefront6targetE0EEEvT1_.private_seg_size, 0
	.set _ZN7rocprim17ROCPRIM_400000_NS6detail17trampoline_kernelINS0_14default_configENS1_25partition_config_selectorILNS1_17partition_subalgoE9EllbEEZZNS1_14partition_implILS5_9ELb0ES3_jPlS8_PNS0_10empty_typeENS0_5tupleIJS8_S9_EEENSB_IJS8_SA_EEENS0_18inequality_wrapperIZN2at6native12_GLOBAL__N_124unique_dim_cuda_templateIdEESt5tupleIJNSF_6TensorESK_SK_EERKSK_lbbbEUlllE0_EEPmJS9_EEE10hipError_tPvRmT3_T4_T5_T6_T7_T9_mT8_P12ihipStream_tbDpT10_ENKUlT_T0_E_clISt17integral_constantIbLb0EES1A_EEDaS15_S16_EUlS15_E_NS1_11comp_targetILNS1_3genE10ELNS1_11target_archE1200ELNS1_3gpuE4ELNS1_3repE0EEENS1_30default_config_static_selectorELNS0_4arch9wavefront6targetE0EEEvT1_.uses_vcc, 0
	.set _ZN7rocprim17ROCPRIM_400000_NS6detail17trampoline_kernelINS0_14default_configENS1_25partition_config_selectorILNS1_17partition_subalgoE9EllbEEZZNS1_14partition_implILS5_9ELb0ES3_jPlS8_PNS0_10empty_typeENS0_5tupleIJS8_S9_EEENSB_IJS8_SA_EEENS0_18inequality_wrapperIZN2at6native12_GLOBAL__N_124unique_dim_cuda_templateIdEESt5tupleIJNSF_6TensorESK_SK_EERKSK_lbbbEUlllE0_EEPmJS9_EEE10hipError_tPvRmT3_T4_T5_T6_T7_T9_mT8_P12ihipStream_tbDpT10_ENKUlT_T0_E_clISt17integral_constantIbLb0EES1A_EEDaS15_S16_EUlS15_E_NS1_11comp_targetILNS1_3genE10ELNS1_11target_archE1200ELNS1_3gpuE4ELNS1_3repE0EEENS1_30default_config_static_selectorELNS0_4arch9wavefront6targetE0EEEvT1_.uses_flat_scratch, 0
	.set _ZN7rocprim17ROCPRIM_400000_NS6detail17trampoline_kernelINS0_14default_configENS1_25partition_config_selectorILNS1_17partition_subalgoE9EllbEEZZNS1_14partition_implILS5_9ELb0ES3_jPlS8_PNS0_10empty_typeENS0_5tupleIJS8_S9_EEENSB_IJS8_SA_EEENS0_18inequality_wrapperIZN2at6native12_GLOBAL__N_124unique_dim_cuda_templateIdEESt5tupleIJNSF_6TensorESK_SK_EERKSK_lbbbEUlllE0_EEPmJS9_EEE10hipError_tPvRmT3_T4_T5_T6_T7_T9_mT8_P12ihipStream_tbDpT10_ENKUlT_T0_E_clISt17integral_constantIbLb0EES1A_EEDaS15_S16_EUlS15_E_NS1_11comp_targetILNS1_3genE10ELNS1_11target_archE1200ELNS1_3gpuE4ELNS1_3repE0EEENS1_30default_config_static_selectorELNS0_4arch9wavefront6targetE0EEEvT1_.has_dyn_sized_stack, 0
	.set _ZN7rocprim17ROCPRIM_400000_NS6detail17trampoline_kernelINS0_14default_configENS1_25partition_config_selectorILNS1_17partition_subalgoE9EllbEEZZNS1_14partition_implILS5_9ELb0ES3_jPlS8_PNS0_10empty_typeENS0_5tupleIJS8_S9_EEENSB_IJS8_SA_EEENS0_18inequality_wrapperIZN2at6native12_GLOBAL__N_124unique_dim_cuda_templateIdEESt5tupleIJNSF_6TensorESK_SK_EERKSK_lbbbEUlllE0_EEPmJS9_EEE10hipError_tPvRmT3_T4_T5_T6_T7_T9_mT8_P12ihipStream_tbDpT10_ENKUlT_T0_E_clISt17integral_constantIbLb0EES1A_EEDaS15_S16_EUlS15_E_NS1_11comp_targetILNS1_3genE10ELNS1_11target_archE1200ELNS1_3gpuE4ELNS1_3repE0EEENS1_30default_config_static_selectorELNS0_4arch9wavefront6targetE0EEEvT1_.has_recursion, 0
	.set _ZN7rocprim17ROCPRIM_400000_NS6detail17trampoline_kernelINS0_14default_configENS1_25partition_config_selectorILNS1_17partition_subalgoE9EllbEEZZNS1_14partition_implILS5_9ELb0ES3_jPlS8_PNS0_10empty_typeENS0_5tupleIJS8_S9_EEENSB_IJS8_SA_EEENS0_18inequality_wrapperIZN2at6native12_GLOBAL__N_124unique_dim_cuda_templateIdEESt5tupleIJNSF_6TensorESK_SK_EERKSK_lbbbEUlllE0_EEPmJS9_EEE10hipError_tPvRmT3_T4_T5_T6_T7_T9_mT8_P12ihipStream_tbDpT10_ENKUlT_T0_E_clISt17integral_constantIbLb0EES1A_EEDaS15_S16_EUlS15_E_NS1_11comp_targetILNS1_3genE10ELNS1_11target_archE1200ELNS1_3gpuE4ELNS1_3repE0EEENS1_30default_config_static_selectorELNS0_4arch9wavefront6targetE0EEEvT1_.has_indirect_call, 0
	.section	.AMDGPU.csdata,"",@progbits
; Kernel info:
; codeLenInByte = 0
; TotalNumSgprs: 0
; NumVgprs: 0
; ScratchSize: 0
; MemoryBound: 0
; FloatMode: 240
; IeeeMode: 1
; LDSByteSize: 0 bytes/workgroup (compile time only)
; SGPRBlocks: 0
; VGPRBlocks: 0
; NumSGPRsForWavesPerEU: 1
; NumVGPRsForWavesPerEU: 1
; NamedBarCnt: 0
; Occupancy: 16
; WaveLimiterHint : 0
; COMPUTE_PGM_RSRC2:SCRATCH_EN: 0
; COMPUTE_PGM_RSRC2:USER_SGPR: 2
; COMPUTE_PGM_RSRC2:TRAP_HANDLER: 0
; COMPUTE_PGM_RSRC2:TGID_X_EN: 1
; COMPUTE_PGM_RSRC2:TGID_Y_EN: 0
; COMPUTE_PGM_RSRC2:TGID_Z_EN: 0
; COMPUTE_PGM_RSRC2:TIDIG_COMP_CNT: 0
	.section	.text._ZN7rocprim17ROCPRIM_400000_NS6detail17trampoline_kernelINS0_14default_configENS1_25partition_config_selectorILNS1_17partition_subalgoE9EllbEEZZNS1_14partition_implILS5_9ELb0ES3_jPlS8_PNS0_10empty_typeENS0_5tupleIJS8_S9_EEENSB_IJS8_SA_EEENS0_18inequality_wrapperIZN2at6native12_GLOBAL__N_124unique_dim_cuda_templateIdEESt5tupleIJNSF_6TensorESK_SK_EERKSK_lbbbEUlllE0_EEPmJS9_EEE10hipError_tPvRmT3_T4_T5_T6_T7_T9_mT8_P12ihipStream_tbDpT10_ENKUlT_T0_E_clISt17integral_constantIbLb0EES1A_EEDaS15_S16_EUlS15_E_NS1_11comp_targetILNS1_3genE9ELNS1_11target_archE1100ELNS1_3gpuE3ELNS1_3repE0EEENS1_30default_config_static_selectorELNS0_4arch9wavefront6targetE0EEEvT1_,"axG",@progbits,_ZN7rocprim17ROCPRIM_400000_NS6detail17trampoline_kernelINS0_14default_configENS1_25partition_config_selectorILNS1_17partition_subalgoE9EllbEEZZNS1_14partition_implILS5_9ELb0ES3_jPlS8_PNS0_10empty_typeENS0_5tupleIJS8_S9_EEENSB_IJS8_SA_EEENS0_18inequality_wrapperIZN2at6native12_GLOBAL__N_124unique_dim_cuda_templateIdEESt5tupleIJNSF_6TensorESK_SK_EERKSK_lbbbEUlllE0_EEPmJS9_EEE10hipError_tPvRmT3_T4_T5_T6_T7_T9_mT8_P12ihipStream_tbDpT10_ENKUlT_T0_E_clISt17integral_constantIbLb0EES1A_EEDaS15_S16_EUlS15_E_NS1_11comp_targetILNS1_3genE9ELNS1_11target_archE1100ELNS1_3gpuE3ELNS1_3repE0EEENS1_30default_config_static_selectorELNS0_4arch9wavefront6targetE0EEEvT1_,comdat
	.globl	_ZN7rocprim17ROCPRIM_400000_NS6detail17trampoline_kernelINS0_14default_configENS1_25partition_config_selectorILNS1_17partition_subalgoE9EllbEEZZNS1_14partition_implILS5_9ELb0ES3_jPlS8_PNS0_10empty_typeENS0_5tupleIJS8_S9_EEENSB_IJS8_SA_EEENS0_18inequality_wrapperIZN2at6native12_GLOBAL__N_124unique_dim_cuda_templateIdEESt5tupleIJNSF_6TensorESK_SK_EERKSK_lbbbEUlllE0_EEPmJS9_EEE10hipError_tPvRmT3_T4_T5_T6_T7_T9_mT8_P12ihipStream_tbDpT10_ENKUlT_T0_E_clISt17integral_constantIbLb0EES1A_EEDaS15_S16_EUlS15_E_NS1_11comp_targetILNS1_3genE9ELNS1_11target_archE1100ELNS1_3gpuE3ELNS1_3repE0EEENS1_30default_config_static_selectorELNS0_4arch9wavefront6targetE0EEEvT1_ ; -- Begin function _ZN7rocprim17ROCPRIM_400000_NS6detail17trampoline_kernelINS0_14default_configENS1_25partition_config_selectorILNS1_17partition_subalgoE9EllbEEZZNS1_14partition_implILS5_9ELb0ES3_jPlS8_PNS0_10empty_typeENS0_5tupleIJS8_S9_EEENSB_IJS8_SA_EEENS0_18inequality_wrapperIZN2at6native12_GLOBAL__N_124unique_dim_cuda_templateIdEESt5tupleIJNSF_6TensorESK_SK_EERKSK_lbbbEUlllE0_EEPmJS9_EEE10hipError_tPvRmT3_T4_T5_T6_T7_T9_mT8_P12ihipStream_tbDpT10_ENKUlT_T0_E_clISt17integral_constantIbLb0EES1A_EEDaS15_S16_EUlS15_E_NS1_11comp_targetILNS1_3genE9ELNS1_11target_archE1100ELNS1_3gpuE3ELNS1_3repE0EEENS1_30default_config_static_selectorELNS0_4arch9wavefront6targetE0EEEvT1_
	.p2align	8
	.type	_ZN7rocprim17ROCPRIM_400000_NS6detail17trampoline_kernelINS0_14default_configENS1_25partition_config_selectorILNS1_17partition_subalgoE9EllbEEZZNS1_14partition_implILS5_9ELb0ES3_jPlS8_PNS0_10empty_typeENS0_5tupleIJS8_S9_EEENSB_IJS8_SA_EEENS0_18inequality_wrapperIZN2at6native12_GLOBAL__N_124unique_dim_cuda_templateIdEESt5tupleIJNSF_6TensorESK_SK_EERKSK_lbbbEUlllE0_EEPmJS9_EEE10hipError_tPvRmT3_T4_T5_T6_T7_T9_mT8_P12ihipStream_tbDpT10_ENKUlT_T0_E_clISt17integral_constantIbLb0EES1A_EEDaS15_S16_EUlS15_E_NS1_11comp_targetILNS1_3genE9ELNS1_11target_archE1100ELNS1_3gpuE3ELNS1_3repE0EEENS1_30default_config_static_selectorELNS0_4arch9wavefront6targetE0EEEvT1_,@function
_ZN7rocprim17ROCPRIM_400000_NS6detail17trampoline_kernelINS0_14default_configENS1_25partition_config_selectorILNS1_17partition_subalgoE9EllbEEZZNS1_14partition_implILS5_9ELb0ES3_jPlS8_PNS0_10empty_typeENS0_5tupleIJS8_S9_EEENSB_IJS8_SA_EEENS0_18inequality_wrapperIZN2at6native12_GLOBAL__N_124unique_dim_cuda_templateIdEESt5tupleIJNSF_6TensorESK_SK_EERKSK_lbbbEUlllE0_EEPmJS9_EEE10hipError_tPvRmT3_T4_T5_T6_T7_T9_mT8_P12ihipStream_tbDpT10_ENKUlT_T0_E_clISt17integral_constantIbLb0EES1A_EEDaS15_S16_EUlS15_E_NS1_11comp_targetILNS1_3genE9ELNS1_11target_archE1100ELNS1_3gpuE3ELNS1_3repE0EEENS1_30default_config_static_selectorELNS0_4arch9wavefront6targetE0EEEvT1_: ; @_ZN7rocprim17ROCPRIM_400000_NS6detail17trampoline_kernelINS0_14default_configENS1_25partition_config_selectorILNS1_17partition_subalgoE9EllbEEZZNS1_14partition_implILS5_9ELb0ES3_jPlS8_PNS0_10empty_typeENS0_5tupleIJS8_S9_EEENSB_IJS8_SA_EEENS0_18inequality_wrapperIZN2at6native12_GLOBAL__N_124unique_dim_cuda_templateIdEESt5tupleIJNSF_6TensorESK_SK_EERKSK_lbbbEUlllE0_EEPmJS9_EEE10hipError_tPvRmT3_T4_T5_T6_T7_T9_mT8_P12ihipStream_tbDpT10_ENKUlT_T0_E_clISt17integral_constantIbLb0EES1A_EEDaS15_S16_EUlS15_E_NS1_11comp_targetILNS1_3genE9ELNS1_11target_archE1100ELNS1_3gpuE3ELNS1_3repE0EEENS1_30default_config_static_selectorELNS0_4arch9wavefront6targetE0EEEvT1_
; %bb.0:
	.section	.rodata,"a",@progbits
	.p2align	6, 0x0
	.amdhsa_kernel _ZN7rocprim17ROCPRIM_400000_NS6detail17trampoline_kernelINS0_14default_configENS1_25partition_config_selectorILNS1_17partition_subalgoE9EllbEEZZNS1_14partition_implILS5_9ELb0ES3_jPlS8_PNS0_10empty_typeENS0_5tupleIJS8_S9_EEENSB_IJS8_SA_EEENS0_18inequality_wrapperIZN2at6native12_GLOBAL__N_124unique_dim_cuda_templateIdEESt5tupleIJNSF_6TensorESK_SK_EERKSK_lbbbEUlllE0_EEPmJS9_EEE10hipError_tPvRmT3_T4_T5_T6_T7_T9_mT8_P12ihipStream_tbDpT10_ENKUlT_T0_E_clISt17integral_constantIbLb0EES1A_EEDaS15_S16_EUlS15_E_NS1_11comp_targetILNS1_3genE9ELNS1_11target_archE1100ELNS1_3gpuE3ELNS1_3repE0EEENS1_30default_config_static_selectorELNS0_4arch9wavefront6targetE0EEEvT1_
		.amdhsa_group_segment_fixed_size 0
		.amdhsa_private_segment_fixed_size 0
		.amdhsa_kernarg_size 120
		.amdhsa_user_sgpr_count 2
		.amdhsa_user_sgpr_dispatch_ptr 0
		.amdhsa_user_sgpr_queue_ptr 0
		.amdhsa_user_sgpr_kernarg_segment_ptr 1
		.amdhsa_user_sgpr_dispatch_id 0
		.amdhsa_user_sgpr_kernarg_preload_length 0
		.amdhsa_user_sgpr_kernarg_preload_offset 0
		.amdhsa_user_sgpr_private_segment_size 0
		.amdhsa_wavefront_size32 1
		.amdhsa_uses_dynamic_stack 0
		.amdhsa_enable_private_segment 0
		.amdhsa_system_sgpr_workgroup_id_x 1
		.amdhsa_system_sgpr_workgroup_id_y 0
		.amdhsa_system_sgpr_workgroup_id_z 0
		.amdhsa_system_sgpr_workgroup_info 0
		.amdhsa_system_vgpr_workitem_id 0
		.amdhsa_next_free_vgpr 1
		.amdhsa_next_free_sgpr 1
		.amdhsa_named_barrier_count 0
		.amdhsa_reserve_vcc 0
		.amdhsa_float_round_mode_32 0
		.amdhsa_float_round_mode_16_64 0
		.amdhsa_float_denorm_mode_32 3
		.amdhsa_float_denorm_mode_16_64 3
		.amdhsa_fp16_overflow 0
		.amdhsa_memory_ordered 1
		.amdhsa_forward_progress 1
		.amdhsa_inst_pref_size 0
		.amdhsa_round_robin_scheduling 0
		.amdhsa_exception_fp_ieee_invalid_op 0
		.amdhsa_exception_fp_denorm_src 0
		.amdhsa_exception_fp_ieee_div_zero 0
		.amdhsa_exception_fp_ieee_overflow 0
		.amdhsa_exception_fp_ieee_underflow 0
		.amdhsa_exception_fp_ieee_inexact 0
		.amdhsa_exception_int_div_zero 0
	.end_amdhsa_kernel
	.section	.text._ZN7rocprim17ROCPRIM_400000_NS6detail17trampoline_kernelINS0_14default_configENS1_25partition_config_selectorILNS1_17partition_subalgoE9EllbEEZZNS1_14partition_implILS5_9ELb0ES3_jPlS8_PNS0_10empty_typeENS0_5tupleIJS8_S9_EEENSB_IJS8_SA_EEENS0_18inequality_wrapperIZN2at6native12_GLOBAL__N_124unique_dim_cuda_templateIdEESt5tupleIJNSF_6TensorESK_SK_EERKSK_lbbbEUlllE0_EEPmJS9_EEE10hipError_tPvRmT3_T4_T5_T6_T7_T9_mT8_P12ihipStream_tbDpT10_ENKUlT_T0_E_clISt17integral_constantIbLb0EES1A_EEDaS15_S16_EUlS15_E_NS1_11comp_targetILNS1_3genE9ELNS1_11target_archE1100ELNS1_3gpuE3ELNS1_3repE0EEENS1_30default_config_static_selectorELNS0_4arch9wavefront6targetE0EEEvT1_,"axG",@progbits,_ZN7rocprim17ROCPRIM_400000_NS6detail17trampoline_kernelINS0_14default_configENS1_25partition_config_selectorILNS1_17partition_subalgoE9EllbEEZZNS1_14partition_implILS5_9ELb0ES3_jPlS8_PNS0_10empty_typeENS0_5tupleIJS8_S9_EEENSB_IJS8_SA_EEENS0_18inequality_wrapperIZN2at6native12_GLOBAL__N_124unique_dim_cuda_templateIdEESt5tupleIJNSF_6TensorESK_SK_EERKSK_lbbbEUlllE0_EEPmJS9_EEE10hipError_tPvRmT3_T4_T5_T6_T7_T9_mT8_P12ihipStream_tbDpT10_ENKUlT_T0_E_clISt17integral_constantIbLb0EES1A_EEDaS15_S16_EUlS15_E_NS1_11comp_targetILNS1_3genE9ELNS1_11target_archE1100ELNS1_3gpuE3ELNS1_3repE0EEENS1_30default_config_static_selectorELNS0_4arch9wavefront6targetE0EEEvT1_,comdat
.Lfunc_end845:
	.size	_ZN7rocprim17ROCPRIM_400000_NS6detail17trampoline_kernelINS0_14default_configENS1_25partition_config_selectorILNS1_17partition_subalgoE9EllbEEZZNS1_14partition_implILS5_9ELb0ES3_jPlS8_PNS0_10empty_typeENS0_5tupleIJS8_S9_EEENSB_IJS8_SA_EEENS0_18inequality_wrapperIZN2at6native12_GLOBAL__N_124unique_dim_cuda_templateIdEESt5tupleIJNSF_6TensorESK_SK_EERKSK_lbbbEUlllE0_EEPmJS9_EEE10hipError_tPvRmT3_T4_T5_T6_T7_T9_mT8_P12ihipStream_tbDpT10_ENKUlT_T0_E_clISt17integral_constantIbLb0EES1A_EEDaS15_S16_EUlS15_E_NS1_11comp_targetILNS1_3genE9ELNS1_11target_archE1100ELNS1_3gpuE3ELNS1_3repE0EEENS1_30default_config_static_selectorELNS0_4arch9wavefront6targetE0EEEvT1_, .Lfunc_end845-_ZN7rocprim17ROCPRIM_400000_NS6detail17trampoline_kernelINS0_14default_configENS1_25partition_config_selectorILNS1_17partition_subalgoE9EllbEEZZNS1_14partition_implILS5_9ELb0ES3_jPlS8_PNS0_10empty_typeENS0_5tupleIJS8_S9_EEENSB_IJS8_SA_EEENS0_18inequality_wrapperIZN2at6native12_GLOBAL__N_124unique_dim_cuda_templateIdEESt5tupleIJNSF_6TensorESK_SK_EERKSK_lbbbEUlllE0_EEPmJS9_EEE10hipError_tPvRmT3_T4_T5_T6_T7_T9_mT8_P12ihipStream_tbDpT10_ENKUlT_T0_E_clISt17integral_constantIbLb0EES1A_EEDaS15_S16_EUlS15_E_NS1_11comp_targetILNS1_3genE9ELNS1_11target_archE1100ELNS1_3gpuE3ELNS1_3repE0EEENS1_30default_config_static_selectorELNS0_4arch9wavefront6targetE0EEEvT1_
                                        ; -- End function
	.set _ZN7rocprim17ROCPRIM_400000_NS6detail17trampoline_kernelINS0_14default_configENS1_25partition_config_selectorILNS1_17partition_subalgoE9EllbEEZZNS1_14partition_implILS5_9ELb0ES3_jPlS8_PNS0_10empty_typeENS0_5tupleIJS8_S9_EEENSB_IJS8_SA_EEENS0_18inequality_wrapperIZN2at6native12_GLOBAL__N_124unique_dim_cuda_templateIdEESt5tupleIJNSF_6TensorESK_SK_EERKSK_lbbbEUlllE0_EEPmJS9_EEE10hipError_tPvRmT3_T4_T5_T6_T7_T9_mT8_P12ihipStream_tbDpT10_ENKUlT_T0_E_clISt17integral_constantIbLb0EES1A_EEDaS15_S16_EUlS15_E_NS1_11comp_targetILNS1_3genE9ELNS1_11target_archE1100ELNS1_3gpuE3ELNS1_3repE0EEENS1_30default_config_static_selectorELNS0_4arch9wavefront6targetE0EEEvT1_.num_vgpr, 0
	.set _ZN7rocprim17ROCPRIM_400000_NS6detail17trampoline_kernelINS0_14default_configENS1_25partition_config_selectorILNS1_17partition_subalgoE9EllbEEZZNS1_14partition_implILS5_9ELb0ES3_jPlS8_PNS0_10empty_typeENS0_5tupleIJS8_S9_EEENSB_IJS8_SA_EEENS0_18inequality_wrapperIZN2at6native12_GLOBAL__N_124unique_dim_cuda_templateIdEESt5tupleIJNSF_6TensorESK_SK_EERKSK_lbbbEUlllE0_EEPmJS9_EEE10hipError_tPvRmT3_T4_T5_T6_T7_T9_mT8_P12ihipStream_tbDpT10_ENKUlT_T0_E_clISt17integral_constantIbLb0EES1A_EEDaS15_S16_EUlS15_E_NS1_11comp_targetILNS1_3genE9ELNS1_11target_archE1100ELNS1_3gpuE3ELNS1_3repE0EEENS1_30default_config_static_selectorELNS0_4arch9wavefront6targetE0EEEvT1_.num_agpr, 0
	.set _ZN7rocprim17ROCPRIM_400000_NS6detail17trampoline_kernelINS0_14default_configENS1_25partition_config_selectorILNS1_17partition_subalgoE9EllbEEZZNS1_14partition_implILS5_9ELb0ES3_jPlS8_PNS0_10empty_typeENS0_5tupleIJS8_S9_EEENSB_IJS8_SA_EEENS0_18inequality_wrapperIZN2at6native12_GLOBAL__N_124unique_dim_cuda_templateIdEESt5tupleIJNSF_6TensorESK_SK_EERKSK_lbbbEUlllE0_EEPmJS9_EEE10hipError_tPvRmT3_T4_T5_T6_T7_T9_mT8_P12ihipStream_tbDpT10_ENKUlT_T0_E_clISt17integral_constantIbLb0EES1A_EEDaS15_S16_EUlS15_E_NS1_11comp_targetILNS1_3genE9ELNS1_11target_archE1100ELNS1_3gpuE3ELNS1_3repE0EEENS1_30default_config_static_selectorELNS0_4arch9wavefront6targetE0EEEvT1_.numbered_sgpr, 0
	.set _ZN7rocprim17ROCPRIM_400000_NS6detail17trampoline_kernelINS0_14default_configENS1_25partition_config_selectorILNS1_17partition_subalgoE9EllbEEZZNS1_14partition_implILS5_9ELb0ES3_jPlS8_PNS0_10empty_typeENS0_5tupleIJS8_S9_EEENSB_IJS8_SA_EEENS0_18inequality_wrapperIZN2at6native12_GLOBAL__N_124unique_dim_cuda_templateIdEESt5tupleIJNSF_6TensorESK_SK_EERKSK_lbbbEUlllE0_EEPmJS9_EEE10hipError_tPvRmT3_T4_T5_T6_T7_T9_mT8_P12ihipStream_tbDpT10_ENKUlT_T0_E_clISt17integral_constantIbLb0EES1A_EEDaS15_S16_EUlS15_E_NS1_11comp_targetILNS1_3genE9ELNS1_11target_archE1100ELNS1_3gpuE3ELNS1_3repE0EEENS1_30default_config_static_selectorELNS0_4arch9wavefront6targetE0EEEvT1_.num_named_barrier, 0
	.set _ZN7rocprim17ROCPRIM_400000_NS6detail17trampoline_kernelINS0_14default_configENS1_25partition_config_selectorILNS1_17partition_subalgoE9EllbEEZZNS1_14partition_implILS5_9ELb0ES3_jPlS8_PNS0_10empty_typeENS0_5tupleIJS8_S9_EEENSB_IJS8_SA_EEENS0_18inequality_wrapperIZN2at6native12_GLOBAL__N_124unique_dim_cuda_templateIdEESt5tupleIJNSF_6TensorESK_SK_EERKSK_lbbbEUlllE0_EEPmJS9_EEE10hipError_tPvRmT3_T4_T5_T6_T7_T9_mT8_P12ihipStream_tbDpT10_ENKUlT_T0_E_clISt17integral_constantIbLb0EES1A_EEDaS15_S16_EUlS15_E_NS1_11comp_targetILNS1_3genE9ELNS1_11target_archE1100ELNS1_3gpuE3ELNS1_3repE0EEENS1_30default_config_static_selectorELNS0_4arch9wavefront6targetE0EEEvT1_.private_seg_size, 0
	.set _ZN7rocprim17ROCPRIM_400000_NS6detail17trampoline_kernelINS0_14default_configENS1_25partition_config_selectorILNS1_17partition_subalgoE9EllbEEZZNS1_14partition_implILS5_9ELb0ES3_jPlS8_PNS0_10empty_typeENS0_5tupleIJS8_S9_EEENSB_IJS8_SA_EEENS0_18inequality_wrapperIZN2at6native12_GLOBAL__N_124unique_dim_cuda_templateIdEESt5tupleIJNSF_6TensorESK_SK_EERKSK_lbbbEUlllE0_EEPmJS9_EEE10hipError_tPvRmT3_T4_T5_T6_T7_T9_mT8_P12ihipStream_tbDpT10_ENKUlT_T0_E_clISt17integral_constantIbLb0EES1A_EEDaS15_S16_EUlS15_E_NS1_11comp_targetILNS1_3genE9ELNS1_11target_archE1100ELNS1_3gpuE3ELNS1_3repE0EEENS1_30default_config_static_selectorELNS0_4arch9wavefront6targetE0EEEvT1_.uses_vcc, 0
	.set _ZN7rocprim17ROCPRIM_400000_NS6detail17trampoline_kernelINS0_14default_configENS1_25partition_config_selectorILNS1_17partition_subalgoE9EllbEEZZNS1_14partition_implILS5_9ELb0ES3_jPlS8_PNS0_10empty_typeENS0_5tupleIJS8_S9_EEENSB_IJS8_SA_EEENS0_18inequality_wrapperIZN2at6native12_GLOBAL__N_124unique_dim_cuda_templateIdEESt5tupleIJNSF_6TensorESK_SK_EERKSK_lbbbEUlllE0_EEPmJS9_EEE10hipError_tPvRmT3_T4_T5_T6_T7_T9_mT8_P12ihipStream_tbDpT10_ENKUlT_T0_E_clISt17integral_constantIbLb0EES1A_EEDaS15_S16_EUlS15_E_NS1_11comp_targetILNS1_3genE9ELNS1_11target_archE1100ELNS1_3gpuE3ELNS1_3repE0EEENS1_30default_config_static_selectorELNS0_4arch9wavefront6targetE0EEEvT1_.uses_flat_scratch, 0
	.set _ZN7rocprim17ROCPRIM_400000_NS6detail17trampoline_kernelINS0_14default_configENS1_25partition_config_selectorILNS1_17partition_subalgoE9EllbEEZZNS1_14partition_implILS5_9ELb0ES3_jPlS8_PNS0_10empty_typeENS0_5tupleIJS8_S9_EEENSB_IJS8_SA_EEENS0_18inequality_wrapperIZN2at6native12_GLOBAL__N_124unique_dim_cuda_templateIdEESt5tupleIJNSF_6TensorESK_SK_EERKSK_lbbbEUlllE0_EEPmJS9_EEE10hipError_tPvRmT3_T4_T5_T6_T7_T9_mT8_P12ihipStream_tbDpT10_ENKUlT_T0_E_clISt17integral_constantIbLb0EES1A_EEDaS15_S16_EUlS15_E_NS1_11comp_targetILNS1_3genE9ELNS1_11target_archE1100ELNS1_3gpuE3ELNS1_3repE0EEENS1_30default_config_static_selectorELNS0_4arch9wavefront6targetE0EEEvT1_.has_dyn_sized_stack, 0
	.set _ZN7rocprim17ROCPRIM_400000_NS6detail17trampoline_kernelINS0_14default_configENS1_25partition_config_selectorILNS1_17partition_subalgoE9EllbEEZZNS1_14partition_implILS5_9ELb0ES3_jPlS8_PNS0_10empty_typeENS0_5tupleIJS8_S9_EEENSB_IJS8_SA_EEENS0_18inequality_wrapperIZN2at6native12_GLOBAL__N_124unique_dim_cuda_templateIdEESt5tupleIJNSF_6TensorESK_SK_EERKSK_lbbbEUlllE0_EEPmJS9_EEE10hipError_tPvRmT3_T4_T5_T6_T7_T9_mT8_P12ihipStream_tbDpT10_ENKUlT_T0_E_clISt17integral_constantIbLb0EES1A_EEDaS15_S16_EUlS15_E_NS1_11comp_targetILNS1_3genE9ELNS1_11target_archE1100ELNS1_3gpuE3ELNS1_3repE0EEENS1_30default_config_static_selectorELNS0_4arch9wavefront6targetE0EEEvT1_.has_recursion, 0
	.set _ZN7rocprim17ROCPRIM_400000_NS6detail17trampoline_kernelINS0_14default_configENS1_25partition_config_selectorILNS1_17partition_subalgoE9EllbEEZZNS1_14partition_implILS5_9ELb0ES3_jPlS8_PNS0_10empty_typeENS0_5tupleIJS8_S9_EEENSB_IJS8_SA_EEENS0_18inequality_wrapperIZN2at6native12_GLOBAL__N_124unique_dim_cuda_templateIdEESt5tupleIJNSF_6TensorESK_SK_EERKSK_lbbbEUlllE0_EEPmJS9_EEE10hipError_tPvRmT3_T4_T5_T6_T7_T9_mT8_P12ihipStream_tbDpT10_ENKUlT_T0_E_clISt17integral_constantIbLb0EES1A_EEDaS15_S16_EUlS15_E_NS1_11comp_targetILNS1_3genE9ELNS1_11target_archE1100ELNS1_3gpuE3ELNS1_3repE0EEENS1_30default_config_static_selectorELNS0_4arch9wavefront6targetE0EEEvT1_.has_indirect_call, 0
	.section	.AMDGPU.csdata,"",@progbits
; Kernel info:
; codeLenInByte = 0
; TotalNumSgprs: 0
; NumVgprs: 0
; ScratchSize: 0
; MemoryBound: 0
; FloatMode: 240
; IeeeMode: 1
; LDSByteSize: 0 bytes/workgroup (compile time only)
; SGPRBlocks: 0
; VGPRBlocks: 0
; NumSGPRsForWavesPerEU: 1
; NumVGPRsForWavesPerEU: 1
; NamedBarCnt: 0
; Occupancy: 16
; WaveLimiterHint : 0
; COMPUTE_PGM_RSRC2:SCRATCH_EN: 0
; COMPUTE_PGM_RSRC2:USER_SGPR: 2
; COMPUTE_PGM_RSRC2:TRAP_HANDLER: 0
; COMPUTE_PGM_RSRC2:TGID_X_EN: 1
; COMPUTE_PGM_RSRC2:TGID_Y_EN: 0
; COMPUTE_PGM_RSRC2:TGID_Z_EN: 0
; COMPUTE_PGM_RSRC2:TIDIG_COMP_CNT: 0
	.section	.text._ZN7rocprim17ROCPRIM_400000_NS6detail17trampoline_kernelINS0_14default_configENS1_25partition_config_selectorILNS1_17partition_subalgoE9EllbEEZZNS1_14partition_implILS5_9ELb0ES3_jPlS8_PNS0_10empty_typeENS0_5tupleIJS8_S9_EEENSB_IJS8_SA_EEENS0_18inequality_wrapperIZN2at6native12_GLOBAL__N_124unique_dim_cuda_templateIdEESt5tupleIJNSF_6TensorESK_SK_EERKSK_lbbbEUlllE0_EEPmJS9_EEE10hipError_tPvRmT3_T4_T5_T6_T7_T9_mT8_P12ihipStream_tbDpT10_ENKUlT_T0_E_clISt17integral_constantIbLb0EES1A_EEDaS15_S16_EUlS15_E_NS1_11comp_targetILNS1_3genE8ELNS1_11target_archE1030ELNS1_3gpuE2ELNS1_3repE0EEENS1_30default_config_static_selectorELNS0_4arch9wavefront6targetE0EEEvT1_,"axG",@progbits,_ZN7rocprim17ROCPRIM_400000_NS6detail17trampoline_kernelINS0_14default_configENS1_25partition_config_selectorILNS1_17partition_subalgoE9EllbEEZZNS1_14partition_implILS5_9ELb0ES3_jPlS8_PNS0_10empty_typeENS0_5tupleIJS8_S9_EEENSB_IJS8_SA_EEENS0_18inequality_wrapperIZN2at6native12_GLOBAL__N_124unique_dim_cuda_templateIdEESt5tupleIJNSF_6TensorESK_SK_EERKSK_lbbbEUlllE0_EEPmJS9_EEE10hipError_tPvRmT3_T4_T5_T6_T7_T9_mT8_P12ihipStream_tbDpT10_ENKUlT_T0_E_clISt17integral_constantIbLb0EES1A_EEDaS15_S16_EUlS15_E_NS1_11comp_targetILNS1_3genE8ELNS1_11target_archE1030ELNS1_3gpuE2ELNS1_3repE0EEENS1_30default_config_static_selectorELNS0_4arch9wavefront6targetE0EEEvT1_,comdat
	.globl	_ZN7rocprim17ROCPRIM_400000_NS6detail17trampoline_kernelINS0_14default_configENS1_25partition_config_selectorILNS1_17partition_subalgoE9EllbEEZZNS1_14partition_implILS5_9ELb0ES3_jPlS8_PNS0_10empty_typeENS0_5tupleIJS8_S9_EEENSB_IJS8_SA_EEENS0_18inequality_wrapperIZN2at6native12_GLOBAL__N_124unique_dim_cuda_templateIdEESt5tupleIJNSF_6TensorESK_SK_EERKSK_lbbbEUlllE0_EEPmJS9_EEE10hipError_tPvRmT3_T4_T5_T6_T7_T9_mT8_P12ihipStream_tbDpT10_ENKUlT_T0_E_clISt17integral_constantIbLb0EES1A_EEDaS15_S16_EUlS15_E_NS1_11comp_targetILNS1_3genE8ELNS1_11target_archE1030ELNS1_3gpuE2ELNS1_3repE0EEENS1_30default_config_static_selectorELNS0_4arch9wavefront6targetE0EEEvT1_ ; -- Begin function _ZN7rocprim17ROCPRIM_400000_NS6detail17trampoline_kernelINS0_14default_configENS1_25partition_config_selectorILNS1_17partition_subalgoE9EllbEEZZNS1_14partition_implILS5_9ELb0ES3_jPlS8_PNS0_10empty_typeENS0_5tupleIJS8_S9_EEENSB_IJS8_SA_EEENS0_18inequality_wrapperIZN2at6native12_GLOBAL__N_124unique_dim_cuda_templateIdEESt5tupleIJNSF_6TensorESK_SK_EERKSK_lbbbEUlllE0_EEPmJS9_EEE10hipError_tPvRmT3_T4_T5_T6_T7_T9_mT8_P12ihipStream_tbDpT10_ENKUlT_T0_E_clISt17integral_constantIbLb0EES1A_EEDaS15_S16_EUlS15_E_NS1_11comp_targetILNS1_3genE8ELNS1_11target_archE1030ELNS1_3gpuE2ELNS1_3repE0EEENS1_30default_config_static_selectorELNS0_4arch9wavefront6targetE0EEEvT1_
	.p2align	8
	.type	_ZN7rocprim17ROCPRIM_400000_NS6detail17trampoline_kernelINS0_14default_configENS1_25partition_config_selectorILNS1_17partition_subalgoE9EllbEEZZNS1_14partition_implILS5_9ELb0ES3_jPlS8_PNS0_10empty_typeENS0_5tupleIJS8_S9_EEENSB_IJS8_SA_EEENS0_18inequality_wrapperIZN2at6native12_GLOBAL__N_124unique_dim_cuda_templateIdEESt5tupleIJNSF_6TensorESK_SK_EERKSK_lbbbEUlllE0_EEPmJS9_EEE10hipError_tPvRmT3_T4_T5_T6_T7_T9_mT8_P12ihipStream_tbDpT10_ENKUlT_T0_E_clISt17integral_constantIbLb0EES1A_EEDaS15_S16_EUlS15_E_NS1_11comp_targetILNS1_3genE8ELNS1_11target_archE1030ELNS1_3gpuE2ELNS1_3repE0EEENS1_30default_config_static_selectorELNS0_4arch9wavefront6targetE0EEEvT1_,@function
_ZN7rocprim17ROCPRIM_400000_NS6detail17trampoline_kernelINS0_14default_configENS1_25partition_config_selectorILNS1_17partition_subalgoE9EllbEEZZNS1_14partition_implILS5_9ELb0ES3_jPlS8_PNS0_10empty_typeENS0_5tupleIJS8_S9_EEENSB_IJS8_SA_EEENS0_18inequality_wrapperIZN2at6native12_GLOBAL__N_124unique_dim_cuda_templateIdEESt5tupleIJNSF_6TensorESK_SK_EERKSK_lbbbEUlllE0_EEPmJS9_EEE10hipError_tPvRmT3_T4_T5_T6_T7_T9_mT8_P12ihipStream_tbDpT10_ENKUlT_T0_E_clISt17integral_constantIbLb0EES1A_EEDaS15_S16_EUlS15_E_NS1_11comp_targetILNS1_3genE8ELNS1_11target_archE1030ELNS1_3gpuE2ELNS1_3repE0EEENS1_30default_config_static_selectorELNS0_4arch9wavefront6targetE0EEEvT1_: ; @_ZN7rocprim17ROCPRIM_400000_NS6detail17trampoline_kernelINS0_14default_configENS1_25partition_config_selectorILNS1_17partition_subalgoE9EllbEEZZNS1_14partition_implILS5_9ELb0ES3_jPlS8_PNS0_10empty_typeENS0_5tupleIJS8_S9_EEENSB_IJS8_SA_EEENS0_18inequality_wrapperIZN2at6native12_GLOBAL__N_124unique_dim_cuda_templateIdEESt5tupleIJNSF_6TensorESK_SK_EERKSK_lbbbEUlllE0_EEPmJS9_EEE10hipError_tPvRmT3_T4_T5_T6_T7_T9_mT8_P12ihipStream_tbDpT10_ENKUlT_T0_E_clISt17integral_constantIbLb0EES1A_EEDaS15_S16_EUlS15_E_NS1_11comp_targetILNS1_3genE8ELNS1_11target_archE1030ELNS1_3gpuE2ELNS1_3repE0EEENS1_30default_config_static_selectorELNS0_4arch9wavefront6targetE0EEEvT1_
; %bb.0:
	.section	.rodata,"a",@progbits
	.p2align	6, 0x0
	.amdhsa_kernel _ZN7rocprim17ROCPRIM_400000_NS6detail17trampoline_kernelINS0_14default_configENS1_25partition_config_selectorILNS1_17partition_subalgoE9EllbEEZZNS1_14partition_implILS5_9ELb0ES3_jPlS8_PNS0_10empty_typeENS0_5tupleIJS8_S9_EEENSB_IJS8_SA_EEENS0_18inequality_wrapperIZN2at6native12_GLOBAL__N_124unique_dim_cuda_templateIdEESt5tupleIJNSF_6TensorESK_SK_EERKSK_lbbbEUlllE0_EEPmJS9_EEE10hipError_tPvRmT3_T4_T5_T6_T7_T9_mT8_P12ihipStream_tbDpT10_ENKUlT_T0_E_clISt17integral_constantIbLb0EES1A_EEDaS15_S16_EUlS15_E_NS1_11comp_targetILNS1_3genE8ELNS1_11target_archE1030ELNS1_3gpuE2ELNS1_3repE0EEENS1_30default_config_static_selectorELNS0_4arch9wavefront6targetE0EEEvT1_
		.amdhsa_group_segment_fixed_size 0
		.amdhsa_private_segment_fixed_size 0
		.amdhsa_kernarg_size 120
		.amdhsa_user_sgpr_count 2
		.amdhsa_user_sgpr_dispatch_ptr 0
		.amdhsa_user_sgpr_queue_ptr 0
		.amdhsa_user_sgpr_kernarg_segment_ptr 1
		.amdhsa_user_sgpr_dispatch_id 0
		.amdhsa_user_sgpr_kernarg_preload_length 0
		.amdhsa_user_sgpr_kernarg_preload_offset 0
		.amdhsa_user_sgpr_private_segment_size 0
		.amdhsa_wavefront_size32 1
		.amdhsa_uses_dynamic_stack 0
		.amdhsa_enable_private_segment 0
		.amdhsa_system_sgpr_workgroup_id_x 1
		.amdhsa_system_sgpr_workgroup_id_y 0
		.amdhsa_system_sgpr_workgroup_id_z 0
		.amdhsa_system_sgpr_workgroup_info 0
		.amdhsa_system_vgpr_workitem_id 0
		.amdhsa_next_free_vgpr 1
		.amdhsa_next_free_sgpr 1
		.amdhsa_named_barrier_count 0
		.amdhsa_reserve_vcc 0
		.amdhsa_float_round_mode_32 0
		.amdhsa_float_round_mode_16_64 0
		.amdhsa_float_denorm_mode_32 3
		.amdhsa_float_denorm_mode_16_64 3
		.amdhsa_fp16_overflow 0
		.amdhsa_memory_ordered 1
		.amdhsa_forward_progress 1
		.amdhsa_inst_pref_size 0
		.amdhsa_round_robin_scheduling 0
		.amdhsa_exception_fp_ieee_invalid_op 0
		.amdhsa_exception_fp_denorm_src 0
		.amdhsa_exception_fp_ieee_div_zero 0
		.amdhsa_exception_fp_ieee_overflow 0
		.amdhsa_exception_fp_ieee_underflow 0
		.amdhsa_exception_fp_ieee_inexact 0
		.amdhsa_exception_int_div_zero 0
	.end_amdhsa_kernel
	.section	.text._ZN7rocprim17ROCPRIM_400000_NS6detail17trampoline_kernelINS0_14default_configENS1_25partition_config_selectorILNS1_17partition_subalgoE9EllbEEZZNS1_14partition_implILS5_9ELb0ES3_jPlS8_PNS0_10empty_typeENS0_5tupleIJS8_S9_EEENSB_IJS8_SA_EEENS0_18inequality_wrapperIZN2at6native12_GLOBAL__N_124unique_dim_cuda_templateIdEESt5tupleIJNSF_6TensorESK_SK_EERKSK_lbbbEUlllE0_EEPmJS9_EEE10hipError_tPvRmT3_T4_T5_T6_T7_T9_mT8_P12ihipStream_tbDpT10_ENKUlT_T0_E_clISt17integral_constantIbLb0EES1A_EEDaS15_S16_EUlS15_E_NS1_11comp_targetILNS1_3genE8ELNS1_11target_archE1030ELNS1_3gpuE2ELNS1_3repE0EEENS1_30default_config_static_selectorELNS0_4arch9wavefront6targetE0EEEvT1_,"axG",@progbits,_ZN7rocprim17ROCPRIM_400000_NS6detail17trampoline_kernelINS0_14default_configENS1_25partition_config_selectorILNS1_17partition_subalgoE9EllbEEZZNS1_14partition_implILS5_9ELb0ES3_jPlS8_PNS0_10empty_typeENS0_5tupleIJS8_S9_EEENSB_IJS8_SA_EEENS0_18inequality_wrapperIZN2at6native12_GLOBAL__N_124unique_dim_cuda_templateIdEESt5tupleIJNSF_6TensorESK_SK_EERKSK_lbbbEUlllE0_EEPmJS9_EEE10hipError_tPvRmT3_T4_T5_T6_T7_T9_mT8_P12ihipStream_tbDpT10_ENKUlT_T0_E_clISt17integral_constantIbLb0EES1A_EEDaS15_S16_EUlS15_E_NS1_11comp_targetILNS1_3genE8ELNS1_11target_archE1030ELNS1_3gpuE2ELNS1_3repE0EEENS1_30default_config_static_selectorELNS0_4arch9wavefront6targetE0EEEvT1_,comdat
.Lfunc_end846:
	.size	_ZN7rocprim17ROCPRIM_400000_NS6detail17trampoline_kernelINS0_14default_configENS1_25partition_config_selectorILNS1_17partition_subalgoE9EllbEEZZNS1_14partition_implILS5_9ELb0ES3_jPlS8_PNS0_10empty_typeENS0_5tupleIJS8_S9_EEENSB_IJS8_SA_EEENS0_18inequality_wrapperIZN2at6native12_GLOBAL__N_124unique_dim_cuda_templateIdEESt5tupleIJNSF_6TensorESK_SK_EERKSK_lbbbEUlllE0_EEPmJS9_EEE10hipError_tPvRmT3_T4_T5_T6_T7_T9_mT8_P12ihipStream_tbDpT10_ENKUlT_T0_E_clISt17integral_constantIbLb0EES1A_EEDaS15_S16_EUlS15_E_NS1_11comp_targetILNS1_3genE8ELNS1_11target_archE1030ELNS1_3gpuE2ELNS1_3repE0EEENS1_30default_config_static_selectorELNS0_4arch9wavefront6targetE0EEEvT1_, .Lfunc_end846-_ZN7rocprim17ROCPRIM_400000_NS6detail17trampoline_kernelINS0_14default_configENS1_25partition_config_selectorILNS1_17partition_subalgoE9EllbEEZZNS1_14partition_implILS5_9ELb0ES3_jPlS8_PNS0_10empty_typeENS0_5tupleIJS8_S9_EEENSB_IJS8_SA_EEENS0_18inequality_wrapperIZN2at6native12_GLOBAL__N_124unique_dim_cuda_templateIdEESt5tupleIJNSF_6TensorESK_SK_EERKSK_lbbbEUlllE0_EEPmJS9_EEE10hipError_tPvRmT3_T4_T5_T6_T7_T9_mT8_P12ihipStream_tbDpT10_ENKUlT_T0_E_clISt17integral_constantIbLb0EES1A_EEDaS15_S16_EUlS15_E_NS1_11comp_targetILNS1_3genE8ELNS1_11target_archE1030ELNS1_3gpuE2ELNS1_3repE0EEENS1_30default_config_static_selectorELNS0_4arch9wavefront6targetE0EEEvT1_
                                        ; -- End function
	.set _ZN7rocprim17ROCPRIM_400000_NS6detail17trampoline_kernelINS0_14default_configENS1_25partition_config_selectorILNS1_17partition_subalgoE9EllbEEZZNS1_14partition_implILS5_9ELb0ES3_jPlS8_PNS0_10empty_typeENS0_5tupleIJS8_S9_EEENSB_IJS8_SA_EEENS0_18inequality_wrapperIZN2at6native12_GLOBAL__N_124unique_dim_cuda_templateIdEESt5tupleIJNSF_6TensorESK_SK_EERKSK_lbbbEUlllE0_EEPmJS9_EEE10hipError_tPvRmT3_T4_T5_T6_T7_T9_mT8_P12ihipStream_tbDpT10_ENKUlT_T0_E_clISt17integral_constantIbLb0EES1A_EEDaS15_S16_EUlS15_E_NS1_11comp_targetILNS1_3genE8ELNS1_11target_archE1030ELNS1_3gpuE2ELNS1_3repE0EEENS1_30default_config_static_selectorELNS0_4arch9wavefront6targetE0EEEvT1_.num_vgpr, 0
	.set _ZN7rocprim17ROCPRIM_400000_NS6detail17trampoline_kernelINS0_14default_configENS1_25partition_config_selectorILNS1_17partition_subalgoE9EllbEEZZNS1_14partition_implILS5_9ELb0ES3_jPlS8_PNS0_10empty_typeENS0_5tupleIJS8_S9_EEENSB_IJS8_SA_EEENS0_18inequality_wrapperIZN2at6native12_GLOBAL__N_124unique_dim_cuda_templateIdEESt5tupleIJNSF_6TensorESK_SK_EERKSK_lbbbEUlllE0_EEPmJS9_EEE10hipError_tPvRmT3_T4_T5_T6_T7_T9_mT8_P12ihipStream_tbDpT10_ENKUlT_T0_E_clISt17integral_constantIbLb0EES1A_EEDaS15_S16_EUlS15_E_NS1_11comp_targetILNS1_3genE8ELNS1_11target_archE1030ELNS1_3gpuE2ELNS1_3repE0EEENS1_30default_config_static_selectorELNS0_4arch9wavefront6targetE0EEEvT1_.num_agpr, 0
	.set _ZN7rocprim17ROCPRIM_400000_NS6detail17trampoline_kernelINS0_14default_configENS1_25partition_config_selectorILNS1_17partition_subalgoE9EllbEEZZNS1_14partition_implILS5_9ELb0ES3_jPlS8_PNS0_10empty_typeENS0_5tupleIJS8_S9_EEENSB_IJS8_SA_EEENS0_18inequality_wrapperIZN2at6native12_GLOBAL__N_124unique_dim_cuda_templateIdEESt5tupleIJNSF_6TensorESK_SK_EERKSK_lbbbEUlllE0_EEPmJS9_EEE10hipError_tPvRmT3_T4_T5_T6_T7_T9_mT8_P12ihipStream_tbDpT10_ENKUlT_T0_E_clISt17integral_constantIbLb0EES1A_EEDaS15_S16_EUlS15_E_NS1_11comp_targetILNS1_3genE8ELNS1_11target_archE1030ELNS1_3gpuE2ELNS1_3repE0EEENS1_30default_config_static_selectorELNS0_4arch9wavefront6targetE0EEEvT1_.numbered_sgpr, 0
	.set _ZN7rocprim17ROCPRIM_400000_NS6detail17trampoline_kernelINS0_14default_configENS1_25partition_config_selectorILNS1_17partition_subalgoE9EllbEEZZNS1_14partition_implILS5_9ELb0ES3_jPlS8_PNS0_10empty_typeENS0_5tupleIJS8_S9_EEENSB_IJS8_SA_EEENS0_18inequality_wrapperIZN2at6native12_GLOBAL__N_124unique_dim_cuda_templateIdEESt5tupleIJNSF_6TensorESK_SK_EERKSK_lbbbEUlllE0_EEPmJS9_EEE10hipError_tPvRmT3_T4_T5_T6_T7_T9_mT8_P12ihipStream_tbDpT10_ENKUlT_T0_E_clISt17integral_constantIbLb0EES1A_EEDaS15_S16_EUlS15_E_NS1_11comp_targetILNS1_3genE8ELNS1_11target_archE1030ELNS1_3gpuE2ELNS1_3repE0EEENS1_30default_config_static_selectorELNS0_4arch9wavefront6targetE0EEEvT1_.num_named_barrier, 0
	.set _ZN7rocprim17ROCPRIM_400000_NS6detail17trampoline_kernelINS0_14default_configENS1_25partition_config_selectorILNS1_17partition_subalgoE9EllbEEZZNS1_14partition_implILS5_9ELb0ES3_jPlS8_PNS0_10empty_typeENS0_5tupleIJS8_S9_EEENSB_IJS8_SA_EEENS0_18inequality_wrapperIZN2at6native12_GLOBAL__N_124unique_dim_cuda_templateIdEESt5tupleIJNSF_6TensorESK_SK_EERKSK_lbbbEUlllE0_EEPmJS9_EEE10hipError_tPvRmT3_T4_T5_T6_T7_T9_mT8_P12ihipStream_tbDpT10_ENKUlT_T0_E_clISt17integral_constantIbLb0EES1A_EEDaS15_S16_EUlS15_E_NS1_11comp_targetILNS1_3genE8ELNS1_11target_archE1030ELNS1_3gpuE2ELNS1_3repE0EEENS1_30default_config_static_selectorELNS0_4arch9wavefront6targetE0EEEvT1_.private_seg_size, 0
	.set _ZN7rocprim17ROCPRIM_400000_NS6detail17trampoline_kernelINS0_14default_configENS1_25partition_config_selectorILNS1_17partition_subalgoE9EllbEEZZNS1_14partition_implILS5_9ELb0ES3_jPlS8_PNS0_10empty_typeENS0_5tupleIJS8_S9_EEENSB_IJS8_SA_EEENS0_18inequality_wrapperIZN2at6native12_GLOBAL__N_124unique_dim_cuda_templateIdEESt5tupleIJNSF_6TensorESK_SK_EERKSK_lbbbEUlllE0_EEPmJS9_EEE10hipError_tPvRmT3_T4_T5_T6_T7_T9_mT8_P12ihipStream_tbDpT10_ENKUlT_T0_E_clISt17integral_constantIbLb0EES1A_EEDaS15_S16_EUlS15_E_NS1_11comp_targetILNS1_3genE8ELNS1_11target_archE1030ELNS1_3gpuE2ELNS1_3repE0EEENS1_30default_config_static_selectorELNS0_4arch9wavefront6targetE0EEEvT1_.uses_vcc, 0
	.set _ZN7rocprim17ROCPRIM_400000_NS6detail17trampoline_kernelINS0_14default_configENS1_25partition_config_selectorILNS1_17partition_subalgoE9EllbEEZZNS1_14partition_implILS5_9ELb0ES3_jPlS8_PNS0_10empty_typeENS0_5tupleIJS8_S9_EEENSB_IJS8_SA_EEENS0_18inequality_wrapperIZN2at6native12_GLOBAL__N_124unique_dim_cuda_templateIdEESt5tupleIJNSF_6TensorESK_SK_EERKSK_lbbbEUlllE0_EEPmJS9_EEE10hipError_tPvRmT3_T4_T5_T6_T7_T9_mT8_P12ihipStream_tbDpT10_ENKUlT_T0_E_clISt17integral_constantIbLb0EES1A_EEDaS15_S16_EUlS15_E_NS1_11comp_targetILNS1_3genE8ELNS1_11target_archE1030ELNS1_3gpuE2ELNS1_3repE0EEENS1_30default_config_static_selectorELNS0_4arch9wavefront6targetE0EEEvT1_.uses_flat_scratch, 0
	.set _ZN7rocprim17ROCPRIM_400000_NS6detail17trampoline_kernelINS0_14default_configENS1_25partition_config_selectorILNS1_17partition_subalgoE9EllbEEZZNS1_14partition_implILS5_9ELb0ES3_jPlS8_PNS0_10empty_typeENS0_5tupleIJS8_S9_EEENSB_IJS8_SA_EEENS0_18inequality_wrapperIZN2at6native12_GLOBAL__N_124unique_dim_cuda_templateIdEESt5tupleIJNSF_6TensorESK_SK_EERKSK_lbbbEUlllE0_EEPmJS9_EEE10hipError_tPvRmT3_T4_T5_T6_T7_T9_mT8_P12ihipStream_tbDpT10_ENKUlT_T0_E_clISt17integral_constantIbLb0EES1A_EEDaS15_S16_EUlS15_E_NS1_11comp_targetILNS1_3genE8ELNS1_11target_archE1030ELNS1_3gpuE2ELNS1_3repE0EEENS1_30default_config_static_selectorELNS0_4arch9wavefront6targetE0EEEvT1_.has_dyn_sized_stack, 0
	.set _ZN7rocprim17ROCPRIM_400000_NS6detail17trampoline_kernelINS0_14default_configENS1_25partition_config_selectorILNS1_17partition_subalgoE9EllbEEZZNS1_14partition_implILS5_9ELb0ES3_jPlS8_PNS0_10empty_typeENS0_5tupleIJS8_S9_EEENSB_IJS8_SA_EEENS0_18inequality_wrapperIZN2at6native12_GLOBAL__N_124unique_dim_cuda_templateIdEESt5tupleIJNSF_6TensorESK_SK_EERKSK_lbbbEUlllE0_EEPmJS9_EEE10hipError_tPvRmT3_T4_T5_T6_T7_T9_mT8_P12ihipStream_tbDpT10_ENKUlT_T0_E_clISt17integral_constantIbLb0EES1A_EEDaS15_S16_EUlS15_E_NS1_11comp_targetILNS1_3genE8ELNS1_11target_archE1030ELNS1_3gpuE2ELNS1_3repE0EEENS1_30default_config_static_selectorELNS0_4arch9wavefront6targetE0EEEvT1_.has_recursion, 0
	.set _ZN7rocprim17ROCPRIM_400000_NS6detail17trampoline_kernelINS0_14default_configENS1_25partition_config_selectorILNS1_17partition_subalgoE9EllbEEZZNS1_14partition_implILS5_9ELb0ES3_jPlS8_PNS0_10empty_typeENS0_5tupleIJS8_S9_EEENSB_IJS8_SA_EEENS0_18inequality_wrapperIZN2at6native12_GLOBAL__N_124unique_dim_cuda_templateIdEESt5tupleIJNSF_6TensorESK_SK_EERKSK_lbbbEUlllE0_EEPmJS9_EEE10hipError_tPvRmT3_T4_T5_T6_T7_T9_mT8_P12ihipStream_tbDpT10_ENKUlT_T0_E_clISt17integral_constantIbLb0EES1A_EEDaS15_S16_EUlS15_E_NS1_11comp_targetILNS1_3genE8ELNS1_11target_archE1030ELNS1_3gpuE2ELNS1_3repE0EEENS1_30default_config_static_selectorELNS0_4arch9wavefront6targetE0EEEvT1_.has_indirect_call, 0
	.section	.AMDGPU.csdata,"",@progbits
; Kernel info:
; codeLenInByte = 0
; TotalNumSgprs: 0
; NumVgprs: 0
; ScratchSize: 0
; MemoryBound: 0
; FloatMode: 240
; IeeeMode: 1
; LDSByteSize: 0 bytes/workgroup (compile time only)
; SGPRBlocks: 0
; VGPRBlocks: 0
; NumSGPRsForWavesPerEU: 1
; NumVGPRsForWavesPerEU: 1
; NamedBarCnt: 0
; Occupancy: 16
; WaveLimiterHint : 0
; COMPUTE_PGM_RSRC2:SCRATCH_EN: 0
; COMPUTE_PGM_RSRC2:USER_SGPR: 2
; COMPUTE_PGM_RSRC2:TRAP_HANDLER: 0
; COMPUTE_PGM_RSRC2:TGID_X_EN: 1
; COMPUTE_PGM_RSRC2:TGID_Y_EN: 0
; COMPUTE_PGM_RSRC2:TGID_Z_EN: 0
; COMPUTE_PGM_RSRC2:TIDIG_COMP_CNT: 0
	.section	.text._ZN7rocprim17ROCPRIM_400000_NS6detail17trampoline_kernelINS0_14default_configENS1_25partition_config_selectorILNS1_17partition_subalgoE9EllbEEZZNS1_14partition_implILS5_9ELb0ES3_jPlS8_PNS0_10empty_typeENS0_5tupleIJS8_S9_EEENSB_IJS8_SA_EEENS0_18inequality_wrapperIZN2at6native12_GLOBAL__N_124unique_dim_cuda_templateIdEESt5tupleIJNSF_6TensorESK_SK_EERKSK_lbbbEUlllE0_EEPmJS9_EEE10hipError_tPvRmT3_T4_T5_T6_T7_T9_mT8_P12ihipStream_tbDpT10_ENKUlT_T0_E_clISt17integral_constantIbLb1EES1A_EEDaS15_S16_EUlS15_E_NS1_11comp_targetILNS1_3genE0ELNS1_11target_archE4294967295ELNS1_3gpuE0ELNS1_3repE0EEENS1_30default_config_static_selectorELNS0_4arch9wavefront6targetE0EEEvT1_,"axG",@progbits,_ZN7rocprim17ROCPRIM_400000_NS6detail17trampoline_kernelINS0_14default_configENS1_25partition_config_selectorILNS1_17partition_subalgoE9EllbEEZZNS1_14partition_implILS5_9ELb0ES3_jPlS8_PNS0_10empty_typeENS0_5tupleIJS8_S9_EEENSB_IJS8_SA_EEENS0_18inequality_wrapperIZN2at6native12_GLOBAL__N_124unique_dim_cuda_templateIdEESt5tupleIJNSF_6TensorESK_SK_EERKSK_lbbbEUlllE0_EEPmJS9_EEE10hipError_tPvRmT3_T4_T5_T6_T7_T9_mT8_P12ihipStream_tbDpT10_ENKUlT_T0_E_clISt17integral_constantIbLb1EES1A_EEDaS15_S16_EUlS15_E_NS1_11comp_targetILNS1_3genE0ELNS1_11target_archE4294967295ELNS1_3gpuE0ELNS1_3repE0EEENS1_30default_config_static_selectorELNS0_4arch9wavefront6targetE0EEEvT1_,comdat
	.globl	_ZN7rocprim17ROCPRIM_400000_NS6detail17trampoline_kernelINS0_14default_configENS1_25partition_config_selectorILNS1_17partition_subalgoE9EllbEEZZNS1_14partition_implILS5_9ELb0ES3_jPlS8_PNS0_10empty_typeENS0_5tupleIJS8_S9_EEENSB_IJS8_SA_EEENS0_18inequality_wrapperIZN2at6native12_GLOBAL__N_124unique_dim_cuda_templateIdEESt5tupleIJNSF_6TensorESK_SK_EERKSK_lbbbEUlllE0_EEPmJS9_EEE10hipError_tPvRmT3_T4_T5_T6_T7_T9_mT8_P12ihipStream_tbDpT10_ENKUlT_T0_E_clISt17integral_constantIbLb1EES1A_EEDaS15_S16_EUlS15_E_NS1_11comp_targetILNS1_3genE0ELNS1_11target_archE4294967295ELNS1_3gpuE0ELNS1_3repE0EEENS1_30default_config_static_selectorELNS0_4arch9wavefront6targetE0EEEvT1_ ; -- Begin function _ZN7rocprim17ROCPRIM_400000_NS6detail17trampoline_kernelINS0_14default_configENS1_25partition_config_selectorILNS1_17partition_subalgoE9EllbEEZZNS1_14partition_implILS5_9ELb0ES3_jPlS8_PNS0_10empty_typeENS0_5tupleIJS8_S9_EEENSB_IJS8_SA_EEENS0_18inequality_wrapperIZN2at6native12_GLOBAL__N_124unique_dim_cuda_templateIdEESt5tupleIJNSF_6TensorESK_SK_EERKSK_lbbbEUlllE0_EEPmJS9_EEE10hipError_tPvRmT3_T4_T5_T6_T7_T9_mT8_P12ihipStream_tbDpT10_ENKUlT_T0_E_clISt17integral_constantIbLb1EES1A_EEDaS15_S16_EUlS15_E_NS1_11comp_targetILNS1_3genE0ELNS1_11target_archE4294967295ELNS1_3gpuE0ELNS1_3repE0EEENS1_30default_config_static_selectorELNS0_4arch9wavefront6targetE0EEEvT1_
	.p2align	8
	.type	_ZN7rocprim17ROCPRIM_400000_NS6detail17trampoline_kernelINS0_14default_configENS1_25partition_config_selectorILNS1_17partition_subalgoE9EllbEEZZNS1_14partition_implILS5_9ELb0ES3_jPlS8_PNS0_10empty_typeENS0_5tupleIJS8_S9_EEENSB_IJS8_SA_EEENS0_18inequality_wrapperIZN2at6native12_GLOBAL__N_124unique_dim_cuda_templateIdEESt5tupleIJNSF_6TensorESK_SK_EERKSK_lbbbEUlllE0_EEPmJS9_EEE10hipError_tPvRmT3_T4_T5_T6_T7_T9_mT8_P12ihipStream_tbDpT10_ENKUlT_T0_E_clISt17integral_constantIbLb1EES1A_EEDaS15_S16_EUlS15_E_NS1_11comp_targetILNS1_3genE0ELNS1_11target_archE4294967295ELNS1_3gpuE0ELNS1_3repE0EEENS1_30default_config_static_selectorELNS0_4arch9wavefront6targetE0EEEvT1_,@function
_ZN7rocprim17ROCPRIM_400000_NS6detail17trampoline_kernelINS0_14default_configENS1_25partition_config_selectorILNS1_17partition_subalgoE9EllbEEZZNS1_14partition_implILS5_9ELb0ES3_jPlS8_PNS0_10empty_typeENS0_5tupleIJS8_S9_EEENSB_IJS8_SA_EEENS0_18inequality_wrapperIZN2at6native12_GLOBAL__N_124unique_dim_cuda_templateIdEESt5tupleIJNSF_6TensorESK_SK_EERKSK_lbbbEUlllE0_EEPmJS9_EEE10hipError_tPvRmT3_T4_T5_T6_T7_T9_mT8_P12ihipStream_tbDpT10_ENKUlT_T0_E_clISt17integral_constantIbLb1EES1A_EEDaS15_S16_EUlS15_E_NS1_11comp_targetILNS1_3genE0ELNS1_11target_archE4294967295ELNS1_3gpuE0ELNS1_3repE0EEENS1_30default_config_static_selectorELNS0_4arch9wavefront6targetE0EEEvT1_: ; @_ZN7rocprim17ROCPRIM_400000_NS6detail17trampoline_kernelINS0_14default_configENS1_25partition_config_selectorILNS1_17partition_subalgoE9EllbEEZZNS1_14partition_implILS5_9ELb0ES3_jPlS8_PNS0_10empty_typeENS0_5tupleIJS8_S9_EEENSB_IJS8_SA_EEENS0_18inequality_wrapperIZN2at6native12_GLOBAL__N_124unique_dim_cuda_templateIdEESt5tupleIJNSF_6TensorESK_SK_EERKSK_lbbbEUlllE0_EEPmJS9_EEE10hipError_tPvRmT3_T4_T5_T6_T7_T9_mT8_P12ihipStream_tbDpT10_ENKUlT_T0_E_clISt17integral_constantIbLb1EES1A_EEDaS15_S16_EUlS15_E_NS1_11comp_targetILNS1_3genE0ELNS1_11target_archE4294967295ELNS1_3gpuE0ELNS1_3repE0EEENS1_30default_config_static_selectorELNS0_4arch9wavefront6targetE0EEEvT1_
; %bb.0:
	s_endpgm
	.section	.rodata,"a",@progbits
	.p2align	6, 0x0
	.amdhsa_kernel _ZN7rocprim17ROCPRIM_400000_NS6detail17trampoline_kernelINS0_14default_configENS1_25partition_config_selectorILNS1_17partition_subalgoE9EllbEEZZNS1_14partition_implILS5_9ELb0ES3_jPlS8_PNS0_10empty_typeENS0_5tupleIJS8_S9_EEENSB_IJS8_SA_EEENS0_18inequality_wrapperIZN2at6native12_GLOBAL__N_124unique_dim_cuda_templateIdEESt5tupleIJNSF_6TensorESK_SK_EERKSK_lbbbEUlllE0_EEPmJS9_EEE10hipError_tPvRmT3_T4_T5_T6_T7_T9_mT8_P12ihipStream_tbDpT10_ENKUlT_T0_E_clISt17integral_constantIbLb1EES1A_EEDaS15_S16_EUlS15_E_NS1_11comp_targetILNS1_3genE0ELNS1_11target_archE4294967295ELNS1_3gpuE0ELNS1_3repE0EEENS1_30default_config_static_selectorELNS0_4arch9wavefront6targetE0EEEvT1_
		.amdhsa_group_segment_fixed_size 0
		.amdhsa_private_segment_fixed_size 0
		.amdhsa_kernarg_size 136
		.amdhsa_user_sgpr_count 2
		.amdhsa_user_sgpr_dispatch_ptr 0
		.amdhsa_user_sgpr_queue_ptr 0
		.amdhsa_user_sgpr_kernarg_segment_ptr 1
		.amdhsa_user_sgpr_dispatch_id 0
		.amdhsa_user_sgpr_kernarg_preload_length 0
		.amdhsa_user_sgpr_kernarg_preload_offset 0
		.amdhsa_user_sgpr_private_segment_size 0
		.amdhsa_wavefront_size32 1
		.amdhsa_uses_dynamic_stack 0
		.amdhsa_enable_private_segment 0
		.amdhsa_system_sgpr_workgroup_id_x 1
		.amdhsa_system_sgpr_workgroup_id_y 0
		.amdhsa_system_sgpr_workgroup_id_z 0
		.amdhsa_system_sgpr_workgroup_info 0
		.amdhsa_system_vgpr_workitem_id 0
		.amdhsa_next_free_vgpr 1
		.amdhsa_next_free_sgpr 1
		.amdhsa_named_barrier_count 0
		.amdhsa_reserve_vcc 0
		.amdhsa_float_round_mode_32 0
		.amdhsa_float_round_mode_16_64 0
		.amdhsa_float_denorm_mode_32 3
		.amdhsa_float_denorm_mode_16_64 3
		.amdhsa_fp16_overflow 0
		.amdhsa_memory_ordered 1
		.amdhsa_forward_progress 1
		.amdhsa_inst_pref_size 1
		.amdhsa_round_robin_scheduling 0
		.amdhsa_exception_fp_ieee_invalid_op 0
		.amdhsa_exception_fp_denorm_src 0
		.amdhsa_exception_fp_ieee_div_zero 0
		.amdhsa_exception_fp_ieee_overflow 0
		.amdhsa_exception_fp_ieee_underflow 0
		.amdhsa_exception_fp_ieee_inexact 0
		.amdhsa_exception_int_div_zero 0
	.end_amdhsa_kernel
	.section	.text._ZN7rocprim17ROCPRIM_400000_NS6detail17trampoline_kernelINS0_14default_configENS1_25partition_config_selectorILNS1_17partition_subalgoE9EllbEEZZNS1_14partition_implILS5_9ELb0ES3_jPlS8_PNS0_10empty_typeENS0_5tupleIJS8_S9_EEENSB_IJS8_SA_EEENS0_18inequality_wrapperIZN2at6native12_GLOBAL__N_124unique_dim_cuda_templateIdEESt5tupleIJNSF_6TensorESK_SK_EERKSK_lbbbEUlllE0_EEPmJS9_EEE10hipError_tPvRmT3_T4_T5_T6_T7_T9_mT8_P12ihipStream_tbDpT10_ENKUlT_T0_E_clISt17integral_constantIbLb1EES1A_EEDaS15_S16_EUlS15_E_NS1_11comp_targetILNS1_3genE0ELNS1_11target_archE4294967295ELNS1_3gpuE0ELNS1_3repE0EEENS1_30default_config_static_selectorELNS0_4arch9wavefront6targetE0EEEvT1_,"axG",@progbits,_ZN7rocprim17ROCPRIM_400000_NS6detail17trampoline_kernelINS0_14default_configENS1_25partition_config_selectorILNS1_17partition_subalgoE9EllbEEZZNS1_14partition_implILS5_9ELb0ES3_jPlS8_PNS0_10empty_typeENS0_5tupleIJS8_S9_EEENSB_IJS8_SA_EEENS0_18inequality_wrapperIZN2at6native12_GLOBAL__N_124unique_dim_cuda_templateIdEESt5tupleIJNSF_6TensorESK_SK_EERKSK_lbbbEUlllE0_EEPmJS9_EEE10hipError_tPvRmT3_T4_T5_T6_T7_T9_mT8_P12ihipStream_tbDpT10_ENKUlT_T0_E_clISt17integral_constantIbLb1EES1A_EEDaS15_S16_EUlS15_E_NS1_11comp_targetILNS1_3genE0ELNS1_11target_archE4294967295ELNS1_3gpuE0ELNS1_3repE0EEENS1_30default_config_static_selectorELNS0_4arch9wavefront6targetE0EEEvT1_,comdat
.Lfunc_end847:
	.size	_ZN7rocprim17ROCPRIM_400000_NS6detail17trampoline_kernelINS0_14default_configENS1_25partition_config_selectorILNS1_17partition_subalgoE9EllbEEZZNS1_14partition_implILS5_9ELb0ES3_jPlS8_PNS0_10empty_typeENS0_5tupleIJS8_S9_EEENSB_IJS8_SA_EEENS0_18inequality_wrapperIZN2at6native12_GLOBAL__N_124unique_dim_cuda_templateIdEESt5tupleIJNSF_6TensorESK_SK_EERKSK_lbbbEUlllE0_EEPmJS9_EEE10hipError_tPvRmT3_T4_T5_T6_T7_T9_mT8_P12ihipStream_tbDpT10_ENKUlT_T0_E_clISt17integral_constantIbLb1EES1A_EEDaS15_S16_EUlS15_E_NS1_11comp_targetILNS1_3genE0ELNS1_11target_archE4294967295ELNS1_3gpuE0ELNS1_3repE0EEENS1_30default_config_static_selectorELNS0_4arch9wavefront6targetE0EEEvT1_, .Lfunc_end847-_ZN7rocprim17ROCPRIM_400000_NS6detail17trampoline_kernelINS0_14default_configENS1_25partition_config_selectorILNS1_17partition_subalgoE9EllbEEZZNS1_14partition_implILS5_9ELb0ES3_jPlS8_PNS0_10empty_typeENS0_5tupleIJS8_S9_EEENSB_IJS8_SA_EEENS0_18inequality_wrapperIZN2at6native12_GLOBAL__N_124unique_dim_cuda_templateIdEESt5tupleIJNSF_6TensorESK_SK_EERKSK_lbbbEUlllE0_EEPmJS9_EEE10hipError_tPvRmT3_T4_T5_T6_T7_T9_mT8_P12ihipStream_tbDpT10_ENKUlT_T0_E_clISt17integral_constantIbLb1EES1A_EEDaS15_S16_EUlS15_E_NS1_11comp_targetILNS1_3genE0ELNS1_11target_archE4294967295ELNS1_3gpuE0ELNS1_3repE0EEENS1_30default_config_static_selectorELNS0_4arch9wavefront6targetE0EEEvT1_
                                        ; -- End function
	.set _ZN7rocprim17ROCPRIM_400000_NS6detail17trampoline_kernelINS0_14default_configENS1_25partition_config_selectorILNS1_17partition_subalgoE9EllbEEZZNS1_14partition_implILS5_9ELb0ES3_jPlS8_PNS0_10empty_typeENS0_5tupleIJS8_S9_EEENSB_IJS8_SA_EEENS0_18inequality_wrapperIZN2at6native12_GLOBAL__N_124unique_dim_cuda_templateIdEESt5tupleIJNSF_6TensorESK_SK_EERKSK_lbbbEUlllE0_EEPmJS9_EEE10hipError_tPvRmT3_T4_T5_T6_T7_T9_mT8_P12ihipStream_tbDpT10_ENKUlT_T0_E_clISt17integral_constantIbLb1EES1A_EEDaS15_S16_EUlS15_E_NS1_11comp_targetILNS1_3genE0ELNS1_11target_archE4294967295ELNS1_3gpuE0ELNS1_3repE0EEENS1_30default_config_static_selectorELNS0_4arch9wavefront6targetE0EEEvT1_.num_vgpr, 0
	.set _ZN7rocprim17ROCPRIM_400000_NS6detail17trampoline_kernelINS0_14default_configENS1_25partition_config_selectorILNS1_17partition_subalgoE9EllbEEZZNS1_14partition_implILS5_9ELb0ES3_jPlS8_PNS0_10empty_typeENS0_5tupleIJS8_S9_EEENSB_IJS8_SA_EEENS0_18inequality_wrapperIZN2at6native12_GLOBAL__N_124unique_dim_cuda_templateIdEESt5tupleIJNSF_6TensorESK_SK_EERKSK_lbbbEUlllE0_EEPmJS9_EEE10hipError_tPvRmT3_T4_T5_T6_T7_T9_mT8_P12ihipStream_tbDpT10_ENKUlT_T0_E_clISt17integral_constantIbLb1EES1A_EEDaS15_S16_EUlS15_E_NS1_11comp_targetILNS1_3genE0ELNS1_11target_archE4294967295ELNS1_3gpuE0ELNS1_3repE0EEENS1_30default_config_static_selectorELNS0_4arch9wavefront6targetE0EEEvT1_.num_agpr, 0
	.set _ZN7rocprim17ROCPRIM_400000_NS6detail17trampoline_kernelINS0_14default_configENS1_25partition_config_selectorILNS1_17partition_subalgoE9EllbEEZZNS1_14partition_implILS5_9ELb0ES3_jPlS8_PNS0_10empty_typeENS0_5tupleIJS8_S9_EEENSB_IJS8_SA_EEENS0_18inequality_wrapperIZN2at6native12_GLOBAL__N_124unique_dim_cuda_templateIdEESt5tupleIJNSF_6TensorESK_SK_EERKSK_lbbbEUlllE0_EEPmJS9_EEE10hipError_tPvRmT3_T4_T5_T6_T7_T9_mT8_P12ihipStream_tbDpT10_ENKUlT_T0_E_clISt17integral_constantIbLb1EES1A_EEDaS15_S16_EUlS15_E_NS1_11comp_targetILNS1_3genE0ELNS1_11target_archE4294967295ELNS1_3gpuE0ELNS1_3repE0EEENS1_30default_config_static_selectorELNS0_4arch9wavefront6targetE0EEEvT1_.numbered_sgpr, 0
	.set _ZN7rocprim17ROCPRIM_400000_NS6detail17trampoline_kernelINS0_14default_configENS1_25partition_config_selectorILNS1_17partition_subalgoE9EllbEEZZNS1_14partition_implILS5_9ELb0ES3_jPlS8_PNS0_10empty_typeENS0_5tupleIJS8_S9_EEENSB_IJS8_SA_EEENS0_18inequality_wrapperIZN2at6native12_GLOBAL__N_124unique_dim_cuda_templateIdEESt5tupleIJNSF_6TensorESK_SK_EERKSK_lbbbEUlllE0_EEPmJS9_EEE10hipError_tPvRmT3_T4_T5_T6_T7_T9_mT8_P12ihipStream_tbDpT10_ENKUlT_T0_E_clISt17integral_constantIbLb1EES1A_EEDaS15_S16_EUlS15_E_NS1_11comp_targetILNS1_3genE0ELNS1_11target_archE4294967295ELNS1_3gpuE0ELNS1_3repE0EEENS1_30default_config_static_selectorELNS0_4arch9wavefront6targetE0EEEvT1_.num_named_barrier, 0
	.set _ZN7rocprim17ROCPRIM_400000_NS6detail17trampoline_kernelINS0_14default_configENS1_25partition_config_selectorILNS1_17partition_subalgoE9EllbEEZZNS1_14partition_implILS5_9ELb0ES3_jPlS8_PNS0_10empty_typeENS0_5tupleIJS8_S9_EEENSB_IJS8_SA_EEENS0_18inequality_wrapperIZN2at6native12_GLOBAL__N_124unique_dim_cuda_templateIdEESt5tupleIJNSF_6TensorESK_SK_EERKSK_lbbbEUlllE0_EEPmJS9_EEE10hipError_tPvRmT3_T4_T5_T6_T7_T9_mT8_P12ihipStream_tbDpT10_ENKUlT_T0_E_clISt17integral_constantIbLb1EES1A_EEDaS15_S16_EUlS15_E_NS1_11comp_targetILNS1_3genE0ELNS1_11target_archE4294967295ELNS1_3gpuE0ELNS1_3repE0EEENS1_30default_config_static_selectorELNS0_4arch9wavefront6targetE0EEEvT1_.private_seg_size, 0
	.set _ZN7rocprim17ROCPRIM_400000_NS6detail17trampoline_kernelINS0_14default_configENS1_25partition_config_selectorILNS1_17partition_subalgoE9EllbEEZZNS1_14partition_implILS5_9ELb0ES3_jPlS8_PNS0_10empty_typeENS0_5tupleIJS8_S9_EEENSB_IJS8_SA_EEENS0_18inequality_wrapperIZN2at6native12_GLOBAL__N_124unique_dim_cuda_templateIdEESt5tupleIJNSF_6TensorESK_SK_EERKSK_lbbbEUlllE0_EEPmJS9_EEE10hipError_tPvRmT3_T4_T5_T6_T7_T9_mT8_P12ihipStream_tbDpT10_ENKUlT_T0_E_clISt17integral_constantIbLb1EES1A_EEDaS15_S16_EUlS15_E_NS1_11comp_targetILNS1_3genE0ELNS1_11target_archE4294967295ELNS1_3gpuE0ELNS1_3repE0EEENS1_30default_config_static_selectorELNS0_4arch9wavefront6targetE0EEEvT1_.uses_vcc, 0
	.set _ZN7rocprim17ROCPRIM_400000_NS6detail17trampoline_kernelINS0_14default_configENS1_25partition_config_selectorILNS1_17partition_subalgoE9EllbEEZZNS1_14partition_implILS5_9ELb0ES3_jPlS8_PNS0_10empty_typeENS0_5tupleIJS8_S9_EEENSB_IJS8_SA_EEENS0_18inequality_wrapperIZN2at6native12_GLOBAL__N_124unique_dim_cuda_templateIdEESt5tupleIJNSF_6TensorESK_SK_EERKSK_lbbbEUlllE0_EEPmJS9_EEE10hipError_tPvRmT3_T4_T5_T6_T7_T9_mT8_P12ihipStream_tbDpT10_ENKUlT_T0_E_clISt17integral_constantIbLb1EES1A_EEDaS15_S16_EUlS15_E_NS1_11comp_targetILNS1_3genE0ELNS1_11target_archE4294967295ELNS1_3gpuE0ELNS1_3repE0EEENS1_30default_config_static_selectorELNS0_4arch9wavefront6targetE0EEEvT1_.uses_flat_scratch, 0
	.set _ZN7rocprim17ROCPRIM_400000_NS6detail17trampoline_kernelINS0_14default_configENS1_25partition_config_selectorILNS1_17partition_subalgoE9EllbEEZZNS1_14partition_implILS5_9ELb0ES3_jPlS8_PNS0_10empty_typeENS0_5tupleIJS8_S9_EEENSB_IJS8_SA_EEENS0_18inequality_wrapperIZN2at6native12_GLOBAL__N_124unique_dim_cuda_templateIdEESt5tupleIJNSF_6TensorESK_SK_EERKSK_lbbbEUlllE0_EEPmJS9_EEE10hipError_tPvRmT3_T4_T5_T6_T7_T9_mT8_P12ihipStream_tbDpT10_ENKUlT_T0_E_clISt17integral_constantIbLb1EES1A_EEDaS15_S16_EUlS15_E_NS1_11comp_targetILNS1_3genE0ELNS1_11target_archE4294967295ELNS1_3gpuE0ELNS1_3repE0EEENS1_30default_config_static_selectorELNS0_4arch9wavefront6targetE0EEEvT1_.has_dyn_sized_stack, 0
	.set _ZN7rocprim17ROCPRIM_400000_NS6detail17trampoline_kernelINS0_14default_configENS1_25partition_config_selectorILNS1_17partition_subalgoE9EllbEEZZNS1_14partition_implILS5_9ELb0ES3_jPlS8_PNS0_10empty_typeENS0_5tupleIJS8_S9_EEENSB_IJS8_SA_EEENS0_18inequality_wrapperIZN2at6native12_GLOBAL__N_124unique_dim_cuda_templateIdEESt5tupleIJNSF_6TensorESK_SK_EERKSK_lbbbEUlllE0_EEPmJS9_EEE10hipError_tPvRmT3_T4_T5_T6_T7_T9_mT8_P12ihipStream_tbDpT10_ENKUlT_T0_E_clISt17integral_constantIbLb1EES1A_EEDaS15_S16_EUlS15_E_NS1_11comp_targetILNS1_3genE0ELNS1_11target_archE4294967295ELNS1_3gpuE0ELNS1_3repE0EEENS1_30default_config_static_selectorELNS0_4arch9wavefront6targetE0EEEvT1_.has_recursion, 0
	.set _ZN7rocprim17ROCPRIM_400000_NS6detail17trampoline_kernelINS0_14default_configENS1_25partition_config_selectorILNS1_17partition_subalgoE9EllbEEZZNS1_14partition_implILS5_9ELb0ES3_jPlS8_PNS0_10empty_typeENS0_5tupleIJS8_S9_EEENSB_IJS8_SA_EEENS0_18inequality_wrapperIZN2at6native12_GLOBAL__N_124unique_dim_cuda_templateIdEESt5tupleIJNSF_6TensorESK_SK_EERKSK_lbbbEUlllE0_EEPmJS9_EEE10hipError_tPvRmT3_T4_T5_T6_T7_T9_mT8_P12ihipStream_tbDpT10_ENKUlT_T0_E_clISt17integral_constantIbLb1EES1A_EEDaS15_S16_EUlS15_E_NS1_11comp_targetILNS1_3genE0ELNS1_11target_archE4294967295ELNS1_3gpuE0ELNS1_3repE0EEENS1_30default_config_static_selectorELNS0_4arch9wavefront6targetE0EEEvT1_.has_indirect_call, 0
	.section	.AMDGPU.csdata,"",@progbits
; Kernel info:
; codeLenInByte = 4
; TotalNumSgprs: 0
; NumVgprs: 0
; ScratchSize: 0
; MemoryBound: 0
; FloatMode: 240
; IeeeMode: 1
; LDSByteSize: 0 bytes/workgroup (compile time only)
; SGPRBlocks: 0
; VGPRBlocks: 0
; NumSGPRsForWavesPerEU: 1
; NumVGPRsForWavesPerEU: 1
; NamedBarCnt: 0
; Occupancy: 16
; WaveLimiterHint : 0
; COMPUTE_PGM_RSRC2:SCRATCH_EN: 0
; COMPUTE_PGM_RSRC2:USER_SGPR: 2
; COMPUTE_PGM_RSRC2:TRAP_HANDLER: 0
; COMPUTE_PGM_RSRC2:TGID_X_EN: 1
; COMPUTE_PGM_RSRC2:TGID_Y_EN: 0
; COMPUTE_PGM_RSRC2:TGID_Z_EN: 0
; COMPUTE_PGM_RSRC2:TIDIG_COMP_CNT: 0
	.section	.text._ZN7rocprim17ROCPRIM_400000_NS6detail17trampoline_kernelINS0_14default_configENS1_25partition_config_selectorILNS1_17partition_subalgoE9EllbEEZZNS1_14partition_implILS5_9ELb0ES3_jPlS8_PNS0_10empty_typeENS0_5tupleIJS8_S9_EEENSB_IJS8_SA_EEENS0_18inequality_wrapperIZN2at6native12_GLOBAL__N_124unique_dim_cuda_templateIdEESt5tupleIJNSF_6TensorESK_SK_EERKSK_lbbbEUlllE0_EEPmJS9_EEE10hipError_tPvRmT3_T4_T5_T6_T7_T9_mT8_P12ihipStream_tbDpT10_ENKUlT_T0_E_clISt17integral_constantIbLb1EES1A_EEDaS15_S16_EUlS15_E_NS1_11comp_targetILNS1_3genE5ELNS1_11target_archE942ELNS1_3gpuE9ELNS1_3repE0EEENS1_30default_config_static_selectorELNS0_4arch9wavefront6targetE0EEEvT1_,"axG",@progbits,_ZN7rocprim17ROCPRIM_400000_NS6detail17trampoline_kernelINS0_14default_configENS1_25partition_config_selectorILNS1_17partition_subalgoE9EllbEEZZNS1_14partition_implILS5_9ELb0ES3_jPlS8_PNS0_10empty_typeENS0_5tupleIJS8_S9_EEENSB_IJS8_SA_EEENS0_18inequality_wrapperIZN2at6native12_GLOBAL__N_124unique_dim_cuda_templateIdEESt5tupleIJNSF_6TensorESK_SK_EERKSK_lbbbEUlllE0_EEPmJS9_EEE10hipError_tPvRmT3_T4_T5_T6_T7_T9_mT8_P12ihipStream_tbDpT10_ENKUlT_T0_E_clISt17integral_constantIbLb1EES1A_EEDaS15_S16_EUlS15_E_NS1_11comp_targetILNS1_3genE5ELNS1_11target_archE942ELNS1_3gpuE9ELNS1_3repE0EEENS1_30default_config_static_selectorELNS0_4arch9wavefront6targetE0EEEvT1_,comdat
	.globl	_ZN7rocprim17ROCPRIM_400000_NS6detail17trampoline_kernelINS0_14default_configENS1_25partition_config_selectorILNS1_17partition_subalgoE9EllbEEZZNS1_14partition_implILS5_9ELb0ES3_jPlS8_PNS0_10empty_typeENS0_5tupleIJS8_S9_EEENSB_IJS8_SA_EEENS0_18inequality_wrapperIZN2at6native12_GLOBAL__N_124unique_dim_cuda_templateIdEESt5tupleIJNSF_6TensorESK_SK_EERKSK_lbbbEUlllE0_EEPmJS9_EEE10hipError_tPvRmT3_T4_T5_T6_T7_T9_mT8_P12ihipStream_tbDpT10_ENKUlT_T0_E_clISt17integral_constantIbLb1EES1A_EEDaS15_S16_EUlS15_E_NS1_11comp_targetILNS1_3genE5ELNS1_11target_archE942ELNS1_3gpuE9ELNS1_3repE0EEENS1_30default_config_static_selectorELNS0_4arch9wavefront6targetE0EEEvT1_ ; -- Begin function _ZN7rocprim17ROCPRIM_400000_NS6detail17trampoline_kernelINS0_14default_configENS1_25partition_config_selectorILNS1_17partition_subalgoE9EllbEEZZNS1_14partition_implILS5_9ELb0ES3_jPlS8_PNS0_10empty_typeENS0_5tupleIJS8_S9_EEENSB_IJS8_SA_EEENS0_18inequality_wrapperIZN2at6native12_GLOBAL__N_124unique_dim_cuda_templateIdEESt5tupleIJNSF_6TensorESK_SK_EERKSK_lbbbEUlllE0_EEPmJS9_EEE10hipError_tPvRmT3_T4_T5_T6_T7_T9_mT8_P12ihipStream_tbDpT10_ENKUlT_T0_E_clISt17integral_constantIbLb1EES1A_EEDaS15_S16_EUlS15_E_NS1_11comp_targetILNS1_3genE5ELNS1_11target_archE942ELNS1_3gpuE9ELNS1_3repE0EEENS1_30default_config_static_selectorELNS0_4arch9wavefront6targetE0EEEvT1_
	.p2align	8
	.type	_ZN7rocprim17ROCPRIM_400000_NS6detail17trampoline_kernelINS0_14default_configENS1_25partition_config_selectorILNS1_17partition_subalgoE9EllbEEZZNS1_14partition_implILS5_9ELb0ES3_jPlS8_PNS0_10empty_typeENS0_5tupleIJS8_S9_EEENSB_IJS8_SA_EEENS0_18inequality_wrapperIZN2at6native12_GLOBAL__N_124unique_dim_cuda_templateIdEESt5tupleIJNSF_6TensorESK_SK_EERKSK_lbbbEUlllE0_EEPmJS9_EEE10hipError_tPvRmT3_T4_T5_T6_T7_T9_mT8_P12ihipStream_tbDpT10_ENKUlT_T0_E_clISt17integral_constantIbLb1EES1A_EEDaS15_S16_EUlS15_E_NS1_11comp_targetILNS1_3genE5ELNS1_11target_archE942ELNS1_3gpuE9ELNS1_3repE0EEENS1_30default_config_static_selectorELNS0_4arch9wavefront6targetE0EEEvT1_,@function
_ZN7rocprim17ROCPRIM_400000_NS6detail17trampoline_kernelINS0_14default_configENS1_25partition_config_selectorILNS1_17partition_subalgoE9EllbEEZZNS1_14partition_implILS5_9ELb0ES3_jPlS8_PNS0_10empty_typeENS0_5tupleIJS8_S9_EEENSB_IJS8_SA_EEENS0_18inequality_wrapperIZN2at6native12_GLOBAL__N_124unique_dim_cuda_templateIdEESt5tupleIJNSF_6TensorESK_SK_EERKSK_lbbbEUlllE0_EEPmJS9_EEE10hipError_tPvRmT3_T4_T5_T6_T7_T9_mT8_P12ihipStream_tbDpT10_ENKUlT_T0_E_clISt17integral_constantIbLb1EES1A_EEDaS15_S16_EUlS15_E_NS1_11comp_targetILNS1_3genE5ELNS1_11target_archE942ELNS1_3gpuE9ELNS1_3repE0EEENS1_30default_config_static_selectorELNS0_4arch9wavefront6targetE0EEEvT1_: ; @_ZN7rocprim17ROCPRIM_400000_NS6detail17trampoline_kernelINS0_14default_configENS1_25partition_config_selectorILNS1_17partition_subalgoE9EllbEEZZNS1_14partition_implILS5_9ELb0ES3_jPlS8_PNS0_10empty_typeENS0_5tupleIJS8_S9_EEENSB_IJS8_SA_EEENS0_18inequality_wrapperIZN2at6native12_GLOBAL__N_124unique_dim_cuda_templateIdEESt5tupleIJNSF_6TensorESK_SK_EERKSK_lbbbEUlllE0_EEPmJS9_EEE10hipError_tPvRmT3_T4_T5_T6_T7_T9_mT8_P12ihipStream_tbDpT10_ENKUlT_T0_E_clISt17integral_constantIbLb1EES1A_EEDaS15_S16_EUlS15_E_NS1_11comp_targetILNS1_3genE5ELNS1_11target_archE942ELNS1_3gpuE9ELNS1_3repE0EEENS1_30default_config_static_selectorELNS0_4arch9wavefront6targetE0EEEvT1_
; %bb.0:
	.section	.rodata,"a",@progbits
	.p2align	6, 0x0
	.amdhsa_kernel _ZN7rocprim17ROCPRIM_400000_NS6detail17trampoline_kernelINS0_14default_configENS1_25partition_config_selectorILNS1_17partition_subalgoE9EllbEEZZNS1_14partition_implILS5_9ELb0ES3_jPlS8_PNS0_10empty_typeENS0_5tupleIJS8_S9_EEENSB_IJS8_SA_EEENS0_18inequality_wrapperIZN2at6native12_GLOBAL__N_124unique_dim_cuda_templateIdEESt5tupleIJNSF_6TensorESK_SK_EERKSK_lbbbEUlllE0_EEPmJS9_EEE10hipError_tPvRmT3_T4_T5_T6_T7_T9_mT8_P12ihipStream_tbDpT10_ENKUlT_T0_E_clISt17integral_constantIbLb1EES1A_EEDaS15_S16_EUlS15_E_NS1_11comp_targetILNS1_3genE5ELNS1_11target_archE942ELNS1_3gpuE9ELNS1_3repE0EEENS1_30default_config_static_selectorELNS0_4arch9wavefront6targetE0EEEvT1_
		.amdhsa_group_segment_fixed_size 0
		.amdhsa_private_segment_fixed_size 0
		.amdhsa_kernarg_size 136
		.amdhsa_user_sgpr_count 2
		.amdhsa_user_sgpr_dispatch_ptr 0
		.amdhsa_user_sgpr_queue_ptr 0
		.amdhsa_user_sgpr_kernarg_segment_ptr 1
		.amdhsa_user_sgpr_dispatch_id 0
		.amdhsa_user_sgpr_kernarg_preload_length 0
		.amdhsa_user_sgpr_kernarg_preload_offset 0
		.amdhsa_user_sgpr_private_segment_size 0
		.amdhsa_wavefront_size32 1
		.amdhsa_uses_dynamic_stack 0
		.amdhsa_enable_private_segment 0
		.amdhsa_system_sgpr_workgroup_id_x 1
		.amdhsa_system_sgpr_workgroup_id_y 0
		.amdhsa_system_sgpr_workgroup_id_z 0
		.amdhsa_system_sgpr_workgroup_info 0
		.amdhsa_system_vgpr_workitem_id 0
		.amdhsa_next_free_vgpr 1
		.amdhsa_next_free_sgpr 1
		.amdhsa_named_barrier_count 0
		.amdhsa_reserve_vcc 0
		.amdhsa_float_round_mode_32 0
		.amdhsa_float_round_mode_16_64 0
		.amdhsa_float_denorm_mode_32 3
		.amdhsa_float_denorm_mode_16_64 3
		.amdhsa_fp16_overflow 0
		.amdhsa_memory_ordered 1
		.amdhsa_forward_progress 1
		.amdhsa_inst_pref_size 0
		.amdhsa_round_robin_scheduling 0
		.amdhsa_exception_fp_ieee_invalid_op 0
		.amdhsa_exception_fp_denorm_src 0
		.amdhsa_exception_fp_ieee_div_zero 0
		.amdhsa_exception_fp_ieee_overflow 0
		.amdhsa_exception_fp_ieee_underflow 0
		.amdhsa_exception_fp_ieee_inexact 0
		.amdhsa_exception_int_div_zero 0
	.end_amdhsa_kernel
	.section	.text._ZN7rocprim17ROCPRIM_400000_NS6detail17trampoline_kernelINS0_14default_configENS1_25partition_config_selectorILNS1_17partition_subalgoE9EllbEEZZNS1_14partition_implILS5_9ELb0ES3_jPlS8_PNS0_10empty_typeENS0_5tupleIJS8_S9_EEENSB_IJS8_SA_EEENS0_18inequality_wrapperIZN2at6native12_GLOBAL__N_124unique_dim_cuda_templateIdEESt5tupleIJNSF_6TensorESK_SK_EERKSK_lbbbEUlllE0_EEPmJS9_EEE10hipError_tPvRmT3_T4_T5_T6_T7_T9_mT8_P12ihipStream_tbDpT10_ENKUlT_T0_E_clISt17integral_constantIbLb1EES1A_EEDaS15_S16_EUlS15_E_NS1_11comp_targetILNS1_3genE5ELNS1_11target_archE942ELNS1_3gpuE9ELNS1_3repE0EEENS1_30default_config_static_selectorELNS0_4arch9wavefront6targetE0EEEvT1_,"axG",@progbits,_ZN7rocprim17ROCPRIM_400000_NS6detail17trampoline_kernelINS0_14default_configENS1_25partition_config_selectorILNS1_17partition_subalgoE9EllbEEZZNS1_14partition_implILS5_9ELb0ES3_jPlS8_PNS0_10empty_typeENS0_5tupleIJS8_S9_EEENSB_IJS8_SA_EEENS0_18inequality_wrapperIZN2at6native12_GLOBAL__N_124unique_dim_cuda_templateIdEESt5tupleIJNSF_6TensorESK_SK_EERKSK_lbbbEUlllE0_EEPmJS9_EEE10hipError_tPvRmT3_T4_T5_T6_T7_T9_mT8_P12ihipStream_tbDpT10_ENKUlT_T0_E_clISt17integral_constantIbLb1EES1A_EEDaS15_S16_EUlS15_E_NS1_11comp_targetILNS1_3genE5ELNS1_11target_archE942ELNS1_3gpuE9ELNS1_3repE0EEENS1_30default_config_static_selectorELNS0_4arch9wavefront6targetE0EEEvT1_,comdat
.Lfunc_end848:
	.size	_ZN7rocprim17ROCPRIM_400000_NS6detail17trampoline_kernelINS0_14default_configENS1_25partition_config_selectorILNS1_17partition_subalgoE9EllbEEZZNS1_14partition_implILS5_9ELb0ES3_jPlS8_PNS0_10empty_typeENS0_5tupleIJS8_S9_EEENSB_IJS8_SA_EEENS0_18inequality_wrapperIZN2at6native12_GLOBAL__N_124unique_dim_cuda_templateIdEESt5tupleIJNSF_6TensorESK_SK_EERKSK_lbbbEUlllE0_EEPmJS9_EEE10hipError_tPvRmT3_T4_T5_T6_T7_T9_mT8_P12ihipStream_tbDpT10_ENKUlT_T0_E_clISt17integral_constantIbLb1EES1A_EEDaS15_S16_EUlS15_E_NS1_11comp_targetILNS1_3genE5ELNS1_11target_archE942ELNS1_3gpuE9ELNS1_3repE0EEENS1_30default_config_static_selectorELNS0_4arch9wavefront6targetE0EEEvT1_, .Lfunc_end848-_ZN7rocprim17ROCPRIM_400000_NS6detail17trampoline_kernelINS0_14default_configENS1_25partition_config_selectorILNS1_17partition_subalgoE9EllbEEZZNS1_14partition_implILS5_9ELb0ES3_jPlS8_PNS0_10empty_typeENS0_5tupleIJS8_S9_EEENSB_IJS8_SA_EEENS0_18inequality_wrapperIZN2at6native12_GLOBAL__N_124unique_dim_cuda_templateIdEESt5tupleIJNSF_6TensorESK_SK_EERKSK_lbbbEUlllE0_EEPmJS9_EEE10hipError_tPvRmT3_T4_T5_T6_T7_T9_mT8_P12ihipStream_tbDpT10_ENKUlT_T0_E_clISt17integral_constantIbLb1EES1A_EEDaS15_S16_EUlS15_E_NS1_11comp_targetILNS1_3genE5ELNS1_11target_archE942ELNS1_3gpuE9ELNS1_3repE0EEENS1_30default_config_static_selectorELNS0_4arch9wavefront6targetE0EEEvT1_
                                        ; -- End function
	.set _ZN7rocprim17ROCPRIM_400000_NS6detail17trampoline_kernelINS0_14default_configENS1_25partition_config_selectorILNS1_17partition_subalgoE9EllbEEZZNS1_14partition_implILS5_9ELb0ES3_jPlS8_PNS0_10empty_typeENS0_5tupleIJS8_S9_EEENSB_IJS8_SA_EEENS0_18inequality_wrapperIZN2at6native12_GLOBAL__N_124unique_dim_cuda_templateIdEESt5tupleIJNSF_6TensorESK_SK_EERKSK_lbbbEUlllE0_EEPmJS9_EEE10hipError_tPvRmT3_T4_T5_T6_T7_T9_mT8_P12ihipStream_tbDpT10_ENKUlT_T0_E_clISt17integral_constantIbLb1EES1A_EEDaS15_S16_EUlS15_E_NS1_11comp_targetILNS1_3genE5ELNS1_11target_archE942ELNS1_3gpuE9ELNS1_3repE0EEENS1_30default_config_static_selectorELNS0_4arch9wavefront6targetE0EEEvT1_.num_vgpr, 0
	.set _ZN7rocprim17ROCPRIM_400000_NS6detail17trampoline_kernelINS0_14default_configENS1_25partition_config_selectorILNS1_17partition_subalgoE9EllbEEZZNS1_14partition_implILS5_9ELb0ES3_jPlS8_PNS0_10empty_typeENS0_5tupleIJS8_S9_EEENSB_IJS8_SA_EEENS0_18inequality_wrapperIZN2at6native12_GLOBAL__N_124unique_dim_cuda_templateIdEESt5tupleIJNSF_6TensorESK_SK_EERKSK_lbbbEUlllE0_EEPmJS9_EEE10hipError_tPvRmT3_T4_T5_T6_T7_T9_mT8_P12ihipStream_tbDpT10_ENKUlT_T0_E_clISt17integral_constantIbLb1EES1A_EEDaS15_S16_EUlS15_E_NS1_11comp_targetILNS1_3genE5ELNS1_11target_archE942ELNS1_3gpuE9ELNS1_3repE0EEENS1_30default_config_static_selectorELNS0_4arch9wavefront6targetE0EEEvT1_.num_agpr, 0
	.set _ZN7rocprim17ROCPRIM_400000_NS6detail17trampoline_kernelINS0_14default_configENS1_25partition_config_selectorILNS1_17partition_subalgoE9EllbEEZZNS1_14partition_implILS5_9ELb0ES3_jPlS8_PNS0_10empty_typeENS0_5tupleIJS8_S9_EEENSB_IJS8_SA_EEENS0_18inequality_wrapperIZN2at6native12_GLOBAL__N_124unique_dim_cuda_templateIdEESt5tupleIJNSF_6TensorESK_SK_EERKSK_lbbbEUlllE0_EEPmJS9_EEE10hipError_tPvRmT3_T4_T5_T6_T7_T9_mT8_P12ihipStream_tbDpT10_ENKUlT_T0_E_clISt17integral_constantIbLb1EES1A_EEDaS15_S16_EUlS15_E_NS1_11comp_targetILNS1_3genE5ELNS1_11target_archE942ELNS1_3gpuE9ELNS1_3repE0EEENS1_30default_config_static_selectorELNS0_4arch9wavefront6targetE0EEEvT1_.numbered_sgpr, 0
	.set _ZN7rocprim17ROCPRIM_400000_NS6detail17trampoline_kernelINS0_14default_configENS1_25partition_config_selectorILNS1_17partition_subalgoE9EllbEEZZNS1_14partition_implILS5_9ELb0ES3_jPlS8_PNS0_10empty_typeENS0_5tupleIJS8_S9_EEENSB_IJS8_SA_EEENS0_18inequality_wrapperIZN2at6native12_GLOBAL__N_124unique_dim_cuda_templateIdEESt5tupleIJNSF_6TensorESK_SK_EERKSK_lbbbEUlllE0_EEPmJS9_EEE10hipError_tPvRmT3_T4_T5_T6_T7_T9_mT8_P12ihipStream_tbDpT10_ENKUlT_T0_E_clISt17integral_constantIbLb1EES1A_EEDaS15_S16_EUlS15_E_NS1_11comp_targetILNS1_3genE5ELNS1_11target_archE942ELNS1_3gpuE9ELNS1_3repE0EEENS1_30default_config_static_selectorELNS0_4arch9wavefront6targetE0EEEvT1_.num_named_barrier, 0
	.set _ZN7rocprim17ROCPRIM_400000_NS6detail17trampoline_kernelINS0_14default_configENS1_25partition_config_selectorILNS1_17partition_subalgoE9EllbEEZZNS1_14partition_implILS5_9ELb0ES3_jPlS8_PNS0_10empty_typeENS0_5tupleIJS8_S9_EEENSB_IJS8_SA_EEENS0_18inequality_wrapperIZN2at6native12_GLOBAL__N_124unique_dim_cuda_templateIdEESt5tupleIJNSF_6TensorESK_SK_EERKSK_lbbbEUlllE0_EEPmJS9_EEE10hipError_tPvRmT3_T4_T5_T6_T7_T9_mT8_P12ihipStream_tbDpT10_ENKUlT_T0_E_clISt17integral_constantIbLb1EES1A_EEDaS15_S16_EUlS15_E_NS1_11comp_targetILNS1_3genE5ELNS1_11target_archE942ELNS1_3gpuE9ELNS1_3repE0EEENS1_30default_config_static_selectorELNS0_4arch9wavefront6targetE0EEEvT1_.private_seg_size, 0
	.set _ZN7rocprim17ROCPRIM_400000_NS6detail17trampoline_kernelINS0_14default_configENS1_25partition_config_selectorILNS1_17partition_subalgoE9EllbEEZZNS1_14partition_implILS5_9ELb0ES3_jPlS8_PNS0_10empty_typeENS0_5tupleIJS8_S9_EEENSB_IJS8_SA_EEENS0_18inequality_wrapperIZN2at6native12_GLOBAL__N_124unique_dim_cuda_templateIdEESt5tupleIJNSF_6TensorESK_SK_EERKSK_lbbbEUlllE0_EEPmJS9_EEE10hipError_tPvRmT3_T4_T5_T6_T7_T9_mT8_P12ihipStream_tbDpT10_ENKUlT_T0_E_clISt17integral_constantIbLb1EES1A_EEDaS15_S16_EUlS15_E_NS1_11comp_targetILNS1_3genE5ELNS1_11target_archE942ELNS1_3gpuE9ELNS1_3repE0EEENS1_30default_config_static_selectorELNS0_4arch9wavefront6targetE0EEEvT1_.uses_vcc, 0
	.set _ZN7rocprim17ROCPRIM_400000_NS6detail17trampoline_kernelINS0_14default_configENS1_25partition_config_selectorILNS1_17partition_subalgoE9EllbEEZZNS1_14partition_implILS5_9ELb0ES3_jPlS8_PNS0_10empty_typeENS0_5tupleIJS8_S9_EEENSB_IJS8_SA_EEENS0_18inequality_wrapperIZN2at6native12_GLOBAL__N_124unique_dim_cuda_templateIdEESt5tupleIJNSF_6TensorESK_SK_EERKSK_lbbbEUlllE0_EEPmJS9_EEE10hipError_tPvRmT3_T4_T5_T6_T7_T9_mT8_P12ihipStream_tbDpT10_ENKUlT_T0_E_clISt17integral_constantIbLb1EES1A_EEDaS15_S16_EUlS15_E_NS1_11comp_targetILNS1_3genE5ELNS1_11target_archE942ELNS1_3gpuE9ELNS1_3repE0EEENS1_30default_config_static_selectorELNS0_4arch9wavefront6targetE0EEEvT1_.uses_flat_scratch, 0
	.set _ZN7rocprim17ROCPRIM_400000_NS6detail17trampoline_kernelINS0_14default_configENS1_25partition_config_selectorILNS1_17partition_subalgoE9EllbEEZZNS1_14partition_implILS5_9ELb0ES3_jPlS8_PNS0_10empty_typeENS0_5tupleIJS8_S9_EEENSB_IJS8_SA_EEENS0_18inequality_wrapperIZN2at6native12_GLOBAL__N_124unique_dim_cuda_templateIdEESt5tupleIJNSF_6TensorESK_SK_EERKSK_lbbbEUlllE0_EEPmJS9_EEE10hipError_tPvRmT3_T4_T5_T6_T7_T9_mT8_P12ihipStream_tbDpT10_ENKUlT_T0_E_clISt17integral_constantIbLb1EES1A_EEDaS15_S16_EUlS15_E_NS1_11comp_targetILNS1_3genE5ELNS1_11target_archE942ELNS1_3gpuE9ELNS1_3repE0EEENS1_30default_config_static_selectorELNS0_4arch9wavefront6targetE0EEEvT1_.has_dyn_sized_stack, 0
	.set _ZN7rocprim17ROCPRIM_400000_NS6detail17trampoline_kernelINS0_14default_configENS1_25partition_config_selectorILNS1_17partition_subalgoE9EllbEEZZNS1_14partition_implILS5_9ELb0ES3_jPlS8_PNS0_10empty_typeENS0_5tupleIJS8_S9_EEENSB_IJS8_SA_EEENS0_18inequality_wrapperIZN2at6native12_GLOBAL__N_124unique_dim_cuda_templateIdEESt5tupleIJNSF_6TensorESK_SK_EERKSK_lbbbEUlllE0_EEPmJS9_EEE10hipError_tPvRmT3_T4_T5_T6_T7_T9_mT8_P12ihipStream_tbDpT10_ENKUlT_T0_E_clISt17integral_constantIbLb1EES1A_EEDaS15_S16_EUlS15_E_NS1_11comp_targetILNS1_3genE5ELNS1_11target_archE942ELNS1_3gpuE9ELNS1_3repE0EEENS1_30default_config_static_selectorELNS0_4arch9wavefront6targetE0EEEvT1_.has_recursion, 0
	.set _ZN7rocprim17ROCPRIM_400000_NS6detail17trampoline_kernelINS0_14default_configENS1_25partition_config_selectorILNS1_17partition_subalgoE9EllbEEZZNS1_14partition_implILS5_9ELb0ES3_jPlS8_PNS0_10empty_typeENS0_5tupleIJS8_S9_EEENSB_IJS8_SA_EEENS0_18inequality_wrapperIZN2at6native12_GLOBAL__N_124unique_dim_cuda_templateIdEESt5tupleIJNSF_6TensorESK_SK_EERKSK_lbbbEUlllE0_EEPmJS9_EEE10hipError_tPvRmT3_T4_T5_T6_T7_T9_mT8_P12ihipStream_tbDpT10_ENKUlT_T0_E_clISt17integral_constantIbLb1EES1A_EEDaS15_S16_EUlS15_E_NS1_11comp_targetILNS1_3genE5ELNS1_11target_archE942ELNS1_3gpuE9ELNS1_3repE0EEENS1_30default_config_static_selectorELNS0_4arch9wavefront6targetE0EEEvT1_.has_indirect_call, 0
	.section	.AMDGPU.csdata,"",@progbits
; Kernel info:
; codeLenInByte = 0
; TotalNumSgprs: 0
; NumVgprs: 0
; ScratchSize: 0
; MemoryBound: 0
; FloatMode: 240
; IeeeMode: 1
; LDSByteSize: 0 bytes/workgroup (compile time only)
; SGPRBlocks: 0
; VGPRBlocks: 0
; NumSGPRsForWavesPerEU: 1
; NumVGPRsForWavesPerEU: 1
; NamedBarCnt: 0
; Occupancy: 16
; WaveLimiterHint : 0
; COMPUTE_PGM_RSRC2:SCRATCH_EN: 0
; COMPUTE_PGM_RSRC2:USER_SGPR: 2
; COMPUTE_PGM_RSRC2:TRAP_HANDLER: 0
; COMPUTE_PGM_RSRC2:TGID_X_EN: 1
; COMPUTE_PGM_RSRC2:TGID_Y_EN: 0
; COMPUTE_PGM_RSRC2:TGID_Z_EN: 0
; COMPUTE_PGM_RSRC2:TIDIG_COMP_CNT: 0
	.section	.text._ZN7rocprim17ROCPRIM_400000_NS6detail17trampoline_kernelINS0_14default_configENS1_25partition_config_selectorILNS1_17partition_subalgoE9EllbEEZZNS1_14partition_implILS5_9ELb0ES3_jPlS8_PNS0_10empty_typeENS0_5tupleIJS8_S9_EEENSB_IJS8_SA_EEENS0_18inequality_wrapperIZN2at6native12_GLOBAL__N_124unique_dim_cuda_templateIdEESt5tupleIJNSF_6TensorESK_SK_EERKSK_lbbbEUlllE0_EEPmJS9_EEE10hipError_tPvRmT3_T4_T5_T6_T7_T9_mT8_P12ihipStream_tbDpT10_ENKUlT_T0_E_clISt17integral_constantIbLb1EES1A_EEDaS15_S16_EUlS15_E_NS1_11comp_targetILNS1_3genE4ELNS1_11target_archE910ELNS1_3gpuE8ELNS1_3repE0EEENS1_30default_config_static_selectorELNS0_4arch9wavefront6targetE0EEEvT1_,"axG",@progbits,_ZN7rocprim17ROCPRIM_400000_NS6detail17trampoline_kernelINS0_14default_configENS1_25partition_config_selectorILNS1_17partition_subalgoE9EllbEEZZNS1_14partition_implILS5_9ELb0ES3_jPlS8_PNS0_10empty_typeENS0_5tupleIJS8_S9_EEENSB_IJS8_SA_EEENS0_18inequality_wrapperIZN2at6native12_GLOBAL__N_124unique_dim_cuda_templateIdEESt5tupleIJNSF_6TensorESK_SK_EERKSK_lbbbEUlllE0_EEPmJS9_EEE10hipError_tPvRmT3_T4_T5_T6_T7_T9_mT8_P12ihipStream_tbDpT10_ENKUlT_T0_E_clISt17integral_constantIbLb1EES1A_EEDaS15_S16_EUlS15_E_NS1_11comp_targetILNS1_3genE4ELNS1_11target_archE910ELNS1_3gpuE8ELNS1_3repE0EEENS1_30default_config_static_selectorELNS0_4arch9wavefront6targetE0EEEvT1_,comdat
	.globl	_ZN7rocprim17ROCPRIM_400000_NS6detail17trampoline_kernelINS0_14default_configENS1_25partition_config_selectorILNS1_17partition_subalgoE9EllbEEZZNS1_14partition_implILS5_9ELb0ES3_jPlS8_PNS0_10empty_typeENS0_5tupleIJS8_S9_EEENSB_IJS8_SA_EEENS0_18inequality_wrapperIZN2at6native12_GLOBAL__N_124unique_dim_cuda_templateIdEESt5tupleIJNSF_6TensorESK_SK_EERKSK_lbbbEUlllE0_EEPmJS9_EEE10hipError_tPvRmT3_T4_T5_T6_T7_T9_mT8_P12ihipStream_tbDpT10_ENKUlT_T0_E_clISt17integral_constantIbLb1EES1A_EEDaS15_S16_EUlS15_E_NS1_11comp_targetILNS1_3genE4ELNS1_11target_archE910ELNS1_3gpuE8ELNS1_3repE0EEENS1_30default_config_static_selectorELNS0_4arch9wavefront6targetE0EEEvT1_ ; -- Begin function _ZN7rocprim17ROCPRIM_400000_NS6detail17trampoline_kernelINS0_14default_configENS1_25partition_config_selectorILNS1_17partition_subalgoE9EllbEEZZNS1_14partition_implILS5_9ELb0ES3_jPlS8_PNS0_10empty_typeENS0_5tupleIJS8_S9_EEENSB_IJS8_SA_EEENS0_18inequality_wrapperIZN2at6native12_GLOBAL__N_124unique_dim_cuda_templateIdEESt5tupleIJNSF_6TensorESK_SK_EERKSK_lbbbEUlllE0_EEPmJS9_EEE10hipError_tPvRmT3_T4_T5_T6_T7_T9_mT8_P12ihipStream_tbDpT10_ENKUlT_T0_E_clISt17integral_constantIbLb1EES1A_EEDaS15_S16_EUlS15_E_NS1_11comp_targetILNS1_3genE4ELNS1_11target_archE910ELNS1_3gpuE8ELNS1_3repE0EEENS1_30default_config_static_selectorELNS0_4arch9wavefront6targetE0EEEvT1_
	.p2align	8
	.type	_ZN7rocprim17ROCPRIM_400000_NS6detail17trampoline_kernelINS0_14default_configENS1_25partition_config_selectorILNS1_17partition_subalgoE9EllbEEZZNS1_14partition_implILS5_9ELb0ES3_jPlS8_PNS0_10empty_typeENS0_5tupleIJS8_S9_EEENSB_IJS8_SA_EEENS0_18inequality_wrapperIZN2at6native12_GLOBAL__N_124unique_dim_cuda_templateIdEESt5tupleIJNSF_6TensorESK_SK_EERKSK_lbbbEUlllE0_EEPmJS9_EEE10hipError_tPvRmT3_T4_T5_T6_T7_T9_mT8_P12ihipStream_tbDpT10_ENKUlT_T0_E_clISt17integral_constantIbLb1EES1A_EEDaS15_S16_EUlS15_E_NS1_11comp_targetILNS1_3genE4ELNS1_11target_archE910ELNS1_3gpuE8ELNS1_3repE0EEENS1_30default_config_static_selectorELNS0_4arch9wavefront6targetE0EEEvT1_,@function
_ZN7rocprim17ROCPRIM_400000_NS6detail17trampoline_kernelINS0_14default_configENS1_25partition_config_selectorILNS1_17partition_subalgoE9EllbEEZZNS1_14partition_implILS5_9ELb0ES3_jPlS8_PNS0_10empty_typeENS0_5tupleIJS8_S9_EEENSB_IJS8_SA_EEENS0_18inequality_wrapperIZN2at6native12_GLOBAL__N_124unique_dim_cuda_templateIdEESt5tupleIJNSF_6TensorESK_SK_EERKSK_lbbbEUlllE0_EEPmJS9_EEE10hipError_tPvRmT3_T4_T5_T6_T7_T9_mT8_P12ihipStream_tbDpT10_ENKUlT_T0_E_clISt17integral_constantIbLb1EES1A_EEDaS15_S16_EUlS15_E_NS1_11comp_targetILNS1_3genE4ELNS1_11target_archE910ELNS1_3gpuE8ELNS1_3repE0EEENS1_30default_config_static_selectorELNS0_4arch9wavefront6targetE0EEEvT1_: ; @_ZN7rocprim17ROCPRIM_400000_NS6detail17trampoline_kernelINS0_14default_configENS1_25partition_config_selectorILNS1_17partition_subalgoE9EllbEEZZNS1_14partition_implILS5_9ELb0ES3_jPlS8_PNS0_10empty_typeENS0_5tupleIJS8_S9_EEENSB_IJS8_SA_EEENS0_18inequality_wrapperIZN2at6native12_GLOBAL__N_124unique_dim_cuda_templateIdEESt5tupleIJNSF_6TensorESK_SK_EERKSK_lbbbEUlllE0_EEPmJS9_EEE10hipError_tPvRmT3_T4_T5_T6_T7_T9_mT8_P12ihipStream_tbDpT10_ENKUlT_T0_E_clISt17integral_constantIbLb1EES1A_EEDaS15_S16_EUlS15_E_NS1_11comp_targetILNS1_3genE4ELNS1_11target_archE910ELNS1_3gpuE8ELNS1_3repE0EEENS1_30default_config_static_selectorELNS0_4arch9wavefront6targetE0EEEvT1_
; %bb.0:
	.section	.rodata,"a",@progbits
	.p2align	6, 0x0
	.amdhsa_kernel _ZN7rocprim17ROCPRIM_400000_NS6detail17trampoline_kernelINS0_14default_configENS1_25partition_config_selectorILNS1_17partition_subalgoE9EllbEEZZNS1_14partition_implILS5_9ELb0ES3_jPlS8_PNS0_10empty_typeENS0_5tupleIJS8_S9_EEENSB_IJS8_SA_EEENS0_18inequality_wrapperIZN2at6native12_GLOBAL__N_124unique_dim_cuda_templateIdEESt5tupleIJNSF_6TensorESK_SK_EERKSK_lbbbEUlllE0_EEPmJS9_EEE10hipError_tPvRmT3_T4_T5_T6_T7_T9_mT8_P12ihipStream_tbDpT10_ENKUlT_T0_E_clISt17integral_constantIbLb1EES1A_EEDaS15_S16_EUlS15_E_NS1_11comp_targetILNS1_3genE4ELNS1_11target_archE910ELNS1_3gpuE8ELNS1_3repE0EEENS1_30default_config_static_selectorELNS0_4arch9wavefront6targetE0EEEvT1_
		.amdhsa_group_segment_fixed_size 0
		.amdhsa_private_segment_fixed_size 0
		.amdhsa_kernarg_size 136
		.amdhsa_user_sgpr_count 2
		.amdhsa_user_sgpr_dispatch_ptr 0
		.amdhsa_user_sgpr_queue_ptr 0
		.amdhsa_user_sgpr_kernarg_segment_ptr 1
		.amdhsa_user_sgpr_dispatch_id 0
		.amdhsa_user_sgpr_kernarg_preload_length 0
		.amdhsa_user_sgpr_kernarg_preload_offset 0
		.amdhsa_user_sgpr_private_segment_size 0
		.amdhsa_wavefront_size32 1
		.amdhsa_uses_dynamic_stack 0
		.amdhsa_enable_private_segment 0
		.amdhsa_system_sgpr_workgroup_id_x 1
		.amdhsa_system_sgpr_workgroup_id_y 0
		.amdhsa_system_sgpr_workgroup_id_z 0
		.amdhsa_system_sgpr_workgroup_info 0
		.amdhsa_system_vgpr_workitem_id 0
		.amdhsa_next_free_vgpr 1
		.amdhsa_next_free_sgpr 1
		.amdhsa_named_barrier_count 0
		.amdhsa_reserve_vcc 0
		.amdhsa_float_round_mode_32 0
		.amdhsa_float_round_mode_16_64 0
		.amdhsa_float_denorm_mode_32 3
		.amdhsa_float_denorm_mode_16_64 3
		.amdhsa_fp16_overflow 0
		.amdhsa_memory_ordered 1
		.amdhsa_forward_progress 1
		.amdhsa_inst_pref_size 0
		.amdhsa_round_robin_scheduling 0
		.amdhsa_exception_fp_ieee_invalid_op 0
		.amdhsa_exception_fp_denorm_src 0
		.amdhsa_exception_fp_ieee_div_zero 0
		.amdhsa_exception_fp_ieee_overflow 0
		.amdhsa_exception_fp_ieee_underflow 0
		.amdhsa_exception_fp_ieee_inexact 0
		.amdhsa_exception_int_div_zero 0
	.end_amdhsa_kernel
	.section	.text._ZN7rocprim17ROCPRIM_400000_NS6detail17trampoline_kernelINS0_14default_configENS1_25partition_config_selectorILNS1_17partition_subalgoE9EllbEEZZNS1_14partition_implILS5_9ELb0ES3_jPlS8_PNS0_10empty_typeENS0_5tupleIJS8_S9_EEENSB_IJS8_SA_EEENS0_18inequality_wrapperIZN2at6native12_GLOBAL__N_124unique_dim_cuda_templateIdEESt5tupleIJNSF_6TensorESK_SK_EERKSK_lbbbEUlllE0_EEPmJS9_EEE10hipError_tPvRmT3_T4_T5_T6_T7_T9_mT8_P12ihipStream_tbDpT10_ENKUlT_T0_E_clISt17integral_constantIbLb1EES1A_EEDaS15_S16_EUlS15_E_NS1_11comp_targetILNS1_3genE4ELNS1_11target_archE910ELNS1_3gpuE8ELNS1_3repE0EEENS1_30default_config_static_selectorELNS0_4arch9wavefront6targetE0EEEvT1_,"axG",@progbits,_ZN7rocprim17ROCPRIM_400000_NS6detail17trampoline_kernelINS0_14default_configENS1_25partition_config_selectorILNS1_17partition_subalgoE9EllbEEZZNS1_14partition_implILS5_9ELb0ES3_jPlS8_PNS0_10empty_typeENS0_5tupleIJS8_S9_EEENSB_IJS8_SA_EEENS0_18inequality_wrapperIZN2at6native12_GLOBAL__N_124unique_dim_cuda_templateIdEESt5tupleIJNSF_6TensorESK_SK_EERKSK_lbbbEUlllE0_EEPmJS9_EEE10hipError_tPvRmT3_T4_T5_T6_T7_T9_mT8_P12ihipStream_tbDpT10_ENKUlT_T0_E_clISt17integral_constantIbLb1EES1A_EEDaS15_S16_EUlS15_E_NS1_11comp_targetILNS1_3genE4ELNS1_11target_archE910ELNS1_3gpuE8ELNS1_3repE0EEENS1_30default_config_static_selectorELNS0_4arch9wavefront6targetE0EEEvT1_,comdat
.Lfunc_end849:
	.size	_ZN7rocprim17ROCPRIM_400000_NS6detail17trampoline_kernelINS0_14default_configENS1_25partition_config_selectorILNS1_17partition_subalgoE9EllbEEZZNS1_14partition_implILS5_9ELb0ES3_jPlS8_PNS0_10empty_typeENS0_5tupleIJS8_S9_EEENSB_IJS8_SA_EEENS0_18inequality_wrapperIZN2at6native12_GLOBAL__N_124unique_dim_cuda_templateIdEESt5tupleIJNSF_6TensorESK_SK_EERKSK_lbbbEUlllE0_EEPmJS9_EEE10hipError_tPvRmT3_T4_T5_T6_T7_T9_mT8_P12ihipStream_tbDpT10_ENKUlT_T0_E_clISt17integral_constantIbLb1EES1A_EEDaS15_S16_EUlS15_E_NS1_11comp_targetILNS1_3genE4ELNS1_11target_archE910ELNS1_3gpuE8ELNS1_3repE0EEENS1_30default_config_static_selectorELNS0_4arch9wavefront6targetE0EEEvT1_, .Lfunc_end849-_ZN7rocprim17ROCPRIM_400000_NS6detail17trampoline_kernelINS0_14default_configENS1_25partition_config_selectorILNS1_17partition_subalgoE9EllbEEZZNS1_14partition_implILS5_9ELb0ES3_jPlS8_PNS0_10empty_typeENS0_5tupleIJS8_S9_EEENSB_IJS8_SA_EEENS0_18inequality_wrapperIZN2at6native12_GLOBAL__N_124unique_dim_cuda_templateIdEESt5tupleIJNSF_6TensorESK_SK_EERKSK_lbbbEUlllE0_EEPmJS9_EEE10hipError_tPvRmT3_T4_T5_T6_T7_T9_mT8_P12ihipStream_tbDpT10_ENKUlT_T0_E_clISt17integral_constantIbLb1EES1A_EEDaS15_S16_EUlS15_E_NS1_11comp_targetILNS1_3genE4ELNS1_11target_archE910ELNS1_3gpuE8ELNS1_3repE0EEENS1_30default_config_static_selectorELNS0_4arch9wavefront6targetE0EEEvT1_
                                        ; -- End function
	.set _ZN7rocprim17ROCPRIM_400000_NS6detail17trampoline_kernelINS0_14default_configENS1_25partition_config_selectorILNS1_17partition_subalgoE9EllbEEZZNS1_14partition_implILS5_9ELb0ES3_jPlS8_PNS0_10empty_typeENS0_5tupleIJS8_S9_EEENSB_IJS8_SA_EEENS0_18inequality_wrapperIZN2at6native12_GLOBAL__N_124unique_dim_cuda_templateIdEESt5tupleIJNSF_6TensorESK_SK_EERKSK_lbbbEUlllE0_EEPmJS9_EEE10hipError_tPvRmT3_T4_T5_T6_T7_T9_mT8_P12ihipStream_tbDpT10_ENKUlT_T0_E_clISt17integral_constantIbLb1EES1A_EEDaS15_S16_EUlS15_E_NS1_11comp_targetILNS1_3genE4ELNS1_11target_archE910ELNS1_3gpuE8ELNS1_3repE0EEENS1_30default_config_static_selectorELNS0_4arch9wavefront6targetE0EEEvT1_.num_vgpr, 0
	.set _ZN7rocprim17ROCPRIM_400000_NS6detail17trampoline_kernelINS0_14default_configENS1_25partition_config_selectorILNS1_17partition_subalgoE9EllbEEZZNS1_14partition_implILS5_9ELb0ES3_jPlS8_PNS0_10empty_typeENS0_5tupleIJS8_S9_EEENSB_IJS8_SA_EEENS0_18inequality_wrapperIZN2at6native12_GLOBAL__N_124unique_dim_cuda_templateIdEESt5tupleIJNSF_6TensorESK_SK_EERKSK_lbbbEUlllE0_EEPmJS9_EEE10hipError_tPvRmT3_T4_T5_T6_T7_T9_mT8_P12ihipStream_tbDpT10_ENKUlT_T0_E_clISt17integral_constantIbLb1EES1A_EEDaS15_S16_EUlS15_E_NS1_11comp_targetILNS1_3genE4ELNS1_11target_archE910ELNS1_3gpuE8ELNS1_3repE0EEENS1_30default_config_static_selectorELNS0_4arch9wavefront6targetE0EEEvT1_.num_agpr, 0
	.set _ZN7rocprim17ROCPRIM_400000_NS6detail17trampoline_kernelINS0_14default_configENS1_25partition_config_selectorILNS1_17partition_subalgoE9EllbEEZZNS1_14partition_implILS5_9ELb0ES3_jPlS8_PNS0_10empty_typeENS0_5tupleIJS8_S9_EEENSB_IJS8_SA_EEENS0_18inequality_wrapperIZN2at6native12_GLOBAL__N_124unique_dim_cuda_templateIdEESt5tupleIJNSF_6TensorESK_SK_EERKSK_lbbbEUlllE0_EEPmJS9_EEE10hipError_tPvRmT3_T4_T5_T6_T7_T9_mT8_P12ihipStream_tbDpT10_ENKUlT_T0_E_clISt17integral_constantIbLb1EES1A_EEDaS15_S16_EUlS15_E_NS1_11comp_targetILNS1_3genE4ELNS1_11target_archE910ELNS1_3gpuE8ELNS1_3repE0EEENS1_30default_config_static_selectorELNS0_4arch9wavefront6targetE0EEEvT1_.numbered_sgpr, 0
	.set _ZN7rocprim17ROCPRIM_400000_NS6detail17trampoline_kernelINS0_14default_configENS1_25partition_config_selectorILNS1_17partition_subalgoE9EllbEEZZNS1_14partition_implILS5_9ELb0ES3_jPlS8_PNS0_10empty_typeENS0_5tupleIJS8_S9_EEENSB_IJS8_SA_EEENS0_18inequality_wrapperIZN2at6native12_GLOBAL__N_124unique_dim_cuda_templateIdEESt5tupleIJNSF_6TensorESK_SK_EERKSK_lbbbEUlllE0_EEPmJS9_EEE10hipError_tPvRmT3_T4_T5_T6_T7_T9_mT8_P12ihipStream_tbDpT10_ENKUlT_T0_E_clISt17integral_constantIbLb1EES1A_EEDaS15_S16_EUlS15_E_NS1_11comp_targetILNS1_3genE4ELNS1_11target_archE910ELNS1_3gpuE8ELNS1_3repE0EEENS1_30default_config_static_selectorELNS0_4arch9wavefront6targetE0EEEvT1_.num_named_barrier, 0
	.set _ZN7rocprim17ROCPRIM_400000_NS6detail17trampoline_kernelINS0_14default_configENS1_25partition_config_selectorILNS1_17partition_subalgoE9EllbEEZZNS1_14partition_implILS5_9ELb0ES3_jPlS8_PNS0_10empty_typeENS0_5tupleIJS8_S9_EEENSB_IJS8_SA_EEENS0_18inequality_wrapperIZN2at6native12_GLOBAL__N_124unique_dim_cuda_templateIdEESt5tupleIJNSF_6TensorESK_SK_EERKSK_lbbbEUlllE0_EEPmJS9_EEE10hipError_tPvRmT3_T4_T5_T6_T7_T9_mT8_P12ihipStream_tbDpT10_ENKUlT_T0_E_clISt17integral_constantIbLb1EES1A_EEDaS15_S16_EUlS15_E_NS1_11comp_targetILNS1_3genE4ELNS1_11target_archE910ELNS1_3gpuE8ELNS1_3repE0EEENS1_30default_config_static_selectorELNS0_4arch9wavefront6targetE0EEEvT1_.private_seg_size, 0
	.set _ZN7rocprim17ROCPRIM_400000_NS6detail17trampoline_kernelINS0_14default_configENS1_25partition_config_selectorILNS1_17partition_subalgoE9EllbEEZZNS1_14partition_implILS5_9ELb0ES3_jPlS8_PNS0_10empty_typeENS0_5tupleIJS8_S9_EEENSB_IJS8_SA_EEENS0_18inequality_wrapperIZN2at6native12_GLOBAL__N_124unique_dim_cuda_templateIdEESt5tupleIJNSF_6TensorESK_SK_EERKSK_lbbbEUlllE0_EEPmJS9_EEE10hipError_tPvRmT3_T4_T5_T6_T7_T9_mT8_P12ihipStream_tbDpT10_ENKUlT_T0_E_clISt17integral_constantIbLb1EES1A_EEDaS15_S16_EUlS15_E_NS1_11comp_targetILNS1_3genE4ELNS1_11target_archE910ELNS1_3gpuE8ELNS1_3repE0EEENS1_30default_config_static_selectorELNS0_4arch9wavefront6targetE0EEEvT1_.uses_vcc, 0
	.set _ZN7rocprim17ROCPRIM_400000_NS6detail17trampoline_kernelINS0_14default_configENS1_25partition_config_selectorILNS1_17partition_subalgoE9EllbEEZZNS1_14partition_implILS5_9ELb0ES3_jPlS8_PNS0_10empty_typeENS0_5tupleIJS8_S9_EEENSB_IJS8_SA_EEENS0_18inequality_wrapperIZN2at6native12_GLOBAL__N_124unique_dim_cuda_templateIdEESt5tupleIJNSF_6TensorESK_SK_EERKSK_lbbbEUlllE0_EEPmJS9_EEE10hipError_tPvRmT3_T4_T5_T6_T7_T9_mT8_P12ihipStream_tbDpT10_ENKUlT_T0_E_clISt17integral_constantIbLb1EES1A_EEDaS15_S16_EUlS15_E_NS1_11comp_targetILNS1_3genE4ELNS1_11target_archE910ELNS1_3gpuE8ELNS1_3repE0EEENS1_30default_config_static_selectorELNS0_4arch9wavefront6targetE0EEEvT1_.uses_flat_scratch, 0
	.set _ZN7rocprim17ROCPRIM_400000_NS6detail17trampoline_kernelINS0_14default_configENS1_25partition_config_selectorILNS1_17partition_subalgoE9EllbEEZZNS1_14partition_implILS5_9ELb0ES3_jPlS8_PNS0_10empty_typeENS0_5tupleIJS8_S9_EEENSB_IJS8_SA_EEENS0_18inequality_wrapperIZN2at6native12_GLOBAL__N_124unique_dim_cuda_templateIdEESt5tupleIJNSF_6TensorESK_SK_EERKSK_lbbbEUlllE0_EEPmJS9_EEE10hipError_tPvRmT3_T4_T5_T6_T7_T9_mT8_P12ihipStream_tbDpT10_ENKUlT_T0_E_clISt17integral_constantIbLb1EES1A_EEDaS15_S16_EUlS15_E_NS1_11comp_targetILNS1_3genE4ELNS1_11target_archE910ELNS1_3gpuE8ELNS1_3repE0EEENS1_30default_config_static_selectorELNS0_4arch9wavefront6targetE0EEEvT1_.has_dyn_sized_stack, 0
	.set _ZN7rocprim17ROCPRIM_400000_NS6detail17trampoline_kernelINS0_14default_configENS1_25partition_config_selectorILNS1_17partition_subalgoE9EllbEEZZNS1_14partition_implILS5_9ELb0ES3_jPlS8_PNS0_10empty_typeENS0_5tupleIJS8_S9_EEENSB_IJS8_SA_EEENS0_18inequality_wrapperIZN2at6native12_GLOBAL__N_124unique_dim_cuda_templateIdEESt5tupleIJNSF_6TensorESK_SK_EERKSK_lbbbEUlllE0_EEPmJS9_EEE10hipError_tPvRmT3_T4_T5_T6_T7_T9_mT8_P12ihipStream_tbDpT10_ENKUlT_T0_E_clISt17integral_constantIbLb1EES1A_EEDaS15_S16_EUlS15_E_NS1_11comp_targetILNS1_3genE4ELNS1_11target_archE910ELNS1_3gpuE8ELNS1_3repE0EEENS1_30default_config_static_selectorELNS0_4arch9wavefront6targetE0EEEvT1_.has_recursion, 0
	.set _ZN7rocprim17ROCPRIM_400000_NS6detail17trampoline_kernelINS0_14default_configENS1_25partition_config_selectorILNS1_17partition_subalgoE9EllbEEZZNS1_14partition_implILS5_9ELb0ES3_jPlS8_PNS0_10empty_typeENS0_5tupleIJS8_S9_EEENSB_IJS8_SA_EEENS0_18inequality_wrapperIZN2at6native12_GLOBAL__N_124unique_dim_cuda_templateIdEESt5tupleIJNSF_6TensorESK_SK_EERKSK_lbbbEUlllE0_EEPmJS9_EEE10hipError_tPvRmT3_T4_T5_T6_T7_T9_mT8_P12ihipStream_tbDpT10_ENKUlT_T0_E_clISt17integral_constantIbLb1EES1A_EEDaS15_S16_EUlS15_E_NS1_11comp_targetILNS1_3genE4ELNS1_11target_archE910ELNS1_3gpuE8ELNS1_3repE0EEENS1_30default_config_static_selectorELNS0_4arch9wavefront6targetE0EEEvT1_.has_indirect_call, 0
	.section	.AMDGPU.csdata,"",@progbits
; Kernel info:
; codeLenInByte = 0
; TotalNumSgprs: 0
; NumVgprs: 0
; ScratchSize: 0
; MemoryBound: 0
; FloatMode: 240
; IeeeMode: 1
; LDSByteSize: 0 bytes/workgroup (compile time only)
; SGPRBlocks: 0
; VGPRBlocks: 0
; NumSGPRsForWavesPerEU: 1
; NumVGPRsForWavesPerEU: 1
; NamedBarCnt: 0
; Occupancy: 16
; WaveLimiterHint : 0
; COMPUTE_PGM_RSRC2:SCRATCH_EN: 0
; COMPUTE_PGM_RSRC2:USER_SGPR: 2
; COMPUTE_PGM_RSRC2:TRAP_HANDLER: 0
; COMPUTE_PGM_RSRC2:TGID_X_EN: 1
; COMPUTE_PGM_RSRC2:TGID_Y_EN: 0
; COMPUTE_PGM_RSRC2:TGID_Z_EN: 0
; COMPUTE_PGM_RSRC2:TIDIG_COMP_CNT: 0
	.section	.text._ZN7rocprim17ROCPRIM_400000_NS6detail17trampoline_kernelINS0_14default_configENS1_25partition_config_selectorILNS1_17partition_subalgoE9EllbEEZZNS1_14partition_implILS5_9ELb0ES3_jPlS8_PNS0_10empty_typeENS0_5tupleIJS8_S9_EEENSB_IJS8_SA_EEENS0_18inequality_wrapperIZN2at6native12_GLOBAL__N_124unique_dim_cuda_templateIdEESt5tupleIJNSF_6TensorESK_SK_EERKSK_lbbbEUlllE0_EEPmJS9_EEE10hipError_tPvRmT3_T4_T5_T6_T7_T9_mT8_P12ihipStream_tbDpT10_ENKUlT_T0_E_clISt17integral_constantIbLb1EES1A_EEDaS15_S16_EUlS15_E_NS1_11comp_targetILNS1_3genE3ELNS1_11target_archE908ELNS1_3gpuE7ELNS1_3repE0EEENS1_30default_config_static_selectorELNS0_4arch9wavefront6targetE0EEEvT1_,"axG",@progbits,_ZN7rocprim17ROCPRIM_400000_NS6detail17trampoline_kernelINS0_14default_configENS1_25partition_config_selectorILNS1_17partition_subalgoE9EllbEEZZNS1_14partition_implILS5_9ELb0ES3_jPlS8_PNS0_10empty_typeENS0_5tupleIJS8_S9_EEENSB_IJS8_SA_EEENS0_18inequality_wrapperIZN2at6native12_GLOBAL__N_124unique_dim_cuda_templateIdEESt5tupleIJNSF_6TensorESK_SK_EERKSK_lbbbEUlllE0_EEPmJS9_EEE10hipError_tPvRmT3_T4_T5_T6_T7_T9_mT8_P12ihipStream_tbDpT10_ENKUlT_T0_E_clISt17integral_constantIbLb1EES1A_EEDaS15_S16_EUlS15_E_NS1_11comp_targetILNS1_3genE3ELNS1_11target_archE908ELNS1_3gpuE7ELNS1_3repE0EEENS1_30default_config_static_selectorELNS0_4arch9wavefront6targetE0EEEvT1_,comdat
	.globl	_ZN7rocprim17ROCPRIM_400000_NS6detail17trampoline_kernelINS0_14default_configENS1_25partition_config_selectorILNS1_17partition_subalgoE9EllbEEZZNS1_14partition_implILS5_9ELb0ES3_jPlS8_PNS0_10empty_typeENS0_5tupleIJS8_S9_EEENSB_IJS8_SA_EEENS0_18inequality_wrapperIZN2at6native12_GLOBAL__N_124unique_dim_cuda_templateIdEESt5tupleIJNSF_6TensorESK_SK_EERKSK_lbbbEUlllE0_EEPmJS9_EEE10hipError_tPvRmT3_T4_T5_T6_T7_T9_mT8_P12ihipStream_tbDpT10_ENKUlT_T0_E_clISt17integral_constantIbLb1EES1A_EEDaS15_S16_EUlS15_E_NS1_11comp_targetILNS1_3genE3ELNS1_11target_archE908ELNS1_3gpuE7ELNS1_3repE0EEENS1_30default_config_static_selectorELNS0_4arch9wavefront6targetE0EEEvT1_ ; -- Begin function _ZN7rocprim17ROCPRIM_400000_NS6detail17trampoline_kernelINS0_14default_configENS1_25partition_config_selectorILNS1_17partition_subalgoE9EllbEEZZNS1_14partition_implILS5_9ELb0ES3_jPlS8_PNS0_10empty_typeENS0_5tupleIJS8_S9_EEENSB_IJS8_SA_EEENS0_18inequality_wrapperIZN2at6native12_GLOBAL__N_124unique_dim_cuda_templateIdEESt5tupleIJNSF_6TensorESK_SK_EERKSK_lbbbEUlllE0_EEPmJS9_EEE10hipError_tPvRmT3_T4_T5_T6_T7_T9_mT8_P12ihipStream_tbDpT10_ENKUlT_T0_E_clISt17integral_constantIbLb1EES1A_EEDaS15_S16_EUlS15_E_NS1_11comp_targetILNS1_3genE3ELNS1_11target_archE908ELNS1_3gpuE7ELNS1_3repE0EEENS1_30default_config_static_selectorELNS0_4arch9wavefront6targetE0EEEvT1_
	.p2align	8
	.type	_ZN7rocprim17ROCPRIM_400000_NS6detail17trampoline_kernelINS0_14default_configENS1_25partition_config_selectorILNS1_17partition_subalgoE9EllbEEZZNS1_14partition_implILS5_9ELb0ES3_jPlS8_PNS0_10empty_typeENS0_5tupleIJS8_S9_EEENSB_IJS8_SA_EEENS0_18inequality_wrapperIZN2at6native12_GLOBAL__N_124unique_dim_cuda_templateIdEESt5tupleIJNSF_6TensorESK_SK_EERKSK_lbbbEUlllE0_EEPmJS9_EEE10hipError_tPvRmT3_T4_T5_T6_T7_T9_mT8_P12ihipStream_tbDpT10_ENKUlT_T0_E_clISt17integral_constantIbLb1EES1A_EEDaS15_S16_EUlS15_E_NS1_11comp_targetILNS1_3genE3ELNS1_11target_archE908ELNS1_3gpuE7ELNS1_3repE0EEENS1_30default_config_static_selectorELNS0_4arch9wavefront6targetE0EEEvT1_,@function
_ZN7rocprim17ROCPRIM_400000_NS6detail17trampoline_kernelINS0_14default_configENS1_25partition_config_selectorILNS1_17partition_subalgoE9EllbEEZZNS1_14partition_implILS5_9ELb0ES3_jPlS8_PNS0_10empty_typeENS0_5tupleIJS8_S9_EEENSB_IJS8_SA_EEENS0_18inequality_wrapperIZN2at6native12_GLOBAL__N_124unique_dim_cuda_templateIdEESt5tupleIJNSF_6TensorESK_SK_EERKSK_lbbbEUlllE0_EEPmJS9_EEE10hipError_tPvRmT3_T4_T5_T6_T7_T9_mT8_P12ihipStream_tbDpT10_ENKUlT_T0_E_clISt17integral_constantIbLb1EES1A_EEDaS15_S16_EUlS15_E_NS1_11comp_targetILNS1_3genE3ELNS1_11target_archE908ELNS1_3gpuE7ELNS1_3repE0EEENS1_30default_config_static_selectorELNS0_4arch9wavefront6targetE0EEEvT1_: ; @_ZN7rocprim17ROCPRIM_400000_NS6detail17trampoline_kernelINS0_14default_configENS1_25partition_config_selectorILNS1_17partition_subalgoE9EllbEEZZNS1_14partition_implILS5_9ELb0ES3_jPlS8_PNS0_10empty_typeENS0_5tupleIJS8_S9_EEENSB_IJS8_SA_EEENS0_18inequality_wrapperIZN2at6native12_GLOBAL__N_124unique_dim_cuda_templateIdEESt5tupleIJNSF_6TensorESK_SK_EERKSK_lbbbEUlllE0_EEPmJS9_EEE10hipError_tPvRmT3_T4_T5_T6_T7_T9_mT8_P12ihipStream_tbDpT10_ENKUlT_T0_E_clISt17integral_constantIbLb1EES1A_EEDaS15_S16_EUlS15_E_NS1_11comp_targetILNS1_3genE3ELNS1_11target_archE908ELNS1_3gpuE7ELNS1_3repE0EEENS1_30default_config_static_selectorELNS0_4arch9wavefront6targetE0EEEvT1_
; %bb.0:
	.section	.rodata,"a",@progbits
	.p2align	6, 0x0
	.amdhsa_kernel _ZN7rocprim17ROCPRIM_400000_NS6detail17trampoline_kernelINS0_14default_configENS1_25partition_config_selectorILNS1_17partition_subalgoE9EllbEEZZNS1_14partition_implILS5_9ELb0ES3_jPlS8_PNS0_10empty_typeENS0_5tupleIJS8_S9_EEENSB_IJS8_SA_EEENS0_18inequality_wrapperIZN2at6native12_GLOBAL__N_124unique_dim_cuda_templateIdEESt5tupleIJNSF_6TensorESK_SK_EERKSK_lbbbEUlllE0_EEPmJS9_EEE10hipError_tPvRmT3_T4_T5_T6_T7_T9_mT8_P12ihipStream_tbDpT10_ENKUlT_T0_E_clISt17integral_constantIbLb1EES1A_EEDaS15_S16_EUlS15_E_NS1_11comp_targetILNS1_3genE3ELNS1_11target_archE908ELNS1_3gpuE7ELNS1_3repE0EEENS1_30default_config_static_selectorELNS0_4arch9wavefront6targetE0EEEvT1_
		.amdhsa_group_segment_fixed_size 0
		.amdhsa_private_segment_fixed_size 0
		.amdhsa_kernarg_size 136
		.amdhsa_user_sgpr_count 2
		.amdhsa_user_sgpr_dispatch_ptr 0
		.amdhsa_user_sgpr_queue_ptr 0
		.amdhsa_user_sgpr_kernarg_segment_ptr 1
		.amdhsa_user_sgpr_dispatch_id 0
		.amdhsa_user_sgpr_kernarg_preload_length 0
		.amdhsa_user_sgpr_kernarg_preload_offset 0
		.amdhsa_user_sgpr_private_segment_size 0
		.amdhsa_wavefront_size32 1
		.amdhsa_uses_dynamic_stack 0
		.amdhsa_enable_private_segment 0
		.amdhsa_system_sgpr_workgroup_id_x 1
		.amdhsa_system_sgpr_workgroup_id_y 0
		.amdhsa_system_sgpr_workgroup_id_z 0
		.amdhsa_system_sgpr_workgroup_info 0
		.amdhsa_system_vgpr_workitem_id 0
		.amdhsa_next_free_vgpr 1
		.amdhsa_next_free_sgpr 1
		.amdhsa_named_barrier_count 0
		.amdhsa_reserve_vcc 0
		.amdhsa_float_round_mode_32 0
		.amdhsa_float_round_mode_16_64 0
		.amdhsa_float_denorm_mode_32 3
		.amdhsa_float_denorm_mode_16_64 3
		.amdhsa_fp16_overflow 0
		.amdhsa_memory_ordered 1
		.amdhsa_forward_progress 1
		.amdhsa_inst_pref_size 0
		.amdhsa_round_robin_scheduling 0
		.amdhsa_exception_fp_ieee_invalid_op 0
		.amdhsa_exception_fp_denorm_src 0
		.amdhsa_exception_fp_ieee_div_zero 0
		.amdhsa_exception_fp_ieee_overflow 0
		.amdhsa_exception_fp_ieee_underflow 0
		.amdhsa_exception_fp_ieee_inexact 0
		.amdhsa_exception_int_div_zero 0
	.end_amdhsa_kernel
	.section	.text._ZN7rocprim17ROCPRIM_400000_NS6detail17trampoline_kernelINS0_14default_configENS1_25partition_config_selectorILNS1_17partition_subalgoE9EllbEEZZNS1_14partition_implILS5_9ELb0ES3_jPlS8_PNS0_10empty_typeENS0_5tupleIJS8_S9_EEENSB_IJS8_SA_EEENS0_18inequality_wrapperIZN2at6native12_GLOBAL__N_124unique_dim_cuda_templateIdEESt5tupleIJNSF_6TensorESK_SK_EERKSK_lbbbEUlllE0_EEPmJS9_EEE10hipError_tPvRmT3_T4_T5_T6_T7_T9_mT8_P12ihipStream_tbDpT10_ENKUlT_T0_E_clISt17integral_constantIbLb1EES1A_EEDaS15_S16_EUlS15_E_NS1_11comp_targetILNS1_3genE3ELNS1_11target_archE908ELNS1_3gpuE7ELNS1_3repE0EEENS1_30default_config_static_selectorELNS0_4arch9wavefront6targetE0EEEvT1_,"axG",@progbits,_ZN7rocprim17ROCPRIM_400000_NS6detail17trampoline_kernelINS0_14default_configENS1_25partition_config_selectorILNS1_17partition_subalgoE9EllbEEZZNS1_14partition_implILS5_9ELb0ES3_jPlS8_PNS0_10empty_typeENS0_5tupleIJS8_S9_EEENSB_IJS8_SA_EEENS0_18inequality_wrapperIZN2at6native12_GLOBAL__N_124unique_dim_cuda_templateIdEESt5tupleIJNSF_6TensorESK_SK_EERKSK_lbbbEUlllE0_EEPmJS9_EEE10hipError_tPvRmT3_T4_T5_T6_T7_T9_mT8_P12ihipStream_tbDpT10_ENKUlT_T0_E_clISt17integral_constantIbLb1EES1A_EEDaS15_S16_EUlS15_E_NS1_11comp_targetILNS1_3genE3ELNS1_11target_archE908ELNS1_3gpuE7ELNS1_3repE0EEENS1_30default_config_static_selectorELNS0_4arch9wavefront6targetE0EEEvT1_,comdat
.Lfunc_end850:
	.size	_ZN7rocprim17ROCPRIM_400000_NS6detail17trampoline_kernelINS0_14default_configENS1_25partition_config_selectorILNS1_17partition_subalgoE9EllbEEZZNS1_14partition_implILS5_9ELb0ES3_jPlS8_PNS0_10empty_typeENS0_5tupleIJS8_S9_EEENSB_IJS8_SA_EEENS0_18inequality_wrapperIZN2at6native12_GLOBAL__N_124unique_dim_cuda_templateIdEESt5tupleIJNSF_6TensorESK_SK_EERKSK_lbbbEUlllE0_EEPmJS9_EEE10hipError_tPvRmT3_T4_T5_T6_T7_T9_mT8_P12ihipStream_tbDpT10_ENKUlT_T0_E_clISt17integral_constantIbLb1EES1A_EEDaS15_S16_EUlS15_E_NS1_11comp_targetILNS1_3genE3ELNS1_11target_archE908ELNS1_3gpuE7ELNS1_3repE0EEENS1_30default_config_static_selectorELNS0_4arch9wavefront6targetE0EEEvT1_, .Lfunc_end850-_ZN7rocprim17ROCPRIM_400000_NS6detail17trampoline_kernelINS0_14default_configENS1_25partition_config_selectorILNS1_17partition_subalgoE9EllbEEZZNS1_14partition_implILS5_9ELb0ES3_jPlS8_PNS0_10empty_typeENS0_5tupleIJS8_S9_EEENSB_IJS8_SA_EEENS0_18inequality_wrapperIZN2at6native12_GLOBAL__N_124unique_dim_cuda_templateIdEESt5tupleIJNSF_6TensorESK_SK_EERKSK_lbbbEUlllE0_EEPmJS9_EEE10hipError_tPvRmT3_T4_T5_T6_T7_T9_mT8_P12ihipStream_tbDpT10_ENKUlT_T0_E_clISt17integral_constantIbLb1EES1A_EEDaS15_S16_EUlS15_E_NS1_11comp_targetILNS1_3genE3ELNS1_11target_archE908ELNS1_3gpuE7ELNS1_3repE0EEENS1_30default_config_static_selectorELNS0_4arch9wavefront6targetE0EEEvT1_
                                        ; -- End function
	.set _ZN7rocprim17ROCPRIM_400000_NS6detail17trampoline_kernelINS0_14default_configENS1_25partition_config_selectorILNS1_17partition_subalgoE9EllbEEZZNS1_14partition_implILS5_9ELb0ES3_jPlS8_PNS0_10empty_typeENS0_5tupleIJS8_S9_EEENSB_IJS8_SA_EEENS0_18inequality_wrapperIZN2at6native12_GLOBAL__N_124unique_dim_cuda_templateIdEESt5tupleIJNSF_6TensorESK_SK_EERKSK_lbbbEUlllE0_EEPmJS9_EEE10hipError_tPvRmT3_T4_T5_T6_T7_T9_mT8_P12ihipStream_tbDpT10_ENKUlT_T0_E_clISt17integral_constantIbLb1EES1A_EEDaS15_S16_EUlS15_E_NS1_11comp_targetILNS1_3genE3ELNS1_11target_archE908ELNS1_3gpuE7ELNS1_3repE0EEENS1_30default_config_static_selectorELNS0_4arch9wavefront6targetE0EEEvT1_.num_vgpr, 0
	.set _ZN7rocprim17ROCPRIM_400000_NS6detail17trampoline_kernelINS0_14default_configENS1_25partition_config_selectorILNS1_17partition_subalgoE9EllbEEZZNS1_14partition_implILS5_9ELb0ES3_jPlS8_PNS0_10empty_typeENS0_5tupleIJS8_S9_EEENSB_IJS8_SA_EEENS0_18inequality_wrapperIZN2at6native12_GLOBAL__N_124unique_dim_cuda_templateIdEESt5tupleIJNSF_6TensorESK_SK_EERKSK_lbbbEUlllE0_EEPmJS9_EEE10hipError_tPvRmT3_T4_T5_T6_T7_T9_mT8_P12ihipStream_tbDpT10_ENKUlT_T0_E_clISt17integral_constantIbLb1EES1A_EEDaS15_S16_EUlS15_E_NS1_11comp_targetILNS1_3genE3ELNS1_11target_archE908ELNS1_3gpuE7ELNS1_3repE0EEENS1_30default_config_static_selectorELNS0_4arch9wavefront6targetE0EEEvT1_.num_agpr, 0
	.set _ZN7rocprim17ROCPRIM_400000_NS6detail17trampoline_kernelINS0_14default_configENS1_25partition_config_selectorILNS1_17partition_subalgoE9EllbEEZZNS1_14partition_implILS5_9ELb0ES3_jPlS8_PNS0_10empty_typeENS0_5tupleIJS8_S9_EEENSB_IJS8_SA_EEENS0_18inequality_wrapperIZN2at6native12_GLOBAL__N_124unique_dim_cuda_templateIdEESt5tupleIJNSF_6TensorESK_SK_EERKSK_lbbbEUlllE0_EEPmJS9_EEE10hipError_tPvRmT3_T4_T5_T6_T7_T9_mT8_P12ihipStream_tbDpT10_ENKUlT_T0_E_clISt17integral_constantIbLb1EES1A_EEDaS15_S16_EUlS15_E_NS1_11comp_targetILNS1_3genE3ELNS1_11target_archE908ELNS1_3gpuE7ELNS1_3repE0EEENS1_30default_config_static_selectorELNS0_4arch9wavefront6targetE0EEEvT1_.numbered_sgpr, 0
	.set _ZN7rocprim17ROCPRIM_400000_NS6detail17trampoline_kernelINS0_14default_configENS1_25partition_config_selectorILNS1_17partition_subalgoE9EllbEEZZNS1_14partition_implILS5_9ELb0ES3_jPlS8_PNS0_10empty_typeENS0_5tupleIJS8_S9_EEENSB_IJS8_SA_EEENS0_18inequality_wrapperIZN2at6native12_GLOBAL__N_124unique_dim_cuda_templateIdEESt5tupleIJNSF_6TensorESK_SK_EERKSK_lbbbEUlllE0_EEPmJS9_EEE10hipError_tPvRmT3_T4_T5_T6_T7_T9_mT8_P12ihipStream_tbDpT10_ENKUlT_T0_E_clISt17integral_constantIbLb1EES1A_EEDaS15_S16_EUlS15_E_NS1_11comp_targetILNS1_3genE3ELNS1_11target_archE908ELNS1_3gpuE7ELNS1_3repE0EEENS1_30default_config_static_selectorELNS0_4arch9wavefront6targetE0EEEvT1_.num_named_barrier, 0
	.set _ZN7rocprim17ROCPRIM_400000_NS6detail17trampoline_kernelINS0_14default_configENS1_25partition_config_selectorILNS1_17partition_subalgoE9EllbEEZZNS1_14partition_implILS5_9ELb0ES3_jPlS8_PNS0_10empty_typeENS0_5tupleIJS8_S9_EEENSB_IJS8_SA_EEENS0_18inequality_wrapperIZN2at6native12_GLOBAL__N_124unique_dim_cuda_templateIdEESt5tupleIJNSF_6TensorESK_SK_EERKSK_lbbbEUlllE0_EEPmJS9_EEE10hipError_tPvRmT3_T4_T5_T6_T7_T9_mT8_P12ihipStream_tbDpT10_ENKUlT_T0_E_clISt17integral_constantIbLb1EES1A_EEDaS15_S16_EUlS15_E_NS1_11comp_targetILNS1_3genE3ELNS1_11target_archE908ELNS1_3gpuE7ELNS1_3repE0EEENS1_30default_config_static_selectorELNS0_4arch9wavefront6targetE0EEEvT1_.private_seg_size, 0
	.set _ZN7rocprim17ROCPRIM_400000_NS6detail17trampoline_kernelINS0_14default_configENS1_25partition_config_selectorILNS1_17partition_subalgoE9EllbEEZZNS1_14partition_implILS5_9ELb0ES3_jPlS8_PNS0_10empty_typeENS0_5tupleIJS8_S9_EEENSB_IJS8_SA_EEENS0_18inequality_wrapperIZN2at6native12_GLOBAL__N_124unique_dim_cuda_templateIdEESt5tupleIJNSF_6TensorESK_SK_EERKSK_lbbbEUlllE0_EEPmJS9_EEE10hipError_tPvRmT3_T4_T5_T6_T7_T9_mT8_P12ihipStream_tbDpT10_ENKUlT_T0_E_clISt17integral_constantIbLb1EES1A_EEDaS15_S16_EUlS15_E_NS1_11comp_targetILNS1_3genE3ELNS1_11target_archE908ELNS1_3gpuE7ELNS1_3repE0EEENS1_30default_config_static_selectorELNS0_4arch9wavefront6targetE0EEEvT1_.uses_vcc, 0
	.set _ZN7rocprim17ROCPRIM_400000_NS6detail17trampoline_kernelINS0_14default_configENS1_25partition_config_selectorILNS1_17partition_subalgoE9EllbEEZZNS1_14partition_implILS5_9ELb0ES3_jPlS8_PNS0_10empty_typeENS0_5tupleIJS8_S9_EEENSB_IJS8_SA_EEENS0_18inequality_wrapperIZN2at6native12_GLOBAL__N_124unique_dim_cuda_templateIdEESt5tupleIJNSF_6TensorESK_SK_EERKSK_lbbbEUlllE0_EEPmJS9_EEE10hipError_tPvRmT3_T4_T5_T6_T7_T9_mT8_P12ihipStream_tbDpT10_ENKUlT_T0_E_clISt17integral_constantIbLb1EES1A_EEDaS15_S16_EUlS15_E_NS1_11comp_targetILNS1_3genE3ELNS1_11target_archE908ELNS1_3gpuE7ELNS1_3repE0EEENS1_30default_config_static_selectorELNS0_4arch9wavefront6targetE0EEEvT1_.uses_flat_scratch, 0
	.set _ZN7rocprim17ROCPRIM_400000_NS6detail17trampoline_kernelINS0_14default_configENS1_25partition_config_selectorILNS1_17partition_subalgoE9EllbEEZZNS1_14partition_implILS5_9ELb0ES3_jPlS8_PNS0_10empty_typeENS0_5tupleIJS8_S9_EEENSB_IJS8_SA_EEENS0_18inequality_wrapperIZN2at6native12_GLOBAL__N_124unique_dim_cuda_templateIdEESt5tupleIJNSF_6TensorESK_SK_EERKSK_lbbbEUlllE0_EEPmJS9_EEE10hipError_tPvRmT3_T4_T5_T6_T7_T9_mT8_P12ihipStream_tbDpT10_ENKUlT_T0_E_clISt17integral_constantIbLb1EES1A_EEDaS15_S16_EUlS15_E_NS1_11comp_targetILNS1_3genE3ELNS1_11target_archE908ELNS1_3gpuE7ELNS1_3repE0EEENS1_30default_config_static_selectorELNS0_4arch9wavefront6targetE0EEEvT1_.has_dyn_sized_stack, 0
	.set _ZN7rocprim17ROCPRIM_400000_NS6detail17trampoline_kernelINS0_14default_configENS1_25partition_config_selectorILNS1_17partition_subalgoE9EllbEEZZNS1_14partition_implILS5_9ELb0ES3_jPlS8_PNS0_10empty_typeENS0_5tupleIJS8_S9_EEENSB_IJS8_SA_EEENS0_18inequality_wrapperIZN2at6native12_GLOBAL__N_124unique_dim_cuda_templateIdEESt5tupleIJNSF_6TensorESK_SK_EERKSK_lbbbEUlllE0_EEPmJS9_EEE10hipError_tPvRmT3_T4_T5_T6_T7_T9_mT8_P12ihipStream_tbDpT10_ENKUlT_T0_E_clISt17integral_constantIbLb1EES1A_EEDaS15_S16_EUlS15_E_NS1_11comp_targetILNS1_3genE3ELNS1_11target_archE908ELNS1_3gpuE7ELNS1_3repE0EEENS1_30default_config_static_selectorELNS0_4arch9wavefront6targetE0EEEvT1_.has_recursion, 0
	.set _ZN7rocprim17ROCPRIM_400000_NS6detail17trampoline_kernelINS0_14default_configENS1_25partition_config_selectorILNS1_17partition_subalgoE9EllbEEZZNS1_14partition_implILS5_9ELb0ES3_jPlS8_PNS0_10empty_typeENS0_5tupleIJS8_S9_EEENSB_IJS8_SA_EEENS0_18inequality_wrapperIZN2at6native12_GLOBAL__N_124unique_dim_cuda_templateIdEESt5tupleIJNSF_6TensorESK_SK_EERKSK_lbbbEUlllE0_EEPmJS9_EEE10hipError_tPvRmT3_T4_T5_T6_T7_T9_mT8_P12ihipStream_tbDpT10_ENKUlT_T0_E_clISt17integral_constantIbLb1EES1A_EEDaS15_S16_EUlS15_E_NS1_11comp_targetILNS1_3genE3ELNS1_11target_archE908ELNS1_3gpuE7ELNS1_3repE0EEENS1_30default_config_static_selectorELNS0_4arch9wavefront6targetE0EEEvT1_.has_indirect_call, 0
	.section	.AMDGPU.csdata,"",@progbits
; Kernel info:
; codeLenInByte = 0
; TotalNumSgprs: 0
; NumVgprs: 0
; ScratchSize: 0
; MemoryBound: 0
; FloatMode: 240
; IeeeMode: 1
; LDSByteSize: 0 bytes/workgroup (compile time only)
; SGPRBlocks: 0
; VGPRBlocks: 0
; NumSGPRsForWavesPerEU: 1
; NumVGPRsForWavesPerEU: 1
; NamedBarCnt: 0
; Occupancy: 16
; WaveLimiterHint : 0
; COMPUTE_PGM_RSRC2:SCRATCH_EN: 0
; COMPUTE_PGM_RSRC2:USER_SGPR: 2
; COMPUTE_PGM_RSRC2:TRAP_HANDLER: 0
; COMPUTE_PGM_RSRC2:TGID_X_EN: 1
; COMPUTE_PGM_RSRC2:TGID_Y_EN: 0
; COMPUTE_PGM_RSRC2:TGID_Z_EN: 0
; COMPUTE_PGM_RSRC2:TIDIG_COMP_CNT: 0
	.section	.text._ZN7rocprim17ROCPRIM_400000_NS6detail17trampoline_kernelINS0_14default_configENS1_25partition_config_selectorILNS1_17partition_subalgoE9EllbEEZZNS1_14partition_implILS5_9ELb0ES3_jPlS8_PNS0_10empty_typeENS0_5tupleIJS8_S9_EEENSB_IJS8_SA_EEENS0_18inequality_wrapperIZN2at6native12_GLOBAL__N_124unique_dim_cuda_templateIdEESt5tupleIJNSF_6TensorESK_SK_EERKSK_lbbbEUlllE0_EEPmJS9_EEE10hipError_tPvRmT3_T4_T5_T6_T7_T9_mT8_P12ihipStream_tbDpT10_ENKUlT_T0_E_clISt17integral_constantIbLb1EES1A_EEDaS15_S16_EUlS15_E_NS1_11comp_targetILNS1_3genE2ELNS1_11target_archE906ELNS1_3gpuE6ELNS1_3repE0EEENS1_30default_config_static_selectorELNS0_4arch9wavefront6targetE0EEEvT1_,"axG",@progbits,_ZN7rocprim17ROCPRIM_400000_NS6detail17trampoline_kernelINS0_14default_configENS1_25partition_config_selectorILNS1_17partition_subalgoE9EllbEEZZNS1_14partition_implILS5_9ELb0ES3_jPlS8_PNS0_10empty_typeENS0_5tupleIJS8_S9_EEENSB_IJS8_SA_EEENS0_18inequality_wrapperIZN2at6native12_GLOBAL__N_124unique_dim_cuda_templateIdEESt5tupleIJNSF_6TensorESK_SK_EERKSK_lbbbEUlllE0_EEPmJS9_EEE10hipError_tPvRmT3_T4_T5_T6_T7_T9_mT8_P12ihipStream_tbDpT10_ENKUlT_T0_E_clISt17integral_constantIbLb1EES1A_EEDaS15_S16_EUlS15_E_NS1_11comp_targetILNS1_3genE2ELNS1_11target_archE906ELNS1_3gpuE6ELNS1_3repE0EEENS1_30default_config_static_selectorELNS0_4arch9wavefront6targetE0EEEvT1_,comdat
	.globl	_ZN7rocprim17ROCPRIM_400000_NS6detail17trampoline_kernelINS0_14default_configENS1_25partition_config_selectorILNS1_17partition_subalgoE9EllbEEZZNS1_14partition_implILS5_9ELb0ES3_jPlS8_PNS0_10empty_typeENS0_5tupleIJS8_S9_EEENSB_IJS8_SA_EEENS0_18inequality_wrapperIZN2at6native12_GLOBAL__N_124unique_dim_cuda_templateIdEESt5tupleIJNSF_6TensorESK_SK_EERKSK_lbbbEUlllE0_EEPmJS9_EEE10hipError_tPvRmT3_T4_T5_T6_T7_T9_mT8_P12ihipStream_tbDpT10_ENKUlT_T0_E_clISt17integral_constantIbLb1EES1A_EEDaS15_S16_EUlS15_E_NS1_11comp_targetILNS1_3genE2ELNS1_11target_archE906ELNS1_3gpuE6ELNS1_3repE0EEENS1_30default_config_static_selectorELNS0_4arch9wavefront6targetE0EEEvT1_ ; -- Begin function _ZN7rocprim17ROCPRIM_400000_NS6detail17trampoline_kernelINS0_14default_configENS1_25partition_config_selectorILNS1_17partition_subalgoE9EllbEEZZNS1_14partition_implILS5_9ELb0ES3_jPlS8_PNS0_10empty_typeENS0_5tupleIJS8_S9_EEENSB_IJS8_SA_EEENS0_18inequality_wrapperIZN2at6native12_GLOBAL__N_124unique_dim_cuda_templateIdEESt5tupleIJNSF_6TensorESK_SK_EERKSK_lbbbEUlllE0_EEPmJS9_EEE10hipError_tPvRmT3_T4_T5_T6_T7_T9_mT8_P12ihipStream_tbDpT10_ENKUlT_T0_E_clISt17integral_constantIbLb1EES1A_EEDaS15_S16_EUlS15_E_NS1_11comp_targetILNS1_3genE2ELNS1_11target_archE906ELNS1_3gpuE6ELNS1_3repE0EEENS1_30default_config_static_selectorELNS0_4arch9wavefront6targetE0EEEvT1_
	.p2align	8
	.type	_ZN7rocprim17ROCPRIM_400000_NS6detail17trampoline_kernelINS0_14default_configENS1_25partition_config_selectorILNS1_17partition_subalgoE9EllbEEZZNS1_14partition_implILS5_9ELb0ES3_jPlS8_PNS0_10empty_typeENS0_5tupleIJS8_S9_EEENSB_IJS8_SA_EEENS0_18inequality_wrapperIZN2at6native12_GLOBAL__N_124unique_dim_cuda_templateIdEESt5tupleIJNSF_6TensorESK_SK_EERKSK_lbbbEUlllE0_EEPmJS9_EEE10hipError_tPvRmT3_T4_T5_T6_T7_T9_mT8_P12ihipStream_tbDpT10_ENKUlT_T0_E_clISt17integral_constantIbLb1EES1A_EEDaS15_S16_EUlS15_E_NS1_11comp_targetILNS1_3genE2ELNS1_11target_archE906ELNS1_3gpuE6ELNS1_3repE0EEENS1_30default_config_static_selectorELNS0_4arch9wavefront6targetE0EEEvT1_,@function
_ZN7rocprim17ROCPRIM_400000_NS6detail17trampoline_kernelINS0_14default_configENS1_25partition_config_selectorILNS1_17partition_subalgoE9EllbEEZZNS1_14partition_implILS5_9ELb0ES3_jPlS8_PNS0_10empty_typeENS0_5tupleIJS8_S9_EEENSB_IJS8_SA_EEENS0_18inequality_wrapperIZN2at6native12_GLOBAL__N_124unique_dim_cuda_templateIdEESt5tupleIJNSF_6TensorESK_SK_EERKSK_lbbbEUlllE0_EEPmJS9_EEE10hipError_tPvRmT3_T4_T5_T6_T7_T9_mT8_P12ihipStream_tbDpT10_ENKUlT_T0_E_clISt17integral_constantIbLb1EES1A_EEDaS15_S16_EUlS15_E_NS1_11comp_targetILNS1_3genE2ELNS1_11target_archE906ELNS1_3gpuE6ELNS1_3repE0EEENS1_30default_config_static_selectorELNS0_4arch9wavefront6targetE0EEEvT1_: ; @_ZN7rocprim17ROCPRIM_400000_NS6detail17trampoline_kernelINS0_14default_configENS1_25partition_config_selectorILNS1_17partition_subalgoE9EllbEEZZNS1_14partition_implILS5_9ELb0ES3_jPlS8_PNS0_10empty_typeENS0_5tupleIJS8_S9_EEENSB_IJS8_SA_EEENS0_18inequality_wrapperIZN2at6native12_GLOBAL__N_124unique_dim_cuda_templateIdEESt5tupleIJNSF_6TensorESK_SK_EERKSK_lbbbEUlllE0_EEPmJS9_EEE10hipError_tPvRmT3_T4_T5_T6_T7_T9_mT8_P12ihipStream_tbDpT10_ENKUlT_T0_E_clISt17integral_constantIbLb1EES1A_EEDaS15_S16_EUlS15_E_NS1_11comp_targetILNS1_3genE2ELNS1_11target_archE906ELNS1_3gpuE6ELNS1_3repE0EEENS1_30default_config_static_selectorELNS0_4arch9wavefront6targetE0EEEvT1_
; %bb.0:
	.section	.rodata,"a",@progbits
	.p2align	6, 0x0
	.amdhsa_kernel _ZN7rocprim17ROCPRIM_400000_NS6detail17trampoline_kernelINS0_14default_configENS1_25partition_config_selectorILNS1_17partition_subalgoE9EllbEEZZNS1_14partition_implILS5_9ELb0ES3_jPlS8_PNS0_10empty_typeENS0_5tupleIJS8_S9_EEENSB_IJS8_SA_EEENS0_18inequality_wrapperIZN2at6native12_GLOBAL__N_124unique_dim_cuda_templateIdEESt5tupleIJNSF_6TensorESK_SK_EERKSK_lbbbEUlllE0_EEPmJS9_EEE10hipError_tPvRmT3_T4_T5_T6_T7_T9_mT8_P12ihipStream_tbDpT10_ENKUlT_T0_E_clISt17integral_constantIbLb1EES1A_EEDaS15_S16_EUlS15_E_NS1_11comp_targetILNS1_3genE2ELNS1_11target_archE906ELNS1_3gpuE6ELNS1_3repE0EEENS1_30default_config_static_selectorELNS0_4arch9wavefront6targetE0EEEvT1_
		.amdhsa_group_segment_fixed_size 0
		.amdhsa_private_segment_fixed_size 0
		.amdhsa_kernarg_size 136
		.amdhsa_user_sgpr_count 2
		.amdhsa_user_sgpr_dispatch_ptr 0
		.amdhsa_user_sgpr_queue_ptr 0
		.amdhsa_user_sgpr_kernarg_segment_ptr 1
		.amdhsa_user_sgpr_dispatch_id 0
		.amdhsa_user_sgpr_kernarg_preload_length 0
		.amdhsa_user_sgpr_kernarg_preload_offset 0
		.amdhsa_user_sgpr_private_segment_size 0
		.amdhsa_wavefront_size32 1
		.amdhsa_uses_dynamic_stack 0
		.amdhsa_enable_private_segment 0
		.amdhsa_system_sgpr_workgroup_id_x 1
		.amdhsa_system_sgpr_workgroup_id_y 0
		.amdhsa_system_sgpr_workgroup_id_z 0
		.amdhsa_system_sgpr_workgroup_info 0
		.amdhsa_system_vgpr_workitem_id 0
		.amdhsa_next_free_vgpr 1
		.amdhsa_next_free_sgpr 1
		.amdhsa_named_barrier_count 0
		.amdhsa_reserve_vcc 0
		.amdhsa_float_round_mode_32 0
		.amdhsa_float_round_mode_16_64 0
		.amdhsa_float_denorm_mode_32 3
		.amdhsa_float_denorm_mode_16_64 3
		.amdhsa_fp16_overflow 0
		.amdhsa_memory_ordered 1
		.amdhsa_forward_progress 1
		.amdhsa_inst_pref_size 0
		.amdhsa_round_robin_scheduling 0
		.amdhsa_exception_fp_ieee_invalid_op 0
		.amdhsa_exception_fp_denorm_src 0
		.amdhsa_exception_fp_ieee_div_zero 0
		.amdhsa_exception_fp_ieee_overflow 0
		.amdhsa_exception_fp_ieee_underflow 0
		.amdhsa_exception_fp_ieee_inexact 0
		.amdhsa_exception_int_div_zero 0
	.end_amdhsa_kernel
	.section	.text._ZN7rocprim17ROCPRIM_400000_NS6detail17trampoline_kernelINS0_14default_configENS1_25partition_config_selectorILNS1_17partition_subalgoE9EllbEEZZNS1_14partition_implILS5_9ELb0ES3_jPlS8_PNS0_10empty_typeENS0_5tupleIJS8_S9_EEENSB_IJS8_SA_EEENS0_18inequality_wrapperIZN2at6native12_GLOBAL__N_124unique_dim_cuda_templateIdEESt5tupleIJNSF_6TensorESK_SK_EERKSK_lbbbEUlllE0_EEPmJS9_EEE10hipError_tPvRmT3_T4_T5_T6_T7_T9_mT8_P12ihipStream_tbDpT10_ENKUlT_T0_E_clISt17integral_constantIbLb1EES1A_EEDaS15_S16_EUlS15_E_NS1_11comp_targetILNS1_3genE2ELNS1_11target_archE906ELNS1_3gpuE6ELNS1_3repE0EEENS1_30default_config_static_selectorELNS0_4arch9wavefront6targetE0EEEvT1_,"axG",@progbits,_ZN7rocprim17ROCPRIM_400000_NS6detail17trampoline_kernelINS0_14default_configENS1_25partition_config_selectorILNS1_17partition_subalgoE9EllbEEZZNS1_14partition_implILS5_9ELb0ES3_jPlS8_PNS0_10empty_typeENS0_5tupleIJS8_S9_EEENSB_IJS8_SA_EEENS0_18inequality_wrapperIZN2at6native12_GLOBAL__N_124unique_dim_cuda_templateIdEESt5tupleIJNSF_6TensorESK_SK_EERKSK_lbbbEUlllE0_EEPmJS9_EEE10hipError_tPvRmT3_T4_T5_T6_T7_T9_mT8_P12ihipStream_tbDpT10_ENKUlT_T0_E_clISt17integral_constantIbLb1EES1A_EEDaS15_S16_EUlS15_E_NS1_11comp_targetILNS1_3genE2ELNS1_11target_archE906ELNS1_3gpuE6ELNS1_3repE0EEENS1_30default_config_static_selectorELNS0_4arch9wavefront6targetE0EEEvT1_,comdat
.Lfunc_end851:
	.size	_ZN7rocprim17ROCPRIM_400000_NS6detail17trampoline_kernelINS0_14default_configENS1_25partition_config_selectorILNS1_17partition_subalgoE9EllbEEZZNS1_14partition_implILS5_9ELb0ES3_jPlS8_PNS0_10empty_typeENS0_5tupleIJS8_S9_EEENSB_IJS8_SA_EEENS0_18inequality_wrapperIZN2at6native12_GLOBAL__N_124unique_dim_cuda_templateIdEESt5tupleIJNSF_6TensorESK_SK_EERKSK_lbbbEUlllE0_EEPmJS9_EEE10hipError_tPvRmT3_T4_T5_T6_T7_T9_mT8_P12ihipStream_tbDpT10_ENKUlT_T0_E_clISt17integral_constantIbLb1EES1A_EEDaS15_S16_EUlS15_E_NS1_11comp_targetILNS1_3genE2ELNS1_11target_archE906ELNS1_3gpuE6ELNS1_3repE0EEENS1_30default_config_static_selectorELNS0_4arch9wavefront6targetE0EEEvT1_, .Lfunc_end851-_ZN7rocprim17ROCPRIM_400000_NS6detail17trampoline_kernelINS0_14default_configENS1_25partition_config_selectorILNS1_17partition_subalgoE9EllbEEZZNS1_14partition_implILS5_9ELb0ES3_jPlS8_PNS0_10empty_typeENS0_5tupleIJS8_S9_EEENSB_IJS8_SA_EEENS0_18inequality_wrapperIZN2at6native12_GLOBAL__N_124unique_dim_cuda_templateIdEESt5tupleIJNSF_6TensorESK_SK_EERKSK_lbbbEUlllE0_EEPmJS9_EEE10hipError_tPvRmT3_T4_T5_T6_T7_T9_mT8_P12ihipStream_tbDpT10_ENKUlT_T0_E_clISt17integral_constantIbLb1EES1A_EEDaS15_S16_EUlS15_E_NS1_11comp_targetILNS1_3genE2ELNS1_11target_archE906ELNS1_3gpuE6ELNS1_3repE0EEENS1_30default_config_static_selectorELNS0_4arch9wavefront6targetE0EEEvT1_
                                        ; -- End function
	.set _ZN7rocprim17ROCPRIM_400000_NS6detail17trampoline_kernelINS0_14default_configENS1_25partition_config_selectorILNS1_17partition_subalgoE9EllbEEZZNS1_14partition_implILS5_9ELb0ES3_jPlS8_PNS0_10empty_typeENS0_5tupleIJS8_S9_EEENSB_IJS8_SA_EEENS0_18inequality_wrapperIZN2at6native12_GLOBAL__N_124unique_dim_cuda_templateIdEESt5tupleIJNSF_6TensorESK_SK_EERKSK_lbbbEUlllE0_EEPmJS9_EEE10hipError_tPvRmT3_T4_T5_T6_T7_T9_mT8_P12ihipStream_tbDpT10_ENKUlT_T0_E_clISt17integral_constantIbLb1EES1A_EEDaS15_S16_EUlS15_E_NS1_11comp_targetILNS1_3genE2ELNS1_11target_archE906ELNS1_3gpuE6ELNS1_3repE0EEENS1_30default_config_static_selectorELNS0_4arch9wavefront6targetE0EEEvT1_.num_vgpr, 0
	.set _ZN7rocprim17ROCPRIM_400000_NS6detail17trampoline_kernelINS0_14default_configENS1_25partition_config_selectorILNS1_17partition_subalgoE9EllbEEZZNS1_14partition_implILS5_9ELb0ES3_jPlS8_PNS0_10empty_typeENS0_5tupleIJS8_S9_EEENSB_IJS8_SA_EEENS0_18inequality_wrapperIZN2at6native12_GLOBAL__N_124unique_dim_cuda_templateIdEESt5tupleIJNSF_6TensorESK_SK_EERKSK_lbbbEUlllE0_EEPmJS9_EEE10hipError_tPvRmT3_T4_T5_T6_T7_T9_mT8_P12ihipStream_tbDpT10_ENKUlT_T0_E_clISt17integral_constantIbLb1EES1A_EEDaS15_S16_EUlS15_E_NS1_11comp_targetILNS1_3genE2ELNS1_11target_archE906ELNS1_3gpuE6ELNS1_3repE0EEENS1_30default_config_static_selectorELNS0_4arch9wavefront6targetE0EEEvT1_.num_agpr, 0
	.set _ZN7rocprim17ROCPRIM_400000_NS6detail17trampoline_kernelINS0_14default_configENS1_25partition_config_selectorILNS1_17partition_subalgoE9EllbEEZZNS1_14partition_implILS5_9ELb0ES3_jPlS8_PNS0_10empty_typeENS0_5tupleIJS8_S9_EEENSB_IJS8_SA_EEENS0_18inequality_wrapperIZN2at6native12_GLOBAL__N_124unique_dim_cuda_templateIdEESt5tupleIJNSF_6TensorESK_SK_EERKSK_lbbbEUlllE0_EEPmJS9_EEE10hipError_tPvRmT3_T4_T5_T6_T7_T9_mT8_P12ihipStream_tbDpT10_ENKUlT_T0_E_clISt17integral_constantIbLb1EES1A_EEDaS15_S16_EUlS15_E_NS1_11comp_targetILNS1_3genE2ELNS1_11target_archE906ELNS1_3gpuE6ELNS1_3repE0EEENS1_30default_config_static_selectorELNS0_4arch9wavefront6targetE0EEEvT1_.numbered_sgpr, 0
	.set _ZN7rocprim17ROCPRIM_400000_NS6detail17trampoline_kernelINS0_14default_configENS1_25partition_config_selectorILNS1_17partition_subalgoE9EllbEEZZNS1_14partition_implILS5_9ELb0ES3_jPlS8_PNS0_10empty_typeENS0_5tupleIJS8_S9_EEENSB_IJS8_SA_EEENS0_18inequality_wrapperIZN2at6native12_GLOBAL__N_124unique_dim_cuda_templateIdEESt5tupleIJNSF_6TensorESK_SK_EERKSK_lbbbEUlllE0_EEPmJS9_EEE10hipError_tPvRmT3_T4_T5_T6_T7_T9_mT8_P12ihipStream_tbDpT10_ENKUlT_T0_E_clISt17integral_constantIbLb1EES1A_EEDaS15_S16_EUlS15_E_NS1_11comp_targetILNS1_3genE2ELNS1_11target_archE906ELNS1_3gpuE6ELNS1_3repE0EEENS1_30default_config_static_selectorELNS0_4arch9wavefront6targetE0EEEvT1_.num_named_barrier, 0
	.set _ZN7rocprim17ROCPRIM_400000_NS6detail17trampoline_kernelINS0_14default_configENS1_25partition_config_selectorILNS1_17partition_subalgoE9EllbEEZZNS1_14partition_implILS5_9ELb0ES3_jPlS8_PNS0_10empty_typeENS0_5tupleIJS8_S9_EEENSB_IJS8_SA_EEENS0_18inequality_wrapperIZN2at6native12_GLOBAL__N_124unique_dim_cuda_templateIdEESt5tupleIJNSF_6TensorESK_SK_EERKSK_lbbbEUlllE0_EEPmJS9_EEE10hipError_tPvRmT3_T4_T5_T6_T7_T9_mT8_P12ihipStream_tbDpT10_ENKUlT_T0_E_clISt17integral_constantIbLb1EES1A_EEDaS15_S16_EUlS15_E_NS1_11comp_targetILNS1_3genE2ELNS1_11target_archE906ELNS1_3gpuE6ELNS1_3repE0EEENS1_30default_config_static_selectorELNS0_4arch9wavefront6targetE0EEEvT1_.private_seg_size, 0
	.set _ZN7rocprim17ROCPRIM_400000_NS6detail17trampoline_kernelINS0_14default_configENS1_25partition_config_selectorILNS1_17partition_subalgoE9EllbEEZZNS1_14partition_implILS5_9ELb0ES3_jPlS8_PNS0_10empty_typeENS0_5tupleIJS8_S9_EEENSB_IJS8_SA_EEENS0_18inequality_wrapperIZN2at6native12_GLOBAL__N_124unique_dim_cuda_templateIdEESt5tupleIJNSF_6TensorESK_SK_EERKSK_lbbbEUlllE0_EEPmJS9_EEE10hipError_tPvRmT3_T4_T5_T6_T7_T9_mT8_P12ihipStream_tbDpT10_ENKUlT_T0_E_clISt17integral_constantIbLb1EES1A_EEDaS15_S16_EUlS15_E_NS1_11comp_targetILNS1_3genE2ELNS1_11target_archE906ELNS1_3gpuE6ELNS1_3repE0EEENS1_30default_config_static_selectorELNS0_4arch9wavefront6targetE0EEEvT1_.uses_vcc, 0
	.set _ZN7rocprim17ROCPRIM_400000_NS6detail17trampoline_kernelINS0_14default_configENS1_25partition_config_selectorILNS1_17partition_subalgoE9EllbEEZZNS1_14partition_implILS5_9ELb0ES3_jPlS8_PNS0_10empty_typeENS0_5tupleIJS8_S9_EEENSB_IJS8_SA_EEENS0_18inequality_wrapperIZN2at6native12_GLOBAL__N_124unique_dim_cuda_templateIdEESt5tupleIJNSF_6TensorESK_SK_EERKSK_lbbbEUlllE0_EEPmJS9_EEE10hipError_tPvRmT3_T4_T5_T6_T7_T9_mT8_P12ihipStream_tbDpT10_ENKUlT_T0_E_clISt17integral_constantIbLb1EES1A_EEDaS15_S16_EUlS15_E_NS1_11comp_targetILNS1_3genE2ELNS1_11target_archE906ELNS1_3gpuE6ELNS1_3repE0EEENS1_30default_config_static_selectorELNS0_4arch9wavefront6targetE0EEEvT1_.uses_flat_scratch, 0
	.set _ZN7rocprim17ROCPRIM_400000_NS6detail17trampoline_kernelINS0_14default_configENS1_25partition_config_selectorILNS1_17partition_subalgoE9EllbEEZZNS1_14partition_implILS5_9ELb0ES3_jPlS8_PNS0_10empty_typeENS0_5tupleIJS8_S9_EEENSB_IJS8_SA_EEENS0_18inequality_wrapperIZN2at6native12_GLOBAL__N_124unique_dim_cuda_templateIdEESt5tupleIJNSF_6TensorESK_SK_EERKSK_lbbbEUlllE0_EEPmJS9_EEE10hipError_tPvRmT3_T4_T5_T6_T7_T9_mT8_P12ihipStream_tbDpT10_ENKUlT_T0_E_clISt17integral_constantIbLb1EES1A_EEDaS15_S16_EUlS15_E_NS1_11comp_targetILNS1_3genE2ELNS1_11target_archE906ELNS1_3gpuE6ELNS1_3repE0EEENS1_30default_config_static_selectorELNS0_4arch9wavefront6targetE0EEEvT1_.has_dyn_sized_stack, 0
	.set _ZN7rocprim17ROCPRIM_400000_NS6detail17trampoline_kernelINS0_14default_configENS1_25partition_config_selectorILNS1_17partition_subalgoE9EllbEEZZNS1_14partition_implILS5_9ELb0ES3_jPlS8_PNS0_10empty_typeENS0_5tupleIJS8_S9_EEENSB_IJS8_SA_EEENS0_18inequality_wrapperIZN2at6native12_GLOBAL__N_124unique_dim_cuda_templateIdEESt5tupleIJNSF_6TensorESK_SK_EERKSK_lbbbEUlllE0_EEPmJS9_EEE10hipError_tPvRmT3_T4_T5_T6_T7_T9_mT8_P12ihipStream_tbDpT10_ENKUlT_T0_E_clISt17integral_constantIbLb1EES1A_EEDaS15_S16_EUlS15_E_NS1_11comp_targetILNS1_3genE2ELNS1_11target_archE906ELNS1_3gpuE6ELNS1_3repE0EEENS1_30default_config_static_selectorELNS0_4arch9wavefront6targetE0EEEvT1_.has_recursion, 0
	.set _ZN7rocprim17ROCPRIM_400000_NS6detail17trampoline_kernelINS0_14default_configENS1_25partition_config_selectorILNS1_17partition_subalgoE9EllbEEZZNS1_14partition_implILS5_9ELb0ES3_jPlS8_PNS0_10empty_typeENS0_5tupleIJS8_S9_EEENSB_IJS8_SA_EEENS0_18inequality_wrapperIZN2at6native12_GLOBAL__N_124unique_dim_cuda_templateIdEESt5tupleIJNSF_6TensorESK_SK_EERKSK_lbbbEUlllE0_EEPmJS9_EEE10hipError_tPvRmT3_T4_T5_T6_T7_T9_mT8_P12ihipStream_tbDpT10_ENKUlT_T0_E_clISt17integral_constantIbLb1EES1A_EEDaS15_S16_EUlS15_E_NS1_11comp_targetILNS1_3genE2ELNS1_11target_archE906ELNS1_3gpuE6ELNS1_3repE0EEENS1_30default_config_static_selectorELNS0_4arch9wavefront6targetE0EEEvT1_.has_indirect_call, 0
	.section	.AMDGPU.csdata,"",@progbits
; Kernel info:
; codeLenInByte = 0
; TotalNumSgprs: 0
; NumVgprs: 0
; ScratchSize: 0
; MemoryBound: 0
; FloatMode: 240
; IeeeMode: 1
; LDSByteSize: 0 bytes/workgroup (compile time only)
; SGPRBlocks: 0
; VGPRBlocks: 0
; NumSGPRsForWavesPerEU: 1
; NumVGPRsForWavesPerEU: 1
; NamedBarCnt: 0
; Occupancy: 16
; WaveLimiterHint : 0
; COMPUTE_PGM_RSRC2:SCRATCH_EN: 0
; COMPUTE_PGM_RSRC2:USER_SGPR: 2
; COMPUTE_PGM_RSRC2:TRAP_HANDLER: 0
; COMPUTE_PGM_RSRC2:TGID_X_EN: 1
; COMPUTE_PGM_RSRC2:TGID_Y_EN: 0
; COMPUTE_PGM_RSRC2:TGID_Z_EN: 0
; COMPUTE_PGM_RSRC2:TIDIG_COMP_CNT: 0
	.section	.text._ZN7rocprim17ROCPRIM_400000_NS6detail17trampoline_kernelINS0_14default_configENS1_25partition_config_selectorILNS1_17partition_subalgoE9EllbEEZZNS1_14partition_implILS5_9ELb0ES3_jPlS8_PNS0_10empty_typeENS0_5tupleIJS8_S9_EEENSB_IJS8_SA_EEENS0_18inequality_wrapperIZN2at6native12_GLOBAL__N_124unique_dim_cuda_templateIdEESt5tupleIJNSF_6TensorESK_SK_EERKSK_lbbbEUlllE0_EEPmJS9_EEE10hipError_tPvRmT3_T4_T5_T6_T7_T9_mT8_P12ihipStream_tbDpT10_ENKUlT_T0_E_clISt17integral_constantIbLb1EES1A_EEDaS15_S16_EUlS15_E_NS1_11comp_targetILNS1_3genE10ELNS1_11target_archE1200ELNS1_3gpuE4ELNS1_3repE0EEENS1_30default_config_static_selectorELNS0_4arch9wavefront6targetE0EEEvT1_,"axG",@progbits,_ZN7rocprim17ROCPRIM_400000_NS6detail17trampoline_kernelINS0_14default_configENS1_25partition_config_selectorILNS1_17partition_subalgoE9EllbEEZZNS1_14partition_implILS5_9ELb0ES3_jPlS8_PNS0_10empty_typeENS0_5tupleIJS8_S9_EEENSB_IJS8_SA_EEENS0_18inequality_wrapperIZN2at6native12_GLOBAL__N_124unique_dim_cuda_templateIdEESt5tupleIJNSF_6TensorESK_SK_EERKSK_lbbbEUlllE0_EEPmJS9_EEE10hipError_tPvRmT3_T4_T5_T6_T7_T9_mT8_P12ihipStream_tbDpT10_ENKUlT_T0_E_clISt17integral_constantIbLb1EES1A_EEDaS15_S16_EUlS15_E_NS1_11comp_targetILNS1_3genE10ELNS1_11target_archE1200ELNS1_3gpuE4ELNS1_3repE0EEENS1_30default_config_static_selectorELNS0_4arch9wavefront6targetE0EEEvT1_,comdat
	.globl	_ZN7rocprim17ROCPRIM_400000_NS6detail17trampoline_kernelINS0_14default_configENS1_25partition_config_selectorILNS1_17partition_subalgoE9EllbEEZZNS1_14partition_implILS5_9ELb0ES3_jPlS8_PNS0_10empty_typeENS0_5tupleIJS8_S9_EEENSB_IJS8_SA_EEENS0_18inequality_wrapperIZN2at6native12_GLOBAL__N_124unique_dim_cuda_templateIdEESt5tupleIJNSF_6TensorESK_SK_EERKSK_lbbbEUlllE0_EEPmJS9_EEE10hipError_tPvRmT3_T4_T5_T6_T7_T9_mT8_P12ihipStream_tbDpT10_ENKUlT_T0_E_clISt17integral_constantIbLb1EES1A_EEDaS15_S16_EUlS15_E_NS1_11comp_targetILNS1_3genE10ELNS1_11target_archE1200ELNS1_3gpuE4ELNS1_3repE0EEENS1_30default_config_static_selectorELNS0_4arch9wavefront6targetE0EEEvT1_ ; -- Begin function _ZN7rocprim17ROCPRIM_400000_NS6detail17trampoline_kernelINS0_14default_configENS1_25partition_config_selectorILNS1_17partition_subalgoE9EllbEEZZNS1_14partition_implILS5_9ELb0ES3_jPlS8_PNS0_10empty_typeENS0_5tupleIJS8_S9_EEENSB_IJS8_SA_EEENS0_18inequality_wrapperIZN2at6native12_GLOBAL__N_124unique_dim_cuda_templateIdEESt5tupleIJNSF_6TensorESK_SK_EERKSK_lbbbEUlllE0_EEPmJS9_EEE10hipError_tPvRmT3_T4_T5_T6_T7_T9_mT8_P12ihipStream_tbDpT10_ENKUlT_T0_E_clISt17integral_constantIbLb1EES1A_EEDaS15_S16_EUlS15_E_NS1_11comp_targetILNS1_3genE10ELNS1_11target_archE1200ELNS1_3gpuE4ELNS1_3repE0EEENS1_30default_config_static_selectorELNS0_4arch9wavefront6targetE0EEEvT1_
	.p2align	8
	.type	_ZN7rocprim17ROCPRIM_400000_NS6detail17trampoline_kernelINS0_14default_configENS1_25partition_config_selectorILNS1_17partition_subalgoE9EllbEEZZNS1_14partition_implILS5_9ELb0ES3_jPlS8_PNS0_10empty_typeENS0_5tupleIJS8_S9_EEENSB_IJS8_SA_EEENS0_18inequality_wrapperIZN2at6native12_GLOBAL__N_124unique_dim_cuda_templateIdEESt5tupleIJNSF_6TensorESK_SK_EERKSK_lbbbEUlllE0_EEPmJS9_EEE10hipError_tPvRmT3_T4_T5_T6_T7_T9_mT8_P12ihipStream_tbDpT10_ENKUlT_T0_E_clISt17integral_constantIbLb1EES1A_EEDaS15_S16_EUlS15_E_NS1_11comp_targetILNS1_3genE10ELNS1_11target_archE1200ELNS1_3gpuE4ELNS1_3repE0EEENS1_30default_config_static_selectorELNS0_4arch9wavefront6targetE0EEEvT1_,@function
_ZN7rocprim17ROCPRIM_400000_NS6detail17trampoline_kernelINS0_14default_configENS1_25partition_config_selectorILNS1_17partition_subalgoE9EllbEEZZNS1_14partition_implILS5_9ELb0ES3_jPlS8_PNS0_10empty_typeENS0_5tupleIJS8_S9_EEENSB_IJS8_SA_EEENS0_18inequality_wrapperIZN2at6native12_GLOBAL__N_124unique_dim_cuda_templateIdEESt5tupleIJNSF_6TensorESK_SK_EERKSK_lbbbEUlllE0_EEPmJS9_EEE10hipError_tPvRmT3_T4_T5_T6_T7_T9_mT8_P12ihipStream_tbDpT10_ENKUlT_T0_E_clISt17integral_constantIbLb1EES1A_EEDaS15_S16_EUlS15_E_NS1_11comp_targetILNS1_3genE10ELNS1_11target_archE1200ELNS1_3gpuE4ELNS1_3repE0EEENS1_30default_config_static_selectorELNS0_4arch9wavefront6targetE0EEEvT1_: ; @_ZN7rocprim17ROCPRIM_400000_NS6detail17trampoline_kernelINS0_14default_configENS1_25partition_config_selectorILNS1_17partition_subalgoE9EllbEEZZNS1_14partition_implILS5_9ELb0ES3_jPlS8_PNS0_10empty_typeENS0_5tupleIJS8_S9_EEENSB_IJS8_SA_EEENS0_18inequality_wrapperIZN2at6native12_GLOBAL__N_124unique_dim_cuda_templateIdEESt5tupleIJNSF_6TensorESK_SK_EERKSK_lbbbEUlllE0_EEPmJS9_EEE10hipError_tPvRmT3_T4_T5_T6_T7_T9_mT8_P12ihipStream_tbDpT10_ENKUlT_T0_E_clISt17integral_constantIbLb1EES1A_EEDaS15_S16_EUlS15_E_NS1_11comp_targetILNS1_3genE10ELNS1_11target_archE1200ELNS1_3gpuE4ELNS1_3repE0EEENS1_30default_config_static_selectorELNS0_4arch9wavefront6targetE0EEEvT1_
; %bb.0:
	.section	.rodata,"a",@progbits
	.p2align	6, 0x0
	.amdhsa_kernel _ZN7rocprim17ROCPRIM_400000_NS6detail17trampoline_kernelINS0_14default_configENS1_25partition_config_selectorILNS1_17partition_subalgoE9EllbEEZZNS1_14partition_implILS5_9ELb0ES3_jPlS8_PNS0_10empty_typeENS0_5tupleIJS8_S9_EEENSB_IJS8_SA_EEENS0_18inequality_wrapperIZN2at6native12_GLOBAL__N_124unique_dim_cuda_templateIdEESt5tupleIJNSF_6TensorESK_SK_EERKSK_lbbbEUlllE0_EEPmJS9_EEE10hipError_tPvRmT3_T4_T5_T6_T7_T9_mT8_P12ihipStream_tbDpT10_ENKUlT_T0_E_clISt17integral_constantIbLb1EES1A_EEDaS15_S16_EUlS15_E_NS1_11comp_targetILNS1_3genE10ELNS1_11target_archE1200ELNS1_3gpuE4ELNS1_3repE0EEENS1_30default_config_static_selectorELNS0_4arch9wavefront6targetE0EEEvT1_
		.amdhsa_group_segment_fixed_size 0
		.amdhsa_private_segment_fixed_size 0
		.amdhsa_kernarg_size 136
		.amdhsa_user_sgpr_count 2
		.amdhsa_user_sgpr_dispatch_ptr 0
		.amdhsa_user_sgpr_queue_ptr 0
		.amdhsa_user_sgpr_kernarg_segment_ptr 1
		.amdhsa_user_sgpr_dispatch_id 0
		.amdhsa_user_sgpr_kernarg_preload_length 0
		.amdhsa_user_sgpr_kernarg_preload_offset 0
		.amdhsa_user_sgpr_private_segment_size 0
		.amdhsa_wavefront_size32 1
		.amdhsa_uses_dynamic_stack 0
		.amdhsa_enable_private_segment 0
		.amdhsa_system_sgpr_workgroup_id_x 1
		.amdhsa_system_sgpr_workgroup_id_y 0
		.amdhsa_system_sgpr_workgroup_id_z 0
		.amdhsa_system_sgpr_workgroup_info 0
		.amdhsa_system_vgpr_workitem_id 0
		.amdhsa_next_free_vgpr 1
		.amdhsa_next_free_sgpr 1
		.amdhsa_named_barrier_count 0
		.amdhsa_reserve_vcc 0
		.amdhsa_float_round_mode_32 0
		.amdhsa_float_round_mode_16_64 0
		.amdhsa_float_denorm_mode_32 3
		.amdhsa_float_denorm_mode_16_64 3
		.amdhsa_fp16_overflow 0
		.amdhsa_memory_ordered 1
		.amdhsa_forward_progress 1
		.amdhsa_inst_pref_size 0
		.amdhsa_round_robin_scheduling 0
		.amdhsa_exception_fp_ieee_invalid_op 0
		.amdhsa_exception_fp_denorm_src 0
		.amdhsa_exception_fp_ieee_div_zero 0
		.amdhsa_exception_fp_ieee_overflow 0
		.amdhsa_exception_fp_ieee_underflow 0
		.amdhsa_exception_fp_ieee_inexact 0
		.amdhsa_exception_int_div_zero 0
	.end_amdhsa_kernel
	.section	.text._ZN7rocprim17ROCPRIM_400000_NS6detail17trampoline_kernelINS0_14default_configENS1_25partition_config_selectorILNS1_17partition_subalgoE9EllbEEZZNS1_14partition_implILS5_9ELb0ES3_jPlS8_PNS0_10empty_typeENS0_5tupleIJS8_S9_EEENSB_IJS8_SA_EEENS0_18inequality_wrapperIZN2at6native12_GLOBAL__N_124unique_dim_cuda_templateIdEESt5tupleIJNSF_6TensorESK_SK_EERKSK_lbbbEUlllE0_EEPmJS9_EEE10hipError_tPvRmT3_T4_T5_T6_T7_T9_mT8_P12ihipStream_tbDpT10_ENKUlT_T0_E_clISt17integral_constantIbLb1EES1A_EEDaS15_S16_EUlS15_E_NS1_11comp_targetILNS1_3genE10ELNS1_11target_archE1200ELNS1_3gpuE4ELNS1_3repE0EEENS1_30default_config_static_selectorELNS0_4arch9wavefront6targetE0EEEvT1_,"axG",@progbits,_ZN7rocprim17ROCPRIM_400000_NS6detail17trampoline_kernelINS0_14default_configENS1_25partition_config_selectorILNS1_17partition_subalgoE9EllbEEZZNS1_14partition_implILS5_9ELb0ES3_jPlS8_PNS0_10empty_typeENS0_5tupleIJS8_S9_EEENSB_IJS8_SA_EEENS0_18inequality_wrapperIZN2at6native12_GLOBAL__N_124unique_dim_cuda_templateIdEESt5tupleIJNSF_6TensorESK_SK_EERKSK_lbbbEUlllE0_EEPmJS9_EEE10hipError_tPvRmT3_T4_T5_T6_T7_T9_mT8_P12ihipStream_tbDpT10_ENKUlT_T0_E_clISt17integral_constantIbLb1EES1A_EEDaS15_S16_EUlS15_E_NS1_11comp_targetILNS1_3genE10ELNS1_11target_archE1200ELNS1_3gpuE4ELNS1_3repE0EEENS1_30default_config_static_selectorELNS0_4arch9wavefront6targetE0EEEvT1_,comdat
.Lfunc_end852:
	.size	_ZN7rocprim17ROCPRIM_400000_NS6detail17trampoline_kernelINS0_14default_configENS1_25partition_config_selectorILNS1_17partition_subalgoE9EllbEEZZNS1_14partition_implILS5_9ELb0ES3_jPlS8_PNS0_10empty_typeENS0_5tupleIJS8_S9_EEENSB_IJS8_SA_EEENS0_18inequality_wrapperIZN2at6native12_GLOBAL__N_124unique_dim_cuda_templateIdEESt5tupleIJNSF_6TensorESK_SK_EERKSK_lbbbEUlllE0_EEPmJS9_EEE10hipError_tPvRmT3_T4_T5_T6_T7_T9_mT8_P12ihipStream_tbDpT10_ENKUlT_T0_E_clISt17integral_constantIbLb1EES1A_EEDaS15_S16_EUlS15_E_NS1_11comp_targetILNS1_3genE10ELNS1_11target_archE1200ELNS1_3gpuE4ELNS1_3repE0EEENS1_30default_config_static_selectorELNS0_4arch9wavefront6targetE0EEEvT1_, .Lfunc_end852-_ZN7rocprim17ROCPRIM_400000_NS6detail17trampoline_kernelINS0_14default_configENS1_25partition_config_selectorILNS1_17partition_subalgoE9EllbEEZZNS1_14partition_implILS5_9ELb0ES3_jPlS8_PNS0_10empty_typeENS0_5tupleIJS8_S9_EEENSB_IJS8_SA_EEENS0_18inequality_wrapperIZN2at6native12_GLOBAL__N_124unique_dim_cuda_templateIdEESt5tupleIJNSF_6TensorESK_SK_EERKSK_lbbbEUlllE0_EEPmJS9_EEE10hipError_tPvRmT3_T4_T5_T6_T7_T9_mT8_P12ihipStream_tbDpT10_ENKUlT_T0_E_clISt17integral_constantIbLb1EES1A_EEDaS15_S16_EUlS15_E_NS1_11comp_targetILNS1_3genE10ELNS1_11target_archE1200ELNS1_3gpuE4ELNS1_3repE0EEENS1_30default_config_static_selectorELNS0_4arch9wavefront6targetE0EEEvT1_
                                        ; -- End function
	.set _ZN7rocprim17ROCPRIM_400000_NS6detail17trampoline_kernelINS0_14default_configENS1_25partition_config_selectorILNS1_17partition_subalgoE9EllbEEZZNS1_14partition_implILS5_9ELb0ES3_jPlS8_PNS0_10empty_typeENS0_5tupleIJS8_S9_EEENSB_IJS8_SA_EEENS0_18inequality_wrapperIZN2at6native12_GLOBAL__N_124unique_dim_cuda_templateIdEESt5tupleIJNSF_6TensorESK_SK_EERKSK_lbbbEUlllE0_EEPmJS9_EEE10hipError_tPvRmT3_T4_T5_T6_T7_T9_mT8_P12ihipStream_tbDpT10_ENKUlT_T0_E_clISt17integral_constantIbLb1EES1A_EEDaS15_S16_EUlS15_E_NS1_11comp_targetILNS1_3genE10ELNS1_11target_archE1200ELNS1_3gpuE4ELNS1_3repE0EEENS1_30default_config_static_selectorELNS0_4arch9wavefront6targetE0EEEvT1_.num_vgpr, 0
	.set _ZN7rocprim17ROCPRIM_400000_NS6detail17trampoline_kernelINS0_14default_configENS1_25partition_config_selectorILNS1_17partition_subalgoE9EllbEEZZNS1_14partition_implILS5_9ELb0ES3_jPlS8_PNS0_10empty_typeENS0_5tupleIJS8_S9_EEENSB_IJS8_SA_EEENS0_18inequality_wrapperIZN2at6native12_GLOBAL__N_124unique_dim_cuda_templateIdEESt5tupleIJNSF_6TensorESK_SK_EERKSK_lbbbEUlllE0_EEPmJS9_EEE10hipError_tPvRmT3_T4_T5_T6_T7_T9_mT8_P12ihipStream_tbDpT10_ENKUlT_T0_E_clISt17integral_constantIbLb1EES1A_EEDaS15_S16_EUlS15_E_NS1_11comp_targetILNS1_3genE10ELNS1_11target_archE1200ELNS1_3gpuE4ELNS1_3repE0EEENS1_30default_config_static_selectorELNS0_4arch9wavefront6targetE0EEEvT1_.num_agpr, 0
	.set _ZN7rocprim17ROCPRIM_400000_NS6detail17trampoline_kernelINS0_14default_configENS1_25partition_config_selectorILNS1_17partition_subalgoE9EllbEEZZNS1_14partition_implILS5_9ELb0ES3_jPlS8_PNS0_10empty_typeENS0_5tupleIJS8_S9_EEENSB_IJS8_SA_EEENS0_18inequality_wrapperIZN2at6native12_GLOBAL__N_124unique_dim_cuda_templateIdEESt5tupleIJNSF_6TensorESK_SK_EERKSK_lbbbEUlllE0_EEPmJS9_EEE10hipError_tPvRmT3_T4_T5_T6_T7_T9_mT8_P12ihipStream_tbDpT10_ENKUlT_T0_E_clISt17integral_constantIbLb1EES1A_EEDaS15_S16_EUlS15_E_NS1_11comp_targetILNS1_3genE10ELNS1_11target_archE1200ELNS1_3gpuE4ELNS1_3repE0EEENS1_30default_config_static_selectorELNS0_4arch9wavefront6targetE0EEEvT1_.numbered_sgpr, 0
	.set _ZN7rocprim17ROCPRIM_400000_NS6detail17trampoline_kernelINS0_14default_configENS1_25partition_config_selectorILNS1_17partition_subalgoE9EllbEEZZNS1_14partition_implILS5_9ELb0ES3_jPlS8_PNS0_10empty_typeENS0_5tupleIJS8_S9_EEENSB_IJS8_SA_EEENS0_18inequality_wrapperIZN2at6native12_GLOBAL__N_124unique_dim_cuda_templateIdEESt5tupleIJNSF_6TensorESK_SK_EERKSK_lbbbEUlllE0_EEPmJS9_EEE10hipError_tPvRmT3_T4_T5_T6_T7_T9_mT8_P12ihipStream_tbDpT10_ENKUlT_T0_E_clISt17integral_constantIbLb1EES1A_EEDaS15_S16_EUlS15_E_NS1_11comp_targetILNS1_3genE10ELNS1_11target_archE1200ELNS1_3gpuE4ELNS1_3repE0EEENS1_30default_config_static_selectorELNS0_4arch9wavefront6targetE0EEEvT1_.num_named_barrier, 0
	.set _ZN7rocprim17ROCPRIM_400000_NS6detail17trampoline_kernelINS0_14default_configENS1_25partition_config_selectorILNS1_17partition_subalgoE9EllbEEZZNS1_14partition_implILS5_9ELb0ES3_jPlS8_PNS0_10empty_typeENS0_5tupleIJS8_S9_EEENSB_IJS8_SA_EEENS0_18inequality_wrapperIZN2at6native12_GLOBAL__N_124unique_dim_cuda_templateIdEESt5tupleIJNSF_6TensorESK_SK_EERKSK_lbbbEUlllE0_EEPmJS9_EEE10hipError_tPvRmT3_T4_T5_T6_T7_T9_mT8_P12ihipStream_tbDpT10_ENKUlT_T0_E_clISt17integral_constantIbLb1EES1A_EEDaS15_S16_EUlS15_E_NS1_11comp_targetILNS1_3genE10ELNS1_11target_archE1200ELNS1_3gpuE4ELNS1_3repE0EEENS1_30default_config_static_selectorELNS0_4arch9wavefront6targetE0EEEvT1_.private_seg_size, 0
	.set _ZN7rocprim17ROCPRIM_400000_NS6detail17trampoline_kernelINS0_14default_configENS1_25partition_config_selectorILNS1_17partition_subalgoE9EllbEEZZNS1_14partition_implILS5_9ELb0ES3_jPlS8_PNS0_10empty_typeENS0_5tupleIJS8_S9_EEENSB_IJS8_SA_EEENS0_18inequality_wrapperIZN2at6native12_GLOBAL__N_124unique_dim_cuda_templateIdEESt5tupleIJNSF_6TensorESK_SK_EERKSK_lbbbEUlllE0_EEPmJS9_EEE10hipError_tPvRmT3_T4_T5_T6_T7_T9_mT8_P12ihipStream_tbDpT10_ENKUlT_T0_E_clISt17integral_constantIbLb1EES1A_EEDaS15_S16_EUlS15_E_NS1_11comp_targetILNS1_3genE10ELNS1_11target_archE1200ELNS1_3gpuE4ELNS1_3repE0EEENS1_30default_config_static_selectorELNS0_4arch9wavefront6targetE0EEEvT1_.uses_vcc, 0
	.set _ZN7rocprim17ROCPRIM_400000_NS6detail17trampoline_kernelINS0_14default_configENS1_25partition_config_selectorILNS1_17partition_subalgoE9EllbEEZZNS1_14partition_implILS5_9ELb0ES3_jPlS8_PNS0_10empty_typeENS0_5tupleIJS8_S9_EEENSB_IJS8_SA_EEENS0_18inequality_wrapperIZN2at6native12_GLOBAL__N_124unique_dim_cuda_templateIdEESt5tupleIJNSF_6TensorESK_SK_EERKSK_lbbbEUlllE0_EEPmJS9_EEE10hipError_tPvRmT3_T4_T5_T6_T7_T9_mT8_P12ihipStream_tbDpT10_ENKUlT_T0_E_clISt17integral_constantIbLb1EES1A_EEDaS15_S16_EUlS15_E_NS1_11comp_targetILNS1_3genE10ELNS1_11target_archE1200ELNS1_3gpuE4ELNS1_3repE0EEENS1_30default_config_static_selectorELNS0_4arch9wavefront6targetE0EEEvT1_.uses_flat_scratch, 0
	.set _ZN7rocprim17ROCPRIM_400000_NS6detail17trampoline_kernelINS0_14default_configENS1_25partition_config_selectorILNS1_17partition_subalgoE9EllbEEZZNS1_14partition_implILS5_9ELb0ES3_jPlS8_PNS0_10empty_typeENS0_5tupleIJS8_S9_EEENSB_IJS8_SA_EEENS0_18inequality_wrapperIZN2at6native12_GLOBAL__N_124unique_dim_cuda_templateIdEESt5tupleIJNSF_6TensorESK_SK_EERKSK_lbbbEUlllE0_EEPmJS9_EEE10hipError_tPvRmT3_T4_T5_T6_T7_T9_mT8_P12ihipStream_tbDpT10_ENKUlT_T0_E_clISt17integral_constantIbLb1EES1A_EEDaS15_S16_EUlS15_E_NS1_11comp_targetILNS1_3genE10ELNS1_11target_archE1200ELNS1_3gpuE4ELNS1_3repE0EEENS1_30default_config_static_selectorELNS0_4arch9wavefront6targetE0EEEvT1_.has_dyn_sized_stack, 0
	.set _ZN7rocprim17ROCPRIM_400000_NS6detail17trampoline_kernelINS0_14default_configENS1_25partition_config_selectorILNS1_17partition_subalgoE9EllbEEZZNS1_14partition_implILS5_9ELb0ES3_jPlS8_PNS0_10empty_typeENS0_5tupleIJS8_S9_EEENSB_IJS8_SA_EEENS0_18inequality_wrapperIZN2at6native12_GLOBAL__N_124unique_dim_cuda_templateIdEESt5tupleIJNSF_6TensorESK_SK_EERKSK_lbbbEUlllE0_EEPmJS9_EEE10hipError_tPvRmT3_T4_T5_T6_T7_T9_mT8_P12ihipStream_tbDpT10_ENKUlT_T0_E_clISt17integral_constantIbLb1EES1A_EEDaS15_S16_EUlS15_E_NS1_11comp_targetILNS1_3genE10ELNS1_11target_archE1200ELNS1_3gpuE4ELNS1_3repE0EEENS1_30default_config_static_selectorELNS0_4arch9wavefront6targetE0EEEvT1_.has_recursion, 0
	.set _ZN7rocprim17ROCPRIM_400000_NS6detail17trampoline_kernelINS0_14default_configENS1_25partition_config_selectorILNS1_17partition_subalgoE9EllbEEZZNS1_14partition_implILS5_9ELb0ES3_jPlS8_PNS0_10empty_typeENS0_5tupleIJS8_S9_EEENSB_IJS8_SA_EEENS0_18inequality_wrapperIZN2at6native12_GLOBAL__N_124unique_dim_cuda_templateIdEESt5tupleIJNSF_6TensorESK_SK_EERKSK_lbbbEUlllE0_EEPmJS9_EEE10hipError_tPvRmT3_T4_T5_T6_T7_T9_mT8_P12ihipStream_tbDpT10_ENKUlT_T0_E_clISt17integral_constantIbLb1EES1A_EEDaS15_S16_EUlS15_E_NS1_11comp_targetILNS1_3genE10ELNS1_11target_archE1200ELNS1_3gpuE4ELNS1_3repE0EEENS1_30default_config_static_selectorELNS0_4arch9wavefront6targetE0EEEvT1_.has_indirect_call, 0
	.section	.AMDGPU.csdata,"",@progbits
; Kernel info:
; codeLenInByte = 0
; TotalNumSgprs: 0
; NumVgprs: 0
; ScratchSize: 0
; MemoryBound: 0
; FloatMode: 240
; IeeeMode: 1
; LDSByteSize: 0 bytes/workgroup (compile time only)
; SGPRBlocks: 0
; VGPRBlocks: 0
; NumSGPRsForWavesPerEU: 1
; NumVGPRsForWavesPerEU: 1
; NamedBarCnt: 0
; Occupancy: 16
; WaveLimiterHint : 0
; COMPUTE_PGM_RSRC2:SCRATCH_EN: 0
; COMPUTE_PGM_RSRC2:USER_SGPR: 2
; COMPUTE_PGM_RSRC2:TRAP_HANDLER: 0
; COMPUTE_PGM_RSRC2:TGID_X_EN: 1
; COMPUTE_PGM_RSRC2:TGID_Y_EN: 0
; COMPUTE_PGM_RSRC2:TGID_Z_EN: 0
; COMPUTE_PGM_RSRC2:TIDIG_COMP_CNT: 0
	.section	.text._ZN7rocprim17ROCPRIM_400000_NS6detail17trampoline_kernelINS0_14default_configENS1_25partition_config_selectorILNS1_17partition_subalgoE9EllbEEZZNS1_14partition_implILS5_9ELb0ES3_jPlS8_PNS0_10empty_typeENS0_5tupleIJS8_S9_EEENSB_IJS8_SA_EEENS0_18inequality_wrapperIZN2at6native12_GLOBAL__N_124unique_dim_cuda_templateIdEESt5tupleIJNSF_6TensorESK_SK_EERKSK_lbbbEUlllE0_EEPmJS9_EEE10hipError_tPvRmT3_T4_T5_T6_T7_T9_mT8_P12ihipStream_tbDpT10_ENKUlT_T0_E_clISt17integral_constantIbLb1EES1A_EEDaS15_S16_EUlS15_E_NS1_11comp_targetILNS1_3genE9ELNS1_11target_archE1100ELNS1_3gpuE3ELNS1_3repE0EEENS1_30default_config_static_selectorELNS0_4arch9wavefront6targetE0EEEvT1_,"axG",@progbits,_ZN7rocprim17ROCPRIM_400000_NS6detail17trampoline_kernelINS0_14default_configENS1_25partition_config_selectorILNS1_17partition_subalgoE9EllbEEZZNS1_14partition_implILS5_9ELb0ES3_jPlS8_PNS0_10empty_typeENS0_5tupleIJS8_S9_EEENSB_IJS8_SA_EEENS0_18inequality_wrapperIZN2at6native12_GLOBAL__N_124unique_dim_cuda_templateIdEESt5tupleIJNSF_6TensorESK_SK_EERKSK_lbbbEUlllE0_EEPmJS9_EEE10hipError_tPvRmT3_T4_T5_T6_T7_T9_mT8_P12ihipStream_tbDpT10_ENKUlT_T0_E_clISt17integral_constantIbLb1EES1A_EEDaS15_S16_EUlS15_E_NS1_11comp_targetILNS1_3genE9ELNS1_11target_archE1100ELNS1_3gpuE3ELNS1_3repE0EEENS1_30default_config_static_selectorELNS0_4arch9wavefront6targetE0EEEvT1_,comdat
	.globl	_ZN7rocprim17ROCPRIM_400000_NS6detail17trampoline_kernelINS0_14default_configENS1_25partition_config_selectorILNS1_17partition_subalgoE9EllbEEZZNS1_14partition_implILS5_9ELb0ES3_jPlS8_PNS0_10empty_typeENS0_5tupleIJS8_S9_EEENSB_IJS8_SA_EEENS0_18inequality_wrapperIZN2at6native12_GLOBAL__N_124unique_dim_cuda_templateIdEESt5tupleIJNSF_6TensorESK_SK_EERKSK_lbbbEUlllE0_EEPmJS9_EEE10hipError_tPvRmT3_T4_T5_T6_T7_T9_mT8_P12ihipStream_tbDpT10_ENKUlT_T0_E_clISt17integral_constantIbLb1EES1A_EEDaS15_S16_EUlS15_E_NS1_11comp_targetILNS1_3genE9ELNS1_11target_archE1100ELNS1_3gpuE3ELNS1_3repE0EEENS1_30default_config_static_selectorELNS0_4arch9wavefront6targetE0EEEvT1_ ; -- Begin function _ZN7rocprim17ROCPRIM_400000_NS6detail17trampoline_kernelINS0_14default_configENS1_25partition_config_selectorILNS1_17partition_subalgoE9EllbEEZZNS1_14partition_implILS5_9ELb0ES3_jPlS8_PNS0_10empty_typeENS0_5tupleIJS8_S9_EEENSB_IJS8_SA_EEENS0_18inequality_wrapperIZN2at6native12_GLOBAL__N_124unique_dim_cuda_templateIdEESt5tupleIJNSF_6TensorESK_SK_EERKSK_lbbbEUlllE0_EEPmJS9_EEE10hipError_tPvRmT3_T4_T5_T6_T7_T9_mT8_P12ihipStream_tbDpT10_ENKUlT_T0_E_clISt17integral_constantIbLb1EES1A_EEDaS15_S16_EUlS15_E_NS1_11comp_targetILNS1_3genE9ELNS1_11target_archE1100ELNS1_3gpuE3ELNS1_3repE0EEENS1_30default_config_static_selectorELNS0_4arch9wavefront6targetE0EEEvT1_
	.p2align	8
	.type	_ZN7rocprim17ROCPRIM_400000_NS6detail17trampoline_kernelINS0_14default_configENS1_25partition_config_selectorILNS1_17partition_subalgoE9EllbEEZZNS1_14partition_implILS5_9ELb0ES3_jPlS8_PNS0_10empty_typeENS0_5tupleIJS8_S9_EEENSB_IJS8_SA_EEENS0_18inequality_wrapperIZN2at6native12_GLOBAL__N_124unique_dim_cuda_templateIdEESt5tupleIJNSF_6TensorESK_SK_EERKSK_lbbbEUlllE0_EEPmJS9_EEE10hipError_tPvRmT3_T4_T5_T6_T7_T9_mT8_P12ihipStream_tbDpT10_ENKUlT_T0_E_clISt17integral_constantIbLb1EES1A_EEDaS15_S16_EUlS15_E_NS1_11comp_targetILNS1_3genE9ELNS1_11target_archE1100ELNS1_3gpuE3ELNS1_3repE0EEENS1_30default_config_static_selectorELNS0_4arch9wavefront6targetE0EEEvT1_,@function
_ZN7rocprim17ROCPRIM_400000_NS6detail17trampoline_kernelINS0_14default_configENS1_25partition_config_selectorILNS1_17partition_subalgoE9EllbEEZZNS1_14partition_implILS5_9ELb0ES3_jPlS8_PNS0_10empty_typeENS0_5tupleIJS8_S9_EEENSB_IJS8_SA_EEENS0_18inequality_wrapperIZN2at6native12_GLOBAL__N_124unique_dim_cuda_templateIdEESt5tupleIJNSF_6TensorESK_SK_EERKSK_lbbbEUlllE0_EEPmJS9_EEE10hipError_tPvRmT3_T4_T5_T6_T7_T9_mT8_P12ihipStream_tbDpT10_ENKUlT_T0_E_clISt17integral_constantIbLb1EES1A_EEDaS15_S16_EUlS15_E_NS1_11comp_targetILNS1_3genE9ELNS1_11target_archE1100ELNS1_3gpuE3ELNS1_3repE0EEENS1_30default_config_static_selectorELNS0_4arch9wavefront6targetE0EEEvT1_: ; @_ZN7rocprim17ROCPRIM_400000_NS6detail17trampoline_kernelINS0_14default_configENS1_25partition_config_selectorILNS1_17partition_subalgoE9EllbEEZZNS1_14partition_implILS5_9ELb0ES3_jPlS8_PNS0_10empty_typeENS0_5tupleIJS8_S9_EEENSB_IJS8_SA_EEENS0_18inequality_wrapperIZN2at6native12_GLOBAL__N_124unique_dim_cuda_templateIdEESt5tupleIJNSF_6TensorESK_SK_EERKSK_lbbbEUlllE0_EEPmJS9_EEE10hipError_tPvRmT3_T4_T5_T6_T7_T9_mT8_P12ihipStream_tbDpT10_ENKUlT_T0_E_clISt17integral_constantIbLb1EES1A_EEDaS15_S16_EUlS15_E_NS1_11comp_targetILNS1_3genE9ELNS1_11target_archE1100ELNS1_3gpuE3ELNS1_3repE0EEENS1_30default_config_static_selectorELNS0_4arch9wavefront6targetE0EEEvT1_
; %bb.0:
	.section	.rodata,"a",@progbits
	.p2align	6, 0x0
	.amdhsa_kernel _ZN7rocprim17ROCPRIM_400000_NS6detail17trampoline_kernelINS0_14default_configENS1_25partition_config_selectorILNS1_17partition_subalgoE9EllbEEZZNS1_14partition_implILS5_9ELb0ES3_jPlS8_PNS0_10empty_typeENS0_5tupleIJS8_S9_EEENSB_IJS8_SA_EEENS0_18inequality_wrapperIZN2at6native12_GLOBAL__N_124unique_dim_cuda_templateIdEESt5tupleIJNSF_6TensorESK_SK_EERKSK_lbbbEUlllE0_EEPmJS9_EEE10hipError_tPvRmT3_T4_T5_T6_T7_T9_mT8_P12ihipStream_tbDpT10_ENKUlT_T0_E_clISt17integral_constantIbLb1EES1A_EEDaS15_S16_EUlS15_E_NS1_11comp_targetILNS1_3genE9ELNS1_11target_archE1100ELNS1_3gpuE3ELNS1_3repE0EEENS1_30default_config_static_selectorELNS0_4arch9wavefront6targetE0EEEvT1_
		.amdhsa_group_segment_fixed_size 0
		.amdhsa_private_segment_fixed_size 0
		.amdhsa_kernarg_size 136
		.amdhsa_user_sgpr_count 2
		.amdhsa_user_sgpr_dispatch_ptr 0
		.amdhsa_user_sgpr_queue_ptr 0
		.amdhsa_user_sgpr_kernarg_segment_ptr 1
		.amdhsa_user_sgpr_dispatch_id 0
		.amdhsa_user_sgpr_kernarg_preload_length 0
		.amdhsa_user_sgpr_kernarg_preload_offset 0
		.amdhsa_user_sgpr_private_segment_size 0
		.amdhsa_wavefront_size32 1
		.amdhsa_uses_dynamic_stack 0
		.amdhsa_enable_private_segment 0
		.amdhsa_system_sgpr_workgroup_id_x 1
		.amdhsa_system_sgpr_workgroup_id_y 0
		.amdhsa_system_sgpr_workgroup_id_z 0
		.amdhsa_system_sgpr_workgroup_info 0
		.amdhsa_system_vgpr_workitem_id 0
		.amdhsa_next_free_vgpr 1
		.amdhsa_next_free_sgpr 1
		.amdhsa_named_barrier_count 0
		.amdhsa_reserve_vcc 0
		.amdhsa_float_round_mode_32 0
		.amdhsa_float_round_mode_16_64 0
		.amdhsa_float_denorm_mode_32 3
		.amdhsa_float_denorm_mode_16_64 3
		.amdhsa_fp16_overflow 0
		.amdhsa_memory_ordered 1
		.amdhsa_forward_progress 1
		.amdhsa_inst_pref_size 0
		.amdhsa_round_robin_scheduling 0
		.amdhsa_exception_fp_ieee_invalid_op 0
		.amdhsa_exception_fp_denorm_src 0
		.amdhsa_exception_fp_ieee_div_zero 0
		.amdhsa_exception_fp_ieee_overflow 0
		.amdhsa_exception_fp_ieee_underflow 0
		.amdhsa_exception_fp_ieee_inexact 0
		.amdhsa_exception_int_div_zero 0
	.end_amdhsa_kernel
	.section	.text._ZN7rocprim17ROCPRIM_400000_NS6detail17trampoline_kernelINS0_14default_configENS1_25partition_config_selectorILNS1_17partition_subalgoE9EllbEEZZNS1_14partition_implILS5_9ELb0ES3_jPlS8_PNS0_10empty_typeENS0_5tupleIJS8_S9_EEENSB_IJS8_SA_EEENS0_18inequality_wrapperIZN2at6native12_GLOBAL__N_124unique_dim_cuda_templateIdEESt5tupleIJNSF_6TensorESK_SK_EERKSK_lbbbEUlllE0_EEPmJS9_EEE10hipError_tPvRmT3_T4_T5_T6_T7_T9_mT8_P12ihipStream_tbDpT10_ENKUlT_T0_E_clISt17integral_constantIbLb1EES1A_EEDaS15_S16_EUlS15_E_NS1_11comp_targetILNS1_3genE9ELNS1_11target_archE1100ELNS1_3gpuE3ELNS1_3repE0EEENS1_30default_config_static_selectorELNS0_4arch9wavefront6targetE0EEEvT1_,"axG",@progbits,_ZN7rocprim17ROCPRIM_400000_NS6detail17trampoline_kernelINS0_14default_configENS1_25partition_config_selectorILNS1_17partition_subalgoE9EllbEEZZNS1_14partition_implILS5_9ELb0ES3_jPlS8_PNS0_10empty_typeENS0_5tupleIJS8_S9_EEENSB_IJS8_SA_EEENS0_18inequality_wrapperIZN2at6native12_GLOBAL__N_124unique_dim_cuda_templateIdEESt5tupleIJNSF_6TensorESK_SK_EERKSK_lbbbEUlllE0_EEPmJS9_EEE10hipError_tPvRmT3_T4_T5_T6_T7_T9_mT8_P12ihipStream_tbDpT10_ENKUlT_T0_E_clISt17integral_constantIbLb1EES1A_EEDaS15_S16_EUlS15_E_NS1_11comp_targetILNS1_3genE9ELNS1_11target_archE1100ELNS1_3gpuE3ELNS1_3repE0EEENS1_30default_config_static_selectorELNS0_4arch9wavefront6targetE0EEEvT1_,comdat
.Lfunc_end853:
	.size	_ZN7rocprim17ROCPRIM_400000_NS6detail17trampoline_kernelINS0_14default_configENS1_25partition_config_selectorILNS1_17partition_subalgoE9EllbEEZZNS1_14partition_implILS5_9ELb0ES3_jPlS8_PNS0_10empty_typeENS0_5tupleIJS8_S9_EEENSB_IJS8_SA_EEENS0_18inequality_wrapperIZN2at6native12_GLOBAL__N_124unique_dim_cuda_templateIdEESt5tupleIJNSF_6TensorESK_SK_EERKSK_lbbbEUlllE0_EEPmJS9_EEE10hipError_tPvRmT3_T4_T5_T6_T7_T9_mT8_P12ihipStream_tbDpT10_ENKUlT_T0_E_clISt17integral_constantIbLb1EES1A_EEDaS15_S16_EUlS15_E_NS1_11comp_targetILNS1_3genE9ELNS1_11target_archE1100ELNS1_3gpuE3ELNS1_3repE0EEENS1_30default_config_static_selectorELNS0_4arch9wavefront6targetE0EEEvT1_, .Lfunc_end853-_ZN7rocprim17ROCPRIM_400000_NS6detail17trampoline_kernelINS0_14default_configENS1_25partition_config_selectorILNS1_17partition_subalgoE9EllbEEZZNS1_14partition_implILS5_9ELb0ES3_jPlS8_PNS0_10empty_typeENS0_5tupleIJS8_S9_EEENSB_IJS8_SA_EEENS0_18inequality_wrapperIZN2at6native12_GLOBAL__N_124unique_dim_cuda_templateIdEESt5tupleIJNSF_6TensorESK_SK_EERKSK_lbbbEUlllE0_EEPmJS9_EEE10hipError_tPvRmT3_T4_T5_T6_T7_T9_mT8_P12ihipStream_tbDpT10_ENKUlT_T0_E_clISt17integral_constantIbLb1EES1A_EEDaS15_S16_EUlS15_E_NS1_11comp_targetILNS1_3genE9ELNS1_11target_archE1100ELNS1_3gpuE3ELNS1_3repE0EEENS1_30default_config_static_selectorELNS0_4arch9wavefront6targetE0EEEvT1_
                                        ; -- End function
	.set _ZN7rocprim17ROCPRIM_400000_NS6detail17trampoline_kernelINS0_14default_configENS1_25partition_config_selectorILNS1_17partition_subalgoE9EllbEEZZNS1_14partition_implILS5_9ELb0ES3_jPlS8_PNS0_10empty_typeENS0_5tupleIJS8_S9_EEENSB_IJS8_SA_EEENS0_18inequality_wrapperIZN2at6native12_GLOBAL__N_124unique_dim_cuda_templateIdEESt5tupleIJNSF_6TensorESK_SK_EERKSK_lbbbEUlllE0_EEPmJS9_EEE10hipError_tPvRmT3_T4_T5_T6_T7_T9_mT8_P12ihipStream_tbDpT10_ENKUlT_T0_E_clISt17integral_constantIbLb1EES1A_EEDaS15_S16_EUlS15_E_NS1_11comp_targetILNS1_3genE9ELNS1_11target_archE1100ELNS1_3gpuE3ELNS1_3repE0EEENS1_30default_config_static_selectorELNS0_4arch9wavefront6targetE0EEEvT1_.num_vgpr, 0
	.set _ZN7rocprim17ROCPRIM_400000_NS6detail17trampoline_kernelINS0_14default_configENS1_25partition_config_selectorILNS1_17partition_subalgoE9EllbEEZZNS1_14partition_implILS5_9ELb0ES3_jPlS8_PNS0_10empty_typeENS0_5tupleIJS8_S9_EEENSB_IJS8_SA_EEENS0_18inequality_wrapperIZN2at6native12_GLOBAL__N_124unique_dim_cuda_templateIdEESt5tupleIJNSF_6TensorESK_SK_EERKSK_lbbbEUlllE0_EEPmJS9_EEE10hipError_tPvRmT3_T4_T5_T6_T7_T9_mT8_P12ihipStream_tbDpT10_ENKUlT_T0_E_clISt17integral_constantIbLb1EES1A_EEDaS15_S16_EUlS15_E_NS1_11comp_targetILNS1_3genE9ELNS1_11target_archE1100ELNS1_3gpuE3ELNS1_3repE0EEENS1_30default_config_static_selectorELNS0_4arch9wavefront6targetE0EEEvT1_.num_agpr, 0
	.set _ZN7rocprim17ROCPRIM_400000_NS6detail17trampoline_kernelINS0_14default_configENS1_25partition_config_selectorILNS1_17partition_subalgoE9EllbEEZZNS1_14partition_implILS5_9ELb0ES3_jPlS8_PNS0_10empty_typeENS0_5tupleIJS8_S9_EEENSB_IJS8_SA_EEENS0_18inequality_wrapperIZN2at6native12_GLOBAL__N_124unique_dim_cuda_templateIdEESt5tupleIJNSF_6TensorESK_SK_EERKSK_lbbbEUlllE0_EEPmJS9_EEE10hipError_tPvRmT3_T4_T5_T6_T7_T9_mT8_P12ihipStream_tbDpT10_ENKUlT_T0_E_clISt17integral_constantIbLb1EES1A_EEDaS15_S16_EUlS15_E_NS1_11comp_targetILNS1_3genE9ELNS1_11target_archE1100ELNS1_3gpuE3ELNS1_3repE0EEENS1_30default_config_static_selectorELNS0_4arch9wavefront6targetE0EEEvT1_.numbered_sgpr, 0
	.set _ZN7rocprim17ROCPRIM_400000_NS6detail17trampoline_kernelINS0_14default_configENS1_25partition_config_selectorILNS1_17partition_subalgoE9EllbEEZZNS1_14partition_implILS5_9ELb0ES3_jPlS8_PNS0_10empty_typeENS0_5tupleIJS8_S9_EEENSB_IJS8_SA_EEENS0_18inequality_wrapperIZN2at6native12_GLOBAL__N_124unique_dim_cuda_templateIdEESt5tupleIJNSF_6TensorESK_SK_EERKSK_lbbbEUlllE0_EEPmJS9_EEE10hipError_tPvRmT3_T4_T5_T6_T7_T9_mT8_P12ihipStream_tbDpT10_ENKUlT_T0_E_clISt17integral_constantIbLb1EES1A_EEDaS15_S16_EUlS15_E_NS1_11comp_targetILNS1_3genE9ELNS1_11target_archE1100ELNS1_3gpuE3ELNS1_3repE0EEENS1_30default_config_static_selectorELNS0_4arch9wavefront6targetE0EEEvT1_.num_named_barrier, 0
	.set _ZN7rocprim17ROCPRIM_400000_NS6detail17trampoline_kernelINS0_14default_configENS1_25partition_config_selectorILNS1_17partition_subalgoE9EllbEEZZNS1_14partition_implILS5_9ELb0ES3_jPlS8_PNS0_10empty_typeENS0_5tupleIJS8_S9_EEENSB_IJS8_SA_EEENS0_18inequality_wrapperIZN2at6native12_GLOBAL__N_124unique_dim_cuda_templateIdEESt5tupleIJNSF_6TensorESK_SK_EERKSK_lbbbEUlllE0_EEPmJS9_EEE10hipError_tPvRmT3_T4_T5_T6_T7_T9_mT8_P12ihipStream_tbDpT10_ENKUlT_T0_E_clISt17integral_constantIbLb1EES1A_EEDaS15_S16_EUlS15_E_NS1_11comp_targetILNS1_3genE9ELNS1_11target_archE1100ELNS1_3gpuE3ELNS1_3repE0EEENS1_30default_config_static_selectorELNS0_4arch9wavefront6targetE0EEEvT1_.private_seg_size, 0
	.set _ZN7rocprim17ROCPRIM_400000_NS6detail17trampoline_kernelINS0_14default_configENS1_25partition_config_selectorILNS1_17partition_subalgoE9EllbEEZZNS1_14partition_implILS5_9ELb0ES3_jPlS8_PNS0_10empty_typeENS0_5tupleIJS8_S9_EEENSB_IJS8_SA_EEENS0_18inequality_wrapperIZN2at6native12_GLOBAL__N_124unique_dim_cuda_templateIdEESt5tupleIJNSF_6TensorESK_SK_EERKSK_lbbbEUlllE0_EEPmJS9_EEE10hipError_tPvRmT3_T4_T5_T6_T7_T9_mT8_P12ihipStream_tbDpT10_ENKUlT_T0_E_clISt17integral_constantIbLb1EES1A_EEDaS15_S16_EUlS15_E_NS1_11comp_targetILNS1_3genE9ELNS1_11target_archE1100ELNS1_3gpuE3ELNS1_3repE0EEENS1_30default_config_static_selectorELNS0_4arch9wavefront6targetE0EEEvT1_.uses_vcc, 0
	.set _ZN7rocprim17ROCPRIM_400000_NS6detail17trampoline_kernelINS0_14default_configENS1_25partition_config_selectorILNS1_17partition_subalgoE9EllbEEZZNS1_14partition_implILS5_9ELb0ES3_jPlS8_PNS0_10empty_typeENS0_5tupleIJS8_S9_EEENSB_IJS8_SA_EEENS0_18inequality_wrapperIZN2at6native12_GLOBAL__N_124unique_dim_cuda_templateIdEESt5tupleIJNSF_6TensorESK_SK_EERKSK_lbbbEUlllE0_EEPmJS9_EEE10hipError_tPvRmT3_T4_T5_T6_T7_T9_mT8_P12ihipStream_tbDpT10_ENKUlT_T0_E_clISt17integral_constantIbLb1EES1A_EEDaS15_S16_EUlS15_E_NS1_11comp_targetILNS1_3genE9ELNS1_11target_archE1100ELNS1_3gpuE3ELNS1_3repE0EEENS1_30default_config_static_selectorELNS0_4arch9wavefront6targetE0EEEvT1_.uses_flat_scratch, 0
	.set _ZN7rocprim17ROCPRIM_400000_NS6detail17trampoline_kernelINS0_14default_configENS1_25partition_config_selectorILNS1_17partition_subalgoE9EllbEEZZNS1_14partition_implILS5_9ELb0ES3_jPlS8_PNS0_10empty_typeENS0_5tupleIJS8_S9_EEENSB_IJS8_SA_EEENS0_18inequality_wrapperIZN2at6native12_GLOBAL__N_124unique_dim_cuda_templateIdEESt5tupleIJNSF_6TensorESK_SK_EERKSK_lbbbEUlllE0_EEPmJS9_EEE10hipError_tPvRmT3_T4_T5_T6_T7_T9_mT8_P12ihipStream_tbDpT10_ENKUlT_T0_E_clISt17integral_constantIbLb1EES1A_EEDaS15_S16_EUlS15_E_NS1_11comp_targetILNS1_3genE9ELNS1_11target_archE1100ELNS1_3gpuE3ELNS1_3repE0EEENS1_30default_config_static_selectorELNS0_4arch9wavefront6targetE0EEEvT1_.has_dyn_sized_stack, 0
	.set _ZN7rocprim17ROCPRIM_400000_NS6detail17trampoline_kernelINS0_14default_configENS1_25partition_config_selectorILNS1_17partition_subalgoE9EllbEEZZNS1_14partition_implILS5_9ELb0ES3_jPlS8_PNS0_10empty_typeENS0_5tupleIJS8_S9_EEENSB_IJS8_SA_EEENS0_18inequality_wrapperIZN2at6native12_GLOBAL__N_124unique_dim_cuda_templateIdEESt5tupleIJNSF_6TensorESK_SK_EERKSK_lbbbEUlllE0_EEPmJS9_EEE10hipError_tPvRmT3_T4_T5_T6_T7_T9_mT8_P12ihipStream_tbDpT10_ENKUlT_T0_E_clISt17integral_constantIbLb1EES1A_EEDaS15_S16_EUlS15_E_NS1_11comp_targetILNS1_3genE9ELNS1_11target_archE1100ELNS1_3gpuE3ELNS1_3repE0EEENS1_30default_config_static_selectorELNS0_4arch9wavefront6targetE0EEEvT1_.has_recursion, 0
	.set _ZN7rocprim17ROCPRIM_400000_NS6detail17trampoline_kernelINS0_14default_configENS1_25partition_config_selectorILNS1_17partition_subalgoE9EllbEEZZNS1_14partition_implILS5_9ELb0ES3_jPlS8_PNS0_10empty_typeENS0_5tupleIJS8_S9_EEENSB_IJS8_SA_EEENS0_18inequality_wrapperIZN2at6native12_GLOBAL__N_124unique_dim_cuda_templateIdEESt5tupleIJNSF_6TensorESK_SK_EERKSK_lbbbEUlllE0_EEPmJS9_EEE10hipError_tPvRmT3_T4_T5_T6_T7_T9_mT8_P12ihipStream_tbDpT10_ENKUlT_T0_E_clISt17integral_constantIbLb1EES1A_EEDaS15_S16_EUlS15_E_NS1_11comp_targetILNS1_3genE9ELNS1_11target_archE1100ELNS1_3gpuE3ELNS1_3repE0EEENS1_30default_config_static_selectorELNS0_4arch9wavefront6targetE0EEEvT1_.has_indirect_call, 0
	.section	.AMDGPU.csdata,"",@progbits
; Kernel info:
; codeLenInByte = 0
; TotalNumSgprs: 0
; NumVgprs: 0
; ScratchSize: 0
; MemoryBound: 0
; FloatMode: 240
; IeeeMode: 1
; LDSByteSize: 0 bytes/workgroup (compile time only)
; SGPRBlocks: 0
; VGPRBlocks: 0
; NumSGPRsForWavesPerEU: 1
; NumVGPRsForWavesPerEU: 1
; NamedBarCnt: 0
; Occupancy: 16
; WaveLimiterHint : 0
; COMPUTE_PGM_RSRC2:SCRATCH_EN: 0
; COMPUTE_PGM_RSRC2:USER_SGPR: 2
; COMPUTE_PGM_RSRC2:TRAP_HANDLER: 0
; COMPUTE_PGM_RSRC2:TGID_X_EN: 1
; COMPUTE_PGM_RSRC2:TGID_Y_EN: 0
; COMPUTE_PGM_RSRC2:TGID_Z_EN: 0
; COMPUTE_PGM_RSRC2:TIDIG_COMP_CNT: 0
	.section	.text._ZN7rocprim17ROCPRIM_400000_NS6detail17trampoline_kernelINS0_14default_configENS1_25partition_config_selectorILNS1_17partition_subalgoE9EllbEEZZNS1_14partition_implILS5_9ELb0ES3_jPlS8_PNS0_10empty_typeENS0_5tupleIJS8_S9_EEENSB_IJS8_SA_EEENS0_18inequality_wrapperIZN2at6native12_GLOBAL__N_124unique_dim_cuda_templateIdEESt5tupleIJNSF_6TensorESK_SK_EERKSK_lbbbEUlllE0_EEPmJS9_EEE10hipError_tPvRmT3_T4_T5_T6_T7_T9_mT8_P12ihipStream_tbDpT10_ENKUlT_T0_E_clISt17integral_constantIbLb1EES1A_EEDaS15_S16_EUlS15_E_NS1_11comp_targetILNS1_3genE8ELNS1_11target_archE1030ELNS1_3gpuE2ELNS1_3repE0EEENS1_30default_config_static_selectorELNS0_4arch9wavefront6targetE0EEEvT1_,"axG",@progbits,_ZN7rocprim17ROCPRIM_400000_NS6detail17trampoline_kernelINS0_14default_configENS1_25partition_config_selectorILNS1_17partition_subalgoE9EllbEEZZNS1_14partition_implILS5_9ELb0ES3_jPlS8_PNS0_10empty_typeENS0_5tupleIJS8_S9_EEENSB_IJS8_SA_EEENS0_18inequality_wrapperIZN2at6native12_GLOBAL__N_124unique_dim_cuda_templateIdEESt5tupleIJNSF_6TensorESK_SK_EERKSK_lbbbEUlllE0_EEPmJS9_EEE10hipError_tPvRmT3_T4_T5_T6_T7_T9_mT8_P12ihipStream_tbDpT10_ENKUlT_T0_E_clISt17integral_constantIbLb1EES1A_EEDaS15_S16_EUlS15_E_NS1_11comp_targetILNS1_3genE8ELNS1_11target_archE1030ELNS1_3gpuE2ELNS1_3repE0EEENS1_30default_config_static_selectorELNS0_4arch9wavefront6targetE0EEEvT1_,comdat
	.globl	_ZN7rocprim17ROCPRIM_400000_NS6detail17trampoline_kernelINS0_14default_configENS1_25partition_config_selectorILNS1_17partition_subalgoE9EllbEEZZNS1_14partition_implILS5_9ELb0ES3_jPlS8_PNS0_10empty_typeENS0_5tupleIJS8_S9_EEENSB_IJS8_SA_EEENS0_18inequality_wrapperIZN2at6native12_GLOBAL__N_124unique_dim_cuda_templateIdEESt5tupleIJNSF_6TensorESK_SK_EERKSK_lbbbEUlllE0_EEPmJS9_EEE10hipError_tPvRmT3_T4_T5_T6_T7_T9_mT8_P12ihipStream_tbDpT10_ENKUlT_T0_E_clISt17integral_constantIbLb1EES1A_EEDaS15_S16_EUlS15_E_NS1_11comp_targetILNS1_3genE8ELNS1_11target_archE1030ELNS1_3gpuE2ELNS1_3repE0EEENS1_30default_config_static_selectorELNS0_4arch9wavefront6targetE0EEEvT1_ ; -- Begin function _ZN7rocprim17ROCPRIM_400000_NS6detail17trampoline_kernelINS0_14default_configENS1_25partition_config_selectorILNS1_17partition_subalgoE9EllbEEZZNS1_14partition_implILS5_9ELb0ES3_jPlS8_PNS0_10empty_typeENS0_5tupleIJS8_S9_EEENSB_IJS8_SA_EEENS0_18inequality_wrapperIZN2at6native12_GLOBAL__N_124unique_dim_cuda_templateIdEESt5tupleIJNSF_6TensorESK_SK_EERKSK_lbbbEUlllE0_EEPmJS9_EEE10hipError_tPvRmT3_T4_T5_T6_T7_T9_mT8_P12ihipStream_tbDpT10_ENKUlT_T0_E_clISt17integral_constantIbLb1EES1A_EEDaS15_S16_EUlS15_E_NS1_11comp_targetILNS1_3genE8ELNS1_11target_archE1030ELNS1_3gpuE2ELNS1_3repE0EEENS1_30default_config_static_selectorELNS0_4arch9wavefront6targetE0EEEvT1_
	.p2align	8
	.type	_ZN7rocprim17ROCPRIM_400000_NS6detail17trampoline_kernelINS0_14default_configENS1_25partition_config_selectorILNS1_17partition_subalgoE9EllbEEZZNS1_14partition_implILS5_9ELb0ES3_jPlS8_PNS0_10empty_typeENS0_5tupleIJS8_S9_EEENSB_IJS8_SA_EEENS0_18inequality_wrapperIZN2at6native12_GLOBAL__N_124unique_dim_cuda_templateIdEESt5tupleIJNSF_6TensorESK_SK_EERKSK_lbbbEUlllE0_EEPmJS9_EEE10hipError_tPvRmT3_T4_T5_T6_T7_T9_mT8_P12ihipStream_tbDpT10_ENKUlT_T0_E_clISt17integral_constantIbLb1EES1A_EEDaS15_S16_EUlS15_E_NS1_11comp_targetILNS1_3genE8ELNS1_11target_archE1030ELNS1_3gpuE2ELNS1_3repE0EEENS1_30default_config_static_selectorELNS0_4arch9wavefront6targetE0EEEvT1_,@function
_ZN7rocprim17ROCPRIM_400000_NS6detail17trampoline_kernelINS0_14default_configENS1_25partition_config_selectorILNS1_17partition_subalgoE9EllbEEZZNS1_14partition_implILS5_9ELb0ES3_jPlS8_PNS0_10empty_typeENS0_5tupleIJS8_S9_EEENSB_IJS8_SA_EEENS0_18inequality_wrapperIZN2at6native12_GLOBAL__N_124unique_dim_cuda_templateIdEESt5tupleIJNSF_6TensorESK_SK_EERKSK_lbbbEUlllE0_EEPmJS9_EEE10hipError_tPvRmT3_T4_T5_T6_T7_T9_mT8_P12ihipStream_tbDpT10_ENKUlT_T0_E_clISt17integral_constantIbLb1EES1A_EEDaS15_S16_EUlS15_E_NS1_11comp_targetILNS1_3genE8ELNS1_11target_archE1030ELNS1_3gpuE2ELNS1_3repE0EEENS1_30default_config_static_selectorELNS0_4arch9wavefront6targetE0EEEvT1_: ; @_ZN7rocprim17ROCPRIM_400000_NS6detail17trampoline_kernelINS0_14default_configENS1_25partition_config_selectorILNS1_17partition_subalgoE9EllbEEZZNS1_14partition_implILS5_9ELb0ES3_jPlS8_PNS0_10empty_typeENS0_5tupleIJS8_S9_EEENSB_IJS8_SA_EEENS0_18inequality_wrapperIZN2at6native12_GLOBAL__N_124unique_dim_cuda_templateIdEESt5tupleIJNSF_6TensorESK_SK_EERKSK_lbbbEUlllE0_EEPmJS9_EEE10hipError_tPvRmT3_T4_T5_T6_T7_T9_mT8_P12ihipStream_tbDpT10_ENKUlT_T0_E_clISt17integral_constantIbLb1EES1A_EEDaS15_S16_EUlS15_E_NS1_11comp_targetILNS1_3genE8ELNS1_11target_archE1030ELNS1_3gpuE2ELNS1_3repE0EEENS1_30default_config_static_selectorELNS0_4arch9wavefront6targetE0EEEvT1_
; %bb.0:
	.section	.rodata,"a",@progbits
	.p2align	6, 0x0
	.amdhsa_kernel _ZN7rocprim17ROCPRIM_400000_NS6detail17trampoline_kernelINS0_14default_configENS1_25partition_config_selectorILNS1_17partition_subalgoE9EllbEEZZNS1_14partition_implILS5_9ELb0ES3_jPlS8_PNS0_10empty_typeENS0_5tupleIJS8_S9_EEENSB_IJS8_SA_EEENS0_18inequality_wrapperIZN2at6native12_GLOBAL__N_124unique_dim_cuda_templateIdEESt5tupleIJNSF_6TensorESK_SK_EERKSK_lbbbEUlllE0_EEPmJS9_EEE10hipError_tPvRmT3_T4_T5_T6_T7_T9_mT8_P12ihipStream_tbDpT10_ENKUlT_T0_E_clISt17integral_constantIbLb1EES1A_EEDaS15_S16_EUlS15_E_NS1_11comp_targetILNS1_3genE8ELNS1_11target_archE1030ELNS1_3gpuE2ELNS1_3repE0EEENS1_30default_config_static_selectorELNS0_4arch9wavefront6targetE0EEEvT1_
		.amdhsa_group_segment_fixed_size 0
		.amdhsa_private_segment_fixed_size 0
		.amdhsa_kernarg_size 136
		.amdhsa_user_sgpr_count 2
		.amdhsa_user_sgpr_dispatch_ptr 0
		.amdhsa_user_sgpr_queue_ptr 0
		.amdhsa_user_sgpr_kernarg_segment_ptr 1
		.amdhsa_user_sgpr_dispatch_id 0
		.amdhsa_user_sgpr_kernarg_preload_length 0
		.amdhsa_user_sgpr_kernarg_preload_offset 0
		.amdhsa_user_sgpr_private_segment_size 0
		.amdhsa_wavefront_size32 1
		.amdhsa_uses_dynamic_stack 0
		.amdhsa_enable_private_segment 0
		.amdhsa_system_sgpr_workgroup_id_x 1
		.amdhsa_system_sgpr_workgroup_id_y 0
		.amdhsa_system_sgpr_workgroup_id_z 0
		.amdhsa_system_sgpr_workgroup_info 0
		.amdhsa_system_vgpr_workitem_id 0
		.amdhsa_next_free_vgpr 1
		.amdhsa_next_free_sgpr 1
		.amdhsa_named_barrier_count 0
		.amdhsa_reserve_vcc 0
		.amdhsa_float_round_mode_32 0
		.amdhsa_float_round_mode_16_64 0
		.amdhsa_float_denorm_mode_32 3
		.amdhsa_float_denorm_mode_16_64 3
		.amdhsa_fp16_overflow 0
		.amdhsa_memory_ordered 1
		.amdhsa_forward_progress 1
		.amdhsa_inst_pref_size 0
		.amdhsa_round_robin_scheduling 0
		.amdhsa_exception_fp_ieee_invalid_op 0
		.amdhsa_exception_fp_denorm_src 0
		.amdhsa_exception_fp_ieee_div_zero 0
		.amdhsa_exception_fp_ieee_overflow 0
		.amdhsa_exception_fp_ieee_underflow 0
		.amdhsa_exception_fp_ieee_inexact 0
		.amdhsa_exception_int_div_zero 0
	.end_amdhsa_kernel
	.section	.text._ZN7rocprim17ROCPRIM_400000_NS6detail17trampoline_kernelINS0_14default_configENS1_25partition_config_selectorILNS1_17partition_subalgoE9EllbEEZZNS1_14partition_implILS5_9ELb0ES3_jPlS8_PNS0_10empty_typeENS0_5tupleIJS8_S9_EEENSB_IJS8_SA_EEENS0_18inequality_wrapperIZN2at6native12_GLOBAL__N_124unique_dim_cuda_templateIdEESt5tupleIJNSF_6TensorESK_SK_EERKSK_lbbbEUlllE0_EEPmJS9_EEE10hipError_tPvRmT3_T4_T5_T6_T7_T9_mT8_P12ihipStream_tbDpT10_ENKUlT_T0_E_clISt17integral_constantIbLb1EES1A_EEDaS15_S16_EUlS15_E_NS1_11comp_targetILNS1_3genE8ELNS1_11target_archE1030ELNS1_3gpuE2ELNS1_3repE0EEENS1_30default_config_static_selectorELNS0_4arch9wavefront6targetE0EEEvT1_,"axG",@progbits,_ZN7rocprim17ROCPRIM_400000_NS6detail17trampoline_kernelINS0_14default_configENS1_25partition_config_selectorILNS1_17partition_subalgoE9EllbEEZZNS1_14partition_implILS5_9ELb0ES3_jPlS8_PNS0_10empty_typeENS0_5tupleIJS8_S9_EEENSB_IJS8_SA_EEENS0_18inequality_wrapperIZN2at6native12_GLOBAL__N_124unique_dim_cuda_templateIdEESt5tupleIJNSF_6TensorESK_SK_EERKSK_lbbbEUlllE0_EEPmJS9_EEE10hipError_tPvRmT3_T4_T5_T6_T7_T9_mT8_P12ihipStream_tbDpT10_ENKUlT_T0_E_clISt17integral_constantIbLb1EES1A_EEDaS15_S16_EUlS15_E_NS1_11comp_targetILNS1_3genE8ELNS1_11target_archE1030ELNS1_3gpuE2ELNS1_3repE0EEENS1_30default_config_static_selectorELNS0_4arch9wavefront6targetE0EEEvT1_,comdat
.Lfunc_end854:
	.size	_ZN7rocprim17ROCPRIM_400000_NS6detail17trampoline_kernelINS0_14default_configENS1_25partition_config_selectorILNS1_17partition_subalgoE9EllbEEZZNS1_14partition_implILS5_9ELb0ES3_jPlS8_PNS0_10empty_typeENS0_5tupleIJS8_S9_EEENSB_IJS8_SA_EEENS0_18inequality_wrapperIZN2at6native12_GLOBAL__N_124unique_dim_cuda_templateIdEESt5tupleIJNSF_6TensorESK_SK_EERKSK_lbbbEUlllE0_EEPmJS9_EEE10hipError_tPvRmT3_T4_T5_T6_T7_T9_mT8_P12ihipStream_tbDpT10_ENKUlT_T0_E_clISt17integral_constantIbLb1EES1A_EEDaS15_S16_EUlS15_E_NS1_11comp_targetILNS1_3genE8ELNS1_11target_archE1030ELNS1_3gpuE2ELNS1_3repE0EEENS1_30default_config_static_selectorELNS0_4arch9wavefront6targetE0EEEvT1_, .Lfunc_end854-_ZN7rocprim17ROCPRIM_400000_NS6detail17trampoline_kernelINS0_14default_configENS1_25partition_config_selectorILNS1_17partition_subalgoE9EllbEEZZNS1_14partition_implILS5_9ELb0ES3_jPlS8_PNS0_10empty_typeENS0_5tupleIJS8_S9_EEENSB_IJS8_SA_EEENS0_18inequality_wrapperIZN2at6native12_GLOBAL__N_124unique_dim_cuda_templateIdEESt5tupleIJNSF_6TensorESK_SK_EERKSK_lbbbEUlllE0_EEPmJS9_EEE10hipError_tPvRmT3_T4_T5_T6_T7_T9_mT8_P12ihipStream_tbDpT10_ENKUlT_T0_E_clISt17integral_constantIbLb1EES1A_EEDaS15_S16_EUlS15_E_NS1_11comp_targetILNS1_3genE8ELNS1_11target_archE1030ELNS1_3gpuE2ELNS1_3repE0EEENS1_30default_config_static_selectorELNS0_4arch9wavefront6targetE0EEEvT1_
                                        ; -- End function
	.set _ZN7rocprim17ROCPRIM_400000_NS6detail17trampoline_kernelINS0_14default_configENS1_25partition_config_selectorILNS1_17partition_subalgoE9EllbEEZZNS1_14partition_implILS5_9ELb0ES3_jPlS8_PNS0_10empty_typeENS0_5tupleIJS8_S9_EEENSB_IJS8_SA_EEENS0_18inequality_wrapperIZN2at6native12_GLOBAL__N_124unique_dim_cuda_templateIdEESt5tupleIJNSF_6TensorESK_SK_EERKSK_lbbbEUlllE0_EEPmJS9_EEE10hipError_tPvRmT3_T4_T5_T6_T7_T9_mT8_P12ihipStream_tbDpT10_ENKUlT_T0_E_clISt17integral_constantIbLb1EES1A_EEDaS15_S16_EUlS15_E_NS1_11comp_targetILNS1_3genE8ELNS1_11target_archE1030ELNS1_3gpuE2ELNS1_3repE0EEENS1_30default_config_static_selectorELNS0_4arch9wavefront6targetE0EEEvT1_.num_vgpr, 0
	.set _ZN7rocprim17ROCPRIM_400000_NS6detail17trampoline_kernelINS0_14default_configENS1_25partition_config_selectorILNS1_17partition_subalgoE9EllbEEZZNS1_14partition_implILS5_9ELb0ES3_jPlS8_PNS0_10empty_typeENS0_5tupleIJS8_S9_EEENSB_IJS8_SA_EEENS0_18inequality_wrapperIZN2at6native12_GLOBAL__N_124unique_dim_cuda_templateIdEESt5tupleIJNSF_6TensorESK_SK_EERKSK_lbbbEUlllE0_EEPmJS9_EEE10hipError_tPvRmT3_T4_T5_T6_T7_T9_mT8_P12ihipStream_tbDpT10_ENKUlT_T0_E_clISt17integral_constantIbLb1EES1A_EEDaS15_S16_EUlS15_E_NS1_11comp_targetILNS1_3genE8ELNS1_11target_archE1030ELNS1_3gpuE2ELNS1_3repE0EEENS1_30default_config_static_selectorELNS0_4arch9wavefront6targetE0EEEvT1_.num_agpr, 0
	.set _ZN7rocprim17ROCPRIM_400000_NS6detail17trampoline_kernelINS0_14default_configENS1_25partition_config_selectorILNS1_17partition_subalgoE9EllbEEZZNS1_14partition_implILS5_9ELb0ES3_jPlS8_PNS0_10empty_typeENS0_5tupleIJS8_S9_EEENSB_IJS8_SA_EEENS0_18inequality_wrapperIZN2at6native12_GLOBAL__N_124unique_dim_cuda_templateIdEESt5tupleIJNSF_6TensorESK_SK_EERKSK_lbbbEUlllE0_EEPmJS9_EEE10hipError_tPvRmT3_T4_T5_T6_T7_T9_mT8_P12ihipStream_tbDpT10_ENKUlT_T0_E_clISt17integral_constantIbLb1EES1A_EEDaS15_S16_EUlS15_E_NS1_11comp_targetILNS1_3genE8ELNS1_11target_archE1030ELNS1_3gpuE2ELNS1_3repE0EEENS1_30default_config_static_selectorELNS0_4arch9wavefront6targetE0EEEvT1_.numbered_sgpr, 0
	.set _ZN7rocprim17ROCPRIM_400000_NS6detail17trampoline_kernelINS0_14default_configENS1_25partition_config_selectorILNS1_17partition_subalgoE9EllbEEZZNS1_14partition_implILS5_9ELb0ES3_jPlS8_PNS0_10empty_typeENS0_5tupleIJS8_S9_EEENSB_IJS8_SA_EEENS0_18inequality_wrapperIZN2at6native12_GLOBAL__N_124unique_dim_cuda_templateIdEESt5tupleIJNSF_6TensorESK_SK_EERKSK_lbbbEUlllE0_EEPmJS9_EEE10hipError_tPvRmT3_T4_T5_T6_T7_T9_mT8_P12ihipStream_tbDpT10_ENKUlT_T0_E_clISt17integral_constantIbLb1EES1A_EEDaS15_S16_EUlS15_E_NS1_11comp_targetILNS1_3genE8ELNS1_11target_archE1030ELNS1_3gpuE2ELNS1_3repE0EEENS1_30default_config_static_selectorELNS0_4arch9wavefront6targetE0EEEvT1_.num_named_barrier, 0
	.set _ZN7rocprim17ROCPRIM_400000_NS6detail17trampoline_kernelINS0_14default_configENS1_25partition_config_selectorILNS1_17partition_subalgoE9EllbEEZZNS1_14partition_implILS5_9ELb0ES3_jPlS8_PNS0_10empty_typeENS0_5tupleIJS8_S9_EEENSB_IJS8_SA_EEENS0_18inequality_wrapperIZN2at6native12_GLOBAL__N_124unique_dim_cuda_templateIdEESt5tupleIJNSF_6TensorESK_SK_EERKSK_lbbbEUlllE0_EEPmJS9_EEE10hipError_tPvRmT3_T4_T5_T6_T7_T9_mT8_P12ihipStream_tbDpT10_ENKUlT_T0_E_clISt17integral_constantIbLb1EES1A_EEDaS15_S16_EUlS15_E_NS1_11comp_targetILNS1_3genE8ELNS1_11target_archE1030ELNS1_3gpuE2ELNS1_3repE0EEENS1_30default_config_static_selectorELNS0_4arch9wavefront6targetE0EEEvT1_.private_seg_size, 0
	.set _ZN7rocprim17ROCPRIM_400000_NS6detail17trampoline_kernelINS0_14default_configENS1_25partition_config_selectorILNS1_17partition_subalgoE9EllbEEZZNS1_14partition_implILS5_9ELb0ES3_jPlS8_PNS0_10empty_typeENS0_5tupleIJS8_S9_EEENSB_IJS8_SA_EEENS0_18inequality_wrapperIZN2at6native12_GLOBAL__N_124unique_dim_cuda_templateIdEESt5tupleIJNSF_6TensorESK_SK_EERKSK_lbbbEUlllE0_EEPmJS9_EEE10hipError_tPvRmT3_T4_T5_T6_T7_T9_mT8_P12ihipStream_tbDpT10_ENKUlT_T0_E_clISt17integral_constantIbLb1EES1A_EEDaS15_S16_EUlS15_E_NS1_11comp_targetILNS1_3genE8ELNS1_11target_archE1030ELNS1_3gpuE2ELNS1_3repE0EEENS1_30default_config_static_selectorELNS0_4arch9wavefront6targetE0EEEvT1_.uses_vcc, 0
	.set _ZN7rocprim17ROCPRIM_400000_NS6detail17trampoline_kernelINS0_14default_configENS1_25partition_config_selectorILNS1_17partition_subalgoE9EllbEEZZNS1_14partition_implILS5_9ELb0ES3_jPlS8_PNS0_10empty_typeENS0_5tupleIJS8_S9_EEENSB_IJS8_SA_EEENS0_18inequality_wrapperIZN2at6native12_GLOBAL__N_124unique_dim_cuda_templateIdEESt5tupleIJNSF_6TensorESK_SK_EERKSK_lbbbEUlllE0_EEPmJS9_EEE10hipError_tPvRmT3_T4_T5_T6_T7_T9_mT8_P12ihipStream_tbDpT10_ENKUlT_T0_E_clISt17integral_constantIbLb1EES1A_EEDaS15_S16_EUlS15_E_NS1_11comp_targetILNS1_3genE8ELNS1_11target_archE1030ELNS1_3gpuE2ELNS1_3repE0EEENS1_30default_config_static_selectorELNS0_4arch9wavefront6targetE0EEEvT1_.uses_flat_scratch, 0
	.set _ZN7rocprim17ROCPRIM_400000_NS6detail17trampoline_kernelINS0_14default_configENS1_25partition_config_selectorILNS1_17partition_subalgoE9EllbEEZZNS1_14partition_implILS5_9ELb0ES3_jPlS8_PNS0_10empty_typeENS0_5tupleIJS8_S9_EEENSB_IJS8_SA_EEENS0_18inequality_wrapperIZN2at6native12_GLOBAL__N_124unique_dim_cuda_templateIdEESt5tupleIJNSF_6TensorESK_SK_EERKSK_lbbbEUlllE0_EEPmJS9_EEE10hipError_tPvRmT3_T4_T5_T6_T7_T9_mT8_P12ihipStream_tbDpT10_ENKUlT_T0_E_clISt17integral_constantIbLb1EES1A_EEDaS15_S16_EUlS15_E_NS1_11comp_targetILNS1_3genE8ELNS1_11target_archE1030ELNS1_3gpuE2ELNS1_3repE0EEENS1_30default_config_static_selectorELNS0_4arch9wavefront6targetE0EEEvT1_.has_dyn_sized_stack, 0
	.set _ZN7rocprim17ROCPRIM_400000_NS6detail17trampoline_kernelINS0_14default_configENS1_25partition_config_selectorILNS1_17partition_subalgoE9EllbEEZZNS1_14partition_implILS5_9ELb0ES3_jPlS8_PNS0_10empty_typeENS0_5tupleIJS8_S9_EEENSB_IJS8_SA_EEENS0_18inequality_wrapperIZN2at6native12_GLOBAL__N_124unique_dim_cuda_templateIdEESt5tupleIJNSF_6TensorESK_SK_EERKSK_lbbbEUlllE0_EEPmJS9_EEE10hipError_tPvRmT3_T4_T5_T6_T7_T9_mT8_P12ihipStream_tbDpT10_ENKUlT_T0_E_clISt17integral_constantIbLb1EES1A_EEDaS15_S16_EUlS15_E_NS1_11comp_targetILNS1_3genE8ELNS1_11target_archE1030ELNS1_3gpuE2ELNS1_3repE0EEENS1_30default_config_static_selectorELNS0_4arch9wavefront6targetE0EEEvT1_.has_recursion, 0
	.set _ZN7rocprim17ROCPRIM_400000_NS6detail17trampoline_kernelINS0_14default_configENS1_25partition_config_selectorILNS1_17partition_subalgoE9EllbEEZZNS1_14partition_implILS5_9ELb0ES3_jPlS8_PNS0_10empty_typeENS0_5tupleIJS8_S9_EEENSB_IJS8_SA_EEENS0_18inequality_wrapperIZN2at6native12_GLOBAL__N_124unique_dim_cuda_templateIdEESt5tupleIJNSF_6TensorESK_SK_EERKSK_lbbbEUlllE0_EEPmJS9_EEE10hipError_tPvRmT3_T4_T5_T6_T7_T9_mT8_P12ihipStream_tbDpT10_ENKUlT_T0_E_clISt17integral_constantIbLb1EES1A_EEDaS15_S16_EUlS15_E_NS1_11comp_targetILNS1_3genE8ELNS1_11target_archE1030ELNS1_3gpuE2ELNS1_3repE0EEENS1_30default_config_static_selectorELNS0_4arch9wavefront6targetE0EEEvT1_.has_indirect_call, 0
	.section	.AMDGPU.csdata,"",@progbits
; Kernel info:
; codeLenInByte = 0
; TotalNumSgprs: 0
; NumVgprs: 0
; ScratchSize: 0
; MemoryBound: 0
; FloatMode: 240
; IeeeMode: 1
; LDSByteSize: 0 bytes/workgroup (compile time only)
; SGPRBlocks: 0
; VGPRBlocks: 0
; NumSGPRsForWavesPerEU: 1
; NumVGPRsForWavesPerEU: 1
; NamedBarCnt: 0
; Occupancy: 16
; WaveLimiterHint : 0
; COMPUTE_PGM_RSRC2:SCRATCH_EN: 0
; COMPUTE_PGM_RSRC2:USER_SGPR: 2
; COMPUTE_PGM_RSRC2:TRAP_HANDLER: 0
; COMPUTE_PGM_RSRC2:TGID_X_EN: 1
; COMPUTE_PGM_RSRC2:TGID_Y_EN: 0
; COMPUTE_PGM_RSRC2:TGID_Z_EN: 0
; COMPUTE_PGM_RSRC2:TIDIG_COMP_CNT: 0
	.section	.text._ZN7rocprim17ROCPRIM_400000_NS6detail17trampoline_kernelINS0_14default_configENS1_25partition_config_selectorILNS1_17partition_subalgoE9EllbEEZZNS1_14partition_implILS5_9ELb0ES3_jPlS8_PNS0_10empty_typeENS0_5tupleIJS8_S9_EEENSB_IJS8_SA_EEENS0_18inequality_wrapperIZN2at6native12_GLOBAL__N_124unique_dim_cuda_templateIdEESt5tupleIJNSF_6TensorESK_SK_EERKSK_lbbbEUlllE0_EEPmJS9_EEE10hipError_tPvRmT3_T4_T5_T6_T7_T9_mT8_P12ihipStream_tbDpT10_ENKUlT_T0_E_clISt17integral_constantIbLb1EES19_IbLb0EEEEDaS15_S16_EUlS15_E_NS1_11comp_targetILNS1_3genE0ELNS1_11target_archE4294967295ELNS1_3gpuE0ELNS1_3repE0EEENS1_30default_config_static_selectorELNS0_4arch9wavefront6targetE0EEEvT1_,"axG",@progbits,_ZN7rocprim17ROCPRIM_400000_NS6detail17trampoline_kernelINS0_14default_configENS1_25partition_config_selectorILNS1_17partition_subalgoE9EllbEEZZNS1_14partition_implILS5_9ELb0ES3_jPlS8_PNS0_10empty_typeENS0_5tupleIJS8_S9_EEENSB_IJS8_SA_EEENS0_18inequality_wrapperIZN2at6native12_GLOBAL__N_124unique_dim_cuda_templateIdEESt5tupleIJNSF_6TensorESK_SK_EERKSK_lbbbEUlllE0_EEPmJS9_EEE10hipError_tPvRmT3_T4_T5_T6_T7_T9_mT8_P12ihipStream_tbDpT10_ENKUlT_T0_E_clISt17integral_constantIbLb1EES19_IbLb0EEEEDaS15_S16_EUlS15_E_NS1_11comp_targetILNS1_3genE0ELNS1_11target_archE4294967295ELNS1_3gpuE0ELNS1_3repE0EEENS1_30default_config_static_selectorELNS0_4arch9wavefront6targetE0EEEvT1_,comdat
	.globl	_ZN7rocprim17ROCPRIM_400000_NS6detail17trampoline_kernelINS0_14default_configENS1_25partition_config_selectorILNS1_17partition_subalgoE9EllbEEZZNS1_14partition_implILS5_9ELb0ES3_jPlS8_PNS0_10empty_typeENS0_5tupleIJS8_S9_EEENSB_IJS8_SA_EEENS0_18inequality_wrapperIZN2at6native12_GLOBAL__N_124unique_dim_cuda_templateIdEESt5tupleIJNSF_6TensorESK_SK_EERKSK_lbbbEUlllE0_EEPmJS9_EEE10hipError_tPvRmT3_T4_T5_T6_T7_T9_mT8_P12ihipStream_tbDpT10_ENKUlT_T0_E_clISt17integral_constantIbLb1EES19_IbLb0EEEEDaS15_S16_EUlS15_E_NS1_11comp_targetILNS1_3genE0ELNS1_11target_archE4294967295ELNS1_3gpuE0ELNS1_3repE0EEENS1_30default_config_static_selectorELNS0_4arch9wavefront6targetE0EEEvT1_ ; -- Begin function _ZN7rocprim17ROCPRIM_400000_NS6detail17trampoline_kernelINS0_14default_configENS1_25partition_config_selectorILNS1_17partition_subalgoE9EllbEEZZNS1_14partition_implILS5_9ELb0ES3_jPlS8_PNS0_10empty_typeENS0_5tupleIJS8_S9_EEENSB_IJS8_SA_EEENS0_18inequality_wrapperIZN2at6native12_GLOBAL__N_124unique_dim_cuda_templateIdEESt5tupleIJNSF_6TensorESK_SK_EERKSK_lbbbEUlllE0_EEPmJS9_EEE10hipError_tPvRmT3_T4_T5_T6_T7_T9_mT8_P12ihipStream_tbDpT10_ENKUlT_T0_E_clISt17integral_constantIbLb1EES19_IbLb0EEEEDaS15_S16_EUlS15_E_NS1_11comp_targetILNS1_3genE0ELNS1_11target_archE4294967295ELNS1_3gpuE0ELNS1_3repE0EEENS1_30default_config_static_selectorELNS0_4arch9wavefront6targetE0EEEvT1_
	.p2align	8
	.type	_ZN7rocprim17ROCPRIM_400000_NS6detail17trampoline_kernelINS0_14default_configENS1_25partition_config_selectorILNS1_17partition_subalgoE9EllbEEZZNS1_14partition_implILS5_9ELb0ES3_jPlS8_PNS0_10empty_typeENS0_5tupleIJS8_S9_EEENSB_IJS8_SA_EEENS0_18inequality_wrapperIZN2at6native12_GLOBAL__N_124unique_dim_cuda_templateIdEESt5tupleIJNSF_6TensorESK_SK_EERKSK_lbbbEUlllE0_EEPmJS9_EEE10hipError_tPvRmT3_T4_T5_T6_T7_T9_mT8_P12ihipStream_tbDpT10_ENKUlT_T0_E_clISt17integral_constantIbLb1EES19_IbLb0EEEEDaS15_S16_EUlS15_E_NS1_11comp_targetILNS1_3genE0ELNS1_11target_archE4294967295ELNS1_3gpuE0ELNS1_3repE0EEENS1_30default_config_static_selectorELNS0_4arch9wavefront6targetE0EEEvT1_,@function
_ZN7rocprim17ROCPRIM_400000_NS6detail17trampoline_kernelINS0_14default_configENS1_25partition_config_selectorILNS1_17partition_subalgoE9EllbEEZZNS1_14partition_implILS5_9ELb0ES3_jPlS8_PNS0_10empty_typeENS0_5tupleIJS8_S9_EEENSB_IJS8_SA_EEENS0_18inequality_wrapperIZN2at6native12_GLOBAL__N_124unique_dim_cuda_templateIdEESt5tupleIJNSF_6TensorESK_SK_EERKSK_lbbbEUlllE0_EEPmJS9_EEE10hipError_tPvRmT3_T4_T5_T6_T7_T9_mT8_P12ihipStream_tbDpT10_ENKUlT_T0_E_clISt17integral_constantIbLb1EES19_IbLb0EEEEDaS15_S16_EUlS15_E_NS1_11comp_targetILNS1_3genE0ELNS1_11target_archE4294967295ELNS1_3gpuE0ELNS1_3repE0EEENS1_30default_config_static_selectorELNS0_4arch9wavefront6targetE0EEEvT1_: ; @_ZN7rocprim17ROCPRIM_400000_NS6detail17trampoline_kernelINS0_14default_configENS1_25partition_config_selectorILNS1_17partition_subalgoE9EllbEEZZNS1_14partition_implILS5_9ELb0ES3_jPlS8_PNS0_10empty_typeENS0_5tupleIJS8_S9_EEENSB_IJS8_SA_EEENS0_18inequality_wrapperIZN2at6native12_GLOBAL__N_124unique_dim_cuda_templateIdEESt5tupleIJNSF_6TensorESK_SK_EERKSK_lbbbEUlllE0_EEPmJS9_EEE10hipError_tPvRmT3_T4_T5_T6_T7_T9_mT8_P12ihipStream_tbDpT10_ENKUlT_T0_E_clISt17integral_constantIbLb1EES19_IbLb0EEEEDaS15_S16_EUlS15_E_NS1_11comp_targetILNS1_3genE0ELNS1_11target_archE4294967295ELNS1_3gpuE0ELNS1_3repE0EEENS1_30default_config_static_selectorELNS0_4arch9wavefront6targetE0EEEvT1_
; %bb.0:
	s_endpgm
	.section	.rodata,"a",@progbits
	.p2align	6, 0x0
	.amdhsa_kernel _ZN7rocprim17ROCPRIM_400000_NS6detail17trampoline_kernelINS0_14default_configENS1_25partition_config_selectorILNS1_17partition_subalgoE9EllbEEZZNS1_14partition_implILS5_9ELb0ES3_jPlS8_PNS0_10empty_typeENS0_5tupleIJS8_S9_EEENSB_IJS8_SA_EEENS0_18inequality_wrapperIZN2at6native12_GLOBAL__N_124unique_dim_cuda_templateIdEESt5tupleIJNSF_6TensorESK_SK_EERKSK_lbbbEUlllE0_EEPmJS9_EEE10hipError_tPvRmT3_T4_T5_T6_T7_T9_mT8_P12ihipStream_tbDpT10_ENKUlT_T0_E_clISt17integral_constantIbLb1EES19_IbLb0EEEEDaS15_S16_EUlS15_E_NS1_11comp_targetILNS1_3genE0ELNS1_11target_archE4294967295ELNS1_3gpuE0ELNS1_3repE0EEENS1_30default_config_static_selectorELNS0_4arch9wavefront6targetE0EEEvT1_
		.amdhsa_group_segment_fixed_size 0
		.amdhsa_private_segment_fixed_size 0
		.amdhsa_kernarg_size 120
		.amdhsa_user_sgpr_count 2
		.amdhsa_user_sgpr_dispatch_ptr 0
		.amdhsa_user_sgpr_queue_ptr 0
		.amdhsa_user_sgpr_kernarg_segment_ptr 1
		.amdhsa_user_sgpr_dispatch_id 0
		.amdhsa_user_sgpr_kernarg_preload_length 0
		.amdhsa_user_sgpr_kernarg_preload_offset 0
		.amdhsa_user_sgpr_private_segment_size 0
		.amdhsa_wavefront_size32 1
		.amdhsa_uses_dynamic_stack 0
		.amdhsa_enable_private_segment 0
		.amdhsa_system_sgpr_workgroup_id_x 1
		.amdhsa_system_sgpr_workgroup_id_y 0
		.amdhsa_system_sgpr_workgroup_id_z 0
		.amdhsa_system_sgpr_workgroup_info 0
		.amdhsa_system_vgpr_workitem_id 0
		.amdhsa_next_free_vgpr 1
		.amdhsa_next_free_sgpr 1
		.amdhsa_named_barrier_count 0
		.amdhsa_reserve_vcc 0
		.amdhsa_float_round_mode_32 0
		.amdhsa_float_round_mode_16_64 0
		.amdhsa_float_denorm_mode_32 3
		.amdhsa_float_denorm_mode_16_64 3
		.amdhsa_fp16_overflow 0
		.amdhsa_memory_ordered 1
		.amdhsa_forward_progress 1
		.amdhsa_inst_pref_size 1
		.amdhsa_round_robin_scheduling 0
		.amdhsa_exception_fp_ieee_invalid_op 0
		.amdhsa_exception_fp_denorm_src 0
		.amdhsa_exception_fp_ieee_div_zero 0
		.amdhsa_exception_fp_ieee_overflow 0
		.amdhsa_exception_fp_ieee_underflow 0
		.amdhsa_exception_fp_ieee_inexact 0
		.amdhsa_exception_int_div_zero 0
	.end_amdhsa_kernel
	.section	.text._ZN7rocprim17ROCPRIM_400000_NS6detail17trampoline_kernelINS0_14default_configENS1_25partition_config_selectorILNS1_17partition_subalgoE9EllbEEZZNS1_14partition_implILS5_9ELb0ES3_jPlS8_PNS0_10empty_typeENS0_5tupleIJS8_S9_EEENSB_IJS8_SA_EEENS0_18inequality_wrapperIZN2at6native12_GLOBAL__N_124unique_dim_cuda_templateIdEESt5tupleIJNSF_6TensorESK_SK_EERKSK_lbbbEUlllE0_EEPmJS9_EEE10hipError_tPvRmT3_T4_T5_T6_T7_T9_mT8_P12ihipStream_tbDpT10_ENKUlT_T0_E_clISt17integral_constantIbLb1EES19_IbLb0EEEEDaS15_S16_EUlS15_E_NS1_11comp_targetILNS1_3genE0ELNS1_11target_archE4294967295ELNS1_3gpuE0ELNS1_3repE0EEENS1_30default_config_static_selectorELNS0_4arch9wavefront6targetE0EEEvT1_,"axG",@progbits,_ZN7rocprim17ROCPRIM_400000_NS6detail17trampoline_kernelINS0_14default_configENS1_25partition_config_selectorILNS1_17partition_subalgoE9EllbEEZZNS1_14partition_implILS5_9ELb0ES3_jPlS8_PNS0_10empty_typeENS0_5tupleIJS8_S9_EEENSB_IJS8_SA_EEENS0_18inequality_wrapperIZN2at6native12_GLOBAL__N_124unique_dim_cuda_templateIdEESt5tupleIJNSF_6TensorESK_SK_EERKSK_lbbbEUlllE0_EEPmJS9_EEE10hipError_tPvRmT3_T4_T5_T6_T7_T9_mT8_P12ihipStream_tbDpT10_ENKUlT_T0_E_clISt17integral_constantIbLb1EES19_IbLb0EEEEDaS15_S16_EUlS15_E_NS1_11comp_targetILNS1_3genE0ELNS1_11target_archE4294967295ELNS1_3gpuE0ELNS1_3repE0EEENS1_30default_config_static_selectorELNS0_4arch9wavefront6targetE0EEEvT1_,comdat
.Lfunc_end855:
	.size	_ZN7rocprim17ROCPRIM_400000_NS6detail17trampoline_kernelINS0_14default_configENS1_25partition_config_selectorILNS1_17partition_subalgoE9EllbEEZZNS1_14partition_implILS5_9ELb0ES3_jPlS8_PNS0_10empty_typeENS0_5tupleIJS8_S9_EEENSB_IJS8_SA_EEENS0_18inequality_wrapperIZN2at6native12_GLOBAL__N_124unique_dim_cuda_templateIdEESt5tupleIJNSF_6TensorESK_SK_EERKSK_lbbbEUlllE0_EEPmJS9_EEE10hipError_tPvRmT3_T4_T5_T6_T7_T9_mT8_P12ihipStream_tbDpT10_ENKUlT_T0_E_clISt17integral_constantIbLb1EES19_IbLb0EEEEDaS15_S16_EUlS15_E_NS1_11comp_targetILNS1_3genE0ELNS1_11target_archE4294967295ELNS1_3gpuE0ELNS1_3repE0EEENS1_30default_config_static_selectorELNS0_4arch9wavefront6targetE0EEEvT1_, .Lfunc_end855-_ZN7rocprim17ROCPRIM_400000_NS6detail17trampoline_kernelINS0_14default_configENS1_25partition_config_selectorILNS1_17partition_subalgoE9EllbEEZZNS1_14partition_implILS5_9ELb0ES3_jPlS8_PNS0_10empty_typeENS0_5tupleIJS8_S9_EEENSB_IJS8_SA_EEENS0_18inequality_wrapperIZN2at6native12_GLOBAL__N_124unique_dim_cuda_templateIdEESt5tupleIJNSF_6TensorESK_SK_EERKSK_lbbbEUlllE0_EEPmJS9_EEE10hipError_tPvRmT3_T4_T5_T6_T7_T9_mT8_P12ihipStream_tbDpT10_ENKUlT_T0_E_clISt17integral_constantIbLb1EES19_IbLb0EEEEDaS15_S16_EUlS15_E_NS1_11comp_targetILNS1_3genE0ELNS1_11target_archE4294967295ELNS1_3gpuE0ELNS1_3repE0EEENS1_30default_config_static_selectorELNS0_4arch9wavefront6targetE0EEEvT1_
                                        ; -- End function
	.set _ZN7rocprim17ROCPRIM_400000_NS6detail17trampoline_kernelINS0_14default_configENS1_25partition_config_selectorILNS1_17partition_subalgoE9EllbEEZZNS1_14partition_implILS5_9ELb0ES3_jPlS8_PNS0_10empty_typeENS0_5tupleIJS8_S9_EEENSB_IJS8_SA_EEENS0_18inequality_wrapperIZN2at6native12_GLOBAL__N_124unique_dim_cuda_templateIdEESt5tupleIJNSF_6TensorESK_SK_EERKSK_lbbbEUlllE0_EEPmJS9_EEE10hipError_tPvRmT3_T4_T5_T6_T7_T9_mT8_P12ihipStream_tbDpT10_ENKUlT_T0_E_clISt17integral_constantIbLb1EES19_IbLb0EEEEDaS15_S16_EUlS15_E_NS1_11comp_targetILNS1_3genE0ELNS1_11target_archE4294967295ELNS1_3gpuE0ELNS1_3repE0EEENS1_30default_config_static_selectorELNS0_4arch9wavefront6targetE0EEEvT1_.num_vgpr, 0
	.set _ZN7rocprim17ROCPRIM_400000_NS6detail17trampoline_kernelINS0_14default_configENS1_25partition_config_selectorILNS1_17partition_subalgoE9EllbEEZZNS1_14partition_implILS5_9ELb0ES3_jPlS8_PNS0_10empty_typeENS0_5tupleIJS8_S9_EEENSB_IJS8_SA_EEENS0_18inequality_wrapperIZN2at6native12_GLOBAL__N_124unique_dim_cuda_templateIdEESt5tupleIJNSF_6TensorESK_SK_EERKSK_lbbbEUlllE0_EEPmJS9_EEE10hipError_tPvRmT3_T4_T5_T6_T7_T9_mT8_P12ihipStream_tbDpT10_ENKUlT_T0_E_clISt17integral_constantIbLb1EES19_IbLb0EEEEDaS15_S16_EUlS15_E_NS1_11comp_targetILNS1_3genE0ELNS1_11target_archE4294967295ELNS1_3gpuE0ELNS1_3repE0EEENS1_30default_config_static_selectorELNS0_4arch9wavefront6targetE0EEEvT1_.num_agpr, 0
	.set _ZN7rocprim17ROCPRIM_400000_NS6detail17trampoline_kernelINS0_14default_configENS1_25partition_config_selectorILNS1_17partition_subalgoE9EllbEEZZNS1_14partition_implILS5_9ELb0ES3_jPlS8_PNS0_10empty_typeENS0_5tupleIJS8_S9_EEENSB_IJS8_SA_EEENS0_18inequality_wrapperIZN2at6native12_GLOBAL__N_124unique_dim_cuda_templateIdEESt5tupleIJNSF_6TensorESK_SK_EERKSK_lbbbEUlllE0_EEPmJS9_EEE10hipError_tPvRmT3_T4_T5_T6_T7_T9_mT8_P12ihipStream_tbDpT10_ENKUlT_T0_E_clISt17integral_constantIbLb1EES19_IbLb0EEEEDaS15_S16_EUlS15_E_NS1_11comp_targetILNS1_3genE0ELNS1_11target_archE4294967295ELNS1_3gpuE0ELNS1_3repE0EEENS1_30default_config_static_selectorELNS0_4arch9wavefront6targetE0EEEvT1_.numbered_sgpr, 0
	.set _ZN7rocprim17ROCPRIM_400000_NS6detail17trampoline_kernelINS0_14default_configENS1_25partition_config_selectorILNS1_17partition_subalgoE9EllbEEZZNS1_14partition_implILS5_9ELb0ES3_jPlS8_PNS0_10empty_typeENS0_5tupleIJS8_S9_EEENSB_IJS8_SA_EEENS0_18inequality_wrapperIZN2at6native12_GLOBAL__N_124unique_dim_cuda_templateIdEESt5tupleIJNSF_6TensorESK_SK_EERKSK_lbbbEUlllE0_EEPmJS9_EEE10hipError_tPvRmT3_T4_T5_T6_T7_T9_mT8_P12ihipStream_tbDpT10_ENKUlT_T0_E_clISt17integral_constantIbLb1EES19_IbLb0EEEEDaS15_S16_EUlS15_E_NS1_11comp_targetILNS1_3genE0ELNS1_11target_archE4294967295ELNS1_3gpuE0ELNS1_3repE0EEENS1_30default_config_static_selectorELNS0_4arch9wavefront6targetE0EEEvT1_.num_named_barrier, 0
	.set _ZN7rocprim17ROCPRIM_400000_NS6detail17trampoline_kernelINS0_14default_configENS1_25partition_config_selectorILNS1_17partition_subalgoE9EllbEEZZNS1_14partition_implILS5_9ELb0ES3_jPlS8_PNS0_10empty_typeENS0_5tupleIJS8_S9_EEENSB_IJS8_SA_EEENS0_18inequality_wrapperIZN2at6native12_GLOBAL__N_124unique_dim_cuda_templateIdEESt5tupleIJNSF_6TensorESK_SK_EERKSK_lbbbEUlllE0_EEPmJS9_EEE10hipError_tPvRmT3_T4_T5_T6_T7_T9_mT8_P12ihipStream_tbDpT10_ENKUlT_T0_E_clISt17integral_constantIbLb1EES19_IbLb0EEEEDaS15_S16_EUlS15_E_NS1_11comp_targetILNS1_3genE0ELNS1_11target_archE4294967295ELNS1_3gpuE0ELNS1_3repE0EEENS1_30default_config_static_selectorELNS0_4arch9wavefront6targetE0EEEvT1_.private_seg_size, 0
	.set _ZN7rocprim17ROCPRIM_400000_NS6detail17trampoline_kernelINS0_14default_configENS1_25partition_config_selectorILNS1_17partition_subalgoE9EllbEEZZNS1_14partition_implILS5_9ELb0ES3_jPlS8_PNS0_10empty_typeENS0_5tupleIJS8_S9_EEENSB_IJS8_SA_EEENS0_18inequality_wrapperIZN2at6native12_GLOBAL__N_124unique_dim_cuda_templateIdEESt5tupleIJNSF_6TensorESK_SK_EERKSK_lbbbEUlllE0_EEPmJS9_EEE10hipError_tPvRmT3_T4_T5_T6_T7_T9_mT8_P12ihipStream_tbDpT10_ENKUlT_T0_E_clISt17integral_constantIbLb1EES19_IbLb0EEEEDaS15_S16_EUlS15_E_NS1_11comp_targetILNS1_3genE0ELNS1_11target_archE4294967295ELNS1_3gpuE0ELNS1_3repE0EEENS1_30default_config_static_selectorELNS0_4arch9wavefront6targetE0EEEvT1_.uses_vcc, 0
	.set _ZN7rocprim17ROCPRIM_400000_NS6detail17trampoline_kernelINS0_14default_configENS1_25partition_config_selectorILNS1_17partition_subalgoE9EllbEEZZNS1_14partition_implILS5_9ELb0ES3_jPlS8_PNS0_10empty_typeENS0_5tupleIJS8_S9_EEENSB_IJS8_SA_EEENS0_18inequality_wrapperIZN2at6native12_GLOBAL__N_124unique_dim_cuda_templateIdEESt5tupleIJNSF_6TensorESK_SK_EERKSK_lbbbEUlllE0_EEPmJS9_EEE10hipError_tPvRmT3_T4_T5_T6_T7_T9_mT8_P12ihipStream_tbDpT10_ENKUlT_T0_E_clISt17integral_constantIbLb1EES19_IbLb0EEEEDaS15_S16_EUlS15_E_NS1_11comp_targetILNS1_3genE0ELNS1_11target_archE4294967295ELNS1_3gpuE0ELNS1_3repE0EEENS1_30default_config_static_selectorELNS0_4arch9wavefront6targetE0EEEvT1_.uses_flat_scratch, 0
	.set _ZN7rocprim17ROCPRIM_400000_NS6detail17trampoline_kernelINS0_14default_configENS1_25partition_config_selectorILNS1_17partition_subalgoE9EllbEEZZNS1_14partition_implILS5_9ELb0ES3_jPlS8_PNS0_10empty_typeENS0_5tupleIJS8_S9_EEENSB_IJS8_SA_EEENS0_18inequality_wrapperIZN2at6native12_GLOBAL__N_124unique_dim_cuda_templateIdEESt5tupleIJNSF_6TensorESK_SK_EERKSK_lbbbEUlllE0_EEPmJS9_EEE10hipError_tPvRmT3_T4_T5_T6_T7_T9_mT8_P12ihipStream_tbDpT10_ENKUlT_T0_E_clISt17integral_constantIbLb1EES19_IbLb0EEEEDaS15_S16_EUlS15_E_NS1_11comp_targetILNS1_3genE0ELNS1_11target_archE4294967295ELNS1_3gpuE0ELNS1_3repE0EEENS1_30default_config_static_selectorELNS0_4arch9wavefront6targetE0EEEvT1_.has_dyn_sized_stack, 0
	.set _ZN7rocprim17ROCPRIM_400000_NS6detail17trampoline_kernelINS0_14default_configENS1_25partition_config_selectorILNS1_17partition_subalgoE9EllbEEZZNS1_14partition_implILS5_9ELb0ES3_jPlS8_PNS0_10empty_typeENS0_5tupleIJS8_S9_EEENSB_IJS8_SA_EEENS0_18inequality_wrapperIZN2at6native12_GLOBAL__N_124unique_dim_cuda_templateIdEESt5tupleIJNSF_6TensorESK_SK_EERKSK_lbbbEUlllE0_EEPmJS9_EEE10hipError_tPvRmT3_T4_T5_T6_T7_T9_mT8_P12ihipStream_tbDpT10_ENKUlT_T0_E_clISt17integral_constantIbLb1EES19_IbLb0EEEEDaS15_S16_EUlS15_E_NS1_11comp_targetILNS1_3genE0ELNS1_11target_archE4294967295ELNS1_3gpuE0ELNS1_3repE0EEENS1_30default_config_static_selectorELNS0_4arch9wavefront6targetE0EEEvT1_.has_recursion, 0
	.set _ZN7rocprim17ROCPRIM_400000_NS6detail17trampoline_kernelINS0_14default_configENS1_25partition_config_selectorILNS1_17partition_subalgoE9EllbEEZZNS1_14partition_implILS5_9ELb0ES3_jPlS8_PNS0_10empty_typeENS0_5tupleIJS8_S9_EEENSB_IJS8_SA_EEENS0_18inequality_wrapperIZN2at6native12_GLOBAL__N_124unique_dim_cuda_templateIdEESt5tupleIJNSF_6TensorESK_SK_EERKSK_lbbbEUlllE0_EEPmJS9_EEE10hipError_tPvRmT3_T4_T5_T6_T7_T9_mT8_P12ihipStream_tbDpT10_ENKUlT_T0_E_clISt17integral_constantIbLb1EES19_IbLb0EEEEDaS15_S16_EUlS15_E_NS1_11comp_targetILNS1_3genE0ELNS1_11target_archE4294967295ELNS1_3gpuE0ELNS1_3repE0EEENS1_30default_config_static_selectorELNS0_4arch9wavefront6targetE0EEEvT1_.has_indirect_call, 0
	.section	.AMDGPU.csdata,"",@progbits
; Kernel info:
; codeLenInByte = 4
; TotalNumSgprs: 0
; NumVgprs: 0
; ScratchSize: 0
; MemoryBound: 0
; FloatMode: 240
; IeeeMode: 1
; LDSByteSize: 0 bytes/workgroup (compile time only)
; SGPRBlocks: 0
; VGPRBlocks: 0
; NumSGPRsForWavesPerEU: 1
; NumVGPRsForWavesPerEU: 1
; NamedBarCnt: 0
; Occupancy: 16
; WaveLimiterHint : 0
; COMPUTE_PGM_RSRC2:SCRATCH_EN: 0
; COMPUTE_PGM_RSRC2:USER_SGPR: 2
; COMPUTE_PGM_RSRC2:TRAP_HANDLER: 0
; COMPUTE_PGM_RSRC2:TGID_X_EN: 1
; COMPUTE_PGM_RSRC2:TGID_Y_EN: 0
; COMPUTE_PGM_RSRC2:TGID_Z_EN: 0
; COMPUTE_PGM_RSRC2:TIDIG_COMP_CNT: 0
	.section	.text._ZN7rocprim17ROCPRIM_400000_NS6detail17trampoline_kernelINS0_14default_configENS1_25partition_config_selectorILNS1_17partition_subalgoE9EllbEEZZNS1_14partition_implILS5_9ELb0ES3_jPlS8_PNS0_10empty_typeENS0_5tupleIJS8_S9_EEENSB_IJS8_SA_EEENS0_18inequality_wrapperIZN2at6native12_GLOBAL__N_124unique_dim_cuda_templateIdEESt5tupleIJNSF_6TensorESK_SK_EERKSK_lbbbEUlllE0_EEPmJS9_EEE10hipError_tPvRmT3_T4_T5_T6_T7_T9_mT8_P12ihipStream_tbDpT10_ENKUlT_T0_E_clISt17integral_constantIbLb1EES19_IbLb0EEEEDaS15_S16_EUlS15_E_NS1_11comp_targetILNS1_3genE5ELNS1_11target_archE942ELNS1_3gpuE9ELNS1_3repE0EEENS1_30default_config_static_selectorELNS0_4arch9wavefront6targetE0EEEvT1_,"axG",@progbits,_ZN7rocprim17ROCPRIM_400000_NS6detail17trampoline_kernelINS0_14default_configENS1_25partition_config_selectorILNS1_17partition_subalgoE9EllbEEZZNS1_14partition_implILS5_9ELb0ES3_jPlS8_PNS0_10empty_typeENS0_5tupleIJS8_S9_EEENSB_IJS8_SA_EEENS0_18inequality_wrapperIZN2at6native12_GLOBAL__N_124unique_dim_cuda_templateIdEESt5tupleIJNSF_6TensorESK_SK_EERKSK_lbbbEUlllE0_EEPmJS9_EEE10hipError_tPvRmT3_T4_T5_T6_T7_T9_mT8_P12ihipStream_tbDpT10_ENKUlT_T0_E_clISt17integral_constantIbLb1EES19_IbLb0EEEEDaS15_S16_EUlS15_E_NS1_11comp_targetILNS1_3genE5ELNS1_11target_archE942ELNS1_3gpuE9ELNS1_3repE0EEENS1_30default_config_static_selectorELNS0_4arch9wavefront6targetE0EEEvT1_,comdat
	.globl	_ZN7rocprim17ROCPRIM_400000_NS6detail17trampoline_kernelINS0_14default_configENS1_25partition_config_selectorILNS1_17partition_subalgoE9EllbEEZZNS1_14partition_implILS5_9ELb0ES3_jPlS8_PNS0_10empty_typeENS0_5tupleIJS8_S9_EEENSB_IJS8_SA_EEENS0_18inequality_wrapperIZN2at6native12_GLOBAL__N_124unique_dim_cuda_templateIdEESt5tupleIJNSF_6TensorESK_SK_EERKSK_lbbbEUlllE0_EEPmJS9_EEE10hipError_tPvRmT3_T4_T5_T6_T7_T9_mT8_P12ihipStream_tbDpT10_ENKUlT_T0_E_clISt17integral_constantIbLb1EES19_IbLb0EEEEDaS15_S16_EUlS15_E_NS1_11comp_targetILNS1_3genE5ELNS1_11target_archE942ELNS1_3gpuE9ELNS1_3repE0EEENS1_30default_config_static_selectorELNS0_4arch9wavefront6targetE0EEEvT1_ ; -- Begin function _ZN7rocprim17ROCPRIM_400000_NS6detail17trampoline_kernelINS0_14default_configENS1_25partition_config_selectorILNS1_17partition_subalgoE9EllbEEZZNS1_14partition_implILS5_9ELb0ES3_jPlS8_PNS0_10empty_typeENS0_5tupleIJS8_S9_EEENSB_IJS8_SA_EEENS0_18inequality_wrapperIZN2at6native12_GLOBAL__N_124unique_dim_cuda_templateIdEESt5tupleIJNSF_6TensorESK_SK_EERKSK_lbbbEUlllE0_EEPmJS9_EEE10hipError_tPvRmT3_T4_T5_T6_T7_T9_mT8_P12ihipStream_tbDpT10_ENKUlT_T0_E_clISt17integral_constantIbLb1EES19_IbLb0EEEEDaS15_S16_EUlS15_E_NS1_11comp_targetILNS1_3genE5ELNS1_11target_archE942ELNS1_3gpuE9ELNS1_3repE0EEENS1_30default_config_static_selectorELNS0_4arch9wavefront6targetE0EEEvT1_
	.p2align	8
	.type	_ZN7rocprim17ROCPRIM_400000_NS6detail17trampoline_kernelINS0_14default_configENS1_25partition_config_selectorILNS1_17partition_subalgoE9EllbEEZZNS1_14partition_implILS5_9ELb0ES3_jPlS8_PNS0_10empty_typeENS0_5tupleIJS8_S9_EEENSB_IJS8_SA_EEENS0_18inequality_wrapperIZN2at6native12_GLOBAL__N_124unique_dim_cuda_templateIdEESt5tupleIJNSF_6TensorESK_SK_EERKSK_lbbbEUlllE0_EEPmJS9_EEE10hipError_tPvRmT3_T4_T5_T6_T7_T9_mT8_P12ihipStream_tbDpT10_ENKUlT_T0_E_clISt17integral_constantIbLb1EES19_IbLb0EEEEDaS15_S16_EUlS15_E_NS1_11comp_targetILNS1_3genE5ELNS1_11target_archE942ELNS1_3gpuE9ELNS1_3repE0EEENS1_30default_config_static_selectorELNS0_4arch9wavefront6targetE0EEEvT1_,@function
_ZN7rocprim17ROCPRIM_400000_NS6detail17trampoline_kernelINS0_14default_configENS1_25partition_config_selectorILNS1_17partition_subalgoE9EllbEEZZNS1_14partition_implILS5_9ELb0ES3_jPlS8_PNS0_10empty_typeENS0_5tupleIJS8_S9_EEENSB_IJS8_SA_EEENS0_18inequality_wrapperIZN2at6native12_GLOBAL__N_124unique_dim_cuda_templateIdEESt5tupleIJNSF_6TensorESK_SK_EERKSK_lbbbEUlllE0_EEPmJS9_EEE10hipError_tPvRmT3_T4_T5_T6_T7_T9_mT8_P12ihipStream_tbDpT10_ENKUlT_T0_E_clISt17integral_constantIbLb1EES19_IbLb0EEEEDaS15_S16_EUlS15_E_NS1_11comp_targetILNS1_3genE5ELNS1_11target_archE942ELNS1_3gpuE9ELNS1_3repE0EEENS1_30default_config_static_selectorELNS0_4arch9wavefront6targetE0EEEvT1_: ; @_ZN7rocprim17ROCPRIM_400000_NS6detail17trampoline_kernelINS0_14default_configENS1_25partition_config_selectorILNS1_17partition_subalgoE9EllbEEZZNS1_14partition_implILS5_9ELb0ES3_jPlS8_PNS0_10empty_typeENS0_5tupleIJS8_S9_EEENSB_IJS8_SA_EEENS0_18inequality_wrapperIZN2at6native12_GLOBAL__N_124unique_dim_cuda_templateIdEESt5tupleIJNSF_6TensorESK_SK_EERKSK_lbbbEUlllE0_EEPmJS9_EEE10hipError_tPvRmT3_T4_T5_T6_T7_T9_mT8_P12ihipStream_tbDpT10_ENKUlT_T0_E_clISt17integral_constantIbLb1EES19_IbLb0EEEEDaS15_S16_EUlS15_E_NS1_11comp_targetILNS1_3genE5ELNS1_11target_archE942ELNS1_3gpuE9ELNS1_3repE0EEENS1_30default_config_static_selectorELNS0_4arch9wavefront6targetE0EEEvT1_
; %bb.0:
	.section	.rodata,"a",@progbits
	.p2align	6, 0x0
	.amdhsa_kernel _ZN7rocprim17ROCPRIM_400000_NS6detail17trampoline_kernelINS0_14default_configENS1_25partition_config_selectorILNS1_17partition_subalgoE9EllbEEZZNS1_14partition_implILS5_9ELb0ES3_jPlS8_PNS0_10empty_typeENS0_5tupleIJS8_S9_EEENSB_IJS8_SA_EEENS0_18inequality_wrapperIZN2at6native12_GLOBAL__N_124unique_dim_cuda_templateIdEESt5tupleIJNSF_6TensorESK_SK_EERKSK_lbbbEUlllE0_EEPmJS9_EEE10hipError_tPvRmT3_T4_T5_T6_T7_T9_mT8_P12ihipStream_tbDpT10_ENKUlT_T0_E_clISt17integral_constantIbLb1EES19_IbLb0EEEEDaS15_S16_EUlS15_E_NS1_11comp_targetILNS1_3genE5ELNS1_11target_archE942ELNS1_3gpuE9ELNS1_3repE0EEENS1_30default_config_static_selectorELNS0_4arch9wavefront6targetE0EEEvT1_
		.amdhsa_group_segment_fixed_size 0
		.amdhsa_private_segment_fixed_size 0
		.amdhsa_kernarg_size 120
		.amdhsa_user_sgpr_count 2
		.amdhsa_user_sgpr_dispatch_ptr 0
		.amdhsa_user_sgpr_queue_ptr 0
		.amdhsa_user_sgpr_kernarg_segment_ptr 1
		.amdhsa_user_sgpr_dispatch_id 0
		.amdhsa_user_sgpr_kernarg_preload_length 0
		.amdhsa_user_sgpr_kernarg_preload_offset 0
		.amdhsa_user_sgpr_private_segment_size 0
		.amdhsa_wavefront_size32 1
		.amdhsa_uses_dynamic_stack 0
		.amdhsa_enable_private_segment 0
		.amdhsa_system_sgpr_workgroup_id_x 1
		.amdhsa_system_sgpr_workgroup_id_y 0
		.amdhsa_system_sgpr_workgroup_id_z 0
		.amdhsa_system_sgpr_workgroup_info 0
		.amdhsa_system_vgpr_workitem_id 0
		.amdhsa_next_free_vgpr 1
		.amdhsa_next_free_sgpr 1
		.amdhsa_named_barrier_count 0
		.amdhsa_reserve_vcc 0
		.amdhsa_float_round_mode_32 0
		.amdhsa_float_round_mode_16_64 0
		.amdhsa_float_denorm_mode_32 3
		.amdhsa_float_denorm_mode_16_64 3
		.amdhsa_fp16_overflow 0
		.amdhsa_memory_ordered 1
		.amdhsa_forward_progress 1
		.amdhsa_inst_pref_size 0
		.amdhsa_round_robin_scheduling 0
		.amdhsa_exception_fp_ieee_invalid_op 0
		.amdhsa_exception_fp_denorm_src 0
		.amdhsa_exception_fp_ieee_div_zero 0
		.amdhsa_exception_fp_ieee_overflow 0
		.amdhsa_exception_fp_ieee_underflow 0
		.amdhsa_exception_fp_ieee_inexact 0
		.amdhsa_exception_int_div_zero 0
	.end_amdhsa_kernel
	.section	.text._ZN7rocprim17ROCPRIM_400000_NS6detail17trampoline_kernelINS0_14default_configENS1_25partition_config_selectorILNS1_17partition_subalgoE9EllbEEZZNS1_14partition_implILS5_9ELb0ES3_jPlS8_PNS0_10empty_typeENS0_5tupleIJS8_S9_EEENSB_IJS8_SA_EEENS0_18inequality_wrapperIZN2at6native12_GLOBAL__N_124unique_dim_cuda_templateIdEESt5tupleIJNSF_6TensorESK_SK_EERKSK_lbbbEUlllE0_EEPmJS9_EEE10hipError_tPvRmT3_T4_T5_T6_T7_T9_mT8_P12ihipStream_tbDpT10_ENKUlT_T0_E_clISt17integral_constantIbLb1EES19_IbLb0EEEEDaS15_S16_EUlS15_E_NS1_11comp_targetILNS1_3genE5ELNS1_11target_archE942ELNS1_3gpuE9ELNS1_3repE0EEENS1_30default_config_static_selectorELNS0_4arch9wavefront6targetE0EEEvT1_,"axG",@progbits,_ZN7rocprim17ROCPRIM_400000_NS6detail17trampoline_kernelINS0_14default_configENS1_25partition_config_selectorILNS1_17partition_subalgoE9EllbEEZZNS1_14partition_implILS5_9ELb0ES3_jPlS8_PNS0_10empty_typeENS0_5tupleIJS8_S9_EEENSB_IJS8_SA_EEENS0_18inequality_wrapperIZN2at6native12_GLOBAL__N_124unique_dim_cuda_templateIdEESt5tupleIJNSF_6TensorESK_SK_EERKSK_lbbbEUlllE0_EEPmJS9_EEE10hipError_tPvRmT3_T4_T5_T6_T7_T9_mT8_P12ihipStream_tbDpT10_ENKUlT_T0_E_clISt17integral_constantIbLb1EES19_IbLb0EEEEDaS15_S16_EUlS15_E_NS1_11comp_targetILNS1_3genE5ELNS1_11target_archE942ELNS1_3gpuE9ELNS1_3repE0EEENS1_30default_config_static_selectorELNS0_4arch9wavefront6targetE0EEEvT1_,comdat
.Lfunc_end856:
	.size	_ZN7rocprim17ROCPRIM_400000_NS6detail17trampoline_kernelINS0_14default_configENS1_25partition_config_selectorILNS1_17partition_subalgoE9EllbEEZZNS1_14partition_implILS5_9ELb0ES3_jPlS8_PNS0_10empty_typeENS0_5tupleIJS8_S9_EEENSB_IJS8_SA_EEENS0_18inequality_wrapperIZN2at6native12_GLOBAL__N_124unique_dim_cuda_templateIdEESt5tupleIJNSF_6TensorESK_SK_EERKSK_lbbbEUlllE0_EEPmJS9_EEE10hipError_tPvRmT3_T4_T5_T6_T7_T9_mT8_P12ihipStream_tbDpT10_ENKUlT_T0_E_clISt17integral_constantIbLb1EES19_IbLb0EEEEDaS15_S16_EUlS15_E_NS1_11comp_targetILNS1_3genE5ELNS1_11target_archE942ELNS1_3gpuE9ELNS1_3repE0EEENS1_30default_config_static_selectorELNS0_4arch9wavefront6targetE0EEEvT1_, .Lfunc_end856-_ZN7rocprim17ROCPRIM_400000_NS6detail17trampoline_kernelINS0_14default_configENS1_25partition_config_selectorILNS1_17partition_subalgoE9EllbEEZZNS1_14partition_implILS5_9ELb0ES3_jPlS8_PNS0_10empty_typeENS0_5tupleIJS8_S9_EEENSB_IJS8_SA_EEENS0_18inequality_wrapperIZN2at6native12_GLOBAL__N_124unique_dim_cuda_templateIdEESt5tupleIJNSF_6TensorESK_SK_EERKSK_lbbbEUlllE0_EEPmJS9_EEE10hipError_tPvRmT3_T4_T5_T6_T7_T9_mT8_P12ihipStream_tbDpT10_ENKUlT_T0_E_clISt17integral_constantIbLb1EES19_IbLb0EEEEDaS15_S16_EUlS15_E_NS1_11comp_targetILNS1_3genE5ELNS1_11target_archE942ELNS1_3gpuE9ELNS1_3repE0EEENS1_30default_config_static_selectorELNS0_4arch9wavefront6targetE0EEEvT1_
                                        ; -- End function
	.set _ZN7rocprim17ROCPRIM_400000_NS6detail17trampoline_kernelINS0_14default_configENS1_25partition_config_selectorILNS1_17partition_subalgoE9EllbEEZZNS1_14partition_implILS5_9ELb0ES3_jPlS8_PNS0_10empty_typeENS0_5tupleIJS8_S9_EEENSB_IJS8_SA_EEENS0_18inequality_wrapperIZN2at6native12_GLOBAL__N_124unique_dim_cuda_templateIdEESt5tupleIJNSF_6TensorESK_SK_EERKSK_lbbbEUlllE0_EEPmJS9_EEE10hipError_tPvRmT3_T4_T5_T6_T7_T9_mT8_P12ihipStream_tbDpT10_ENKUlT_T0_E_clISt17integral_constantIbLb1EES19_IbLb0EEEEDaS15_S16_EUlS15_E_NS1_11comp_targetILNS1_3genE5ELNS1_11target_archE942ELNS1_3gpuE9ELNS1_3repE0EEENS1_30default_config_static_selectorELNS0_4arch9wavefront6targetE0EEEvT1_.num_vgpr, 0
	.set _ZN7rocprim17ROCPRIM_400000_NS6detail17trampoline_kernelINS0_14default_configENS1_25partition_config_selectorILNS1_17partition_subalgoE9EllbEEZZNS1_14partition_implILS5_9ELb0ES3_jPlS8_PNS0_10empty_typeENS0_5tupleIJS8_S9_EEENSB_IJS8_SA_EEENS0_18inequality_wrapperIZN2at6native12_GLOBAL__N_124unique_dim_cuda_templateIdEESt5tupleIJNSF_6TensorESK_SK_EERKSK_lbbbEUlllE0_EEPmJS9_EEE10hipError_tPvRmT3_T4_T5_T6_T7_T9_mT8_P12ihipStream_tbDpT10_ENKUlT_T0_E_clISt17integral_constantIbLb1EES19_IbLb0EEEEDaS15_S16_EUlS15_E_NS1_11comp_targetILNS1_3genE5ELNS1_11target_archE942ELNS1_3gpuE9ELNS1_3repE0EEENS1_30default_config_static_selectorELNS0_4arch9wavefront6targetE0EEEvT1_.num_agpr, 0
	.set _ZN7rocprim17ROCPRIM_400000_NS6detail17trampoline_kernelINS0_14default_configENS1_25partition_config_selectorILNS1_17partition_subalgoE9EllbEEZZNS1_14partition_implILS5_9ELb0ES3_jPlS8_PNS0_10empty_typeENS0_5tupleIJS8_S9_EEENSB_IJS8_SA_EEENS0_18inequality_wrapperIZN2at6native12_GLOBAL__N_124unique_dim_cuda_templateIdEESt5tupleIJNSF_6TensorESK_SK_EERKSK_lbbbEUlllE0_EEPmJS9_EEE10hipError_tPvRmT3_T4_T5_T6_T7_T9_mT8_P12ihipStream_tbDpT10_ENKUlT_T0_E_clISt17integral_constantIbLb1EES19_IbLb0EEEEDaS15_S16_EUlS15_E_NS1_11comp_targetILNS1_3genE5ELNS1_11target_archE942ELNS1_3gpuE9ELNS1_3repE0EEENS1_30default_config_static_selectorELNS0_4arch9wavefront6targetE0EEEvT1_.numbered_sgpr, 0
	.set _ZN7rocprim17ROCPRIM_400000_NS6detail17trampoline_kernelINS0_14default_configENS1_25partition_config_selectorILNS1_17partition_subalgoE9EllbEEZZNS1_14partition_implILS5_9ELb0ES3_jPlS8_PNS0_10empty_typeENS0_5tupleIJS8_S9_EEENSB_IJS8_SA_EEENS0_18inequality_wrapperIZN2at6native12_GLOBAL__N_124unique_dim_cuda_templateIdEESt5tupleIJNSF_6TensorESK_SK_EERKSK_lbbbEUlllE0_EEPmJS9_EEE10hipError_tPvRmT3_T4_T5_T6_T7_T9_mT8_P12ihipStream_tbDpT10_ENKUlT_T0_E_clISt17integral_constantIbLb1EES19_IbLb0EEEEDaS15_S16_EUlS15_E_NS1_11comp_targetILNS1_3genE5ELNS1_11target_archE942ELNS1_3gpuE9ELNS1_3repE0EEENS1_30default_config_static_selectorELNS0_4arch9wavefront6targetE0EEEvT1_.num_named_barrier, 0
	.set _ZN7rocprim17ROCPRIM_400000_NS6detail17trampoline_kernelINS0_14default_configENS1_25partition_config_selectorILNS1_17partition_subalgoE9EllbEEZZNS1_14partition_implILS5_9ELb0ES3_jPlS8_PNS0_10empty_typeENS0_5tupleIJS8_S9_EEENSB_IJS8_SA_EEENS0_18inequality_wrapperIZN2at6native12_GLOBAL__N_124unique_dim_cuda_templateIdEESt5tupleIJNSF_6TensorESK_SK_EERKSK_lbbbEUlllE0_EEPmJS9_EEE10hipError_tPvRmT3_T4_T5_T6_T7_T9_mT8_P12ihipStream_tbDpT10_ENKUlT_T0_E_clISt17integral_constantIbLb1EES19_IbLb0EEEEDaS15_S16_EUlS15_E_NS1_11comp_targetILNS1_3genE5ELNS1_11target_archE942ELNS1_3gpuE9ELNS1_3repE0EEENS1_30default_config_static_selectorELNS0_4arch9wavefront6targetE0EEEvT1_.private_seg_size, 0
	.set _ZN7rocprim17ROCPRIM_400000_NS6detail17trampoline_kernelINS0_14default_configENS1_25partition_config_selectorILNS1_17partition_subalgoE9EllbEEZZNS1_14partition_implILS5_9ELb0ES3_jPlS8_PNS0_10empty_typeENS0_5tupleIJS8_S9_EEENSB_IJS8_SA_EEENS0_18inequality_wrapperIZN2at6native12_GLOBAL__N_124unique_dim_cuda_templateIdEESt5tupleIJNSF_6TensorESK_SK_EERKSK_lbbbEUlllE0_EEPmJS9_EEE10hipError_tPvRmT3_T4_T5_T6_T7_T9_mT8_P12ihipStream_tbDpT10_ENKUlT_T0_E_clISt17integral_constantIbLb1EES19_IbLb0EEEEDaS15_S16_EUlS15_E_NS1_11comp_targetILNS1_3genE5ELNS1_11target_archE942ELNS1_3gpuE9ELNS1_3repE0EEENS1_30default_config_static_selectorELNS0_4arch9wavefront6targetE0EEEvT1_.uses_vcc, 0
	.set _ZN7rocprim17ROCPRIM_400000_NS6detail17trampoline_kernelINS0_14default_configENS1_25partition_config_selectorILNS1_17partition_subalgoE9EllbEEZZNS1_14partition_implILS5_9ELb0ES3_jPlS8_PNS0_10empty_typeENS0_5tupleIJS8_S9_EEENSB_IJS8_SA_EEENS0_18inequality_wrapperIZN2at6native12_GLOBAL__N_124unique_dim_cuda_templateIdEESt5tupleIJNSF_6TensorESK_SK_EERKSK_lbbbEUlllE0_EEPmJS9_EEE10hipError_tPvRmT3_T4_T5_T6_T7_T9_mT8_P12ihipStream_tbDpT10_ENKUlT_T0_E_clISt17integral_constantIbLb1EES19_IbLb0EEEEDaS15_S16_EUlS15_E_NS1_11comp_targetILNS1_3genE5ELNS1_11target_archE942ELNS1_3gpuE9ELNS1_3repE0EEENS1_30default_config_static_selectorELNS0_4arch9wavefront6targetE0EEEvT1_.uses_flat_scratch, 0
	.set _ZN7rocprim17ROCPRIM_400000_NS6detail17trampoline_kernelINS0_14default_configENS1_25partition_config_selectorILNS1_17partition_subalgoE9EllbEEZZNS1_14partition_implILS5_9ELb0ES3_jPlS8_PNS0_10empty_typeENS0_5tupleIJS8_S9_EEENSB_IJS8_SA_EEENS0_18inequality_wrapperIZN2at6native12_GLOBAL__N_124unique_dim_cuda_templateIdEESt5tupleIJNSF_6TensorESK_SK_EERKSK_lbbbEUlllE0_EEPmJS9_EEE10hipError_tPvRmT3_T4_T5_T6_T7_T9_mT8_P12ihipStream_tbDpT10_ENKUlT_T0_E_clISt17integral_constantIbLb1EES19_IbLb0EEEEDaS15_S16_EUlS15_E_NS1_11comp_targetILNS1_3genE5ELNS1_11target_archE942ELNS1_3gpuE9ELNS1_3repE0EEENS1_30default_config_static_selectorELNS0_4arch9wavefront6targetE0EEEvT1_.has_dyn_sized_stack, 0
	.set _ZN7rocprim17ROCPRIM_400000_NS6detail17trampoline_kernelINS0_14default_configENS1_25partition_config_selectorILNS1_17partition_subalgoE9EllbEEZZNS1_14partition_implILS5_9ELb0ES3_jPlS8_PNS0_10empty_typeENS0_5tupleIJS8_S9_EEENSB_IJS8_SA_EEENS0_18inequality_wrapperIZN2at6native12_GLOBAL__N_124unique_dim_cuda_templateIdEESt5tupleIJNSF_6TensorESK_SK_EERKSK_lbbbEUlllE0_EEPmJS9_EEE10hipError_tPvRmT3_T4_T5_T6_T7_T9_mT8_P12ihipStream_tbDpT10_ENKUlT_T0_E_clISt17integral_constantIbLb1EES19_IbLb0EEEEDaS15_S16_EUlS15_E_NS1_11comp_targetILNS1_3genE5ELNS1_11target_archE942ELNS1_3gpuE9ELNS1_3repE0EEENS1_30default_config_static_selectorELNS0_4arch9wavefront6targetE0EEEvT1_.has_recursion, 0
	.set _ZN7rocprim17ROCPRIM_400000_NS6detail17trampoline_kernelINS0_14default_configENS1_25partition_config_selectorILNS1_17partition_subalgoE9EllbEEZZNS1_14partition_implILS5_9ELb0ES3_jPlS8_PNS0_10empty_typeENS0_5tupleIJS8_S9_EEENSB_IJS8_SA_EEENS0_18inequality_wrapperIZN2at6native12_GLOBAL__N_124unique_dim_cuda_templateIdEESt5tupleIJNSF_6TensorESK_SK_EERKSK_lbbbEUlllE0_EEPmJS9_EEE10hipError_tPvRmT3_T4_T5_T6_T7_T9_mT8_P12ihipStream_tbDpT10_ENKUlT_T0_E_clISt17integral_constantIbLb1EES19_IbLb0EEEEDaS15_S16_EUlS15_E_NS1_11comp_targetILNS1_3genE5ELNS1_11target_archE942ELNS1_3gpuE9ELNS1_3repE0EEENS1_30default_config_static_selectorELNS0_4arch9wavefront6targetE0EEEvT1_.has_indirect_call, 0
	.section	.AMDGPU.csdata,"",@progbits
; Kernel info:
; codeLenInByte = 0
; TotalNumSgprs: 0
; NumVgprs: 0
; ScratchSize: 0
; MemoryBound: 0
; FloatMode: 240
; IeeeMode: 1
; LDSByteSize: 0 bytes/workgroup (compile time only)
; SGPRBlocks: 0
; VGPRBlocks: 0
; NumSGPRsForWavesPerEU: 1
; NumVGPRsForWavesPerEU: 1
; NamedBarCnt: 0
; Occupancy: 16
; WaveLimiterHint : 0
; COMPUTE_PGM_RSRC2:SCRATCH_EN: 0
; COMPUTE_PGM_RSRC2:USER_SGPR: 2
; COMPUTE_PGM_RSRC2:TRAP_HANDLER: 0
; COMPUTE_PGM_RSRC2:TGID_X_EN: 1
; COMPUTE_PGM_RSRC2:TGID_Y_EN: 0
; COMPUTE_PGM_RSRC2:TGID_Z_EN: 0
; COMPUTE_PGM_RSRC2:TIDIG_COMP_CNT: 0
	.section	.text._ZN7rocprim17ROCPRIM_400000_NS6detail17trampoline_kernelINS0_14default_configENS1_25partition_config_selectorILNS1_17partition_subalgoE9EllbEEZZNS1_14partition_implILS5_9ELb0ES3_jPlS8_PNS0_10empty_typeENS0_5tupleIJS8_S9_EEENSB_IJS8_SA_EEENS0_18inequality_wrapperIZN2at6native12_GLOBAL__N_124unique_dim_cuda_templateIdEESt5tupleIJNSF_6TensorESK_SK_EERKSK_lbbbEUlllE0_EEPmJS9_EEE10hipError_tPvRmT3_T4_T5_T6_T7_T9_mT8_P12ihipStream_tbDpT10_ENKUlT_T0_E_clISt17integral_constantIbLb1EES19_IbLb0EEEEDaS15_S16_EUlS15_E_NS1_11comp_targetILNS1_3genE4ELNS1_11target_archE910ELNS1_3gpuE8ELNS1_3repE0EEENS1_30default_config_static_selectorELNS0_4arch9wavefront6targetE0EEEvT1_,"axG",@progbits,_ZN7rocprim17ROCPRIM_400000_NS6detail17trampoline_kernelINS0_14default_configENS1_25partition_config_selectorILNS1_17partition_subalgoE9EllbEEZZNS1_14partition_implILS5_9ELb0ES3_jPlS8_PNS0_10empty_typeENS0_5tupleIJS8_S9_EEENSB_IJS8_SA_EEENS0_18inequality_wrapperIZN2at6native12_GLOBAL__N_124unique_dim_cuda_templateIdEESt5tupleIJNSF_6TensorESK_SK_EERKSK_lbbbEUlllE0_EEPmJS9_EEE10hipError_tPvRmT3_T4_T5_T6_T7_T9_mT8_P12ihipStream_tbDpT10_ENKUlT_T0_E_clISt17integral_constantIbLb1EES19_IbLb0EEEEDaS15_S16_EUlS15_E_NS1_11comp_targetILNS1_3genE4ELNS1_11target_archE910ELNS1_3gpuE8ELNS1_3repE0EEENS1_30default_config_static_selectorELNS0_4arch9wavefront6targetE0EEEvT1_,comdat
	.globl	_ZN7rocprim17ROCPRIM_400000_NS6detail17trampoline_kernelINS0_14default_configENS1_25partition_config_selectorILNS1_17partition_subalgoE9EllbEEZZNS1_14partition_implILS5_9ELb0ES3_jPlS8_PNS0_10empty_typeENS0_5tupleIJS8_S9_EEENSB_IJS8_SA_EEENS0_18inequality_wrapperIZN2at6native12_GLOBAL__N_124unique_dim_cuda_templateIdEESt5tupleIJNSF_6TensorESK_SK_EERKSK_lbbbEUlllE0_EEPmJS9_EEE10hipError_tPvRmT3_T4_T5_T6_T7_T9_mT8_P12ihipStream_tbDpT10_ENKUlT_T0_E_clISt17integral_constantIbLb1EES19_IbLb0EEEEDaS15_S16_EUlS15_E_NS1_11comp_targetILNS1_3genE4ELNS1_11target_archE910ELNS1_3gpuE8ELNS1_3repE0EEENS1_30default_config_static_selectorELNS0_4arch9wavefront6targetE0EEEvT1_ ; -- Begin function _ZN7rocprim17ROCPRIM_400000_NS6detail17trampoline_kernelINS0_14default_configENS1_25partition_config_selectorILNS1_17partition_subalgoE9EllbEEZZNS1_14partition_implILS5_9ELb0ES3_jPlS8_PNS0_10empty_typeENS0_5tupleIJS8_S9_EEENSB_IJS8_SA_EEENS0_18inequality_wrapperIZN2at6native12_GLOBAL__N_124unique_dim_cuda_templateIdEESt5tupleIJNSF_6TensorESK_SK_EERKSK_lbbbEUlllE0_EEPmJS9_EEE10hipError_tPvRmT3_T4_T5_T6_T7_T9_mT8_P12ihipStream_tbDpT10_ENKUlT_T0_E_clISt17integral_constantIbLb1EES19_IbLb0EEEEDaS15_S16_EUlS15_E_NS1_11comp_targetILNS1_3genE4ELNS1_11target_archE910ELNS1_3gpuE8ELNS1_3repE0EEENS1_30default_config_static_selectorELNS0_4arch9wavefront6targetE0EEEvT1_
	.p2align	8
	.type	_ZN7rocprim17ROCPRIM_400000_NS6detail17trampoline_kernelINS0_14default_configENS1_25partition_config_selectorILNS1_17partition_subalgoE9EllbEEZZNS1_14partition_implILS5_9ELb0ES3_jPlS8_PNS0_10empty_typeENS0_5tupleIJS8_S9_EEENSB_IJS8_SA_EEENS0_18inequality_wrapperIZN2at6native12_GLOBAL__N_124unique_dim_cuda_templateIdEESt5tupleIJNSF_6TensorESK_SK_EERKSK_lbbbEUlllE0_EEPmJS9_EEE10hipError_tPvRmT3_T4_T5_T6_T7_T9_mT8_P12ihipStream_tbDpT10_ENKUlT_T0_E_clISt17integral_constantIbLb1EES19_IbLb0EEEEDaS15_S16_EUlS15_E_NS1_11comp_targetILNS1_3genE4ELNS1_11target_archE910ELNS1_3gpuE8ELNS1_3repE0EEENS1_30default_config_static_selectorELNS0_4arch9wavefront6targetE0EEEvT1_,@function
_ZN7rocprim17ROCPRIM_400000_NS6detail17trampoline_kernelINS0_14default_configENS1_25partition_config_selectorILNS1_17partition_subalgoE9EllbEEZZNS1_14partition_implILS5_9ELb0ES3_jPlS8_PNS0_10empty_typeENS0_5tupleIJS8_S9_EEENSB_IJS8_SA_EEENS0_18inequality_wrapperIZN2at6native12_GLOBAL__N_124unique_dim_cuda_templateIdEESt5tupleIJNSF_6TensorESK_SK_EERKSK_lbbbEUlllE0_EEPmJS9_EEE10hipError_tPvRmT3_T4_T5_T6_T7_T9_mT8_P12ihipStream_tbDpT10_ENKUlT_T0_E_clISt17integral_constantIbLb1EES19_IbLb0EEEEDaS15_S16_EUlS15_E_NS1_11comp_targetILNS1_3genE4ELNS1_11target_archE910ELNS1_3gpuE8ELNS1_3repE0EEENS1_30default_config_static_selectorELNS0_4arch9wavefront6targetE0EEEvT1_: ; @_ZN7rocprim17ROCPRIM_400000_NS6detail17trampoline_kernelINS0_14default_configENS1_25partition_config_selectorILNS1_17partition_subalgoE9EllbEEZZNS1_14partition_implILS5_9ELb0ES3_jPlS8_PNS0_10empty_typeENS0_5tupleIJS8_S9_EEENSB_IJS8_SA_EEENS0_18inequality_wrapperIZN2at6native12_GLOBAL__N_124unique_dim_cuda_templateIdEESt5tupleIJNSF_6TensorESK_SK_EERKSK_lbbbEUlllE0_EEPmJS9_EEE10hipError_tPvRmT3_T4_T5_T6_T7_T9_mT8_P12ihipStream_tbDpT10_ENKUlT_T0_E_clISt17integral_constantIbLb1EES19_IbLb0EEEEDaS15_S16_EUlS15_E_NS1_11comp_targetILNS1_3genE4ELNS1_11target_archE910ELNS1_3gpuE8ELNS1_3repE0EEENS1_30default_config_static_selectorELNS0_4arch9wavefront6targetE0EEEvT1_
; %bb.0:
	.section	.rodata,"a",@progbits
	.p2align	6, 0x0
	.amdhsa_kernel _ZN7rocprim17ROCPRIM_400000_NS6detail17trampoline_kernelINS0_14default_configENS1_25partition_config_selectorILNS1_17partition_subalgoE9EllbEEZZNS1_14partition_implILS5_9ELb0ES3_jPlS8_PNS0_10empty_typeENS0_5tupleIJS8_S9_EEENSB_IJS8_SA_EEENS0_18inequality_wrapperIZN2at6native12_GLOBAL__N_124unique_dim_cuda_templateIdEESt5tupleIJNSF_6TensorESK_SK_EERKSK_lbbbEUlllE0_EEPmJS9_EEE10hipError_tPvRmT3_T4_T5_T6_T7_T9_mT8_P12ihipStream_tbDpT10_ENKUlT_T0_E_clISt17integral_constantIbLb1EES19_IbLb0EEEEDaS15_S16_EUlS15_E_NS1_11comp_targetILNS1_3genE4ELNS1_11target_archE910ELNS1_3gpuE8ELNS1_3repE0EEENS1_30default_config_static_selectorELNS0_4arch9wavefront6targetE0EEEvT1_
		.amdhsa_group_segment_fixed_size 0
		.amdhsa_private_segment_fixed_size 0
		.amdhsa_kernarg_size 120
		.amdhsa_user_sgpr_count 2
		.amdhsa_user_sgpr_dispatch_ptr 0
		.amdhsa_user_sgpr_queue_ptr 0
		.amdhsa_user_sgpr_kernarg_segment_ptr 1
		.amdhsa_user_sgpr_dispatch_id 0
		.amdhsa_user_sgpr_kernarg_preload_length 0
		.amdhsa_user_sgpr_kernarg_preload_offset 0
		.amdhsa_user_sgpr_private_segment_size 0
		.amdhsa_wavefront_size32 1
		.amdhsa_uses_dynamic_stack 0
		.amdhsa_enable_private_segment 0
		.amdhsa_system_sgpr_workgroup_id_x 1
		.amdhsa_system_sgpr_workgroup_id_y 0
		.amdhsa_system_sgpr_workgroup_id_z 0
		.amdhsa_system_sgpr_workgroup_info 0
		.amdhsa_system_vgpr_workitem_id 0
		.amdhsa_next_free_vgpr 1
		.amdhsa_next_free_sgpr 1
		.amdhsa_named_barrier_count 0
		.amdhsa_reserve_vcc 0
		.amdhsa_float_round_mode_32 0
		.amdhsa_float_round_mode_16_64 0
		.amdhsa_float_denorm_mode_32 3
		.amdhsa_float_denorm_mode_16_64 3
		.amdhsa_fp16_overflow 0
		.amdhsa_memory_ordered 1
		.amdhsa_forward_progress 1
		.amdhsa_inst_pref_size 0
		.amdhsa_round_robin_scheduling 0
		.amdhsa_exception_fp_ieee_invalid_op 0
		.amdhsa_exception_fp_denorm_src 0
		.amdhsa_exception_fp_ieee_div_zero 0
		.amdhsa_exception_fp_ieee_overflow 0
		.amdhsa_exception_fp_ieee_underflow 0
		.amdhsa_exception_fp_ieee_inexact 0
		.amdhsa_exception_int_div_zero 0
	.end_amdhsa_kernel
	.section	.text._ZN7rocprim17ROCPRIM_400000_NS6detail17trampoline_kernelINS0_14default_configENS1_25partition_config_selectorILNS1_17partition_subalgoE9EllbEEZZNS1_14partition_implILS5_9ELb0ES3_jPlS8_PNS0_10empty_typeENS0_5tupleIJS8_S9_EEENSB_IJS8_SA_EEENS0_18inequality_wrapperIZN2at6native12_GLOBAL__N_124unique_dim_cuda_templateIdEESt5tupleIJNSF_6TensorESK_SK_EERKSK_lbbbEUlllE0_EEPmJS9_EEE10hipError_tPvRmT3_T4_T5_T6_T7_T9_mT8_P12ihipStream_tbDpT10_ENKUlT_T0_E_clISt17integral_constantIbLb1EES19_IbLb0EEEEDaS15_S16_EUlS15_E_NS1_11comp_targetILNS1_3genE4ELNS1_11target_archE910ELNS1_3gpuE8ELNS1_3repE0EEENS1_30default_config_static_selectorELNS0_4arch9wavefront6targetE0EEEvT1_,"axG",@progbits,_ZN7rocprim17ROCPRIM_400000_NS6detail17trampoline_kernelINS0_14default_configENS1_25partition_config_selectorILNS1_17partition_subalgoE9EllbEEZZNS1_14partition_implILS5_9ELb0ES3_jPlS8_PNS0_10empty_typeENS0_5tupleIJS8_S9_EEENSB_IJS8_SA_EEENS0_18inequality_wrapperIZN2at6native12_GLOBAL__N_124unique_dim_cuda_templateIdEESt5tupleIJNSF_6TensorESK_SK_EERKSK_lbbbEUlllE0_EEPmJS9_EEE10hipError_tPvRmT3_T4_T5_T6_T7_T9_mT8_P12ihipStream_tbDpT10_ENKUlT_T0_E_clISt17integral_constantIbLb1EES19_IbLb0EEEEDaS15_S16_EUlS15_E_NS1_11comp_targetILNS1_3genE4ELNS1_11target_archE910ELNS1_3gpuE8ELNS1_3repE0EEENS1_30default_config_static_selectorELNS0_4arch9wavefront6targetE0EEEvT1_,comdat
.Lfunc_end857:
	.size	_ZN7rocprim17ROCPRIM_400000_NS6detail17trampoline_kernelINS0_14default_configENS1_25partition_config_selectorILNS1_17partition_subalgoE9EllbEEZZNS1_14partition_implILS5_9ELb0ES3_jPlS8_PNS0_10empty_typeENS0_5tupleIJS8_S9_EEENSB_IJS8_SA_EEENS0_18inequality_wrapperIZN2at6native12_GLOBAL__N_124unique_dim_cuda_templateIdEESt5tupleIJNSF_6TensorESK_SK_EERKSK_lbbbEUlllE0_EEPmJS9_EEE10hipError_tPvRmT3_T4_T5_T6_T7_T9_mT8_P12ihipStream_tbDpT10_ENKUlT_T0_E_clISt17integral_constantIbLb1EES19_IbLb0EEEEDaS15_S16_EUlS15_E_NS1_11comp_targetILNS1_3genE4ELNS1_11target_archE910ELNS1_3gpuE8ELNS1_3repE0EEENS1_30default_config_static_selectorELNS0_4arch9wavefront6targetE0EEEvT1_, .Lfunc_end857-_ZN7rocprim17ROCPRIM_400000_NS6detail17trampoline_kernelINS0_14default_configENS1_25partition_config_selectorILNS1_17partition_subalgoE9EllbEEZZNS1_14partition_implILS5_9ELb0ES3_jPlS8_PNS0_10empty_typeENS0_5tupleIJS8_S9_EEENSB_IJS8_SA_EEENS0_18inequality_wrapperIZN2at6native12_GLOBAL__N_124unique_dim_cuda_templateIdEESt5tupleIJNSF_6TensorESK_SK_EERKSK_lbbbEUlllE0_EEPmJS9_EEE10hipError_tPvRmT3_T4_T5_T6_T7_T9_mT8_P12ihipStream_tbDpT10_ENKUlT_T0_E_clISt17integral_constantIbLb1EES19_IbLb0EEEEDaS15_S16_EUlS15_E_NS1_11comp_targetILNS1_3genE4ELNS1_11target_archE910ELNS1_3gpuE8ELNS1_3repE0EEENS1_30default_config_static_selectorELNS0_4arch9wavefront6targetE0EEEvT1_
                                        ; -- End function
	.set _ZN7rocprim17ROCPRIM_400000_NS6detail17trampoline_kernelINS0_14default_configENS1_25partition_config_selectorILNS1_17partition_subalgoE9EllbEEZZNS1_14partition_implILS5_9ELb0ES3_jPlS8_PNS0_10empty_typeENS0_5tupleIJS8_S9_EEENSB_IJS8_SA_EEENS0_18inequality_wrapperIZN2at6native12_GLOBAL__N_124unique_dim_cuda_templateIdEESt5tupleIJNSF_6TensorESK_SK_EERKSK_lbbbEUlllE0_EEPmJS9_EEE10hipError_tPvRmT3_T4_T5_T6_T7_T9_mT8_P12ihipStream_tbDpT10_ENKUlT_T0_E_clISt17integral_constantIbLb1EES19_IbLb0EEEEDaS15_S16_EUlS15_E_NS1_11comp_targetILNS1_3genE4ELNS1_11target_archE910ELNS1_3gpuE8ELNS1_3repE0EEENS1_30default_config_static_selectorELNS0_4arch9wavefront6targetE0EEEvT1_.num_vgpr, 0
	.set _ZN7rocprim17ROCPRIM_400000_NS6detail17trampoline_kernelINS0_14default_configENS1_25partition_config_selectorILNS1_17partition_subalgoE9EllbEEZZNS1_14partition_implILS5_9ELb0ES3_jPlS8_PNS0_10empty_typeENS0_5tupleIJS8_S9_EEENSB_IJS8_SA_EEENS0_18inequality_wrapperIZN2at6native12_GLOBAL__N_124unique_dim_cuda_templateIdEESt5tupleIJNSF_6TensorESK_SK_EERKSK_lbbbEUlllE0_EEPmJS9_EEE10hipError_tPvRmT3_T4_T5_T6_T7_T9_mT8_P12ihipStream_tbDpT10_ENKUlT_T0_E_clISt17integral_constantIbLb1EES19_IbLb0EEEEDaS15_S16_EUlS15_E_NS1_11comp_targetILNS1_3genE4ELNS1_11target_archE910ELNS1_3gpuE8ELNS1_3repE0EEENS1_30default_config_static_selectorELNS0_4arch9wavefront6targetE0EEEvT1_.num_agpr, 0
	.set _ZN7rocprim17ROCPRIM_400000_NS6detail17trampoline_kernelINS0_14default_configENS1_25partition_config_selectorILNS1_17partition_subalgoE9EllbEEZZNS1_14partition_implILS5_9ELb0ES3_jPlS8_PNS0_10empty_typeENS0_5tupleIJS8_S9_EEENSB_IJS8_SA_EEENS0_18inequality_wrapperIZN2at6native12_GLOBAL__N_124unique_dim_cuda_templateIdEESt5tupleIJNSF_6TensorESK_SK_EERKSK_lbbbEUlllE0_EEPmJS9_EEE10hipError_tPvRmT3_T4_T5_T6_T7_T9_mT8_P12ihipStream_tbDpT10_ENKUlT_T0_E_clISt17integral_constantIbLb1EES19_IbLb0EEEEDaS15_S16_EUlS15_E_NS1_11comp_targetILNS1_3genE4ELNS1_11target_archE910ELNS1_3gpuE8ELNS1_3repE0EEENS1_30default_config_static_selectorELNS0_4arch9wavefront6targetE0EEEvT1_.numbered_sgpr, 0
	.set _ZN7rocprim17ROCPRIM_400000_NS6detail17trampoline_kernelINS0_14default_configENS1_25partition_config_selectorILNS1_17partition_subalgoE9EllbEEZZNS1_14partition_implILS5_9ELb0ES3_jPlS8_PNS0_10empty_typeENS0_5tupleIJS8_S9_EEENSB_IJS8_SA_EEENS0_18inequality_wrapperIZN2at6native12_GLOBAL__N_124unique_dim_cuda_templateIdEESt5tupleIJNSF_6TensorESK_SK_EERKSK_lbbbEUlllE0_EEPmJS9_EEE10hipError_tPvRmT3_T4_T5_T6_T7_T9_mT8_P12ihipStream_tbDpT10_ENKUlT_T0_E_clISt17integral_constantIbLb1EES19_IbLb0EEEEDaS15_S16_EUlS15_E_NS1_11comp_targetILNS1_3genE4ELNS1_11target_archE910ELNS1_3gpuE8ELNS1_3repE0EEENS1_30default_config_static_selectorELNS0_4arch9wavefront6targetE0EEEvT1_.num_named_barrier, 0
	.set _ZN7rocprim17ROCPRIM_400000_NS6detail17trampoline_kernelINS0_14default_configENS1_25partition_config_selectorILNS1_17partition_subalgoE9EllbEEZZNS1_14partition_implILS5_9ELb0ES3_jPlS8_PNS0_10empty_typeENS0_5tupleIJS8_S9_EEENSB_IJS8_SA_EEENS0_18inequality_wrapperIZN2at6native12_GLOBAL__N_124unique_dim_cuda_templateIdEESt5tupleIJNSF_6TensorESK_SK_EERKSK_lbbbEUlllE0_EEPmJS9_EEE10hipError_tPvRmT3_T4_T5_T6_T7_T9_mT8_P12ihipStream_tbDpT10_ENKUlT_T0_E_clISt17integral_constantIbLb1EES19_IbLb0EEEEDaS15_S16_EUlS15_E_NS1_11comp_targetILNS1_3genE4ELNS1_11target_archE910ELNS1_3gpuE8ELNS1_3repE0EEENS1_30default_config_static_selectorELNS0_4arch9wavefront6targetE0EEEvT1_.private_seg_size, 0
	.set _ZN7rocprim17ROCPRIM_400000_NS6detail17trampoline_kernelINS0_14default_configENS1_25partition_config_selectorILNS1_17partition_subalgoE9EllbEEZZNS1_14partition_implILS5_9ELb0ES3_jPlS8_PNS0_10empty_typeENS0_5tupleIJS8_S9_EEENSB_IJS8_SA_EEENS0_18inequality_wrapperIZN2at6native12_GLOBAL__N_124unique_dim_cuda_templateIdEESt5tupleIJNSF_6TensorESK_SK_EERKSK_lbbbEUlllE0_EEPmJS9_EEE10hipError_tPvRmT3_T4_T5_T6_T7_T9_mT8_P12ihipStream_tbDpT10_ENKUlT_T0_E_clISt17integral_constantIbLb1EES19_IbLb0EEEEDaS15_S16_EUlS15_E_NS1_11comp_targetILNS1_3genE4ELNS1_11target_archE910ELNS1_3gpuE8ELNS1_3repE0EEENS1_30default_config_static_selectorELNS0_4arch9wavefront6targetE0EEEvT1_.uses_vcc, 0
	.set _ZN7rocprim17ROCPRIM_400000_NS6detail17trampoline_kernelINS0_14default_configENS1_25partition_config_selectorILNS1_17partition_subalgoE9EllbEEZZNS1_14partition_implILS5_9ELb0ES3_jPlS8_PNS0_10empty_typeENS0_5tupleIJS8_S9_EEENSB_IJS8_SA_EEENS0_18inequality_wrapperIZN2at6native12_GLOBAL__N_124unique_dim_cuda_templateIdEESt5tupleIJNSF_6TensorESK_SK_EERKSK_lbbbEUlllE0_EEPmJS9_EEE10hipError_tPvRmT3_T4_T5_T6_T7_T9_mT8_P12ihipStream_tbDpT10_ENKUlT_T0_E_clISt17integral_constantIbLb1EES19_IbLb0EEEEDaS15_S16_EUlS15_E_NS1_11comp_targetILNS1_3genE4ELNS1_11target_archE910ELNS1_3gpuE8ELNS1_3repE0EEENS1_30default_config_static_selectorELNS0_4arch9wavefront6targetE0EEEvT1_.uses_flat_scratch, 0
	.set _ZN7rocprim17ROCPRIM_400000_NS6detail17trampoline_kernelINS0_14default_configENS1_25partition_config_selectorILNS1_17partition_subalgoE9EllbEEZZNS1_14partition_implILS5_9ELb0ES3_jPlS8_PNS0_10empty_typeENS0_5tupleIJS8_S9_EEENSB_IJS8_SA_EEENS0_18inequality_wrapperIZN2at6native12_GLOBAL__N_124unique_dim_cuda_templateIdEESt5tupleIJNSF_6TensorESK_SK_EERKSK_lbbbEUlllE0_EEPmJS9_EEE10hipError_tPvRmT3_T4_T5_T6_T7_T9_mT8_P12ihipStream_tbDpT10_ENKUlT_T0_E_clISt17integral_constantIbLb1EES19_IbLb0EEEEDaS15_S16_EUlS15_E_NS1_11comp_targetILNS1_3genE4ELNS1_11target_archE910ELNS1_3gpuE8ELNS1_3repE0EEENS1_30default_config_static_selectorELNS0_4arch9wavefront6targetE0EEEvT1_.has_dyn_sized_stack, 0
	.set _ZN7rocprim17ROCPRIM_400000_NS6detail17trampoline_kernelINS0_14default_configENS1_25partition_config_selectorILNS1_17partition_subalgoE9EllbEEZZNS1_14partition_implILS5_9ELb0ES3_jPlS8_PNS0_10empty_typeENS0_5tupleIJS8_S9_EEENSB_IJS8_SA_EEENS0_18inequality_wrapperIZN2at6native12_GLOBAL__N_124unique_dim_cuda_templateIdEESt5tupleIJNSF_6TensorESK_SK_EERKSK_lbbbEUlllE0_EEPmJS9_EEE10hipError_tPvRmT3_T4_T5_T6_T7_T9_mT8_P12ihipStream_tbDpT10_ENKUlT_T0_E_clISt17integral_constantIbLb1EES19_IbLb0EEEEDaS15_S16_EUlS15_E_NS1_11comp_targetILNS1_3genE4ELNS1_11target_archE910ELNS1_3gpuE8ELNS1_3repE0EEENS1_30default_config_static_selectorELNS0_4arch9wavefront6targetE0EEEvT1_.has_recursion, 0
	.set _ZN7rocprim17ROCPRIM_400000_NS6detail17trampoline_kernelINS0_14default_configENS1_25partition_config_selectorILNS1_17partition_subalgoE9EllbEEZZNS1_14partition_implILS5_9ELb0ES3_jPlS8_PNS0_10empty_typeENS0_5tupleIJS8_S9_EEENSB_IJS8_SA_EEENS0_18inequality_wrapperIZN2at6native12_GLOBAL__N_124unique_dim_cuda_templateIdEESt5tupleIJNSF_6TensorESK_SK_EERKSK_lbbbEUlllE0_EEPmJS9_EEE10hipError_tPvRmT3_T4_T5_T6_T7_T9_mT8_P12ihipStream_tbDpT10_ENKUlT_T0_E_clISt17integral_constantIbLb1EES19_IbLb0EEEEDaS15_S16_EUlS15_E_NS1_11comp_targetILNS1_3genE4ELNS1_11target_archE910ELNS1_3gpuE8ELNS1_3repE0EEENS1_30default_config_static_selectorELNS0_4arch9wavefront6targetE0EEEvT1_.has_indirect_call, 0
	.section	.AMDGPU.csdata,"",@progbits
; Kernel info:
; codeLenInByte = 0
; TotalNumSgprs: 0
; NumVgprs: 0
; ScratchSize: 0
; MemoryBound: 0
; FloatMode: 240
; IeeeMode: 1
; LDSByteSize: 0 bytes/workgroup (compile time only)
; SGPRBlocks: 0
; VGPRBlocks: 0
; NumSGPRsForWavesPerEU: 1
; NumVGPRsForWavesPerEU: 1
; NamedBarCnt: 0
; Occupancy: 16
; WaveLimiterHint : 0
; COMPUTE_PGM_RSRC2:SCRATCH_EN: 0
; COMPUTE_PGM_RSRC2:USER_SGPR: 2
; COMPUTE_PGM_RSRC2:TRAP_HANDLER: 0
; COMPUTE_PGM_RSRC2:TGID_X_EN: 1
; COMPUTE_PGM_RSRC2:TGID_Y_EN: 0
; COMPUTE_PGM_RSRC2:TGID_Z_EN: 0
; COMPUTE_PGM_RSRC2:TIDIG_COMP_CNT: 0
	.section	.text._ZN7rocprim17ROCPRIM_400000_NS6detail17trampoline_kernelINS0_14default_configENS1_25partition_config_selectorILNS1_17partition_subalgoE9EllbEEZZNS1_14partition_implILS5_9ELb0ES3_jPlS8_PNS0_10empty_typeENS0_5tupleIJS8_S9_EEENSB_IJS8_SA_EEENS0_18inequality_wrapperIZN2at6native12_GLOBAL__N_124unique_dim_cuda_templateIdEESt5tupleIJNSF_6TensorESK_SK_EERKSK_lbbbEUlllE0_EEPmJS9_EEE10hipError_tPvRmT3_T4_T5_T6_T7_T9_mT8_P12ihipStream_tbDpT10_ENKUlT_T0_E_clISt17integral_constantIbLb1EES19_IbLb0EEEEDaS15_S16_EUlS15_E_NS1_11comp_targetILNS1_3genE3ELNS1_11target_archE908ELNS1_3gpuE7ELNS1_3repE0EEENS1_30default_config_static_selectorELNS0_4arch9wavefront6targetE0EEEvT1_,"axG",@progbits,_ZN7rocprim17ROCPRIM_400000_NS6detail17trampoline_kernelINS0_14default_configENS1_25partition_config_selectorILNS1_17partition_subalgoE9EllbEEZZNS1_14partition_implILS5_9ELb0ES3_jPlS8_PNS0_10empty_typeENS0_5tupleIJS8_S9_EEENSB_IJS8_SA_EEENS0_18inequality_wrapperIZN2at6native12_GLOBAL__N_124unique_dim_cuda_templateIdEESt5tupleIJNSF_6TensorESK_SK_EERKSK_lbbbEUlllE0_EEPmJS9_EEE10hipError_tPvRmT3_T4_T5_T6_T7_T9_mT8_P12ihipStream_tbDpT10_ENKUlT_T0_E_clISt17integral_constantIbLb1EES19_IbLb0EEEEDaS15_S16_EUlS15_E_NS1_11comp_targetILNS1_3genE3ELNS1_11target_archE908ELNS1_3gpuE7ELNS1_3repE0EEENS1_30default_config_static_selectorELNS0_4arch9wavefront6targetE0EEEvT1_,comdat
	.globl	_ZN7rocprim17ROCPRIM_400000_NS6detail17trampoline_kernelINS0_14default_configENS1_25partition_config_selectorILNS1_17partition_subalgoE9EllbEEZZNS1_14partition_implILS5_9ELb0ES3_jPlS8_PNS0_10empty_typeENS0_5tupleIJS8_S9_EEENSB_IJS8_SA_EEENS0_18inequality_wrapperIZN2at6native12_GLOBAL__N_124unique_dim_cuda_templateIdEESt5tupleIJNSF_6TensorESK_SK_EERKSK_lbbbEUlllE0_EEPmJS9_EEE10hipError_tPvRmT3_T4_T5_T6_T7_T9_mT8_P12ihipStream_tbDpT10_ENKUlT_T0_E_clISt17integral_constantIbLb1EES19_IbLb0EEEEDaS15_S16_EUlS15_E_NS1_11comp_targetILNS1_3genE3ELNS1_11target_archE908ELNS1_3gpuE7ELNS1_3repE0EEENS1_30default_config_static_selectorELNS0_4arch9wavefront6targetE0EEEvT1_ ; -- Begin function _ZN7rocprim17ROCPRIM_400000_NS6detail17trampoline_kernelINS0_14default_configENS1_25partition_config_selectorILNS1_17partition_subalgoE9EllbEEZZNS1_14partition_implILS5_9ELb0ES3_jPlS8_PNS0_10empty_typeENS0_5tupleIJS8_S9_EEENSB_IJS8_SA_EEENS0_18inequality_wrapperIZN2at6native12_GLOBAL__N_124unique_dim_cuda_templateIdEESt5tupleIJNSF_6TensorESK_SK_EERKSK_lbbbEUlllE0_EEPmJS9_EEE10hipError_tPvRmT3_T4_T5_T6_T7_T9_mT8_P12ihipStream_tbDpT10_ENKUlT_T0_E_clISt17integral_constantIbLb1EES19_IbLb0EEEEDaS15_S16_EUlS15_E_NS1_11comp_targetILNS1_3genE3ELNS1_11target_archE908ELNS1_3gpuE7ELNS1_3repE0EEENS1_30default_config_static_selectorELNS0_4arch9wavefront6targetE0EEEvT1_
	.p2align	8
	.type	_ZN7rocprim17ROCPRIM_400000_NS6detail17trampoline_kernelINS0_14default_configENS1_25partition_config_selectorILNS1_17partition_subalgoE9EllbEEZZNS1_14partition_implILS5_9ELb0ES3_jPlS8_PNS0_10empty_typeENS0_5tupleIJS8_S9_EEENSB_IJS8_SA_EEENS0_18inequality_wrapperIZN2at6native12_GLOBAL__N_124unique_dim_cuda_templateIdEESt5tupleIJNSF_6TensorESK_SK_EERKSK_lbbbEUlllE0_EEPmJS9_EEE10hipError_tPvRmT3_T4_T5_T6_T7_T9_mT8_P12ihipStream_tbDpT10_ENKUlT_T0_E_clISt17integral_constantIbLb1EES19_IbLb0EEEEDaS15_S16_EUlS15_E_NS1_11comp_targetILNS1_3genE3ELNS1_11target_archE908ELNS1_3gpuE7ELNS1_3repE0EEENS1_30default_config_static_selectorELNS0_4arch9wavefront6targetE0EEEvT1_,@function
_ZN7rocprim17ROCPRIM_400000_NS6detail17trampoline_kernelINS0_14default_configENS1_25partition_config_selectorILNS1_17partition_subalgoE9EllbEEZZNS1_14partition_implILS5_9ELb0ES3_jPlS8_PNS0_10empty_typeENS0_5tupleIJS8_S9_EEENSB_IJS8_SA_EEENS0_18inequality_wrapperIZN2at6native12_GLOBAL__N_124unique_dim_cuda_templateIdEESt5tupleIJNSF_6TensorESK_SK_EERKSK_lbbbEUlllE0_EEPmJS9_EEE10hipError_tPvRmT3_T4_T5_T6_T7_T9_mT8_P12ihipStream_tbDpT10_ENKUlT_T0_E_clISt17integral_constantIbLb1EES19_IbLb0EEEEDaS15_S16_EUlS15_E_NS1_11comp_targetILNS1_3genE3ELNS1_11target_archE908ELNS1_3gpuE7ELNS1_3repE0EEENS1_30default_config_static_selectorELNS0_4arch9wavefront6targetE0EEEvT1_: ; @_ZN7rocprim17ROCPRIM_400000_NS6detail17trampoline_kernelINS0_14default_configENS1_25partition_config_selectorILNS1_17partition_subalgoE9EllbEEZZNS1_14partition_implILS5_9ELb0ES3_jPlS8_PNS0_10empty_typeENS0_5tupleIJS8_S9_EEENSB_IJS8_SA_EEENS0_18inequality_wrapperIZN2at6native12_GLOBAL__N_124unique_dim_cuda_templateIdEESt5tupleIJNSF_6TensorESK_SK_EERKSK_lbbbEUlllE0_EEPmJS9_EEE10hipError_tPvRmT3_T4_T5_T6_T7_T9_mT8_P12ihipStream_tbDpT10_ENKUlT_T0_E_clISt17integral_constantIbLb1EES19_IbLb0EEEEDaS15_S16_EUlS15_E_NS1_11comp_targetILNS1_3genE3ELNS1_11target_archE908ELNS1_3gpuE7ELNS1_3repE0EEENS1_30default_config_static_selectorELNS0_4arch9wavefront6targetE0EEEvT1_
; %bb.0:
	.section	.rodata,"a",@progbits
	.p2align	6, 0x0
	.amdhsa_kernel _ZN7rocprim17ROCPRIM_400000_NS6detail17trampoline_kernelINS0_14default_configENS1_25partition_config_selectorILNS1_17partition_subalgoE9EllbEEZZNS1_14partition_implILS5_9ELb0ES3_jPlS8_PNS0_10empty_typeENS0_5tupleIJS8_S9_EEENSB_IJS8_SA_EEENS0_18inequality_wrapperIZN2at6native12_GLOBAL__N_124unique_dim_cuda_templateIdEESt5tupleIJNSF_6TensorESK_SK_EERKSK_lbbbEUlllE0_EEPmJS9_EEE10hipError_tPvRmT3_T4_T5_T6_T7_T9_mT8_P12ihipStream_tbDpT10_ENKUlT_T0_E_clISt17integral_constantIbLb1EES19_IbLb0EEEEDaS15_S16_EUlS15_E_NS1_11comp_targetILNS1_3genE3ELNS1_11target_archE908ELNS1_3gpuE7ELNS1_3repE0EEENS1_30default_config_static_selectorELNS0_4arch9wavefront6targetE0EEEvT1_
		.amdhsa_group_segment_fixed_size 0
		.amdhsa_private_segment_fixed_size 0
		.amdhsa_kernarg_size 120
		.amdhsa_user_sgpr_count 2
		.amdhsa_user_sgpr_dispatch_ptr 0
		.amdhsa_user_sgpr_queue_ptr 0
		.amdhsa_user_sgpr_kernarg_segment_ptr 1
		.amdhsa_user_sgpr_dispatch_id 0
		.amdhsa_user_sgpr_kernarg_preload_length 0
		.amdhsa_user_sgpr_kernarg_preload_offset 0
		.amdhsa_user_sgpr_private_segment_size 0
		.amdhsa_wavefront_size32 1
		.amdhsa_uses_dynamic_stack 0
		.amdhsa_enable_private_segment 0
		.amdhsa_system_sgpr_workgroup_id_x 1
		.amdhsa_system_sgpr_workgroup_id_y 0
		.amdhsa_system_sgpr_workgroup_id_z 0
		.amdhsa_system_sgpr_workgroup_info 0
		.amdhsa_system_vgpr_workitem_id 0
		.amdhsa_next_free_vgpr 1
		.amdhsa_next_free_sgpr 1
		.amdhsa_named_barrier_count 0
		.amdhsa_reserve_vcc 0
		.amdhsa_float_round_mode_32 0
		.amdhsa_float_round_mode_16_64 0
		.amdhsa_float_denorm_mode_32 3
		.amdhsa_float_denorm_mode_16_64 3
		.amdhsa_fp16_overflow 0
		.amdhsa_memory_ordered 1
		.amdhsa_forward_progress 1
		.amdhsa_inst_pref_size 0
		.amdhsa_round_robin_scheduling 0
		.amdhsa_exception_fp_ieee_invalid_op 0
		.amdhsa_exception_fp_denorm_src 0
		.amdhsa_exception_fp_ieee_div_zero 0
		.amdhsa_exception_fp_ieee_overflow 0
		.amdhsa_exception_fp_ieee_underflow 0
		.amdhsa_exception_fp_ieee_inexact 0
		.amdhsa_exception_int_div_zero 0
	.end_amdhsa_kernel
	.section	.text._ZN7rocprim17ROCPRIM_400000_NS6detail17trampoline_kernelINS0_14default_configENS1_25partition_config_selectorILNS1_17partition_subalgoE9EllbEEZZNS1_14partition_implILS5_9ELb0ES3_jPlS8_PNS0_10empty_typeENS0_5tupleIJS8_S9_EEENSB_IJS8_SA_EEENS0_18inequality_wrapperIZN2at6native12_GLOBAL__N_124unique_dim_cuda_templateIdEESt5tupleIJNSF_6TensorESK_SK_EERKSK_lbbbEUlllE0_EEPmJS9_EEE10hipError_tPvRmT3_T4_T5_T6_T7_T9_mT8_P12ihipStream_tbDpT10_ENKUlT_T0_E_clISt17integral_constantIbLb1EES19_IbLb0EEEEDaS15_S16_EUlS15_E_NS1_11comp_targetILNS1_3genE3ELNS1_11target_archE908ELNS1_3gpuE7ELNS1_3repE0EEENS1_30default_config_static_selectorELNS0_4arch9wavefront6targetE0EEEvT1_,"axG",@progbits,_ZN7rocprim17ROCPRIM_400000_NS6detail17trampoline_kernelINS0_14default_configENS1_25partition_config_selectorILNS1_17partition_subalgoE9EllbEEZZNS1_14partition_implILS5_9ELb0ES3_jPlS8_PNS0_10empty_typeENS0_5tupleIJS8_S9_EEENSB_IJS8_SA_EEENS0_18inequality_wrapperIZN2at6native12_GLOBAL__N_124unique_dim_cuda_templateIdEESt5tupleIJNSF_6TensorESK_SK_EERKSK_lbbbEUlllE0_EEPmJS9_EEE10hipError_tPvRmT3_T4_T5_T6_T7_T9_mT8_P12ihipStream_tbDpT10_ENKUlT_T0_E_clISt17integral_constantIbLb1EES19_IbLb0EEEEDaS15_S16_EUlS15_E_NS1_11comp_targetILNS1_3genE3ELNS1_11target_archE908ELNS1_3gpuE7ELNS1_3repE0EEENS1_30default_config_static_selectorELNS0_4arch9wavefront6targetE0EEEvT1_,comdat
.Lfunc_end858:
	.size	_ZN7rocprim17ROCPRIM_400000_NS6detail17trampoline_kernelINS0_14default_configENS1_25partition_config_selectorILNS1_17partition_subalgoE9EllbEEZZNS1_14partition_implILS5_9ELb0ES3_jPlS8_PNS0_10empty_typeENS0_5tupleIJS8_S9_EEENSB_IJS8_SA_EEENS0_18inequality_wrapperIZN2at6native12_GLOBAL__N_124unique_dim_cuda_templateIdEESt5tupleIJNSF_6TensorESK_SK_EERKSK_lbbbEUlllE0_EEPmJS9_EEE10hipError_tPvRmT3_T4_T5_T6_T7_T9_mT8_P12ihipStream_tbDpT10_ENKUlT_T0_E_clISt17integral_constantIbLb1EES19_IbLb0EEEEDaS15_S16_EUlS15_E_NS1_11comp_targetILNS1_3genE3ELNS1_11target_archE908ELNS1_3gpuE7ELNS1_3repE0EEENS1_30default_config_static_selectorELNS0_4arch9wavefront6targetE0EEEvT1_, .Lfunc_end858-_ZN7rocprim17ROCPRIM_400000_NS6detail17trampoline_kernelINS0_14default_configENS1_25partition_config_selectorILNS1_17partition_subalgoE9EllbEEZZNS1_14partition_implILS5_9ELb0ES3_jPlS8_PNS0_10empty_typeENS0_5tupleIJS8_S9_EEENSB_IJS8_SA_EEENS0_18inequality_wrapperIZN2at6native12_GLOBAL__N_124unique_dim_cuda_templateIdEESt5tupleIJNSF_6TensorESK_SK_EERKSK_lbbbEUlllE0_EEPmJS9_EEE10hipError_tPvRmT3_T4_T5_T6_T7_T9_mT8_P12ihipStream_tbDpT10_ENKUlT_T0_E_clISt17integral_constantIbLb1EES19_IbLb0EEEEDaS15_S16_EUlS15_E_NS1_11comp_targetILNS1_3genE3ELNS1_11target_archE908ELNS1_3gpuE7ELNS1_3repE0EEENS1_30default_config_static_selectorELNS0_4arch9wavefront6targetE0EEEvT1_
                                        ; -- End function
	.set _ZN7rocprim17ROCPRIM_400000_NS6detail17trampoline_kernelINS0_14default_configENS1_25partition_config_selectorILNS1_17partition_subalgoE9EllbEEZZNS1_14partition_implILS5_9ELb0ES3_jPlS8_PNS0_10empty_typeENS0_5tupleIJS8_S9_EEENSB_IJS8_SA_EEENS0_18inequality_wrapperIZN2at6native12_GLOBAL__N_124unique_dim_cuda_templateIdEESt5tupleIJNSF_6TensorESK_SK_EERKSK_lbbbEUlllE0_EEPmJS9_EEE10hipError_tPvRmT3_T4_T5_T6_T7_T9_mT8_P12ihipStream_tbDpT10_ENKUlT_T0_E_clISt17integral_constantIbLb1EES19_IbLb0EEEEDaS15_S16_EUlS15_E_NS1_11comp_targetILNS1_3genE3ELNS1_11target_archE908ELNS1_3gpuE7ELNS1_3repE0EEENS1_30default_config_static_selectorELNS0_4arch9wavefront6targetE0EEEvT1_.num_vgpr, 0
	.set _ZN7rocprim17ROCPRIM_400000_NS6detail17trampoline_kernelINS0_14default_configENS1_25partition_config_selectorILNS1_17partition_subalgoE9EllbEEZZNS1_14partition_implILS5_9ELb0ES3_jPlS8_PNS0_10empty_typeENS0_5tupleIJS8_S9_EEENSB_IJS8_SA_EEENS0_18inequality_wrapperIZN2at6native12_GLOBAL__N_124unique_dim_cuda_templateIdEESt5tupleIJNSF_6TensorESK_SK_EERKSK_lbbbEUlllE0_EEPmJS9_EEE10hipError_tPvRmT3_T4_T5_T6_T7_T9_mT8_P12ihipStream_tbDpT10_ENKUlT_T0_E_clISt17integral_constantIbLb1EES19_IbLb0EEEEDaS15_S16_EUlS15_E_NS1_11comp_targetILNS1_3genE3ELNS1_11target_archE908ELNS1_3gpuE7ELNS1_3repE0EEENS1_30default_config_static_selectorELNS0_4arch9wavefront6targetE0EEEvT1_.num_agpr, 0
	.set _ZN7rocprim17ROCPRIM_400000_NS6detail17trampoline_kernelINS0_14default_configENS1_25partition_config_selectorILNS1_17partition_subalgoE9EllbEEZZNS1_14partition_implILS5_9ELb0ES3_jPlS8_PNS0_10empty_typeENS0_5tupleIJS8_S9_EEENSB_IJS8_SA_EEENS0_18inequality_wrapperIZN2at6native12_GLOBAL__N_124unique_dim_cuda_templateIdEESt5tupleIJNSF_6TensorESK_SK_EERKSK_lbbbEUlllE0_EEPmJS9_EEE10hipError_tPvRmT3_T4_T5_T6_T7_T9_mT8_P12ihipStream_tbDpT10_ENKUlT_T0_E_clISt17integral_constantIbLb1EES19_IbLb0EEEEDaS15_S16_EUlS15_E_NS1_11comp_targetILNS1_3genE3ELNS1_11target_archE908ELNS1_3gpuE7ELNS1_3repE0EEENS1_30default_config_static_selectorELNS0_4arch9wavefront6targetE0EEEvT1_.numbered_sgpr, 0
	.set _ZN7rocprim17ROCPRIM_400000_NS6detail17trampoline_kernelINS0_14default_configENS1_25partition_config_selectorILNS1_17partition_subalgoE9EllbEEZZNS1_14partition_implILS5_9ELb0ES3_jPlS8_PNS0_10empty_typeENS0_5tupleIJS8_S9_EEENSB_IJS8_SA_EEENS0_18inequality_wrapperIZN2at6native12_GLOBAL__N_124unique_dim_cuda_templateIdEESt5tupleIJNSF_6TensorESK_SK_EERKSK_lbbbEUlllE0_EEPmJS9_EEE10hipError_tPvRmT3_T4_T5_T6_T7_T9_mT8_P12ihipStream_tbDpT10_ENKUlT_T0_E_clISt17integral_constantIbLb1EES19_IbLb0EEEEDaS15_S16_EUlS15_E_NS1_11comp_targetILNS1_3genE3ELNS1_11target_archE908ELNS1_3gpuE7ELNS1_3repE0EEENS1_30default_config_static_selectorELNS0_4arch9wavefront6targetE0EEEvT1_.num_named_barrier, 0
	.set _ZN7rocprim17ROCPRIM_400000_NS6detail17trampoline_kernelINS0_14default_configENS1_25partition_config_selectorILNS1_17partition_subalgoE9EllbEEZZNS1_14partition_implILS5_9ELb0ES3_jPlS8_PNS0_10empty_typeENS0_5tupleIJS8_S9_EEENSB_IJS8_SA_EEENS0_18inequality_wrapperIZN2at6native12_GLOBAL__N_124unique_dim_cuda_templateIdEESt5tupleIJNSF_6TensorESK_SK_EERKSK_lbbbEUlllE0_EEPmJS9_EEE10hipError_tPvRmT3_T4_T5_T6_T7_T9_mT8_P12ihipStream_tbDpT10_ENKUlT_T0_E_clISt17integral_constantIbLb1EES19_IbLb0EEEEDaS15_S16_EUlS15_E_NS1_11comp_targetILNS1_3genE3ELNS1_11target_archE908ELNS1_3gpuE7ELNS1_3repE0EEENS1_30default_config_static_selectorELNS0_4arch9wavefront6targetE0EEEvT1_.private_seg_size, 0
	.set _ZN7rocprim17ROCPRIM_400000_NS6detail17trampoline_kernelINS0_14default_configENS1_25partition_config_selectorILNS1_17partition_subalgoE9EllbEEZZNS1_14partition_implILS5_9ELb0ES3_jPlS8_PNS0_10empty_typeENS0_5tupleIJS8_S9_EEENSB_IJS8_SA_EEENS0_18inequality_wrapperIZN2at6native12_GLOBAL__N_124unique_dim_cuda_templateIdEESt5tupleIJNSF_6TensorESK_SK_EERKSK_lbbbEUlllE0_EEPmJS9_EEE10hipError_tPvRmT3_T4_T5_T6_T7_T9_mT8_P12ihipStream_tbDpT10_ENKUlT_T0_E_clISt17integral_constantIbLb1EES19_IbLb0EEEEDaS15_S16_EUlS15_E_NS1_11comp_targetILNS1_3genE3ELNS1_11target_archE908ELNS1_3gpuE7ELNS1_3repE0EEENS1_30default_config_static_selectorELNS0_4arch9wavefront6targetE0EEEvT1_.uses_vcc, 0
	.set _ZN7rocprim17ROCPRIM_400000_NS6detail17trampoline_kernelINS0_14default_configENS1_25partition_config_selectorILNS1_17partition_subalgoE9EllbEEZZNS1_14partition_implILS5_9ELb0ES3_jPlS8_PNS0_10empty_typeENS0_5tupleIJS8_S9_EEENSB_IJS8_SA_EEENS0_18inequality_wrapperIZN2at6native12_GLOBAL__N_124unique_dim_cuda_templateIdEESt5tupleIJNSF_6TensorESK_SK_EERKSK_lbbbEUlllE0_EEPmJS9_EEE10hipError_tPvRmT3_T4_T5_T6_T7_T9_mT8_P12ihipStream_tbDpT10_ENKUlT_T0_E_clISt17integral_constantIbLb1EES19_IbLb0EEEEDaS15_S16_EUlS15_E_NS1_11comp_targetILNS1_3genE3ELNS1_11target_archE908ELNS1_3gpuE7ELNS1_3repE0EEENS1_30default_config_static_selectorELNS0_4arch9wavefront6targetE0EEEvT1_.uses_flat_scratch, 0
	.set _ZN7rocprim17ROCPRIM_400000_NS6detail17trampoline_kernelINS0_14default_configENS1_25partition_config_selectorILNS1_17partition_subalgoE9EllbEEZZNS1_14partition_implILS5_9ELb0ES3_jPlS8_PNS0_10empty_typeENS0_5tupleIJS8_S9_EEENSB_IJS8_SA_EEENS0_18inequality_wrapperIZN2at6native12_GLOBAL__N_124unique_dim_cuda_templateIdEESt5tupleIJNSF_6TensorESK_SK_EERKSK_lbbbEUlllE0_EEPmJS9_EEE10hipError_tPvRmT3_T4_T5_T6_T7_T9_mT8_P12ihipStream_tbDpT10_ENKUlT_T0_E_clISt17integral_constantIbLb1EES19_IbLb0EEEEDaS15_S16_EUlS15_E_NS1_11comp_targetILNS1_3genE3ELNS1_11target_archE908ELNS1_3gpuE7ELNS1_3repE0EEENS1_30default_config_static_selectorELNS0_4arch9wavefront6targetE0EEEvT1_.has_dyn_sized_stack, 0
	.set _ZN7rocprim17ROCPRIM_400000_NS6detail17trampoline_kernelINS0_14default_configENS1_25partition_config_selectorILNS1_17partition_subalgoE9EllbEEZZNS1_14partition_implILS5_9ELb0ES3_jPlS8_PNS0_10empty_typeENS0_5tupleIJS8_S9_EEENSB_IJS8_SA_EEENS0_18inequality_wrapperIZN2at6native12_GLOBAL__N_124unique_dim_cuda_templateIdEESt5tupleIJNSF_6TensorESK_SK_EERKSK_lbbbEUlllE0_EEPmJS9_EEE10hipError_tPvRmT3_T4_T5_T6_T7_T9_mT8_P12ihipStream_tbDpT10_ENKUlT_T0_E_clISt17integral_constantIbLb1EES19_IbLb0EEEEDaS15_S16_EUlS15_E_NS1_11comp_targetILNS1_3genE3ELNS1_11target_archE908ELNS1_3gpuE7ELNS1_3repE0EEENS1_30default_config_static_selectorELNS0_4arch9wavefront6targetE0EEEvT1_.has_recursion, 0
	.set _ZN7rocprim17ROCPRIM_400000_NS6detail17trampoline_kernelINS0_14default_configENS1_25partition_config_selectorILNS1_17partition_subalgoE9EllbEEZZNS1_14partition_implILS5_9ELb0ES3_jPlS8_PNS0_10empty_typeENS0_5tupleIJS8_S9_EEENSB_IJS8_SA_EEENS0_18inequality_wrapperIZN2at6native12_GLOBAL__N_124unique_dim_cuda_templateIdEESt5tupleIJNSF_6TensorESK_SK_EERKSK_lbbbEUlllE0_EEPmJS9_EEE10hipError_tPvRmT3_T4_T5_T6_T7_T9_mT8_P12ihipStream_tbDpT10_ENKUlT_T0_E_clISt17integral_constantIbLb1EES19_IbLb0EEEEDaS15_S16_EUlS15_E_NS1_11comp_targetILNS1_3genE3ELNS1_11target_archE908ELNS1_3gpuE7ELNS1_3repE0EEENS1_30default_config_static_selectorELNS0_4arch9wavefront6targetE0EEEvT1_.has_indirect_call, 0
	.section	.AMDGPU.csdata,"",@progbits
; Kernel info:
; codeLenInByte = 0
; TotalNumSgprs: 0
; NumVgprs: 0
; ScratchSize: 0
; MemoryBound: 0
; FloatMode: 240
; IeeeMode: 1
; LDSByteSize: 0 bytes/workgroup (compile time only)
; SGPRBlocks: 0
; VGPRBlocks: 0
; NumSGPRsForWavesPerEU: 1
; NumVGPRsForWavesPerEU: 1
; NamedBarCnt: 0
; Occupancy: 16
; WaveLimiterHint : 0
; COMPUTE_PGM_RSRC2:SCRATCH_EN: 0
; COMPUTE_PGM_RSRC2:USER_SGPR: 2
; COMPUTE_PGM_RSRC2:TRAP_HANDLER: 0
; COMPUTE_PGM_RSRC2:TGID_X_EN: 1
; COMPUTE_PGM_RSRC2:TGID_Y_EN: 0
; COMPUTE_PGM_RSRC2:TGID_Z_EN: 0
; COMPUTE_PGM_RSRC2:TIDIG_COMP_CNT: 0
	.section	.text._ZN7rocprim17ROCPRIM_400000_NS6detail17trampoline_kernelINS0_14default_configENS1_25partition_config_selectorILNS1_17partition_subalgoE9EllbEEZZNS1_14partition_implILS5_9ELb0ES3_jPlS8_PNS0_10empty_typeENS0_5tupleIJS8_S9_EEENSB_IJS8_SA_EEENS0_18inequality_wrapperIZN2at6native12_GLOBAL__N_124unique_dim_cuda_templateIdEESt5tupleIJNSF_6TensorESK_SK_EERKSK_lbbbEUlllE0_EEPmJS9_EEE10hipError_tPvRmT3_T4_T5_T6_T7_T9_mT8_P12ihipStream_tbDpT10_ENKUlT_T0_E_clISt17integral_constantIbLb1EES19_IbLb0EEEEDaS15_S16_EUlS15_E_NS1_11comp_targetILNS1_3genE2ELNS1_11target_archE906ELNS1_3gpuE6ELNS1_3repE0EEENS1_30default_config_static_selectorELNS0_4arch9wavefront6targetE0EEEvT1_,"axG",@progbits,_ZN7rocprim17ROCPRIM_400000_NS6detail17trampoline_kernelINS0_14default_configENS1_25partition_config_selectorILNS1_17partition_subalgoE9EllbEEZZNS1_14partition_implILS5_9ELb0ES3_jPlS8_PNS0_10empty_typeENS0_5tupleIJS8_S9_EEENSB_IJS8_SA_EEENS0_18inequality_wrapperIZN2at6native12_GLOBAL__N_124unique_dim_cuda_templateIdEESt5tupleIJNSF_6TensorESK_SK_EERKSK_lbbbEUlllE0_EEPmJS9_EEE10hipError_tPvRmT3_T4_T5_T6_T7_T9_mT8_P12ihipStream_tbDpT10_ENKUlT_T0_E_clISt17integral_constantIbLb1EES19_IbLb0EEEEDaS15_S16_EUlS15_E_NS1_11comp_targetILNS1_3genE2ELNS1_11target_archE906ELNS1_3gpuE6ELNS1_3repE0EEENS1_30default_config_static_selectorELNS0_4arch9wavefront6targetE0EEEvT1_,comdat
	.globl	_ZN7rocprim17ROCPRIM_400000_NS6detail17trampoline_kernelINS0_14default_configENS1_25partition_config_selectorILNS1_17partition_subalgoE9EllbEEZZNS1_14partition_implILS5_9ELb0ES3_jPlS8_PNS0_10empty_typeENS0_5tupleIJS8_S9_EEENSB_IJS8_SA_EEENS0_18inequality_wrapperIZN2at6native12_GLOBAL__N_124unique_dim_cuda_templateIdEESt5tupleIJNSF_6TensorESK_SK_EERKSK_lbbbEUlllE0_EEPmJS9_EEE10hipError_tPvRmT3_T4_T5_T6_T7_T9_mT8_P12ihipStream_tbDpT10_ENKUlT_T0_E_clISt17integral_constantIbLb1EES19_IbLb0EEEEDaS15_S16_EUlS15_E_NS1_11comp_targetILNS1_3genE2ELNS1_11target_archE906ELNS1_3gpuE6ELNS1_3repE0EEENS1_30default_config_static_selectorELNS0_4arch9wavefront6targetE0EEEvT1_ ; -- Begin function _ZN7rocprim17ROCPRIM_400000_NS6detail17trampoline_kernelINS0_14default_configENS1_25partition_config_selectorILNS1_17partition_subalgoE9EllbEEZZNS1_14partition_implILS5_9ELb0ES3_jPlS8_PNS0_10empty_typeENS0_5tupleIJS8_S9_EEENSB_IJS8_SA_EEENS0_18inequality_wrapperIZN2at6native12_GLOBAL__N_124unique_dim_cuda_templateIdEESt5tupleIJNSF_6TensorESK_SK_EERKSK_lbbbEUlllE0_EEPmJS9_EEE10hipError_tPvRmT3_T4_T5_T6_T7_T9_mT8_P12ihipStream_tbDpT10_ENKUlT_T0_E_clISt17integral_constantIbLb1EES19_IbLb0EEEEDaS15_S16_EUlS15_E_NS1_11comp_targetILNS1_3genE2ELNS1_11target_archE906ELNS1_3gpuE6ELNS1_3repE0EEENS1_30default_config_static_selectorELNS0_4arch9wavefront6targetE0EEEvT1_
	.p2align	8
	.type	_ZN7rocprim17ROCPRIM_400000_NS6detail17trampoline_kernelINS0_14default_configENS1_25partition_config_selectorILNS1_17partition_subalgoE9EllbEEZZNS1_14partition_implILS5_9ELb0ES3_jPlS8_PNS0_10empty_typeENS0_5tupleIJS8_S9_EEENSB_IJS8_SA_EEENS0_18inequality_wrapperIZN2at6native12_GLOBAL__N_124unique_dim_cuda_templateIdEESt5tupleIJNSF_6TensorESK_SK_EERKSK_lbbbEUlllE0_EEPmJS9_EEE10hipError_tPvRmT3_T4_T5_T6_T7_T9_mT8_P12ihipStream_tbDpT10_ENKUlT_T0_E_clISt17integral_constantIbLb1EES19_IbLb0EEEEDaS15_S16_EUlS15_E_NS1_11comp_targetILNS1_3genE2ELNS1_11target_archE906ELNS1_3gpuE6ELNS1_3repE0EEENS1_30default_config_static_selectorELNS0_4arch9wavefront6targetE0EEEvT1_,@function
_ZN7rocprim17ROCPRIM_400000_NS6detail17trampoline_kernelINS0_14default_configENS1_25partition_config_selectorILNS1_17partition_subalgoE9EllbEEZZNS1_14partition_implILS5_9ELb0ES3_jPlS8_PNS0_10empty_typeENS0_5tupleIJS8_S9_EEENSB_IJS8_SA_EEENS0_18inequality_wrapperIZN2at6native12_GLOBAL__N_124unique_dim_cuda_templateIdEESt5tupleIJNSF_6TensorESK_SK_EERKSK_lbbbEUlllE0_EEPmJS9_EEE10hipError_tPvRmT3_T4_T5_T6_T7_T9_mT8_P12ihipStream_tbDpT10_ENKUlT_T0_E_clISt17integral_constantIbLb1EES19_IbLb0EEEEDaS15_S16_EUlS15_E_NS1_11comp_targetILNS1_3genE2ELNS1_11target_archE906ELNS1_3gpuE6ELNS1_3repE0EEENS1_30default_config_static_selectorELNS0_4arch9wavefront6targetE0EEEvT1_: ; @_ZN7rocprim17ROCPRIM_400000_NS6detail17trampoline_kernelINS0_14default_configENS1_25partition_config_selectorILNS1_17partition_subalgoE9EllbEEZZNS1_14partition_implILS5_9ELb0ES3_jPlS8_PNS0_10empty_typeENS0_5tupleIJS8_S9_EEENSB_IJS8_SA_EEENS0_18inequality_wrapperIZN2at6native12_GLOBAL__N_124unique_dim_cuda_templateIdEESt5tupleIJNSF_6TensorESK_SK_EERKSK_lbbbEUlllE0_EEPmJS9_EEE10hipError_tPvRmT3_T4_T5_T6_T7_T9_mT8_P12ihipStream_tbDpT10_ENKUlT_T0_E_clISt17integral_constantIbLb1EES19_IbLb0EEEEDaS15_S16_EUlS15_E_NS1_11comp_targetILNS1_3genE2ELNS1_11target_archE906ELNS1_3gpuE6ELNS1_3repE0EEENS1_30default_config_static_selectorELNS0_4arch9wavefront6targetE0EEEvT1_
; %bb.0:
	.section	.rodata,"a",@progbits
	.p2align	6, 0x0
	.amdhsa_kernel _ZN7rocprim17ROCPRIM_400000_NS6detail17trampoline_kernelINS0_14default_configENS1_25partition_config_selectorILNS1_17partition_subalgoE9EllbEEZZNS1_14partition_implILS5_9ELb0ES3_jPlS8_PNS0_10empty_typeENS0_5tupleIJS8_S9_EEENSB_IJS8_SA_EEENS0_18inequality_wrapperIZN2at6native12_GLOBAL__N_124unique_dim_cuda_templateIdEESt5tupleIJNSF_6TensorESK_SK_EERKSK_lbbbEUlllE0_EEPmJS9_EEE10hipError_tPvRmT3_T4_T5_T6_T7_T9_mT8_P12ihipStream_tbDpT10_ENKUlT_T0_E_clISt17integral_constantIbLb1EES19_IbLb0EEEEDaS15_S16_EUlS15_E_NS1_11comp_targetILNS1_3genE2ELNS1_11target_archE906ELNS1_3gpuE6ELNS1_3repE0EEENS1_30default_config_static_selectorELNS0_4arch9wavefront6targetE0EEEvT1_
		.amdhsa_group_segment_fixed_size 0
		.amdhsa_private_segment_fixed_size 0
		.amdhsa_kernarg_size 120
		.amdhsa_user_sgpr_count 2
		.amdhsa_user_sgpr_dispatch_ptr 0
		.amdhsa_user_sgpr_queue_ptr 0
		.amdhsa_user_sgpr_kernarg_segment_ptr 1
		.amdhsa_user_sgpr_dispatch_id 0
		.amdhsa_user_sgpr_kernarg_preload_length 0
		.amdhsa_user_sgpr_kernarg_preload_offset 0
		.amdhsa_user_sgpr_private_segment_size 0
		.amdhsa_wavefront_size32 1
		.amdhsa_uses_dynamic_stack 0
		.amdhsa_enable_private_segment 0
		.amdhsa_system_sgpr_workgroup_id_x 1
		.amdhsa_system_sgpr_workgroup_id_y 0
		.amdhsa_system_sgpr_workgroup_id_z 0
		.amdhsa_system_sgpr_workgroup_info 0
		.amdhsa_system_vgpr_workitem_id 0
		.amdhsa_next_free_vgpr 1
		.amdhsa_next_free_sgpr 1
		.amdhsa_named_barrier_count 0
		.amdhsa_reserve_vcc 0
		.amdhsa_float_round_mode_32 0
		.amdhsa_float_round_mode_16_64 0
		.amdhsa_float_denorm_mode_32 3
		.amdhsa_float_denorm_mode_16_64 3
		.amdhsa_fp16_overflow 0
		.amdhsa_memory_ordered 1
		.amdhsa_forward_progress 1
		.amdhsa_inst_pref_size 0
		.amdhsa_round_robin_scheduling 0
		.amdhsa_exception_fp_ieee_invalid_op 0
		.amdhsa_exception_fp_denorm_src 0
		.amdhsa_exception_fp_ieee_div_zero 0
		.amdhsa_exception_fp_ieee_overflow 0
		.amdhsa_exception_fp_ieee_underflow 0
		.amdhsa_exception_fp_ieee_inexact 0
		.amdhsa_exception_int_div_zero 0
	.end_amdhsa_kernel
	.section	.text._ZN7rocprim17ROCPRIM_400000_NS6detail17trampoline_kernelINS0_14default_configENS1_25partition_config_selectorILNS1_17partition_subalgoE9EllbEEZZNS1_14partition_implILS5_9ELb0ES3_jPlS8_PNS0_10empty_typeENS0_5tupleIJS8_S9_EEENSB_IJS8_SA_EEENS0_18inequality_wrapperIZN2at6native12_GLOBAL__N_124unique_dim_cuda_templateIdEESt5tupleIJNSF_6TensorESK_SK_EERKSK_lbbbEUlllE0_EEPmJS9_EEE10hipError_tPvRmT3_T4_T5_T6_T7_T9_mT8_P12ihipStream_tbDpT10_ENKUlT_T0_E_clISt17integral_constantIbLb1EES19_IbLb0EEEEDaS15_S16_EUlS15_E_NS1_11comp_targetILNS1_3genE2ELNS1_11target_archE906ELNS1_3gpuE6ELNS1_3repE0EEENS1_30default_config_static_selectorELNS0_4arch9wavefront6targetE0EEEvT1_,"axG",@progbits,_ZN7rocprim17ROCPRIM_400000_NS6detail17trampoline_kernelINS0_14default_configENS1_25partition_config_selectorILNS1_17partition_subalgoE9EllbEEZZNS1_14partition_implILS5_9ELb0ES3_jPlS8_PNS0_10empty_typeENS0_5tupleIJS8_S9_EEENSB_IJS8_SA_EEENS0_18inequality_wrapperIZN2at6native12_GLOBAL__N_124unique_dim_cuda_templateIdEESt5tupleIJNSF_6TensorESK_SK_EERKSK_lbbbEUlllE0_EEPmJS9_EEE10hipError_tPvRmT3_T4_T5_T6_T7_T9_mT8_P12ihipStream_tbDpT10_ENKUlT_T0_E_clISt17integral_constantIbLb1EES19_IbLb0EEEEDaS15_S16_EUlS15_E_NS1_11comp_targetILNS1_3genE2ELNS1_11target_archE906ELNS1_3gpuE6ELNS1_3repE0EEENS1_30default_config_static_selectorELNS0_4arch9wavefront6targetE0EEEvT1_,comdat
.Lfunc_end859:
	.size	_ZN7rocprim17ROCPRIM_400000_NS6detail17trampoline_kernelINS0_14default_configENS1_25partition_config_selectorILNS1_17partition_subalgoE9EllbEEZZNS1_14partition_implILS5_9ELb0ES3_jPlS8_PNS0_10empty_typeENS0_5tupleIJS8_S9_EEENSB_IJS8_SA_EEENS0_18inequality_wrapperIZN2at6native12_GLOBAL__N_124unique_dim_cuda_templateIdEESt5tupleIJNSF_6TensorESK_SK_EERKSK_lbbbEUlllE0_EEPmJS9_EEE10hipError_tPvRmT3_T4_T5_T6_T7_T9_mT8_P12ihipStream_tbDpT10_ENKUlT_T0_E_clISt17integral_constantIbLb1EES19_IbLb0EEEEDaS15_S16_EUlS15_E_NS1_11comp_targetILNS1_3genE2ELNS1_11target_archE906ELNS1_3gpuE6ELNS1_3repE0EEENS1_30default_config_static_selectorELNS0_4arch9wavefront6targetE0EEEvT1_, .Lfunc_end859-_ZN7rocprim17ROCPRIM_400000_NS6detail17trampoline_kernelINS0_14default_configENS1_25partition_config_selectorILNS1_17partition_subalgoE9EllbEEZZNS1_14partition_implILS5_9ELb0ES3_jPlS8_PNS0_10empty_typeENS0_5tupleIJS8_S9_EEENSB_IJS8_SA_EEENS0_18inequality_wrapperIZN2at6native12_GLOBAL__N_124unique_dim_cuda_templateIdEESt5tupleIJNSF_6TensorESK_SK_EERKSK_lbbbEUlllE0_EEPmJS9_EEE10hipError_tPvRmT3_T4_T5_T6_T7_T9_mT8_P12ihipStream_tbDpT10_ENKUlT_T0_E_clISt17integral_constantIbLb1EES19_IbLb0EEEEDaS15_S16_EUlS15_E_NS1_11comp_targetILNS1_3genE2ELNS1_11target_archE906ELNS1_3gpuE6ELNS1_3repE0EEENS1_30default_config_static_selectorELNS0_4arch9wavefront6targetE0EEEvT1_
                                        ; -- End function
	.set _ZN7rocprim17ROCPRIM_400000_NS6detail17trampoline_kernelINS0_14default_configENS1_25partition_config_selectorILNS1_17partition_subalgoE9EllbEEZZNS1_14partition_implILS5_9ELb0ES3_jPlS8_PNS0_10empty_typeENS0_5tupleIJS8_S9_EEENSB_IJS8_SA_EEENS0_18inequality_wrapperIZN2at6native12_GLOBAL__N_124unique_dim_cuda_templateIdEESt5tupleIJNSF_6TensorESK_SK_EERKSK_lbbbEUlllE0_EEPmJS9_EEE10hipError_tPvRmT3_T4_T5_T6_T7_T9_mT8_P12ihipStream_tbDpT10_ENKUlT_T0_E_clISt17integral_constantIbLb1EES19_IbLb0EEEEDaS15_S16_EUlS15_E_NS1_11comp_targetILNS1_3genE2ELNS1_11target_archE906ELNS1_3gpuE6ELNS1_3repE0EEENS1_30default_config_static_selectorELNS0_4arch9wavefront6targetE0EEEvT1_.num_vgpr, 0
	.set _ZN7rocprim17ROCPRIM_400000_NS6detail17trampoline_kernelINS0_14default_configENS1_25partition_config_selectorILNS1_17partition_subalgoE9EllbEEZZNS1_14partition_implILS5_9ELb0ES3_jPlS8_PNS0_10empty_typeENS0_5tupleIJS8_S9_EEENSB_IJS8_SA_EEENS0_18inequality_wrapperIZN2at6native12_GLOBAL__N_124unique_dim_cuda_templateIdEESt5tupleIJNSF_6TensorESK_SK_EERKSK_lbbbEUlllE0_EEPmJS9_EEE10hipError_tPvRmT3_T4_T5_T6_T7_T9_mT8_P12ihipStream_tbDpT10_ENKUlT_T0_E_clISt17integral_constantIbLb1EES19_IbLb0EEEEDaS15_S16_EUlS15_E_NS1_11comp_targetILNS1_3genE2ELNS1_11target_archE906ELNS1_3gpuE6ELNS1_3repE0EEENS1_30default_config_static_selectorELNS0_4arch9wavefront6targetE0EEEvT1_.num_agpr, 0
	.set _ZN7rocprim17ROCPRIM_400000_NS6detail17trampoline_kernelINS0_14default_configENS1_25partition_config_selectorILNS1_17partition_subalgoE9EllbEEZZNS1_14partition_implILS5_9ELb0ES3_jPlS8_PNS0_10empty_typeENS0_5tupleIJS8_S9_EEENSB_IJS8_SA_EEENS0_18inequality_wrapperIZN2at6native12_GLOBAL__N_124unique_dim_cuda_templateIdEESt5tupleIJNSF_6TensorESK_SK_EERKSK_lbbbEUlllE0_EEPmJS9_EEE10hipError_tPvRmT3_T4_T5_T6_T7_T9_mT8_P12ihipStream_tbDpT10_ENKUlT_T0_E_clISt17integral_constantIbLb1EES19_IbLb0EEEEDaS15_S16_EUlS15_E_NS1_11comp_targetILNS1_3genE2ELNS1_11target_archE906ELNS1_3gpuE6ELNS1_3repE0EEENS1_30default_config_static_selectorELNS0_4arch9wavefront6targetE0EEEvT1_.numbered_sgpr, 0
	.set _ZN7rocprim17ROCPRIM_400000_NS6detail17trampoline_kernelINS0_14default_configENS1_25partition_config_selectorILNS1_17partition_subalgoE9EllbEEZZNS1_14partition_implILS5_9ELb0ES3_jPlS8_PNS0_10empty_typeENS0_5tupleIJS8_S9_EEENSB_IJS8_SA_EEENS0_18inequality_wrapperIZN2at6native12_GLOBAL__N_124unique_dim_cuda_templateIdEESt5tupleIJNSF_6TensorESK_SK_EERKSK_lbbbEUlllE0_EEPmJS9_EEE10hipError_tPvRmT3_T4_T5_T6_T7_T9_mT8_P12ihipStream_tbDpT10_ENKUlT_T0_E_clISt17integral_constantIbLb1EES19_IbLb0EEEEDaS15_S16_EUlS15_E_NS1_11comp_targetILNS1_3genE2ELNS1_11target_archE906ELNS1_3gpuE6ELNS1_3repE0EEENS1_30default_config_static_selectorELNS0_4arch9wavefront6targetE0EEEvT1_.num_named_barrier, 0
	.set _ZN7rocprim17ROCPRIM_400000_NS6detail17trampoline_kernelINS0_14default_configENS1_25partition_config_selectorILNS1_17partition_subalgoE9EllbEEZZNS1_14partition_implILS5_9ELb0ES3_jPlS8_PNS0_10empty_typeENS0_5tupleIJS8_S9_EEENSB_IJS8_SA_EEENS0_18inequality_wrapperIZN2at6native12_GLOBAL__N_124unique_dim_cuda_templateIdEESt5tupleIJNSF_6TensorESK_SK_EERKSK_lbbbEUlllE0_EEPmJS9_EEE10hipError_tPvRmT3_T4_T5_T6_T7_T9_mT8_P12ihipStream_tbDpT10_ENKUlT_T0_E_clISt17integral_constantIbLb1EES19_IbLb0EEEEDaS15_S16_EUlS15_E_NS1_11comp_targetILNS1_3genE2ELNS1_11target_archE906ELNS1_3gpuE6ELNS1_3repE0EEENS1_30default_config_static_selectorELNS0_4arch9wavefront6targetE0EEEvT1_.private_seg_size, 0
	.set _ZN7rocprim17ROCPRIM_400000_NS6detail17trampoline_kernelINS0_14default_configENS1_25partition_config_selectorILNS1_17partition_subalgoE9EllbEEZZNS1_14partition_implILS5_9ELb0ES3_jPlS8_PNS0_10empty_typeENS0_5tupleIJS8_S9_EEENSB_IJS8_SA_EEENS0_18inequality_wrapperIZN2at6native12_GLOBAL__N_124unique_dim_cuda_templateIdEESt5tupleIJNSF_6TensorESK_SK_EERKSK_lbbbEUlllE0_EEPmJS9_EEE10hipError_tPvRmT3_T4_T5_T6_T7_T9_mT8_P12ihipStream_tbDpT10_ENKUlT_T0_E_clISt17integral_constantIbLb1EES19_IbLb0EEEEDaS15_S16_EUlS15_E_NS1_11comp_targetILNS1_3genE2ELNS1_11target_archE906ELNS1_3gpuE6ELNS1_3repE0EEENS1_30default_config_static_selectorELNS0_4arch9wavefront6targetE0EEEvT1_.uses_vcc, 0
	.set _ZN7rocprim17ROCPRIM_400000_NS6detail17trampoline_kernelINS0_14default_configENS1_25partition_config_selectorILNS1_17partition_subalgoE9EllbEEZZNS1_14partition_implILS5_9ELb0ES3_jPlS8_PNS0_10empty_typeENS0_5tupleIJS8_S9_EEENSB_IJS8_SA_EEENS0_18inequality_wrapperIZN2at6native12_GLOBAL__N_124unique_dim_cuda_templateIdEESt5tupleIJNSF_6TensorESK_SK_EERKSK_lbbbEUlllE0_EEPmJS9_EEE10hipError_tPvRmT3_T4_T5_T6_T7_T9_mT8_P12ihipStream_tbDpT10_ENKUlT_T0_E_clISt17integral_constantIbLb1EES19_IbLb0EEEEDaS15_S16_EUlS15_E_NS1_11comp_targetILNS1_3genE2ELNS1_11target_archE906ELNS1_3gpuE6ELNS1_3repE0EEENS1_30default_config_static_selectorELNS0_4arch9wavefront6targetE0EEEvT1_.uses_flat_scratch, 0
	.set _ZN7rocprim17ROCPRIM_400000_NS6detail17trampoline_kernelINS0_14default_configENS1_25partition_config_selectorILNS1_17partition_subalgoE9EllbEEZZNS1_14partition_implILS5_9ELb0ES3_jPlS8_PNS0_10empty_typeENS0_5tupleIJS8_S9_EEENSB_IJS8_SA_EEENS0_18inequality_wrapperIZN2at6native12_GLOBAL__N_124unique_dim_cuda_templateIdEESt5tupleIJNSF_6TensorESK_SK_EERKSK_lbbbEUlllE0_EEPmJS9_EEE10hipError_tPvRmT3_T4_T5_T6_T7_T9_mT8_P12ihipStream_tbDpT10_ENKUlT_T0_E_clISt17integral_constantIbLb1EES19_IbLb0EEEEDaS15_S16_EUlS15_E_NS1_11comp_targetILNS1_3genE2ELNS1_11target_archE906ELNS1_3gpuE6ELNS1_3repE0EEENS1_30default_config_static_selectorELNS0_4arch9wavefront6targetE0EEEvT1_.has_dyn_sized_stack, 0
	.set _ZN7rocprim17ROCPRIM_400000_NS6detail17trampoline_kernelINS0_14default_configENS1_25partition_config_selectorILNS1_17partition_subalgoE9EllbEEZZNS1_14partition_implILS5_9ELb0ES3_jPlS8_PNS0_10empty_typeENS0_5tupleIJS8_S9_EEENSB_IJS8_SA_EEENS0_18inequality_wrapperIZN2at6native12_GLOBAL__N_124unique_dim_cuda_templateIdEESt5tupleIJNSF_6TensorESK_SK_EERKSK_lbbbEUlllE0_EEPmJS9_EEE10hipError_tPvRmT3_T4_T5_T6_T7_T9_mT8_P12ihipStream_tbDpT10_ENKUlT_T0_E_clISt17integral_constantIbLb1EES19_IbLb0EEEEDaS15_S16_EUlS15_E_NS1_11comp_targetILNS1_3genE2ELNS1_11target_archE906ELNS1_3gpuE6ELNS1_3repE0EEENS1_30default_config_static_selectorELNS0_4arch9wavefront6targetE0EEEvT1_.has_recursion, 0
	.set _ZN7rocprim17ROCPRIM_400000_NS6detail17trampoline_kernelINS0_14default_configENS1_25partition_config_selectorILNS1_17partition_subalgoE9EllbEEZZNS1_14partition_implILS5_9ELb0ES3_jPlS8_PNS0_10empty_typeENS0_5tupleIJS8_S9_EEENSB_IJS8_SA_EEENS0_18inequality_wrapperIZN2at6native12_GLOBAL__N_124unique_dim_cuda_templateIdEESt5tupleIJNSF_6TensorESK_SK_EERKSK_lbbbEUlllE0_EEPmJS9_EEE10hipError_tPvRmT3_T4_T5_T6_T7_T9_mT8_P12ihipStream_tbDpT10_ENKUlT_T0_E_clISt17integral_constantIbLb1EES19_IbLb0EEEEDaS15_S16_EUlS15_E_NS1_11comp_targetILNS1_3genE2ELNS1_11target_archE906ELNS1_3gpuE6ELNS1_3repE0EEENS1_30default_config_static_selectorELNS0_4arch9wavefront6targetE0EEEvT1_.has_indirect_call, 0
	.section	.AMDGPU.csdata,"",@progbits
; Kernel info:
; codeLenInByte = 0
; TotalNumSgprs: 0
; NumVgprs: 0
; ScratchSize: 0
; MemoryBound: 0
; FloatMode: 240
; IeeeMode: 1
; LDSByteSize: 0 bytes/workgroup (compile time only)
; SGPRBlocks: 0
; VGPRBlocks: 0
; NumSGPRsForWavesPerEU: 1
; NumVGPRsForWavesPerEU: 1
; NamedBarCnt: 0
; Occupancy: 16
; WaveLimiterHint : 0
; COMPUTE_PGM_RSRC2:SCRATCH_EN: 0
; COMPUTE_PGM_RSRC2:USER_SGPR: 2
; COMPUTE_PGM_RSRC2:TRAP_HANDLER: 0
; COMPUTE_PGM_RSRC2:TGID_X_EN: 1
; COMPUTE_PGM_RSRC2:TGID_Y_EN: 0
; COMPUTE_PGM_RSRC2:TGID_Z_EN: 0
; COMPUTE_PGM_RSRC2:TIDIG_COMP_CNT: 0
	.section	.text._ZN7rocprim17ROCPRIM_400000_NS6detail17trampoline_kernelINS0_14default_configENS1_25partition_config_selectorILNS1_17partition_subalgoE9EllbEEZZNS1_14partition_implILS5_9ELb0ES3_jPlS8_PNS0_10empty_typeENS0_5tupleIJS8_S9_EEENSB_IJS8_SA_EEENS0_18inequality_wrapperIZN2at6native12_GLOBAL__N_124unique_dim_cuda_templateIdEESt5tupleIJNSF_6TensorESK_SK_EERKSK_lbbbEUlllE0_EEPmJS9_EEE10hipError_tPvRmT3_T4_T5_T6_T7_T9_mT8_P12ihipStream_tbDpT10_ENKUlT_T0_E_clISt17integral_constantIbLb1EES19_IbLb0EEEEDaS15_S16_EUlS15_E_NS1_11comp_targetILNS1_3genE10ELNS1_11target_archE1200ELNS1_3gpuE4ELNS1_3repE0EEENS1_30default_config_static_selectorELNS0_4arch9wavefront6targetE0EEEvT1_,"axG",@progbits,_ZN7rocprim17ROCPRIM_400000_NS6detail17trampoline_kernelINS0_14default_configENS1_25partition_config_selectorILNS1_17partition_subalgoE9EllbEEZZNS1_14partition_implILS5_9ELb0ES3_jPlS8_PNS0_10empty_typeENS0_5tupleIJS8_S9_EEENSB_IJS8_SA_EEENS0_18inequality_wrapperIZN2at6native12_GLOBAL__N_124unique_dim_cuda_templateIdEESt5tupleIJNSF_6TensorESK_SK_EERKSK_lbbbEUlllE0_EEPmJS9_EEE10hipError_tPvRmT3_T4_T5_T6_T7_T9_mT8_P12ihipStream_tbDpT10_ENKUlT_T0_E_clISt17integral_constantIbLb1EES19_IbLb0EEEEDaS15_S16_EUlS15_E_NS1_11comp_targetILNS1_3genE10ELNS1_11target_archE1200ELNS1_3gpuE4ELNS1_3repE0EEENS1_30default_config_static_selectorELNS0_4arch9wavefront6targetE0EEEvT1_,comdat
	.globl	_ZN7rocprim17ROCPRIM_400000_NS6detail17trampoline_kernelINS0_14default_configENS1_25partition_config_selectorILNS1_17partition_subalgoE9EllbEEZZNS1_14partition_implILS5_9ELb0ES3_jPlS8_PNS0_10empty_typeENS0_5tupleIJS8_S9_EEENSB_IJS8_SA_EEENS0_18inequality_wrapperIZN2at6native12_GLOBAL__N_124unique_dim_cuda_templateIdEESt5tupleIJNSF_6TensorESK_SK_EERKSK_lbbbEUlllE0_EEPmJS9_EEE10hipError_tPvRmT3_T4_T5_T6_T7_T9_mT8_P12ihipStream_tbDpT10_ENKUlT_T0_E_clISt17integral_constantIbLb1EES19_IbLb0EEEEDaS15_S16_EUlS15_E_NS1_11comp_targetILNS1_3genE10ELNS1_11target_archE1200ELNS1_3gpuE4ELNS1_3repE0EEENS1_30default_config_static_selectorELNS0_4arch9wavefront6targetE0EEEvT1_ ; -- Begin function _ZN7rocprim17ROCPRIM_400000_NS6detail17trampoline_kernelINS0_14default_configENS1_25partition_config_selectorILNS1_17partition_subalgoE9EllbEEZZNS1_14partition_implILS5_9ELb0ES3_jPlS8_PNS0_10empty_typeENS0_5tupleIJS8_S9_EEENSB_IJS8_SA_EEENS0_18inequality_wrapperIZN2at6native12_GLOBAL__N_124unique_dim_cuda_templateIdEESt5tupleIJNSF_6TensorESK_SK_EERKSK_lbbbEUlllE0_EEPmJS9_EEE10hipError_tPvRmT3_T4_T5_T6_T7_T9_mT8_P12ihipStream_tbDpT10_ENKUlT_T0_E_clISt17integral_constantIbLb1EES19_IbLb0EEEEDaS15_S16_EUlS15_E_NS1_11comp_targetILNS1_3genE10ELNS1_11target_archE1200ELNS1_3gpuE4ELNS1_3repE0EEENS1_30default_config_static_selectorELNS0_4arch9wavefront6targetE0EEEvT1_
	.p2align	8
	.type	_ZN7rocprim17ROCPRIM_400000_NS6detail17trampoline_kernelINS0_14default_configENS1_25partition_config_selectorILNS1_17partition_subalgoE9EllbEEZZNS1_14partition_implILS5_9ELb0ES3_jPlS8_PNS0_10empty_typeENS0_5tupleIJS8_S9_EEENSB_IJS8_SA_EEENS0_18inequality_wrapperIZN2at6native12_GLOBAL__N_124unique_dim_cuda_templateIdEESt5tupleIJNSF_6TensorESK_SK_EERKSK_lbbbEUlllE0_EEPmJS9_EEE10hipError_tPvRmT3_T4_T5_T6_T7_T9_mT8_P12ihipStream_tbDpT10_ENKUlT_T0_E_clISt17integral_constantIbLb1EES19_IbLb0EEEEDaS15_S16_EUlS15_E_NS1_11comp_targetILNS1_3genE10ELNS1_11target_archE1200ELNS1_3gpuE4ELNS1_3repE0EEENS1_30default_config_static_selectorELNS0_4arch9wavefront6targetE0EEEvT1_,@function
_ZN7rocprim17ROCPRIM_400000_NS6detail17trampoline_kernelINS0_14default_configENS1_25partition_config_selectorILNS1_17partition_subalgoE9EllbEEZZNS1_14partition_implILS5_9ELb0ES3_jPlS8_PNS0_10empty_typeENS0_5tupleIJS8_S9_EEENSB_IJS8_SA_EEENS0_18inequality_wrapperIZN2at6native12_GLOBAL__N_124unique_dim_cuda_templateIdEESt5tupleIJNSF_6TensorESK_SK_EERKSK_lbbbEUlllE0_EEPmJS9_EEE10hipError_tPvRmT3_T4_T5_T6_T7_T9_mT8_P12ihipStream_tbDpT10_ENKUlT_T0_E_clISt17integral_constantIbLb1EES19_IbLb0EEEEDaS15_S16_EUlS15_E_NS1_11comp_targetILNS1_3genE10ELNS1_11target_archE1200ELNS1_3gpuE4ELNS1_3repE0EEENS1_30default_config_static_selectorELNS0_4arch9wavefront6targetE0EEEvT1_: ; @_ZN7rocprim17ROCPRIM_400000_NS6detail17trampoline_kernelINS0_14default_configENS1_25partition_config_selectorILNS1_17partition_subalgoE9EllbEEZZNS1_14partition_implILS5_9ELb0ES3_jPlS8_PNS0_10empty_typeENS0_5tupleIJS8_S9_EEENSB_IJS8_SA_EEENS0_18inequality_wrapperIZN2at6native12_GLOBAL__N_124unique_dim_cuda_templateIdEESt5tupleIJNSF_6TensorESK_SK_EERKSK_lbbbEUlllE0_EEPmJS9_EEE10hipError_tPvRmT3_T4_T5_T6_T7_T9_mT8_P12ihipStream_tbDpT10_ENKUlT_T0_E_clISt17integral_constantIbLb1EES19_IbLb0EEEEDaS15_S16_EUlS15_E_NS1_11comp_targetILNS1_3genE10ELNS1_11target_archE1200ELNS1_3gpuE4ELNS1_3repE0EEENS1_30default_config_static_selectorELNS0_4arch9wavefront6targetE0EEEvT1_
; %bb.0:
	.section	.rodata,"a",@progbits
	.p2align	6, 0x0
	.amdhsa_kernel _ZN7rocprim17ROCPRIM_400000_NS6detail17trampoline_kernelINS0_14default_configENS1_25partition_config_selectorILNS1_17partition_subalgoE9EllbEEZZNS1_14partition_implILS5_9ELb0ES3_jPlS8_PNS0_10empty_typeENS0_5tupleIJS8_S9_EEENSB_IJS8_SA_EEENS0_18inequality_wrapperIZN2at6native12_GLOBAL__N_124unique_dim_cuda_templateIdEESt5tupleIJNSF_6TensorESK_SK_EERKSK_lbbbEUlllE0_EEPmJS9_EEE10hipError_tPvRmT3_T4_T5_T6_T7_T9_mT8_P12ihipStream_tbDpT10_ENKUlT_T0_E_clISt17integral_constantIbLb1EES19_IbLb0EEEEDaS15_S16_EUlS15_E_NS1_11comp_targetILNS1_3genE10ELNS1_11target_archE1200ELNS1_3gpuE4ELNS1_3repE0EEENS1_30default_config_static_selectorELNS0_4arch9wavefront6targetE0EEEvT1_
		.amdhsa_group_segment_fixed_size 0
		.amdhsa_private_segment_fixed_size 0
		.amdhsa_kernarg_size 120
		.amdhsa_user_sgpr_count 2
		.amdhsa_user_sgpr_dispatch_ptr 0
		.amdhsa_user_sgpr_queue_ptr 0
		.amdhsa_user_sgpr_kernarg_segment_ptr 1
		.amdhsa_user_sgpr_dispatch_id 0
		.amdhsa_user_sgpr_kernarg_preload_length 0
		.amdhsa_user_sgpr_kernarg_preload_offset 0
		.amdhsa_user_sgpr_private_segment_size 0
		.amdhsa_wavefront_size32 1
		.amdhsa_uses_dynamic_stack 0
		.amdhsa_enable_private_segment 0
		.amdhsa_system_sgpr_workgroup_id_x 1
		.amdhsa_system_sgpr_workgroup_id_y 0
		.amdhsa_system_sgpr_workgroup_id_z 0
		.amdhsa_system_sgpr_workgroup_info 0
		.amdhsa_system_vgpr_workitem_id 0
		.amdhsa_next_free_vgpr 1
		.amdhsa_next_free_sgpr 1
		.amdhsa_named_barrier_count 0
		.amdhsa_reserve_vcc 0
		.amdhsa_float_round_mode_32 0
		.amdhsa_float_round_mode_16_64 0
		.amdhsa_float_denorm_mode_32 3
		.amdhsa_float_denorm_mode_16_64 3
		.amdhsa_fp16_overflow 0
		.amdhsa_memory_ordered 1
		.amdhsa_forward_progress 1
		.amdhsa_inst_pref_size 0
		.amdhsa_round_robin_scheduling 0
		.amdhsa_exception_fp_ieee_invalid_op 0
		.amdhsa_exception_fp_denorm_src 0
		.amdhsa_exception_fp_ieee_div_zero 0
		.amdhsa_exception_fp_ieee_overflow 0
		.amdhsa_exception_fp_ieee_underflow 0
		.amdhsa_exception_fp_ieee_inexact 0
		.amdhsa_exception_int_div_zero 0
	.end_amdhsa_kernel
	.section	.text._ZN7rocprim17ROCPRIM_400000_NS6detail17trampoline_kernelINS0_14default_configENS1_25partition_config_selectorILNS1_17partition_subalgoE9EllbEEZZNS1_14partition_implILS5_9ELb0ES3_jPlS8_PNS0_10empty_typeENS0_5tupleIJS8_S9_EEENSB_IJS8_SA_EEENS0_18inequality_wrapperIZN2at6native12_GLOBAL__N_124unique_dim_cuda_templateIdEESt5tupleIJNSF_6TensorESK_SK_EERKSK_lbbbEUlllE0_EEPmJS9_EEE10hipError_tPvRmT3_T4_T5_T6_T7_T9_mT8_P12ihipStream_tbDpT10_ENKUlT_T0_E_clISt17integral_constantIbLb1EES19_IbLb0EEEEDaS15_S16_EUlS15_E_NS1_11comp_targetILNS1_3genE10ELNS1_11target_archE1200ELNS1_3gpuE4ELNS1_3repE0EEENS1_30default_config_static_selectorELNS0_4arch9wavefront6targetE0EEEvT1_,"axG",@progbits,_ZN7rocprim17ROCPRIM_400000_NS6detail17trampoline_kernelINS0_14default_configENS1_25partition_config_selectorILNS1_17partition_subalgoE9EllbEEZZNS1_14partition_implILS5_9ELb0ES3_jPlS8_PNS0_10empty_typeENS0_5tupleIJS8_S9_EEENSB_IJS8_SA_EEENS0_18inequality_wrapperIZN2at6native12_GLOBAL__N_124unique_dim_cuda_templateIdEESt5tupleIJNSF_6TensorESK_SK_EERKSK_lbbbEUlllE0_EEPmJS9_EEE10hipError_tPvRmT3_T4_T5_T6_T7_T9_mT8_P12ihipStream_tbDpT10_ENKUlT_T0_E_clISt17integral_constantIbLb1EES19_IbLb0EEEEDaS15_S16_EUlS15_E_NS1_11comp_targetILNS1_3genE10ELNS1_11target_archE1200ELNS1_3gpuE4ELNS1_3repE0EEENS1_30default_config_static_selectorELNS0_4arch9wavefront6targetE0EEEvT1_,comdat
.Lfunc_end860:
	.size	_ZN7rocprim17ROCPRIM_400000_NS6detail17trampoline_kernelINS0_14default_configENS1_25partition_config_selectorILNS1_17partition_subalgoE9EllbEEZZNS1_14partition_implILS5_9ELb0ES3_jPlS8_PNS0_10empty_typeENS0_5tupleIJS8_S9_EEENSB_IJS8_SA_EEENS0_18inequality_wrapperIZN2at6native12_GLOBAL__N_124unique_dim_cuda_templateIdEESt5tupleIJNSF_6TensorESK_SK_EERKSK_lbbbEUlllE0_EEPmJS9_EEE10hipError_tPvRmT3_T4_T5_T6_T7_T9_mT8_P12ihipStream_tbDpT10_ENKUlT_T0_E_clISt17integral_constantIbLb1EES19_IbLb0EEEEDaS15_S16_EUlS15_E_NS1_11comp_targetILNS1_3genE10ELNS1_11target_archE1200ELNS1_3gpuE4ELNS1_3repE0EEENS1_30default_config_static_selectorELNS0_4arch9wavefront6targetE0EEEvT1_, .Lfunc_end860-_ZN7rocprim17ROCPRIM_400000_NS6detail17trampoline_kernelINS0_14default_configENS1_25partition_config_selectorILNS1_17partition_subalgoE9EllbEEZZNS1_14partition_implILS5_9ELb0ES3_jPlS8_PNS0_10empty_typeENS0_5tupleIJS8_S9_EEENSB_IJS8_SA_EEENS0_18inequality_wrapperIZN2at6native12_GLOBAL__N_124unique_dim_cuda_templateIdEESt5tupleIJNSF_6TensorESK_SK_EERKSK_lbbbEUlllE0_EEPmJS9_EEE10hipError_tPvRmT3_T4_T5_T6_T7_T9_mT8_P12ihipStream_tbDpT10_ENKUlT_T0_E_clISt17integral_constantIbLb1EES19_IbLb0EEEEDaS15_S16_EUlS15_E_NS1_11comp_targetILNS1_3genE10ELNS1_11target_archE1200ELNS1_3gpuE4ELNS1_3repE0EEENS1_30default_config_static_selectorELNS0_4arch9wavefront6targetE0EEEvT1_
                                        ; -- End function
	.set _ZN7rocprim17ROCPRIM_400000_NS6detail17trampoline_kernelINS0_14default_configENS1_25partition_config_selectorILNS1_17partition_subalgoE9EllbEEZZNS1_14partition_implILS5_9ELb0ES3_jPlS8_PNS0_10empty_typeENS0_5tupleIJS8_S9_EEENSB_IJS8_SA_EEENS0_18inequality_wrapperIZN2at6native12_GLOBAL__N_124unique_dim_cuda_templateIdEESt5tupleIJNSF_6TensorESK_SK_EERKSK_lbbbEUlllE0_EEPmJS9_EEE10hipError_tPvRmT3_T4_T5_T6_T7_T9_mT8_P12ihipStream_tbDpT10_ENKUlT_T0_E_clISt17integral_constantIbLb1EES19_IbLb0EEEEDaS15_S16_EUlS15_E_NS1_11comp_targetILNS1_3genE10ELNS1_11target_archE1200ELNS1_3gpuE4ELNS1_3repE0EEENS1_30default_config_static_selectorELNS0_4arch9wavefront6targetE0EEEvT1_.num_vgpr, 0
	.set _ZN7rocprim17ROCPRIM_400000_NS6detail17trampoline_kernelINS0_14default_configENS1_25partition_config_selectorILNS1_17partition_subalgoE9EllbEEZZNS1_14partition_implILS5_9ELb0ES3_jPlS8_PNS0_10empty_typeENS0_5tupleIJS8_S9_EEENSB_IJS8_SA_EEENS0_18inequality_wrapperIZN2at6native12_GLOBAL__N_124unique_dim_cuda_templateIdEESt5tupleIJNSF_6TensorESK_SK_EERKSK_lbbbEUlllE0_EEPmJS9_EEE10hipError_tPvRmT3_T4_T5_T6_T7_T9_mT8_P12ihipStream_tbDpT10_ENKUlT_T0_E_clISt17integral_constantIbLb1EES19_IbLb0EEEEDaS15_S16_EUlS15_E_NS1_11comp_targetILNS1_3genE10ELNS1_11target_archE1200ELNS1_3gpuE4ELNS1_3repE0EEENS1_30default_config_static_selectorELNS0_4arch9wavefront6targetE0EEEvT1_.num_agpr, 0
	.set _ZN7rocprim17ROCPRIM_400000_NS6detail17trampoline_kernelINS0_14default_configENS1_25partition_config_selectorILNS1_17partition_subalgoE9EllbEEZZNS1_14partition_implILS5_9ELb0ES3_jPlS8_PNS0_10empty_typeENS0_5tupleIJS8_S9_EEENSB_IJS8_SA_EEENS0_18inequality_wrapperIZN2at6native12_GLOBAL__N_124unique_dim_cuda_templateIdEESt5tupleIJNSF_6TensorESK_SK_EERKSK_lbbbEUlllE0_EEPmJS9_EEE10hipError_tPvRmT3_T4_T5_T6_T7_T9_mT8_P12ihipStream_tbDpT10_ENKUlT_T0_E_clISt17integral_constantIbLb1EES19_IbLb0EEEEDaS15_S16_EUlS15_E_NS1_11comp_targetILNS1_3genE10ELNS1_11target_archE1200ELNS1_3gpuE4ELNS1_3repE0EEENS1_30default_config_static_selectorELNS0_4arch9wavefront6targetE0EEEvT1_.numbered_sgpr, 0
	.set _ZN7rocprim17ROCPRIM_400000_NS6detail17trampoline_kernelINS0_14default_configENS1_25partition_config_selectorILNS1_17partition_subalgoE9EllbEEZZNS1_14partition_implILS5_9ELb0ES3_jPlS8_PNS0_10empty_typeENS0_5tupleIJS8_S9_EEENSB_IJS8_SA_EEENS0_18inequality_wrapperIZN2at6native12_GLOBAL__N_124unique_dim_cuda_templateIdEESt5tupleIJNSF_6TensorESK_SK_EERKSK_lbbbEUlllE0_EEPmJS9_EEE10hipError_tPvRmT3_T4_T5_T6_T7_T9_mT8_P12ihipStream_tbDpT10_ENKUlT_T0_E_clISt17integral_constantIbLb1EES19_IbLb0EEEEDaS15_S16_EUlS15_E_NS1_11comp_targetILNS1_3genE10ELNS1_11target_archE1200ELNS1_3gpuE4ELNS1_3repE0EEENS1_30default_config_static_selectorELNS0_4arch9wavefront6targetE0EEEvT1_.num_named_barrier, 0
	.set _ZN7rocprim17ROCPRIM_400000_NS6detail17trampoline_kernelINS0_14default_configENS1_25partition_config_selectorILNS1_17partition_subalgoE9EllbEEZZNS1_14partition_implILS5_9ELb0ES3_jPlS8_PNS0_10empty_typeENS0_5tupleIJS8_S9_EEENSB_IJS8_SA_EEENS0_18inequality_wrapperIZN2at6native12_GLOBAL__N_124unique_dim_cuda_templateIdEESt5tupleIJNSF_6TensorESK_SK_EERKSK_lbbbEUlllE0_EEPmJS9_EEE10hipError_tPvRmT3_T4_T5_T6_T7_T9_mT8_P12ihipStream_tbDpT10_ENKUlT_T0_E_clISt17integral_constantIbLb1EES19_IbLb0EEEEDaS15_S16_EUlS15_E_NS1_11comp_targetILNS1_3genE10ELNS1_11target_archE1200ELNS1_3gpuE4ELNS1_3repE0EEENS1_30default_config_static_selectorELNS0_4arch9wavefront6targetE0EEEvT1_.private_seg_size, 0
	.set _ZN7rocprim17ROCPRIM_400000_NS6detail17trampoline_kernelINS0_14default_configENS1_25partition_config_selectorILNS1_17partition_subalgoE9EllbEEZZNS1_14partition_implILS5_9ELb0ES3_jPlS8_PNS0_10empty_typeENS0_5tupleIJS8_S9_EEENSB_IJS8_SA_EEENS0_18inequality_wrapperIZN2at6native12_GLOBAL__N_124unique_dim_cuda_templateIdEESt5tupleIJNSF_6TensorESK_SK_EERKSK_lbbbEUlllE0_EEPmJS9_EEE10hipError_tPvRmT3_T4_T5_T6_T7_T9_mT8_P12ihipStream_tbDpT10_ENKUlT_T0_E_clISt17integral_constantIbLb1EES19_IbLb0EEEEDaS15_S16_EUlS15_E_NS1_11comp_targetILNS1_3genE10ELNS1_11target_archE1200ELNS1_3gpuE4ELNS1_3repE0EEENS1_30default_config_static_selectorELNS0_4arch9wavefront6targetE0EEEvT1_.uses_vcc, 0
	.set _ZN7rocprim17ROCPRIM_400000_NS6detail17trampoline_kernelINS0_14default_configENS1_25partition_config_selectorILNS1_17partition_subalgoE9EllbEEZZNS1_14partition_implILS5_9ELb0ES3_jPlS8_PNS0_10empty_typeENS0_5tupleIJS8_S9_EEENSB_IJS8_SA_EEENS0_18inequality_wrapperIZN2at6native12_GLOBAL__N_124unique_dim_cuda_templateIdEESt5tupleIJNSF_6TensorESK_SK_EERKSK_lbbbEUlllE0_EEPmJS9_EEE10hipError_tPvRmT3_T4_T5_T6_T7_T9_mT8_P12ihipStream_tbDpT10_ENKUlT_T0_E_clISt17integral_constantIbLb1EES19_IbLb0EEEEDaS15_S16_EUlS15_E_NS1_11comp_targetILNS1_3genE10ELNS1_11target_archE1200ELNS1_3gpuE4ELNS1_3repE0EEENS1_30default_config_static_selectorELNS0_4arch9wavefront6targetE0EEEvT1_.uses_flat_scratch, 0
	.set _ZN7rocprim17ROCPRIM_400000_NS6detail17trampoline_kernelINS0_14default_configENS1_25partition_config_selectorILNS1_17partition_subalgoE9EllbEEZZNS1_14partition_implILS5_9ELb0ES3_jPlS8_PNS0_10empty_typeENS0_5tupleIJS8_S9_EEENSB_IJS8_SA_EEENS0_18inequality_wrapperIZN2at6native12_GLOBAL__N_124unique_dim_cuda_templateIdEESt5tupleIJNSF_6TensorESK_SK_EERKSK_lbbbEUlllE0_EEPmJS9_EEE10hipError_tPvRmT3_T4_T5_T6_T7_T9_mT8_P12ihipStream_tbDpT10_ENKUlT_T0_E_clISt17integral_constantIbLb1EES19_IbLb0EEEEDaS15_S16_EUlS15_E_NS1_11comp_targetILNS1_3genE10ELNS1_11target_archE1200ELNS1_3gpuE4ELNS1_3repE0EEENS1_30default_config_static_selectorELNS0_4arch9wavefront6targetE0EEEvT1_.has_dyn_sized_stack, 0
	.set _ZN7rocprim17ROCPRIM_400000_NS6detail17trampoline_kernelINS0_14default_configENS1_25partition_config_selectorILNS1_17partition_subalgoE9EllbEEZZNS1_14partition_implILS5_9ELb0ES3_jPlS8_PNS0_10empty_typeENS0_5tupleIJS8_S9_EEENSB_IJS8_SA_EEENS0_18inequality_wrapperIZN2at6native12_GLOBAL__N_124unique_dim_cuda_templateIdEESt5tupleIJNSF_6TensorESK_SK_EERKSK_lbbbEUlllE0_EEPmJS9_EEE10hipError_tPvRmT3_T4_T5_T6_T7_T9_mT8_P12ihipStream_tbDpT10_ENKUlT_T0_E_clISt17integral_constantIbLb1EES19_IbLb0EEEEDaS15_S16_EUlS15_E_NS1_11comp_targetILNS1_3genE10ELNS1_11target_archE1200ELNS1_3gpuE4ELNS1_3repE0EEENS1_30default_config_static_selectorELNS0_4arch9wavefront6targetE0EEEvT1_.has_recursion, 0
	.set _ZN7rocprim17ROCPRIM_400000_NS6detail17trampoline_kernelINS0_14default_configENS1_25partition_config_selectorILNS1_17partition_subalgoE9EllbEEZZNS1_14partition_implILS5_9ELb0ES3_jPlS8_PNS0_10empty_typeENS0_5tupleIJS8_S9_EEENSB_IJS8_SA_EEENS0_18inequality_wrapperIZN2at6native12_GLOBAL__N_124unique_dim_cuda_templateIdEESt5tupleIJNSF_6TensorESK_SK_EERKSK_lbbbEUlllE0_EEPmJS9_EEE10hipError_tPvRmT3_T4_T5_T6_T7_T9_mT8_P12ihipStream_tbDpT10_ENKUlT_T0_E_clISt17integral_constantIbLb1EES19_IbLb0EEEEDaS15_S16_EUlS15_E_NS1_11comp_targetILNS1_3genE10ELNS1_11target_archE1200ELNS1_3gpuE4ELNS1_3repE0EEENS1_30default_config_static_selectorELNS0_4arch9wavefront6targetE0EEEvT1_.has_indirect_call, 0
	.section	.AMDGPU.csdata,"",@progbits
; Kernel info:
; codeLenInByte = 0
; TotalNumSgprs: 0
; NumVgprs: 0
; ScratchSize: 0
; MemoryBound: 0
; FloatMode: 240
; IeeeMode: 1
; LDSByteSize: 0 bytes/workgroup (compile time only)
; SGPRBlocks: 0
; VGPRBlocks: 0
; NumSGPRsForWavesPerEU: 1
; NumVGPRsForWavesPerEU: 1
; NamedBarCnt: 0
; Occupancy: 16
; WaveLimiterHint : 0
; COMPUTE_PGM_RSRC2:SCRATCH_EN: 0
; COMPUTE_PGM_RSRC2:USER_SGPR: 2
; COMPUTE_PGM_RSRC2:TRAP_HANDLER: 0
; COMPUTE_PGM_RSRC2:TGID_X_EN: 1
; COMPUTE_PGM_RSRC2:TGID_Y_EN: 0
; COMPUTE_PGM_RSRC2:TGID_Z_EN: 0
; COMPUTE_PGM_RSRC2:TIDIG_COMP_CNT: 0
	.section	.text._ZN7rocprim17ROCPRIM_400000_NS6detail17trampoline_kernelINS0_14default_configENS1_25partition_config_selectorILNS1_17partition_subalgoE9EllbEEZZNS1_14partition_implILS5_9ELb0ES3_jPlS8_PNS0_10empty_typeENS0_5tupleIJS8_S9_EEENSB_IJS8_SA_EEENS0_18inequality_wrapperIZN2at6native12_GLOBAL__N_124unique_dim_cuda_templateIdEESt5tupleIJNSF_6TensorESK_SK_EERKSK_lbbbEUlllE0_EEPmJS9_EEE10hipError_tPvRmT3_T4_T5_T6_T7_T9_mT8_P12ihipStream_tbDpT10_ENKUlT_T0_E_clISt17integral_constantIbLb1EES19_IbLb0EEEEDaS15_S16_EUlS15_E_NS1_11comp_targetILNS1_3genE9ELNS1_11target_archE1100ELNS1_3gpuE3ELNS1_3repE0EEENS1_30default_config_static_selectorELNS0_4arch9wavefront6targetE0EEEvT1_,"axG",@progbits,_ZN7rocprim17ROCPRIM_400000_NS6detail17trampoline_kernelINS0_14default_configENS1_25partition_config_selectorILNS1_17partition_subalgoE9EllbEEZZNS1_14partition_implILS5_9ELb0ES3_jPlS8_PNS0_10empty_typeENS0_5tupleIJS8_S9_EEENSB_IJS8_SA_EEENS0_18inequality_wrapperIZN2at6native12_GLOBAL__N_124unique_dim_cuda_templateIdEESt5tupleIJNSF_6TensorESK_SK_EERKSK_lbbbEUlllE0_EEPmJS9_EEE10hipError_tPvRmT3_T4_T5_T6_T7_T9_mT8_P12ihipStream_tbDpT10_ENKUlT_T0_E_clISt17integral_constantIbLb1EES19_IbLb0EEEEDaS15_S16_EUlS15_E_NS1_11comp_targetILNS1_3genE9ELNS1_11target_archE1100ELNS1_3gpuE3ELNS1_3repE0EEENS1_30default_config_static_selectorELNS0_4arch9wavefront6targetE0EEEvT1_,comdat
	.globl	_ZN7rocprim17ROCPRIM_400000_NS6detail17trampoline_kernelINS0_14default_configENS1_25partition_config_selectorILNS1_17partition_subalgoE9EllbEEZZNS1_14partition_implILS5_9ELb0ES3_jPlS8_PNS0_10empty_typeENS0_5tupleIJS8_S9_EEENSB_IJS8_SA_EEENS0_18inequality_wrapperIZN2at6native12_GLOBAL__N_124unique_dim_cuda_templateIdEESt5tupleIJNSF_6TensorESK_SK_EERKSK_lbbbEUlllE0_EEPmJS9_EEE10hipError_tPvRmT3_T4_T5_T6_T7_T9_mT8_P12ihipStream_tbDpT10_ENKUlT_T0_E_clISt17integral_constantIbLb1EES19_IbLb0EEEEDaS15_S16_EUlS15_E_NS1_11comp_targetILNS1_3genE9ELNS1_11target_archE1100ELNS1_3gpuE3ELNS1_3repE0EEENS1_30default_config_static_selectorELNS0_4arch9wavefront6targetE0EEEvT1_ ; -- Begin function _ZN7rocprim17ROCPRIM_400000_NS6detail17trampoline_kernelINS0_14default_configENS1_25partition_config_selectorILNS1_17partition_subalgoE9EllbEEZZNS1_14partition_implILS5_9ELb0ES3_jPlS8_PNS0_10empty_typeENS0_5tupleIJS8_S9_EEENSB_IJS8_SA_EEENS0_18inequality_wrapperIZN2at6native12_GLOBAL__N_124unique_dim_cuda_templateIdEESt5tupleIJNSF_6TensorESK_SK_EERKSK_lbbbEUlllE0_EEPmJS9_EEE10hipError_tPvRmT3_T4_T5_T6_T7_T9_mT8_P12ihipStream_tbDpT10_ENKUlT_T0_E_clISt17integral_constantIbLb1EES19_IbLb0EEEEDaS15_S16_EUlS15_E_NS1_11comp_targetILNS1_3genE9ELNS1_11target_archE1100ELNS1_3gpuE3ELNS1_3repE0EEENS1_30default_config_static_selectorELNS0_4arch9wavefront6targetE0EEEvT1_
	.p2align	8
	.type	_ZN7rocprim17ROCPRIM_400000_NS6detail17trampoline_kernelINS0_14default_configENS1_25partition_config_selectorILNS1_17partition_subalgoE9EllbEEZZNS1_14partition_implILS5_9ELb0ES3_jPlS8_PNS0_10empty_typeENS0_5tupleIJS8_S9_EEENSB_IJS8_SA_EEENS0_18inequality_wrapperIZN2at6native12_GLOBAL__N_124unique_dim_cuda_templateIdEESt5tupleIJNSF_6TensorESK_SK_EERKSK_lbbbEUlllE0_EEPmJS9_EEE10hipError_tPvRmT3_T4_T5_T6_T7_T9_mT8_P12ihipStream_tbDpT10_ENKUlT_T0_E_clISt17integral_constantIbLb1EES19_IbLb0EEEEDaS15_S16_EUlS15_E_NS1_11comp_targetILNS1_3genE9ELNS1_11target_archE1100ELNS1_3gpuE3ELNS1_3repE0EEENS1_30default_config_static_selectorELNS0_4arch9wavefront6targetE0EEEvT1_,@function
_ZN7rocprim17ROCPRIM_400000_NS6detail17trampoline_kernelINS0_14default_configENS1_25partition_config_selectorILNS1_17partition_subalgoE9EllbEEZZNS1_14partition_implILS5_9ELb0ES3_jPlS8_PNS0_10empty_typeENS0_5tupleIJS8_S9_EEENSB_IJS8_SA_EEENS0_18inequality_wrapperIZN2at6native12_GLOBAL__N_124unique_dim_cuda_templateIdEESt5tupleIJNSF_6TensorESK_SK_EERKSK_lbbbEUlllE0_EEPmJS9_EEE10hipError_tPvRmT3_T4_T5_T6_T7_T9_mT8_P12ihipStream_tbDpT10_ENKUlT_T0_E_clISt17integral_constantIbLb1EES19_IbLb0EEEEDaS15_S16_EUlS15_E_NS1_11comp_targetILNS1_3genE9ELNS1_11target_archE1100ELNS1_3gpuE3ELNS1_3repE0EEENS1_30default_config_static_selectorELNS0_4arch9wavefront6targetE0EEEvT1_: ; @_ZN7rocprim17ROCPRIM_400000_NS6detail17trampoline_kernelINS0_14default_configENS1_25partition_config_selectorILNS1_17partition_subalgoE9EllbEEZZNS1_14partition_implILS5_9ELb0ES3_jPlS8_PNS0_10empty_typeENS0_5tupleIJS8_S9_EEENSB_IJS8_SA_EEENS0_18inequality_wrapperIZN2at6native12_GLOBAL__N_124unique_dim_cuda_templateIdEESt5tupleIJNSF_6TensorESK_SK_EERKSK_lbbbEUlllE0_EEPmJS9_EEE10hipError_tPvRmT3_T4_T5_T6_T7_T9_mT8_P12ihipStream_tbDpT10_ENKUlT_T0_E_clISt17integral_constantIbLb1EES19_IbLb0EEEEDaS15_S16_EUlS15_E_NS1_11comp_targetILNS1_3genE9ELNS1_11target_archE1100ELNS1_3gpuE3ELNS1_3repE0EEENS1_30default_config_static_selectorELNS0_4arch9wavefront6targetE0EEEvT1_
; %bb.0:
	.section	.rodata,"a",@progbits
	.p2align	6, 0x0
	.amdhsa_kernel _ZN7rocprim17ROCPRIM_400000_NS6detail17trampoline_kernelINS0_14default_configENS1_25partition_config_selectorILNS1_17partition_subalgoE9EllbEEZZNS1_14partition_implILS5_9ELb0ES3_jPlS8_PNS0_10empty_typeENS0_5tupleIJS8_S9_EEENSB_IJS8_SA_EEENS0_18inequality_wrapperIZN2at6native12_GLOBAL__N_124unique_dim_cuda_templateIdEESt5tupleIJNSF_6TensorESK_SK_EERKSK_lbbbEUlllE0_EEPmJS9_EEE10hipError_tPvRmT3_T4_T5_T6_T7_T9_mT8_P12ihipStream_tbDpT10_ENKUlT_T0_E_clISt17integral_constantIbLb1EES19_IbLb0EEEEDaS15_S16_EUlS15_E_NS1_11comp_targetILNS1_3genE9ELNS1_11target_archE1100ELNS1_3gpuE3ELNS1_3repE0EEENS1_30default_config_static_selectorELNS0_4arch9wavefront6targetE0EEEvT1_
		.amdhsa_group_segment_fixed_size 0
		.amdhsa_private_segment_fixed_size 0
		.amdhsa_kernarg_size 120
		.amdhsa_user_sgpr_count 2
		.amdhsa_user_sgpr_dispatch_ptr 0
		.amdhsa_user_sgpr_queue_ptr 0
		.amdhsa_user_sgpr_kernarg_segment_ptr 1
		.amdhsa_user_sgpr_dispatch_id 0
		.amdhsa_user_sgpr_kernarg_preload_length 0
		.amdhsa_user_sgpr_kernarg_preload_offset 0
		.amdhsa_user_sgpr_private_segment_size 0
		.amdhsa_wavefront_size32 1
		.amdhsa_uses_dynamic_stack 0
		.amdhsa_enable_private_segment 0
		.amdhsa_system_sgpr_workgroup_id_x 1
		.amdhsa_system_sgpr_workgroup_id_y 0
		.amdhsa_system_sgpr_workgroup_id_z 0
		.amdhsa_system_sgpr_workgroup_info 0
		.amdhsa_system_vgpr_workitem_id 0
		.amdhsa_next_free_vgpr 1
		.amdhsa_next_free_sgpr 1
		.amdhsa_named_barrier_count 0
		.amdhsa_reserve_vcc 0
		.amdhsa_float_round_mode_32 0
		.amdhsa_float_round_mode_16_64 0
		.amdhsa_float_denorm_mode_32 3
		.amdhsa_float_denorm_mode_16_64 3
		.amdhsa_fp16_overflow 0
		.amdhsa_memory_ordered 1
		.amdhsa_forward_progress 1
		.amdhsa_inst_pref_size 0
		.amdhsa_round_robin_scheduling 0
		.amdhsa_exception_fp_ieee_invalid_op 0
		.amdhsa_exception_fp_denorm_src 0
		.amdhsa_exception_fp_ieee_div_zero 0
		.amdhsa_exception_fp_ieee_overflow 0
		.amdhsa_exception_fp_ieee_underflow 0
		.amdhsa_exception_fp_ieee_inexact 0
		.amdhsa_exception_int_div_zero 0
	.end_amdhsa_kernel
	.section	.text._ZN7rocprim17ROCPRIM_400000_NS6detail17trampoline_kernelINS0_14default_configENS1_25partition_config_selectorILNS1_17partition_subalgoE9EllbEEZZNS1_14partition_implILS5_9ELb0ES3_jPlS8_PNS0_10empty_typeENS0_5tupleIJS8_S9_EEENSB_IJS8_SA_EEENS0_18inequality_wrapperIZN2at6native12_GLOBAL__N_124unique_dim_cuda_templateIdEESt5tupleIJNSF_6TensorESK_SK_EERKSK_lbbbEUlllE0_EEPmJS9_EEE10hipError_tPvRmT3_T4_T5_T6_T7_T9_mT8_P12ihipStream_tbDpT10_ENKUlT_T0_E_clISt17integral_constantIbLb1EES19_IbLb0EEEEDaS15_S16_EUlS15_E_NS1_11comp_targetILNS1_3genE9ELNS1_11target_archE1100ELNS1_3gpuE3ELNS1_3repE0EEENS1_30default_config_static_selectorELNS0_4arch9wavefront6targetE0EEEvT1_,"axG",@progbits,_ZN7rocprim17ROCPRIM_400000_NS6detail17trampoline_kernelINS0_14default_configENS1_25partition_config_selectorILNS1_17partition_subalgoE9EllbEEZZNS1_14partition_implILS5_9ELb0ES3_jPlS8_PNS0_10empty_typeENS0_5tupleIJS8_S9_EEENSB_IJS8_SA_EEENS0_18inequality_wrapperIZN2at6native12_GLOBAL__N_124unique_dim_cuda_templateIdEESt5tupleIJNSF_6TensorESK_SK_EERKSK_lbbbEUlllE0_EEPmJS9_EEE10hipError_tPvRmT3_T4_T5_T6_T7_T9_mT8_P12ihipStream_tbDpT10_ENKUlT_T0_E_clISt17integral_constantIbLb1EES19_IbLb0EEEEDaS15_S16_EUlS15_E_NS1_11comp_targetILNS1_3genE9ELNS1_11target_archE1100ELNS1_3gpuE3ELNS1_3repE0EEENS1_30default_config_static_selectorELNS0_4arch9wavefront6targetE0EEEvT1_,comdat
.Lfunc_end861:
	.size	_ZN7rocprim17ROCPRIM_400000_NS6detail17trampoline_kernelINS0_14default_configENS1_25partition_config_selectorILNS1_17partition_subalgoE9EllbEEZZNS1_14partition_implILS5_9ELb0ES3_jPlS8_PNS0_10empty_typeENS0_5tupleIJS8_S9_EEENSB_IJS8_SA_EEENS0_18inequality_wrapperIZN2at6native12_GLOBAL__N_124unique_dim_cuda_templateIdEESt5tupleIJNSF_6TensorESK_SK_EERKSK_lbbbEUlllE0_EEPmJS9_EEE10hipError_tPvRmT3_T4_T5_T6_T7_T9_mT8_P12ihipStream_tbDpT10_ENKUlT_T0_E_clISt17integral_constantIbLb1EES19_IbLb0EEEEDaS15_S16_EUlS15_E_NS1_11comp_targetILNS1_3genE9ELNS1_11target_archE1100ELNS1_3gpuE3ELNS1_3repE0EEENS1_30default_config_static_selectorELNS0_4arch9wavefront6targetE0EEEvT1_, .Lfunc_end861-_ZN7rocprim17ROCPRIM_400000_NS6detail17trampoline_kernelINS0_14default_configENS1_25partition_config_selectorILNS1_17partition_subalgoE9EllbEEZZNS1_14partition_implILS5_9ELb0ES3_jPlS8_PNS0_10empty_typeENS0_5tupleIJS8_S9_EEENSB_IJS8_SA_EEENS0_18inequality_wrapperIZN2at6native12_GLOBAL__N_124unique_dim_cuda_templateIdEESt5tupleIJNSF_6TensorESK_SK_EERKSK_lbbbEUlllE0_EEPmJS9_EEE10hipError_tPvRmT3_T4_T5_T6_T7_T9_mT8_P12ihipStream_tbDpT10_ENKUlT_T0_E_clISt17integral_constantIbLb1EES19_IbLb0EEEEDaS15_S16_EUlS15_E_NS1_11comp_targetILNS1_3genE9ELNS1_11target_archE1100ELNS1_3gpuE3ELNS1_3repE0EEENS1_30default_config_static_selectorELNS0_4arch9wavefront6targetE0EEEvT1_
                                        ; -- End function
	.set _ZN7rocprim17ROCPRIM_400000_NS6detail17trampoline_kernelINS0_14default_configENS1_25partition_config_selectorILNS1_17partition_subalgoE9EllbEEZZNS1_14partition_implILS5_9ELb0ES3_jPlS8_PNS0_10empty_typeENS0_5tupleIJS8_S9_EEENSB_IJS8_SA_EEENS0_18inequality_wrapperIZN2at6native12_GLOBAL__N_124unique_dim_cuda_templateIdEESt5tupleIJNSF_6TensorESK_SK_EERKSK_lbbbEUlllE0_EEPmJS9_EEE10hipError_tPvRmT3_T4_T5_T6_T7_T9_mT8_P12ihipStream_tbDpT10_ENKUlT_T0_E_clISt17integral_constantIbLb1EES19_IbLb0EEEEDaS15_S16_EUlS15_E_NS1_11comp_targetILNS1_3genE9ELNS1_11target_archE1100ELNS1_3gpuE3ELNS1_3repE0EEENS1_30default_config_static_selectorELNS0_4arch9wavefront6targetE0EEEvT1_.num_vgpr, 0
	.set _ZN7rocprim17ROCPRIM_400000_NS6detail17trampoline_kernelINS0_14default_configENS1_25partition_config_selectorILNS1_17partition_subalgoE9EllbEEZZNS1_14partition_implILS5_9ELb0ES3_jPlS8_PNS0_10empty_typeENS0_5tupleIJS8_S9_EEENSB_IJS8_SA_EEENS0_18inequality_wrapperIZN2at6native12_GLOBAL__N_124unique_dim_cuda_templateIdEESt5tupleIJNSF_6TensorESK_SK_EERKSK_lbbbEUlllE0_EEPmJS9_EEE10hipError_tPvRmT3_T4_T5_T6_T7_T9_mT8_P12ihipStream_tbDpT10_ENKUlT_T0_E_clISt17integral_constantIbLb1EES19_IbLb0EEEEDaS15_S16_EUlS15_E_NS1_11comp_targetILNS1_3genE9ELNS1_11target_archE1100ELNS1_3gpuE3ELNS1_3repE0EEENS1_30default_config_static_selectorELNS0_4arch9wavefront6targetE0EEEvT1_.num_agpr, 0
	.set _ZN7rocprim17ROCPRIM_400000_NS6detail17trampoline_kernelINS0_14default_configENS1_25partition_config_selectorILNS1_17partition_subalgoE9EllbEEZZNS1_14partition_implILS5_9ELb0ES3_jPlS8_PNS0_10empty_typeENS0_5tupleIJS8_S9_EEENSB_IJS8_SA_EEENS0_18inequality_wrapperIZN2at6native12_GLOBAL__N_124unique_dim_cuda_templateIdEESt5tupleIJNSF_6TensorESK_SK_EERKSK_lbbbEUlllE0_EEPmJS9_EEE10hipError_tPvRmT3_T4_T5_T6_T7_T9_mT8_P12ihipStream_tbDpT10_ENKUlT_T0_E_clISt17integral_constantIbLb1EES19_IbLb0EEEEDaS15_S16_EUlS15_E_NS1_11comp_targetILNS1_3genE9ELNS1_11target_archE1100ELNS1_3gpuE3ELNS1_3repE0EEENS1_30default_config_static_selectorELNS0_4arch9wavefront6targetE0EEEvT1_.numbered_sgpr, 0
	.set _ZN7rocprim17ROCPRIM_400000_NS6detail17trampoline_kernelINS0_14default_configENS1_25partition_config_selectorILNS1_17partition_subalgoE9EllbEEZZNS1_14partition_implILS5_9ELb0ES3_jPlS8_PNS0_10empty_typeENS0_5tupleIJS8_S9_EEENSB_IJS8_SA_EEENS0_18inequality_wrapperIZN2at6native12_GLOBAL__N_124unique_dim_cuda_templateIdEESt5tupleIJNSF_6TensorESK_SK_EERKSK_lbbbEUlllE0_EEPmJS9_EEE10hipError_tPvRmT3_T4_T5_T6_T7_T9_mT8_P12ihipStream_tbDpT10_ENKUlT_T0_E_clISt17integral_constantIbLb1EES19_IbLb0EEEEDaS15_S16_EUlS15_E_NS1_11comp_targetILNS1_3genE9ELNS1_11target_archE1100ELNS1_3gpuE3ELNS1_3repE0EEENS1_30default_config_static_selectorELNS0_4arch9wavefront6targetE0EEEvT1_.num_named_barrier, 0
	.set _ZN7rocprim17ROCPRIM_400000_NS6detail17trampoline_kernelINS0_14default_configENS1_25partition_config_selectorILNS1_17partition_subalgoE9EllbEEZZNS1_14partition_implILS5_9ELb0ES3_jPlS8_PNS0_10empty_typeENS0_5tupleIJS8_S9_EEENSB_IJS8_SA_EEENS0_18inequality_wrapperIZN2at6native12_GLOBAL__N_124unique_dim_cuda_templateIdEESt5tupleIJNSF_6TensorESK_SK_EERKSK_lbbbEUlllE0_EEPmJS9_EEE10hipError_tPvRmT3_T4_T5_T6_T7_T9_mT8_P12ihipStream_tbDpT10_ENKUlT_T0_E_clISt17integral_constantIbLb1EES19_IbLb0EEEEDaS15_S16_EUlS15_E_NS1_11comp_targetILNS1_3genE9ELNS1_11target_archE1100ELNS1_3gpuE3ELNS1_3repE0EEENS1_30default_config_static_selectorELNS0_4arch9wavefront6targetE0EEEvT1_.private_seg_size, 0
	.set _ZN7rocprim17ROCPRIM_400000_NS6detail17trampoline_kernelINS0_14default_configENS1_25partition_config_selectorILNS1_17partition_subalgoE9EllbEEZZNS1_14partition_implILS5_9ELb0ES3_jPlS8_PNS0_10empty_typeENS0_5tupleIJS8_S9_EEENSB_IJS8_SA_EEENS0_18inequality_wrapperIZN2at6native12_GLOBAL__N_124unique_dim_cuda_templateIdEESt5tupleIJNSF_6TensorESK_SK_EERKSK_lbbbEUlllE0_EEPmJS9_EEE10hipError_tPvRmT3_T4_T5_T6_T7_T9_mT8_P12ihipStream_tbDpT10_ENKUlT_T0_E_clISt17integral_constantIbLb1EES19_IbLb0EEEEDaS15_S16_EUlS15_E_NS1_11comp_targetILNS1_3genE9ELNS1_11target_archE1100ELNS1_3gpuE3ELNS1_3repE0EEENS1_30default_config_static_selectorELNS0_4arch9wavefront6targetE0EEEvT1_.uses_vcc, 0
	.set _ZN7rocprim17ROCPRIM_400000_NS6detail17trampoline_kernelINS0_14default_configENS1_25partition_config_selectorILNS1_17partition_subalgoE9EllbEEZZNS1_14partition_implILS5_9ELb0ES3_jPlS8_PNS0_10empty_typeENS0_5tupleIJS8_S9_EEENSB_IJS8_SA_EEENS0_18inequality_wrapperIZN2at6native12_GLOBAL__N_124unique_dim_cuda_templateIdEESt5tupleIJNSF_6TensorESK_SK_EERKSK_lbbbEUlllE0_EEPmJS9_EEE10hipError_tPvRmT3_T4_T5_T6_T7_T9_mT8_P12ihipStream_tbDpT10_ENKUlT_T0_E_clISt17integral_constantIbLb1EES19_IbLb0EEEEDaS15_S16_EUlS15_E_NS1_11comp_targetILNS1_3genE9ELNS1_11target_archE1100ELNS1_3gpuE3ELNS1_3repE0EEENS1_30default_config_static_selectorELNS0_4arch9wavefront6targetE0EEEvT1_.uses_flat_scratch, 0
	.set _ZN7rocprim17ROCPRIM_400000_NS6detail17trampoline_kernelINS0_14default_configENS1_25partition_config_selectorILNS1_17partition_subalgoE9EllbEEZZNS1_14partition_implILS5_9ELb0ES3_jPlS8_PNS0_10empty_typeENS0_5tupleIJS8_S9_EEENSB_IJS8_SA_EEENS0_18inequality_wrapperIZN2at6native12_GLOBAL__N_124unique_dim_cuda_templateIdEESt5tupleIJNSF_6TensorESK_SK_EERKSK_lbbbEUlllE0_EEPmJS9_EEE10hipError_tPvRmT3_T4_T5_T6_T7_T9_mT8_P12ihipStream_tbDpT10_ENKUlT_T0_E_clISt17integral_constantIbLb1EES19_IbLb0EEEEDaS15_S16_EUlS15_E_NS1_11comp_targetILNS1_3genE9ELNS1_11target_archE1100ELNS1_3gpuE3ELNS1_3repE0EEENS1_30default_config_static_selectorELNS0_4arch9wavefront6targetE0EEEvT1_.has_dyn_sized_stack, 0
	.set _ZN7rocprim17ROCPRIM_400000_NS6detail17trampoline_kernelINS0_14default_configENS1_25partition_config_selectorILNS1_17partition_subalgoE9EllbEEZZNS1_14partition_implILS5_9ELb0ES3_jPlS8_PNS0_10empty_typeENS0_5tupleIJS8_S9_EEENSB_IJS8_SA_EEENS0_18inequality_wrapperIZN2at6native12_GLOBAL__N_124unique_dim_cuda_templateIdEESt5tupleIJNSF_6TensorESK_SK_EERKSK_lbbbEUlllE0_EEPmJS9_EEE10hipError_tPvRmT3_T4_T5_T6_T7_T9_mT8_P12ihipStream_tbDpT10_ENKUlT_T0_E_clISt17integral_constantIbLb1EES19_IbLb0EEEEDaS15_S16_EUlS15_E_NS1_11comp_targetILNS1_3genE9ELNS1_11target_archE1100ELNS1_3gpuE3ELNS1_3repE0EEENS1_30default_config_static_selectorELNS0_4arch9wavefront6targetE0EEEvT1_.has_recursion, 0
	.set _ZN7rocprim17ROCPRIM_400000_NS6detail17trampoline_kernelINS0_14default_configENS1_25partition_config_selectorILNS1_17partition_subalgoE9EllbEEZZNS1_14partition_implILS5_9ELb0ES3_jPlS8_PNS0_10empty_typeENS0_5tupleIJS8_S9_EEENSB_IJS8_SA_EEENS0_18inequality_wrapperIZN2at6native12_GLOBAL__N_124unique_dim_cuda_templateIdEESt5tupleIJNSF_6TensorESK_SK_EERKSK_lbbbEUlllE0_EEPmJS9_EEE10hipError_tPvRmT3_T4_T5_T6_T7_T9_mT8_P12ihipStream_tbDpT10_ENKUlT_T0_E_clISt17integral_constantIbLb1EES19_IbLb0EEEEDaS15_S16_EUlS15_E_NS1_11comp_targetILNS1_3genE9ELNS1_11target_archE1100ELNS1_3gpuE3ELNS1_3repE0EEENS1_30default_config_static_selectorELNS0_4arch9wavefront6targetE0EEEvT1_.has_indirect_call, 0
	.section	.AMDGPU.csdata,"",@progbits
; Kernel info:
; codeLenInByte = 0
; TotalNumSgprs: 0
; NumVgprs: 0
; ScratchSize: 0
; MemoryBound: 0
; FloatMode: 240
; IeeeMode: 1
; LDSByteSize: 0 bytes/workgroup (compile time only)
; SGPRBlocks: 0
; VGPRBlocks: 0
; NumSGPRsForWavesPerEU: 1
; NumVGPRsForWavesPerEU: 1
; NamedBarCnt: 0
; Occupancy: 16
; WaveLimiterHint : 0
; COMPUTE_PGM_RSRC2:SCRATCH_EN: 0
; COMPUTE_PGM_RSRC2:USER_SGPR: 2
; COMPUTE_PGM_RSRC2:TRAP_HANDLER: 0
; COMPUTE_PGM_RSRC2:TGID_X_EN: 1
; COMPUTE_PGM_RSRC2:TGID_Y_EN: 0
; COMPUTE_PGM_RSRC2:TGID_Z_EN: 0
; COMPUTE_PGM_RSRC2:TIDIG_COMP_CNT: 0
	.section	.text._ZN7rocprim17ROCPRIM_400000_NS6detail17trampoline_kernelINS0_14default_configENS1_25partition_config_selectorILNS1_17partition_subalgoE9EllbEEZZNS1_14partition_implILS5_9ELb0ES3_jPlS8_PNS0_10empty_typeENS0_5tupleIJS8_S9_EEENSB_IJS8_SA_EEENS0_18inequality_wrapperIZN2at6native12_GLOBAL__N_124unique_dim_cuda_templateIdEESt5tupleIJNSF_6TensorESK_SK_EERKSK_lbbbEUlllE0_EEPmJS9_EEE10hipError_tPvRmT3_T4_T5_T6_T7_T9_mT8_P12ihipStream_tbDpT10_ENKUlT_T0_E_clISt17integral_constantIbLb1EES19_IbLb0EEEEDaS15_S16_EUlS15_E_NS1_11comp_targetILNS1_3genE8ELNS1_11target_archE1030ELNS1_3gpuE2ELNS1_3repE0EEENS1_30default_config_static_selectorELNS0_4arch9wavefront6targetE0EEEvT1_,"axG",@progbits,_ZN7rocprim17ROCPRIM_400000_NS6detail17trampoline_kernelINS0_14default_configENS1_25partition_config_selectorILNS1_17partition_subalgoE9EllbEEZZNS1_14partition_implILS5_9ELb0ES3_jPlS8_PNS0_10empty_typeENS0_5tupleIJS8_S9_EEENSB_IJS8_SA_EEENS0_18inequality_wrapperIZN2at6native12_GLOBAL__N_124unique_dim_cuda_templateIdEESt5tupleIJNSF_6TensorESK_SK_EERKSK_lbbbEUlllE0_EEPmJS9_EEE10hipError_tPvRmT3_T4_T5_T6_T7_T9_mT8_P12ihipStream_tbDpT10_ENKUlT_T0_E_clISt17integral_constantIbLb1EES19_IbLb0EEEEDaS15_S16_EUlS15_E_NS1_11comp_targetILNS1_3genE8ELNS1_11target_archE1030ELNS1_3gpuE2ELNS1_3repE0EEENS1_30default_config_static_selectorELNS0_4arch9wavefront6targetE0EEEvT1_,comdat
	.globl	_ZN7rocprim17ROCPRIM_400000_NS6detail17trampoline_kernelINS0_14default_configENS1_25partition_config_selectorILNS1_17partition_subalgoE9EllbEEZZNS1_14partition_implILS5_9ELb0ES3_jPlS8_PNS0_10empty_typeENS0_5tupleIJS8_S9_EEENSB_IJS8_SA_EEENS0_18inequality_wrapperIZN2at6native12_GLOBAL__N_124unique_dim_cuda_templateIdEESt5tupleIJNSF_6TensorESK_SK_EERKSK_lbbbEUlllE0_EEPmJS9_EEE10hipError_tPvRmT3_T4_T5_T6_T7_T9_mT8_P12ihipStream_tbDpT10_ENKUlT_T0_E_clISt17integral_constantIbLb1EES19_IbLb0EEEEDaS15_S16_EUlS15_E_NS1_11comp_targetILNS1_3genE8ELNS1_11target_archE1030ELNS1_3gpuE2ELNS1_3repE0EEENS1_30default_config_static_selectorELNS0_4arch9wavefront6targetE0EEEvT1_ ; -- Begin function _ZN7rocprim17ROCPRIM_400000_NS6detail17trampoline_kernelINS0_14default_configENS1_25partition_config_selectorILNS1_17partition_subalgoE9EllbEEZZNS1_14partition_implILS5_9ELb0ES3_jPlS8_PNS0_10empty_typeENS0_5tupleIJS8_S9_EEENSB_IJS8_SA_EEENS0_18inequality_wrapperIZN2at6native12_GLOBAL__N_124unique_dim_cuda_templateIdEESt5tupleIJNSF_6TensorESK_SK_EERKSK_lbbbEUlllE0_EEPmJS9_EEE10hipError_tPvRmT3_T4_T5_T6_T7_T9_mT8_P12ihipStream_tbDpT10_ENKUlT_T0_E_clISt17integral_constantIbLb1EES19_IbLb0EEEEDaS15_S16_EUlS15_E_NS1_11comp_targetILNS1_3genE8ELNS1_11target_archE1030ELNS1_3gpuE2ELNS1_3repE0EEENS1_30default_config_static_selectorELNS0_4arch9wavefront6targetE0EEEvT1_
	.p2align	8
	.type	_ZN7rocprim17ROCPRIM_400000_NS6detail17trampoline_kernelINS0_14default_configENS1_25partition_config_selectorILNS1_17partition_subalgoE9EllbEEZZNS1_14partition_implILS5_9ELb0ES3_jPlS8_PNS0_10empty_typeENS0_5tupleIJS8_S9_EEENSB_IJS8_SA_EEENS0_18inequality_wrapperIZN2at6native12_GLOBAL__N_124unique_dim_cuda_templateIdEESt5tupleIJNSF_6TensorESK_SK_EERKSK_lbbbEUlllE0_EEPmJS9_EEE10hipError_tPvRmT3_T4_T5_T6_T7_T9_mT8_P12ihipStream_tbDpT10_ENKUlT_T0_E_clISt17integral_constantIbLb1EES19_IbLb0EEEEDaS15_S16_EUlS15_E_NS1_11comp_targetILNS1_3genE8ELNS1_11target_archE1030ELNS1_3gpuE2ELNS1_3repE0EEENS1_30default_config_static_selectorELNS0_4arch9wavefront6targetE0EEEvT1_,@function
_ZN7rocprim17ROCPRIM_400000_NS6detail17trampoline_kernelINS0_14default_configENS1_25partition_config_selectorILNS1_17partition_subalgoE9EllbEEZZNS1_14partition_implILS5_9ELb0ES3_jPlS8_PNS0_10empty_typeENS0_5tupleIJS8_S9_EEENSB_IJS8_SA_EEENS0_18inequality_wrapperIZN2at6native12_GLOBAL__N_124unique_dim_cuda_templateIdEESt5tupleIJNSF_6TensorESK_SK_EERKSK_lbbbEUlllE0_EEPmJS9_EEE10hipError_tPvRmT3_T4_T5_T6_T7_T9_mT8_P12ihipStream_tbDpT10_ENKUlT_T0_E_clISt17integral_constantIbLb1EES19_IbLb0EEEEDaS15_S16_EUlS15_E_NS1_11comp_targetILNS1_3genE8ELNS1_11target_archE1030ELNS1_3gpuE2ELNS1_3repE0EEENS1_30default_config_static_selectorELNS0_4arch9wavefront6targetE0EEEvT1_: ; @_ZN7rocprim17ROCPRIM_400000_NS6detail17trampoline_kernelINS0_14default_configENS1_25partition_config_selectorILNS1_17partition_subalgoE9EllbEEZZNS1_14partition_implILS5_9ELb0ES3_jPlS8_PNS0_10empty_typeENS0_5tupleIJS8_S9_EEENSB_IJS8_SA_EEENS0_18inequality_wrapperIZN2at6native12_GLOBAL__N_124unique_dim_cuda_templateIdEESt5tupleIJNSF_6TensorESK_SK_EERKSK_lbbbEUlllE0_EEPmJS9_EEE10hipError_tPvRmT3_T4_T5_T6_T7_T9_mT8_P12ihipStream_tbDpT10_ENKUlT_T0_E_clISt17integral_constantIbLb1EES19_IbLb0EEEEDaS15_S16_EUlS15_E_NS1_11comp_targetILNS1_3genE8ELNS1_11target_archE1030ELNS1_3gpuE2ELNS1_3repE0EEENS1_30default_config_static_selectorELNS0_4arch9wavefront6targetE0EEEvT1_
; %bb.0:
	.section	.rodata,"a",@progbits
	.p2align	6, 0x0
	.amdhsa_kernel _ZN7rocprim17ROCPRIM_400000_NS6detail17trampoline_kernelINS0_14default_configENS1_25partition_config_selectorILNS1_17partition_subalgoE9EllbEEZZNS1_14partition_implILS5_9ELb0ES3_jPlS8_PNS0_10empty_typeENS0_5tupleIJS8_S9_EEENSB_IJS8_SA_EEENS0_18inequality_wrapperIZN2at6native12_GLOBAL__N_124unique_dim_cuda_templateIdEESt5tupleIJNSF_6TensorESK_SK_EERKSK_lbbbEUlllE0_EEPmJS9_EEE10hipError_tPvRmT3_T4_T5_T6_T7_T9_mT8_P12ihipStream_tbDpT10_ENKUlT_T0_E_clISt17integral_constantIbLb1EES19_IbLb0EEEEDaS15_S16_EUlS15_E_NS1_11comp_targetILNS1_3genE8ELNS1_11target_archE1030ELNS1_3gpuE2ELNS1_3repE0EEENS1_30default_config_static_selectorELNS0_4arch9wavefront6targetE0EEEvT1_
		.amdhsa_group_segment_fixed_size 0
		.amdhsa_private_segment_fixed_size 0
		.amdhsa_kernarg_size 120
		.amdhsa_user_sgpr_count 2
		.amdhsa_user_sgpr_dispatch_ptr 0
		.amdhsa_user_sgpr_queue_ptr 0
		.amdhsa_user_sgpr_kernarg_segment_ptr 1
		.amdhsa_user_sgpr_dispatch_id 0
		.amdhsa_user_sgpr_kernarg_preload_length 0
		.amdhsa_user_sgpr_kernarg_preload_offset 0
		.amdhsa_user_sgpr_private_segment_size 0
		.amdhsa_wavefront_size32 1
		.amdhsa_uses_dynamic_stack 0
		.amdhsa_enable_private_segment 0
		.amdhsa_system_sgpr_workgroup_id_x 1
		.amdhsa_system_sgpr_workgroup_id_y 0
		.amdhsa_system_sgpr_workgroup_id_z 0
		.amdhsa_system_sgpr_workgroup_info 0
		.amdhsa_system_vgpr_workitem_id 0
		.amdhsa_next_free_vgpr 1
		.amdhsa_next_free_sgpr 1
		.amdhsa_named_barrier_count 0
		.amdhsa_reserve_vcc 0
		.amdhsa_float_round_mode_32 0
		.amdhsa_float_round_mode_16_64 0
		.amdhsa_float_denorm_mode_32 3
		.amdhsa_float_denorm_mode_16_64 3
		.amdhsa_fp16_overflow 0
		.amdhsa_memory_ordered 1
		.amdhsa_forward_progress 1
		.amdhsa_inst_pref_size 0
		.amdhsa_round_robin_scheduling 0
		.amdhsa_exception_fp_ieee_invalid_op 0
		.amdhsa_exception_fp_denorm_src 0
		.amdhsa_exception_fp_ieee_div_zero 0
		.amdhsa_exception_fp_ieee_overflow 0
		.amdhsa_exception_fp_ieee_underflow 0
		.amdhsa_exception_fp_ieee_inexact 0
		.amdhsa_exception_int_div_zero 0
	.end_amdhsa_kernel
	.section	.text._ZN7rocprim17ROCPRIM_400000_NS6detail17trampoline_kernelINS0_14default_configENS1_25partition_config_selectorILNS1_17partition_subalgoE9EllbEEZZNS1_14partition_implILS5_9ELb0ES3_jPlS8_PNS0_10empty_typeENS0_5tupleIJS8_S9_EEENSB_IJS8_SA_EEENS0_18inequality_wrapperIZN2at6native12_GLOBAL__N_124unique_dim_cuda_templateIdEESt5tupleIJNSF_6TensorESK_SK_EERKSK_lbbbEUlllE0_EEPmJS9_EEE10hipError_tPvRmT3_T4_T5_T6_T7_T9_mT8_P12ihipStream_tbDpT10_ENKUlT_T0_E_clISt17integral_constantIbLb1EES19_IbLb0EEEEDaS15_S16_EUlS15_E_NS1_11comp_targetILNS1_3genE8ELNS1_11target_archE1030ELNS1_3gpuE2ELNS1_3repE0EEENS1_30default_config_static_selectorELNS0_4arch9wavefront6targetE0EEEvT1_,"axG",@progbits,_ZN7rocprim17ROCPRIM_400000_NS6detail17trampoline_kernelINS0_14default_configENS1_25partition_config_selectorILNS1_17partition_subalgoE9EllbEEZZNS1_14partition_implILS5_9ELb0ES3_jPlS8_PNS0_10empty_typeENS0_5tupleIJS8_S9_EEENSB_IJS8_SA_EEENS0_18inequality_wrapperIZN2at6native12_GLOBAL__N_124unique_dim_cuda_templateIdEESt5tupleIJNSF_6TensorESK_SK_EERKSK_lbbbEUlllE0_EEPmJS9_EEE10hipError_tPvRmT3_T4_T5_T6_T7_T9_mT8_P12ihipStream_tbDpT10_ENKUlT_T0_E_clISt17integral_constantIbLb1EES19_IbLb0EEEEDaS15_S16_EUlS15_E_NS1_11comp_targetILNS1_3genE8ELNS1_11target_archE1030ELNS1_3gpuE2ELNS1_3repE0EEENS1_30default_config_static_selectorELNS0_4arch9wavefront6targetE0EEEvT1_,comdat
.Lfunc_end862:
	.size	_ZN7rocprim17ROCPRIM_400000_NS6detail17trampoline_kernelINS0_14default_configENS1_25partition_config_selectorILNS1_17partition_subalgoE9EllbEEZZNS1_14partition_implILS5_9ELb0ES3_jPlS8_PNS0_10empty_typeENS0_5tupleIJS8_S9_EEENSB_IJS8_SA_EEENS0_18inequality_wrapperIZN2at6native12_GLOBAL__N_124unique_dim_cuda_templateIdEESt5tupleIJNSF_6TensorESK_SK_EERKSK_lbbbEUlllE0_EEPmJS9_EEE10hipError_tPvRmT3_T4_T5_T6_T7_T9_mT8_P12ihipStream_tbDpT10_ENKUlT_T0_E_clISt17integral_constantIbLb1EES19_IbLb0EEEEDaS15_S16_EUlS15_E_NS1_11comp_targetILNS1_3genE8ELNS1_11target_archE1030ELNS1_3gpuE2ELNS1_3repE0EEENS1_30default_config_static_selectorELNS0_4arch9wavefront6targetE0EEEvT1_, .Lfunc_end862-_ZN7rocprim17ROCPRIM_400000_NS6detail17trampoline_kernelINS0_14default_configENS1_25partition_config_selectorILNS1_17partition_subalgoE9EllbEEZZNS1_14partition_implILS5_9ELb0ES3_jPlS8_PNS0_10empty_typeENS0_5tupleIJS8_S9_EEENSB_IJS8_SA_EEENS0_18inequality_wrapperIZN2at6native12_GLOBAL__N_124unique_dim_cuda_templateIdEESt5tupleIJNSF_6TensorESK_SK_EERKSK_lbbbEUlllE0_EEPmJS9_EEE10hipError_tPvRmT3_T4_T5_T6_T7_T9_mT8_P12ihipStream_tbDpT10_ENKUlT_T0_E_clISt17integral_constantIbLb1EES19_IbLb0EEEEDaS15_S16_EUlS15_E_NS1_11comp_targetILNS1_3genE8ELNS1_11target_archE1030ELNS1_3gpuE2ELNS1_3repE0EEENS1_30default_config_static_selectorELNS0_4arch9wavefront6targetE0EEEvT1_
                                        ; -- End function
	.set _ZN7rocprim17ROCPRIM_400000_NS6detail17trampoline_kernelINS0_14default_configENS1_25partition_config_selectorILNS1_17partition_subalgoE9EllbEEZZNS1_14partition_implILS5_9ELb0ES3_jPlS8_PNS0_10empty_typeENS0_5tupleIJS8_S9_EEENSB_IJS8_SA_EEENS0_18inequality_wrapperIZN2at6native12_GLOBAL__N_124unique_dim_cuda_templateIdEESt5tupleIJNSF_6TensorESK_SK_EERKSK_lbbbEUlllE0_EEPmJS9_EEE10hipError_tPvRmT3_T4_T5_T6_T7_T9_mT8_P12ihipStream_tbDpT10_ENKUlT_T0_E_clISt17integral_constantIbLb1EES19_IbLb0EEEEDaS15_S16_EUlS15_E_NS1_11comp_targetILNS1_3genE8ELNS1_11target_archE1030ELNS1_3gpuE2ELNS1_3repE0EEENS1_30default_config_static_selectorELNS0_4arch9wavefront6targetE0EEEvT1_.num_vgpr, 0
	.set _ZN7rocprim17ROCPRIM_400000_NS6detail17trampoline_kernelINS0_14default_configENS1_25partition_config_selectorILNS1_17partition_subalgoE9EllbEEZZNS1_14partition_implILS5_9ELb0ES3_jPlS8_PNS0_10empty_typeENS0_5tupleIJS8_S9_EEENSB_IJS8_SA_EEENS0_18inequality_wrapperIZN2at6native12_GLOBAL__N_124unique_dim_cuda_templateIdEESt5tupleIJNSF_6TensorESK_SK_EERKSK_lbbbEUlllE0_EEPmJS9_EEE10hipError_tPvRmT3_T4_T5_T6_T7_T9_mT8_P12ihipStream_tbDpT10_ENKUlT_T0_E_clISt17integral_constantIbLb1EES19_IbLb0EEEEDaS15_S16_EUlS15_E_NS1_11comp_targetILNS1_3genE8ELNS1_11target_archE1030ELNS1_3gpuE2ELNS1_3repE0EEENS1_30default_config_static_selectorELNS0_4arch9wavefront6targetE0EEEvT1_.num_agpr, 0
	.set _ZN7rocprim17ROCPRIM_400000_NS6detail17trampoline_kernelINS0_14default_configENS1_25partition_config_selectorILNS1_17partition_subalgoE9EllbEEZZNS1_14partition_implILS5_9ELb0ES3_jPlS8_PNS0_10empty_typeENS0_5tupleIJS8_S9_EEENSB_IJS8_SA_EEENS0_18inequality_wrapperIZN2at6native12_GLOBAL__N_124unique_dim_cuda_templateIdEESt5tupleIJNSF_6TensorESK_SK_EERKSK_lbbbEUlllE0_EEPmJS9_EEE10hipError_tPvRmT3_T4_T5_T6_T7_T9_mT8_P12ihipStream_tbDpT10_ENKUlT_T0_E_clISt17integral_constantIbLb1EES19_IbLb0EEEEDaS15_S16_EUlS15_E_NS1_11comp_targetILNS1_3genE8ELNS1_11target_archE1030ELNS1_3gpuE2ELNS1_3repE0EEENS1_30default_config_static_selectorELNS0_4arch9wavefront6targetE0EEEvT1_.numbered_sgpr, 0
	.set _ZN7rocprim17ROCPRIM_400000_NS6detail17trampoline_kernelINS0_14default_configENS1_25partition_config_selectorILNS1_17partition_subalgoE9EllbEEZZNS1_14partition_implILS5_9ELb0ES3_jPlS8_PNS0_10empty_typeENS0_5tupleIJS8_S9_EEENSB_IJS8_SA_EEENS0_18inequality_wrapperIZN2at6native12_GLOBAL__N_124unique_dim_cuda_templateIdEESt5tupleIJNSF_6TensorESK_SK_EERKSK_lbbbEUlllE0_EEPmJS9_EEE10hipError_tPvRmT3_T4_T5_T6_T7_T9_mT8_P12ihipStream_tbDpT10_ENKUlT_T0_E_clISt17integral_constantIbLb1EES19_IbLb0EEEEDaS15_S16_EUlS15_E_NS1_11comp_targetILNS1_3genE8ELNS1_11target_archE1030ELNS1_3gpuE2ELNS1_3repE0EEENS1_30default_config_static_selectorELNS0_4arch9wavefront6targetE0EEEvT1_.num_named_barrier, 0
	.set _ZN7rocprim17ROCPRIM_400000_NS6detail17trampoline_kernelINS0_14default_configENS1_25partition_config_selectorILNS1_17partition_subalgoE9EllbEEZZNS1_14partition_implILS5_9ELb0ES3_jPlS8_PNS0_10empty_typeENS0_5tupleIJS8_S9_EEENSB_IJS8_SA_EEENS0_18inequality_wrapperIZN2at6native12_GLOBAL__N_124unique_dim_cuda_templateIdEESt5tupleIJNSF_6TensorESK_SK_EERKSK_lbbbEUlllE0_EEPmJS9_EEE10hipError_tPvRmT3_T4_T5_T6_T7_T9_mT8_P12ihipStream_tbDpT10_ENKUlT_T0_E_clISt17integral_constantIbLb1EES19_IbLb0EEEEDaS15_S16_EUlS15_E_NS1_11comp_targetILNS1_3genE8ELNS1_11target_archE1030ELNS1_3gpuE2ELNS1_3repE0EEENS1_30default_config_static_selectorELNS0_4arch9wavefront6targetE0EEEvT1_.private_seg_size, 0
	.set _ZN7rocprim17ROCPRIM_400000_NS6detail17trampoline_kernelINS0_14default_configENS1_25partition_config_selectorILNS1_17partition_subalgoE9EllbEEZZNS1_14partition_implILS5_9ELb0ES3_jPlS8_PNS0_10empty_typeENS0_5tupleIJS8_S9_EEENSB_IJS8_SA_EEENS0_18inequality_wrapperIZN2at6native12_GLOBAL__N_124unique_dim_cuda_templateIdEESt5tupleIJNSF_6TensorESK_SK_EERKSK_lbbbEUlllE0_EEPmJS9_EEE10hipError_tPvRmT3_T4_T5_T6_T7_T9_mT8_P12ihipStream_tbDpT10_ENKUlT_T0_E_clISt17integral_constantIbLb1EES19_IbLb0EEEEDaS15_S16_EUlS15_E_NS1_11comp_targetILNS1_3genE8ELNS1_11target_archE1030ELNS1_3gpuE2ELNS1_3repE0EEENS1_30default_config_static_selectorELNS0_4arch9wavefront6targetE0EEEvT1_.uses_vcc, 0
	.set _ZN7rocprim17ROCPRIM_400000_NS6detail17trampoline_kernelINS0_14default_configENS1_25partition_config_selectorILNS1_17partition_subalgoE9EllbEEZZNS1_14partition_implILS5_9ELb0ES3_jPlS8_PNS0_10empty_typeENS0_5tupleIJS8_S9_EEENSB_IJS8_SA_EEENS0_18inequality_wrapperIZN2at6native12_GLOBAL__N_124unique_dim_cuda_templateIdEESt5tupleIJNSF_6TensorESK_SK_EERKSK_lbbbEUlllE0_EEPmJS9_EEE10hipError_tPvRmT3_T4_T5_T6_T7_T9_mT8_P12ihipStream_tbDpT10_ENKUlT_T0_E_clISt17integral_constantIbLb1EES19_IbLb0EEEEDaS15_S16_EUlS15_E_NS1_11comp_targetILNS1_3genE8ELNS1_11target_archE1030ELNS1_3gpuE2ELNS1_3repE0EEENS1_30default_config_static_selectorELNS0_4arch9wavefront6targetE0EEEvT1_.uses_flat_scratch, 0
	.set _ZN7rocprim17ROCPRIM_400000_NS6detail17trampoline_kernelINS0_14default_configENS1_25partition_config_selectorILNS1_17partition_subalgoE9EllbEEZZNS1_14partition_implILS5_9ELb0ES3_jPlS8_PNS0_10empty_typeENS0_5tupleIJS8_S9_EEENSB_IJS8_SA_EEENS0_18inequality_wrapperIZN2at6native12_GLOBAL__N_124unique_dim_cuda_templateIdEESt5tupleIJNSF_6TensorESK_SK_EERKSK_lbbbEUlllE0_EEPmJS9_EEE10hipError_tPvRmT3_T4_T5_T6_T7_T9_mT8_P12ihipStream_tbDpT10_ENKUlT_T0_E_clISt17integral_constantIbLb1EES19_IbLb0EEEEDaS15_S16_EUlS15_E_NS1_11comp_targetILNS1_3genE8ELNS1_11target_archE1030ELNS1_3gpuE2ELNS1_3repE0EEENS1_30default_config_static_selectorELNS0_4arch9wavefront6targetE0EEEvT1_.has_dyn_sized_stack, 0
	.set _ZN7rocprim17ROCPRIM_400000_NS6detail17trampoline_kernelINS0_14default_configENS1_25partition_config_selectorILNS1_17partition_subalgoE9EllbEEZZNS1_14partition_implILS5_9ELb0ES3_jPlS8_PNS0_10empty_typeENS0_5tupleIJS8_S9_EEENSB_IJS8_SA_EEENS0_18inequality_wrapperIZN2at6native12_GLOBAL__N_124unique_dim_cuda_templateIdEESt5tupleIJNSF_6TensorESK_SK_EERKSK_lbbbEUlllE0_EEPmJS9_EEE10hipError_tPvRmT3_T4_T5_T6_T7_T9_mT8_P12ihipStream_tbDpT10_ENKUlT_T0_E_clISt17integral_constantIbLb1EES19_IbLb0EEEEDaS15_S16_EUlS15_E_NS1_11comp_targetILNS1_3genE8ELNS1_11target_archE1030ELNS1_3gpuE2ELNS1_3repE0EEENS1_30default_config_static_selectorELNS0_4arch9wavefront6targetE0EEEvT1_.has_recursion, 0
	.set _ZN7rocprim17ROCPRIM_400000_NS6detail17trampoline_kernelINS0_14default_configENS1_25partition_config_selectorILNS1_17partition_subalgoE9EllbEEZZNS1_14partition_implILS5_9ELb0ES3_jPlS8_PNS0_10empty_typeENS0_5tupleIJS8_S9_EEENSB_IJS8_SA_EEENS0_18inequality_wrapperIZN2at6native12_GLOBAL__N_124unique_dim_cuda_templateIdEESt5tupleIJNSF_6TensorESK_SK_EERKSK_lbbbEUlllE0_EEPmJS9_EEE10hipError_tPvRmT3_T4_T5_T6_T7_T9_mT8_P12ihipStream_tbDpT10_ENKUlT_T0_E_clISt17integral_constantIbLb1EES19_IbLb0EEEEDaS15_S16_EUlS15_E_NS1_11comp_targetILNS1_3genE8ELNS1_11target_archE1030ELNS1_3gpuE2ELNS1_3repE0EEENS1_30default_config_static_selectorELNS0_4arch9wavefront6targetE0EEEvT1_.has_indirect_call, 0
	.section	.AMDGPU.csdata,"",@progbits
; Kernel info:
; codeLenInByte = 0
; TotalNumSgprs: 0
; NumVgprs: 0
; ScratchSize: 0
; MemoryBound: 0
; FloatMode: 240
; IeeeMode: 1
; LDSByteSize: 0 bytes/workgroup (compile time only)
; SGPRBlocks: 0
; VGPRBlocks: 0
; NumSGPRsForWavesPerEU: 1
; NumVGPRsForWavesPerEU: 1
; NamedBarCnt: 0
; Occupancy: 16
; WaveLimiterHint : 0
; COMPUTE_PGM_RSRC2:SCRATCH_EN: 0
; COMPUTE_PGM_RSRC2:USER_SGPR: 2
; COMPUTE_PGM_RSRC2:TRAP_HANDLER: 0
; COMPUTE_PGM_RSRC2:TGID_X_EN: 1
; COMPUTE_PGM_RSRC2:TGID_Y_EN: 0
; COMPUTE_PGM_RSRC2:TGID_Z_EN: 0
; COMPUTE_PGM_RSRC2:TIDIG_COMP_CNT: 0
	.section	.text._ZN7rocprim17ROCPRIM_400000_NS6detail17trampoline_kernelINS0_14default_configENS1_25partition_config_selectorILNS1_17partition_subalgoE9EllbEEZZNS1_14partition_implILS5_9ELb0ES3_jPlS8_PNS0_10empty_typeENS0_5tupleIJS8_S9_EEENSB_IJS8_SA_EEENS0_18inequality_wrapperIZN2at6native12_GLOBAL__N_124unique_dim_cuda_templateIdEESt5tupleIJNSF_6TensorESK_SK_EERKSK_lbbbEUlllE0_EEPmJS9_EEE10hipError_tPvRmT3_T4_T5_T6_T7_T9_mT8_P12ihipStream_tbDpT10_ENKUlT_T0_E_clISt17integral_constantIbLb0EES19_IbLb1EEEEDaS15_S16_EUlS15_E_NS1_11comp_targetILNS1_3genE0ELNS1_11target_archE4294967295ELNS1_3gpuE0ELNS1_3repE0EEENS1_30default_config_static_selectorELNS0_4arch9wavefront6targetE0EEEvT1_,"axG",@progbits,_ZN7rocprim17ROCPRIM_400000_NS6detail17trampoline_kernelINS0_14default_configENS1_25partition_config_selectorILNS1_17partition_subalgoE9EllbEEZZNS1_14partition_implILS5_9ELb0ES3_jPlS8_PNS0_10empty_typeENS0_5tupleIJS8_S9_EEENSB_IJS8_SA_EEENS0_18inequality_wrapperIZN2at6native12_GLOBAL__N_124unique_dim_cuda_templateIdEESt5tupleIJNSF_6TensorESK_SK_EERKSK_lbbbEUlllE0_EEPmJS9_EEE10hipError_tPvRmT3_T4_T5_T6_T7_T9_mT8_P12ihipStream_tbDpT10_ENKUlT_T0_E_clISt17integral_constantIbLb0EES19_IbLb1EEEEDaS15_S16_EUlS15_E_NS1_11comp_targetILNS1_3genE0ELNS1_11target_archE4294967295ELNS1_3gpuE0ELNS1_3repE0EEENS1_30default_config_static_selectorELNS0_4arch9wavefront6targetE0EEEvT1_,comdat
	.globl	_ZN7rocprim17ROCPRIM_400000_NS6detail17trampoline_kernelINS0_14default_configENS1_25partition_config_selectorILNS1_17partition_subalgoE9EllbEEZZNS1_14partition_implILS5_9ELb0ES3_jPlS8_PNS0_10empty_typeENS0_5tupleIJS8_S9_EEENSB_IJS8_SA_EEENS0_18inequality_wrapperIZN2at6native12_GLOBAL__N_124unique_dim_cuda_templateIdEESt5tupleIJNSF_6TensorESK_SK_EERKSK_lbbbEUlllE0_EEPmJS9_EEE10hipError_tPvRmT3_T4_T5_T6_T7_T9_mT8_P12ihipStream_tbDpT10_ENKUlT_T0_E_clISt17integral_constantIbLb0EES19_IbLb1EEEEDaS15_S16_EUlS15_E_NS1_11comp_targetILNS1_3genE0ELNS1_11target_archE4294967295ELNS1_3gpuE0ELNS1_3repE0EEENS1_30default_config_static_selectorELNS0_4arch9wavefront6targetE0EEEvT1_ ; -- Begin function _ZN7rocprim17ROCPRIM_400000_NS6detail17trampoline_kernelINS0_14default_configENS1_25partition_config_selectorILNS1_17partition_subalgoE9EllbEEZZNS1_14partition_implILS5_9ELb0ES3_jPlS8_PNS0_10empty_typeENS0_5tupleIJS8_S9_EEENSB_IJS8_SA_EEENS0_18inequality_wrapperIZN2at6native12_GLOBAL__N_124unique_dim_cuda_templateIdEESt5tupleIJNSF_6TensorESK_SK_EERKSK_lbbbEUlllE0_EEPmJS9_EEE10hipError_tPvRmT3_T4_T5_T6_T7_T9_mT8_P12ihipStream_tbDpT10_ENKUlT_T0_E_clISt17integral_constantIbLb0EES19_IbLb1EEEEDaS15_S16_EUlS15_E_NS1_11comp_targetILNS1_3genE0ELNS1_11target_archE4294967295ELNS1_3gpuE0ELNS1_3repE0EEENS1_30default_config_static_selectorELNS0_4arch9wavefront6targetE0EEEvT1_
	.p2align	8
	.type	_ZN7rocprim17ROCPRIM_400000_NS6detail17trampoline_kernelINS0_14default_configENS1_25partition_config_selectorILNS1_17partition_subalgoE9EllbEEZZNS1_14partition_implILS5_9ELb0ES3_jPlS8_PNS0_10empty_typeENS0_5tupleIJS8_S9_EEENSB_IJS8_SA_EEENS0_18inequality_wrapperIZN2at6native12_GLOBAL__N_124unique_dim_cuda_templateIdEESt5tupleIJNSF_6TensorESK_SK_EERKSK_lbbbEUlllE0_EEPmJS9_EEE10hipError_tPvRmT3_T4_T5_T6_T7_T9_mT8_P12ihipStream_tbDpT10_ENKUlT_T0_E_clISt17integral_constantIbLb0EES19_IbLb1EEEEDaS15_S16_EUlS15_E_NS1_11comp_targetILNS1_3genE0ELNS1_11target_archE4294967295ELNS1_3gpuE0ELNS1_3repE0EEENS1_30default_config_static_selectorELNS0_4arch9wavefront6targetE0EEEvT1_,@function
_ZN7rocprim17ROCPRIM_400000_NS6detail17trampoline_kernelINS0_14default_configENS1_25partition_config_selectorILNS1_17partition_subalgoE9EllbEEZZNS1_14partition_implILS5_9ELb0ES3_jPlS8_PNS0_10empty_typeENS0_5tupleIJS8_S9_EEENSB_IJS8_SA_EEENS0_18inequality_wrapperIZN2at6native12_GLOBAL__N_124unique_dim_cuda_templateIdEESt5tupleIJNSF_6TensorESK_SK_EERKSK_lbbbEUlllE0_EEPmJS9_EEE10hipError_tPvRmT3_T4_T5_T6_T7_T9_mT8_P12ihipStream_tbDpT10_ENKUlT_T0_E_clISt17integral_constantIbLb0EES19_IbLb1EEEEDaS15_S16_EUlS15_E_NS1_11comp_targetILNS1_3genE0ELNS1_11target_archE4294967295ELNS1_3gpuE0ELNS1_3repE0EEENS1_30default_config_static_selectorELNS0_4arch9wavefront6targetE0EEEvT1_: ; @_ZN7rocprim17ROCPRIM_400000_NS6detail17trampoline_kernelINS0_14default_configENS1_25partition_config_selectorILNS1_17partition_subalgoE9EllbEEZZNS1_14partition_implILS5_9ELb0ES3_jPlS8_PNS0_10empty_typeENS0_5tupleIJS8_S9_EEENSB_IJS8_SA_EEENS0_18inequality_wrapperIZN2at6native12_GLOBAL__N_124unique_dim_cuda_templateIdEESt5tupleIJNSF_6TensorESK_SK_EERKSK_lbbbEUlllE0_EEPmJS9_EEE10hipError_tPvRmT3_T4_T5_T6_T7_T9_mT8_P12ihipStream_tbDpT10_ENKUlT_T0_E_clISt17integral_constantIbLb0EES19_IbLb1EEEEDaS15_S16_EUlS15_E_NS1_11comp_targetILNS1_3genE0ELNS1_11target_archE4294967295ELNS1_3gpuE0ELNS1_3repE0EEENS1_30default_config_static_selectorELNS0_4arch9wavefront6targetE0EEEvT1_
; %bb.0:
	s_clause 0x3
	s_load_b128 s[4:7], s[0:1], 0x8
	s_load_b64 s[24:25], s[0:1], 0x18
	s_load_b256 s[12:19], s[0:1], 0x40
	s_load_b128 s[8:11], s[0:1], 0x60
	v_cmp_ne_u32_e64 s3, 0, v0
	v_cmp_eq_u32_e64 s2, 0, v0
	s_and_saveexec_b32 s20, s2
	s_cbranch_execz .LBB863_4
; %bb.1:
	s_mov_b32 s22, exec_lo
	s_mov_b32 s21, exec_lo
	v_mbcnt_lo_u32_b32 v1, s22, 0
                                        ; implicit-def: $vgpr2
	s_delay_alu instid0(VALU_DEP_1)
	v_cmpx_eq_u32_e32 0, v1
	s_cbranch_execz .LBB863_3
; %bb.2:
	s_load_b64 s[26:27], s[0:1], 0x78
	s_bcnt1_i32_b32 s22, s22
	s_delay_alu instid0(SALU_CYCLE_1)
	v_dual_mov_b32 v2, 0 :: v_dual_mov_b32 v3, s22
	s_wait_xcnt 0x0
	s_wait_kmcnt 0x0
	global_atomic_add_u32 v2, v2, v3, s[26:27] th:TH_ATOMIC_RETURN scope:SCOPE_DEV
.LBB863_3:
	s_wait_xcnt 0x0
	s_or_b32 exec_lo, exec_lo, s21
	s_wait_loadcnt 0x0
	v_readfirstlane_b32 s21, v2
	s_delay_alu instid0(VALU_DEP_1)
	v_dual_mov_b32 v2, 0 :: v_dual_add_nc_u32 v1, s21, v1
	ds_store_b32 v2, v1
.LBB863_4:
	s_or_b32 exec_lo, exec_lo, s20
	v_mov_b32_e32 v1, 0
	s_clause 0x1
	s_load_b128 s[20:23], s[0:1], 0x28
	s_load_b32 s28, s[0:1], 0x70
	s_wait_dscnt 0x0
	s_barrier_signal -1
	s_barrier_wait -1
	ds_load_b32 v4, v1
	s_wait_dscnt 0x0
	s_barrier_signal -1
	s_barrier_wait -1
	s_wait_kmcnt 0x0
	global_load_b64 v[2:3], v1, s[14:15]
	s_wait_xcnt 0x0
	s_mov_b32 s15, 0
	s_lshl_b64 s[26:27], s[6:7], 3
	v_lshlrev_b32_e32 v1, 3, v0
	s_add_nc_u64 s[4:5], s[4:5], s[26:27]
	s_mov_b32 s1, -1
	s_mul_i32 s14, s28, 0x280
	s_add_co_i32 s28, s28, -1
	s_add_co_i32 s0, s14, s6
	s_add_nc_u64 s[34:35], s[6:7], s[14:15]
	s_sub_co_i32 s31, s16, s0
	v_readfirstlane_b32 s30, v4
	v_cmp_le_u64_e64 s0, s[16:17], s[34:35]
	s_addk_co_i32 s31, 0x280
	s_cmp_eq_u32 s30, s28
	s_mul_i32 s14, s30, 0x280
	s_cselect_b32 s28, -1, 0
	s_lshl_b64 s[16:17], s[14:15], 3
	s_and_b32 s33, s0, s28
	s_add_nc_u64 s[4:5], s[4:5], s[16:17]
	s_xor_b32 s29, s33, -1
	s_delay_alu instid0(SALU_CYCLE_1)
	s_and_b32 vcc_lo, exec_lo, s29
	s_wait_loadcnt 0x0
	v_readfirstlane_b32 s14, v2
	v_readfirstlane_b32 s15, v3
	s_cbranch_vccz .LBB863_6
; %bb.5:
	s_clause 0x4
	global_load_b64 v[2:3], v0, s[4:5] scale_offset
	global_load_b64 v[4:5], v0, s[4:5] offset:1024 scale_offset
	global_load_b64 v[6:7], v0, s[4:5] offset:2048 scale_offset
	;; [unrolled: 1-line block ×4, first 2 shown]
	v_lshlrev_b32_e32 v12, 3, v0
	s_mov_b32 s1, 0
	s_wait_loadcnt 0x3
	ds_store_2addr_stride64_b64 v12, v[2:3], v[4:5] offset1:2
	s_wait_loadcnt 0x1
	ds_store_2addr_stride64_b64 v12, v[6:7], v[8:9] offset0:4 offset1:6
	s_wait_loadcnt 0x0
	ds_store_b64 v12, v[10:11] offset:4096
	s_wait_dscnt 0x0
	s_barrier_signal -1
	s_barrier_wait -1
.LBB863_6:
	v_cmp_gt_u32_e64 s0, s31, v0
	s_and_not1_b32 vcc_lo, exec_lo, s1
	s_cbranch_vccnz .LBB863_18
; %bb.7:
	v_mov_b32_e32 v2, 0
	s_delay_alu instid0(VALU_DEP_1)
	v_dual_mov_b32 v3, v2 :: v_dual_mov_b32 v4, v2
	v_dual_mov_b32 v5, v2 :: v_dual_mov_b32 v6, v2
	;; [unrolled: 1-line block ×4, first 2 shown]
	v_mov_b32_e32 v11, v2
	s_and_saveexec_b32 s1, s0
	s_cbranch_execz .LBB863_9
; %bb.8:
	global_load_b64 v[4:5], v0, s[4:5] scale_offset
	v_dual_mov_b32 v6, v2 :: v_dual_mov_b32 v7, v2
	v_dual_mov_b32 v8, v2 :: v_dual_mov_b32 v9, v2
	;; [unrolled: 1-line block ×4, first 2 shown]
	s_wait_loadcnt 0x0
	v_mov_b64_e32 v[2:3], v[4:5]
	v_mov_b64_e32 v[4:5], v[6:7]
	v_mov_b64_e32 v[6:7], v[8:9]
	v_mov_b64_e32 v[8:9], v[10:11]
	v_mov_b64_e32 v[10:11], v[12:13]
	v_mov_b64_e32 v[12:13], v[14:15]
	v_mov_b64_e32 v[14:15], v[16:17]
	v_mov_b64_e32 v[16:17], v[18:19]
.LBB863_9:
	s_or_b32 exec_lo, exec_lo, s1
	v_or_b32_e32 v12, 0x80, v0
	s_mov_b32 s0, exec_lo
	s_delay_alu instid0(VALU_DEP_1)
	v_cmpx_gt_u32_e64 s31, v12
	s_cbranch_execz .LBB863_11
; %bb.10:
	global_load_b64 v[4:5], v0, s[4:5] offset:1024 scale_offset
.LBB863_11:
	s_wait_xcnt 0x0
	s_or_b32 exec_lo, exec_lo, s0
	v_or_b32_e32 v12, 0x100, v0
	s_mov_b32 s0, exec_lo
	s_delay_alu instid0(VALU_DEP_1)
	v_cmpx_gt_u32_e64 s31, v12
	s_cbranch_execz .LBB863_13
; %bb.12:
	global_load_b64 v[6:7], v0, s[4:5] offset:2048 scale_offset
.LBB863_13:
	s_wait_xcnt 0x0
	;; [unrolled: 10-line block ×4, first 2 shown]
	s_or_b32 exec_lo, exec_lo, s0
	v_lshlrev_b32_e32 v12, 3, v0
	s_wait_loadcnt 0x0
	ds_store_2addr_stride64_b64 v12, v[2:3], v[4:5] offset1:2
	ds_store_2addr_stride64_b64 v12, v[6:7], v[8:9] offset0:4 offset1:6
	ds_store_b64 v12, v[10:11] offset:4096
	s_wait_dscnt 0x0
	s_barrier_signal -1
	s_barrier_wait -1
.LBB863_18:
	v_mul_u32_u24_e32 v30, 5, v0
	s_add_nc_u64 s[0:1], s[24:25], s[26:27]
	s_and_b32 vcc_lo, exec_lo, s29
	s_add_nc_u64 s[0:1], s[0:1], s[16:17]
	s_delay_alu instid0(VALU_DEP_1)
	v_lshlrev_b32_e32 v31, 3, v30
	s_mov_b32 s16, -1
	ds_load_2addr_b64 v[14:17], v31 offset1:1
	ds_load_2addr_b64 v[10:13], v31 offset0:2 offset1:3
	ds_load_b64 v[20:21], v31 offset:32
	s_wait_dscnt 0x0
	s_barrier_signal -1
	s_barrier_wait -1
	s_cbranch_vccz .LBB863_20
; %bb.19:
	s_clause 0x4
	global_load_b64 v[2:3], v0, s[0:1] scale_offset
	global_load_b64 v[4:5], v0, s[0:1] offset:1024 scale_offset
	global_load_b64 v[6:7], v0, s[0:1] offset:2048 scale_offset
	global_load_b64 v[8:9], v0, s[0:1] offset:3072 scale_offset
	global_load_b64 v[18:19], v0, s[0:1] offset:4096 scale_offset
	v_lshlrev_b32_e32 v22, 3, v0
	s_mov_b32 s16, 0
	s_wait_loadcnt 0x3
	ds_store_2addr_stride64_b64 v22, v[2:3], v[4:5] offset1:2
	s_wait_loadcnt 0x1
	ds_store_2addr_stride64_b64 v22, v[6:7], v[8:9] offset0:4 offset1:6
	s_wait_loadcnt 0x0
	ds_store_b64 v22, v[18:19] offset:4096
	s_wait_dscnt 0x0
	s_barrier_signal -1
	s_barrier_wait -1
.LBB863_20:
	s_and_not1_b32 vcc_lo, exec_lo, s16
	s_cbranch_vccnz .LBB863_32
; %bb.21:
	s_mov_b32 s16, exec_lo
                                        ; implicit-def: $vgpr2_vgpr3
	v_cmpx_gt_u32_e64 s31, v0
	s_cbranch_execz .LBB863_23
; %bb.22:
	global_load_b64 v[2:3], v0, s[0:1] scale_offset
.LBB863_23:
	s_wait_xcnt 0x0
	s_or_b32 exec_lo, exec_lo, s16
	v_or_b32_e32 v4, 0x80, v0
	s_delay_alu instid0(VALU_DEP_1)
	v_cmp_gt_u32_e32 vcc_lo, s31, v4
                                        ; implicit-def: $vgpr4_vgpr5
	s_and_saveexec_b32 s16, vcc_lo
	s_cbranch_execz .LBB863_25
; %bb.24:
	global_load_b64 v[4:5], v0, s[0:1] offset:1024 scale_offset
.LBB863_25:
	s_wait_xcnt 0x0
	s_or_b32 exec_lo, exec_lo, s16
	v_or_b32_e32 v6, 0x100, v0
	s_delay_alu instid0(VALU_DEP_1)
	v_cmp_gt_u32_e32 vcc_lo, s31, v6
                                        ; implicit-def: $vgpr6_vgpr7
	s_and_saveexec_b32 s16, vcc_lo
	s_cbranch_execz .LBB863_27
; %bb.26:
	global_load_b64 v[6:7], v0, s[0:1] offset:2048 scale_offset
.LBB863_27:
	s_wait_xcnt 0x0
	s_or_b32 exec_lo, exec_lo, s16
	v_or_b32_e32 v8, 0x180, v0
	s_delay_alu instid0(VALU_DEP_1)
	v_cmp_gt_u32_e32 vcc_lo, s31, v8
                                        ; implicit-def: $vgpr8_vgpr9
	s_and_saveexec_b32 s16, vcc_lo
	s_cbranch_execz .LBB863_29
; %bb.28:
	global_load_b64 v[8:9], v0, s[0:1] offset:3072 scale_offset
.LBB863_29:
	s_wait_xcnt 0x0
	s_or_b32 exec_lo, exec_lo, s16
	v_or_b32_e32 v18, 0x200, v0
	s_delay_alu instid0(VALU_DEP_1)
	v_cmp_gt_u32_e32 vcc_lo, s31, v18
                                        ; implicit-def: $vgpr18_vgpr19
	s_and_saveexec_b32 s16, vcc_lo
	s_cbranch_execz .LBB863_31
; %bb.30:
	global_load_b64 v[18:19], v0, s[0:1] offset:4096 scale_offset
.LBB863_31:
	s_wait_xcnt 0x0
	s_or_b32 exec_lo, exec_lo, s16
	v_lshlrev_b32_e32 v22, 5, v0
	s_delay_alu instid0(VALU_DEP_1)
	v_sub_nc_u32_e32 v22, v31, v22
	s_wait_loadcnt 0x0
	ds_store_2addr_stride64_b64 v22, v[2:3], v[4:5] offset1:2
	ds_store_2addr_stride64_b64 v22, v[6:7], v[8:9] offset0:4 offset1:6
	ds_store_b64 v22, v[18:19] offset:4096
	s_wait_dscnt 0x0
	s_barrier_signal -1
	s_barrier_wait -1
.LBB863_32:
	ds_load_b64 v[18:19], v31 offset:32
	ds_load_2addr_b64 v[2:5], v31 offset0:2 offset1:3
	ds_load_2addr_b64 v[6:9], v31 offset1:1
	s_cmp_lg_u32 s30, 0
	v_cmp_gt_i64_e64 s17, s[18:19], 0
	s_cselect_b32 s16, -1, 0
	s_cmp_lg_u64 s[6:7], 0
	s_mov_b32 s1, 0
	s_cselect_b32 s0, -1, 0
	s_wait_dscnt 0x0
	s_or_b32 s0, s0, s16
	s_barrier_signal -1
	s_and_b32 vcc_lo, exec_lo, s0
	s_barrier_wait -1
	s_cbranch_vccz .LBB863_44
; %bb.33:
	v_dual_mov_b32 v26, 0 :: v_dual_lshlrev_b32 v33, 3, v0
	v_cndmask_b32_e64 v32, 0, 1, s17
	s_and_b32 vcc_lo, exec_lo, s29
	global_load_b64 v[22:23], v26, s[4:5] offset:-8
	ds_store_b64 v33, v[20:21]
	v_cmp_ne_u32_e64 s0, 1, v32
	s_cbranch_vccz .LBB863_46
; %bb.34:
	s_and_b32 vcc_lo, exec_lo, s0
	s_cbranch_vccnz .LBB863_47
; %bb.35:
	v_mul_u64_e32 v[24:25], s[18:19], v[12:13]
	s_wait_xcnt 0x0
	v_mul_u64_e32 v[26:27], s[18:19], v[20:21]
	s_add_nc_u64 s[4:5], s[18:19], -1
	s_mov_b32 s24, 0
	s_mov_b64 s[6:7], s[4:5]
                                        ; implicit-def: $sgpr1
	s_delay_alu instid0(VALU_DEP_2) | instskip(NEXT) | instid1(VALU_DEP_2)
	v_lshl_add_u64 v[24:25], v[24:25], 3, s[8:9]
	v_lshl_add_u64 v[26:27], v[26:27], 3, s[8:9]
	s_delay_alu instid0(VALU_DEP_2)
	v_mov_b64_e32 v[28:29], v[24:25]
.LBB863_36:                             ; =>This Inner Loop Header: Depth=1
	global_load_b64 v[34:35], v[28:29], off
	global_load_b64 v[36:37], v[26:27], off
	s_cmp_eq_u64 s[6:7], 0
	s_add_nc_u64 s[26:27], s[6:7], -1
	s_cselect_b32 s6, -1, 0
	s_wait_xcnt 0x1
	v_add_nc_u64_e32 v[28:29], 8, v[28:29]
	s_wait_xcnt 0x0
	v_add_nc_u64_e32 v[26:27], 8, v[26:27]
	s_wait_loadcnt 0x0
	v_cmp_neq_f64_e32 vcc_lo, v[34:35], v[36:37]
	v_cmp_eq_f64_e64 s0, v[34:35], v[36:37]
	s_or_b32 s6, vcc_lo, s6
	s_delay_alu instid0(SALU_CYCLE_1) | instskip(NEXT) | instid1(SALU_CYCLE_1)
	s_and_b32 s6, exec_lo, s6
	s_or_b32 s24, s6, s24
	s_and_not1_b32 s1, s1, exec_lo
	s_and_b32 s0, s0, exec_lo
	s_mov_b64 s[6:7], s[26:27]
	s_or_b32 s1, s1, s0
	s_and_not1_b32 exec_lo, exec_lo, s24
	s_cbranch_execnz .LBB863_36
; %bb.37:
	s_or_b32 exec_lo, exec_lo, s24
	v_mul_u64_e32 v[26:27], s[18:19], v[10:11]
	s_mov_b32 s25, 0
	s_mov_b64 s[6:7], s[4:5]
                                        ; implicit-def: $sgpr24
	s_delay_alu instid0(VALU_DEP_1) | instskip(NEXT) | instid1(VALU_DEP_1)
	v_lshl_add_u64 v[26:27], v[26:27], 3, s[8:9]
	v_mov_b64_e32 v[28:29], v[26:27]
.LBB863_38:                             ; =>This Inner Loop Header: Depth=1
	global_load_b64 v[34:35], v[28:29], off
	global_load_b64 v[36:37], v[24:25], off
	s_cmp_eq_u64 s[6:7], 0
	s_add_nc_u64 s[26:27], s[6:7], -1
	s_cselect_b32 s6, -1, 0
	s_wait_xcnt 0x1
	v_add_nc_u64_e32 v[28:29], 8, v[28:29]
	s_wait_xcnt 0x0
	v_add_nc_u64_e32 v[24:25], 8, v[24:25]
	s_wait_loadcnt 0x0
	v_cmp_neq_f64_e32 vcc_lo, v[34:35], v[36:37]
	v_cmp_eq_f64_e64 s0, v[34:35], v[36:37]
	s_or_b32 s6, vcc_lo, s6
	s_delay_alu instid0(SALU_CYCLE_1) | instskip(NEXT) | instid1(SALU_CYCLE_1)
	s_and_b32 s6, exec_lo, s6
	s_or_b32 s25, s6, s25
	s_and_not1_b32 s24, s24, exec_lo
	s_and_b32 s0, s0, exec_lo
	s_mov_b64 s[6:7], s[26:27]
	s_or_b32 s24, s24, s0
	s_and_not1_b32 exec_lo, exec_lo, s25
	s_cbranch_execnz .LBB863_38
; %bb.39:
	s_or_b32 exec_lo, exec_lo, s25
	v_mul_u64_e32 v[24:25], s[18:19], v[16:17]
	s_mov_b32 s26, 0
	s_mov_b64 s[6:7], s[4:5]
                                        ; implicit-def: $sgpr25
	s_delay_alu instid0(VALU_DEP_1) | instskip(NEXT) | instid1(VALU_DEP_1)
	v_lshl_add_u64 v[24:25], v[24:25], 3, s[8:9]
	v_mov_b64_e32 v[28:29], v[24:25]
.LBB863_40:                             ; =>This Inner Loop Header: Depth=1
	global_load_b64 v[34:35], v[28:29], off
	global_load_b64 v[36:37], v[26:27], off
	s_cmp_eq_u64 s[6:7], 0
	s_add_nc_u64 s[34:35], s[6:7], -1
	s_cselect_b32 s6, -1, 0
	s_wait_xcnt 0x1
	v_add_nc_u64_e32 v[28:29], 8, v[28:29]
	s_wait_xcnt 0x0
	v_add_nc_u64_e32 v[26:27], 8, v[26:27]
	s_wait_loadcnt 0x0
	v_cmp_neq_f64_e32 vcc_lo, v[34:35], v[36:37]
	v_cmp_eq_f64_e64 s0, v[34:35], v[36:37]
	s_or_b32 s6, vcc_lo, s6
	s_delay_alu instid0(SALU_CYCLE_1) | instskip(NEXT) | instid1(SALU_CYCLE_1)
	s_and_b32 s6, exec_lo, s6
	s_or_b32 s26, s6, s26
	s_and_not1_b32 s25, s25, exec_lo
	s_and_b32 s0, s0, exec_lo
	s_mov_b64 s[6:7], s[34:35]
	s_or_b32 s25, s25, s0
	s_and_not1_b32 exec_lo, exec_lo, s26
	s_cbranch_execnz .LBB863_40
; %bb.41:
	s_or_b32 exec_lo, exec_lo, s26
	v_mul_u64_e32 v[26:27], s[18:19], v[14:15]
	s_mov_b32 s7, 0
                                        ; implicit-def: $sgpr6
	s_delay_alu instid0(VALU_DEP_1)
	v_lshl_add_u64 v[26:27], v[26:27], 3, s[8:9]
.LBB863_42:                             ; =>This Inner Loop Header: Depth=1
	global_load_b64 v[28:29], v[26:27], off
	global_load_b64 v[34:35], v[24:25], off
	s_cmp_eq_u64 s[4:5], 0
	s_add_nc_u64 s[26:27], s[4:5], -1
	s_cselect_b32 s4, -1, 0
	s_wait_xcnt 0x1
	v_add_nc_u64_e32 v[26:27], 8, v[26:27]
	s_wait_xcnt 0x0
	v_add_nc_u64_e32 v[24:25], 8, v[24:25]
	s_wait_loadcnt 0x0
	v_cmp_neq_f64_e32 vcc_lo, v[28:29], v[34:35]
	v_cmp_eq_f64_e64 s0, v[28:29], v[34:35]
	s_or_b32 s4, vcc_lo, s4
	s_delay_alu instid0(SALU_CYCLE_1) | instskip(NEXT) | instid1(SALU_CYCLE_1)
	s_and_b32 s4, exec_lo, s4
	s_or_b32 s7, s4, s7
	s_and_not1_b32 s6, s6, exec_lo
	s_and_b32 s0, s0, exec_lo
	s_mov_b64 s[4:5], s[26:27]
	s_or_b32 s6, s6, s0
	s_and_not1_b32 exec_lo, exec_lo, s7
	s_cbranch_execnz .LBB863_42
; %bb.43:
	s_or_b32 exec_lo, exec_lo, s7
	s_xor_b32 s0, s24, -1
	s_delay_alu instid0(SALU_CYCLE_1) | instskip(SKIP_1) | instid1(SALU_CYCLE_1)
	v_cndmask_b32_e64 v24, 0, 1, s0
	s_xor_b32 s0, s25, -1
	v_cndmask_b32_e64 v25, 0, 1, s0
	s_xor_b32 s0, s1, -1
	s_delay_alu instid0(VALU_DEP_2) | instskip(SKIP_2) | instid1(VALU_DEP_2)
	v_lshlrev_b16 v24, 8, v24
	v_cndmask_b32_e64 v34, 0, 1, s0
	s_xor_b32 s0, s6, -1
	v_lshrrev_b32_e32 v24, 8, v24
	s_delay_alu instid0(VALU_DEP_1) | instskip(NEXT) | instid1(VALU_DEP_1)
	v_lshlrev_b16 v24, 8, v24
	v_or_b32_e32 v24, v25, v24
	s_delay_alu instid0(VALU_DEP_1)
	v_lshlrev_b32_e32 v26, 16, v24
	s_branch .LBB863_48
.LBB863_44:
                                        ; implicit-def: $sgpr0
                                        ; implicit-def: $vgpr34
                                        ; implicit-def: $vgpr25
	s_branch .LBB863_89
.LBB863_45:
                                        ; implicit-def: $vgpr24
                                        ; implicit-def: $vgpr23
                                        ; implicit-def: $vgpr35
                                        ; implicit-def: $vgpr22
	s_branch .LBB863_142
.LBB863_46:
                                        ; implicit-def: $sgpr0
                                        ; implicit-def: $vgpr34
                                        ; implicit-def: $vgpr25
	s_cbranch_execnz .LBB863_55
	s_branch .LBB863_88
.LBB863_47:
	v_mov_b32_e32 v34, 0
	s_mov_b32 s0, 0
.LBB863_48:
	s_wait_loadcnt 0x0
	v_mov_b64_e32 v[24:25], v[22:23]
	s_wait_dscnt 0x0
	s_barrier_signal -1
	s_barrier_wait -1
	s_and_saveexec_b32 s1, s3
; %bb.49:
	v_add_nc_u32_e32 v24, -8, v33
	ds_load_b64 v[24:25], v24
; %bb.50:
	s_or_b32 exec_lo, exec_lo, s1
	v_cndmask_b32_e64 v27, 0, 1, s0
	v_lshrrev_b32_e32 v28, 16, v26
	s_mov_b32 s1, 0
	s_and_not1_b32 vcc_lo, exec_lo, s17
	s_mov_b32 s0, 0
	v_lshlrev_b16 v27, 8, v27
	v_perm_b32 v28, v28, v26, 0xc0c0304
	s_delay_alu instid0(VALU_DEP_2) | instskip(NEXT) | instid1(VALU_DEP_1)
	v_bitop3_b16 v27, v26, v27, 0xff bitop3:0xec
	v_and_b32_e32 v29, 0xffff, v27
	s_cbranch_vccnz .LBB863_54
; %bb.51:
	s_wait_dscnt 0x0
	v_mul_u64_e32 v[24:25], s[18:19], v[24:25]
	v_mul_u64_e32 v[26:27], s[18:19], v[14:15]
	s_add_nc_u64 s[4:5], s[18:19], -1
	s_mov_b32 s6, 0
                                        ; implicit-def: $sgpr7
	s_delay_alu instid0(VALU_DEP_2) | instskip(NEXT) | instid1(VALU_DEP_2)
	v_lshl_add_u64 v[24:25], v[24:25], 3, s[8:9]
	v_lshl_add_u64 v[26:27], v[26:27], 3, s[8:9]
.LBB863_52:                             ; =>This Inner Loop Header: Depth=1
	global_load_b64 v[36:37], v[24:25], off
	global_load_b64 v[38:39], v[26:27], off
	s_cmp_eq_u64 s[4:5], 0
	s_add_nc_u64 s[24:25], s[4:5], -1
	s_cselect_b32 s4, -1, 0
	s_wait_xcnt 0x1
	v_add_nc_u64_e32 v[24:25], 8, v[24:25]
	s_wait_xcnt 0x0
	v_add_nc_u64_e32 v[26:27], 8, v[26:27]
	s_wait_loadcnt 0x0
	v_cmp_neq_f64_e32 vcc_lo, v[36:37], v[38:39]
	v_cmp_eq_f64_e64 s0, v[36:37], v[38:39]
	s_or_b32 s4, vcc_lo, s4
	s_delay_alu instid0(SALU_CYCLE_1) | instskip(NEXT) | instid1(SALU_CYCLE_1)
	s_and_b32 s4, exec_lo, s4
	s_or_b32 s6, s4, s6
	s_and_not1_b32 s7, s7, exec_lo
	s_and_b32 s0, s0, exec_lo
	s_mov_b64 s[4:5], s[24:25]
	s_or_b32 s7, s7, s0
	s_and_not1_b32 exec_lo, exec_lo, s6
	s_cbranch_execnz .LBB863_52
; %bb.53:
	s_or_b32 exec_lo, exec_lo, s6
	s_xor_b32 s0, s7, -1
.LBB863_54:
	s_wait_dscnt 0x0
	s_delay_alu instid0(VALU_DEP_1)
	v_lshl_or_b32 v25, v28, 16, v29
	s_and_b32 vcc_lo, exec_lo, s1
	s_cbranch_vccz .LBB863_88
.LBB863_55:
	v_add_nc_u32_e32 v24, 4, v30
	s_mov_b32 s6, 0
	s_mov_b32 s1, 0
	s_mov_b32 s7, exec_lo
	s_wait_xcnt 0x0
	v_cmpx_gt_u32_e64 s31, v24
	s_cbranch_execz .LBB863_61
; %bb.56:
	s_and_not1_b32 vcc_lo, exec_lo, s17
	s_mov_b32 s0, 0
	s_cbranch_vccnz .LBB863_60
; %bb.57:
	v_mul_u64_e32 v[24:25], s[18:19], v[12:13]
	v_mul_u64_e32 v[26:27], s[18:19], v[20:21]
	s_add_nc_u64 s[4:5], s[18:19], -1
                                        ; implicit-def: $sgpr17
	s_delay_alu instid0(VALU_DEP_2) | instskip(NEXT) | instid1(VALU_DEP_2)
	v_lshl_add_u64 v[24:25], v[24:25], 3, s[8:9]
	v_lshl_add_u64 v[26:27], v[26:27], 3, s[8:9]
.LBB863_58:                             ; =>This Inner Loop Header: Depth=1
	global_load_b64 v[28:29], v[24:25], off
	global_load_b64 v[34:35], v[26:27], off
	s_cmp_eq_u64 s[4:5], 0
	s_add_nc_u64 s[24:25], s[4:5], -1
	s_cselect_b32 s4, -1, 0
	s_wait_xcnt 0x1
	v_add_nc_u64_e32 v[24:25], 8, v[24:25]
	s_wait_xcnt 0x0
	v_add_nc_u64_e32 v[26:27], 8, v[26:27]
	s_wait_loadcnt 0x0
	v_cmp_neq_f64_e32 vcc_lo, v[28:29], v[34:35]
	v_cmp_eq_f64_e64 s0, v[28:29], v[34:35]
	s_or_b32 s4, vcc_lo, s4
	s_delay_alu instid0(SALU_CYCLE_1) | instskip(NEXT) | instid1(SALU_CYCLE_1)
	s_and_b32 s4, exec_lo, s4
	s_or_b32 s1, s4, s1
	s_and_not1_b32 s17, s17, exec_lo
	s_and_b32 s0, s0, exec_lo
	s_mov_b64 s[4:5], s[24:25]
	s_or_b32 s17, s17, s0
	s_and_not1_b32 exec_lo, exec_lo, s1
	s_cbranch_execnz .LBB863_58
; %bb.59:
	s_or_b32 exec_lo, exec_lo, s1
	s_xor_b32 s0, s17, -1
.LBB863_60:
	s_delay_alu instid0(SALU_CYCLE_1)
	s_and_b32 s1, s0, exec_lo
.LBB863_61:
	s_or_b32 exec_lo, exec_lo, s7
	v_add_nc_u32_e32 v24, 3, v30
	s_mov_b32 s7, exec_lo
	s_delay_alu instid0(VALU_DEP_1)
	v_cmpx_gt_u32_e64 s31, v24
	s_cbranch_execz .LBB863_67
; %bb.62:
	v_cmp_ne_u32_e32 vcc_lo, 1, v32
	s_mov_b32 s0, 0
	s_cbranch_vccnz .LBB863_66
; %bb.63:
	v_mul_u64_e32 v[24:25], s[18:19], v[10:11]
	v_mul_u64_e32 v[26:27], s[18:19], v[12:13]
	s_add_nc_u64 s[4:5], s[18:19], -1
	s_mov_b32 s6, 0
                                        ; implicit-def: $sgpr17
	s_delay_alu instid0(VALU_DEP_2) | instskip(NEXT) | instid1(VALU_DEP_2)
	v_lshl_add_u64 v[24:25], v[24:25], 3, s[8:9]
	v_lshl_add_u64 v[26:27], v[26:27], 3, s[8:9]
.LBB863_64:                             ; =>This Inner Loop Header: Depth=1
	global_load_b64 v[28:29], v[24:25], off
	global_load_b64 v[34:35], v[26:27], off
	s_cmp_eq_u64 s[4:5], 0
	s_add_nc_u64 s[24:25], s[4:5], -1
	s_cselect_b32 s4, -1, 0
	s_wait_xcnt 0x1
	v_add_nc_u64_e32 v[24:25], 8, v[24:25]
	s_wait_xcnt 0x0
	v_add_nc_u64_e32 v[26:27], 8, v[26:27]
	s_wait_loadcnt 0x0
	v_cmp_neq_f64_e32 vcc_lo, v[28:29], v[34:35]
	v_cmp_eq_f64_e64 s0, v[28:29], v[34:35]
	s_or_b32 s4, vcc_lo, s4
	s_delay_alu instid0(SALU_CYCLE_1) | instskip(NEXT) | instid1(SALU_CYCLE_1)
	s_and_b32 s4, exec_lo, s4
	s_or_b32 s6, s4, s6
	s_and_not1_b32 s17, s17, exec_lo
	s_and_b32 s0, s0, exec_lo
	s_mov_b64 s[4:5], s[24:25]
	s_or_b32 s17, s17, s0
	s_and_not1_b32 exec_lo, exec_lo, s6
	s_cbranch_execnz .LBB863_64
; %bb.65:
	s_or_b32 exec_lo, exec_lo, s6
	s_xor_b32 s0, s17, -1
.LBB863_66:
	s_delay_alu instid0(SALU_CYCLE_1)
	s_and_b32 s6, s0, exec_lo
.LBB863_67:
	s_or_b32 exec_lo, exec_lo, s7
	v_add_nc_u32_e32 v24, 2, v30
	s_mov_b32 s7, 0
	s_mov_b32 s17, 0
	s_mov_b32 s24, exec_lo
	s_delay_alu instid0(VALU_DEP_1)
	v_cmpx_gt_u32_e64 s31, v24
	s_cbranch_execz .LBB863_73
; %bb.68:
	v_cmp_ne_u32_e32 vcc_lo, 1, v32
	s_mov_b32 s0, 0
	s_cbranch_vccnz .LBB863_72
; %bb.69:
	v_mul_u64_e32 v[24:25], s[18:19], v[16:17]
	v_mul_u64_e32 v[26:27], s[18:19], v[10:11]
	s_add_nc_u64 s[4:5], s[18:19], -1
                                        ; implicit-def: $sgpr25
	s_delay_alu instid0(VALU_DEP_2) | instskip(NEXT) | instid1(VALU_DEP_2)
	v_lshl_add_u64 v[24:25], v[24:25], 3, s[8:9]
	v_lshl_add_u64 v[26:27], v[26:27], 3, s[8:9]
.LBB863_70:                             ; =>This Inner Loop Header: Depth=1
	global_load_b64 v[28:29], v[24:25], off
	global_load_b64 v[34:35], v[26:27], off
	s_cmp_eq_u64 s[4:5], 0
	s_add_nc_u64 s[26:27], s[4:5], -1
	s_cselect_b32 s4, -1, 0
	s_wait_xcnt 0x1
	v_add_nc_u64_e32 v[24:25], 8, v[24:25]
	s_wait_xcnt 0x0
	v_add_nc_u64_e32 v[26:27], 8, v[26:27]
	s_wait_loadcnt 0x0
	v_cmp_neq_f64_e32 vcc_lo, v[28:29], v[34:35]
	v_cmp_eq_f64_e64 s0, v[28:29], v[34:35]
	s_or_b32 s4, vcc_lo, s4
	s_delay_alu instid0(SALU_CYCLE_1) | instskip(NEXT) | instid1(SALU_CYCLE_1)
	s_and_b32 s4, exec_lo, s4
	s_or_b32 s17, s4, s17
	s_and_not1_b32 s25, s25, exec_lo
	s_and_b32 s0, s0, exec_lo
	s_mov_b64 s[4:5], s[26:27]
	s_or_b32 s25, s25, s0
	s_and_not1_b32 exec_lo, exec_lo, s17
	s_cbranch_execnz .LBB863_70
; %bb.71:
	s_or_b32 exec_lo, exec_lo, s17
	s_xor_b32 s0, s25, -1
.LBB863_72:
	s_delay_alu instid0(SALU_CYCLE_1)
	s_and_b32 s17, s0, exec_lo
.LBB863_73:
	s_or_b32 exec_lo, exec_lo, s24
	v_add_nc_u32_e32 v24, 1, v30
	s_mov_b32 s24, exec_lo
	s_delay_alu instid0(VALU_DEP_1)
	v_cmpx_gt_u32_e64 s31, v24
	s_cbranch_execz .LBB863_79
; %bb.74:
	v_cmp_ne_u32_e32 vcc_lo, 1, v32
	s_mov_b32 s0, 0
	s_cbranch_vccnz .LBB863_78
; %bb.75:
	v_mul_u64_e32 v[24:25], s[18:19], v[14:15]
	v_mul_u64_e32 v[26:27], s[18:19], v[16:17]
	s_add_nc_u64 s[4:5], s[18:19], -1
	s_mov_b32 s7, 0
                                        ; implicit-def: $sgpr25
	s_delay_alu instid0(VALU_DEP_2) | instskip(NEXT) | instid1(VALU_DEP_2)
	v_lshl_add_u64 v[24:25], v[24:25], 3, s[8:9]
	v_lshl_add_u64 v[26:27], v[26:27], 3, s[8:9]
.LBB863_76:                             ; =>This Inner Loop Header: Depth=1
	global_load_b64 v[28:29], v[24:25], off
	global_load_b64 v[34:35], v[26:27], off
	s_cmp_eq_u64 s[4:5], 0
	s_add_nc_u64 s[26:27], s[4:5], -1
	s_cselect_b32 s4, -1, 0
	s_wait_xcnt 0x1
	v_add_nc_u64_e32 v[24:25], 8, v[24:25]
	s_wait_xcnt 0x0
	v_add_nc_u64_e32 v[26:27], 8, v[26:27]
	s_wait_loadcnt 0x0
	v_cmp_neq_f64_e32 vcc_lo, v[28:29], v[34:35]
	v_cmp_eq_f64_e64 s0, v[28:29], v[34:35]
	s_or_b32 s4, vcc_lo, s4
	s_delay_alu instid0(SALU_CYCLE_1) | instskip(NEXT) | instid1(SALU_CYCLE_1)
	s_and_b32 s4, exec_lo, s4
	s_or_b32 s7, s4, s7
	s_and_not1_b32 s25, s25, exec_lo
	s_and_b32 s0, s0, exec_lo
	s_mov_b64 s[4:5], s[26:27]
	s_or_b32 s25, s25, s0
	s_and_not1_b32 exec_lo, exec_lo, s7
	s_cbranch_execnz .LBB863_76
; %bb.77:
	s_or_b32 exec_lo, exec_lo, s7
	s_xor_b32 s0, s25, -1
.LBB863_78:
	s_delay_alu instid0(SALU_CYCLE_1)
	s_and_b32 s7, s0, exec_lo
.LBB863_79:
	s_or_b32 exec_lo, exec_lo, s24
	s_wait_loadcnt_dscnt 0x0
	s_barrier_signal -1
	s_barrier_wait -1
	s_and_saveexec_b32 s0, s3
; %bb.80:
	v_add_nc_u32_e32 v22, -8, v33
	ds_load_b64 v[22:23], v22
; %bb.81:
	s_or_b32 exec_lo, exec_lo, s0
	v_cndmask_b32_e64 v24, 0, 1, s6
	v_cndmask_b32_e64 v25, 0, 1, s17
	;; [unrolled: 1-line block ×3, first 2 shown]
	s_mov_b32 s0, 0
	s_mov_b32 s6, exec_lo
	v_lshlrev_b16 v24, 8, v24
	s_delay_alu instid0(VALU_DEP_2) | instskip(NEXT) | instid1(VALU_DEP_2)
	v_lshlrev_b16 v26, 8, v26
	v_or_b32_e32 v24, v25, v24
	s_delay_alu instid0(VALU_DEP_2) | instskip(NEXT) | instid1(VALU_DEP_2)
	v_and_b32_e32 v26, 0xffff, v26
	v_lshlrev_b32_e32 v27, 16, v24
	v_cmpx_gt_u32_e64 s31, v30
	s_cbranch_execz .LBB863_87
; %bb.82:
	v_cmp_ne_u32_e32 vcc_lo, 1, v32
	s_cbranch_vccnz .LBB863_86
; %bb.83:
	s_wait_dscnt 0x0
	v_mul_u64_e32 v[22:23], s[18:19], v[22:23]
	v_mul_u64_e32 v[24:25], s[18:19], v[14:15]
	s_add_nc_u64 s[4:5], s[18:19], -1
	s_mov_b32 s7, 0
                                        ; implicit-def: $sgpr17
	s_delay_alu instid0(VALU_DEP_2) | instskip(NEXT) | instid1(VALU_DEP_2)
	v_lshl_add_u64 v[22:23], v[22:23], 3, s[8:9]
	v_lshl_add_u64 v[24:25], v[24:25], 3, s[8:9]
.LBB863_84:                             ; =>This Inner Loop Header: Depth=1
	global_load_b64 v[28:29], v[22:23], off
	global_load_b64 v[32:33], v[24:25], off
	s_cmp_eq_u64 s[4:5], 0
	s_add_nc_u64 s[24:25], s[4:5], -1
	s_cselect_b32 s4, -1, 0
	s_wait_xcnt 0x1
	v_add_nc_u64_e32 v[22:23], 8, v[22:23]
	s_wait_xcnt 0x0
	v_add_nc_u64_e32 v[24:25], 8, v[24:25]
	s_wait_loadcnt 0x0
	v_cmp_neq_f64_e32 vcc_lo, v[28:29], v[32:33]
	v_cmp_eq_f64_e64 s0, v[28:29], v[32:33]
	s_or_b32 s4, vcc_lo, s4
	s_delay_alu instid0(SALU_CYCLE_1) | instskip(NEXT) | instid1(SALU_CYCLE_1)
	s_and_b32 s4, exec_lo, s4
	s_or_b32 s7, s4, s7
	s_and_not1_b32 s17, s17, exec_lo
	s_and_b32 s0, s0, exec_lo
	s_mov_b64 s[4:5], s[24:25]
	s_or_b32 s17, s17, s0
	s_and_not1_b32 exec_lo, exec_lo, s7
	s_cbranch_execnz .LBB863_84
; %bb.85:
	s_or_b32 exec_lo, exec_lo, s7
	s_xor_b32 s0, s17, -1
.LBB863_86:
	s_delay_alu instid0(SALU_CYCLE_1)
	s_and_b32 s0, s0, exec_lo
.LBB863_87:
	s_or_b32 exec_lo, exec_lo, s6
	v_cndmask_b32_e64 v34, 0, 1, s1
	v_or_b32_e32 v25, v26, v27
.LBB863_88:
	s_wait_xcnt 0x0
	s_mov_b32 s1, -1
	s_cbranch_execnz .LBB863_45
.LBB863_89:
	s_wait_loadcnt_dscnt 0x0
	v_lshlrev_b32_e32 v22, 5, v0
	v_cmp_gt_i64_e64 s17, s[18:19], 0
	s_and_b32 vcc_lo, exec_lo, s29
	v_sub_nc_u32_e32 v31, v31, v22
	ds_store_b64 v31, v[20:21]
	s_cbranch_vccz .LBB863_100
; %bb.90:
	s_and_not1_b32 vcc_lo, exec_lo, s17
	s_cbranch_vccnz .LBB863_101
; %bb.91:
	v_mul_u64_e32 v[22:23], s[18:19], v[12:13]
	v_mul_u64_e32 v[24:25], s[18:19], v[20:21]
	s_add_nc_u64 s[4:5], s[18:19], -1
	s_mov_b32 s25, 0
	s_mov_b64 s[6:7], s[4:5]
                                        ; implicit-def: $sgpr24
	s_delay_alu instid0(VALU_DEP_2) | instskip(NEXT) | instid1(VALU_DEP_2)
	v_lshl_add_u64 v[22:23], v[22:23], 3, s[8:9]
	v_lshl_add_u64 v[24:25], v[24:25], 3, s[8:9]
	s_delay_alu instid0(VALU_DEP_2)
	v_mov_b64_e32 v[26:27], v[22:23]
.LBB863_92:                             ; =>This Inner Loop Header: Depth=1
	global_load_b64 v[28:29], v[26:27], off
	global_load_b64 v[32:33], v[24:25], off
	s_cmp_eq_u64 s[6:7], 0
	s_add_nc_u64 s[26:27], s[6:7], -1
	s_cselect_b32 s6, -1, 0
	s_wait_xcnt 0x1
	v_add_nc_u64_e32 v[26:27], 8, v[26:27]
	s_wait_xcnt 0x0
	v_add_nc_u64_e32 v[24:25], 8, v[24:25]
	s_wait_loadcnt 0x0
	v_cmp_neq_f64_e32 vcc_lo, v[28:29], v[32:33]
	v_cmp_eq_f64_e64 s0, v[28:29], v[32:33]
	s_or_b32 s6, vcc_lo, s6
	s_delay_alu instid0(SALU_CYCLE_1) | instskip(NEXT) | instid1(SALU_CYCLE_1)
	s_and_b32 s6, exec_lo, s6
	s_or_b32 s25, s6, s25
	s_and_not1_b32 s24, s24, exec_lo
	s_and_b32 s0, s0, exec_lo
	s_mov_b64 s[6:7], s[26:27]
	s_or_b32 s24, s24, s0
	s_and_not1_b32 exec_lo, exec_lo, s25
	s_cbranch_execnz .LBB863_92
; %bb.93:
	s_or_b32 exec_lo, exec_lo, s25
	v_mul_u64_e32 v[24:25], s[18:19], v[10:11]
	s_mov_b32 s26, 0
	s_mov_b64 s[6:7], s[4:5]
                                        ; implicit-def: $sgpr25
	s_delay_alu instid0(VALU_DEP_1) | instskip(NEXT) | instid1(VALU_DEP_1)
	v_lshl_add_u64 v[24:25], v[24:25], 3, s[8:9]
	v_mov_b64_e32 v[26:27], v[24:25]
.LBB863_94:                             ; =>This Inner Loop Header: Depth=1
	global_load_b64 v[28:29], v[26:27], off
	global_load_b64 v[32:33], v[22:23], off
	s_cmp_eq_u64 s[6:7], 0
	s_add_nc_u64 s[34:35], s[6:7], -1
	s_cselect_b32 s6, -1, 0
	s_wait_xcnt 0x1
	v_add_nc_u64_e32 v[26:27], 8, v[26:27]
	s_wait_xcnt 0x0
	v_add_nc_u64_e32 v[22:23], 8, v[22:23]
	s_wait_loadcnt 0x0
	v_cmp_neq_f64_e32 vcc_lo, v[28:29], v[32:33]
	v_cmp_eq_f64_e64 s0, v[28:29], v[32:33]
	s_or_b32 s6, vcc_lo, s6
	s_delay_alu instid0(SALU_CYCLE_1) | instskip(NEXT) | instid1(SALU_CYCLE_1)
	s_and_b32 s6, exec_lo, s6
	s_or_b32 s26, s6, s26
	s_and_not1_b32 s25, s25, exec_lo
	s_and_b32 s0, s0, exec_lo
	s_mov_b64 s[6:7], s[34:35]
	s_or_b32 s25, s25, s0
	s_and_not1_b32 exec_lo, exec_lo, s26
	s_cbranch_execnz .LBB863_94
; %bb.95:
	s_or_b32 exec_lo, exec_lo, s26
	v_mul_u64_e32 v[22:23], s[18:19], v[16:17]
	s_mov_b32 s27, 0
	s_mov_b64 s[6:7], s[4:5]
                                        ; implicit-def: $sgpr26
	s_delay_alu instid0(VALU_DEP_1) | instskip(NEXT) | instid1(VALU_DEP_1)
	v_lshl_add_u64 v[22:23], v[22:23], 3, s[8:9]
	v_mov_b64_e32 v[26:27], v[22:23]
.LBB863_96:                             ; =>This Inner Loop Header: Depth=1
	global_load_b64 v[28:29], v[26:27], off
	global_load_b64 v[32:33], v[24:25], off
	s_cmp_eq_u64 s[6:7], 0
	s_add_nc_u64 s[34:35], s[6:7], -1
	s_cselect_b32 s6, -1, 0
	s_wait_xcnt 0x1
	v_add_nc_u64_e32 v[26:27], 8, v[26:27]
	s_wait_xcnt 0x0
	v_add_nc_u64_e32 v[24:25], 8, v[24:25]
	s_wait_loadcnt 0x0
	v_cmp_neq_f64_e32 vcc_lo, v[28:29], v[32:33]
	v_cmp_eq_f64_e64 s0, v[28:29], v[32:33]
	s_or_b32 s6, vcc_lo, s6
	s_delay_alu instid0(SALU_CYCLE_1) | instskip(NEXT) | instid1(SALU_CYCLE_1)
	s_and_b32 s6, exec_lo, s6
	s_or_b32 s27, s6, s27
	s_and_not1_b32 s26, s26, exec_lo
	s_and_b32 s0, s0, exec_lo
	s_mov_b64 s[6:7], s[34:35]
	s_or_b32 s26, s26, s0
	s_and_not1_b32 exec_lo, exec_lo, s27
	s_cbranch_execnz .LBB863_96
; %bb.97:
	s_or_b32 exec_lo, exec_lo, s27
	v_mul_u64_e32 v[24:25], s[18:19], v[14:15]
	s_mov_b32 s7, 0
                                        ; implicit-def: $sgpr6
	s_delay_alu instid0(VALU_DEP_1)
	v_lshl_add_u64 v[24:25], v[24:25], 3, s[8:9]
.LBB863_98:                             ; =>This Inner Loop Header: Depth=1
	global_load_b64 v[26:27], v[24:25], off
	global_load_b64 v[28:29], v[22:23], off
	s_cmp_eq_u64 s[4:5], 0
	s_add_nc_u64 s[34:35], s[4:5], -1
	s_cselect_b32 s4, -1, 0
	s_wait_xcnt 0x1
	v_add_nc_u64_e32 v[24:25], 8, v[24:25]
	s_wait_xcnt 0x0
	v_add_nc_u64_e32 v[22:23], 8, v[22:23]
	s_wait_loadcnt 0x0
	v_cmp_neq_f64_e32 vcc_lo, v[26:27], v[28:29]
	v_cmp_eq_f64_e64 s0, v[26:27], v[28:29]
	s_or_b32 s4, vcc_lo, s4
	s_delay_alu instid0(SALU_CYCLE_1) | instskip(NEXT) | instid1(SALU_CYCLE_1)
	s_and_b32 s4, exec_lo, s4
	s_or_b32 s7, s4, s7
	s_and_not1_b32 s6, s6, exec_lo
	s_and_b32 s0, s0, exec_lo
	s_mov_b64 s[4:5], s[34:35]
	s_or_b32 s6, s6, s0
	s_and_not1_b32 exec_lo, exec_lo, s7
	s_cbranch_execnz .LBB863_98
; %bb.99:
	s_or_b32 exec_lo, exec_lo, s7
	s_xor_b32 s0, s25, -1
	s_delay_alu instid0(SALU_CYCLE_1) | instskip(SKIP_1) | instid1(SALU_CYCLE_1)
	v_cndmask_b32_e64 v22, 0, 1, s0
	s_xor_b32 s0, s26, -1
	v_cndmask_b32_e64 v23, 0, 1, s0
	s_xor_b32 s0, s24, -1
	s_delay_alu instid0(VALU_DEP_2) | instskip(SKIP_2) | instid1(VALU_DEP_2)
	v_lshlrev_b16 v22, 8, v22
	v_cndmask_b32_e64 v34, 0, 1, s0
	s_xor_b32 s0, s6, -1
	v_lshrrev_b32_e32 v22, 8, v22
	s_delay_alu instid0(VALU_DEP_1) | instskip(NEXT) | instid1(VALU_DEP_1)
	v_lshlrev_b16 v22, 8, v22
	v_or_b32_e32 v22, v23, v22
	s_delay_alu instid0(VALU_DEP_1)
	v_lshlrev_b32_e32 v22, 16, v22
	s_branch .LBB863_102
.LBB863_100:
                                        ; implicit-def: $sgpr0
                                        ; implicit-def: $vgpr34
                                        ; implicit-def: $vgpr25
                                        ; implicit-def: $vgpr24
                                        ; implicit-def: $vgpr23
                                        ; implicit-def: $vgpr35
                                        ; implicit-def: $vgpr22
	s_cbranch_execnz .LBB863_109
	s_branch .LBB863_142
.LBB863_101:
	v_dual_mov_b32 v22, 0 :: v_dual_mov_b32 v34, 0
	s_mov_b32 s0, 0
.LBB863_102:
	s_delay_alu instid0(VALU_DEP_1)
	v_dual_lshrrev_b32 v35, 16, v22 :: v_dual_lshrrev_b32 v22, 24, v22
	v_cndmask_b32_e64 v23, 0, 1, s0
	v_mov_b32_e32 v24, 1
	s_wait_dscnt 0x0
	s_barrier_signal -1
	s_barrier_wait -1
                                        ; implicit-def: $sgpr0
                                        ; implicit-def: $vgpr25
	s_and_saveexec_b32 s4, s3
	s_delay_alu instid0(SALU_CYCLE_1)
	s_xor_b32 s6, exec_lo, s4
	s_cbranch_execz .LBB863_108
; %bb.103:
	v_lshlrev_b16 v25, 8, v22
	v_lshlrev_b16 v26, 8, v23
	s_and_not1_b32 vcc_lo, exec_lo, s17
	s_mov_b32 s0, 0
	s_delay_alu instid0(VALU_DEP_2) | instskip(NEXT) | instid1(VALU_DEP_1)
	v_bitop3_b16 v25, v35, v25, 0xff bitop3:0xec
	v_dual_lshlrev_b32 v25, 16, v25 :: v_dual_bitop2_b32 v26, 1, v26 bitop3:0x54
	s_delay_alu instid0(VALU_DEP_1) | instskip(NEXT) | instid1(VALU_DEP_1)
	v_and_b32_e32 v26, 0xffff, v26
	v_or_b32_e32 v25, v26, v25
	s_cbranch_vccnz .LBB863_107
; %bb.104:
	v_add_nc_u32_e32 v26, -8, v31
	v_mul_u64_e32 v[28:29], s[18:19], v[14:15]
	s_add_nc_u64 s[4:5], s[18:19], -1
	s_mov_b32 s7, 0
                                        ; implicit-def: $sgpr24
	ds_load_b64 v[26:27], v26
	s_wait_dscnt 0x0
	v_mul_u64_e32 v[26:27], s[18:19], v[26:27]
	v_lshl_add_u64 v[28:29], v[28:29], 3, s[8:9]
	s_delay_alu instid0(VALU_DEP_2)
	v_lshl_add_u64 v[26:27], v[26:27], 3, s[8:9]
.LBB863_105:                            ; =>This Inner Loop Header: Depth=1
	global_load_b64 v[32:33], v[26:27], off
	global_load_b64 v[36:37], v[28:29], off
	s_cmp_eq_u64 s[4:5], 0
	s_add_nc_u64 s[26:27], s[4:5], -1
	s_cselect_b32 s4, -1, 0
	s_wait_xcnt 0x1
	v_add_nc_u64_e32 v[26:27], 8, v[26:27]
	s_wait_xcnt 0x0
	v_add_nc_u64_e32 v[28:29], 8, v[28:29]
	s_wait_loadcnt 0x0
	v_cmp_neq_f64_e32 vcc_lo, v[32:33], v[36:37]
	v_cmp_eq_f64_e64 s0, v[32:33], v[36:37]
	s_or_b32 s4, vcc_lo, s4
	s_delay_alu instid0(SALU_CYCLE_1) | instskip(NEXT) | instid1(SALU_CYCLE_1)
	s_and_b32 s4, exec_lo, s4
	s_or_b32 s7, s4, s7
	s_and_not1_b32 s24, s24, exec_lo
	s_and_b32 s0, s0, exec_lo
	s_mov_b64 s[4:5], s[26:27]
	s_or_b32 s24, s24, s0
	s_and_not1_b32 exec_lo, exec_lo, s7
	s_cbranch_execnz .LBB863_105
; %bb.106:
	s_or_b32 exec_lo, exec_lo, s7
	s_xor_b32 s0, s24, -1
.LBB863_107:
	s_delay_alu instid0(VALU_DEP_1)
	v_perm_b32 v25, v25, v25, 0x3020104
	s_or_b32 s1, s1, exec_lo
.LBB863_108:
	s_or_b32 exec_lo, exec_lo, s6
	s_branch .LBB863_142
.LBB863_109:
	v_add_nc_u32_e32 v22, 4, v30
	s_mov_b32 s6, 0
	s_mov_b32 s7, 0
	s_mov_b32 s24, exec_lo
	s_delay_alu instid0(VALU_DEP_1)
	v_cmpx_gt_u32_e64 s31, v22
	s_cbranch_execz .LBB863_115
; %bb.110:
	s_and_not1_b32 vcc_lo, exec_lo, s17
	s_mov_b32 s0, 0
	s_cbranch_vccnz .LBB863_114
; %bb.111:
	v_mul_u64_e32 v[22:23], s[18:19], v[12:13]
	v_mul_u64_e32 v[24:25], s[18:19], v[20:21]
	s_add_nc_u64 s[4:5], s[18:19], -1
                                        ; implicit-def: $sgpr25
	s_delay_alu instid0(VALU_DEP_2) | instskip(NEXT) | instid1(VALU_DEP_2)
	v_lshl_add_u64 v[22:23], v[22:23], 3, s[8:9]
	v_lshl_add_u64 v[24:25], v[24:25], 3, s[8:9]
.LBB863_112:                            ; =>This Inner Loop Header: Depth=1
	global_load_b64 v[26:27], v[22:23], off
	global_load_b64 v[28:29], v[24:25], off
	s_cmp_eq_u64 s[4:5], 0
	s_add_nc_u64 s[26:27], s[4:5], -1
	s_cselect_b32 s4, -1, 0
	s_wait_xcnt 0x1
	v_add_nc_u64_e32 v[22:23], 8, v[22:23]
	s_wait_xcnt 0x0
	v_add_nc_u64_e32 v[24:25], 8, v[24:25]
	s_wait_loadcnt 0x0
	v_cmp_neq_f64_e32 vcc_lo, v[26:27], v[28:29]
	v_cmp_eq_f64_e64 s0, v[26:27], v[28:29]
	s_or_b32 s4, vcc_lo, s4
	s_delay_alu instid0(SALU_CYCLE_1) | instskip(NEXT) | instid1(SALU_CYCLE_1)
	s_and_b32 s4, exec_lo, s4
	s_or_b32 s7, s4, s7
	s_and_not1_b32 s25, s25, exec_lo
	s_and_b32 s0, s0, exec_lo
	s_mov_b64 s[4:5], s[26:27]
	s_or_b32 s25, s25, s0
	s_and_not1_b32 exec_lo, exec_lo, s7
	s_cbranch_execnz .LBB863_112
; %bb.113:
	s_or_b32 exec_lo, exec_lo, s7
	s_xor_b32 s0, s25, -1
.LBB863_114:
	s_delay_alu instid0(SALU_CYCLE_1)
	s_and_b32 s7, s0, exec_lo
.LBB863_115:
	s_or_b32 exec_lo, exec_lo, s24
	v_add_nc_u32_e32 v22, 3, v30
	s_mov_b32 s24, exec_lo
	s_delay_alu instid0(VALU_DEP_1)
	v_cmpx_gt_u32_e64 s31, v22
	s_cbranch_execz .LBB863_121
; %bb.116:
	s_and_not1_b32 vcc_lo, exec_lo, s17
	s_mov_b32 s0, 0
	s_cbranch_vccnz .LBB863_120
; %bb.117:
	v_mul_u64_e32 v[22:23], s[18:19], v[10:11]
	v_mul_u64_e32 v[24:25], s[18:19], v[12:13]
	s_add_nc_u64 s[4:5], s[18:19], -1
	s_mov_b32 s6, 0
                                        ; implicit-def: $sgpr25
	s_delay_alu instid0(VALU_DEP_2) | instskip(NEXT) | instid1(VALU_DEP_2)
	v_lshl_add_u64 v[22:23], v[22:23], 3, s[8:9]
	v_lshl_add_u64 v[24:25], v[24:25], 3, s[8:9]
.LBB863_118:                            ; =>This Inner Loop Header: Depth=1
	global_load_b64 v[26:27], v[22:23], off
	global_load_b64 v[28:29], v[24:25], off
	s_cmp_eq_u64 s[4:5], 0
	s_add_nc_u64 s[26:27], s[4:5], -1
	s_cselect_b32 s4, -1, 0
	s_wait_xcnt 0x1
	v_add_nc_u64_e32 v[22:23], 8, v[22:23]
	s_wait_xcnt 0x0
	v_add_nc_u64_e32 v[24:25], 8, v[24:25]
	s_wait_loadcnt 0x0
	v_cmp_neq_f64_e32 vcc_lo, v[26:27], v[28:29]
	v_cmp_eq_f64_e64 s0, v[26:27], v[28:29]
	s_or_b32 s4, vcc_lo, s4
	s_delay_alu instid0(SALU_CYCLE_1) | instskip(NEXT) | instid1(SALU_CYCLE_1)
	s_and_b32 s4, exec_lo, s4
	s_or_b32 s6, s4, s6
	s_and_not1_b32 s25, s25, exec_lo
	s_and_b32 s0, s0, exec_lo
	s_mov_b64 s[4:5], s[26:27]
	s_or_b32 s25, s25, s0
	s_and_not1_b32 exec_lo, exec_lo, s6
	s_cbranch_execnz .LBB863_118
; %bb.119:
	s_or_b32 exec_lo, exec_lo, s6
	s_xor_b32 s0, s25, -1
.LBB863_120:
	s_delay_alu instid0(SALU_CYCLE_1)
	s_and_b32 s6, s0, exec_lo
.LBB863_121:
	s_or_b32 exec_lo, exec_lo, s24
	v_add_nc_u32_e32 v22, 2, v30
	s_mov_b32 s24, 0
	s_mov_b32 s25, 0
	s_mov_b32 s26, exec_lo
	s_delay_alu instid0(VALU_DEP_1)
	v_cmpx_gt_u32_e64 s31, v22
	s_cbranch_execz .LBB863_127
; %bb.122:
	s_and_not1_b32 vcc_lo, exec_lo, s17
	s_mov_b32 s0, 0
	s_cbranch_vccnz .LBB863_126
; %bb.123:
	v_mul_u64_e32 v[22:23], s[18:19], v[16:17]
	v_mul_u64_e32 v[24:25], s[18:19], v[10:11]
	s_add_nc_u64 s[4:5], s[18:19], -1
                                        ; implicit-def: $sgpr27
	s_delay_alu instid0(VALU_DEP_2) | instskip(NEXT) | instid1(VALU_DEP_2)
	v_lshl_add_u64 v[22:23], v[22:23], 3, s[8:9]
	v_lshl_add_u64 v[24:25], v[24:25], 3, s[8:9]
.LBB863_124:                            ; =>This Inner Loop Header: Depth=1
	global_load_b64 v[26:27], v[22:23], off
	global_load_b64 v[28:29], v[24:25], off
	s_cmp_eq_u64 s[4:5], 0
	s_add_nc_u64 s[34:35], s[4:5], -1
	s_cselect_b32 s4, -1, 0
	s_wait_xcnt 0x1
	v_add_nc_u64_e32 v[22:23], 8, v[22:23]
	s_wait_xcnt 0x0
	v_add_nc_u64_e32 v[24:25], 8, v[24:25]
	s_wait_loadcnt 0x0
	v_cmp_neq_f64_e32 vcc_lo, v[26:27], v[28:29]
	v_cmp_eq_f64_e64 s0, v[26:27], v[28:29]
	s_or_b32 s4, vcc_lo, s4
	s_delay_alu instid0(SALU_CYCLE_1) | instskip(NEXT) | instid1(SALU_CYCLE_1)
	s_and_b32 s4, exec_lo, s4
	s_or_b32 s25, s4, s25
	s_and_not1_b32 s27, s27, exec_lo
	s_and_b32 s0, s0, exec_lo
	s_mov_b64 s[4:5], s[34:35]
	s_or_b32 s27, s27, s0
	s_and_not1_b32 exec_lo, exec_lo, s25
	s_cbranch_execnz .LBB863_124
; %bb.125:
	s_or_b32 exec_lo, exec_lo, s25
	s_xor_b32 s0, s27, -1
.LBB863_126:
	s_delay_alu instid0(SALU_CYCLE_1)
	s_and_b32 s25, s0, exec_lo
.LBB863_127:
	s_or_b32 exec_lo, exec_lo, s26
	v_add_nc_u32_e32 v22, 1, v30
	s_mov_b32 s26, exec_lo
	s_delay_alu instid0(VALU_DEP_1)
	v_cmpx_gt_u32_e64 s31, v22
	s_cbranch_execz .LBB863_133
; %bb.128:
	s_and_not1_b32 vcc_lo, exec_lo, s17
	s_mov_b32 s0, 0
	s_cbranch_vccnz .LBB863_132
; %bb.129:
	v_mul_u64_e32 v[22:23], s[18:19], v[14:15]
	v_mul_u64_e32 v[24:25], s[18:19], v[16:17]
	s_add_nc_u64 s[4:5], s[18:19], -1
	s_mov_b32 s24, 0
                                        ; implicit-def: $sgpr27
	s_delay_alu instid0(VALU_DEP_2) | instskip(NEXT) | instid1(VALU_DEP_2)
	v_lshl_add_u64 v[22:23], v[22:23], 3, s[8:9]
	v_lshl_add_u64 v[24:25], v[24:25], 3, s[8:9]
.LBB863_130:                            ; =>This Inner Loop Header: Depth=1
	global_load_b64 v[26:27], v[22:23], off
	global_load_b64 v[28:29], v[24:25], off
	s_cmp_eq_u64 s[4:5], 0
	s_add_nc_u64 s[34:35], s[4:5], -1
	s_cselect_b32 s4, -1, 0
	s_wait_xcnt 0x1
	v_add_nc_u64_e32 v[22:23], 8, v[22:23]
	s_wait_xcnt 0x0
	v_add_nc_u64_e32 v[24:25], 8, v[24:25]
	s_wait_loadcnt 0x0
	v_cmp_neq_f64_e32 vcc_lo, v[26:27], v[28:29]
	v_cmp_eq_f64_e64 s0, v[26:27], v[28:29]
	s_or_b32 s4, vcc_lo, s4
	s_delay_alu instid0(SALU_CYCLE_1) | instskip(NEXT) | instid1(SALU_CYCLE_1)
	s_and_b32 s4, exec_lo, s4
	s_or_b32 s24, s4, s24
	s_and_not1_b32 s27, s27, exec_lo
	s_and_b32 s0, s0, exec_lo
	s_mov_b64 s[4:5], s[34:35]
	s_or_b32 s27, s27, s0
	s_and_not1_b32 exec_lo, exec_lo, s24
	s_cbranch_execnz .LBB863_130
; %bb.131:
	s_or_b32 exec_lo, exec_lo, s24
	s_xor_b32 s0, s27, -1
.LBB863_132:
	s_delay_alu instid0(SALU_CYCLE_1)
	s_and_b32 s24, s0, exec_lo
.LBB863_133:
	s_or_b32 exec_lo, exec_lo, s26
	v_cndmask_b32_e64 v34, 0, 1, s7
	v_cndmask_b32_e64 v35, 0, 1, s25
	v_cndmask_b32_e64 v22, 0, 1, s6
	v_cndmask_b32_e64 v23, 0, 1, s24
	v_mov_b32_e32 v24, 1
	s_wait_dscnt 0x0
	s_barrier_signal -1
	s_barrier_wait -1
                                        ; implicit-def: $sgpr0
                                        ; implicit-def: $vgpr25
	s_and_saveexec_b32 s6, s3
	s_cbranch_execz .LBB863_141
; %bb.134:
	v_lshlrev_b16 v25, 8, v23
	v_lshlrev_b16 v26, 8, v22
	s_mov_b32 s0, 0
	s_mov_b32 s3, exec_lo
	s_delay_alu instid0(VALU_DEP_1) | instskip(NEXT) | instid1(VALU_DEP_1)
	v_or_b32_e32 v26, v35, v26
	v_dual_lshlrev_b32 v26, 16, v26 :: v_dual_bitop2_b32 v25, 1, v25 bitop3:0x54
	s_delay_alu instid0(VALU_DEP_1) | instskip(NEXT) | instid1(VALU_DEP_1)
	v_and_b32_e32 v25, 0xffff, v25
	v_or_b32_e32 v25, v25, v26
	v_cmpx_gt_u32_e64 s31, v30
	s_cbranch_execz .LBB863_140
; %bb.135:
	s_and_not1_b32 vcc_lo, exec_lo, s17
	s_cbranch_vccnz .LBB863_139
; %bb.136:
	v_add_nc_u32_e32 v26, -8, v31
	v_mul_u64_e32 v[28:29], s[18:19], v[14:15]
	s_add_nc_u64 s[4:5], s[18:19], -1
	s_mov_b32 s7, 0
	ds_load_b64 v[26:27], v26
	s_wait_dscnt 0x0
	v_mul_u64_e32 v[26:27], s[18:19], v[26:27]
	v_lshl_add_u64 v[28:29], v[28:29], 3, s[8:9]
	s_delay_alu instid0(VALU_DEP_2)
	v_lshl_add_u64 v[26:27], v[26:27], 3, s[8:9]
                                        ; implicit-def: $sgpr8
.LBB863_137:                            ; =>This Inner Loop Header: Depth=1
	global_load_b64 v[32:33], v[26:27], off
	global_load_b64 v[36:37], v[28:29], off
	s_cmp_eq_u64 s[4:5], 0
	s_add_nc_u64 s[18:19], s[4:5], -1
	s_cselect_b32 s4, -1, 0
	s_wait_xcnt 0x1
	v_add_nc_u64_e32 v[26:27], 8, v[26:27]
	s_wait_xcnt 0x0
	v_add_nc_u64_e32 v[28:29], 8, v[28:29]
	s_wait_loadcnt 0x0
	v_cmp_neq_f64_e32 vcc_lo, v[32:33], v[36:37]
	v_cmp_eq_f64_e64 s0, v[32:33], v[36:37]
	s_or_b32 s4, vcc_lo, s4
	s_delay_alu instid0(SALU_CYCLE_1) | instskip(NEXT) | instid1(SALU_CYCLE_1)
	s_and_b32 s4, exec_lo, s4
	s_or_b32 s7, s4, s7
	s_and_not1_b32 s8, s8, exec_lo
	s_and_b32 s0, s0, exec_lo
	s_mov_b64 s[4:5], s[18:19]
	s_or_b32 s8, s8, s0
	s_and_not1_b32 exec_lo, exec_lo, s7
	s_cbranch_execnz .LBB863_137
; %bb.138:
	s_or_b32 exec_lo, exec_lo, s7
	s_xor_b32 s0, s8, -1
.LBB863_139:
	s_delay_alu instid0(SALU_CYCLE_1)
	s_and_b32 s0, s0, exec_lo
.LBB863_140:
	s_or_b32 exec_lo, exec_lo, s3
	s_delay_alu instid0(VALU_DEP_2)
	v_perm_b32 v25, v25, v25, 0x3020104
	s_or_b32 s1, s1, exec_lo
.LBB863_141:
	s_or_b32 exec_lo, exec_lo, s6
.LBB863_142:
	s_and_saveexec_b32 s3, s1
	s_cbranch_execz .LBB863_144
; %bb.143:
	s_wait_loadcnt_dscnt 0x0
	v_dual_lshrrev_b32 v22, 24, v25 :: v_dual_lshrrev_b32 v35, 16, v25
	v_lshrrev_b32_e32 v23, 8, v25
	v_cndmask_b32_e64 v24, 0, 1, s0
.LBB863_144:
	s_or_b32 exec_lo, exec_lo, s3
	s_delay_alu instid0(SALU_CYCLE_1)
	s_and_not1_b32 vcc_lo, exec_lo, s33
	s_cbranch_vccnz .LBB863_148
; %bb.145:
	s_wait_loadcnt_dscnt 0x0
	v_perm_b32 v23, v24, v23, 0xc0c0004
	v_perm_b32 v22, v35, v22, 0xc0c0004
	v_cmp_gt_u32_e32 vcc_lo, s31, v30
	v_dual_add_nc_u32 v24, 1, v30 :: v_dual_add_nc_u32 v26, 4, v30
	v_and_b32_e32 v34, 0xff, v34
	s_delay_alu instid0(VALU_DEP_4) | instskip(SKIP_1) | instid1(VALU_DEP_2)
	v_lshl_or_b32 v22, v22, 16, v23
	s_mov_b32 s0, exec_lo
	v_and_b32_e32 v25, 0xffff, v34
	s_delay_alu instid0(VALU_DEP_2) | instskip(SKIP_2) | instid1(VALU_DEP_3)
	v_cndmask_b32_e32 v23, 0, v22, vcc_lo
	v_cmp_gt_u32_e32 vcc_lo, s31, v24
	v_add_nc_u32_e32 v24, 2, v30
	v_and_b32_e32 v23, 0xff, v23
	s_delay_alu instid0(VALU_DEP_1) | instskip(NEXT) | instid1(VALU_DEP_3)
	v_cndmask_b32_e32 v23, v23, v22, vcc_lo
	v_cmp_gt_u32_e32 vcc_lo, s31, v24
	v_add_nc_u32_e32 v24, 3, v30
	s_delay_alu instid0(VALU_DEP_3) | instskip(NEXT) | instid1(VALU_DEP_1)
	v_and_b32_e32 v23, 0xffff, v23
	v_cndmask_b32_e32 v23, v23, v22, vcc_lo
	s_delay_alu instid0(VALU_DEP_3) | instskip(NEXT) | instid1(VALU_DEP_2)
	v_cmp_gt_u32_e32 vcc_lo, s31, v24
	v_and_b32_e32 v23, 0xffffff, v23
	s_delay_alu instid0(VALU_DEP_1) | instskip(NEXT) | instid1(VALU_DEP_1)
	v_cndmask_b32_e32 v24, v23, v22, vcc_lo
	v_lshrrev_b64 v[22:23], 24, v[24:25]
	v_dual_lshrrev_b32 v35, 16, v24 :: v_dual_lshrrev_b32 v23, 8, v24
	v_cmpx_le_u32_e64 s31, v26
; %bb.146:
	v_mov_b32_e32 v34, 0
; %bb.147:
	s_or_b32 exec_lo, exec_lo, s0
.LBB863_148:
	s_delay_alu instid0(VALU_DEP_1)
	v_and_b32_e32 v25, 0xff, v24
	s_wait_loadcnt_dscnt 0x0
	v_and_b32_e32 v36, 0xff, v23
	v_and_b32_e32 v37, 0xff, v35
	v_mbcnt_lo_u32_b32 v39, -1, 0
	v_and_b32_e32 v38, 0xff, v22
	v_and_b32_e32 v26, 0xff, v34
	v_lshrrev_b32_e32 v40, 5, v0
	v_add3_u32 v27, v36, v25, v37
	v_and_b32_e32 v28, 15, v39
	s_and_b32 vcc_lo, exec_lo, s16
	s_mov_b32 s7, -1
	s_delay_alu instid0(VALU_DEP_2)
	v_add3_u32 v41, v27, v38, v26
	v_and_b32_e32 v26, 16, v39
	v_or_b32_e32 v27, 31, v0
	v_cmp_eq_u32_e64 s3, 0, v28
	v_cmp_lt_u32_e64 s5, 1, v28
	v_cmp_lt_u32_e64 s6, 3, v28
	;; [unrolled: 1-line block ×3, first 2 shown]
	v_cmp_eq_u32_e64 s1, 0, v26
	v_cmp_eq_u32_e64 s0, v0, v27
	s_barrier_signal -1
	s_barrier_wait -1
                                        ; implicit-def: $vgpr30
                                        ; implicit-def: $vgpr31
                                        ; implicit-def: $vgpr32
                                        ; implicit-def: $vgpr33
                                        ; implicit-def: $vgpr42
                                        ; implicit-def: $vgpr28
                                        ; implicit-def: $vgpr26
	s_cbranch_vccz .LBB863_175
; %bb.149:
	v_mov_b32_dpp v26, v41 row_shr:1 row_mask:0xf bank_mask:0xf
	s_delay_alu instid0(VALU_DEP_1) | instskip(NEXT) | instid1(VALU_DEP_1)
	v_cndmask_b32_e64 v26, v26, 0, s3
	v_add_nc_u32_e32 v26, v26, v41
	s_delay_alu instid0(VALU_DEP_1) | instskip(NEXT) | instid1(VALU_DEP_1)
	v_mov_b32_dpp v27, v26 row_shr:2 row_mask:0xf bank_mask:0xf
	v_cndmask_b32_e64 v27, 0, v27, s5
	s_delay_alu instid0(VALU_DEP_1) | instskip(NEXT) | instid1(VALU_DEP_1)
	v_add_nc_u32_e32 v26, v26, v27
	v_mov_b32_dpp v27, v26 row_shr:4 row_mask:0xf bank_mask:0xf
	s_delay_alu instid0(VALU_DEP_1) | instskip(NEXT) | instid1(VALU_DEP_1)
	v_cndmask_b32_e64 v27, 0, v27, s6
	v_add_nc_u32_e32 v26, v26, v27
	s_delay_alu instid0(VALU_DEP_1) | instskip(NEXT) | instid1(VALU_DEP_1)
	v_mov_b32_dpp v27, v26 row_shr:8 row_mask:0xf bank_mask:0xf
	v_cndmask_b32_e64 v27, 0, v27, s4
	s_delay_alu instid0(VALU_DEP_1) | instskip(SKIP_3) | instid1(VALU_DEP_1)
	v_add_nc_u32_e32 v26, v26, v27
	ds_swizzle_b32 v27, v26 offset:swizzle(BROADCAST,32,15)
	s_wait_dscnt 0x0
	v_cndmask_b32_e64 v27, v27, 0, s1
	v_add_nc_u32_e32 v26, v26, v27
	s_and_saveexec_b32 s7, s0
; %bb.150:
	v_lshlrev_b32_e32 v27, 2, v40
	ds_store_b32 v27, v26
; %bb.151:
	s_or_b32 exec_lo, exec_lo, s7
	s_delay_alu instid0(SALU_CYCLE_1)
	s_mov_b32 s7, exec_lo
	s_wait_dscnt 0x0
	s_barrier_signal -1
	s_barrier_wait -1
	v_cmpx_gt_u32_e32 4, v0
	s_cbranch_execz .LBB863_153
; %bb.152:
	v_dual_lshlrev_b32 v27, 2, v0 :: v_dual_bitop2_b32 v29, 3, v39 bitop3:0x40
	ds_load_b32 v28, v27
	v_cmp_ne_u32_e32 vcc_lo, 0, v29
	s_wait_dscnt 0x0
	v_mov_b32_dpp v30, v28 row_shr:1 row_mask:0xf bank_mask:0xf
	s_delay_alu instid0(VALU_DEP_1) | instskip(SKIP_1) | instid1(VALU_DEP_2)
	v_cndmask_b32_e32 v30, 0, v30, vcc_lo
	v_cmp_lt_u32_e32 vcc_lo, 1, v29
	v_add_nc_u32_e32 v28, v30, v28
	s_delay_alu instid0(VALU_DEP_1) | instskip(NEXT) | instid1(VALU_DEP_1)
	v_mov_b32_dpp v30, v28 row_shr:2 row_mask:0xf bank_mask:0xf
	v_cndmask_b32_e32 v29, 0, v30, vcc_lo
	s_delay_alu instid0(VALU_DEP_1)
	v_add_nc_u32_e32 v28, v28, v29
	ds_store_b32 v27, v28
.LBB863_153:
	s_or_b32 exec_lo, exec_lo, s7
	s_delay_alu instid0(SALU_CYCLE_1)
	s_mov_b32 s8, exec_lo
	v_cmp_gt_u32_e32 vcc_lo, 32, v0
	s_wait_dscnt 0x0
	s_barrier_signal -1
	s_barrier_wait -1
                                        ; implicit-def: $vgpr42
	v_cmpx_lt_u32_e32 31, v0
	s_cbranch_execz .LBB863_155
; %bb.154:
	v_lshl_add_u32 v27, v40, 2, -4
	ds_load_b32 v42, v27
	s_wait_dscnt 0x0
	v_add_nc_u32_e32 v26, v42, v26
.LBB863_155:
	s_or_b32 exec_lo, exec_lo, s8
	v_sub_co_u32 v27, s7, v39, 1
	s_delay_alu instid0(VALU_DEP_1) | instskip(NEXT) | instid1(VALU_DEP_1)
	v_cmp_gt_i32_e64 s8, 0, v27
	v_cndmask_b32_e64 v27, v27, v39, s8
	s_delay_alu instid0(VALU_DEP_1)
	v_lshlrev_b32_e32 v27, 2, v27
	ds_bpermute_b32 v43, v27, v26
	s_and_saveexec_b32 s8, vcc_lo
	s_cbranch_execz .LBB863_174
; %bb.156:
	v_mov_b32_e32 v33, 0
	ds_load_b32 v26, v33 offset:12
	s_and_saveexec_b32 s9, s7
	s_cbranch_execz .LBB863_158
; %bb.157:
	s_add_co_i32 s16, s30, 32
	s_delay_alu instid0(SALU_CYCLE_1)
	v_dual_mov_b32 v27, 1 :: v_dual_mov_b32 v28, s16
	s_wait_dscnt 0x0
	global_store_b64 v28, v[26:27], s[10:11] scale_offset scope:SCOPE_DEV
.LBB863_158:
	s_wait_xcnt 0x0
	s_or_b32 exec_lo, exec_lo, s9
	v_xad_u32 v28, v39, -1, s30
	s_mov_b32 s16, 0
	s_mov_b32 s9, exec_lo
	s_delay_alu instid0(VALU_DEP_1) | instskip(SKIP_4) | instid1(VALU_DEP_1)
	v_add_nc_u32_e32 v32, 32, v28
	global_load_b64 v[30:31], v32, s[10:11] scale_offset scope:SCOPE_DEV
	s_wait_loadcnt 0x0
	v_and_b32_e32 v27, 0xff, v31
	s_wait_xcnt 0x0
	v_cmpx_eq_u16_e32 0, v27
	s_cbranch_execz .LBB863_162
; %bb.159:
	v_lshl_add_u64 v[32:33], v[32:33], 3, s[10:11]
.LBB863_160:                            ; =>This Inner Loop Header: Depth=1
	global_load_b64 v[30:31], v[32:33], off scope:SCOPE_DEV
	s_wait_loadcnt 0x0
	v_and_b32_e32 v27, 0xff, v31
	s_delay_alu instid0(VALU_DEP_1)
	v_cmp_ne_u16_e32 vcc_lo, 0, v27
	s_or_b32 s16, vcc_lo, s16
	s_wait_xcnt 0x0
	s_and_not1_b32 exec_lo, exec_lo, s16
	s_cbranch_execnz .LBB863_160
; %bb.161:
	s_or_b32 exec_lo, exec_lo, s16
.LBB863_162:
	s_delay_alu instid0(SALU_CYCLE_1)
	s_or_b32 exec_lo, exec_lo, s9
	v_cmp_ne_u32_e32 vcc_lo, 31, v39
	v_lshlrev_b32_e64 v45, v39, -1
	v_lshl_or_b32 v52, v39, 2, 64
	v_dual_add_nc_u32 v47, 2, v39 :: v_dual_add_nc_u32 v49, 4, v39
	v_add_co_ci_u32_e64 v27, null, 0, v39, vcc_lo
	v_dual_add_nc_u32 v51, 8, v39 :: v_dual_add_nc_u32 v53, 16, v39
	s_delay_alu instid0(VALU_DEP_2)
	v_lshlrev_b32_e32 v44, 2, v27
	v_and_b32_e32 v27, 0xff, v31
	ds_bpermute_b32 v29, v44, v30
	v_cmp_eq_u16_e32 vcc_lo, 2, v27
	v_and_or_b32 v27, vcc_lo, v45, 0x80000000
	v_cmp_gt_u32_e32 vcc_lo, 30, v39
	s_delay_alu instid0(VALU_DEP_2) | instskip(SKIP_1) | instid1(VALU_DEP_2)
	v_ctz_i32_b32_e32 v27, v27
	v_cndmask_b32_e64 v32, 0, 2, vcc_lo
	v_cmp_lt_u32_e32 vcc_lo, v39, v27
	s_delay_alu instid0(VALU_DEP_2) | instskip(SKIP_3) | instid1(VALU_DEP_2)
	v_add_lshl_u32 v46, v32, v39, 2
	s_wait_dscnt 0x0
	v_cndmask_b32_e32 v29, 0, v29, vcc_lo
	v_cmp_gt_u32_e32 vcc_lo, 28, v39
	v_add_nc_u32_e32 v29, v29, v30
	v_cndmask_b32_e64 v32, 0, 4, vcc_lo
	v_cmp_le_u32_e32 vcc_lo, v47, v27
	ds_bpermute_b32 v30, v46, v29
	v_add_lshl_u32 v48, v32, v39, 2
	s_wait_dscnt 0x0
	v_cndmask_b32_e32 v30, 0, v30, vcc_lo
	v_cmp_gt_u32_e32 vcc_lo, 24, v39
	v_cndmask_b32_e64 v32, 0, 8, vcc_lo
	v_cmp_le_u32_e32 vcc_lo, v49, v27
	s_delay_alu instid0(VALU_DEP_4) | instskip(NEXT) | instid1(VALU_DEP_3)
	v_add_nc_u32_e32 v29, v29, v30
	v_add_lshl_u32 v50, v32, v39, 2
	ds_bpermute_b32 v30, v48, v29
	s_wait_dscnt 0x0
	v_cndmask_b32_e32 v30, 0, v30, vcc_lo
	v_cmp_le_u32_e32 vcc_lo, v51, v27
	s_delay_alu instid0(VALU_DEP_2) | instskip(SKIP_4) | instid1(VALU_DEP_2)
	v_add_nc_u32_e32 v29, v29, v30
	ds_bpermute_b32 v30, v50, v29
	s_wait_dscnt 0x0
	v_cndmask_b32_e32 v30, 0, v30, vcc_lo
	v_cmp_le_u32_e32 vcc_lo, v53, v27
	v_add_nc_u32_e32 v29, v29, v30
	ds_bpermute_b32 v30, v52, v29
	s_wait_dscnt 0x0
	v_cndmask_b32_e32 v27, 0, v30, vcc_lo
	s_delay_alu instid0(VALU_DEP_1)
	v_dual_mov_b32 v29, 0 :: v_dual_add_nc_u32 v30, v29, v27
	s_branch .LBB863_165
.LBB863_163:                            ;   in Loop: Header=BB863_165 Depth=1
	s_or_b32 exec_lo, exec_lo, s9
	v_and_b32_e32 v32, 0xff, v31
	ds_bpermute_b32 v33, v44, v30
	v_subrev_nc_u32_e32 v28, 32, v28
	s_mov_b32 s9, 0
	v_cmp_eq_u16_e32 vcc_lo, 2, v32
	v_and_or_b32 v32, vcc_lo, v45, 0x80000000
	s_delay_alu instid0(VALU_DEP_1) | instskip(NEXT) | instid1(VALU_DEP_1)
	v_ctz_i32_b32_e32 v32, v32
	v_cmp_lt_u32_e32 vcc_lo, v39, v32
	s_wait_dscnt 0x0
	v_cndmask_b32_e32 v33, 0, v33, vcc_lo
	v_cmp_le_u32_e32 vcc_lo, v47, v32
	s_delay_alu instid0(VALU_DEP_2) | instskip(SKIP_4) | instid1(VALU_DEP_2)
	v_add_nc_u32_e32 v30, v33, v30
	ds_bpermute_b32 v33, v46, v30
	s_wait_dscnt 0x0
	v_cndmask_b32_e32 v33, 0, v33, vcc_lo
	v_cmp_le_u32_e32 vcc_lo, v49, v32
	v_add_nc_u32_e32 v30, v30, v33
	ds_bpermute_b32 v33, v48, v30
	s_wait_dscnt 0x0
	v_cndmask_b32_e32 v33, 0, v33, vcc_lo
	v_cmp_le_u32_e32 vcc_lo, v51, v32
	s_delay_alu instid0(VALU_DEP_2) | instskip(SKIP_4) | instid1(VALU_DEP_2)
	v_add_nc_u32_e32 v30, v30, v33
	ds_bpermute_b32 v33, v50, v30
	s_wait_dscnt 0x0
	v_cndmask_b32_e32 v33, 0, v33, vcc_lo
	v_cmp_le_u32_e32 vcc_lo, v53, v32
	v_add_nc_u32_e32 v30, v30, v33
	ds_bpermute_b32 v33, v52, v30
	s_wait_dscnt 0x0
	v_cndmask_b32_e32 v32, 0, v33, vcc_lo
	s_delay_alu instid0(VALU_DEP_1)
	v_add3_u32 v30, v32, v27, v30
.LBB863_164:                            ;   in Loop: Header=BB863_165 Depth=1
	s_and_b32 vcc_lo, exec_lo, s9
	s_cbranch_vccnz .LBB863_170
.LBB863_165:                            ; =>This Loop Header: Depth=1
                                        ;     Child Loop BB863_168 Depth 2
	v_and_b32_e32 v27, 0xff, v31
	s_mov_b32 s9, -1
                                        ; implicit-def: $vgpr31
	s_delay_alu instid0(VALU_DEP_1)
	v_cmp_ne_u16_e32 vcc_lo, 2, v27
	v_mov_b32_e32 v27, v30
                                        ; implicit-def: $vgpr30
	s_cmp_lg_u32 vcc_lo, exec_lo
	s_cbranch_scc1 .LBB863_164
; %bb.166:                              ;   in Loop: Header=BB863_165 Depth=1
	global_load_b64 v[30:31], v28, s[10:11] scale_offset scope:SCOPE_DEV
	s_mov_b32 s9, exec_lo
	s_wait_loadcnt 0x0
	v_and_b32_e32 v32, 0xff, v31
	s_wait_xcnt 0x0
	s_delay_alu instid0(VALU_DEP_1)
	v_cmpx_eq_u16_e32 0, v32
	s_cbranch_execz .LBB863_163
; %bb.167:                              ;   in Loop: Header=BB863_165 Depth=1
	v_lshl_add_u64 v[32:33], v[28:29], 3, s[10:11]
	s_mov_b32 s16, 0
.LBB863_168:                            ;   Parent Loop BB863_165 Depth=1
                                        ; =>  This Inner Loop Header: Depth=2
	global_load_b64 v[30:31], v[32:33], off scope:SCOPE_DEV
	s_wait_loadcnt 0x0
	v_and_b32_e32 v54, 0xff, v31
	s_delay_alu instid0(VALU_DEP_1)
	v_cmp_ne_u16_e32 vcc_lo, 0, v54
	s_or_b32 s16, vcc_lo, s16
	s_wait_xcnt 0x0
	s_and_not1_b32 exec_lo, exec_lo, s16
	s_cbranch_execnz .LBB863_168
; %bb.169:                              ;   in Loop: Header=BB863_165 Depth=1
	s_or_b32 exec_lo, exec_lo, s16
	s_branch .LBB863_163
.LBB863_170:
	s_and_saveexec_b32 s9, s7
	s_cbranch_execz .LBB863_172
; %bb.171:
	s_add_co_i32 s16, s30, 32
	v_dual_mov_b32 v29, 2 :: v_dual_add_nc_u32 v28, v27, v26
	v_dual_mov_b32 v30, s16 :: v_dual_mov_b32 v31, 0
	global_store_b64 v30, v[28:29], s[10:11] scale_offset scope:SCOPE_DEV
	ds_store_b64 v31, v[26:27] offset:5120
.LBB863_172:
	s_wait_xcnt 0x0
	s_or_b32 exec_lo, exec_lo, s9
	s_delay_alu instid0(SALU_CYCLE_1)
	s_and_b32 exec_lo, exec_lo, s2
; %bb.173:
	v_mov_b32_e32 v26, 0
	ds_store_b32 v26, v27 offset:12
.LBB863_174:
	s_or_b32 exec_lo, exec_lo, s8
	s_wait_dscnt 0x0
	v_dual_mov_b32 v26, 0 :: v_dual_cndmask_b32 v28, v43, v42, s7
	s_wait_storecnt 0x0
	s_barrier_signal -1
	s_barrier_wait -1
	ds_load_b32 v27, v26 offset:12
	v_cndmask_b32_e64 v28, v28, 0, s2
	s_wait_dscnt 0x0
	s_barrier_signal -1
	s_barrier_wait -1
	s_mov_b32 s7, 0
	v_add_nc_u32_e32 v42, v27, v28
	ds_load_b64 v[26:27], v26 offset:5120
	v_add_nc_u32_e32 v33, v42, v25
	s_wait_dscnt 0x0
	s_delay_alu instid0(VALU_DEP_1) | instskip(NEXT) | instid1(VALU_DEP_1)
	v_dual_add_nc_u32 v32, v33, v36 :: v_dual_mov_b32 v28, v27
	v_add_nc_u32_e32 v31, v32, v37
	s_delay_alu instid0(VALU_DEP_1)
	v_add_nc_u32_e32 v30, v31, v38
.LBB863_175:
	s_and_b32 vcc_lo, exec_lo, s7
	s_cbranch_vccz .LBB863_185
; %bb.176:
	v_mov_b32_dpp v26, v41 row_shr:1 row_mask:0xf bank_mask:0xf
	s_delay_alu instid0(VALU_DEP_1) | instskip(NEXT) | instid1(VALU_DEP_1)
	v_cndmask_b32_e64 v26, v26, 0, s3
	v_add_nc_u32_e32 v26, v26, v41
	s_delay_alu instid0(VALU_DEP_1) | instskip(NEXT) | instid1(VALU_DEP_1)
	v_mov_b32_dpp v27, v26 row_shr:2 row_mask:0xf bank_mask:0xf
	v_cndmask_b32_e64 v27, 0, v27, s5
	s_delay_alu instid0(VALU_DEP_1) | instskip(NEXT) | instid1(VALU_DEP_1)
	v_add_nc_u32_e32 v26, v26, v27
	v_mov_b32_dpp v27, v26 row_shr:4 row_mask:0xf bank_mask:0xf
	s_delay_alu instid0(VALU_DEP_1) | instskip(NEXT) | instid1(VALU_DEP_1)
	v_cndmask_b32_e64 v27, 0, v27, s6
	v_add_nc_u32_e32 v26, v26, v27
	s_delay_alu instid0(VALU_DEP_1) | instskip(NEXT) | instid1(VALU_DEP_1)
	v_mov_b32_dpp v27, v26 row_shr:8 row_mask:0xf bank_mask:0xf
	v_cndmask_b32_e64 v27, 0, v27, s4
	s_delay_alu instid0(VALU_DEP_1) | instskip(SKIP_3) | instid1(VALU_DEP_1)
	v_add_nc_u32_e32 v26, v26, v27
	ds_swizzle_b32 v27, v26 offset:swizzle(BROADCAST,32,15)
	s_wait_dscnt 0x0
	v_cndmask_b32_e64 v27, v27, 0, s1
	v_add_nc_u32_e32 v26, v26, v27
	s_and_saveexec_b32 s1, s0
; %bb.177:
	v_lshlrev_b32_e32 v27, 2, v40
	ds_store_b32 v27, v26
; %bb.178:
	s_or_b32 exec_lo, exec_lo, s1
	s_delay_alu instid0(SALU_CYCLE_1)
	s_mov_b32 s0, exec_lo
	s_wait_dscnt 0x0
	s_barrier_signal -1
	s_barrier_wait -1
	v_cmpx_gt_u32_e32 4, v0
	s_cbranch_execz .LBB863_180
; %bb.179:
	v_dual_lshlrev_b32 v27, 2, v0 :: v_dual_bitop2_b32 v29, 3, v39 bitop3:0x40
	ds_load_b32 v28, v27
	v_cmp_ne_u32_e32 vcc_lo, 0, v29
	s_wait_dscnt 0x0
	v_mov_b32_dpp v30, v28 row_shr:1 row_mask:0xf bank_mask:0xf
	s_delay_alu instid0(VALU_DEP_1) | instskip(SKIP_1) | instid1(VALU_DEP_2)
	v_cndmask_b32_e32 v30, 0, v30, vcc_lo
	v_cmp_lt_u32_e32 vcc_lo, 1, v29
	v_add_nc_u32_e32 v28, v30, v28
	s_delay_alu instid0(VALU_DEP_1) | instskip(NEXT) | instid1(VALU_DEP_1)
	v_mov_b32_dpp v30, v28 row_shr:2 row_mask:0xf bank_mask:0xf
	v_cndmask_b32_e32 v29, 0, v30, vcc_lo
	s_delay_alu instid0(VALU_DEP_1)
	v_add_nc_u32_e32 v28, v28, v29
	ds_store_b32 v27, v28
.LBB863_180:
	s_or_b32 exec_lo, exec_lo, s0
	v_dual_mov_b32 v27, 0 :: v_dual_mov_b32 v28, 0
	s_mov_b32 s0, exec_lo
	s_wait_dscnt 0x0
	s_barrier_signal -1
	s_barrier_wait -1
	v_cmpx_lt_u32_e32 31, v0
; %bb.181:
	v_lshl_add_u32 v28, v40, 2, -4
	ds_load_b32 v28, v28
; %bb.182:
	s_or_b32 exec_lo, exec_lo, s0
	v_sub_co_u32 v29, vcc_lo, v39, 1
	s_wait_dscnt 0x0
	v_add_nc_u32_e32 v26, v28, v26
	s_delay_alu instid0(VALU_DEP_2) | instskip(NEXT) | instid1(VALU_DEP_1)
	v_cmp_gt_i32_e64 s0, 0, v29
	v_cndmask_b32_e64 v29, v29, v39, s0
	s_delay_alu instid0(VALU_DEP_1)
	v_lshlrev_b32_e32 v29, 2, v29
	ds_bpermute_b32 v29, v29, v26
	ds_load_b32 v26, v27 offset:12
	s_and_saveexec_b32 s0, s2
	s_cbranch_execz .LBB863_184
; %bb.183:
	v_dual_mov_b32 v30, 0 :: v_dual_mov_b32 v27, 2
	s_wait_dscnt 0x0
	global_store_b64 v30, v[26:27], s[10:11] offset:256 scope:SCOPE_DEV
.LBB863_184:
	s_wait_xcnt 0x0
	s_or_b32 exec_lo, exec_lo, s0
	s_wait_dscnt 0x1
	v_cndmask_b32_e32 v27, v29, v28, vcc_lo
	s_wait_storecnt_dscnt 0x0
	s_barrier_signal -1
	s_barrier_wait -1
	s_delay_alu instid0(VALU_DEP_1) | instskip(NEXT) | instid1(VALU_DEP_1)
	v_cndmask_b32_e64 v42, v27, 0, s2
	v_dual_mov_b32 v28, 0 :: v_dual_add_nc_u32 v33, v42, v25
	s_delay_alu instid0(VALU_DEP_1) | instskip(NEXT) | instid1(VALU_DEP_1)
	v_add_nc_u32_e32 v32, v33, v36
	v_add_nc_u32_e32 v31, v32, v37
	s_delay_alu instid0(VALU_DEP_1)
	v_add_nc_u32_e32 v30, v31, v38
.LBB863_185:
	s_delay_alu instid0(VALU_DEP_4)
	v_dual_add_nc_u32 v25, v28, v26 :: v_dual_bitop2_b32 v24, 1, v24 bitop3:0x40
	v_cmp_gt_u32_e64 s0, 0x81, v26
	s_mov_b32 s4, -1
	v_cmp_lt_u32_e64 s1, v42, v25
	v_cmp_eq_u32_e64 s3, 1, v24
	s_and_b32 vcc_lo, exec_lo, s0
	s_cbranch_vccz .LBB863_197
; %bb.186:
	s_or_b32 s1, s29, s1
	s_delay_alu instid0(SALU_CYCLE_1) | instskip(NEXT) | instid1(SALU_CYCLE_1)
	s_and_b32 s3, s1, s3
	s_and_saveexec_b32 s1, s3
	s_cbranch_execz .LBB863_188
; %bb.187:
	s_lshl_b64 s[4:5], s[14:15], 3
	s_delay_alu instid0(SALU_CYCLE_1)
	s_add_nc_u64 s[4:5], s[20:21], s[4:5]
	global_store_b64 v42, v[14:15], s[4:5] scale_offset
.LBB863_188:
	s_wait_xcnt 0x0
	s_or_b32 exec_lo, exec_lo, s1
	v_and_b32_e32 v27, 1, v23
	v_cmp_lt_u32_e32 vcc_lo, v33, v25
	s_delay_alu instid0(VALU_DEP_2) | instskip(SKIP_1) | instid1(SALU_CYCLE_1)
	v_cmp_eq_u32_e64 s1, 1, v27
	s_or_b32 s3, s29, vcc_lo
	s_and_b32 s3, s3, s1
	s_delay_alu instid0(SALU_CYCLE_1)
	s_and_saveexec_b32 s1, s3
	s_cbranch_execz .LBB863_190
; %bb.189:
	s_lshl_b64 s[4:5], s[14:15], 3
	s_delay_alu instid0(SALU_CYCLE_1)
	s_add_nc_u64 s[4:5], s[20:21], s[4:5]
	global_store_b64 v33, v[16:17], s[4:5] scale_offset
.LBB863_190:
	s_wait_xcnt 0x0
	s_or_b32 exec_lo, exec_lo, s1
	v_and_b32_e32 v27, 1, v35
	v_cmp_lt_u32_e32 vcc_lo, v32, v25
	s_delay_alu instid0(VALU_DEP_2) | instskip(SKIP_1) | instid1(SALU_CYCLE_1)
	v_cmp_eq_u32_e64 s1, 1, v27
	s_or_b32 s3, s29, vcc_lo
	s_and_b32 s3, s3, s1
	s_delay_alu instid0(SALU_CYCLE_1)
	;; [unrolled: 17-line block ×4, first 2 shown]
	s_and_saveexec_b32 s1, s3
	s_cbranch_execz .LBB863_196
; %bb.195:
	s_lshl_b64 s[4:5], s[14:15], 3
	s_delay_alu instid0(SALU_CYCLE_1)
	s_add_nc_u64 s[4:5], s[20:21], s[4:5]
	global_store_b64 v30, v[20:21], s[4:5] scale_offset
.LBB863_196:
	s_wait_xcnt 0x0
	s_or_b32 exec_lo, exec_lo, s1
	s_mov_b32 s4, 0
.LBB863_197:
	s_delay_alu instid0(SALU_CYCLE_1)
	s_and_b32 vcc_lo, exec_lo, s4
	s_cbranch_vccz .LBB863_211
; %bb.198:
	s_mov_b32 s1, exec_lo
	v_cmpx_eq_u32_e32 1, v24
; %bb.199:
	v_sub_nc_u32_e32 v27, v42, v28
	s_delay_alu instid0(VALU_DEP_1)
	v_lshlrev_b32_e32 v27, 3, v27
	ds_store_b64 v27, v[14:15]
; %bb.200:
	s_or_b32 exec_lo, exec_lo, s1
	v_and_b32_e32 v14, 1, v23
	s_mov_b32 s1, exec_lo
	s_delay_alu instid0(VALU_DEP_1)
	v_cmpx_eq_u32_e32 1, v14
; %bb.201:
	v_sub_nc_u32_e32 v14, v33, v28
	s_delay_alu instid0(VALU_DEP_1)
	v_lshlrev_b32_e32 v14, 3, v14
	ds_store_b64 v14, v[16:17]
; %bb.202:
	s_or_b32 exec_lo, exec_lo, s1
	v_and_b32_e32 v14, 1, v35
	s_mov_b32 s1, exec_lo
	s_delay_alu instid0(VALU_DEP_1)
	;; [unrolled: 11-line block ×4, first 2 shown]
	v_cmpx_eq_u32_e32 1, v10
; %bb.207:
	v_sub_nc_u32_e32 v10, v30, v28
	s_delay_alu instid0(VALU_DEP_1)
	v_lshlrev_b32_e32 v10, 3, v10
	ds_store_b64 v10, v[20:21]
; %bb.208:
	s_or_b32 exec_lo, exec_lo, s1
	v_dual_mov_b32 v29, 0 :: v_dual_lshlrev_b32 v12, 3, v0
	s_lshl_b64 s[4:5], s[14:15], 3
	v_mov_b32_e32 v13, v0
	s_mov_b32 s1, 0
	s_delay_alu instid0(VALU_DEP_2) | instskip(SKIP_3) | instid1(VALU_DEP_1)
	v_lshlrev_b64_e32 v[10:11], 3, v[28:29]
	s_wait_storecnt_dscnt 0x0
	s_barrier_signal -1
	s_barrier_wait -1
	v_add_nc_u64_e32 v[10:11], s[20:21], v[10:11]
	s_delay_alu instid0(VALU_DEP_1)
	v_add_nc_u64_e32 v[10:11], s[4:5], v[10:11]
.LBB863_209:                            ; =>This Inner Loop Header: Depth=1
	ds_load_b64 v[14:15], v12
	v_readfirstlane_b32 s4, v10
	v_readfirstlane_b32 s5, v11
	v_add_nc_u32_e32 v12, 0x400, v12
	s_wait_dscnt 0x0
	global_store_b64 v13, v[14:15], s[4:5] scale_offset
	s_wait_xcnt 0x0
	v_add_nc_u32_e32 v13, 0x80, v13
	s_delay_alu instid0(VALU_DEP_1) | instskip(SKIP_1) | instid1(SALU_CYCLE_1)
	v_cmp_ge_u32_e32 vcc_lo, v13, v26
	s_or_b32 s1, vcc_lo, s1
	s_and_not1_b32 exec_lo, exec_lo, s1
	s_cbranch_execnz .LBB863_209
; %bb.210:
	s_or_b32 exec_lo, exec_lo, s1
.LBB863_211:
	s_delay_alu instid0(SALU_CYCLE_1)
	s_and_b32 vcc_lo, exec_lo, s0
	s_mov_b32 s0, -1
	s_wait_storecnt 0x0
	s_barrier_signal -1
	s_barrier_wait -1
	s_cbranch_vccnz .LBB863_215
; %bb.212:
	s_and_b32 vcc_lo, exec_lo, s0
	s_cbranch_vccnz .LBB863_226
.LBB863_213:
	s_and_b32 s0, s2, s28
	s_delay_alu instid0(SALU_CYCLE_1)
	s_and_saveexec_b32 s1, s0
	s_cbranch_execnz .LBB863_239
.LBB863_214:
	s_endpgm
.LBB863_215:
	v_cmp_lt_u32_e32 vcc_lo, v42, v25
	v_cmp_eq_u32_e64 s0, 1, v24
	s_or_b32 s1, s29, vcc_lo
	s_delay_alu instid0(SALU_CYCLE_1) | instskip(NEXT) | instid1(SALU_CYCLE_1)
	s_and_b32 s1, s1, s0
	s_and_saveexec_b32 s0, s1
	s_cbranch_execz .LBB863_217
; %bb.216:
	s_lshl_b64 s[4:5], s[14:15], 3
	s_delay_alu instid0(SALU_CYCLE_1)
	s_add_nc_u64 s[4:5], s[22:23], s[4:5]
	global_store_b64 v42, v[6:7], s[4:5] scale_offset
.LBB863_217:
	s_wait_xcnt 0x0
	s_or_b32 exec_lo, exec_lo, s0
	v_and_b32_e32 v10, 1, v23
	v_cmp_lt_u32_e32 vcc_lo, v33, v25
	s_delay_alu instid0(VALU_DEP_2) | instskip(SKIP_1) | instid1(SALU_CYCLE_1)
	v_cmp_eq_u32_e64 s0, 1, v10
	s_or_b32 s1, s29, vcc_lo
	s_and_b32 s1, s1, s0
	s_delay_alu instid0(SALU_CYCLE_1)
	s_and_saveexec_b32 s0, s1
	s_cbranch_execz .LBB863_219
; %bb.218:
	s_lshl_b64 s[4:5], s[14:15], 3
	s_delay_alu instid0(SALU_CYCLE_1)
	s_add_nc_u64 s[4:5], s[22:23], s[4:5]
	global_store_b64 v33, v[8:9], s[4:5] scale_offset
.LBB863_219:
	s_wait_xcnt 0x0
	s_or_b32 exec_lo, exec_lo, s0
	v_and_b32_e32 v10, 1, v35
	v_cmp_lt_u32_e32 vcc_lo, v32, v25
	s_delay_alu instid0(VALU_DEP_2) | instskip(SKIP_1) | instid1(SALU_CYCLE_1)
	v_cmp_eq_u32_e64 s0, 1, v10
	s_or_b32 s1, s29, vcc_lo
	s_and_b32 s1, s1, s0
	s_delay_alu instid0(SALU_CYCLE_1)
	;; [unrolled: 17-line block ×4, first 2 shown]
	s_and_saveexec_b32 s0, s1
	s_cbranch_execz .LBB863_225
; %bb.224:
	s_lshl_b64 s[4:5], s[14:15], 3
	s_delay_alu instid0(SALU_CYCLE_1)
	s_add_nc_u64 s[4:5], s[22:23], s[4:5]
	global_store_b64 v30, v[18:19], s[4:5] scale_offset
.LBB863_225:
	s_wait_xcnt 0x0
	s_or_b32 exec_lo, exec_lo, s0
	s_branch .LBB863_213
.LBB863_226:
	s_mov_b32 s0, exec_lo
	v_cmpx_eq_u32_e32 1, v24
; %bb.227:
	v_sub_nc_u32_e32 v10, v42, v28
	s_delay_alu instid0(VALU_DEP_1)
	v_lshlrev_b32_e32 v10, 3, v10
	ds_store_b64 v10, v[6:7]
; %bb.228:
	s_or_b32 exec_lo, exec_lo, s0
	v_and_b32_e32 v6, 1, v23
	s_mov_b32 s0, exec_lo
	s_delay_alu instid0(VALU_DEP_1)
	v_cmpx_eq_u32_e32 1, v6
; %bb.229:
	v_sub_nc_u32_e32 v6, v33, v28
	s_delay_alu instid0(VALU_DEP_1)
	v_lshlrev_b32_e32 v6, 3, v6
	ds_store_b64 v6, v[8:9]
; %bb.230:
	s_or_b32 exec_lo, exec_lo, s0
	v_and_b32_e32 v6, 1, v35
	s_mov_b32 s0, exec_lo
	s_delay_alu instid0(VALU_DEP_1)
	;; [unrolled: 11-line block ×4, first 2 shown]
	v_cmpx_eq_u32_e32 1, v2
; %bb.235:
	v_sub_nc_u32_e32 v2, v30, v28
	s_delay_alu instid0(VALU_DEP_1)
	v_lshlrev_b32_e32 v2, 3, v2
	ds_store_b64 v2, v[18:19]
; %bb.236:
	s_or_b32 exec_lo, exec_lo, s0
	v_mov_b32_e32 v29, 0
	s_lshl_b64 s[0:1], s[14:15], 3
	s_wait_storecnt_dscnt 0x0
	s_barrier_signal -1
	s_barrier_wait -1
	v_lshlrev_b64_e32 v[2:3], 3, v[28:29]
	s_delay_alu instid0(VALU_DEP_1) | instskip(NEXT) | instid1(VALU_DEP_1)
	v_add_nc_u64_e32 v[2:3], s[22:23], v[2:3]
	v_add_nc_u64_e32 v[2:3], s[0:1], v[2:3]
	s_mov_b32 s0, 0
.LBB863_237:                            ; =>This Inner Loop Header: Depth=1
	ds_load_b64 v[4:5], v1
	v_readfirstlane_b32 s4, v2
	v_readfirstlane_b32 s5, v3
	v_add_nc_u32_e32 v1, 0x400, v1
	s_wait_dscnt 0x0
	global_store_b64 v0, v[4:5], s[4:5] scale_offset
	s_wait_xcnt 0x0
	v_add_nc_u32_e32 v0, 0x80, v0
	s_delay_alu instid0(VALU_DEP_1) | instskip(SKIP_1) | instid1(SALU_CYCLE_1)
	v_cmp_ge_u32_e32 vcc_lo, v0, v26
	s_or_b32 s0, vcc_lo, s0
	s_and_not1_b32 exec_lo, exec_lo, s0
	s_cbranch_execnz .LBB863_237
; %bb.238:
	s_or_b32 exec_lo, exec_lo, s0
	s_and_b32 s0, s2, s28
	s_delay_alu instid0(SALU_CYCLE_1)
	s_and_saveexec_b32 s1, s0
	s_cbranch_execz .LBB863_214
.LBB863_239:
	v_mov_b32_e32 v27, 0
	s_delay_alu instid0(VALU_DEP_1) | instskip(SKIP_1) | instid1(VALU_DEP_1)
	v_add_nc_u64_e32 v[0:1], s[14:15], v[26:27]
	v_mov_b32_e32 v29, v27
	v_add_nc_u64_e32 v[0:1], v[0:1], v[28:29]
	global_store_b64 v27, v[0:1], s[12:13]
	s_endpgm
	.section	.rodata,"a",@progbits
	.p2align	6, 0x0
	.amdhsa_kernel _ZN7rocprim17ROCPRIM_400000_NS6detail17trampoline_kernelINS0_14default_configENS1_25partition_config_selectorILNS1_17partition_subalgoE9EllbEEZZNS1_14partition_implILS5_9ELb0ES3_jPlS8_PNS0_10empty_typeENS0_5tupleIJS8_S9_EEENSB_IJS8_SA_EEENS0_18inequality_wrapperIZN2at6native12_GLOBAL__N_124unique_dim_cuda_templateIdEESt5tupleIJNSF_6TensorESK_SK_EERKSK_lbbbEUlllE0_EEPmJS9_EEE10hipError_tPvRmT3_T4_T5_T6_T7_T9_mT8_P12ihipStream_tbDpT10_ENKUlT_T0_E_clISt17integral_constantIbLb0EES19_IbLb1EEEEDaS15_S16_EUlS15_E_NS1_11comp_targetILNS1_3genE0ELNS1_11target_archE4294967295ELNS1_3gpuE0ELNS1_3repE0EEENS1_30default_config_static_selectorELNS0_4arch9wavefront6targetE0EEEvT1_
		.amdhsa_group_segment_fixed_size 5128
		.amdhsa_private_segment_fixed_size 0
		.amdhsa_kernarg_size 136
		.amdhsa_user_sgpr_count 2
		.amdhsa_user_sgpr_dispatch_ptr 0
		.amdhsa_user_sgpr_queue_ptr 0
		.amdhsa_user_sgpr_kernarg_segment_ptr 1
		.amdhsa_user_sgpr_dispatch_id 0
		.amdhsa_user_sgpr_kernarg_preload_length 0
		.amdhsa_user_sgpr_kernarg_preload_offset 0
		.amdhsa_user_sgpr_private_segment_size 0
		.amdhsa_wavefront_size32 1
		.amdhsa_uses_dynamic_stack 0
		.amdhsa_enable_private_segment 0
		.amdhsa_system_sgpr_workgroup_id_x 1
		.amdhsa_system_sgpr_workgroup_id_y 0
		.amdhsa_system_sgpr_workgroup_id_z 0
		.amdhsa_system_sgpr_workgroup_info 0
		.amdhsa_system_vgpr_workitem_id 0
		.amdhsa_next_free_vgpr 55
		.amdhsa_next_free_sgpr 36
		.amdhsa_named_barrier_count 0
		.amdhsa_reserve_vcc 1
		.amdhsa_float_round_mode_32 0
		.amdhsa_float_round_mode_16_64 0
		.amdhsa_float_denorm_mode_32 3
		.amdhsa_float_denorm_mode_16_64 3
		.amdhsa_fp16_overflow 0
		.amdhsa_memory_ordered 1
		.amdhsa_forward_progress 1
		.amdhsa_inst_pref_size 75
		.amdhsa_round_robin_scheduling 0
		.amdhsa_exception_fp_ieee_invalid_op 0
		.amdhsa_exception_fp_denorm_src 0
		.amdhsa_exception_fp_ieee_div_zero 0
		.amdhsa_exception_fp_ieee_overflow 0
		.amdhsa_exception_fp_ieee_underflow 0
		.amdhsa_exception_fp_ieee_inexact 0
		.amdhsa_exception_int_div_zero 0
	.end_amdhsa_kernel
	.section	.text._ZN7rocprim17ROCPRIM_400000_NS6detail17trampoline_kernelINS0_14default_configENS1_25partition_config_selectorILNS1_17partition_subalgoE9EllbEEZZNS1_14partition_implILS5_9ELb0ES3_jPlS8_PNS0_10empty_typeENS0_5tupleIJS8_S9_EEENSB_IJS8_SA_EEENS0_18inequality_wrapperIZN2at6native12_GLOBAL__N_124unique_dim_cuda_templateIdEESt5tupleIJNSF_6TensorESK_SK_EERKSK_lbbbEUlllE0_EEPmJS9_EEE10hipError_tPvRmT3_T4_T5_T6_T7_T9_mT8_P12ihipStream_tbDpT10_ENKUlT_T0_E_clISt17integral_constantIbLb0EES19_IbLb1EEEEDaS15_S16_EUlS15_E_NS1_11comp_targetILNS1_3genE0ELNS1_11target_archE4294967295ELNS1_3gpuE0ELNS1_3repE0EEENS1_30default_config_static_selectorELNS0_4arch9wavefront6targetE0EEEvT1_,"axG",@progbits,_ZN7rocprim17ROCPRIM_400000_NS6detail17trampoline_kernelINS0_14default_configENS1_25partition_config_selectorILNS1_17partition_subalgoE9EllbEEZZNS1_14partition_implILS5_9ELb0ES3_jPlS8_PNS0_10empty_typeENS0_5tupleIJS8_S9_EEENSB_IJS8_SA_EEENS0_18inequality_wrapperIZN2at6native12_GLOBAL__N_124unique_dim_cuda_templateIdEESt5tupleIJNSF_6TensorESK_SK_EERKSK_lbbbEUlllE0_EEPmJS9_EEE10hipError_tPvRmT3_T4_T5_T6_T7_T9_mT8_P12ihipStream_tbDpT10_ENKUlT_T0_E_clISt17integral_constantIbLb0EES19_IbLb1EEEEDaS15_S16_EUlS15_E_NS1_11comp_targetILNS1_3genE0ELNS1_11target_archE4294967295ELNS1_3gpuE0ELNS1_3repE0EEENS1_30default_config_static_selectorELNS0_4arch9wavefront6targetE0EEEvT1_,comdat
.Lfunc_end863:
	.size	_ZN7rocprim17ROCPRIM_400000_NS6detail17trampoline_kernelINS0_14default_configENS1_25partition_config_selectorILNS1_17partition_subalgoE9EllbEEZZNS1_14partition_implILS5_9ELb0ES3_jPlS8_PNS0_10empty_typeENS0_5tupleIJS8_S9_EEENSB_IJS8_SA_EEENS0_18inequality_wrapperIZN2at6native12_GLOBAL__N_124unique_dim_cuda_templateIdEESt5tupleIJNSF_6TensorESK_SK_EERKSK_lbbbEUlllE0_EEPmJS9_EEE10hipError_tPvRmT3_T4_T5_T6_T7_T9_mT8_P12ihipStream_tbDpT10_ENKUlT_T0_E_clISt17integral_constantIbLb0EES19_IbLb1EEEEDaS15_S16_EUlS15_E_NS1_11comp_targetILNS1_3genE0ELNS1_11target_archE4294967295ELNS1_3gpuE0ELNS1_3repE0EEENS1_30default_config_static_selectorELNS0_4arch9wavefront6targetE0EEEvT1_, .Lfunc_end863-_ZN7rocprim17ROCPRIM_400000_NS6detail17trampoline_kernelINS0_14default_configENS1_25partition_config_selectorILNS1_17partition_subalgoE9EllbEEZZNS1_14partition_implILS5_9ELb0ES3_jPlS8_PNS0_10empty_typeENS0_5tupleIJS8_S9_EEENSB_IJS8_SA_EEENS0_18inequality_wrapperIZN2at6native12_GLOBAL__N_124unique_dim_cuda_templateIdEESt5tupleIJNSF_6TensorESK_SK_EERKSK_lbbbEUlllE0_EEPmJS9_EEE10hipError_tPvRmT3_T4_T5_T6_T7_T9_mT8_P12ihipStream_tbDpT10_ENKUlT_T0_E_clISt17integral_constantIbLb0EES19_IbLb1EEEEDaS15_S16_EUlS15_E_NS1_11comp_targetILNS1_3genE0ELNS1_11target_archE4294967295ELNS1_3gpuE0ELNS1_3repE0EEENS1_30default_config_static_selectorELNS0_4arch9wavefront6targetE0EEEvT1_
                                        ; -- End function
	.set _ZN7rocprim17ROCPRIM_400000_NS6detail17trampoline_kernelINS0_14default_configENS1_25partition_config_selectorILNS1_17partition_subalgoE9EllbEEZZNS1_14partition_implILS5_9ELb0ES3_jPlS8_PNS0_10empty_typeENS0_5tupleIJS8_S9_EEENSB_IJS8_SA_EEENS0_18inequality_wrapperIZN2at6native12_GLOBAL__N_124unique_dim_cuda_templateIdEESt5tupleIJNSF_6TensorESK_SK_EERKSK_lbbbEUlllE0_EEPmJS9_EEE10hipError_tPvRmT3_T4_T5_T6_T7_T9_mT8_P12ihipStream_tbDpT10_ENKUlT_T0_E_clISt17integral_constantIbLb0EES19_IbLb1EEEEDaS15_S16_EUlS15_E_NS1_11comp_targetILNS1_3genE0ELNS1_11target_archE4294967295ELNS1_3gpuE0ELNS1_3repE0EEENS1_30default_config_static_selectorELNS0_4arch9wavefront6targetE0EEEvT1_.num_vgpr, 55
	.set _ZN7rocprim17ROCPRIM_400000_NS6detail17trampoline_kernelINS0_14default_configENS1_25partition_config_selectorILNS1_17partition_subalgoE9EllbEEZZNS1_14partition_implILS5_9ELb0ES3_jPlS8_PNS0_10empty_typeENS0_5tupleIJS8_S9_EEENSB_IJS8_SA_EEENS0_18inequality_wrapperIZN2at6native12_GLOBAL__N_124unique_dim_cuda_templateIdEESt5tupleIJNSF_6TensorESK_SK_EERKSK_lbbbEUlllE0_EEPmJS9_EEE10hipError_tPvRmT3_T4_T5_T6_T7_T9_mT8_P12ihipStream_tbDpT10_ENKUlT_T0_E_clISt17integral_constantIbLb0EES19_IbLb1EEEEDaS15_S16_EUlS15_E_NS1_11comp_targetILNS1_3genE0ELNS1_11target_archE4294967295ELNS1_3gpuE0ELNS1_3repE0EEENS1_30default_config_static_selectorELNS0_4arch9wavefront6targetE0EEEvT1_.num_agpr, 0
	.set _ZN7rocprim17ROCPRIM_400000_NS6detail17trampoline_kernelINS0_14default_configENS1_25partition_config_selectorILNS1_17partition_subalgoE9EllbEEZZNS1_14partition_implILS5_9ELb0ES3_jPlS8_PNS0_10empty_typeENS0_5tupleIJS8_S9_EEENSB_IJS8_SA_EEENS0_18inequality_wrapperIZN2at6native12_GLOBAL__N_124unique_dim_cuda_templateIdEESt5tupleIJNSF_6TensorESK_SK_EERKSK_lbbbEUlllE0_EEPmJS9_EEE10hipError_tPvRmT3_T4_T5_T6_T7_T9_mT8_P12ihipStream_tbDpT10_ENKUlT_T0_E_clISt17integral_constantIbLb0EES19_IbLb1EEEEDaS15_S16_EUlS15_E_NS1_11comp_targetILNS1_3genE0ELNS1_11target_archE4294967295ELNS1_3gpuE0ELNS1_3repE0EEENS1_30default_config_static_selectorELNS0_4arch9wavefront6targetE0EEEvT1_.numbered_sgpr, 36
	.set _ZN7rocprim17ROCPRIM_400000_NS6detail17trampoline_kernelINS0_14default_configENS1_25partition_config_selectorILNS1_17partition_subalgoE9EllbEEZZNS1_14partition_implILS5_9ELb0ES3_jPlS8_PNS0_10empty_typeENS0_5tupleIJS8_S9_EEENSB_IJS8_SA_EEENS0_18inequality_wrapperIZN2at6native12_GLOBAL__N_124unique_dim_cuda_templateIdEESt5tupleIJNSF_6TensorESK_SK_EERKSK_lbbbEUlllE0_EEPmJS9_EEE10hipError_tPvRmT3_T4_T5_T6_T7_T9_mT8_P12ihipStream_tbDpT10_ENKUlT_T0_E_clISt17integral_constantIbLb0EES19_IbLb1EEEEDaS15_S16_EUlS15_E_NS1_11comp_targetILNS1_3genE0ELNS1_11target_archE4294967295ELNS1_3gpuE0ELNS1_3repE0EEENS1_30default_config_static_selectorELNS0_4arch9wavefront6targetE0EEEvT1_.num_named_barrier, 0
	.set _ZN7rocprim17ROCPRIM_400000_NS6detail17trampoline_kernelINS0_14default_configENS1_25partition_config_selectorILNS1_17partition_subalgoE9EllbEEZZNS1_14partition_implILS5_9ELb0ES3_jPlS8_PNS0_10empty_typeENS0_5tupleIJS8_S9_EEENSB_IJS8_SA_EEENS0_18inequality_wrapperIZN2at6native12_GLOBAL__N_124unique_dim_cuda_templateIdEESt5tupleIJNSF_6TensorESK_SK_EERKSK_lbbbEUlllE0_EEPmJS9_EEE10hipError_tPvRmT3_T4_T5_T6_T7_T9_mT8_P12ihipStream_tbDpT10_ENKUlT_T0_E_clISt17integral_constantIbLb0EES19_IbLb1EEEEDaS15_S16_EUlS15_E_NS1_11comp_targetILNS1_3genE0ELNS1_11target_archE4294967295ELNS1_3gpuE0ELNS1_3repE0EEENS1_30default_config_static_selectorELNS0_4arch9wavefront6targetE0EEEvT1_.private_seg_size, 0
	.set _ZN7rocprim17ROCPRIM_400000_NS6detail17trampoline_kernelINS0_14default_configENS1_25partition_config_selectorILNS1_17partition_subalgoE9EllbEEZZNS1_14partition_implILS5_9ELb0ES3_jPlS8_PNS0_10empty_typeENS0_5tupleIJS8_S9_EEENSB_IJS8_SA_EEENS0_18inequality_wrapperIZN2at6native12_GLOBAL__N_124unique_dim_cuda_templateIdEESt5tupleIJNSF_6TensorESK_SK_EERKSK_lbbbEUlllE0_EEPmJS9_EEE10hipError_tPvRmT3_T4_T5_T6_T7_T9_mT8_P12ihipStream_tbDpT10_ENKUlT_T0_E_clISt17integral_constantIbLb0EES19_IbLb1EEEEDaS15_S16_EUlS15_E_NS1_11comp_targetILNS1_3genE0ELNS1_11target_archE4294967295ELNS1_3gpuE0ELNS1_3repE0EEENS1_30default_config_static_selectorELNS0_4arch9wavefront6targetE0EEEvT1_.uses_vcc, 1
	.set _ZN7rocprim17ROCPRIM_400000_NS6detail17trampoline_kernelINS0_14default_configENS1_25partition_config_selectorILNS1_17partition_subalgoE9EllbEEZZNS1_14partition_implILS5_9ELb0ES3_jPlS8_PNS0_10empty_typeENS0_5tupleIJS8_S9_EEENSB_IJS8_SA_EEENS0_18inequality_wrapperIZN2at6native12_GLOBAL__N_124unique_dim_cuda_templateIdEESt5tupleIJNSF_6TensorESK_SK_EERKSK_lbbbEUlllE0_EEPmJS9_EEE10hipError_tPvRmT3_T4_T5_T6_T7_T9_mT8_P12ihipStream_tbDpT10_ENKUlT_T0_E_clISt17integral_constantIbLb0EES19_IbLb1EEEEDaS15_S16_EUlS15_E_NS1_11comp_targetILNS1_3genE0ELNS1_11target_archE4294967295ELNS1_3gpuE0ELNS1_3repE0EEENS1_30default_config_static_selectorELNS0_4arch9wavefront6targetE0EEEvT1_.uses_flat_scratch, 0
	.set _ZN7rocprim17ROCPRIM_400000_NS6detail17trampoline_kernelINS0_14default_configENS1_25partition_config_selectorILNS1_17partition_subalgoE9EllbEEZZNS1_14partition_implILS5_9ELb0ES3_jPlS8_PNS0_10empty_typeENS0_5tupleIJS8_S9_EEENSB_IJS8_SA_EEENS0_18inequality_wrapperIZN2at6native12_GLOBAL__N_124unique_dim_cuda_templateIdEESt5tupleIJNSF_6TensorESK_SK_EERKSK_lbbbEUlllE0_EEPmJS9_EEE10hipError_tPvRmT3_T4_T5_T6_T7_T9_mT8_P12ihipStream_tbDpT10_ENKUlT_T0_E_clISt17integral_constantIbLb0EES19_IbLb1EEEEDaS15_S16_EUlS15_E_NS1_11comp_targetILNS1_3genE0ELNS1_11target_archE4294967295ELNS1_3gpuE0ELNS1_3repE0EEENS1_30default_config_static_selectorELNS0_4arch9wavefront6targetE0EEEvT1_.has_dyn_sized_stack, 0
	.set _ZN7rocprim17ROCPRIM_400000_NS6detail17trampoline_kernelINS0_14default_configENS1_25partition_config_selectorILNS1_17partition_subalgoE9EllbEEZZNS1_14partition_implILS5_9ELb0ES3_jPlS8_PNS0_10empty_typeENS0_5tupleIJS8_S9_EEENSB_IJS8_SA_EEENS0_18inequality_wrapperIZN2at6native12_GLOBAL__N_124unique_dim_cuda_templateIdEESt5tupleIJNSF_6TensorESK_SK_EERKSK_lbbbEUlllE0_EEPmJS9_EEE10hipError_tPvRmT3_T4_T5_T6_T7_T9_mT8_P12ihipStream_tbDpT10_ENKUlT_T0_E_clISt17integral_constantIbLb0EES19_IbLb1EEEEDaS15_S16_EUlS15_E_NS1_11comp_targetILNS1_3genE0ELNS1_11target_archE4294967295ELNS1_3gpuE0ELNS1_3repE0EEENS1_30default_config_static_selectorELNS0_4arch9wavefront6targetE0EEEvT1_.has_recursion, 0
	.set _ZN7rocprim17ROCPRIM_400000_NS6detail17trampoline_kernelINS0_14default_configENS1_25partition_config_selectorILNS1_17partition_subalgoE9EllbEEZZNS1_14partition_implILS5_9ELb0ES3_jPlS8_PNS0_10empty_typeENS0_5tupleIJS8_S9_EEENSB_IJS8_SA_EEENS0_18inequality_wrapperIZN2at6native12_GLOBAL__N_124unique_dim_cuda_templateIdEESt5tupleIJNSF_6TensorESK_SK_EERKSK_lbbbEUlllE0_EEPmJS9_EEE10hipError_tPvRmT3_T4_T5_T6_T7_T9_mT8_P12ihipStream_tbDpT10_ENKUlT_T0_E_clISt17integral_constantIbLb0EES19_IbLb1EEEEDaS15_S16_EUlS15_E_NS1_11comp_targetILNS1_3genE0ELNS1_11target_archE4294967295ELNS1_3gpuE0ELNS1_3repE0EEENS1_30default_config_static_selectorELNS0_4arch9wavefront6targetE0EEEvT1_.has_indirect_call, 0
	.section	.AMDGPU.csdata,"",@progbits
; Kernel info:
; codeLenInByte = 9540
; TotalNumSgprs: 38
; NumVgprs: 55
; ScratchSize: 0
; MemoryBound: 0
; FloatMode: 240
; IeeeMode: 1
; LDSByteSize: 5128 bytes/workgroup (compile time only)
; SGPRBlocks: 0
; VGPRBlocks: 3
; NumSGPRsForWavesPerEU: 38
; NumVGPRsForWavesPerEU: 55
; NamedBarCnt: 0
; Occupancy: 16
; WaveLimiterHint : 1
; COMPUTE_PGM_RSRC2:SCRATCH_EN: 0
; COMPUTE_PGM_RSRC2:USER_SGPR: 2
; COMPUTE_PGM_RSRC2:TRAP_HANDLER: 0
; COMPUTE_PGM_RSRC2:TGID_X_EN: 1
; COMPUTE_PGM_RSRC2:TGID_Y_EN: 0
; COMPUTE_PGM_RSRC2:TGID_Z_EN: 0
; COMPUTE_PGM_RSRC2:TIDIG_COMP_CNT: 0
	.section	.text._ZN7rocprim17ROCPRIM_400000_NS6detail17trampoline_kernelINS0_14default_configENS1_25partition_config_selectorILNS1_17partition_subalgoE9EllbEEZZNS1_14partition_implILS5_9ELb0ES3_jPlS8_PNS0_10empty_typeENS0_5tupleIJS8_S9_EEENSB_IJS8_SA_EEENS0_18inequality_wrapperIZN2at6native12_GLOBAL__N_124unique_dim_cuda_templateIdEESt5tupleIJNSF_6TensorESK_SK_EERKSK_lbbbEUlllE0_EEPmJS9_EEE10hipError_tPvRmT3_T4_T5_T6_T7_T9_mT8_P12ihipStream_tbDpT10_ENKUlT_T0_E_clISt17integral_constantIbLb0EES19_IbLb1EEEEDaS15_S16_EUlS15_E_NS1_11comp_targetILNS1_3genE5ELNS1_11target_archE942ELNS1_3gpuE9ELNS1_3repE0EEENS1_30default_config_static_selectorELNS0_4arch9wavefront6targetE0EEEvT1_,"axG",@progbits,_ZN7rocprim17ROCPRIM_400000_NS6detail17trampoline_kernelINS0_14default_configENS1_25partition_config_selectorILNS1_17partition_subalgoE9EllbEEZZNS1_14partition_implILS5_9ELb0ES3_jPlS8_PNS0_10empty_typeENS0_5tupleIJS8_S9_EEENSB_IJS8_SA_EEENS0_18inequality_wrapperIZN2at6native12_GLOBAL__N_124unique_dim_cuda_templateIdEESt5tupleIJNSF_6TensorESK_SK_EERKSK_lbbbEUlllE0_EEPmJS9_EEE10hipError_tPvRmT3_T4_T5_T6_T7_T9_mT8_P12ihipStream_tbDpT10_ENKUlT_T0_E_clISt17integral_constantIbLb0EES19_IbLb1EEEEDaS15_S16_EUlS15_E_NS1_11comp_targetILNS1_3genE5ELNS1_11target_archE942ELNS1_3gpuE9ELNS1_3repE0EEENS1_30default_config_static_selectorELNS0_4arch9wavefront6targetE0EEEvT1_,comdat
	.globl	_ZN7rocprim17ROCPRIM_400000_NS6detail17trampoline_kernelINS0_14default_configENS1_25partition_config_selectorILNS1_17partition_subalgoE9EllbEEZZNS1_14partition_implILS5_9ELb0ES3_jPlS8_PNS0_10empty_typeENS0_5tupleIJS8_S9_EEENSB_IJS8_SA_EEENS0_18inequality_wrapperIZN2at6native12_GLOBAL__N_124unique_dim_cuda_templateIdEESt5tupleIJNSF_6TensorESK_SK_EERKSK_lbbbEUlllE0_EEPmJS9_EEE10hipError_tPvRmT3_T4_T5_T6_T7_T9_mT8_P12ihipStream_tbDpT10_ENKUlT_T0_E_clISt17integral_constantIbLb0EES19_IbLb1EEEEDaS15_S16_EUlS15_E_NS1_11comp_targetILNS1_3genE5ELNS1_11target_archE942ELNS1_3gpuE9ELNS1_3repE0EEENS1_30default_config_static_selectorELNS0_4arch9wavefront6targetE0EEEvT1_ ; -- Begin function _ZN7rocprim17ROCPRIM_400000_NS6detail17trampoline_kernelINS0_14default_configENS1_25partition_config_selectorILNS1_17partition_subalgoE9EllbEEZZNS1_14partition_implILS5_9ELb0ES3_jPlS8_PNS0_10empty_typeENS0_5tupleIJS8_S9_EEENSB_IJS8_SA_EEENS0_18inequality_wrapperIZN2at6native12_GLOBAL__N_124unique_dim_cuda_templateIdEESt5tupleIJNSF_6TensorESK_SK_EERKSK_lbbbEUlllE0_EEPmJS9_EEE10hipError_tPvRmT3_T4_T5_T6_T7_T9_mT8_P12ihipStream_tbDpT10_ENKUlT_T0_E_clISt17integral_constantIbLb0EES19_IbLb1EEEEDaS15_S16_EUlS15_E_NS1_11comp_targetILNS1_3genE5ELNS1_11target_archE942ELNS1_3gpuE9ELNS1_3repE0EEENS1_30default_config_static_selectorELNS0_4arch9wavefront6targetE0EEEvT1_
	.p2align	8
	.type	_ZN7rocprim17ROCPRIM_400000_NS6detail17trampoline_kernelINS0_14default_configENS1_25partition_config_selectorILNS1_17partition_subalgoE9EllbEEZZNS1_14partition_implILS5_9ELb0ES3_jPlS8_PNS0_10empty_typeENS0_5tupleIJS8_S9_EEENSB_IJS8_SA_EEENS0_18inequality_wrapperIZN2at6native12_GLOBAL__N_124unique_dim_cuda_templateIdEESt5tupleIJNSF_6TensorESK_SK_EERKSK_lbbbEUlllE0_EEPmJS9_EEE10hipError_tPvRmT3_T4_T5_T6_T7_T9_mT8_P12ihipStream_tbDpT10_ENKUlT_T0_E_clISt17integral_constantIbLb0EES19_IbLb1EEEEDaS15_S16_EUlS15_E_NS1_11comp_targetILNS1_3genE5ELNS1_11target_archE942ELNS1_3gpuE9ELNS1_3repE0EEENS1_30default_config_static_selectorELNS0_4arch9wavefront6targetE0EEEvT1_,@function
_ZN7rocprim17ROCPRIM_400000_NS6detail17trampoline_kernelINS0_14default_configENS1_25partition_config_selectorILNS1_17partition_subalgoE9EllbEEZZNS1_14partition_implILS5_9ELb0ES3_jPlS8_PNS0_10empty_typeENS0_5tupleIJS8_S9_EEENSB_IJS8_SA_EEENS0_18inequality_wrapperIZN2at6native12_GLOBAL__N_124unique_dim_cuda_templateIdEESt5tupleIJNSF_6TensorESK_SK_EERKSK_lbbbEUlllE0_EEPmJS9_EEE10hipError_tPvRmT3_T4_T5_T6_T7_T9_mT8_P12ihipStream_tbDpT10_ENKUlT_T0_E_clISt17integral_constantIbLb0EES19_IbLb1EEEEDaS15_S16_EUlS15_E_NS1_11comp_targetILNS1_3genE5ELNS1_11target_archE942ELNS1_3gpuE9ELNS1_3repE0EEENS1_30default_config_static_selectorELNS0_4arch9wavefront6targetE0EEEvT1_: ; @_ZN7rocprim17ROCPRIM_400000_NS6detail17trampoline_kernelINS0_14default_configENS1_25partition_config_selectorILNS1_17partition_subalgoE9EllbEEZZNS1_14partition_implILS5_9ELb0ES3_jPlS8_PNS0_10empty_typeENS0_5tupleIJS8_S9_EEENSB_IJS8_SA_EEENS0_18inequality_wrapperIZN2at6native12_GLOBAL__N_124unique_dim_cuda_templateIdEESt5tupleIJNSF_6TensorESK_SK_EERKSK_lbbbEUlllE0_EEPmJS9_EEE10hipError_tPvRmT3_T4_T5_T6_T7_T9_mT8_P12ihipStream_tbDpT10_ENKUlT_T0_E_clISt17integral_constantIbLb0EES19_IbLb1EEEEDaS15_S16_EUlS15_E_NS1_11comp_targetILNS1_3genE5ELNS1_11target_archE942ELNS1_3gpuE9ELNS1_3repE0EEENS1_30default_config_static_selectorELNS0_4arch9wavefront6targetE0EEEvT1_
; %bb.0:
	.section	.rodata,"a",@progbits
	.p2align	6, 0x0
	.amdhsa_kernel _ZN7rocprim17ROCPRIM_400000_NS6detail17trampoline_kernelINS0_14default_configENS1_25partition_config_selectorILNS1_17partition_subalgoE9EllbEEZZNS1_14partition_implILS5_9ELb0ES3_jPlS8_PNS0_10empty_typeENS0_5tupleIJS8_S9_EEENSB_IJS8_SA_EEENS0_18inequality_wrapperIZN2at6native12_GLOBAL__N_124unique_dim_cuda_templateIdEESt5tupleIJNSF_6TensorESK_SK_EERKSK_lbbbEUlllE0_EEPmJS9_EEE10hipError_tPvRmT3_T4_T5_T6_T7_T9_mT8_P12ihipStream_tbDpT10_ENKUlT_T0_E_clISt17integral_constantIbLb0EES19_IbLb1EEEEDaS15_S16_EUlS15_E_NS1_11comp_targetILNS1_3genE5ELNS1_11target_archE942ELNS1_3gpuE9ELNS1_3repE0EEENS1_30default_config_static_selectorELNS0_4arch9wavefront6targetE0EEEvT1_
		.amdhsa_group_segment_fixed_size 0
		.amdhsa_private_segment_fixed_size 0
		.amdhsa_kernarg_size 136
		.amdhsa_user_sgpr_count 2
		.amdhsa_user_sgpr_dispatch_ptr 0
		.amdhsa_user_sgpr_queue_ptr 0
		.amdhsa_user_sgpr_kernarg_segment_ptr 1
		.amdhsa_user_sgpr_dispatch_id 0
		.amdhsa_user_sgpr_kernarg_preload_length 0
		.amdhsa_user_sgpr_kernarg_preload_offset 0
		.amdhsa_user_sgpr_private_segment_size 0
		.amdhsa_wavefront_size32 1
		.amdhsa_uses_dynamic_stack 0
		.amdhsa_enable_private_segment 0
		.amdhsa_system_sgpr_workgroup_id_x 1
		.amdhsa_system_sgpr_workgroup_id_y 0
		.amdhsa_system_sgpr_workgroup_id_z 0
		.amdhsa_system_sgpr_workgroup_info 0
		.amdhsa_system_vgpr_workitem_id 0
		.amdhsa_next_free_vgpr 1
		.amdhsa_next_free_sgpr 1
		.amdhsa_named_barrier_count 0
		.amdhsa_reserve_vcc 0
		.amdhsa_float_round_mode_32 0
		.amdhsa_float_round_mode_16_64 0
		.amdhsa_float_denorm_mode_32 3
		.amdhsa_float_denorm_mode_16_64 3
		.amdhsa_fp16_overflow 0
		.amdhsa_memory_ordered 1
		.amdhsa_forward_progress 1
		.amdhsa_inst_pref_size 0
		.amdhsa_round_robin_scheduling 0
		.amdhsa_exception_fp_ieee_invalid_op 0
		.amdhsa_exception_fp_denorm_src 0
		.amdhsa_exception_fp_ieee_div_zero 0
		.amdhsa_exception_fp_ieee_overflow 0
		.amdhsa_exception_fp_ieee_underflow 0
		.amdhsa_exception_fp_ieee_inexact 0
		.amdhsa_exception_int_div_zero 0
	.end_amdhsa_kernel
	.section	.text._ZN7rocprim17ROCPRIM_400000_NS6detail17trampoline_kernelINS0_14default_configENS1_25partition_config_selectorILNS1_17partition_subalgoE9EllbEEZZNS1_14partition_implILS5_9ELb0ES3_jPlS8_PNS0_10empty_typeENS0_5tupleIJS8_S9_EEENSB_IJS8_SA_EEENS0_18inequality_wrapperIZN2at6native12_GLOBAL__N_124unique_dim_cuda_templateIdEESt5tupleIJNSF_6TensorESK_SK_EERKSK_lbbbEUlllE0_EEPmJS9_EEE10hipError_tPvRmT3_T4_T5_T6_T7_T9_mT8_P12ihipStream_tbDpT10_ENKUlT_T0_E_clISt17integral_constantIbLb0EES19_IbLb1EEEEDaS15_S16_EUlS15_E_NS1_11comp_targetILNS1_3genE5ELNS1_11target_archE942ELNS1_3gpuE9ELNS1_3repE0EEENS1_30default_config_static_selectorELNS0_4arch9wavefront6targetE0EEEvT1_,"axG",@progbits,_ZN7rocprim17ROCPRIM_400000_NS6detail17trampoline_kernelINS0_14default_configENS1_25partition_config_selectorILNS1_17partition_subalgoE9EllbEEZZNS1_14partition_implILS5_9ELb0ES3_jPlS8_PNS0_10empty_typeENS0_5tupleIJS8_S9_EEENSB_IJS8_SA_EEENS0_18inequality_wrapperIZN2at6native12_GLOBAL__N_124unique_dim_cuda_templateIdEESt5tupleIJNSF_6TensorESK_SK_EERKSK_lbbbEUlllE0_EEPmJS9_EEE10hipError_tPvRmT3_T4_T5_T6_T7_T9_mT8_P12ihipStream_tbDpT10_ENKUlT_T0_E_clISt17integral_constantIbLb0EES19_IbLb1EEEEDaS15_S16_EUlS15_E_NS1_11comp_targetILNS1_3genE5ELNS1_11target_archE942ELNS1_3gpuE9ELNS1_3repE0EEENS1_30default_config_static_selectorELNS0_4arch9wavefront6targetE0EEEvT1_,comdat
.Lfunc_end864:
	.size	_ZN7rocprim17ROCPRIM_400000_NS6detail17trampoline_kernelINS0_14default_configENS1_25partition_config_selectorILNS1_17partition_subalgoE9EllbEEZZNS1_14partition_implILS5_9ELb0ES3_jPlS8_PNS0_10empty_typeENS0_5tupleIJS8_S9_EEENSB_IJS8_SA_EEENS0_18inequality_wrapperIZN2at6native12_GLOBAL__N_124unique_dim_cuda_templateIdEESt5tupleIJNSF_6TensorESK_SK_EERKSK_lbbbEUlllE0_EEPmJS9_EEE10hipError_tPvRmT3_T4_T5_T6_T7_T9_mT8_P12ihipStream_tbDpT10_ENKUlT_T0_E_clISt17integral_constantIbLb0EES19_IbLb1EEEEDaS15_S16_EUlS15_E_NS1_11comp_targetILNS1_3genE5ELNS1_11target_archE942ELNS1_3gpuE9ELNS1_3repE0EEENS1_30default_config_static_selectorELNS0_4arch9wavefront6targetE0EEEvT1_, .Lfunc_end864-_ZN7rocprim17ROCPRIM_400000_NS6detail17trampoline_kernelINS0_14default_configENS1_25partition_config_selectorILNS1_17partition_subalgoE9EllbEEZZNS1_14partition_implILS5_9ELb0ES3_jPlS8_PNS0_10empty_typeENS0_5tupleIJS8_S9_EEENSB_IJS8_SA_EEENS0_18inequality_wrapperIZN2at6native12_GLOBAL__N_124unique_dim_cuda_templateIdEESt5tupleIJNSF_6TensorESK_SK_EERKSK_lbbbEUlllE0_EEPmJS9_EEE10hipError_tPvRmT3_T4_T5_T6_T7_T9_mT8_P12ihipStream_tbDpT10_ENKUlT_T0_E_clISt17integral_constantIbLb0EES19_IbLb1EEEEDaS15_S16_EUlS15_E_NS1_11comp_targetILNS1_3genE5ELNS1_11target_archE942ELNS1_3gpuE9ELNS1_3repE0EEENS1_30default_config_static_selectorELNS0_4arch9wavefront6targetE0EEEvT1_
                                        ; -- End function
	.set _ZN7rocprim17ROCPRIM_400000_NS6detail17trampoline_kernelINS0_14default_configENS1_25partition_config_selectorILNS1_17partition_subalgoE9EllbEEZZNS1_14partition_implILS5_9ELb0ES3_jPlS8_PNS0_10empty_typeENS0_5tupleIJS8_S9_EEENSB_IJS8_SA_EEENS0_18inequality_wrapperIZN2at6native12_GLOBAL__N_124unique_dim_cuda_templateIdEESt5tupleIJNSF_6TensorESK_SK_EERKSK_lbbbEUlllE0_EEPmJS9_EEE10hipError_tPvRmT3_T4_T5_T6_T7_T9_mT8_P12ihipStream_tbDpT10_ENKUlT_T0_E_clISt17integral_constantIbLb0EES19_IbLb1EEEEDaS15_S16_EUlS15_E_NS1_11comp_targetILNS1_3genE5ELNS1_11target_archE942ELNS1_3gpuE9ELNS1_3repE0EEENS1_30default_config_static_selectorELNS0_4arch9wavefront6targetE0EEEvT1_.num_vgpr, 0
	.set _ZN7rocprim17ROCPRIM_400000_NS6detail17trampoline_kernelINS0_14default_configENS1_25partition_config_selectorILNS1_17partition_subalgoE9EllbEEZZNS1_14partition_implILS5_9ELb0ES3_jPlS8_PNS0_10empty_typeENS0_5tupleIJS8_S9_EEENSB_IJS8_SA_EEENS0_18inequality_wrapperIZN2at6native12_GLOBAL__N_124unique_dim_cuda_templateIdEESt5tupleIJNSF_6TensorESK_SK_EERKSK_lbbbEUlllE0_EEPmJS9_EEE10hipError_tPvRmT3_T4_T5_T6_T7_T9_mT8_P12ihipStream_tbDpT10_ENKUlT_T0_E_clISt17integral_constantIbLb0EES19_IbLb1EEEEDaS15_S16_EUlS15_E_NS1_11comp_targetILNS1_3genE5ELNS1_11target_archE942ELNS1_3gpuE9ELNS1_3repE0EEENS1_30default_config_static_selectorELNS0_4arch9wavefront6targetE0EEEvT1_.num_agpr, 0
	.set _ZN7rocprim17ROCPRIM_400000_NS6detail17trampoline_kernelINS0_14default_configENS1_25partition_config_selectorILNS1_17partition_subalgoE9EllbEEZZNS1_14partition_implILS5_9ELb0ES3_jPlS8_PNS0_10empty_typeENS0_5tupleIJS8_S9_EEENSB_IJS8_SA_EEENS0_18inequality_wrapperIZN2at6native12_GLOBAL__N_124unique_dim_cuda_templateIdEESt5tupleIJNSF_6TensorESK_SK_EERKSK_lbbbEUlllE0_EEPmJS9_EEE10hipError_tPvRmT3_T4_T5_T6_T7_T9_mT8_P12ihipStream_tbDpT10_ENKUlT_T0_E_clISt17integral_constantIbLb0EES19_IbLb1EEEEDaS15_S16_EUlS15_E_NS1_11comp_targetILNS1_3genE5ELNS1_11target_archE942ELNS1_3gpuE9ELNS1_3repE0EEENS1_30default_config_static_selectorELNS0_4arch9wavefront6targetE0EEEvT1_.numbered_sgpr, 0
	.set _ZN7rocprim17ROCPRIM_400000_NS6detail17trampoline_kernelINS0_14default_configENS1_25partition_config_selectorILNS1_17partition_subalgoE9EllbEEZZNS1_14partition_implILS5_9ELb0ES3_jPlS8_PNS0_10empty_typeENS0_5tupleIJS8_S9_EEENSB_IJS8_SA_EEENS0_18inequality_wrapperIZN2at6native12_GLOBAL__N_124unique_dim_cuda_templateIdEESt5tupleIJNSF_6TensorESK_SK_EERKSK_lbbbEUlllE0_EEPmJS9_EEE10hipError_tPvRmT3_T4_T5_T6_T7_T9_mT8_P12ihipStream_tbDpT10_ENKUlT_T0_E_clISt17integral_constantIbLb0EES19_IbLb1EEEEDaS15_S16_EUlS15_E_NS1_11comp_targetILNS1_3genE5ELNS1_11target_archE942ELNS1_3gpuE9ELNS1_3repE0EEENS1_30default_config_static_selectorELNS0_4arch9wavefront6targetE0EEEvT1_.num_named_barrier, 0
	.set _ZN7rocprim17ROCPRIM_400000_NS6detail17trampoline_kernelINS0_14default_configENS1_25partition_config_selectorILNS1_17partition_subalgoE9EllbEEZZNS1_14partition_implILS5_9ELb0ES3_jPlS8_PNS0_10empty_typeENS0_5tupleIJS8_S9_EEENSB_IJS8_SA_EEENS0_18inequality_wrapperIZN2at6native12_GLOBAL__N_124unique_dim_cuda_templateIdEESt5tupleIJNSF_6TensorESK_SK_EERKSK_lbbbEUlllE0_EEPmJS9_EEE10hipError_tPvRmT3_T4_T5_T6_T7_T9_mT8_P12ihipStream_tbDpT10_ENKUlT_T0_E_clISt17integral_constantIbLb0EES19_IbLb1EEEEDaS15_S16_EUlS15_E_NS1_11comp_targetILNS1_3genE5ELNS1_11target_archE942ELNS1_3gpuE9ELNS1_3repE0EEENS1_30default_config_static_selectorELNS0_4arch9wavefront6targetE0EEEvT1_.private_seg_size, 0
	.set _ZN7rocprim17ROCPRIM_400000_NS6detail17trampoline_kernelINS0_14default_configENS1_25partition_config_selectorILNS1_17partition_subalgoE9EllbEEZZNS1_14partition_implILS5_9ELb0ES3_jPlS8_PNS0_10empty_typeENS0_5tupleIJS8_S9_EEENSB_IJS8_SA_EEENS0_18inequality_wrapperIZN2at6native12_GLOBAL__N_124unique_dim_cuda_templateIdEESt5tupleIJNSF_6TensorESK_SK_EERKSK_lbbbEUlllE0_EEPmJS9_EEE10hipError_tPvRmT3_T4_T5_T6_T7_T9_mT8_P12ihipStream_tbDpT10_ENKUlT_T0_E_clISt17integral_constantIbLb0EES19_IbLb1EEEEDaS15_S16_EUlS15_E_NS1_11comp_targetILNS1_3genE5ELNS1_11target_archE942ELNS1_3gpuE9ELNS1_3repE0EEENS1_30default_config_static_selectorELNS0_4arch9wavefront6targetE0EEEvT1_.uses_vcc, 0
	.set _ZN7rocprim17ROCPRIM_400000_NS6detail17trampoline_kernelINS0_14default_configENS1_25partition_config_selectorILNS1_17partition_subalgoE9EllbEEZZNS1_14partition_implILS5_9ELb0ES3_jPlS8_PNS0_10empty_typeENS0_5tupleIJS8_S9_EEENSB_IJS8_SA_EEENS0_18inequality_wrapperIZN2at6native12_GLOBAL__N_124unique_dim_cuda_templateIdEESt5tupleIJNSF_6TensorESK_SK_EERKSK_lbbbEUlllE0_EEPmJS9_EEE10hipError_tPvRmT3_T4_T5_T6_T7_T9_mT8_P12ihipStream_tbDpT10_ENKUlT_T0_E_clISt17integral_constantIbLb0EES19_IbLb1EEEEDaS15_S16_EUlS15_E_NS1_11comp_targetILNS1_3genE5ELNS1_11target_archE942ELNS1_3gpuE9ELNS1_3repE0EEENS1_30default_config_static_selectorELNS0_4arch9wavefront6targetE0EEEvT1_.uses_flat_scratch, 0
	.set _ZN7rocprim17ROCPRIM_400000_NS6detail17trampoline_kernelINS0_14default_configENS1_25partition_config_selectorILNS1_17partition_subalgoE9EllbEEZZNS1_14partition_implILS5_9ELb0ES3_jPlS8_PNS0_10empty_typeENS0_5tupleIJS8_S9_EEENSB_IJS8_SA_EEENS0_18inequality_wrapperIZN2at6native12_GLOBAL__N_124unique_dim_cuda_templateIdEESt5tupleIJNSF_6TensorESK_SK_EERKSK_lbbbEUlllE0_EEPmJS9_EEE10hipError_tPvRmT3_T4_T5_T6_T7_T9_mT8_P12ihipStream_tbDpT10_ENKUlT_T0_E_clISt17integral_constantIbLb0EES19_IbLb1EEEEDaS15_S16_EUlS15_E_NS1_11comp_targetILNS1_3genE5ELNS1_11target_archE942ELNS1_3gpuE9ELNS1_3repE0EEENS1_30default_config_static_selectorELNS0_4arch9wavefront6targetE0EEEvT1_.has_dyn_sized_stack, 0
	.set _ZN7rocprim17ROCPRIM_400000_NS6detail17trampoline_kernelINS0_14default_configENS1_25partition_config_selectorILNS1_17partition_subalgoE9EllbEEZZNS1_14partition_implILS5_9ELb0ES3_jPlS8_PNS0_10empty_typeENS0_5tupleIJS8_S9_EEENSB_IJS8_SA_EEENS0_18inequality_wrapperIZN2at6native12_GLOBAL__N_124unique_dim_cuda_templateIdEESt5tupleIJNSF_6TensorESK_SK_EERKSK_lbbbEUlllE0_EEPmJS9_EEE10hipError_tPvRmT3_T4_T5_T6_T7_T9_mT8_P12ihipStream_tbDpT10_ENKUlT_T0_E_clISt17integral_constantIbLb0EES19_IbLb1EEEEDaS15_S16_EUlS15_E_NS1_11comp_targetILNS1_3genE5ELNS1_11target_archE942ELNS1_3gpuE9ELNS1_3repE0EEENS1_30default_config_static_selectorELNS0_4arch9wavefront6targetE0EEEvT1_.has_recursion, 0
	.set _ZN7rocprim17ROCPRIM_400000_NS6detail17trampoline_kernelINS0_14default_configENS1_25partition_config_selectorILNS1_17partition_subalgoE9EllbEEZZNS1_14partition_implILS5_9ELb0ES3_jPlS8_PNS0_10empty_typeENS0_5tupleIJS8_S9_EEENSB_IJS8_SA_EEENS0_18inequality_wrapperIZN2at6native12_GLOBAL__N_124unique_dim_cuda_templateIdEESt5tupleIJNSF_6TensorESK_SK_EERKSK_lbbbEUlllE0_EEPmJS9_EEE10hipError_tPvRmT3_T4_T5_T6_T7_T9_mT8_P12ihipStream_tbDpT10_ENKUlT_T0_E_clISt17integral_constantIbLb0EES19_IbLb1EEEEDaS15_S16_EUlS15_E_NS1_11comp_targetILNS1_3genE5ELNS1_11target_archE942ELNS1_3gpuE9ELNS1_3repE0EEENS1_30default_config_static_selectorELNS0_4arch9wavefront6targetE0EEEvT1_.has_indirect_call, 0
	.section	.AMDGPU.csdata,"",@progbits
; Kernel info:
; codeLenInByte = 0
; TotalNumSgprs: 0
; NumVgprs: 0
; ScratchSize: 0
; MemoryBound: 0
; FloatMode: 240
; IeeeMode: 1
; LDSByteSize: 0 bytes/workgroup (compile time only)
; SGPRBlocks: 0
; VGPRBlocks: 0
; NumSGPRsForWavesPerEU: 1
; NumVGPRsForWavesPerEU: 1
; NamedBarCnt: 0
; Occupancy: 16
; WaveLimiterHint : 0
; COMPUTE_PGM_RSRC2:SCRATCH_EN: 0
; COMPUTE_PGM_RSRC2:USER_SGPR: 2
; COMPUTE_PGM_RSRC2:TRAP_HANDLER: 0
; COMPUTE_PGM_RSRC2:TGID_X_EN: 1
; COMPUTE_PGM_RSRC2:TGID_Y_EN: 0
; COMPUTE_PGM_RSRC2:TGID_Z_EN: 0
; COMPUTE_PGM_RSRC2:TIDIG_COMP_CNT: 0
	.section	.text._ZN7rocprim17ROCPRIM_400000_NS6detail17trampoline_kernelINS0_14default_configENS1_25partition_config_selectorILNS1_17partition_subalgoE9EllbEEZZNS1_14partition_implILS5_9ELb0ES3_jPlS8_PNS0_10empty_typeENS0_5tupleIJS8_S9_EEENSB_IJS8_SA_EEENS0_18inequality_wrapperIZN2at6native12_GLOBAL__N_124unique_dim_cuda_templateIdEESt5tupleIJNSF_6TensorESK_SK_EERKSK_lbbbEUlllE0_EEPmJS9_EEE10hipError_tPvRmT3_T4_T5_T6_T7_T9_mT8_P12ihipStream_tbDpT10_ENKUlT_T0_E_clISt17integral_constantIbLb0EES19_IbLb1EEEEDaS15_S16_EUlS15_E_NS1_11comp_targetILNS1_3genE4ELNS1_11target_archE910ELNS1_3gpuE8ELNS1_3repE0EEENS1_30default_config_static_selectorELNS0_4arch9wavefront6targetE0EEEvT1_,"axG",@progbits,_ZN7rocprim17ROCPRIM_400000_NS6detail17trampoline_kernelINS0_14default_configENS1_25partition_config_selectorILNS1_17partition_subalgoE9EllbEEZZNS1_14partition_implILS5_9ELb0ES3_jPlS8_PNS0_10empty_typeENS0_5tupleIJS8_S9_EEENSB_IJS8_SA_EEENS0_18inequality_wrapperIZN2at6native12_GLOBAL__N_124unique_dim_cuda_templateIdEESt5tupleIJNSF_6TensorESK_SK_EERKSK_lbbbEUlllE0_EEPmJS9_EEE10hipError_tPvRmT3_T4_T5_T6_T7_T9_mT8_P12ihipStream_tbDpT10_ENKUlT_T0_E_clISt17integral_constantIbLb0EES19_IbLb1EEEEDaS15_S16_EUlS15_E_NS1_11comp_targetILNS1_3genE4ELNS1_11target_archE910ELNS1_3gpuE8ELNS1_3repE0EEENS1_30default_config_static_selectorELNS0_4arch9wavefront6targetE0EEEvT1_,comdat
	.globl	_ZN7rocprim17ROCPRIM_400000_NS6detail17trampoline_kernelINS0_14default_configENS1_25partition_config_selectorILNS1_17partition_subalgoE9EllbEEZZNS1_14partition_implILS5_9ELb0ES3_jPlS8_PNS0_10empty_typeENS0_5tupleIJS8_S9_EEENSB_IJS8_SA_EEENS0_18inequality_wrapperIZN2at6native12_GLOBAL__N_124unique_dim_cuda_templateIdEESt5tupleIJNSF_6TensorESK_SK_EERKSK_lbbbEUlllE0_EEPmJS9_EEE10hipError_tPvRmT3_T4_T5_T6_T7_T9_mT8_P12ihipStream_tbDpT10_ENKUlT_T0_E_clISt17integral_constantIbLb0EES19_IbLb1EEEEDaS15_S16_EUlS15_E_NS1_11comp_targetILNS1_3genE4ELNS1_11target_archE910ELNS1_3gpuE8ELNS1_3repE0EEENS1_30default_config_static_selectorELNS0_4arch9wavefront6targetE0EEEvT1_ ; -- Begin function _ZN7rocprim17ROCPRIM_400000_NS6detail17trampoline_kernelINS0_14default_configENS1_25partition_config_selectorILNS1_17partition_subalgoE9EllbEEZZNS1_14partition_implILS5_9ELb0ES3_jPlS8_PNS0_10empty_typeENS0_5tupleIJS8_S9_EEENSB_IJS8_SA_EEENS0_18inequality_wrapperIZN2at6native12_GLOBAL__N_124unique_dim_cuda_templateIdEESt5tupleIJNSF_6TensorESK_SK_EERKSK_lbbbEUlllE0_EEPmJS9_EEE10hipError_tPvRmT3_T4_T5_T6_T7_T9_mT8_P12ihipStream_tbDpT10_ENKUlT_T0_E_clISt17integral_constantIbLb0EES19_IbLb1EEEEDaS15_S16_EUlS15_E_NS1_11comp_targetILNS1_3genE4ELNS1_11target_archE910ELNS1_3gpuE8ELNS1_3repE0EEENS1_30default_config_static_selectorELNS0_4arch9wavefront6targetE0EEEvT1_
	.p2align	8
	.type	_ZN7rocprim17ROCPRIM_400000_NS6detail17trampoline_kernelINS0_14default_configENS1_25partition_config_selectorILNS1_17partition_subalgoE9EllbEEZZNS1_14partition_implILS5_9ELb0ES3_jPlS8_PNS0_10empty_typeENS0_5tupleIJS8_S9_EEENSB_IJS8_SA_EEENS0_18inequality_wrapperIZN2at6native12_GLOBAL__N_124unique_dim_cuda_templateIdEESt5tupleIJNSF_6TensorESK_SK_EERKSK_lbbbEUlllE0_EEPmJS9_EEE10hipError_tPvRmT3_T4_T5_T6_T7_T9_mT8_P12ihipStream_tbDpT10_ENKUlT_T0_E_clISt17integral_constantIbLb0EES19_IbLb1EEEEDaS15_S16_EUlS15_E_NS1_11comp_targetILNS1_3genE4ELNS1_11target_archE910ELNS1_3gpuE8ELNS1_3repE0EEENS1_30default_config_static_selectorELNS0_4arch9wavefront6targetE0EEEvT1_,@function
_ZN7rocprim17ROCPRIM_400000_NS6detail17trampoline_kernelINS0_14default_configENS1_25partition_config_selectorILNS1_17partition_subalgoE9EllbEEZZNS1_14partition_implILS5_9ELb0ES3_jPlS8_PNS0_10empty_typeENS0_5tupleIJS8_S9_EEENSB_IJS8_SA_EEENS0_18inequality_wrapperIZN2at6native12_GLOBAL__N_124unique_dim_cuda_templateIdEESt5tupleIJNSF_6TensorESK_SK_EERKSK_lbbbEUlllE0_EEPmJS9_EEE10hipError_tPvRmT3_T4_T5_T6_T7_T9_mT8_P12ihipStream_tbDpT10_ENKUlT_T0_E_clISt17integral_constantIbLb0EES19_IbLb1EEEEDaS15_S16_EUlS15_E_NS1_11comp_targetILNS1_3genE4ELNS1_11target_archE910ELNS1_3gpuE8ELNS1_3repE0EEENS1_30default_config_static_selectorELNS0_4arch9wavefront6targetE0EEEvT1_: ; @_ZN7rocprim17ROCPRIM_400000_NS6detail17trampoline_kernelINS0_14default_configENS1_25partition_config_selectorILNS1_17partition_subalgoE9EllbEEZZNS1_14partition_implILS5_9ELb0ES3_jPlS8_PNS0_10empty_typeENS0_5tupleIJS8_S9_EEENSB_IJS8_SA_EEENS0_18inequality_wrapperIZN2at6native12_GLOBAL__N_124unique_dim_cuda_templateIdEESt5tupleIJNSF_6TensorESK_SK_EERKSK_lbbbEUlllE0_EEPmJS9_EEE10hipError_tPvRmT3_T4_T5_T6_T7_T9_mT8_P12ihipStream_tbDpT10_ENKUlT_T0_E_clISt17integral_constantIbLb0EES19_IbLb1EEEEDaS15_S16_EUlS15_E_NS1_11comp_targetILNS1_3genE4ELNS1_11target_archE910ELNS1_3gpuE8ELNS1_3repE0EEENS1_30default_config_static_selectorELNS0_4arch9wavefront6targetE0EEEvT1_
; %bb.0:
	.section	.rodata,"a",@progbits
	.p2align	6, 0x0
	.amdhsa_kernel _ZN7rocprim17ROCPRIM_400000_NS6detail17trampoline_kernelINS0_14default_configENS1_25partition_config_selectorILNS1_17partition_subalgoE9EllbEEZZNS1_14partition_implILS5_9ELb0ES3_jPlS8_PNS0_10empty_typeENS0_5tupleIJS8_S9_EEENSB_IJS8_SA_EEENS0_18inequality_wrapperIZN2at6native12_GLOBAL__N_124unique_dim_cuda_templateIdEESt5tupleIJNSF_6TensorESK_SK_EERKSK_lbbbEUlllE0_EEPmJS9_EEE10hipError_tPvRmT3_T4_T5_T6_T7_T9_mT8_P12ihipStream_tbDpT10_ENKUlT_T0_E_clISt17integral_constantIbLb0EES19_IbLb1EEEEDaS15_S16_EUlS15_E_NS1_11comp_targetILNS1_3genE4ELNS1_11target_archE910ELNS1_3gpuE8ELNS1_3repE0EEENS1_30default_config_static_selectorELNS0_4arch9wavefront6targetE0EEEvT1_
		.amdhsa_group_segment_fixed_size 0
		.amdhsa_private_segment_fixed_size 0
		.amdhsa_kernarg_size 136
		.amdhsa_user_sgpr_count 2
		.amdhsa_user_sgpr_dispatch_ptr 0
		.amdhsa_user_sgpr_queue_ptr 0
		.amdhsa_user_sgpr_kernarg_segment_ptr 1
		.amdhsa_user_sgpr_dispatch_id 0
		.amdhsa_user_sgpr_kernarg_preload_length 0
		.amdhsa_user_sgpr_kernarg_preload_offset 0
		.amdhsa_user_sgpr_private_segment_size 0
		.amdhsa_wavefront_size32 1
		.amdhsa_uses_dynamic_stack 0
		.amdhsa_enable_private_segment 0
		.amdhsa_system_sgpr_workgroup_id_x 1
		.amdhsa_system_sgpr_workgroup_id_y 0
		.amdhsa_system_sgpr_workgroup_id_z 0
		.amdhsa_system_sgpr_workgroup_info 0
		.amdhsa_system_vgpr_workitem_id 0
		.amdhsa_next_free_vgpr 1
		.amdhsa_next_free_sgpr 1
		.amdhsa_named_barrier_count 0
		.amdhsa_reserve_vcc 0
		.amdhsa_float_round_mode_32 0
		.amdhsa_float_round_mode_16_64 0
		.amdhsa_float_denorm_mode_32 3
		.amdhsa_float_denorm_mode_16_64 3
		.amdhsa_fp16_overflow 0
		.amdhsa_memory_ordered 1
		.amdhsa_forward_progress 1
		.amdhsa_inst_pref_size 0
		.amdhsa_round_robin_scheduling 0
		.amdhsa_exception_fp_ieee_invalid_op 0
		.amdhsa_exception_fp_denorm_src 0
		.amdhsa_exception_fp_ieee_div_zero 0
		.amdhsa_exception_fp_ieee_overflow 0
		.amdhsa_exception_fp_ieee_underflow 0
		.amdhsa_exception_fp_ieee_inexact 0
		.amdhsa_exception_int_div_zero 0
	.end_amdhsa_kernel
	.section	.text._ZN7rocprim17ROCPRIM_400000_NS6detail17trampoline_kernelINS0_14default_configENS1_25partition_config_selectorILNS1_17partition_subalgoE9EllbEEZZNS1_14partition_implILS5_9ELb0ES3_jPlS8_PNS0_10empty_typeENS0_5tupleIJS8_S9_EEENSB_IJS8_SA_EEENS0_18inequality_wrapperIZN2at6native12_GLOBAL__N_124unique_dim_cuda_templateIdEESt5tupleIJNSF_6TensorESK_SK_EERKSK_lbbbEUlllE0_EEPmJS9_EEE10hipError_tPvRmT3_T4_T5_T6_T7_T9_mT8_P12ihipStream_tbDpT10_ENKUlT_T0_E_clISt17integral_constantIbLb0EES19_IbLb1EEEEDaS15_S16_EUlS15_E_NS1_11comp_targetILNS1_3genE4ELNS1_11target_archE910ELNS1_3gpuE8ELNS1_3repE0EEENS1_30default_config_static_selectorELNS0_4arch9wavefront6targetE0EEEvT1_,"axG",@progbits,_ZN7rocprim17ROCPRIM_400000_NS6detail17trampoline_kernelINS0_14default_configENS1_25partition_config_selectorILNS1_17partition_subalgoE9EllbEEZZNS1_14partition_implILS5_9ELb0ES3_jPlS8_PNS0_10empty_typeENS0_5tupleIJS8_S9_EEENSB_IJS8_SA_EEENS0_18inequality_wrapperIZN2at6native12_GLOBAL__N_124unique_dim_cuda_templateIdEESt5tupleIJNSF_6TensorESK_SK_EERKSK_lbbbEUlllE0_EEPmJS9_EEE10hipError_tPvRmT3_T4_T5_T6_T7_T9_mT8_P12ihipStream_tbDpT10_ENKUlT_T0_E_clISt17integral_constantIbLb0EES19_IbLb1EEEEDaS15_S16_EUlS15_E_NS1_11comp_targetILNS1_3genE4ELNS1_11target_archE910ELNS1_3gpuE8ELNS1_3repE0EEENS1_30default_config_static_selectorELNS0_4arch9wavefront6targetE0EEEvT1_,comdat
.Lfunc_end865:
	.size	_ZN7rocprim17ROCPRIM_400000_NS6detail17trampoline_kernelINS0_14default_configENS1_25partition_config_selectorILNS1_17partition_subalgoE9EllbEEZZNS1_14partition_implILS5_9ELb0ES3_jPlS8_PNS0_10empty_typeENS0_5tupleIJS8_S9_EEENSB_IJS8_SA_EEENS0_18inequality_wrapperIZN2at6native12_GLOBAL__N_124unique_dim_cuda_templateIdEESt5tupleIJNSF_6TensorESK_SK_EERKSK_lbbbEUlllE0_EEPmJS9_EEE10hipError_tPvRmT3_T4_T5_T6_T7_T9_mT8_P12ihipStream_tbDpT10_ENKUlT_T0_E_clISt17integral_constantIbLb0EES19_IbLb1EEEEDaS15_S16_EUlS15_E_NS1_11comp_targetILNS1_3genE4ELNS1_11target_archE910ELNS1_3gpuE8ELNS1_3repE0EEENS1_30default_config_static_selectorELNS0_4arch9wavefront6targetE0EEEvT1_, .Lfunc_end865-_ZN7rocprim17ROCPRIM_400000_NS6detail17trampoline_kernelINS0_14default_configENS1_25partition_config_selectorILNS1_17partition_subalgoE9EllbEEZZNS1_14partition_implILS5_9ELb0ES3_jPlS8_PNS0_10empty_typeENS0_5tupleIJS8_S9_EEENSB_IJS8_SA_EEENS0_18inequality_wrapperIZN2at6native12_GLOBAL__N_124unique_dim_cuda_templateIdEESt5tupleIJNSF_6TensorESK_SK_EERKSK_lbbbEUlllE0_EEPmJS9_EEE10hipError_tPvRmT3_T4_T5_T6_T7_T9_mT8_P12ihipStream_tbDpT10_ENKUlT_T0_E_clISt17integral_constantIbLb0EES19_IbLb1EEEEDaS15_S16_EUlS15_E_NS1_11comp_targetILNS1_3genE4ELNS1_11target_archE910ELNS1_3gpuE8ELNS1_3repE0EEENS1_30default_config_static_selectorELNS0_4arch9wavefront6targetE0EEEvT1_
                                        ; -- End function
	.set _ZN7rocprim17ROCPRIM_400000_NS6detail17trampoline_kernelINS0_14default_configENS1_25partition_config_selectorILNS1_17partition_subalgoE9EllbEEZZNS1_14partition_implILS5_9ELb0ES3_jPlS8_PNS0_10empty_typeENS0_5tupleIJS8_S9_EEENSB_IJS8_SA_EEENS0_18inequality_wrapperIZN2at6native12_GLOBAL__N_124unique_dim_cuda_templateIdEESt5tupleIJNSF_6TensorESK_SK_EERKSK_lbbbEUlllE0_EEPmJS9_EEE10hipError_tPvRmT3_T4_T5_T6_T7_T9_mT8_P12ihipStream_tbDpT10_ENKUlT_T0_E_clISt17integral_constantIbLb0EES19_IbLb1EEEEDaS15_S16_EUlS15_E_NS1_11comp_targetILNS1_3genE4ELNS1_11target_archE910ELNS1_3gpuE8ELNS1_3repE0EEENS1_30default_config_static_selectorELNS0_4arch9wavefront6targetE0EEEvT1_.num_vgpr, 0
	.set _ZN7rocprim17ROCPRIM_400000_NS6detail17trampoline_kernelINS0_14default_configENS1_25partition_config_selectorILNS1_17partition_subalgoE9EllbEEZZNS1_14partition_implILS5_9ELb0ES3_jPlS8_PNS0_10empty_typeENS0_5tupleIJS8_S9_EEENSB_IJS8_SA_EEENS0_18inequality_wrapperIZN2at6native12_GLOBAL__N_124unique_dim_cuda_templateIdEESt5tupleIJNSF_6TensorESK_SK_EERKSK_lbbbEUlllE0_EEPmJS9_EEE10hipError_tPvRmT3_T4_T5_T6_T7_T9_mT8_P12ihipStream_tbDpT10_ENKUlT_T0_E_clISt17integral_constantIbLb0EES19_IbLb1EEEEDaS15_S16_EUlS15_E_NS1_11comp_targetILNS1_3genE4ELNS1_11target_archE910ELNS1_3gpuE8ELNS1_3repE0EEENS1_30default_config_static_selectorELNS0_4arch9wavefront6targetE0EEEvT1_.num_agpr, 0
	.set _ZN7rocprim17ROCPRIM_400000_NS6detail17trampoline_kernelINS0_14default_configENS1_25partition_config_selectorILNS1_17partition_subalgoE9EllbEEZZNS1_14partition_implILS5_9ELb0ES3_jPlS8_PNS0_10empty_typeENS0_5tupleIJS8_S9_EEENSB_IJS8_SA_EEENS0_18inequality_wrapperIZN2at6native12_GLOBAL__N_124unique_dim_cuda_templateIdEESt5tupleIJNSF_6TensorESK_SK_EERKSK_lbbbEUlllE0_EEPmJS9_EEE10hipError_tPvRmT3_T4_T5_T6_T7_T9_mT8_P12ihipStream_tbDpT10_ENKUlT_T0_E_clISt17integral_constantIbLb0EES19_IbLb1EEEEDaS15_S16_EUlS15_E_NS1_11comp_targetILNS1_3genE4ELNS1_11target_archE910ELNS1_3gpuE8ELNS1_3repE0EEENS1_30default_config_static_selectorELNS0_4arch9wavefront6targetE0EEEvT1_.numbered_sgpr, 0
	.set _ZN7rocprim17ROCPRIM_400000_NS6detail17trampoline_kernelINS0_14default_configENS1_25partition_config_selectorILNS1_17partition_subalgoE9EllbEEZZNS1_14partition_implILS5_9ELb0ES3_jPlS8_PNS0_10empty_typeENS0_5tupleIJS8_S9_EEENSB_IJS8_SA_EEENS0_18inequality_wrapperIZN2at6native12_GLOBAL__N_124unique_dim_cuda_templateIdEESt5tupleIJNSF_6TensorESK_SK_EERKSK_lbbbEUlllE0_EEPmJS9_EEE10hipError_tPvRmT3_T4_T5_T6_T7_T9_mT8_P12ihipStream_tbDpT10_ENKUlT_T0_E_clISt17integral_constantIbLb0EES19_IbLb1EEEEDaS15_S16_EUlS15_E_NS1_11comp_targetILNS1_3genE4ELNS1_11target_archE910ELNS1_3gpuE8ELNS1_3repE0EEENS1_30default_config_static_selectorELNS0_4arch9wavefront6targetE0EEEvT1_.num_named_barrier, 0
	.set _ZN7rocprim17ROCPRIM_400000_NS6detail17trampoline_kernelINS0_14default_configENS1_25partition_config_selectorILNS1_17partition_subalgoE9EllbEEZZNS1_14partition_implILS5_9ELb0ES3_jPlS8_PNS0_10empty_typeENS0_5tupleIJS8_S9_EEENSB_IJS8_SA_EEENS0_18inequality_wrapperIZN2at6native12_GLOBAL__N_124unique_dim_cuda_templateIdEESt5tupleIJNSF_6TensorESK_SK_EERKSK_lbbbEUlllE0_EEPmJS9_EEE10hipError_tPvRmT3_T4_T5_T6_T7_T9_mT8_P12ihipStream_tbDpT10_ENKUlT_T0_E_clISt17integral_constantIbLb0EES19_IbLb1EEEEDaS15_S16_EUlS15_E_NS1_11comp_targetILNS1_3genE4ELNS1_11target_archE910ELNS1_3gpuE8ELNS1_3repE0EEENS1_30default_config_static_selectorELNS0_4arch9wavefront6targetE0EEEvT1_.private_seg_size, 0
	.set _ZN7rocprim17ROCPRIM_400000_NS6detail17trampoline_kernelINS0_14default_configENS1_25partition_config_selectorILNS1_17partition_subalgoE9EllbEEZZNS1_14partition_implILS5_9ELb0ES3_jPlS8_PNS0_10empty_typeENS0_5tupleIJS8_S9_EEENSB_IJS8_SA_EEENS0_18inequality_wrapperIZN2at6native12_GLOBAL__N_124unique_dim_cuda_templateIdEESt5tupleIJNSF_6TensorESK_SK_EERKSK_lbbbEUlllE0_EEPmJS9_EEE10hipError_tPvRmT3_T4_T5_T6_T7_T9_mT8_P12ihipStream_tbDpT10_ENKUlT_T0_E_clISt17integral_constantIbLb0EES19_IbLb1EEEEDaS15_S16_EUlS15_E_NS1_11comp_targetILNS1_3genE4ELNS1_11target_archE910ELNS1_3gpuE8ELNS1_3repE0EEENS1_30default_config_static_selectorELNS0_4arch9wavefront6targetE0EEEvT1_.uses_vcc, 0
	.set _ZN7rocprim17ROCPRIM_400000_NS6detail17trampoline_kernelINS0_14default_configENS1_25partition_config_selectorILNS1_17partition_subalgoE9EllbEEZZNS1_14partition_implILS5_9ELb0ES3_jPlS8_PNS0_10empty_typeENS0_5tupleIJS8_S9_EEENSB_IJS8_SA_EEENS0_18inequality_wrapperIZN2at6native12_GLOBAL__N_124unique_dim_cuda_templateIdEESt5tupleIJNSF_6TensorESK_SK_EERKSK_lbbbEUlllE0_EEPmJS9_EEE10hipError_tPvRmT3_T4_T5_T6_T7_T9_mT8_P12ihipStream_tbDpT10_ENKUlT_T0_E_clISt17integral_constantIbLb0EES19_IbLb1EEEEDaS15_S16_EUlS15_E_NS1_11comp_targetILNS1_3genE4ELNS1_11target_archE910ELNS1_3gpuE8ELNS1_3repE0EEENS1_30default_config_static_selectorELNS0_4arch9wavefront6targetE0EEEvT1_.uses_flat_scratch, 0
	.set _ZN7rocprim17ROCPRIM_400000_NS6detail17trampoline_kernelINS0_14default_configENS1_25partition_config_selectorILNS1_17partition_subalgoE9EllbEEZZNS1_14partition_implILS5_9ELb0ES3_jPlS8_PNS0_10empty_typeENS0_5tupleIJS8_S9_EEENSB_IJS8_SA_EEENS0_18inequality_wrapperIZN2at6native12_GLOBAL__N_124unique_dim_cuda_templateIdEESt5tupleIJNSF_6TensorESK_SK_EERKSK_lbbbEUlllE0_EEPmJS9_EEE10hipError_tPvRmT3_T4_T5_T6_T7_T9_mT8_P12ihipStream_tbDpT10_ENKUlT_T0_E_clISt17integral_constantIbLb0EES19_IbLb1EEEEDaS15_S16_EUlS15_E_NS1_11comp_targetILNS1_3genE4ELNS1_11target_archE910ELNS1_3gpuE8ELNS1_3repE0EEENS1_30default_config_static_selectorELNS0_4arch9wavefront6targetE0EEEvT1_.has_dyn_sized_stack, 0
	.set _ZN7rocprim17ROCPRIM_400000_NS6detail17trampoline_kernelINS0_14default_configENS1_25partition_config_selectorILNS1_17partition_subalgoE9EllbEEZZNS1_14partition_implILS5_9ELb0ES3_jPlS8_PNS0_10empty_typeENS0_5tupleIJS8_S9_EEENSB_IJS8_SA_EEENS0_18inequality_wrapperIZN2at6native12_GLOBAL__N_124unique_dim_cuda_templateIdEESt5tupleIJNSF_6TensorESK_SK_EERKSK_lbbbEUlllE0_EEPmJS9_EEE10hipError_tPvRmT3_T4_T5_T6_T7_T9_mT8_P12ihipStream_tbDpT10_ENKUlT_T0_E_clISt17integral_constantIbLb0EES19_IbLb1EEEEDaS15_S16_EUlS15_E_NS1_11comp_targetILNS1_3genE4ELNS1_11target_archE910ELNS1_3gpuE8ELNS1_3repE0EEENS1_30default_config_static_selectorELNS0_4arch9wavefront6targetE0EEEvT1_.has_recursion, 0
	.set _ZN7rocprim17ROCPRIM_400000_NS6detail17trampoline_kernelINS0_14default_configENS1_25partition_config_selectorILNS1_17partition_subalgoE9EllbEEZZNS1_14partition_implILS5_9ELb0ES3_jPlS8_PNS0_10empty_typeENS0_5tupleIJS8_S9_EEENSB_IJS8_SA_EEENS0_18inequality_wrapperIZN2at6native12_GLOBAL__N_124unique_dim_cuda_templateIdEESt5tupleIJNSF_6TensorESK_SK_EERKSK_lbbbEUlllE0_EEPmJS9_EEE10hipError_tPvRmT3_T4_T5_T6_T7_T9_mT8_P12ihipStream_tbDpT10_ENKUlT_T0_E_clISt17integral_constantIbLb0EES19_IbLb1EEEEDaS15_S16_EUlS15_E_NS1_11comp_targetILNS1_3genE4ELNS1_11target_archE910ELNS1_3gpuE8ELNS1_3repE0EEENS1_30default_config_static_selectorELNS0_4arch9wavefront6targetE0EEEvT1_.has_indirect_call, 0
	.section	.AMDGPU.csdata,"",@progbits
; Kernel info:
; codeLenInByte = 0
; TotalNumSgprs: 0
; NumVgprs: 0
; ScratchSize: 0
; MemoryBound: 0
; FloatMode: 240
; IeeeMode: 1
; LDSByteSize: 0 bytes/workgroup (compile time only)
; SGPRBlocks: 0
; VGPRBlocks: 0
; NumSGPRsForWavesPerEU: 1
; NumVGPRsForWavesPerEU: 1
; NamedBarCnt: 0
; Occupancy: 16
; WaveLimiterHint : 0
; COMPUTE_PGM_RSRC2:SCRATCH_EN: 0
; COMPUTE_PGM_RSRC2:USER_SGPR: 2
; COMPUTE_PGM_RSRC2:TRAP_HANDLER: 0
; COMPUTE_PGM_RSRC2:TGID_X_EN: 1
; COMPUTE_PGM_RSRC2:TGID_Y_EN: 0
; COMPUTE_PGM_RSRC2:TGID_Z_EN: 0
; COMPUTE_PGM_RSRC2:TIDIG_COMP_CNT: 0
	.section	.text._ZN7rocprim17ROCPRIM_400000_NS6detail17trampoline_kernelINS0_14default_configENS1_25partition_config_selectorILNS1_17partition_subalgoE9EllbEEZZNS1_14partition_implILS5_9ELb0ES3_jPlS8_PNS0_10empty_typeENS0_5tupleIJS8_S9_EEENSB_IJS8_SA_EEENS0_18inequality_wrapperIZN2at6native12_GLOBAL__N_124unique_dim_cuda_templateIdEESt5tupleIJNSF_6TensorESK_SK_EERKSK_lbbbEUlllE0_EEPmJS9_EEE10hipError_tPvRmT3_T4_T5_T6_T7_T9_mT8_P12ihipStream_tbDpT10_ENKUlT_T0_E_clISt17integral_constantIbLb0EES19_IbLb1EEEEDaS15_S16_EUlS15_E_NS1_11comp_targetILNS1_3genE3ELNS1_11target_archE908ELNS1_3gpuE7ELNS1_3repE0EEENS1_30default_config_static_selectorELNS0_4arch9wavefront6targetE0EEEvT1_,"axG",@progbits,_ZN7rocprim17ROCPRIM_400000_NS6detail17trampoline_kernelINS0_14default_configENS1_25partition_config_selectorILNS1_17partition_subalgoE9EllbEEZZNS1_14partition_implILS5_9ELb0ES3_jPlS8_PNS0_10empty_typeENS0_5tupleIJS8_S9_EEENSB_IJS8_SA_EEENS0_18inequality_wrapperIZN2at6native12_GLOBAL__N_124unique_dim_cuda_templateIdEESt5tupleIJNSF_6TensorESK_SK_EERKSK_lbbbEUlllE0_EEPmJS9_EEE10hipError_tPvRmT3_T4_T5_T6_T7_T9_mT8_P12ihipStream_tbDpT10_ENKUlT_T0_E_clISt17integral_constantIbLb0EES19_IbLb1EEEEDaS15_S16_EUlS15_E_NS1_11comp_targetILNS1_3genE3ELNS1_11target_archE908ELNS1_3gpuE7ELNS1_3repE0EEENS1_30default_config_static_selectorELNS0_4arch9wavefront6targetE0EEEvT1_,comdat
	.globl	_ZN7rocprim17ROCPRIM_400000_NS6detail17trampoline_kernelINS0_14default_configENS1_25partition_config_selectorILNS1_17partition_subalgoE9EllbEEZZNS1_14partition_implILS5_9ELb0ES3_jPlS8_PNS0_10empty_typeENS0_5tupleIJS8_S9_EEENSB_IJS8_SA_EEENS0_18inequality_wrapperIZN2at6native12_GLOBAL__N_124unique_dim_cuda_templateIdEESt5tupleIJNSF_6TensorESK_SK_EERKSK_lbbbEUlllE0_EEPmJS9_EEE10hipError_tPvRmT3_T4_T5_T6_T7_T9_mT8_P12ihipStream_tbDpT10_ENKUlT_T0_E_clISt17integral_constantIbLb0EES19_IbLb1EEEEDaS15_S16_EUlS15_E_NS1_11comp_targetILNS1_3genE3ELNS1_11target_archE908ELNS1_3gpuE7ELNS1_3repE0EEENS1_30default_config_static_selectorELNS0_4arch9wavefront6targetE0EEEvT1_ ; -- Begin function _ZN7rocprim17ROCPRIM_400000_NS6detail17trampoline_kernelINS0_14default_configENS1_25partition_config_selectorILNS1_17partition_subalgoE9EllbEEZZNS1_14partition_implILS5_9ELb0ES3_jPlS8_PNS0_10empty_typeENS0_5tupleIJS8_S9_EEENSB_IJS8_SA_EEENS0_18inequality_wrapperIZN2at6native12_GLOBAL__N_124unique_dim_cuda_templateIdEESt5tupleIJNSF_6TensorESK_SK_EERKSK_lbbbEUlllE0_EEPmJS9_EEE10hipError_tPvRmT3_T4_T5_T6_T7_T9_mT8_P12ihipStream_tbDpT10_ENKUlT_T0_E_clISt17integral_constantIbLb0EES19_IbLb1EEEEDaS15_S16_EUlS15_E_NS1_11comp_targetILNS1_3genE3ELNS1_11target_archE908ELNS1_3gpuE7ELNS1_3repE0EEENS1_30default_config_static_selectorELNS0_4arch9wavefront6targetE0EEEvT1_
	.p2align	8
	.type	_ZN7rocprim17ROCPRIM_400000_NS6detail17trampoline_kernelINS0_14default_configENS1_25partition_config_selectorILNS1_17partition_subalgoE9EllbEEZZNS1_14partition_implILS5_9ELb0ES3_jPlS8_PNS0_10empty_typeENS0_5tupleIJS8_S9_EEENSB_IJS8_SA_EEENS0_18inequality_wrapperIZN2at6native12_GLOBAL__N_124unique_dim_cuda_templateIdEESt5tupleIJNSF_6TensorESK_SK_EERKSK_lbbbEUlllE0_EEPmJS9_EEE10hipError_tPvRmT3_T4_T5_T6_T7_T9_mT8_P12ihipStream_tbDpT10_ENKUlT_T0_E_clISt17integral_constantIbLb0EES19_IbLb1EEEEDaS15_S16_EUlS15_E_NS1_11comp_targetILNS1_3genE3ELNS1_11target_archE908ELNS1_3gpuE7ELNS1_3repE0EEENS1_30default_config_static_selectorELNS0_4arch9wavefront6targetE0EEEvT1_,@function
_ZN7rocprim17ROCPRIM_400000_NS6detail17trampoline_kernelINS0_14default_configENS1_25partition_config_selectorILNS1_17partition_subalgoE9EllbEEZZNS1_14partition_implILS5_9ELb0ES3_jPlS8_PNS0_10empty_typeENS0_5tupleIJS8_S9_EEENSB_IJS8_SA_EEENS0_18inequality_wrapperIZN2at6native12_GLOBAL__N_124unique_dim_cuda_templateIdEESt5tupleIJNSF_6TensorESK_SK_EERKSK_lbbbEUlllE0_EEPmJS9_EEE10hipError_tPvRmT3_T4_T5_T6_T7_T9_mT8_P12ihipStream_tbDpT10_ENKUlT_T0_E_clISt17integral_constantIbLb0EES19_IbLb1EEEEDaS15_S16_EUlS15_E_NS1_11comp_targetILNS1_3genE3ELNS1_11target_archE908ELNS1_3gpuE7ELNS1_3repE0EEENS1_30default_config_static_selectorELNS0_4arch9wavefront6targetE0EEEvT1_: ; @_ZN7rocprim17ROCPRIM_400000_NS6detail17trampoline_kernelINS0_14default_configENS1_25partition_config_selectorILNS1_17partition_subalgoE9EllbEEZZNS1_14partition_implILS5_9ELb0ES3_jPlS8_PNS0_10empty_typeENS0_5tupleIJS8_S9_EEENSB_IJS8_SA_EEENS0_18inequality_wrapperIZN2at6native12_GLOBAL__N_124unique_dim_cuda_templateIdEESt5tupleIJNSF_6TensorESK_SK_EERKSK_lbbbEUlllE0_EEPmJS9_EEE10hipError_tPvRmT3_T4_T5_T6_T7_T9_mT8_P12ihipStream_tbDpT10_ENKUlT_T0_E_clISt17integral_constantIbLb0EES19_IbLb1EEEEDaS15_S16_EUlS15_E_NS1_11comp_targetILNS1_3genE3ELNS1_11target_archE908ELNS1_3gpuE7ELNS1_3repE0EEENS1_30default_config_static_selectorELNS0_4arch9wavefront6targetE0EEEvT1_
; %bb.0:
	.section	.rodata,"a",@progbits
	.p2align	6, 0x0
	.amdhsa_kernel _ZN7rocprim17ROCPRIM_400000_NS6detail17trampoline_kernelINS0_14default_configENS1_25partition_config_selectorILNS1_17partition_subalgoE9EllbEEZZNS1_14partition_implILS5_9ELb0ES3_jPlS8_PNS0_10empty_typeENS0_5tupleIJS8_S9_EEENSB_IJS8_SA_EEENS0_18inequality_wrapperIZN2at6native12_GLOBAL__N_124unique_dim_cuda_templateIdEESt5tupleIJNSF_6TensorESK_SK_EERKSK_lbbbEUlllE0_EEPmJS9_EEE10hipError_tPvRmT3_T4_T5_T6_T7_T9_mT8_P12ihipStream_tbDpT10_ENKUlT_T0_E_clISt17integral_constantIbLb0EES19_IbLb1EEEEDaS15_S16_EUlS15_E_NS1_11comp_targetILNS1_3genE3ELNS1_11target_archE908ELNS1_3gpuE7ELNS1_3repE0EEENS1_30default_config_static_selectorELNS0_4arch9wavefront6targetE0EEEvT1_
		.amdhsa_group_segment_fixed_size 0
		.amdhsa_private_segment_fixed_size 0
		.amdhsa_kernarg_size 136
		.amdhsa_user_sgpr_count 2
		.amdhsa_user_sgpr_dispatch_ptr 0
		.amdhsa_user_sgpr_queue_ptr 0
		.amdhsa_user_sgpr_kernarg_segment_ptr 1
		.amdhsa_user_sgpr_dispatch_id 0
		.amdhsa_user_sgpr_kernarg_preload_length 0
		.amdhsa_user_sgpr_kernarg_preload_offset 0
		.amdhsa_user_sgpr_private_segment_size 0
		.amdhsa_wavefront_size32 1
		.amdhsa_uses_dynamic_stack 0
		.amdhsa_enable_private_segment 0
		.amdhsa_system_sgpr_workgroup_id_x 1
		.amdhsa_system_sgpr_workgroup_id_y 0
		.amdhsa_system_sgpr_workgroup_id_z 0
		.amdhsa_system_sgpr_workgroup_info 0
		.amdhsa_system_vgpr_workitem_id 0
		.amdhsa_next_free_vgpr 1
		.amdhsa_next_free_sgpr 1
		.amdhsa_named_barrier_count 0
		.amdhsa_reserve_vcc 0
		.amdhsa_float_round_mode_32 0
		.amdhsa_float_round_mode_16_64 0
		.amdhsa_float_denorm_mode_32 3
		.amdhsa_float_denorm_mode_16_64 3
		.amdhsa_fp16_overflow 0
		.amdhsa_memory_ordered 1
		.amdhsa_forward_progress 1
		.amdhsa_inst_pref_size 0
		.amdhsa_round_robin_scheduling 0
		.amdhsa_exception_fp_ieee_invalid_op 0
		.amdhsa_exception_fp_denorm_src 0
		.amdhsa_exception_fp_ieee_div_zero 0
		.amdhsa_exception_fp_ieee_overflow 0
		.amdhsa_exception_fp_ieee_underflow 0
		.amdhsa_exception_fp_ieee_inexact 0
		.amdhsa_exception_int_div_zero 0
	.end_amdhsa_kernel
	.section	.text._ZN7rocprim17ROCPRIM_400000_NS6detail17trampoline_kernelINS0_14default_configENS1_25partition_config_selectorILNS1_17partition_subalgoE9EllbEEZZNS1_14partition_implILS5_9ELb0ES3_jPlS8_PNS0_10empty_typeENS0_5tupleIJS8_S9_EEENSB_IJS8_SA_EEENS0_18inequality_wrapperIZN2at6native12_GLOBAL__N_124unique_dim_cuda_templateIdEESt5tupleIJNSF_6TensorESK_SK_EERKSK_lbbbEUlllE0_EEPmJS9_EEE10hipError_tPvRmT3_T4_T5_T6_T7_T9_mT8_P12ihipStream_tbDpT10_ENKUlT_T0_E_clISt17integral_constantIbLb0EES19_IbLb1EEEEDaS15_S16_EUlS15_E_NS1_11comp_targetILNS1_3genE3ELNS1_11target_archE908ELNS1_3gpuE7ELNS1_3repE0EEENS1_30default_config_static_selectorELNS0_4arch9wavefront6targetE0EEEvT1_,"axG",@progbits,_ZN7rocprim17ROCPRIM_400000_NS6detail17trampoline_kernelINS0_14default_configENS1_25partition_config_selectorILNS1_17partition_subalgoE9EllbEEZZNS1_14partition_implILS5_9ELb0ES3_jPlS8_PNS0_10empty_typeENS0_5tupleIJS8_S9_EEENSB_IJS8_SA_EEENS0_18inequality_wrapperIZN2at6native12_GLOBAL__N_124unique_dim_cuda_templateIdEESt5tupleIJNSF_6TensorESK_SK_EERKSK_lbbbEUlllE0_EEPmJS9_EEE10hipError_tPvRmT3_T4_T5_T6_T7_T9_mT8_P12ihipStream_tbDpT10_ENKUlT_T0_E_clISt17integral_constantIbLb0EES19_IbLb1EEEEDaS15_S16_EUlS15_E_NS1_11comp_targetILNS1_3genE3ELNS1_11target_archE908ELNS1_3gpuE7ELNS1_3repE0EEENS1_30default_config_static_selectorELNS0_4arch9wavefront6targetE0EEEvT1_,comdat
.Lfunc_end866:
	.size	_ZN7rocprim17ROCPRIM_400000_NS6detail17trampoline_kernelINS0_14default_configENS1_25partition_config_selectorILNS1_17partition_subalgoE9EllbEEZZNS1_14partition_implILS5_9ELb0ES3_jPlS8_PNS0_10empty_typeENS0_5tupleIJS8_S9_EEENSB_IJS8_SA_EEENS0_18inequality_wrapperIZN2at6native12_GLOBAL__N_124unique_dim_cuda_templateIdEESt5tupleIJNSF_6TensorESK_SK_EERKSK_lbbbEUlllE0_EEPmJS9_EEE10hipError_tPvRmT3_T4_T5_T6_T7_T9_mT8_P12ihipStream_tbDpT10_ENKUlT_T0_E_clISt17integral_constantIbLb0EES19_IbLb1EEEEDaS15_S16_EUlS15_E_NS1_11comp_targetILNS1_3genE3ELNS1_11target_archE908ELNS1_3gpuE7ELNS1_3repE0EEENS1_30default_config_static_selectorELNS0_4arch9wavefront6targetE0EEEvT1_, .Lfunc_end866-_ZN7rocprim17ROCPRIM_400000_NS6detail17trampoline_kernelINS0_14default_configENS1_25partition_config_selectorILNS1_17partition_subalgoE9EllbEEZZNS1_14partition_implILS5_9ELb0ES3_jPlS8_PNS0_10empty_typeENS0_5tupleIJS8_S9_EEENSB_IJS8_SA_EEENS0_18inequality_wrapperIZN2at6native12_GLOBAL__N_124unique_dim_cuda_templateIdEESt5tupleIJNSF_6TensorESK_SK_EERKSK_lbbbEUlllE0_EEPmJS9_EEE10hipError_tPvRmT3_T4_T5_T6_T7_T9_mT8_P12ihipStream_tbDpT10_ENKUlT_T0_E_clISt17integral_constantIbLb0EES19_IbLb1EEEEDaS15_S16_EUlS15_E_NS1_11comp_targetILNS1_3genE3ELNS1_11target_archE908ELNS1_3gpuE7ELNS1_3repE0EEENS1_30default_config_static_selectorELNS0_4arch9wavefront6targetE0EEEvT1_
                                        ; -- End function
	.set _ZN7rocprim17ROCPRIM_400000_NS6detail17trampoline_kernelINS0_14default_configENS1_25partition_config_selectorILNS1_17partition_subalgoE9EllbEEZZNS1_14partition_implILS5_9ELb0ES3_jPlS8_PNS0_10empty_typeENS0_5tupleIJS8_S9_EEENSB_IJS8_SA_EEENS0_18inequality_wrapperIZN2at6native12_GLOBAL__N_124unique_dim_cuda_templateIdEESt5tupleIJNSF_6TensorESK_SK_EERKSK_lbbbEUlllE0_EEPmJS9_EEE10hipError_tPvRmT3_T4_T5_T6_T7_T9_mT8_P12ihipStream_tbDpT10_ENKUlT_T0_E_clISt17integral_constantIbLb0EES19_IbLb1EEEEDaS15_S16_EUlS15_E_NS1_11comp_targetILNS1_3genE3ELNS1_11target_archE908ELNS1_3gpuE7ELNS1_3repE0EEENS1_30default_config_static_selectorELNS0_4arch9wavefront6targetE0EEEvT1_.num_vgpr, 0
	.set _ZN7rocprim17ROCPRIM_400000_NS6detail17trampoline_kernelINS0_14default_configENS1_25partition_config_selectorILNS1_17partition_subalgoE9EllbEEZZNS1_14partition_implILS5_9ELb0ES3_jPlS8_PNS0_10empty_typeENS0_5tupleIJS8_S9_EEENSB_IJS8_SA_EEENS0_18inequality_wrapperIZN2at6native12_GLOBAL__N_124unique_dim_cuda_templateIdEESt5tupleIJNSF_6TensorESK_SK_EERKSK_lbbbEUlllE0_EEPmJS9_EEE10hipError_tPvRmT3_T4_T5_T6_T7_T9_mT8_P12ihipStream_tbDpT10_ENKUlT_T0_E_clISt17integral_constantIbLb0EES19_IbLb1EEEEDaS15_S16_EUlS15_E_NS1_11comp_targetILNS1_3genE3ELNS1_11target_archE908ELNS1_3gpuE7ELNS1_3repE0EEENS1_30default_config_static_selectorELNS0_4arch9wavefront6targetE0EEEvT1_.num_agpr, 0
	.set _ZN7rocprim17ROCPRIM_400000_NS6detail17trampoline_kernelINS0_14default_configENS1_25partition_config_selectorILNS1_17partition_subalgoE9EllbEEZZNS1_14partition_implILS5_9ELb0ES3_jPlS8_PNS0_10empty_typeENS0_5tupleIJS8_S9_EEENSB_IJS8_SA_EEENS0_18inequality_wrapperIZN2at6native12_GLOBAL__N_124unique_dim_cuda_templateIdEESt5tupleIJNSF_6TensorESK_SK_EERKSK_lbbbEUlllE0_EEPmJS9_EEE10hipError_tPvRmT3_T4_T5_T6_T7_T9_mT8_P12ihipStream_tbDpT10_ENKUlT_T0_E_clISt17integral_constantIbLb0EES19_IbLb1EEEEDaS15_S16_EUlS15_E_NS1_11comp_targetILNS1_3genE3ELNS1_11target_archE908ELNS1_3gpuE7ELNS1_3repE0EEENS1_30default_config_static_selectorELNS0_4arch9wavefront6targetE0EEEvT1_.numbered_sgpr, 0
	.set _ZN7rocprim17ROCPRIM_400000_NS6detail17trampoline_kernelINS0_14default_configENS1_25partition_config_selectorILNS1_17partition_subalgoE9EllbEEZZNS1_14partition_implILS5_9ELb0ES3_jPlS8_PNS0_10empty_typeENS0_5tupleIJS8_S9_EEENSB_IJS8_SA_EEENS0_18inequality_wrapperIZN2at6native12_GLOBAL__N_124unique_dim_cuda_templateIdEESt5tupleIJNSF_6TensorESK_SK_EERKSK_lbbbEUlllE0_EEPmJS9_EEE10hipError_tPvRmT3_T4_T5_T6_T7_T9_mT8_P12ihipStream_tbDpT10_ENKUlT_T0_E_clISt17integral_constantIbLb0EES19_IbLb1EEEEDaS15_S16_EUlS15_E_NS1_11comp_targetILNS1_3genE3ELNS1_11target_archE908ELNS1_3gpuE7ELNS1_3repE0EEENS1_30default_config_static_selectorELNS0_4arch9wavefront6targetE0EEEvT1_.num_named_barrier, 0
	.set _ZN7rocprim17ROCPRIM_400000_NS6detail17trampoline_kernelINS0_14default_configENS1_25partition_config_selectorILNS1_17partition_subalgoE9EllbEEZZNS1_14partition_implILS5_9ELb0ES3_jPlS8_PNS0_10empty_typeENS0_5tupleIJS8_S9_EEENSB_IJS8_SA_EEENS0_18inequality_wrapperIZN2at6native12_GLOBAL__N_124unique_dim_cuda_templateIdEESt5tupleIJNSF_6TensorESK_SK_EERKSK_lbbbEUlllE0_EEPmJS9_EEE10hipError_tPvRmT3_T4_T5_T6_T7_T9_mT8_P12ihipStream_tbDpT10_ENKUlT_T0_E_clISt17integral_constantIbLb0EES19_IbLb1EEEEDaS15_S16_EUlS15_E_NS1_11comp_targetILNS1_3genE3ELNS1_11target_archE908ELNS1_3gpuE7ELNS1_3repE0EEENS1_30default_config_static_selectorELNS0_4arch9wavefront6targetE0EEEvT1_.private_seg_size, 0
	.set _ZN7rocprim17ROCPRIM_400000_NS6detail17trampoline_kernelINS0_14default_configENS1_25partition_config_selectorILNS1_17partition_subalgoE9EllbEEZZNS1_14partition_implILS5_9ELb0ES3_jPlS8_PNS0_10empty_typeENS0_5tupleIJS8_S9_EEENSB_IJS8_SA_EEENS0_18inequality_wrapperIZN2at6native12_GLOBAL__N_124unique_dim_cuda_templateIdEESt5tupleIJNSF_6TensorESK_SK_EERKSK_lbbbEUlllE0_EEPmJS9_EEE10hipError_tPvRmT3_T4_T5_T6_T7_T9_mT8_P12ihipStream_tbDpT10_ENKUlT_T0_E_clISt17integral_constantIbLb0EES19_IbLb1EEEEDaS15_S16_EUlS15_E_NS1_11comp_targetILNS1_3genE3ELNS1_11target_archE908ELNS1_3gpuE7ELNS1_3repE0EEENS1_30default_config_static_selectorELNS0_4arch9wavefront6targetE0EEEvT1_.uses_vcc, 0
	.set _ZN7rocprim17ROCPRIM_400000_NS6detail17trampoline_kernelINS0_14default_configENS1_25partition_config_selectorILNS1_17partition_subalgoE9EllbEEZZNS1_14partition_implILS5_9ELb0ES3_jPlS8_PNS0_10empty_typeENS0_5tupleIJS8_S9_EEENSB_IJS8_SA_EEENS0_18inequality_wrapperIZN2at6native12_GLOBAL__N_124unique_dim_cuda_templateIdEESt5tupleIJNSF_6TensorESK_SK_EERKSK_lbbbEUlllE0_EEPmJS9_EEE10hipError_tPvRmT3_T4_T5_T6_T7_T9_mT8_P12ihipStream_tbDpT10_ENKUlT_T0_E_clISt17integral_constantIbLb0EES19_IbLb1EEEEDaS15_S16_EUlS15_E_NS1_11comp_targetILNS1_3genE3ELNS1_11target_archE908ELNS1_3gpuE7ELNS1_3repE0EEENS1_30default_config_static_selectorELNS0_4arch9wavefront6targetE0EEEvT1_.uses_flat_scratch, 0
	.set _ZN7rocprim17ROCPRIM_400000_NS6detail17trampoline_kernelINS0_14default_configENS1_25partition_config_selectorILNS1_17partition_subalgoE9EllbEEZZNS1_14partition_implILS5_9ELb0ES3_jPlS8_PNS0_10empty_typeENS0_5tupleIJS8_S9_EEENSB_IJS8_SA_EEENS0_18inequality_wrapperIZN2at6native12_GLOBAL__N_124unique_dim_cuda_templateIdEESt5tupleIJNSF_6TensorESK_SK_EERKSK_lbbbEUlllE0_EEPmJS9_EEE10hipError_tPvRmT3_T4_T5_T6_T7_T9_mT8_P12ihipStream_tbDpT10_ENKUlT_T0_E_clISt17integral_constantIbLb0EES19_IbLb1EEEEDaS15_S16_EUlS15_E_NS1_11comp_targetILNS1_3genE3ELNS1_11target_archE908ELNS1_3gpuE7ELNS1_3repE0EEENS1_30default_config_static_selectorELNS0_4arch9wavefront6targetE0EEEvT1_.has_dyn_sized_stack, 0
	.set _ZN7rocprim17ROCPRIM_400000_NS6detail17trampoline_kernelINS0_14default_configENS1_25partition_config_selectorILNS1_17partition_subalgoE9EllbEEZZNS1_14partition_implILS5_9ELb0ES3_jPlS8_PNS0_10empty_typeENS0_5tupleIJS8_S9_EEENSB_IJS8_SA_EEENS0_18inequality_wrapperIZN2at6native12_GLOBAL__N_124unique_dim_cuda_templateIdEESt5tupleIJNSF_6TensorESK_SK_EERKSK_lbbbEUlllE0_EEPmJS9_EEE10hipError_tPvRmT3_T4_T5_T6_T7_T9_mT8_P12ihipStream_tbDpT10_ENKUlT_T0_E_clISt17integral_constantIbLb0EES19_IbLb1EEEEDaS15_S16_EUlS15_E_NS1_11comp_targetILNS1_3genE3ELNS1_11target_archE908ELNS1_3gpuE7ELNS1_3repE0EEENS1_30default_config_static_selectorELNS0_4arch9wavefront6targetE0EEEvT1_.has_recursion, 0
	.set _ZN7rocprim17ROCPRIM_400000_NS6detail17trampoline_kernelINS0_14default_configENS1_25partition_config_selectorILNS1_17partition_subalgoE9EllbEEZZNS1_14partition_implILS5_9ELb0ES3_jPlS8_PNS0_10empty_typeENS0_5tupleIJS8_S9_EEENSB_IJS8_SA_EEENS0_18inequality_wrapperIZN2at6native12_GLOBAL__N_124unique_dim_cuda_templateIdEESt5tupleIJNSF_6TensorESK_SK_EERKSK_lbbbEUlllE0_EEPmJS9_EEE10hipError_tPvRmT3_T4_T5_T6_T7_T9_mT8_P12ihipStream_tbDpT10_ENKUlT_T0_E_clISt17integral_constantIbLb0EES19_IbLb1EEEEDaS15_S16_EUlS15_E_NS1_11comp_targetILNS1_3genE3ELNS1_11target_archE908ELNS1_3gpuE7ELNS1_3repE0EEENS1_30default_config_static_selectorELNS0_4arch9wavefront6targetE0EEEvT1_.has_indirect_call, 0
	.section	.AMDGPU.csdata,"",@progbits
; Kernel info:
; codeLenInByte = 0
; TotalNumSgprs: 0
; NumVgprs: 0
; ScratchSize: 0
; MemoryBound: 0
; FloatMode: 240
; IeeeMode: 1
; LDSByteSize: 0 bytes/workgroup (compile time only)
; SGPRBlocks: 0
; VGPRBlocks: 0
; NumSGPRsForWavesPerEU: 1
; NumVGPRsForWavesPerEU: 1
; NamedBarCnt: 0
; Occupancy: 16
; WaveLimiterHint : 0
; COMPUTE_PGM_RSRC2:SCRATCH_EN: 0
; COMPUTE_PGM_RSRC2:USER_SGPR: 2
; COMPUTE_PGM_RSRC2:TRAP_HANDLER: 0
; COMPUTE_PGM_RSRC2:TGID_X_EN: 1
; COMPUTE_PGM_RSRC2:TGID_Y_EN: 0
; COMPUTE_PGM_RSRC2:TGID_Z_EN: 0
; COMPUTE_PGM_RSRC2:TIDIG_COMP_CNT: 0
	.section	.text._ZN7rocprim17ROCPRIM_400000_NS6detail17trampoline_kernelINS0_14default_configENS1_25partition_config_selectorILNS1_17partition_subalgoE9EllbEEZZNS1_14partition_implILS5_9ELb0ES3_jPlS8_PNS0_10empty_typeENS0_5tupleIJS8_S9_EEENSB_IJS8_SA_EEENS0_18inequality_wrapperIZN2at6native12_GLOBAL__N_124unique_dim_cuda_templateIdEESt5tupleIJNSF_6TensorESK_SK_EERKSK_lbbbEUlllE0_EEPmJS9_EEE10hipError_tPvRmT3_T4_T5_T6_T7_T9_mT8_P12ihipStream_tbDpT10_ENKUlT_T0_E_clISt17integral_constantIbLb0EES19_IbLb1EEEEDaS15_S16_EUlS15_E_NS1_11comp_targetILNS1_3genE2ELNS1_11target_archE906ELNS1_3gpuE6ELNS1_3repE0EEENS1_30default_config_static_selectorELNS0_4arch9wavefront6targetE0EEEvT1_,"axG",@progbits,_ZN7rocprim17ROCPRIM_400000_NS6detail17trampoline_kernelINS0_14default_configENS1_25partition_config_selectorILNS1_17partition_subalgoE9EllbEEZZNS1_14partition_implILS5_9ELb0ES3_jPlS8_PNS0_10empty_typeENS0_5tupleIJS8_S9_EEENSB_IJS8_SA_EEENS0_18inequality_wrapperIZN2at6native12_GLOBAL__N_124unique_dim_cuda_templateIdEESt5tupleIJNSF_6TensorESK_SK_EERKSK_lbbbEUlllE0_EEPmJS9_EEE10hipError_tPvRmT3_T4_T5_T6_T7_T9_mT8_P12ihipStream_tbDpT10_ENKUlT_T0_E_clISt17integral_constantIbLb0EES19_IbLb1EEEEDaS15_S16_EUlS15_E_NS1_11comp_targetILNS1_3genE2ELNS1_11target_archE906ELNS1_3gpuE6ELNS1_3repE0EEENS1_30default_config_static_selectorELNS0_4arch9wavefront6targetE0EEEvT1_,comdat
	.globl	_ZN7rocprim17ROCPRIM_400000_NS6detail17trampoline_kernelINS0_14default_configENS1_25partition_config_selectorILNS1_17partition_subalgoE9EllbEEZZNS1_14partition_implILS5_9ELb0ES3_jPlS8_PNS0_10empty_typeENS0_5tupleIJS8_S9_EEENSB_IJS8_SA_EEENS0_18inequality_wrapperIZN2at6native12_GLOBAL__N_124unique_dim_cuda_templateIdEESt5tupleIJNSF_6TensorESK_SK_EERKSK_lbbbEUlllE0_EEPmJS9_EEE10hipError_tPvRmT3_T4_T5_T6_T7_T9_mT8_P12ihipStream_tbDpT10_ENKUlT_T0_E_clISt17integral_constantIbLb0EES19_IbLb1EEEEDaS15_S16_EUlS15_E_NS1_11comp_targetILNS1_3genE2ELNS1_11target_archE906ELNS1_3gpuE6ELNS1_3repE0EEENS1_30default_config_static_selectorELNS0_4arch9wavefront6targetE0EEEvT1_ ; -- Begin function _ZN7rocprim17ROCPRIM_400000_NS6detail17trampoline_kernelINS0_14default_configENS1_25partition_config_selectorILNS1_17partition_subalgoE9EllbEEZZNS1_14partition_implILS5_9ELb0ES3_jPlS8_PNS0_10empty_typeENS0_5tupleIJS8_S9_EEENSB_IJS8_SA_EEENS0_18inequality_wrapperIZN2at6native12_GLOBAL__N_124unique_dim_cuda_templateIdEESt5tupleIJNSF_6TensorESK_SK_EERKSK_lbbbEUlllE0_EEPmJS9_EEE10hipError_tPvRmT3_T4_T5_T6_T7_T9_mT8_P12ihipStream_tbDpT10_ENKUlT_T0_E_clISt17integral_constantIbLb0EES19_IbLb1EEEEDaS15_S16_EUlS15_E_NS1_11comp_targetILNS1_3genE2ELNS1_11target_archE906ELNS1_3gpuE6ELNS1_3repE0EEENS1_30default_config_static_selectorELNS0_4arch9wavefront6targetE0EEEvT1_
	.p2align	8
	.type	_ZN7rocprim17ROCPRIM_400000_NS6detail17trampoline_kernelINS0_14default_configENS1_25partition_config_selectorILNS1_17partition_subalgoE9EllbEEZZNS1_14partition_implILS5_9ELb0ES3_jPlS8_PNS0_10empty_typeENS0_5tupleIJS8_S9_EEENSB_IJS8_SA_EEENS0_18inequality_wrapperIZN2at6native12_GLOBAL__N_124unique_dim_cuda_templateIdEESt5tupleIJNSF_6TensorESK_SK_EERKSK_lbbbEUlllE0_EEPmJS9_EEE10hipError_tPvRmT3_T4_T5_T6_T7_T9_mT8_P12ihipStream_tbDpT10_ENKUlT_T0_E_clISt17integral_constantIbLb0EES19_IbLb1EEEEDaS15_S16_EUlS15_E_NS1_11comp_targetILNS1_3genE2ELNS1_11target_archE906ELNS1_3gpuE6ELNS1_3repE0EEENS1_30default_config_static_selectorELNS0_4arch9wavefront6targetE0EEEvT1_,@function
_ZN7rocprim17ROCPRIM_400000_NS6detail17trampoline_kernelINS0_14default_configENS1_25partition_config_selectorILNS1_17partition_subalgoE9EllbEEZZNS1_14partition_implILS5_9ELb0ES3_jPlS8_PNS0_10empty_typeENS0_5tupleIJS8_S9_EEENSB_IJS8_SA_EEENS0_18inequality_wrapperIZN2at6native12_GLOBAL__N_124unique_dim_cuda_templateIdEESt5tupleIJNSF_6TensorESK_SK_EERKSK_lbbbEUlllE0_EEPmJS9_EEE10hipError_tPvRmT3_T4_T5_T6_T7_T9_mT8_P12ihipStream_tbDpT10_ENKUlT_T0_E_clISt17integral_constantIbLb0EES19_IbLb1EEEEDaS15_S16_EUlS15_E_NS1_11comp_targetILNS1_3genE2ELNS1_11target_archE906ELNS1_3gpuE6ELNS1_3repE0EEENS1_30default_config_static_selectorELNS0_4arch9wavefront6targetE0EEEvT1_: ; @_ZN7rocprim17ROCPRIM_400000_NS6detail17trampoline_kernelINS0_14default_configENS1_25partition_config_selectorILNS1_17partition_subalgoE9EllbEEZZNS1_14partition_implILS5_9ELb0ES3_jPlS8_PNS0_10empty_typeENS0_5tupleIJS8_S9_EEENSB_IJS8_SA_EEENS0_18inequality_wrapperIZN2at6native12_GLOBAL__N_124unique_dim_cuda_templateIdEESt5tupleIJNSF_6TensorESK_SK_EERKSK_lbbbEUlllE0_EEPmJS9_EEE10hipError_tPvRmT3_T4_T5_T6_T7_T9_mT8_P12ihipStream_tbDpT10_ENKUlT_T0_E_clISt17integral_constantIbLb0EES19_IbLb1EEEEDaS15_S16_EUlS15_E_NS1_11comp_targetILNS1_3genE2ELNS1_11target_archE906ELNS1_3gpuE6ELNS1_3repE0EEENS1_30default_config_static_selectorELNS0_4arch9wavefront6targetE0EEEvT1_
; %bb.0:
	.section	.rodata,"a",@progbits
	.p2align	6, 0x0
	.amdhsa_kernel _ZN7rocprim17ROCPRIM_400000_NS6detail17trampoline_kernelINS0_14default_configENS1_25partition_config_selectorILNS1_17partition_subalgoE9EllbEEZZNS1_14partition_implILS5_9ELb0ES3_jPlS8_PNS0_10empty_typeENS0_5tupleIJS8_S9_EEENSB_IJS8_SA_EEENS0_18inequality_wrapperIZN2at6native12_GLOBAL__N_124unique_dim_cuda_templateIdEESt5tupleIJNSF_6TensorESK_SK_EERKSK_lbbbEUlllE0_EEPmJS9_EEE10hipError_tPvRmT3_T4_T5_T6_T7_T9_mT8_P12ihipStream_tbDpT10_ENKUlT_T0_E_clISt17integral_constantIbLb0EES19_IbLb1EEEEDaS15_S16_EUlS15_E_NS1_11comp_targetILNS1_3genE2ELNS1_11target_archE906ELNS1_3gpuE6ELNS1_3repE0EEENS1_30default_config_static_selectorELNS0_4arch9wavefront6targetE0EEEvT1_
		.amdhsa_group_segment_fixed_size 0
		.amdhsa_private_segment_fixed_size 0
		.amdhsa_kernarg_size 136
		.amdhsa_user_sgpr_count 2
		.amdhsa_user_sgpr_dispatch_ptr 0
		.amdhsa_user_sgpr_queue_ptr 0
		.amdhsa_user_sgpr_kernarg_segment_ptr 1
		.amdhsa_user_sgpr_dispatch_id 0
		.amdhsa_user_sgpr_kernarg_preload_length 0
		.amdhsa_user_sgpr_kernarg_preload_offset 0
		.amdhsa_user_sgpr_private_segment_size 0
		.amdhsa_wavefront_size32 1
		.amdhsa_uses_dynamic_stack 0
		.amdhsa_enable_private_segment 0
		.amdhsa_system_sgpr_workgroup_id_x 1
		.amdhsa_system_sgpr_workgroup_id_y 0
		.amdhsa_system_sgpr_workgroup_id_z 0
		.amdhsa_system_sgpr_workgroup_info 0
		.amdhsa_system_vgpr_workitem_id 0
		.amdhsa_next_free_vgpr 1
		.amdhsa_next_free_sgpr 1
		.amdhsa_named_barrier_count 0
		.amdhsa_reserve_vcc 0
		.amdhsa_float_round_mode_32 0
		.amdhsa_float_round_mode_16_64 0
		.amdhsa_float_denorm_mode_32 3
		.amdhsa_float_denorm_mode_16_64 3
		.amdhsa_fp16_overflow 0
		.amdhsa_memory_ordered 1
		.amdhsa_forward_progress 1
		.amdhsa_inst_pref_size 0
		.amdhsa_round_robin_scheduling 0
		.amdhsa_exception_fp_ieee_invalid_op 0
		.amdhsa_exception_fp_denorm_src 0
		.amdhsa_exception_fp_ieee_div_zero 0
		.amdhsa_exception_fp_ieee_overflow 0
		.amdhsa_exception_fp_ieee_underflow 0
		.amdhsa_exception_fp_ieee_inexact 0
		.amdhsa_exception_int_div_zero 0
	.end_amdhsa_kernel
	.section	.text._ZN7rocprim17ROCPRIM_400000_NS6detail17trampoline_kernelINS0_14default_configENS1_25partition_config_selectorILNS1_17partition_subalgoE9EllbEEZZNS1_14partition_implILS5_9ELb0ES3_jPlS8_PNS0_10empty_typeENS0_5tupleIJS8_S9_EEENSB_IJS8_SA_EEENS0_18inequality_wrapperIZN2at6native12_GLOBAL__N_124unique_dim_cuda_templateIdEESt5tupleIJNSF_6TensorESK_SK_EERKSK_lbbbEUlllE0_EEPmJS9_EEE10hipError_tPvRmT3_T4_T5_T6_T7_T9_mT8_P12ihipStream_tbDpT10_ENKUlT_T0_E_clISt17integral_constantIbLb0EES19_IbLb1EEEEDaS15_S16_EUlS15_E_NS1_11comp_targetILNS1_3genE2ELNS1_11target_archE906ELNS1_3gpuE6ELNS1_3repE0EEENS1_30default_config_static_selectorELNS0_4arch9wavefront6targetE0EEEvT1_,"axG",@progbits,_ZN7rocprim17ROCPRIM_400000_NS6detail17trampoline_kernelINS0_14default_configENS1_25partition_config_selectorILNS1_17partition_subalgoE9EllbEEZZNS1_14partition_implILS5_9ELb0ES3_jPlS8_PNS0_10empty_typeENS0_5tupleIJS8_S9_EEENSB_IJS8_SA_EEENS0_18inequality_wrapperIZN2at6native12_GLOBAL__N_124unique_dim_cuda_templateIdEESt5tupleIJNSF_6TensorESK_SK_EERKSK_lbbbEUlllE0_EEPmJS9_EEE10hipError_tPvRmT3_T4_T5_T6_T7_T9_mT8_P12ihipStream_tbDpT10_ENKUlT_T0_E_clISt17integral_constantIbLb0EES19_IbLb1EEEEDaS15_S16_EUlS15_E_NS1_11comp_targetILNS1_3genE2ELNS1_11target_archE906ELNS1_3gpuE6ELNS1_3repE0EEENS1_30default_config_static_selectorELNS0_4arch9wavefront6targetE0EEEvT1_,comdat
.Lfunc_end867:
	.size	_ZN7rocprim17ROCPRIM_400000_NS6detail17trampoline_kernelINS0_14default_configENS1_25partition_config_selectorILNS1_17partition_subalgoE9EllbEEZZNS1_14partition_implILS5_9ELb0ES3_jPlS8_PNS0_10empty_typeENS0_5tupleIJS8_S9_EEENSB_IJS8_SA_EEENS0_18inequality_wrapperIZN2at6native12_GLOBAL__N_124unique_dim_cuda_templateIdEESt5tupleIJNSF_6TensorESK_SK_EERKSK_lbbbEUlllE0_EEPmJS9_EEE10hipError_tPvRmT3_T4_T5_T6_T7_T9_mT8_P12ihipStream_tbDpT10_ENKUlT_T0_E_clISt17integral_constantIbLb0EES19_IbLb1EEEEDaS15_S16_EUlS15_E_NS1_11comp_targetILNS1_3genE2ELNS1_11target_archE906ELNS1_3gpuE6ELNS1_3repE0EEENS1_30default_config_static_selectorELNS0_4arch9wavefront6targetE0EEEvT1_, .Lfunc_end867-_ZN7rocprim17ROCPRIM_400000_NS6detail17trampoline_kernelINS0_14default_configENS1_25partition_config_selectorILNS1_17partition_subalgoE9EllbEEZZNS1_14partition_implILS5_9ELb0ES3_jPlS8_PNS0_10empty_typeENS0_5tupleIJS8_S9_EEENSB_IJS8_SA_EEENS0_18inequality_wrapperIZN2at6native12_GLOBAL__N_124unique_dim_cuda_templateIdEESt5tupleIJNSF_6TensorESK_SK_EERKSK_lbbbEUlllE0_EEPmJS9_EEE10hipError_tPvRmT3_T4_T5_T6_T7_T9_mT8_P12ihipStream_tbDpT10_ENKUlT_T0_E_clISt17integral_constantIbLb0EES19_IbLb1EEEEDaS15_S16_EUlS15_E_NS1_11comp_targetILNS1_3genE2ELNS1_11target_archE906ELNS1_3gpuE6ELNS1_3repE0EEENS1_30default_config_static_selectorELNS0_4arch9wavefront6targetE0EEEvT1_
                                        ; -- End function
	.set _ZN7rocprim17ROCPRIM_400000_NS6detail17trampoline_kernelINS0_14default_configENS1_25partition_config_selectorILNS1_17partition_subalgoE9EllbEEZZNS1_14partition_implILS5_9ELb0ES3_jPlS8_PNS0_10empty_typeENS0_5tupleIJS8_S9_EEENSB_IJS8_SA_EEENS0_18inequality_wrapperIZN2at6native12_GLOBAL__N_124unique_dim_cuda_templateIdEESt5tupleIJNSF_6TensorESK_SK_EERKSK_lbbbEUlllE0_EEPmJS9_EEE10hipError_tPvRmT3_T4_T5_T6_T7_T9_mT8_P12ihipStream_tbDpT10_ENKUlT_T0_E_clISt17integral_constantIbLb0EES19_IbLb1EEEEDaS15_S16_EUlS15_E_NS1_11comp_targetILNS1_3genE2ELNS1_11target_archE906ELNS1_3gpuE6ELNS1_3repE0EEENS1_30default_config_static_selectorELNS0_4arch9wavefront6targetE0EEEvT1_.num_vgpr, 0
	.set _ZN7rocprim17ROCPRIM_400000_NS6detail17trampoline_kernelINS0_14default_configENS1_25partition_config_selectorILNS1_17partition_subalgoE9EllbEEZZNS1_14partition_implILS5_9ELb0ES3_jPlS8_PNS0_10empty_typeENS0_5tupleIJS8_S9_EEENSB_IJS8_SA_EEENS0_18inequality_wrapperIZN2at6native12_GLOBAL__N_124unique_dim_cuda_templateIdEESt5tupleIJNSF_6TensorESK_SK_EERKSK_lbbbEUlllE0_EEPmJS9_EEE10hipError_tPvRmT3_T4_T5_T6_T7_T9_mT8_P12ihipStream_tbDpT10_ENKUlT_T0_E_clISt17integral_constantIbLb0EES19_IbLb1EEEEDaS15_S16_EUlS15_E_NS1_11comp_targetILNS1_3genE2ELNS1_11target_archE906ELNS1_3gpuE6ELNS1_3repE0EEENS1_30default_config_static_selectorELNS0_4arch9wavefront6targetE0EEEvT1_.num_agpr, 0
	.set _ZN7rocprim17ROCPRIM_400000_NS6detail17trampoline_kernelINS0_14default_configENS1_25partition_config_selectorILNS1_17partition_subalgoE9EllbEEZZNS1_14partition_implILS5_9ELb0ES3_jPlS8_PNS0_10empty_typeENS0_5tupleIJS8_S9_EEENSB_IJS8_SA_EEENS0_18inequality_wrapperIZN2at6native12_GLOBAL__N_124unique_dim_cuda_templateIdEESt5tupleIJNSF_6TensorESK_SK_EERKSK_lbbbEUlllE0_EEPmJS9_EEE10hipError_tPvRmT3_T4_T5_T6_T7_T9_mT8_P12ihipStream_tbDpT10_ENKUlT_T0_E_clISt17integral_constantIbLb0EES19_IbLb1EEEEDaS15_S16_EUlS15_E_NS1_11comp_targetILNS1_3genE2ELNS1_11target_archE906ELNS1_3gpuE6ELNS1_3repE0EEENS1_30default_config_static_selectorELNS0_4arch9wavefront6targetE0EEEvT1_.numbered_sgpr, 0
	.set _ZN7rocprim17ROCPRIM_400000_NS6detail17trampoline_kernelINS0_14default_configENS1_25partition_config_selectorILNS1_17partition_subalgoE9EllbEEZZNS1_14partition_implILS5_9ELb0ES3_jPlS8_PNS0_10empty_typeENS0_5tupleIJS8_S9_EEENSB_IJS8_SA_EEENS0_18inequality_wrapperIZN2at6native12_GLOBAL__N_124unique_dim_cuda_templateIdEESt5tupleIJNSF_6TensorESK_SK_EERKSK_lbbbEUlllE0_EEPmJS9_EEE10hipError_tPvRmT3_T4_T5_T6_T7_T9_mT8_P12ihipStream_tbDpT10_ENKUlT_T0_E_clISt17integral_constantIbLb0EES19_IbLb1EEEEDaS15_S16_EUlS15_E_NS1_11comp_targetILNS1_3genE2ELNS1_11target_archE906ELNS1_3gpuE6ELNS1_3repE0EEENS1_30default_config_static_selectorELNS0_4arch9wavefront6targetE0EEEvT1_.num_named_barrier, 0
	.set _ZN7rocprim17ROCPRIM_400000_NS6detail17trampoline_kernelINS0_14default_configENS1_25partition_config_selectorILNS1_17partition_subalgoE9EllbEEZZNS1_14partition_implILS5_9ELb0ES3_jPlS8_PNS0_10empty_typeENS0_5tupleIJS8_S9_EEENSB_IJS8_SA_EEENS0_18inequality_wrapperIZN2at6native12_GLOBAL__N_124unique_dim_cuda_templateIdEESt5tupleIJNSF_6TensorESK_SK_EERKSK_lbbbEUlllE0_EEPmJS9_EEE10hipError_tPvRmT3_T4_T5_T6_T7_T9_mT8_P12ihipStream_tbDpT10_ENKUlT_T0_E_clISt17integral_constantIbLb0EES19_IbLb1EEEEDaS15_S16_EUlS15_E_NS1_11comp_targetILNS1_3genE2ELNS1_11target_archE906ELNS1_3gpuE6ELNS1_3repE0EEENS1_30default_config_static_selectorELNS0_4arch9wavefront6targetE0EEEvT1_.private_seg_size, 0
	.set _ZN7rocprim17ROCPRIM_400000_NS6detail17trampoline_kernelINS0_14default_configENS1_25partition_config_selectorILNS1_17partition_subalgoE9EllbEEZZNS1_14partition_implILS5_9ELb0ES3_jPlS8_PNS0_10empty_typeENS0_5tupleIJS8_S9_EEENSB_IJS8_SA_EEENS0_18inequality_wrapperIZN2at6native12_GLOBAL__N_124unique_dim_cuda_templateIdEESt5tupleIJNSF_6TensorESK_SK_EERKSK_lbbbEUlllE0_EEPmJS9_EEE10hipError_tPvRmT3_T4_T5_T6_T7_T9_mT8_P12ihipStream_tbDpT10_ENKUlT_T0_E_clISt17integral_constantIbLb0EES19_IbLb1EEEEDaS15_S16_EUlS15_E_NS1_11comp_targetILNS1_3genE2ELNS1_11target_archE906ELNS1_3gpuE6ELNS1_3repE0EEENS1_30default_config_static_selectorELNS0_4arch9wavefront6targetE0EEEvT1_.uses_vcc, 0
	.set _ZN7rocprim17ROCPRIM_400000_NS6detail17trampoline_kernelINS0_14default_configENS1_25partition_config_selectorILNS1_17partition_subalgoE9EllbEEZZNS1_14partition_implILS5_9ELb0ES3_jPlS8_PNS0_10empty_typeENS0_5tupleIJS8_S9_EEENSB_IJS8_SA_EEENS0_18inequality_wrapperIZN2at6native12_GLOBAL__N_124unique_dim_cuda_templateIdEESt5tupleIJNSF_6TensorESK_SK_EERKSK_lbbbEUlllE0_EEPmJS9_EEE10hipError_tPvRmT3_T4_T5_T6_T7_T9_mT8_P12ihipStream_tbDpT10_ENKUlT_T0_E_clISt17integral_constantIbLb0EES19_IbLb1EEEEDaS15_S16_EUlS15_E_NS1_11comp_targetILNS1_3genE2ELNS1_11target_archE906ELNS1_3gpuE6ELNS1_3repE0EEENS1_30default_config_static_selectorELNS0_4arch9wavefront6targetE0EEEvT1_.uses_flat_scratch, 0
	.set _ZN7rocprim17ROCPRIM_400000_NS6detail17trampoline_kernelINS0_14default_configENS1_25partition_config_selectorILNS1_17partition_subalgoE9EllbEEZZNS1_14partition_implILS5_9ELb0ES3_jPlS8_PNS0_10empty_typeENS0_5tupleIJS8_S9_EEENSB_IJS8_SA_EEENS0_18inequality_wrapperIZN2at6native12_GLOBAL__N_124unique_dim_cuda_templateIdEESt5tupleIJNSF_6TensorESK_SK_EERKSK_lbbbEUlllE0_EEPmJS9_EEE10hipError_tPvRmT3_T4_T5_T6_T7_T9_mT8_P12ihipStream_tbDpT10_ENKUlT_T0_E_clISt17integral_constantIbLb0EES19_IbLb1EEEEDaS15_S16_EUlS15_E_NS1_11comp_targetILNS1_3genE2ELNS1_11target_archE906ELNS1_3gpuE6ELNS1_3repE0EEENS1_30default_config_static_selectorELNS0_4arch9wavefront6targetE0EEEvT1_.has_dyn_sized_stack, 0
	.set _ZN7rocprim17ROCPRIM_400000_NS6detail17trampoline_kernelINS0_14default_configENS1_25partition_config_selectorILNS1_17partition_subalgoE9EllbEEZZNS1_14partition_implILS5_9ELb0ES3_jPlS8_PNS0_10empty_typeENS0_5tupleIJS8_S9_EEENSB_IJS8_SA_EEENS0_18inequality_wrapperIZN2at6native12_GLOBAL__N_124unique_dim_cuda_templateIdEESt5tupleIJNSF_6TensorESK_SK_EERKSK_lbbbEUlllE0_EEPmJS9_EEE10hipError_tPvRmT3_T4_T5_T6_T7_T9_mT8_P12ihipStream_tbDpT10_ENKUlT_T0_E_clISt17integral_constantIbLb0EES19_IbLb1EEEEDaS15_S16_EUlS15_E_NS1_11comp_targetILNS1_3genE2ELNS1_11target_archE906ELNS1_3gpuE6ELNS1_3repE0EEENS1_30default_config_static_selectorELNS0_4arch9wavefront6targetE0EEEvT1_.has_recursion, 0
	.set _ZN7rocprim17ROCPRIM_400000_NS6detail17trampoline_kernelINS0_14default_configENS1_25partition_config_selectorILNS1_17partition_subalgoE9EllbEEZZNS1_14partition_implILS5_9ELb0ES3_jPlS8_PNS0_10empty_typeENS0_5tupleIJS8_S9_EEENSB_IJS8_SA_EEENS0_18inequality_wrapperIZN2at6native12_GLOBAL__N_124unique_dim_cuda_templateIdEESt5tupleIJNSF_6TensorESK_SK_EERKSK_lbbbEUlllE0_EEPmJS9_EEE10hipError_tPvRmT3_T4_T5_T6_T7_T9_mT8_P12ihipStream_tbDpT10_ENKUlT_T0_E_clISt17integral_constantIbLb0EES19_IbLb1EEEEDaS15_S16_EUlS15_E_NS1_11comp_targetILNS1_3genE2ELNS1_11target_archE906ELNS1_3gpuE6ELNS1_3repE0EEENS1_30default_config_static_selectorELNS0_4arch9wavefront6targetE0EEEvT1_.has_indirect_call, 0
	.section	.AMDGPU.csdata,"",@progbits
; Kernel info:
; codeLenInByte = 0
; TotalNumSgprs: 0
; NumVgprs: 0
; ScratchSize: 0
; MemoryBound: 0
; FloatMode: 240
; IeeeMode: 1
; LDSByteSize: 0 bytes/workgroup (compile time only)
; SGPRBlocks: 0
; VGPRBlocks: 0
; NumSGPRsForWavesPerEU: 1
; NumVGPRsForWavesPerEU: 1
; NamedBarCnt: 0
; Occupancy: 16
; WaveLimiterHint : 0
; COMPUTE_PGM_RSRC2:SCRATCH_EN: 0
; COMPUTE_PGM_RSRC2:USER_SGPR: 2
; COMPUTE_PGM_RSRC2:TRAP_HANDLER: 0
; COMPUTE_PGM_RSRC2:TGID_X_EN: 1
; COMPUTE_PGM_RSRC2:TGID_Y_EN: 0
; COMPUTE_PGM_RSRC2:TGID_Z_EN: 0
; COMPUTE_PGM_RSRC2:TIDIG_COMP_CNT: 0
	.section	.text._ZN7rocprim17ROCPRIM_400000_NS6detail17trampoline_kernelINS0_14default_configENS1_25partition_config_selectorILNS1_17partition_subalgoE9EllbEEZZNS1_14partition_implILS5_9ELb0ES3_jPlS8_PNS0_10empty_typeENS0_5tupleIJS8_S9_EEENSB_IJS8_SA_EEENS0_18inequality_wrapperIZN2at6native12_GLOBAL__N_124unique_dim_cuda_templateIdEESt5tupleIJNSF_6TensorESK_SK_EERKSK_lbbbEUlllE0_EEPmJS9_EEE10hipError_tPvRmT3_T4_T5_T6_T7_T9_mT8_P12ihipStream_tbDpT10_ENKUlT_T0_E_clISt17integral_constantIbLb0EES19_IbLb1EEEEDaS15_S16_EUlS15_E_NS1_11comp_targetILNS1_3genE10ELNS1_11target_archE1200ELNS1_3gpuE4ELNS1_3repE0EEENS1_30default_config_static_selectorELNS0_4arch9wavefront6targetE0EEEvT1_,"axG",@progbits,_ZN7rocprim17ROCPRIM_400000_NS6detail17trampoline_kernelINS0_14default_configENS1_25partition_config_selectorILNS1_17partition_subalgoE9EllbEEZZNS1_14partition_implILS5_9ELb0ES3_jPlS8_PNS0_10empty_typeENS0_5tupleIJS8_S9_EEENSB_IJS8_SA_EEENS0_18inequality_wrapperIZN2at6native12_GLOBAL__N_124unique_dim_cuda_templateIdEESt5tupleIJNSF_6TensorESK_SK_EERKSK_lbbbEUlllE0_EEPmJS9_EEE10hipError_tPvRmT3_T4_T5_T6_T7_T9_mT8_P12ihipStream_tbDpT10_ENKUlT_T0_E_clISt17integral_constantIbLb0EES19_IbLb1EEEEDaS15_S16_EUlS15_E_NS1_11comp_targetILNS1_3genE10ELNS1_11target_archE1200ELNS1_3gpuE4ELNS1_3repE0EEENS1_30default_config_static_selectorELNS0_4arch9wavefront6targetE0EEEvT1_,comdat
	.globl	_ZN7rocprim17ROCPRIM_400000_NS6detail17trampoline_kernelINS0_14default_configENS1_25partition_config_selectorILNS1_17partition_subalgoE9EllbEEZZNS1_14partition_implILS5_9ELb0ES3_jPlS8_PNS0_10empty_typeENS0_5tupleIJS8_S9_EEENSB_IJS8_SA_EEENS0_18inequality_wrapperIZN2at6native12_GLOBAL__N_124unique_dim_cuda_templateIdEESt5tupleIJNSF_6TensorESK_SK_EERKSK_lbbbEUlllE0_EEPmJS9_EEE10hipError_tPvRmT3_T4_T5_T6_T7_T9_mT8_P12ihipStream_tbDpT10_ENKUlT_T0_E_clISt17integral_constantIbLb0EES19_IbLb1EEEEDaS15_S16_EUlS15_E_NS1_11comp_targetILNS1_3genE10ELNS1_11target_archE1200ELNS1_3gpuE4ELNS1_3repE0EEENS1_30default_config_static_selectorELNS0_4arch9wavefront6targetE0EEEvT1_ ; -- Begin function _ZN7rocprim17ROCPRIM_400000_NS6detail17trampoline_kernelINS0_14default_configENS1_25partition_config_selectorILNS1_17partition_subalgoE9EllbEEZZNS1_14partition_implILS5_9ELb0ES3_jPlS8_PNS0_10empty_typeENS0_5tupleIJS8_S9_EEENSB_IJS8_SA_EEENS0_18inequality_wrapperIZN2at6native12_GLOBAL__N_124unique_dim_cuda_templateIdEESt5tupleIJNSF_6TensorESK_SK_EERKSK_lbbbEUlllE0_EEPmJS9_EEE10hipError_tPvRmT3_T4_T5_T6_T7_T9_mT8_P12ihipStream_tbDpT10_ENKUlT_T0_E_clISt17integral_constantIbLb0EES19_IbLb1EEEEDaS15_S16_EUlS15_E_NS1_11comp_targetILNS1_3genE10ELNS1_11target_archE1200ELNS1_3gpuE4ELNS1_3repE0EEENS1_30default_config_static_selectorELNS0_4arch9wavefront6targetE0EEEvT1_
	.p2align	8
	.type	_ZN7rocprim17ROCPRIM_400000_NS6detail17trampoline_kernelINS0_14default_configENS1_25partition_config_selectorILNS1_17partition_subalgoE9EllbEEZZNS1_14partition_implILS5_9ELb0ES3_jPlS8_PNS0_10empty_typeENS0_5tupleIJS8_S9_EEENSB_IJS8_SA_EEENS0_18inequality_wrapperIZN2at6native12_GLOBAL__N_124unique_dim_cuda_templateIdEESt5tupleIJNSF_6TensorESK_SK_EERKSK_lbbbEUlllE0_EEPmJS9_EEE10hipError_tPvRmT3_T4_T5_T6_T7_T9_mT8_P12ihipStream_tbDpT10_ENKUlT_T0_E_clISt17integral_constantIbLb0EES19_IbLb1EEEEDaS15_S16_EUlS15_E_NS1_11comp_targetILNS1_3genE10ELNS1_11target_archE1200ELNS1_3gpuE4ELNS1_3repE0EEENS1_30default_config_static_selectorELNS0_4arch9wavefront6targetE0EEEvT1_,@function
_ZN7rocprim17ROCPRIM_400000_NS6detail17trampoline_kernelINS0_14default_configENS1_25partition_config_selectorILNS1_17partition_subalgoE9EllbEEZZNS1_14partition_implILS5_9ELb0ES3_jPlS8_PNS0_10empty_typeENS0_5tupleIJS8_S9_EEENSB_IJS8_SA_EEENS0_18inequality_wrapperIZN2at6native12_GLOBAL__N_124unique_dim_cuda_templateIdEESt5tupleIJNSF_6TensorESK_SK_EERKSK_lbbbEUlllE0_EEPmJS9_EEE10hipError_tPvRmT3_T4_T5_T6_T7_T9_mT8_P12ihipStream_tbDpT10_ENKUlT_T0_E_clISt17integral_constantIbLb0EES19_IbLb1EEEEDaS15_S16_EUlS15_E_NS1_11comp_targetILNS1_3genE10ELNS1_11target_archE1200ELNS1_3gpuE4ELNS1_3repE0EEENS1_30default_config_static_selectorELNS0_4arch9wavefront6targetE0EEEvT1_: ; @_ZN7rocprim17ROCPRIM_400000_NS6detail17trampoline_kernelINS0_14default_configENS1_25partition_config_selectorILNS1_17partition_subalgoE9EllbEEZZNS1_14partition_implILS5_9ELb0ES3_jPlS8_PNS0_10empty_typeENS0_5tupleIJS8_S9_EEENSB_IJS8_SA_EEENS0_18inequality_wrapperIZN2at6native12_GLOBAL__N_124unique_dim_cuda_templateIdEESt5tupleIJNSF_6TensorESK_SK_EERKSK_lbbbEUlllE0_EEPmJS9_EEE10hipError_tPvRmT3_T4_T5_T6_T7_T9_mT8_P12ihipStream_tbDpT10_ENKUlT_T0_E_clISt17integral_constantIbLb0EES19_IbLb1EEEEDaS15_S16_EUlS15_E_NS1_11comp_targetILNS1_3genE10ELNS1_11target_archE1200ELNS1_3gpuE4ELNS1_3repE0EEENS1_30default_config_static_selectorELNS0_4arch9wavefront6targetE0EEEvT1_
; %bb.0:
	.section	.rodata,"a",@progbits
	.p2align	6, 0x0
	.amdhsa_kernel _ZN7rocprim17ROCPRIM_400000_NS6detail17trampoline_kernelINS0_14default_configENS1_25partition_config_selectorILNS1_17partition_subalgoE9EllbEEZZNS1_14partition_implILS5_9ELb0ES3_jPlS8_PNS0_10empty_typeENS0_5tupleIJS8_S9_EEENSB_IJS8_SA_EEENS0_18inequality_wrapperIZN2at6native12_GLOBAL__N_124unique_dim_cuda_templateIdEESt5tupleIJNSF_6TensorESK_SK_EERKSK_lbbbEUlllE0_EEPmJS9_EEE10hipError_tPvRmT3_T4_T5_T6_T7_T9_mT8_P12ihipStream_tbDpT10_ENKUlT_T0_E_clISt17integral_constantIbLb0EES19_IbLb1EEEEDaS15_S16_EUlS15_E_NS1_11comp_targetILNS1_3genE10ELNS1_11target_archE1200ELNS1_3gpuE4ELNS1_3repE0EEENS1_30default_config_static_selectorELNS0_4arch9wavefront6targetE0EEEvT1_
		.amdhsa_group_segment_fixed_size 0
		.amdhsa_private_segment_fixed_size 0
		.amdhsa_kernarg_size 136
		.amdhsa_user_sgpr_count 2
		.amdhsa_user_sgpr_dispatch_ptr 0
		.amdhsa_user_sgpr_queue_ptr 0
		.amdhsa_user_sgpr_kernarg_segment_ptr 1
		.amdhsa_user_sgpr_dispatch_id 0
		.amdhsa_user_sgpr_kernarg_preload_length 0
		.amdhsa_user_sgpr_kernarg_preload_offset 0
		.amdhsa_user_sgpr_private_segment_size 0
		.amdhsa_wavefront_size32 1
		.amdhsa_uses_dynamic_stack 0
		.amdhsa_enable_private_segment 0
		.amdhsa_system_sgpr_workgroup_id_x 1
		.amdhsa_system_sgpr_workgroup_id_y 0
		.amdhsa_system_sgpr_workgroup_id_z 0
		.amdhsa_system_sgpr_workgroup_info 0
		.amdhsa_system_vgpr_workitem_id 0
		.amdhsa_next_free_vgpr 1
		.amdhsa_next_free_sgpr 1
		.amdhsa_named_barrier_count 0
		.amdhsa_reserve_vcc 0
		.amdhsa_float_round_mode_32 0
		.amdhsa_float_round_mode_16_64 0
		.amdhsa_float_denorm_mode_32 3
		.amdhsa_float_denorm_mode_16_64 3
		.amdhsa_fp16_overflow 0
		.amdhsa_memory_ordered 1
		.amdhsa_forward_progress 1
		.amdhsa_inst_pref_size 0
		.amdhsa_round_robin_scheduling 0
		.amdhsa_exception_fp_ieee_invalid_op 0
		.amdhsa_exception_fp_denorm_src 0
		.amdhsa_exception_fp_ieee_div_zero 0
		.amdhsa_exception_fp_ieee_overflow 0
		.amdhsa_exception_fp_ieee_underflow 0
		.amdhsa_exception_fp_ieee_inexact 0
		.amdhsa_exception_int_div_zero 0
	.end_amdhsa_kernel
	.section	.text._ZN7rocprim17ROCPRIM_400000_NS6detail17trampoline_kernelINS0_14default_configENS1_25partition_config_selectorILNS1_17partition_subalgoE9EllbEEZZNS1_14partition_implILS5_9ELb0ES3_jPlS8_PNS0_10empty_typeENS0_5tupleIJS8_S9_EEENSB_IJS8_SA_EEENS0_18inequality_wrapperIZN2at6native12_GLOBAL__N_124unique_dim_cuda_templateIdEESt5tupleIJNSF_6TensorESK_SK_EERKSK_lbbbEUlllE0_EEPmJS9_EEE10hipError_tPvRmT3_T4_T5_T6_T7_T9_mT8_P12ihipStream_tbDpT10_ENKUlT_T0_E_clISt17integral_constantIbLb0EES19_IbLb1EEEEDaS15_S16_EUlS15_E_NS1_11comp_targetILNS1_3genE10ELNS1_11target_archE1200ELNS1_3gpuE4ELNS1_3repE0EEENS1_30default_config_static_selectorELNS0_4arch9wavefront6targetE0EEEvT1_,"axG",@progbits,_ZN7rocprim17ROCPRIM_400000_NS6detail17trampoline_kernelINS0_14default_configENS1_25partition_config_selectorILNS1_17partition_subalgoE9EllbEEZZNS1_14partition_implILS5_9ELb0ES3_jPlS8_PNS0_10empty_typeENS0_5tupleIJS8_S9_EEENSB_IJS8_SA_EEENS0_18inequality_wrapperIZN2at6native12_GLOBAL__N_124unique_dim_cuda_templateIdEESt5tupleIJNSF_6TensorESK_SK_EERKSK_lbbbEUlllE0_EEPmJS9_EEE10hipError_tPvRmT3_T4_T5_T6_T7_T9_mT8_P12ihipStream_tbDpT10_ENKUlT_T0_E_clISt17integral_constantIbLb0EES19_IbLb1EEEEDaS15_S16_EUlS15_E_NS1_11comp_targetILNS1_3genE10ELNS1_11target_archE1200ELNS1_3gpuE4ELNS1_3repE0EEENS1_30default_config_static_selectorELNS0_4arch9wavefront6targetE0EEEvT1_,comdat
.Lfunc_end868:
	.size	_ZN7rocprim17ROCPRIM_400000_NS6detail17trampoline_kernelINS0_14default_configENS1_25partition_config_selectorILNS1_17partition_subalgoE9EllbEEZZNS1_14partition_implILS5_9ELb0ES3_jPlS8_PNS0_10empty_typeENS0_5tupleIJS8_S9_EEENSB_IJS8_SA_EEENS0_18inequality_wrapperIZN2at6native12_GLOBAL__N_124unique_dim_cuda_templateIdEESt5tupleIJNSF_6TensorESK_SK_EERKSK_lbbbEUlllE0_EEPmJS9_EEE10hipError_tPvRmT3_T4_T5_T6_T7_T9_mT8_P12ihipStream_tbDpT10_ENKUlT_T0_E_clISt17integral_constantIbLb0EES19_IbLb1EEEEDaS15_S16_EUlS15_E_NS1_11comp_targetILNS1_3genE10ELNS1_11target_archE1200ELNS1_3gpuE4ELNS1_3repE0EEENS1_30default_config_static_selectorELNS0_4arch9wavefront6targetE0EEEvT1_, .Lfunc_end868-_ZN7rocprim17ROCPRIM_400000_NS6detail17trampoline_kernelINS0_14default_configENS1_25partition_config_selectorILNS1_17partition_subalgoE9EllbEEZZNS1_14partition_implILS5_9ELb0ES3_jPlS8_PNS0_10empty_typeENS0_5tupleIJS8_S9_EEENSB_IJS8_SA_EEENS0_18inequality_wrapperIZN2at6native12_GLOBAL__N_124unique_dim_cuda_templateIdEESt5tupleIJNSF_6TensorESK_SK_EERKSK_lbbbEUlllE0_EEPmJS9_EEE10hipError_tPvRmT3_T4_T5_T6_T7_T9_mT8_P12ihipStream_tbDpT10_ENKUlT_T0_E_clISt17integral_constantIbLb0EES19_IbLb1EEEEDaS15_S16_EUlS15_E_NS1_11comp_targetILNS1_3genE10ELNS1_11target_archE1200ELNS1_3gpuE4ELNS1_3repE0EEENS1_30default_config_static_selectorELNS0_4arch9wavefront6targetE0EEEvT1_
                                        ; -- End function
	.set _ZN7rocprim17ROCPRIM_400000_NS6detail17trampoline_kernelINS0_14default_configENS1_25partition_config_selectorILNS1_17partition_subalgoE9EllbEEZZNS1_14partition_implILS5_9ELb0ES3_jPlS8_PNS0_10empty_typeENS0_5tupleIJS8_S9_EEENSB_IJS8_SA_EEENS0_18inequality_wrapperIZN2at6native12_GLOBAL__N_124unique_dim_cuda_templateIdEESt5tupleIJNSF_6TensorESK_SK_EERKSK_lbbbEUlllE0_EEPmJS9_EEE10hipError_tPvRmT3_T4_T5_T6_T7_T9_mT8_P12ihipStream_tbDpT10_ENKUlT_T0_E_clISt17integral_constantIbLb0EES19_IbLb1EEEEDaS15_S16_EUlS15_E_NS1_11comp_targetILNS1_3genE10ELNS1_11target_archE1200ELNS1_3gpuE4ELNS1_3repE0EEENS1_30default_config_static_selectorELNS0_4arch9wavefront6targetE0EEEvT1_.num_vgpr, 0
	.set _ZN7rocprim17ROCPRIM_400000_NS6detail17trampoline_kernelINS0_14default_configENS1_25partition_config_selectorILNS1_17partition_subalgoE9EllbEEZZNS1_14partition_implILS5_9ELb0ES3_jPlS8_PNS0_10empty_typeENS0_5tupleIJS8_S9_EEENSB_IJS8_SA_EEENS0_18inequality_wrapperIZN2at6native12_GLOBAL__N_124unique_dim_cuda_templateIdEESt5tupleIJNSF_6TensorESK_SK_EERKSK_lbbbEUlllE0_EEPmJS9_EEE10hipError_tPvRmT3_T4_T5_T6_T7_T9_mT8_P12ihipStream_tbDpT10_ENKUlT_T0_E_clISt17integral_constantIbLb0EES19_IbLb1EEEEDaS15_S16_EUlS15_E_NS1_11comp_targetILNS1_3genE10ELNS1_11target_archE1200ELNS1_3gpuE4ELNS1_3repE0EEENS1_30default_config_static_selectorELNS0_4arch9wavefront6targetE0EEEvT1_.num_agpr, 0
	.set _ZN7rocprim17ROCPRIM_400000_NS6detail17trampoline_kernelINS0_14default_configENS1_25partition_config_selectorILNS1_17partition_subalgoE9EllbEEZZNS1_14partition_implILS5_9ELb0ES3_jPlS8_PNS0_10empty_typeENS0_5tupleIJS8_S9_EEENSB_IJS8_SA_EEENS0_18inequality_wrapperIZN2at6native12_GLOBAL__N_124unique_dim_cuda_templateIdEESt5tupleIJNSF_6TensorESK_SK_EERKSK_lbbbEUlllE0_EEPmJS9_EEE10hipError_tPvRmT3_T4_T5_T6_T7_T9_mT8_P12ihipStream_tbDpT10_ENKUlT_T0_E_clISt17integral_constantIbLb0EES19_IbLb1EEEEDaS15_S16_EUlS15_E_NS1_11comp_targetILNS1_3genE10ELNS1_11target_archE1200ELNS1_3gpuE4ELNS1_3repE0EEENS1_30default_config_static_selectorELNS0_4arch9wavefront6targetE0EEEvT1_.numbered_sgpr, 0
	.set _ZN7rocprim17ROCPRIM_400000_NS6detail17trampoline_kernelINS0_14default_configENS1_25partition_config_selectorILNS1_17partition_subalgoE9EllbEEZZNS1_14partition_implILS5_9ELb0ES3_jPlS8_PNS0_10empty_typeENS0_5tupleIJS8_S9_EEENSB_IJS8_SA_EEENS0_18inequality_wrapperIZN2at6native12_GLOBAL__N_124unique_dim_cuda_templateIdEESt5tupleIJNSF_6TensorESK_SK_EERKSK_lbbbEUlllE0_EEPmJS9_EEE10hipError_tPvRmT3_T4_T5_T6_T7_T9_mT8_P12ihipStream_tbDpT10_ENKUlT_T0_E_clISt17integral_constantIbLb0EES19_IbLb1EEEEDaS15_S16_EUlS15_E_NS1_11comp_targetILNS1_3genE10ELNS1_11target_archE1200ELNS1_3gpuE4ELNS1_3repE0EEENS1_30default_config_static_selectorELNS0_4arch9wavefront6targetE0EEEvT1_.num_named_barrier, 0
	.set _ZN7rocprim17ROCPRIM_400000_NS6detail17trampoline_kernelINS0_14default_configENS1_25partition_config_selectorILNS1_17partition_subalgoE9EllbEEZZNS1_14partition_implILS5_9ELb0ES3_jPlS8_PNS0_10empty_typeENS0_5tupleIJS8_S9_EEENSB_IJS8_SA_EEENS0_18inequality_wrapperIZN2at6native12_GLOBAL__N_124unique_dim_cuda_templateIdEESt5tupleIJNSF_6TensorESK_SK_EERKSK_lbbbEUlllE0_EEPmJS9_EEE10hipError_tPvRmT3_T4_T5_T6_T7_T9_mT8_P12ihipStream_tbDpT10_ENKUlT_T0_E_clISt17integral_constantIbLb0EES19_IbLb1EEEEDaS15_S16_EUlS15_E_NS1_11comp_targetILNS1_3genE10ELNS1_11target_archE1200ELNS1_3gpuE4ELNS1_3repE0EEENS1_30default_config_static_selectorELNS0_4arch9wavefront6targetE0EEEvT1_.private_seg_size, 0
	.set _ZN7rocprim17ROCPRIM_400000_NS6detail17trampoline_kernelINS0_14default_configENS1_25partition_config_selectorILNS1_17partition_subalgoE9EllbEEZZNS1_14partition_implILS5_9ELb0ES3_jPlS8_PNS0_10empty_typeENS0_5tupleIJS8_S9_EEENSB_IJS8_SA_EEENS0_18inequality_wrapperIZN2at6native12_GLOBAL__N_124unique_dim_cuda_templateIdEESt5tupleIJNSF_6TensorESK_SK_EERKSK_lbbbEUlllE0_EEPmJS9_EEE10hipError_tPvRmT3_T4_T5_T6_T7_T9_mT8_P12ihipStream_tbDpT10_ENKUlT_T0_E_clISt17integral_constantIbLb0EES19_IbLb1EEEEDaS15_S16_EUlS15_E_NS1_11comp_targetILNS1_3genE10ELNS1_11target_archE1200ELNS1_3gpuE4ELNS1_3repE0EEENS1_30default_config_static_selectorELNS0_4arch9wavefront6targetE0EEEvT1_.uses_vcc, 0
	.set _ZN7rocprim17ROCPRIM_400000_NS6detail17trampoline_kernelINS0_14default_configENS1_25partition_config_selectorILNS1_17partition_subalgoE9EllbEEZZNS1_14partition_implILS5_9ELb0ES3_jPlS8_PNS0_10empty_typeENS0_5tupleIJS8_S9_EEENSB_IJS8_SA_EEENS0_18inequality_wrapperIZN2at6native12_GLOBAL__N_124unique_dim_cuda_templateIdEESt5tupleIJNSF_6TensorESK_SK_EERKSK_lbbbEUlllE0_EEPmJS9_EEE10hipError_tPvRmT3_T4_T5_T6_T7_T9_mT8_P12ihipStream_tbDpT10_ENKUlT_T0_E_clISt17integral_constantIbLb0EES19_IbLb1EEEEDaS15_S16_EUlS15_E_NS1_11comp_targetILNS1_3genE10ELNS1_11target_archE1200ELNS1_3gpuE4ELNS1_3repE0EEENS1_30default_config_static_selectorELNS0_4arch9wavefront6targetE0EEEvT1_.uses_flat_scratch, 0
	.set _ZN7rocprim17ROCPRIM_400000_NS6detail17trampoline_kernelINS0_14default_configENS1_25partition_config_selectorILNS1_17partition_subalgoE9EllbEEZZNS1_14partition_implILS5_9ELb0ES3_jPlS8_PNS0_10empty_typeENS0_5tupleIJS8_S9_EEENSB_IJS8_SA_EEENS0_18inequality_wrapperIZN2at6native12_GLOBAL__N_124unique_dim_cuda_templateIdEESt5tupleIJNSF_6TensorESK_SK_EERKSK_lbbbEUlllE0_EEPmJS9_EEE10hipError_tPvRmT3_T4_T5_T6_T7_T9_mT8_P12ihipStream_tbDpT10_ENKUlT_T0_E_clISt17integral_constantIbLb0EES19_IbLb1EEEEDaS15_S16_EUlS15_E_NS1_11comp_targetILNS1_3genE10ELNS1_11target_archE1200ELNS1_3gpuE4ELNS1_3repE0EEENS1_30default_config_static_selectorELNS0_4arch9wavefront6targetE0EEEvT1_.has_dyn_sized_stack, 0
	.set _ZN7rocprim17ROCPRIM_400000_NS6detail17trampoline_kernelINS0_14default_configENS1_25partition_config_selectorILNS1_17partition_subalgoE9EllbEEZZNS1_14partition_implILS5_9ELb0ES3_jPlS8_PNS0_10empty_typeENS0_5tupleIJS8_S9_EEENSB_IJS8_SA_EEENS0_18inequality_wrapperIZN2at6native12_GLOBAL__N_124unique_dim_cuda_templateIdEESt5tupleIJNSF_6TensorESK_SK_EERKSK_lbbbEUlllE0_EEPmJS9_EEE10hipError_tPvRmT3_T4_T5_T6_T7_T9_mT8_P12ihipStream_tbDpT10_ENKUlT_T0_E_clISt17integral_constantIbLb0EES19_IbLb1EEEEDaS15_S16_EUlS15_E_NS1_11comp_targetILNS1_3genE10ELNS1_11target_archE1200ELNS1_3gpuE4ELNS1_3repE0EEENS1_30default_config_static_selectorELNS0_4arch9wavefront6targetE0EEEvT1_.has_recursion, 0
	.set _ZN7rocprim17ROCPRIM_400000_NS6detail17trampoline_kernelINS0_14default_configENS1_25partition_config_selectorILNS1_17partition_subalgoE9EllbEEZZNS1_14partition_implILS5_9ELb0ES3_jPlS8_PNS0_10empty_typeENS0_5tupleIJS8_S9_EEENSB_IJS8_SA_EEENS0_18inequality_wrapperIZN2at6native12_GLOBAL__N_124unique_dim_cuda_templateIdEESt5tupleIJNSF_6TensorESK_SK_EERKSK_lbbbEUlllE0_EEPmJS9_EEE10hipError_tPvRmT3_T4_T5_T6_T7_T9_mT8_P12ihipStream_tbDpT10_ENKUlT_T0_E_clISt17integral_constantIbLb0EES19_IbLb1EEEEDaS15_S16_EUlS15_E_NS1_11comp_targetILNS1_3genE10ELNS1_11target_archE1200ELNS1_3gpuE4ELNS1_3repE0EEENS1_30default_config_static_selectorELNS0_4arch9wavefront6targetE0EEEvT1_.has_indirect_call, 0
	.section	.AMDGPU.csdata,"",@progbits
; Kernel info:
; codeLenInByte = 0
; TotalNumSgprs: 0
; NumVgprs: 0
; ScratchSize: 0
; MemoryBound: 0
; FloatMode: 240
; IeeeMode: 1
; LDSByteSize: 0 bytes/workgroup (compile time only)
; SGPRBlocks: 0
; VGPRBlocks: 0
; NumSGPRsForWavesPerEU: 1
; NumVGPRsForWavesPerEU: 1
; NamedBarCnt: 0
; Occupancy: 16
; WaveLimiterHint : 0
; COMPUTE_PGM_RSRC2:SCRATCH_EN: 0
; COMPUTE_PGM_RSRC2:USER_SGPR: 2
; COMPUTE_PGM_RSRC2:TRAP_HANDLER: 0
; COMPUTE_PGM_RSRC2:TGID_X_EN: 1
; COMPUTE_PGM_RSRC2:TGID_Y_EN: 0
; COMPUTE_PGM_RSRC2:TGID_Z_EN: 0
; COMPUTE_PGM_RSRC2:TIDIG_COMP_CNT: 0
	.section	.text._ZN7rocprim17ROCPRIM_400000_NS6detail17trampoline_kernelINS0_14default_configENS1_25partition_config_selectorILNS1_17partition_subalgoE9EllbEEZZNS1_14partition_implILS5_9ELb0ES3_jPlS8_PNS0_10empty_typeENS0_5tupleIJS8_S9_EEENSB_IJS8_SA_EEENS0_18inequality_wrapperIZN2at6native12_GLOBAL__N_124unique_dim_cuda_templateIdEESt5tupleIJNSF_6TensorESK_SK_EERKSK_lbbbEUlllE0_EEPmJS9_EEE10hipError_tPvRmT3_T4_T5_T6_T7_T9_mT8_P12ihipStream_tbDpT10_ENKUlT_T0_E_clISt17integral_constantIbLb0EES19_IbLb1EEEEDaS15_S16_EUlS15_E_NS1_11comp_targetILNS1_3genE9ELNS1_11target_archE1100ELNS1_3gpuE3ELNS1_3repE0EEENS1_30default_config_static_selectorELNS0_4arch9wavefront6targetE0EEEvT1_,"axG",@progbits,_ZN7rocprim17ROCPRIM_400000_NS6detail17trampoline_kernelINS0_14default_configENS1_25partition_config_selectorILNS1_17partition_subalgoE9EllbEEZZNS1_14partition_implILS5_9ELb0ES3_jPlS8_PNS0_10empty_typeENS0_5tupleIJS8_S9_EEENSB_IJS8_SA_EEENS0_18inequality_wrapperIZN2at6native12_GLOBAL__N_124unique_dim_cuda_templateIdEESt5tupleIJNSF_6TensorESK_SK_EERKSK_lbbbEUlllE0_EEPmJS9_EEE10hipError_tPvRmT3_T4_T5_T6_T7_T9_mT8_P12ihipStream_tbDpT10_ENKUlT_T0_E_clISt17integral_constantIbLb0EES19_IbLb1EEEEDaS15_S16_EUlS15_E_NS1_11comp_targetILNS1_3genE9ELNS1_11target_archE1100ELNS1_3gpuE3ELNS1_3repE0EEENS1_30default_config_static_selectorELNS0_4arch9wavefront6targetE0EEEvT1_,comdat
	.globl	_ZN7rocprim17ROCPRIM_400000_NS6detail17trampoline_kernelINS0_14default_configENS1_25partition_config_selectorILNS1_17partition_subalgoE9EllbEEZZNS1_14partition_implILS5_9ELb0ES3_jPlS8_PNS0_10empty_typeENS0_5tupleIJS8_S9_EEENSB_IJS8_SA_EEENS0_18inequality_wrapperIZN2at6native12_GLOBAL__N_124unique_dim_cuda_templateIdEESt5tupleIJNSF_6TensorESK_SK_EERKSK_lbbbEUlllE0_EEPmJS9_EEE10hipError_tPvRmT3_T4_T5_T6_T7_T9_mT8_P12ihipStream_tbDpT10_ENKUlT_T0_E_clISt17integral_constantIbLb0EES19_IbLb1EEEEDaS15_S16_EUlS15_E_NS1_11comp_targetILNS1_3genE9ELNS1_11target_archE1100ELNS1_3gpuE3ELNS1_3repE0EEENS1_30default_config_static_selectorELNS0_4arch9wavefront6targetE0EEEvT1_ ; -- Begin function _ZN7rocprim17ROCPRIM_400000_NS6detail17trampoline_kernelINS0_14default_configENS1_25partition_config_selectorILNS1_17partition_subalgoE9EllbEEZZNS1_14partition_implILS5_9ELb0ES3_jPlS8_PNS0_10empty_typeENS0_5tupleIJS8_S9_EEENSB_IJS8_SA_EEENS0_18inequality_wrapperIZN2at6native12_GLOBAL__N_124unique_dim_cuda_templateIdEESt5tupleIJNSF_6TensorESK_SK_EERKSK_lbbbEUlllE0_EEPmJS9_EEE10hipError_tPvRmT3_T4_T5_T6_T7_T9_mT8_P12ihipStream_tbDpT10_ENKUlT_T0_E_clISt17integral_constantIbLb0EES19_IbLb1EEEEDaS15_S16_EUlS15_E_NS1_11comp_targetILNS1_3genE9ELNS1_11target_archE1100ELNS1_3gpuE3ELNS1_3repE0EEENS1_30default_config_static_selectorELNS0_4arch9wavefront6targetE0EEEvT1_
	.p2align	8
	.type	_ZN7rocprim17ROCPRIM_400000_NS6detail17trampoline_kernelINS0_14default_configENS1_25partition_config_selectorILNS1_17partition_subalgoE9EllbEEZZNS1_14partition_implILS5_9ELb0ES3_jPlS8_PNS0_10empty_typeENS0_5tupleIJS8_S9_EEENSB_IJS8_SA_EEENS0_18inequality_wrapperIZN2at6native12_GLOBAL__N_124unique_dim_cuda_templateIdEESt5tupleIJNSF_6TensorESK_SK_EERKSK_lbbbEUlllE0_EEPmJS9_EEE10hipError_tPvRmT3_T4_T5_T6_T7_T9_mT8_P12ihipStream_tbDpT10_ENKUlT_T0_E_clISt17integral_constantIbLb0EES19_IbLb1EEEEDaS15_S16_EUlS15_E_NS1_11comp_targetILNS1_3genE9ELNS1_11target_archE1100ELNS1_3gpuE3ELNS1_3repE0EEENS1_30default_config_static_selectorELNS0_4arch9wavefront6targetE0EEEvT1_,@function
_ZN7rocprim17ROCPRIM_400000_NS6detail17trampoline_kernelINS0_14default_configENS1_25partition_config_selectorILNS1_17partition_subalgoE9EllbEEZZNS1_14partition_implILS5_9ELb0ES3_jPlS8_PNS0_10empty_typeENS0_5tupleIJS8_S9_EEENSB_IJS8_SA_EEENS0_18inequality_wrapperIZN2at6native12_GLOBAL__N_124unique_dim_cuda_templateIdEESt5tupleIJNSF_6TensorESK_SK_EERKSK_lbbbEUlllE0_EEPmJS9_EEE10hipError_tPvRmT3_T4_T5_T6_T7_T9_mT8_P12ihipStream_tbDpT10_ENKUlT_T0_E_clISt17integral_constantIbLb0EES19_IbLb1EEEEDaS15_S16_EUlS15_E_NS1_11comp_targetILNS1_3genE9ELNS1_11target_archE1100ELNS1_3gpuE3ELNS1_3repE0EEENS1_30default_config_static_selectorELNS0_4arch9wavefront6targetE0EEEvT1_: ; @_ZN7rocprim17ROCPRIM_400000_NS6detail17trampoline_kernelINS0_14default_configENS1_25partition_config_selectorILNS1_17partition_subalgoE9EllbEEZZNS1_14partition_implILS5_9ELb0ES3_jPlS8_PNS0_10empty_typeENS0_5tupleIJS8_S9_EEENSB_IJS8_SA_EEENS0_18inequality_wrapperIZN2at6native12_GLOBAL__N_124unique_dim_cuda_templateIdEESt5tupleIJNSF_6TensorESK_SK_EERKSK_lbbbEUlllE0_EEPmJS9_EEE10hipError_tPvRmT3_T4_T5_T6_T7_T9_mT8_P12ihipStream_tbDpT10_ENKUlT_T0_E_clISt17integral_constantIbLb0EES19_IbLb1EEEEDaS15_S16_EUlS15_E_NS1_11comp_targetILNS1_3genE9ELNS1_11target_archE1100ELNS1_3gpuE3ELNS1_3repE0EEENS1_30default_config_static_selectorELNS0_4arch9wavefront6targetE0EEEvT1_
; %bb.0:
	.section	.rodata,"a",@progbits
	.p2align	6, 0x0
	.amdhsa_kernel _ZN7rocprim17ROCPRIM_400000_NS6detail17trampoline_kernelINS0_14default_configENS1_25partition_config_selectorILNS1_17partition_subalgoE9EllbEEZZNS1_14partition_implILS5_9ELb0ES3_jPlS8_PNS0_10empty_typeENS0_5tupleIJS8_S9_EEENSB_IJS8_SA_EEENS0_18inequality_wrapperIZN2at6native12_GLOBAL__N_124unique_dim_cuda_templateIdEESt5tupleIJNSF_6TensorESK_SK_EERKSK_lbbbEUlllE0_EEPmJS9_EEE10hipError_tPvRmT3_T4_T5_T6_T7_T9_mT8_P12ihipStream_tbDpT10_ENKUlT_T0_E_clISt17integral_constantIbLb0EES19_IbLb1EEEEDaS15_S16_EUlS15_E_NS1_11comp_targetILNS1_3genE9ELNS1_11target_archE1100ELNS1_3gpuE3ELNS1_3repE0EEENS1_30default_config_static_selectorELNS0_4arch9wavefront6targetE0EEEvT1_
		.amdhsa_group_segment_fixed_size 0
		.amdhsa_private_segment_fixed_size 0
		.amdhsa_kernarg_size 136
		.amdhsa_user_sgpr_count 2
		.amdhsa_user_sgpr_dispatch_ptr 0
		.amdhsa_user_sgpr_queue_ptr 0
		.amdhsa_user_sgpr_kernarg_segment_ptr 1
		.amdhsa_user_sgpr_dispatch_id 0
		.amdhsa_user_sgpr_kernarg_preload_length 0
		.amdhsa_user_sgpr_kernarg_preload_offset 0
		.amdhsa_user_sgpr_private_segment_size 0
		.amdhsa_wavefront_size32 1
		.amdhsa_uses_dynamic_stack 0
		.amdhsa_enable_private_segment 0
		.amdhsa_system_sgpr_workgroup_id_x 1
		.amdhsa_system_sgpr_workgroup_id_y 0
		.amdhsa_system_sgpr_workgroup_id_z 0
		.amdhsa_system_sgpr_workgroup_info 0
		.amdhsa_system_vgpr_workitem_id 0
		.amdhsa_next_free_vgpr 1
		.amdhsa_next_free_sgpr 1
		.amdhsa_named_barrier_count 0
		.amdhsa_reserve_vcc 0
		.amdhsa_float_round_mode_32 0
		.amdhsa_float_round_mode_16_64 0
		.amdhsa_float_denorm_mode_32 3
		.amdhsa_float_denorm_mode_16_64 3
		.amdhsa_fp16_overflow 0
		.amdhsa_memory_ordered 1
		.amdhsa_forward_progress 1
		.amdhsa_inst_pref_size 0
		.amdhsa_round_robin_scheduling 0
		.amdhsa_exception_fp_ieee_invalid_op 0
		.amdhsa_exception_fp_denorm_src 0
		.amdhsa_exception_fp_ieee_div_zero 0
		.amdhsa_exception_fp_ieee_overflow 0
		.amdhsa_exception_fp_ieee_underflow 0
		.amdhsa_exception_fp_ieee_inexact 0
		.amdhsa_exception_int_div_zero 0
	.end_amdhsa_kernel
	.section	.text._ZN7rocprim17ROCPRIM_400000_NS6detail17trampoline_kernelINS0_14default_configENS1_25partition_config_selectorILNS1_17partition_subalgoE9EllbEEZZNS1_14partition_implILS5_9ELb0ES3_jPlS8_PNS0_10empty_typeENS0_5tupleIJS8_S9_EEENSB_IJS8_SA_EEENS0_18inequality_wrapperIZN2at6native12_GLOBAL__N_124unique_dim_cuda_templateIdEESt5tupleIJNSF_6TensorESK_SK_EERKSK_lbbbEUlllE0_EEPmJS9_EEE10hipError_tPvRmT3_T4_T5_T6_T7_T9_mT8_P12ihipStream_tbDpT10_ENKUlT_T0_E_clISt17integral_constantIbLb0EES19_IbLb1EEEEDaS15_S16_EUlS15_E_NS1_11comp_targetILNS1_3genE9ELNS1_11target_archE1100ELNS1_3gpuE3ELNS1_3repE0EEENS1_30default_config_static_selectorELNS0_4arch9wavefront6targetE0EEEvT1_,"axG",@progbits,_ZN7rocprim17ROCPRIM_400000_NS6detail17trampoline_kernelINS0_14default_configENS1_25partition_config_selectorILNS1_17partition_subalgoE9EllbEEZZNS1_14partition_implILS5_9ELb0ES3_jPlS8_PNS0_10empty_typeENS0_5tupleIJS8_S9_EEENSB_IJS8_SA_EEENS0_18inequality_wrapperIZN2at6native12_GLOBAL__N_124unique_dim_cuda_templateIdEESt5tupleIJNSF_6TensorESK_SK_EERKSK_lbbbEUlllE0_EEPmJS9_EEE10hipError_tPvRmT3_T4_T5_T6_T7_T9_mT8_P12ihipStream_tbDpT10_ENKUlT_T0_E_clISt17integral_constantIbLb0EES19_IbLb1EEEEDaS15_S16_EUlS15_E_NS1_11comp_targetILNS1_3genE9ELNS1_11target_archE1100ELNS1_3gpuE3ELNS1_3repE0EEENS1_30default_config_static_selectorELNS0_4arch9wavefront6targetE0EEEvT1_,comdat
.Lfunc_end869:
	.size	_ZN7rocprim17ROCPRIM_400000_NS6detail17trampoline_kernelINS0_14default_configENS1_25partition_config_selectorILNS1_17partition_subalgoE9EllbEEZZNS1_14partition_implILS5_9ELb0ES3_jPlS8_PNS0_10empty_typeENS0_5tupleIJS8_S9_EEENSB_IJS8_SA_EEENS0_18inequality_wrapperIZN2at6native12_GLOBAL__N_124unique_dim_cuda_templateIdEESt5tupleIJNSF_6TensorESK_SK_EERKSK_lbbbEUlllE0_EEPmJS9_EEE10hipError_tPvRmT3_T4_T5_T6_T7_T9_mT8_P12ihipStream_tbDpT10_ENKUlT_T0_E_clISt17integral_constantIbLb0EES19_IbLb1EEEEDaS15_S16_EUlS15_E_NS1_11comp_targetILNS1_3genE9ELNS1_11target_archE1100ELNS1_3gpuE3ELNS1_3repE0EEENS1_30default_config_static_selectorELNS0_4arch9wavefront6targetE0EEEvT1_, .Lfunc_end869-_ZN7rocprim17ROCPRIM_400000_NS6detail17trampoline_kernelINS0_14default_configENS1_25partition_config_selectorILNS1_17partition_subalgoE9EllbEEZZNS1_14partition_implILS5_9ELb0ES3_jPlS8_PNS0_10empty_typeENS0_5tupleIJS8_S9_EEENSB_IJS8_SA_EEENS0_18inequality_wrapperIZN2at6native12_GLOBAL__N_124unique_dim_cuda_templateIdEESt5tupleIJNSF_6TensorESK_SK_EERKSK_lbbbEUlllE0_EEPmJS9_EEE10hipError_tPvRmT3_T4_T5_T6_T7_T9_mT8_P12ihipStream_tbDpT10_ENKUlT_T0_E_clISt17integral_constantIbLb0EES19_IbLb1EEEEDaS15_S16_EUlS15_E_NS1_11comp_targetILNS1_3genE9ELNS1_11target_archE1100ELNS1_3gpuE3ELNS1_3repE0EEENS1_30default_config_static_selectorELNS0_4arch9wavefront6targetE0EEEvT1_
                                        ; -- End function
	.set _ZN7rocprim17ROCPRIM_400000_NS6detail17trampoline_kernelINS0_14default_configENS1_25partition_config_selectorILNS1_17partition_subalgoE9EllbEEZZNS1_14partition_implILS5_9ELb0ES3_jPlS8_PNS0_10empty_typeENS0_5tupleIJS8_S9_EEENSB_IJS8_SA_EEENS0_18inequality_wrapperIZN2at6native12_GLOBAL__N_124unique_dim_cuda_templateIdEESt5tupleIJNSF_6TensorESK_SK_EERKSK_lbbbEUlllE0_EEPmJS9_EEE10hipError_tPvRmT3_T4_T5_T6_T7_T9_mT8_P12ihipStream_tbDpT10_ENKUlT_T0_E_clISt17integral_constantIbLb0EES19_IbLb1EEEEDaS15_S16_EUlS15_E_NS1_11comp_targetILNS1_3genE9ELNS1_11target_archE1100ELNS1_3gpuE3ELNS1_3repE0EEENS1_30default_config_static_selectorELNS0_4arch9wavefront6targetE0EEEvT1_.num_vgpr, 0
	.set _ZN7rocprim17ROCPRIM_400000_NS6detail17trampoline_kernelINS0_14default_configENS1_25partition_config_selectorILNS1_17partition_subalgoE9EllbEEZZNS1_14partition_implILS5_9ELb0ES3_jPlS8_PNS0_10empty_typeENS0_5tupleIJS8_S9_EEENSB_IJS8_SA_EEENS0_18inequality_wrapperIZN2at6native12_GLOBAL__N_124unique_dim_cuda_templateIdEESt5tupleIJNSF_6TensorESK_SK_EERKSK_lbbbEUlllE0_EEPmJS9_EEE10hipError_tPvRmT3_T4_T5_T6_T7_T9_mT8_P12ihipStream_tbDpT10_ENKUlT_T0_E_clISt17integral_constantIbLb0EES19_IbLb1EEEEDaS15_S16_EUlS15_E_NS1_11comp_targetILNS1_3genE9ELNS1_11target_archE1100ELNS1_3gpuE3ELNS1_3repE0EEENS1_30default_config_static_selectorELNS0_4arch9wavefront6targetE0EEEvT1_.num_agpr, 0
	.set _ZN7rocprim17ROCPRIM_400000_NS6detail17trampoline_kernelINS0_14default_configENS1_25partition_config_selectorILNS1_17partition_subalgoE9EllbEEZZNS1_14partition_implILS5_9ELb0ES3_jPlS8_PNS0_10empty_typeENS0_5tupleIJS8_S9_EEENSB_IJS8_SA_EEENS0_18inequality_wrapperIZN2at6native12_GLOBAL__N_124unique_dim_cuda_templateIdEESt5tupleIJNSF_6TensorESK_SK_EERKSK_lbbbEUlllE0_EEPmJS9_EEE10hipError_tPvRmT3_T4_T5_T6_T7_T9_mT8_P12ihipStream_tbDpT10_ENKUlT_T0_E_clISt17integral_constantIbLb0EES19_IbLb1EEEEDaS15_S16_EUlS15_E_NS1_11comp_targetILNS1_3genE9ELNS1_11target_archE1100ELNS1_3gpuE3ELNS1_3repE0EEENS1_30default_config_static_selectorELNS0_4arch9wavefront6targetE0EEEvT1_.numbered_sgpr, 0
	.set _ZN7rocprim17ROCPRIM_400000_NS6detail17trampoline_kernelINS0_14default_configENS1_25partition_config_selectorILNS1_17partition_subalgoE9EllbEEZZNS1_14partition_implILS5_9ELb0ES3_jPlS8_PNS0_10empty_typeENS0_5tupleIJS8_S9_EEENSB_IJS8_SA_EEENS0_18inequality_wrapperIZN2at6native12_GLOBAL__N_124unique_dim_cuda_templateIdEESt5tupleIJNSF_6TensorESK_SK_EERKSK_lbbbEUlllE0_EEPmJS9_EEE10hipError_tPvRmT3_T4_T5_T6_T7_T9_mT8_P12ihipStream_tbDpT10_ENKUlT_T0_E_clISt17integral_constantIbLb0EES19_IbLb1EEEEDaS15_S16_EUlS15_E_NS1_11comp_targetILNS1_3genE9ELNS1_11target_archE1100ELNS1_3gpuE3ELNS1_3repE0EEENS1_30default_config_static_selectorELNS0_4arch9wavefront6targetE0EEEvT1_.num_named_barrier, 0
	.set _ZN7rocprim17ROCPRIM_400000_NS6detail17trampoline_kernelINS0_14default_configENS1_25partition_config_selectorILNS1_17partition_subalgoE9EllbEEZZNS1_14partition_implILS5_9ELb0ES3_jPlS8_PNS0_10empty_typeENS0_5tupleIJS8_S9_EEENSB_IJS8_SA_EEENS0_18inequality_wrapperIZN2at6native12_GLOBAL__N_124unique_dim_cuda_templateIdEESt5tupleIJNSF_6TensorESK_SK_EERKSK_lbbbEUlllE0_EEPmJS9_EEE10hipError_tPvRmT3_T4_T5_T6_T7_T9_mT8_P12ihipStream_tbDpT10_ENKUlT_T0_E_clISt17integral_constantIbLb0EES19_IbLb1EEEEDaS15_S16_EUlS15_E_NS1_11comp_targetILNS1_3genE9ELNS1_11target_archE1100ELNS1_3gpuE3ELNS1_3repE0EEENS1_30default_config_static_selectorELNS0_4arch9wavefront6targetE0EEEvT1_.private_seg_size, 0
	.set _ZN7rocprim17ROCPRIM_400000_NS6detail17trampoline_kernelINS0_14default_configENS1_25partition_config_selectorILNS1_17partition_subalgoE9EllbEEZZNS1_14partition_implILS5_9ELb0ES3_jPlS8_PNS0_10empty_typeENS0_5tupleIJS8_S9_EEENSB_IJS8_SA_EEENS0_18inequality_wrapperIZN2at6native12_GLOBAL__N_124unique_dim_cuda_templateIdEESt5tupleIJNSF_6TensorESK_SK_EERKSK_lbbbEUlllE0_EEPmJS9_EEE10hipError_tPvRmT3_T4_T5_T6_T7_T9_mT8_P12ihipStream_tbDpT10_ENKUlT_T0_E_clISt17integral_constantIbLb0EES19_IbLb1EEEEDaS15_S16_EUlS15_E_NS1_11comp_targetILNS1_3genE9ELNS1_11target_archE1100ELNS1_3gpuE3ELNS1_3repE0EEENS1_30default_config_static_selectorELNS0_4arch9wavefront6targetE0EEEvT1_.uses_vcc, 0
	.set _ZN7rocprim17ROCPRIM_400000_NS6detail17trampoline_kernelINS0_14default_configENS1_25partition_config_selectorILNS1_17partition_subalgoE9EllbEEZZNS1_14partition_implILS5_9ELb0ES3_jPlS8_PNS0_10empty_typeENS0_5tupleIJS8_S9_EEENSB_IJS8_SA_EEENS0_18inequality_wrapperIZN2at6native12_GLOBAL__N_124unique_dim_cuda_templateIdEESt5tupleIJNSF_6TensorESK_SK_EERKSK_lbbbEUlllE0_EEPmJS9_EEE10hipError_tPvRmT3_T4_T5_T6_T7_T9_mT8_P12ihipStream_tbDpT10_ENKUlT_T0_E_clISt17integral_constantIbLb0EES19_IbLb1EEEEDaS15_S16_EUlS15_E_NS1_11comp_targetILNS1_3genE9ELNS1_11target_archE1100ELNS1_3gpuE3ELNS1_3repE0EEENS1_30default_config_static_selectorELNS0_4arch9wavefront6targetE0EEEvT1_.uses_flat_scratch, 0
	.set _ZN7rocprim17ROCPRIM_400000_NS6detail17trampoline_kernelINS0_14default_configENS1_25partition_config_selectorILNS1_17partition_subalgoE9EllbEEZZNS1_14partition_implILS5_9ELb0ES3_jPlS8_PNS0_10empty_typeENS0_5tupleIJS8_S9_EEENSB_IJS8_SA_EEENS0_18inequality_wrapperIZN2at6native12_GLOBAL__N_124unique_dim_cuda_templateIdEESt5tupleIJNSF_6TensorESK_SK_EERKSK_lbbbEUlllE0_EEPmJS9_EEE10hipError_tPvRmT3_T4_T5_T6_T7_T9_mT8_P12ihipStream_tbDpT10_ENKUlT_T0_E_clISt17integral_constantIbLb0EES19_IbLb1EEEEDaS15_S16_EUlS15_E_NS1_11comp_targetILNS1_3genE9ELNS1_11target_archE1100ELNS1_3gpuE3ELNS1_3repE0EEENS1_30default_config_static_selectorELNS0_4arch9wavefront6targetE0EEEvT1_.has_dyn_sized_stack, 0
	.set _ZN7rocprim17ROCPRIM_400000_NS6detail17trampoline_kernelINS0_14default_configENS1_25partition_config_selectorILNS1_17partition_subalgoE9EllbEEZZNS1_14partition_implILS5_9ELb0ES3_jPlS8_PNS0_10empty_typeENS0_5tupleIJS8_S9_EEENSB_IJS8_SA_EEENS0_18inequality_wrapperIZN2at6native12_GLOBAL__N_124unique_dim_cuda_templateIdEESt5tupleIJNSF_6TensorESK_SK_EERKSK_lbbbEUlllE0_EEPmJS9_EEE10hipError_tPvRmT3_T4_T5_T6_T7_T9_mT8_P12ihipStream_tbDpT10_ENKUlT_T0_E_clISt17integral_constantIbLb0EES19_IbLb1EEEEDaS15_S16_EUlS15_E_NS1_11comp_targetILNS1_3genE9ELNS1_11target_archE1100ELNS1_3gpuE3ELNS1_3repE0EEENS1_30default_config_static_selectorELNS0_4arch9wavefront6targetE0EEEvT1_.has_recursion, 0
	.set _ZN7rocprim17ROCPRIM_400000_NS6detail17trampoline_kernelINS0_14default_configENS1_25partition_config_selectorILNS1_17partition_subalgoE9EllbEEZZNS1_14partition_implILS5_9ELb0ES3_jPlS8_PNS0_10empty_typeENS0_5tupleIJS8_S9_EEENSB_IJS8_SA_EEENS0_18inequality_wrapperIZN2at6native12_GLOBAL__N_124unique_dim_cuda_templateIdEESt5tupleIJNSF_6TensorESK_SK_EERKSK_lbbbEUlllE0_EEPmJS9_EEE10hipError_tPvRmT3_T4_T5_T6_T7_T9_mT8_P12ihipStream_tbDpT10_ENKUlT_T0_E_clISt17integral_constantIbLb0EES19_IbLb1EEEEDaS15_S16_EUlS15_E_NS1_11comp_targetILNS1_3genE9ELNS1_11target_archE1100ELNS1_3gpuE3ELNS1_3repE0EEENS1_30default_config_static_selectorELNS0_4arch9wavefront6targetE0EEEvT1_.has_indirect_call, 0
	.section	.AMDGPU.csdata,"",@progbits
; Kernel info:
; codeLenInByte = 0
; TotalNumSgprs: 0
; NumVgprs: 0
; ScratchSize: 0
; MemoryBound: 0
; FloatMode: 240
; IeeeMode: 1
; LDSByteSize: 0 bytes/workgroup (compile time only)
; SGPRBlocks: 0
; VGPRBlocks: 0
; NumSGPRsForWavesPerEU: 1
; NumVGPRsForWavesPerEU: 1
; NamedBarCnt: 0
; Occupancy: 16
; WaveLimiterHint : 0
; COMPUTE_PGM_RSRC2:SCRATCH_EN: 0
; COMPUTE_PGM_RSRC2:USER_SGPR: 2
; COMPUTE_PGM_RSRC2:TRAP_HANDLER: 0
; COMPUTE_PGM_RSRC2:TGID_X_EN: 1
; COMPUTE_PGM_RSRC2:TGID_Y_EN: 0
; COMPUTE_PGM_RSRC2:TGID_Z_EN: 0
; COMPUTE_PGM_RSRC2:TIDIG_COMP_CNT: 0
	.section	.text._ZN7rocprim17ROCPRIM_400000_NS6detail17trampoline_kernelINS0_14default_configENS1_25partition_config_selectorILNS1_17partition_subalgoE9EllbEEZZNS1_14partition_implILS5_9ELb0ES3_jPlS8_PNS0_10empty_typeENS0_5tupleIJS8_S9_EEENSB_IJS8_SA_EEENS0_18inequality_wrapperIZN2at6native12_GLOBAL__N_124unique_dim_cuda_templateIdEESt5tupleIJNSF_6TensorESK_SK_EERKSK_lbbbEUlllE0_EEPmJS9_EEE10hipError_tPvRmT3_T4_T5_T6_T7_T9_mT8_P12ihipStream_tbDpT10_ENKUlT_T0_E_clISt17integral_constantIbLb0EES19_IbLb1EEEEDaS15_S16_EUlS15_E_NS1_11comp_targetILNS1_3genE8ELNS1_11target_archE1030ELNS1_3gpuE2ELNS1_3repE0EEENS1_30default_config_static_selectorELNS0_4arch9wavefront6targetE0EEEvT1_,"axG",@progbits,_ZN7rocprim17ROCPRIM_400000_NS6detail17trampoline_kernelINS0_14default_configENS1_25partition_config_selectorILNS1_17partition_subalgoE9EllbEEZZNS1_14partition_implILS5_9ELb0ES3_jPlS8_PNS0_10empty_typeENS0_5tupleIJS8_S9_EEENSB_IJS8_SA_EEENS0_18inequality_wrapperIZN2at6native12_GLOBAL__N_124unique_dim_cuda_templateIdEESt5tupleIJNSF_6TensorESK_SK_EERKSK_lbbbEUlllE0_EEPmJS9_EEE10hipError_tPvRmT3_T4_T5_T6_T7_T9_mT8_P12ihipStream_tbDpT10_ENKUlT_T0_E_clISt17integral_constantIbLb0EES19_IbLb1EEEEDaS15_S16_EUlS15_E_NS1_11comp_targetILNS1_3genE8ELNS1_11target_archE1030ELNS1_3gpuE2ELNS1_3repE0EEENS1_30default_config_static_selectorELNS0_4arch9wavefront6targetE0EEEvT1_,comdat
	.globl	_ZN7rocprim17ROCPRIM_400000_NS6detail17trampoline_kernelINS0_14default_configENS1_25partition_config_selectorILNS1_17partition_subalgoE9EllbEEZZNS1_14partition_implILS5_9ELb0ES3_jPlS8_PNS0_10empty_typeENS0_5tupleIJS8_S9_EEENSB_IJS8_SA_EEENS0_18inequality_wrapperIZN2at6native12_GLOBAL__N_124unique_dim_cuda_templateIdEESt5tupleIJNSF_6TensorESK_SK_EERKSK_lbbbEUlllE0_EEPmJS9_EEE10hipError_tPvRmT3_T4_T5_T6_T7_T9_mT8_P12ihipStream_tbDpT10_ENKUlT_T0_E_clISt17integral_constantIbLb0EES19_IbLb1EEEEDaS15_S16_EUlS15_E_NS1_11comp_targetILNS1_3genE8ELNS1_11target_archE1030ELNS1_3gpuE2ELNS1_3repE0EEENS1_30default_config_static_selectorELNS0_4arch9wavefront6targetE0EEEvT1_ ; -- Begin function _ZN7rocprim17ROCPRIM_400000_NS6detail17trampoline_kernelINS0_14default_configENS1_25partition_config_selectorILNS1_17partition_subalgoE9EllbEEZZNS1_14partition_implILS5_9ELb0ES3_jPlS8_PNS0_10empty_typeENS0_5tupleIJS8_S9_EEENSB_IJS8_SA_EEENS0_18inequality_wrapperIZN2at6native12_GLOBAL__N_124unique_dim_cuda_templateIdEESt5tupleIJNSF_6TensorESK_SK_EERKSK_lbbbEUlllE0_EEPmJS9_EEE10hipError_tPvRmT3_T4_T5_T6_T7_T9_mT8_P12ihipStream_tbDpT10_ENKUlT_T0_E_clISt17integral_constantIbLb0EES19_IbLb1EEEEDaS15_S16_EUlS15_E_NS1_11comp_targetILNS1_3genE8ELNS1_11target_archE1030ELNS1_3gpuE2ELNS1_3repE0EEENS1_30default_config_static_selectorELNS0_4arch9wavefront6targetE0EEEvT1_
	.p2align	8
	.type	_ZN7rocprim17ROCPRIM_400000_NS6detail17trampoline_kernelINS0_14default_configENS1_25partition_config_selectorILNS1_17partition_subalgoE9EllbEEZZNS1_14partition_implILS5_9ELb0ES3_jPlS8_PNS0_10empty_typeENS0_5tupleIJS8_S9_EEENSB_IJS8_SA_EEENS0_18inequality_wrapperIZN2at6native12_GLOBAL__N_124unique_dim_cuda_templateIdEESt5tupleIJNSF_6TensorESK_SK_EERKSK_lbbbEUlllE0_EEPmJS9_EEE10hipError_tPvRmT3_T4_T5_T6_T7_T9_mT8_P12ihipStream_tbDpT10_ENKUlT_T0_E_clISt17integral_constantIbLb0EES19_IbLb1EEEEDaS15_S16_EUlS15_E_NS1_11comp_targetILNS1_3genE8ELNS1_11target_archE1030ELNS1_3gpuE2ELNS1_3repE0EEENS1_30default_config_static_selectorELNS0_4arch9wavefront6targetE0EEEvT1_,@function
_ZN7rocprim17ROCPRIM_400000_NS6detail17trampoline_kernelINS0_14default_configENS1_25partition_config_selectorILNS1_17partition_subalgoE9EllbEEZZNS1_14partition_implILS5_9ELb0ES3_jPlS8_PNS0_10empty_typeENS0_5tupleIJS8_S9_EEENSB_IJS8_SA_EEENS0_18inequality_wrapperIZN2at6native12_GLOBAL__N_124unique_dim_cuda_templateIdEESt5tupleIJNSF_6TensorESK_SK_EERKSK_lbbbEUlllE0_EEPmJS9_EEE10hipError_tPvRmT3_T4_T5_T6_T7_T9_mT8_P12ihipStream_tbDpT10_ENKUlT_T0_E_clISt17integral_constantIbLb0EES19_IbLb1EEEEDaS15_S16_EUlS15_E_NS1_11comp_targetILNS1_3genE8ELNS1_11target_archE1030ELNS1_3gpuE2ELNS1_3repE0EEENS1_30default_config_static_selectorELNS0_4arch9wavefront6targetE0EEEvT1_: ; @_ZN7rocprim17ROCPRIM_400000_NS6detail17trampoline_kernelINS0_14default_configENS1_25partition_config_selectorILNS1_17partition_subalgoE9EllbEEZZNS1_14partition_implILS5_9ELb0ES3_jPlS8_PNS0_10empty_typeENS0_5tupleIJS8_S9_EEENSB_IJS8_SA_EEENS0_18inequality_wrapperIZN2at6native12_GLOBAL__N_124unique_dim_cuda_templateIdEESt5tupleIJNSF_6TensorESK_SK_EERKSK_lbbbEUlllE0_EEPmJS9_EEE10hipError_tPvRmT3_T4_T5_T6_T7_T9_mT8_P12ihipStream_tbDpT10_ENKUlT_T0_E_clISt17integral_constantIbLb0EES19_IbLb1EEEEDaS15_S16_EUlS15_E_NS1_11comp_targetILNS1_3genE8ELNS1_11target_archE1030ELNS1_3gpuE2ELNS1_3repE0EEENS1_30default_config_static_selectorELNS0_4arch9wavefront6targetE0EEEvT1_
; %bb.0:
	.section	.rodata,"a",@progbits
	.p2align	6, 0x0
	.amdhsa_kernel _ZN7rocprim17ROCPRIM_400000_NS6detail17trampoline_kernelINS0_14default_configENS1_25partition_config_selectorILNS1_17partition_subalgoE9EllbEEZZNS1_14partition_implILS5_9ELb0ES3_jPlS8_PNS0_10empty_typeENS0_5tupleIJS8_S9_EEENSB_IJS8_SA_EEENS0_18inequality_wrapperIZN2at6native12_GLOBAL__N_124unique_dim_cuda_templateIdEESt5tupleIJNSF_6TensorESK_SK_EERKSK_lbbbEUlllE0_EEPmJS9_EEE10hipError_tPvRmT3_T4_T5_T6_T7_T9_mT8_P12ihipStream_tbDpT10_ENKUlT_T0_E_clISt17integral_constantIbLb0EES19_IbLb1EEEEDaS15_S16_EUlS15_E_NS1_11comp_targetILNS1_3genE8ELNS1_11target_archE1030ELNS1_3gpuE2ELNS1_3repE0EEENS1_30default_config_static_selectorELNS0_4arch9wavefront6targetE0EEEvT1_
		.amdhsa_group_segment_fixed_size 0
		.amdhsa_private_segment_fixed_size 0
		.amdhsa_kernarg_size 136
		.amdhsa_user_sgpr_count 2
		.amdhsa_user_sgpr_dispatch_ptr 0
		.amdhsa_user_sgpr_queue_ptr 0
		.amdhsa_user_sgpr_kernarg_segment_ptr 1
		.amdhsa_user_sgpr_dispatch_id 0
		.amdhsa_user_sgpr_kernarg_preload_length 0
		.amdhsa_user_sgpr_kernarg_preload_offset 0
		.amdhsa_user_sgpr_private_segment_size 0
		.amdhsa_wavefront_size32 1
		.amdhsa_uses_dynamic_stack 0
		.amdhsa_enable_private_segment 0
		.amdhsa_system_sgpr_workgroup_id_x 1
		.amdhsa_system_sgpr_workgroup_id_y 0
		.amdhsa_system_sgpr_workgroup_id_z 0
		.amdhsa_system_sgpr_workgroup_info 0
		.amdhsa_system_vgpr_workitem_id 0
		.amdhsa_next_free_vgpr 1
		.amdhsa_next_free_sgpr 1
		.amdhsa_named_barrier_count 0
		.amdhsa_reserve_vcc 0
		.amdhsa_float_round_mode_32 0
		.amdhsa_float_round_mode_16_64 0
		.amdhsa_float_denorm_mode_32 3
		.amdhsa_float_denorm_mode_16_64 3
		.amdhsa_fp16_overflow 0
		.amdhsa_memory_ordered 1
		.amdhsa_forward_progress 1
		.amdhsa_inst_pref_size 0
		.amdhsa_round_robin_scheduling 0
		.amdhsa_exception_fp_ieee_invalid_op 0
		.amdhsa_exception_fp_denorm_src 0
		.amdhsa_exception_fp_ieee_div_zero 0
		.amdhsa_exception_fp_ieee_overflow 0
		.amdhsa_exception_fp_ieee_underflow 0
		.amdhsa_exception_fp_ieee_inexact 0
		.amdhsa_exception_int_div_zero 0
	.end_amdhsa_kernel
	.section	.text._ZN7rocprim17ROCPRIM_400000_NS6detail17trampoline_kernelINS0_14default_configENS1_25partition_config_selectorILNS1_17partition_subalgoE9EllbEEZZNS1_14partition_implILS5_9ELb0ES3_jPlS8_PNS0_10empty_typeENS0_5tupleIJS8_S9_EEENSB_IJS8_SA_EEENS0_18inequality_wrapperIZN2at6native12_GLOBAL__N_124unique_dim_cuda_templateIdEESt5tupleIJNSF_6TensorESK_SK_EERKSK_lbbbEUlllE0_EEPmJS9_EEE10hipError_tPvRmT3_T4_T5_T6_T7_T9_mT8_P12ihipStream_tbDpT10_ENKUlT_T0_E_clISt17integral_constantIbLb0EES19_IbLb1EEEEDaS15_S16_EUlS15_E_NS1_11comp_targetILNS1_3genE8ELNS1_11target_archE1030ELNS1_3gpuE2ELNS1_3repE0EEENS1_30default_config_static_selectorELNS0_4arch9wavefront6targetE0EEEvT1_,"axG",@progbits,_ZN7rocprim17ROCPRIM_400000_NS6detail17trampoline_kernelINS0_14default_configENS1_25partition_config_selectorILNS1_17partition_subalgoE9EllbEEZZNS1_14partition_implILS5_9ELb0ES3_jPlS8_PNS0_10empty_typeENS0_5tupleIJS8_S9_EEENSB_IJS8_SA_EEENS0_18inequality_wrapperIZN2at6native12_GLOBAL__N_124unique_dim_cuda_templateIdEESt5tupleIJNSF_6TensorESK_SK_EERKSK_lbbbEUlllE0_EEPmJS9_EEE10hipError_tPvRmT3_T4_T5_T6_T7_T9_mT8_P12ihipStream_tbDpT10_ENKUlT_T0_E_clISt17integral_constantIbLb0EES19_IbLb1EEEEDaS15_S16_EUlS15_E_NS1_11comp_targetILNS1_3genE8ELNS1_11target_archE1030ELNS1_3gpuE2ELNS1_3repE0EEENS1_30default_config_static_selectorELNS0_4arch9wavefront6targetE0EEEvT1_,comdat
.Lfunc_end870:
	.size	_ZN7rocprim17ROCPRIM_400000_NS6detail17trampoline_kernelINS0_14default_configENS1_25partition_config_selectorILNS1_17partition_subalgoE9EllbEEZZNS1_14partition_implILS5_9ELb0ES3_jPlS8_PNS0_10empty_typeENS0_5tupleIJS8_S9_EEENSB_IJS8_SA_EEENS0_18inequality_wrapperIZN2at6native12_GLOBAL__N_124unique_dim_cuda_templateIdEESt5tupleIJNSF_6TensorESK_SK_EERKSK_lbbbEUlllE0_EEPmJS9_EEE10hipError_tPvRmT3_T4_T5_T6_T7_T9_mT8_P12ihipStream_tbDpT10_ENKUlT_T0_E_clISt17integral_constantIbLb0EES19_IbLb1EEEEDaS15_S16_EUlS15_E_NS1_11comp_targetILNS1_3genE8ELNS1_11target_archE1030ELNS1_3gpuE2ELNS1_3repE0EEENS1_30default_config_static_selectorELNS0_4arch9wavefront6targetE0EEEvT1_, .Lfunc_end870-_ZN7rocprim17ROCPRIM_400000_NS6detail17trampoline_kernelINS0_14default_configENS1_25partition_config_selectorILNS1_17partition_subalgoE9EllbEEZZNS1_14partition_implILS5_9ELb0ES3_jPlS8_PNS0_10empty_typeENS0_5tupleIJS8_S9_EEENSB_IJS8_SA_EEENS0_18inequality_wrapperIZN2at6native12_GLOBAL__N_124unique_dim_cuda_templateIdEESt5tupleIJNSF_6TensorESK_SK_EERKSK_lbbbEUlllE0_EEPmJS9_EEE10hipError_tPvRmT3_T4_T5_T6_T7_T9_mT8_P12ihipStream_tbDpT10_ENKUlT_T0_E_clISt17integral_constantIbLb0EES19_IbLb1EEEEDaS15_S16_EUlS15_E_NS1_11comp_targetILNS1_3genE8ELNS1_11target_archE1030ELNS1_3gpuE2ELNS1_3repE0EEENS1_30default_config_static_selectorELNS0_4arch9wavefront6targetE0EEEvT1_
                                        ; -- End function
	.set _ZN7rocprim17ROCPRIM_400000_NS6detail17trampoline_kernelINS0_14default_configENS1_25partition_config_selectorILNS1_17partition_subalgoE9EllbEEZZNS1_14partition_implILS5_9ELb0ES3_jPlS8_PNS0_10empty_typeENS0_5tupleIJS8_S9_EEENSB_IJS8_SA_EEENS0_18inequality_wrapperIZN2at6native12_GLOBAL__N_124unique_dim_cuda_templateIdEESt5tupleIJNSF_6TensorESK_SK_EERKSK_lbbbEUlllE0_EEPmJS9_EEE10hipError_tPvRmT3_T4_T5_T6_T7_T9_mT8_P12ihipStream_tbDpT10_ENKUlT_T0_E_clISt17integral_constantIbLb0EES19_IbLb1EEEEDaS15_S16_EUlS15_E_NS1_11comp_targetILNS1_3genE8ELNS1_11target_archE1030ELNS1_3gpuE2ELNS1_3repE0EEENS1_30default_config_static_selectorELNS0_4arch9wavefront6targetE0EEEvT1_.num_vgpr, 0
	.set _ZN7rocprim17ROCPRIM_400000_NS6detail17trampoline_kernelINS0_14default_configENS1_25partition_config_selectorILNS1_17partition_subalgoE9EllbEEZZNS1_14partition_implILS5_9ELb0ES3_jPlS8_PNS0_10empty_typeENS0_5tupleIJS8_S9_EEENSB_IJS8_SA_EEENS0_18inequality_wrapperIZN2at6native12_GLOBAL__N_124unique_dim_cuda_templateIdEESt5tupleIJNSF_6TensorESK_SK_EERKSK_lbbbEUlllE0_EEPmJS9_EEE10hipError_tPvRmT3_T4_T5_T6_T7_T9_mT8_P12ihipStream_tbDpT10_ENKUlT_T0_E_clISt17integral_constantIbLb0EES19_IbLb1EEEEDaS15_S16_EUlS15_E_NS1_11comp_targetILNS1_3genE8ELNS1_11target_archE1030ELNS1_3gpuE2ELNS1_3repE0EEENS1_30default_config_static_selectorELNS0_4arch9wavefront6targetE0EEEvT1_.num_agpr, 0
	.set _ZN7rocprim17ROCPRIM_400000_NS6detail17trampoline_kernelINS0_14default_configENS1_25partition_config_selectorILNS1_17partition_subalgoE9EllbEEZZNS1_14partition_implILS5_9ELb0ES3_jPlS8_PNS0_10empty_typeENS0_5tupleIJS8_S9_EEENSB_IJS8_SA_EEENS0_18inequality_wrapperIZN2at6native12_GLOBAL__N_124unique_dim_cuda_templateIdEESt5tupleIJNSF_6TensorESK_SK_EERKSK_lbbbEUlllE0_EEPmJS9_EEE10hipError_tPvRmT3_T4_T5_T6_T7_T9_mT8_P12ihipStream_tbDpT10_ENKUlT_T0_E_clISt17integral_constantIbLb0EES19_IbLb1EEEEDaS15_S16_EUlS15_E_NS1_11comp_targetILNS1_3genE8ELNS1_11target_archE1030ELNS1_3gpuE2ELNS1_3repE0EEENS1_30default_config_static_selectorELNS0_4arch9wavefront6targetE0EEEvT1_.numbered_sgpr, 0
	.set _ZN7rocprim17ROCPRIM_400000_NS6detail17trampoline_kernelINS0_14default_configENS1_25partition_config_selectorILNS1_17partition_subalgoE9EllbEEZZNS1_14partition_implILS5_9ELb0ES3_jPlS8_PNS0_10empty_typeENS0_5tupleIJS8_S9_EEENSB_IJS8_SA_EEENS0_18inequality_wrapperIZN2at6native12_GLOBAL__N_124unique_dim_cuda_templateIdEESt5tupleIJNSF_6TensorESK_SK_EERKSK_lbbbEUlllE0_EEPmJS9_EEE10hipError_tPvRmT3_T4_T5_T6_T7_T9_mT8_P12ihipStream_tbDpT10_ENKUlT_T0_E_clISt17integral_constantIbLb0EES19_IbLb1EEEEDaS15_S16_EUlS15_E_NS1_11comp_targetILNS1_3genE8ELNS1_11target_archE1030ELNS1_3gpuE2ELNS1_3repE0EEENS1_30default_config_static_selectorELNS0_4arch9wavefront6targetE0EEEvT1_.num_named_barrier, 0
	.set _ZN7rocprim17ROCPRIM_400000_NS6detail17trampoline_kernelINS0_14default_configENS1_25partition_config_selectorILNS1_17partition_subalgoE9EllbEEZZNS1_14partition_implILS5_9ELb0ES3_jPlS8_PNS0_10empty_typeENS0_5tupleIJS8_S9_EEENSB_IJS8_SA_EEENS0_18inequality_wrapperIZN2at6native12_GLOBAL__N_124unique_dim_cuda_templateIdEESt5tupleIJNSF_6TensorESK_SK_EERKSK_lbbbEUlllE0_EEPmJS9_EEE10hipError_tPvRmT3_T4_T5_T6_T7_T9_mT8_P12ihipStream_tbDpT10_ENKUlT_T0_E_clISt17integral_constantIbLb0EES19_IbLb1EEEEDaS15_S16_EUlS15_E_NS1_11comp_targetILNS1_3genE8ELNS1_11target_archE1030ELNS1_3gpuE2ELNS1_3repE0EEENS1_30default_config_static_selectorELNS0_4arch9wavefront6targetE0EEEvT1_.private_seg_size, 0
	.set _ZN7rocprim17ROCPRIM_400000_NS6detail17trampoline_kernelINS0_14default_configENS1_25partition_config_selectorILNS1_17partition_subalgoE9EllbEEZZNS1_14partition_implILS5_9ELb0ES3_jPlS8_PNS0_10empty_typeENS0_5tupleIJS8_S9_EEENSB_IJS8_SA_EEENS0_18inequality_wrapperIZN2at6native12_GLOBAL__N_124unique_dim_cuda_templateIdEESt5tupleIJNSF_6TensorESK_SK_EERKSK_lbbbEUlllE0_EEPmJS9_EEE10hipError_tPvRmT3_T4_T5_T6_T7_T9_mT8_P12ihipStream_tbDpT10_ENKUlT_T0_E_clISt17integral_constantIbLb0EES19_IbLb1EEEEDaS15_S16_EUlS15_E_NS1_11comp_targetILNS1_3genE8ELNS1_11target_archE1030ELNS1_3gpuE2ELNS1_3repE0EEENS1_30default_config_static_selectorELNS0_4arch9wavefront6targetE0EEEvT1_.uses_vcc, 0
	.set _ZN7rocprim17ROCPRIM_400000_NS6detail17trampoline_kernelINS0_14default_configENS1_25partition_config_selectorILNS1_17partition_subalgoE9EllbEEZZNS1_14partition_implILS5_9ELb0ES3_jPlS8_PNS0_10empty_typeENS0_5tupleIJS8_S9_EEENSB_IJS8_SA_EEENS0_18inequality_wrapperIZN2at6native12_GLOBAL__N_124unique_dim_cuda_templateIdEESt5tupleIJNSF_6TensorESK_SK_EERKSK_lbbbEUlllE0_EEPmJS9_EEE10hipError_tPvRmT3_T4_T5_T6_T7_T9_mT8_P12ihipStream_tbDpT10_ENKUlT_T0_E_clISt17integral_constantIbLb0EES19_IbLb1EEEEDaS15_S16_EUlS15_E_NS1_11comp_targetILNS1_3genE8ELNS1_11target_archE1030ELNS1_3gpuE2ELNS1_3repE0EEENS1_30default_config_static_selectorELNS0_4arch9wavefront6targetE0EEEvT1_.uses_flat_scratch, 0
	.set _ZN7rocprim17ROCPRIM_400000_NS6detail17trampoline_kernelINS0_14default_configENS1_25partition_config_selectorILNS1_17partition_subalgoE9EllbEEZZNS1_14partition_implILS5_9ELb0ES3_jPlS8_PNS0_10empty_typeENS0_5tupleIJS8_S9_EEENSB_IJS8_SA_EEENS0_18inequality_wrapperIZN2at6native12_GLOBAL__N_124unique_dim_cuda_templateIdEESt5tupleIJNSF_6TensorESK_SK_EERKSK_lbbbEUlllE0_EEPmJS9_EEE10hipError_tPvRmT3_T4_T5_T6_T7_T9_mT8_P12ihipStream_tbDpT10_ENKUlT_T0_E_clISt17integral_constantIbLb0EES19_IbLb1EEEEDaS15_S16_EUlS15_E_NS1_11comp_targetILNS1_3genE8ELNS1_11target_archE1030ELNS1_3gpuE2ELNS1_3repE0EEENS1_30default_config_static_selectorELNS0_4arch9wavefront6targetE0EEEvT1_.has_dyn_sized_stack, 0
	.set _ZN7rocprim17ROCPRIM_400000_NS6detail17trampoline_kernelINS0_14default_configENS1_25partition_config_selectorILNS1_17partition_subalgoE9EllbEEZZNS1_14partition_implILS5_9ELb0ES3_jPlS8_PNS0_10empty_typeENS0_5tupleIJS8_S9_EEENSB_IJS8_SA_EEENS0_18inequality_wrapperIZN2at6native12_GLOBAL__N_124unique_dim_cuda_templateIdEESt5tupleIJNSF_6TensorESK_SK_EERKSK_lbbbEUlllE0_EEPmJS9_EEE10hipError_tPvRmT3_T4_T5_T6_T7_T9_mT8_P12ihipStream_tbDpT10_ENKUlT_T0_E_clISt17integral_constantIbLb0EES19_IbLb1EEEEDaS15_S16_EUlS15_E_NS1_11comp_targetILNS1_3genE8ELNS1_11target_archE1030ELNS1_3gpuE2ELNS1_3repE0EEENS1_30default_config_static_selectorELNS0_4arch9wavefront6targetE0EEEvT1_.has_recursion, 0
	.set _ZN7rocprim17ROCPRIM_400000_NS6detail17trampoline_kernelINS0_14default_configENS1_25partition_config_selectorILNS1_17partition_subalgoE9EllbEEZZNS1_14partition_implILS5_9ELb0ES3_jPlS8_PNS0_10empty_typeENS0_5tupleIJS8_S9_EEENSB_IJS8_SA_EEENS0_18inequality_wrapperIZN2at6native12_GLOBAL__N_124unique_dim_cuda_templateIdEESt5tupleIJNSF_6TensorESK_SK_EERKSK_lbbbEUlllE0_EEPmJS9_EEE10hipError_tPvRmT3_T4_T5_T6_T7_T9_mT8_P12ihipStream_tbDpT10_ENKUlT_T0_E_clISt17integral_constantIbLb0EES19_IbLb1EEEEDaS15_S16_EUlS15_E_NS1_11comp_targetILNS1_3genE8ELNS1_11target_archE1030ELNS1_3gpuE2ELNS1_3repE0EEENS1_30default_config_static_selectorELNS0_4arch9wavefront6targetE0EEEvT1_.has_indirect_call, 0
	.section	.AMDGPU.csdata,"",@progbits
; Kernel info:
; codeLenInByte = 0
; TotalNumSgprs: 0
; NumVgprs: 0
; ScratchSize: 0
; MemoryBound: 0
; FloatMode: 240
; IeeeMode: 1
; LDSByteSize: 0 bytes/workgroup (compile time only)
; SGPRBlocks: 0
; VGPRBlocks: 0
; NumSGPRsForWavesPerEU: 1
; NumVGPRsForWavesPerEU: 1
; NamedBarCnt: 0
; Occupancy: 16
; WaveLimiterHint : 0
; COMPUTE_PGM_RSRC2:SCRATCH_EN: 0
; COMPUTE_PGM_RSRC2:USER_SGPR: 2
; COMPUTE_PGM_RSRC2:TRAP_HANDLER: 0
; COMPUTE_PGM_RSRC2:TGID_X_EN: 1
; COMPUTE_PGM_RSRC2:TGID_Y_EN: 0
; COMPUTE_PGM_RSRC2:TGID_Z_EN: 0
; COMPUTE_PGM_RSRC2:TIDIG_COMP_CNT: 0
	.section	.text._ZN7rocprim17ROCPRIM_400000_NS6detail17trampoline_kernelINS0_14default_configENS1_37merge_sort_block_sort_config_selectorIlNS0_10empty_typeEEEZNS1_21merge_sort_block_sortIS3_PlS8_PS5_S9_ZN2at6native12_GLOBAL__N_124unique_dim_cuda_templateIfEESt5tupleIJNSA_6TensorESF_SF_EERKSF_lbbbEUlllE_EE10hipError_tT0_T1_T2_T3_mRjT4_P12ihipStream_tbNS1_7vsmem_tEEUlT_E_NS1_11comp_targetILNS1_3genE0ELNS1_11target_archE4294967295ELNS1_3gpuE0ELNS1_3repE0EEENS1_30default_config_static_selectorELNS0_4arch9wavefront6targetE0EEEvSM_,"axG",@progbits,_ZN7rocprim17ROCPRIM_400000_NS6detail17trampoline_kernelINS0_14default_configENS1_37merge_sort_block_sort_config_selectorIlNS0_10empty_typeEEEZNS1_21merge_sort_block_sortIS3_PlS8_PS5_S9_ZN2at6native12_GLOBAL__N_124unique_dim_cuda_templateIfEESt5tupleIJNSA_6TensorESF_SF_EERKSF_lbbbEUlllE_EE10hipError_tT0_T1_T2_T3_mRjT4_P12ihipStream_tbNS1_7vsmem_tEEUlT_E_NS1_11comp_targetILNS1_3genE0ELNS1_11target_archE4294967295ELNS1_3gpuE0ELNS1_3repE0EEENS1_30default_config_static_selectorELNS0_4arch9wavefront6targetE0EEEvSM_,comdat
	.globl	_ZN7rocprim17ROCPRIM_400000_NS6detail17trampoline_kernelINS0_14default_configENS1_37merge_sort_block_sort_config_selectorIlNS0_10empty_typeEEEZNS1_21merge_sort_block_sortIS3_PlS8_PS5_S9_ZN2at6native12_GLOBAL__N_124unique_dim_cuda_templateIfEESt5tupleIJNSA_6TensorESF_SF_EERKSF_lbbbEUlllE_EE10hipError_tT0_T1_T2_T3_mRjT4_P12ihipStream_tbNS1_7vsmem_tEEUlT_E_NS1_11comp_targetILNS1_3genE0ELNS1_11target_archE4294967295ELNS1_3gpuE0ELNS1_3repE0EEENS1_30default_config_static_selectorELNS0_4arch9wavefront6targetE0EEEvSM_ ; -- Begin function _ZN7rocprim17ROCPRIM_400000_NS6detail17trampoline_kernelINS0_14default_configENS1_37merge_sort_block_sort_config_selectorIlNS0_10empty_typeEEEZNS1_21merge_sort_block_sortIS3_PlS8_PS5_S9_ZN2at6native12_GLOBAL__N_124unique_dim_cuda_templateIfEESt5tupleIJNSA_6TensorESF_SF_EERKSF_lbbbEUlllE_EE10hipError_tT0_T1_T2_T3_mRjT4_P12ihipStream_tbNS1_7vsmem_tEEUlT_E_NS1_11comp_targetILNS1_3genE0ELNS1_11target_archE4294967295ELNS1_3gpuE0ELNS1_3repE0EEENS1_30default_config_static_selectorELNS0_4arch9wavefront6targetE0EEEvSM_
	.p2align	8
	.type	_ZN7rocprim17ROCPRIM_400000_NS6detail17trampoline_kernelINS0_14default_configENS1_37merge_sort_block_sort_config_selectorIlNS0_10empty_typeEEEZNS1_21merge_sort_block_sortIS3_PlS8_PS5_S9_ZN2at6native12_GLOBAL__N_124unique_dim_cuda_templateIfEESt5tupleIJNSA_6TensorESF_SF_EERKSF_lbbbEUlllE_EE10hipError_tT0_T1_T2_T3_mRjT4_P12ihipStream_tbNS1_7vsmem_tEEUlT_E_NS1_11comp_targetILNS1_3genE0ELNS1_11target_archE4294967295ELNS1_3gpuE0ELNS1_3repE0EEENS1_30default_config_static_selectorELNS0_4arch9wavefront6targetE0EEEvSM_,@function
_ZN7rocprim17ROCPRIM_400000_NS6detail17trampoline_kernelINS0_14default_configENS1_37merge_sort_block_sort_config_selectorIlNS0_10empty_typeEEEZNS1_21merge_sort_block_sortIS3_PlS8_PS5_S9_ZN2at6native12_GLOBAL__N_124unique_dim_cuda_templateIfEESt5tupleIJNSA_6TensorESF_SF_EERKSF_lbbbEUlllE_EE10hipError_tT0_T1_T2_T3_mRjT4_P12ihipStream_tbNS1_7vsmem_tEEUlT_E_NS1_11comp_targetILNS1_3genE0ELNS1_11target_archE4294967295ELNS1_3gpuE0ELNS1_3repE0EEENS1_30default_config_static_selectorELNS0_4arch9wavefront6targetE0EEEvSM_: ; @_ZN7rocprim17ROCPRIM_400000_NS6detail17trampoline_kernelINS0_14default_configENS1_37merge_sort_block_sort_config_selectorIlNS0_10empty_typeEEEZNS1_21merge_sort_block_sortIS3_PlS8_PS5_S9_ZN2at6native12_GLOBAL__N_124unique_dim_cuda_templateIfEESt5tupleIJNSA_6TensorESF_SF_EERKSF_lbbbEUlllE_EE10hipError_tT0_T1_T2_T3_mRjT4_P12ihipStream_tbNS1_7vsmem_tEEUlT_E_NS1_11comp_targetILNS1_3genE0ELNS1_11target_archE4294967295ELNS1_3gpuE0ELNS1_3repE0EEENS1_30default_config_static_selectorELNS0_4arch9wavefront6targetE0EEEvSM_
; %bb.0:
	s_clause 0x1
	s_load_b32 s4, s[0:1], 0x0
	s_load_b64 s[8:9], s[0:1], 0x48
	s_bfe_u32 s2, ttmp6, 0x40010
	s_and_b32 s3, ttmp7, 0xffff
	s_add_co_i32 s2, s2, 1
	s_bfe_u32 s6, ttmp6, 0x4000c
	s_mul_i32 s2, s3, s2
	s_bfe_u32 s5, ttmp6, 0x40004
	s_add_co_i32 s6, s6, 1
	s_bfe_u32 s7, ttmp6, 0x40014
	s_add_co_i32 s5, s5, s2
	s_and_b32 s2, ttmp6, 15
	s_mul_i32 s6, ttmp9, s6
	s_lshr_b32 s10, ttmp7, 16
	s_add_co_i32 s7, s7, 1
	s_add_co_i32 s2, s2, s6
	s_mul_i32 s6, s10, s7
	s_bfe_u32 s7, ttmp6, 0x40008
	s_getreg_b32 s11, hwreg(HW_REG_IB_STS2, 6, 4)
	s_add_co_i32 s7, s7, s6
	s_cmp_eq_u32 s11, 0
	s_cselect_b32 s6, s10, s7
	s_cselect_b32 s3, s3, s5
	s_wait_kmcnt 0x0
	s_mul_i32 s6, s9, s6
	s_cselect_b32 s9, ttmp9, s2
	s_add_co_i32 s2, s6, s3
	s_mov_b32 s3, 0
	s_mul_i32 s2, s2, s8
	s_delay_alu instid0(SALU_CYCLE_1) | instskip(NEXT) | instid1(SALU_CYCLE_1)
	s_add_co_i32 s2, s2, s9
	s_cmp_ge_u32 s2, s4
	s_cbranch_scc1 .LBB871_1229
; %bb.1:
	s_clause 0x2
	s_load_b64 s[4:5], s[0:1], 0x8
	s_load_b128 s[20:23], s[0:1], 0x18
	s_load_b128 s[12:15], s[0:1], 0x38
	v_and_b32_e32 v18, 0x3ff, v0
	s_add_nc_u64 s[16:17], s[0:1], 0x48
	s_wait_xcnt 0x0
	s_lshl_b64 s[0:1], s[2:3], 14
	s_wait_kmcnt 0x0
	s_lshr_b64 s[6:7], s[4:5], 11
	s_add_nc_u64 s[18:19], s[20:21], s[0:1]
	s_cmp_lg_u64 s[6:7], s[2:3]
	s_add_nc_u64 s[10:11], s[22:23], s[0:1]
	s_cbranch_scc0 .LBB871_8
; %bb.2:
	s_clause 0x7
	global_load_b64 v[2:3], v18, s[18:19] scale_offset
	global_load_b64 v[4:5], v18, s[18:19] offset:2048 scale_offset
	global_load_b64 v[6:7], v18, s[18:19] offset:4096 scale_offset
	global_load_b64 v[8:9], v18, s[18:19] offset:6144 scale_offset
	global_load_b64 v[10:11], v18, s[18:19] offset:8192 scale_offset
	global_load_b64 v[12:13], v18, s[18:19] offset:10240 scale_offset
	global_load_b64 v[14:15], v18, s[18:19] offset:12288 scale_offset
	global_load_b64 v[16:17], v18, s[18:19] offset:14336 scale_offset
	v_dual_lshrrev_b32 v19, 2, v18 :: v_dual_lshlrev_b32 v1, 3, v18
	v_add_nc_u32_e32 v20, 0x100, v18
	v_add_nc_u32_e32 v21, 0x200, v18
	;; [unrolled: 1-line block ×3, first 2 shown]
	v_or_b32_e32 v23, 0x400, v18
	v_add_nc_u32_e32 v24, 0x500, v18
	v_add_nc_u32_e32 v25, 0x600, v18
	;; [unrolled: 1-line block ×3, first 2 shown]
	v_dual_lshlrev_b32 v27, 1, v18 :: v_dual_lshrrev_b32 v20, 2, v20
	v_and_b32_e32 v19, 0xf8, v19
	v_dual_lshrrev_b32 v21, 2, v21 :: v_dual_lshrrev_b32 v22, 2, v22
	v_dual_lshrrev_b32 v23, 2, v23 :: v_dual_lshrrev_b32 v24, 2, v24
	;; [unrolled: 1-line block ×3, first 2 shown]
	v_and_b32_e32 v27, 0x7f8, v27
	v_add_nc_u32_e32 v36, v19, v1
	v_and_b32_e32 v19, 0x1f8, v20
	v_and_b32_e32 v20, 0x1f8, v21
	v_and_b32_e32 v21, 0x1f8, v22
	v_and_b32_e32 v22, 0x1f8, v23
	v_and_b32_e32 v23, 0x3f8, v24
	v_and_b32_e32 v24, 0x3f8, v25
	v_and_b32_e32 v25, 0x3f8, v26
	v_lshl_add_u32 v44, v18, 6, v27
	v_dual_add_nc_u32 v37, v19, v1 :: v_dual_add_nc_u32 v38, v20, v1
	v_add_nc_u32_e32 v39, v21, v1
	s_cmp_lt_u32 s9, s8
	v_dual_add_nc_u32 v40, v22, v1 :: v_dual_add_nc_u32 v41, v23, v1
	v_dual_add_nc_u32 v42, v24, v1 :: v_dual_add_nc_u32 v43, v25, v1
	s_mov_b32 s1, 0
	s_cselect_b32 s0, 12, 18
	v_bfe_u32 v19, v0, 10, 10
	s_add_nc_u64 s[0:1], s[16:17], s[0:1]
	v_bfe_u32 v20, v0, 20, 10
	s_wait_loadcnt 0x7
	ds_store_b64 v36, v[2:3]
	s_wait_loadcnt 0x6
	ds_store_b64 v37, v[4:5] offset:2048
	s_wait_loadcnt 0x5
	ds_store_b64 v38, v[6:7] offset:4096
	;; [unrolled: 2-line block ×7, first 2 shown]
	s_wait_dscnt 0x0
	s_barrier_signal -1
	s_barrier_wait -1
	ds_load_2addr_b64 v[14:17], v44 offset1:1
	ds_load_2addr_b64 v[10:13], v44 offset0:2 offset1:3
	ds_load_2addr_b64 v[6:9], v44 offset0:4 offset1:5
	;; [unrolled: 1-line block ×3, first 2 shown]
	s_wait_dscnt 0x0
	s_barrier_signal -1
	s_barrier_wait -1
	s_clause 0x1
	s_load_u16 s5, s[16:17], 0xe
	s_nop 0
	s_load_u16 s0, s[0:1], 0x0
	s_wait_xcnt 0x0
	s_mov_b32 s1, exec_lo
	s_wait_kmcnt 0x0
	v_mad_u32_u24 v19, v20, s5, v19
	v_cmp_gt_i64_e64 s5, s[12:13], 0
	s_delay_alu instid0(VALU_DEP_2) | instskip(NEXT) | instid1(VALU_DEP_2)
	v_mul_lo_u32 v19, v19, s0
	v_cndmask_b32_e64 v45, 0, 1, s5
	s_delay_alu instid0(VALU_DEP_2) | instskip(SKIP_1) | instid1(VALU_DEP_2)
	v_add_lshl_u32 v24, v19, v18, 3
	v_mov_b32_e32 v19, 0
	v_cmpx_gt_u32_e32 0x800, v24
	s_cbranch_execz .LBB871_190
; %bb.3:
	s_and_not1_b32 vcc_lo, exec_lo, s5
	s_cbranch_vccnz .LBB871_18
; %bb.4:
	v_mul_u64_e32 v[20:21], s[12:13], v[16:17]
	v_mul_u64_e32 v[22:23], s[12:13], v[14:15]
	s_mov_b32 s21, 0
	s_mov_b64 s[6:7], s[12:13]
                                        ; implicit-def: $sgpr20
                                        ; implicit-def: $sgpr22
                                        ; implicit-def: $sgpr24
                                        ; implicit-def: $sgpr23
                                        ; implicit-def: $sgpr25
	s_delay_alu instid0(VALU_DEP_2) | instskip(NEXT) | instid1(VALU_DEP_2)
	v_lshl_add_u64 v[20:21], v[20:21], 2, s[14:15]
	v_lshl_add_u64 v[22:23], v[22:23], 2, s[14:15]
	s_branch .LBB871_6
.LBB871_5:                              ;   in Loop: Header=BB871_6 Depth=1
	s_or_b32 exec_lo, exec_lo, s26
	s_and_b32 s0, s0, s25
	s_delay_alu instid0(SALU_CYCLE_1) | instskip(SKIP_1) | instid1(SALU_CYCLE_1)
	s_or_b32 s0, vcc_lo, s0
	s_and_b32 s26, exec_lo, s24
	s_or_b32 s21, s26, s21
	s_and_not1_b32 s25, s25, exec_lo
	s_and_b32 s0, s0, exec_lo
	s_and_not1_b32 s22, s22, exec_lo
	s_and_b32 s26, s23, exec_lo
	s_and_not1_b32 s20, s20, exec_lo
	s_or_b32 s25, s25, s0
	s_or_b32 s22, s22, s26
	s_or_b32 s20, s20, s0
	s_and_not1_b32 exec_lo, exec_lo, s21
	s_cbranch_execz .LBB871_9
.LBB871_6:                              ; =>This Inner Loop Header: Depth=1
	global_load_b32 v25, v[20:21], off
	global_load_b32 v26, v[22:23], off
	s_or_b32 s23, s23, exec_lo
	s_or_b32 s24, s24, exec_lo
	s_wait_loadcnt 0x0
	v_cmp_lt_f32_e32 vcc_lo, v25, v26
	v_cmp_ngt_f32_e64 s0, v25, v26
	s_xor_b32 s27, vcc_lo, s0
	s_delay_alu instid0(SALU_CYCLE_1)
	s_and_saveexec_b32 s26, s27
	s_cbranch_execz .LBB871_5
; %bb.7:                                ;   in Loop: Header=BB871_6 Depth=1
	s_add_nc_u64 s[6:7], s[6:7], -1
	v_add_nc_u64_e32 v[20:21], 4, v[20:21]
	s_cmp_eq_u64 s[6:7], 0
	v_add_nc_u64_e32 v[22:23], 4, v[22:23]
	s_cselect_b32 s27, -1, 0
	s_and_not1_b32 s24, s24, exec_lo
	s_and_b32 s27, s27, exec_lo
	s_and_not1_b32 s23, s23, exec_lo
	s_or_b32 s24, s24, s27
	s_branch .LBB871_5
.LBB871_8:
	s_mov_b32 s20, s3
                                        ; implicit-def: $vgpr2_vgpr3
	s_cbranch_execnz .LBB871_585
	s_branch .LBB871_1227
.LBB871_9:
	s_or_b32 exec_lo, exec_lo, s21
	s_and_saveexec_b32 s0, s22
	s_delay_alu instid0(SALU_CYCLE_1)
	s_xor_b32 s0, exec_lo, s0
; %bb.10:
	v_dual_cndmask_b32 v21, v17, v15, s20 :: v_dual_cndmask_b32 v20, v16, v14, s20
	v_dual_cndmask_b32 v15, v15, v17, s20 :: v_dual_cndmask_b32 v14, v14, v16, s20
	s_delay_alu instid0(VALU_DEP_2)
	v_mov_b64_e32 v[16:17], v[20:21]
; %bb.11:
	s_or_b32 exec_lo, exec_lo, s0
	v_mul_u64_e32 v[20:21], s[12:13], v[12:13]
	v_mul_u64_e32 v[22:23], s[12:13], v[10:11]
	s_mov_b32 s21, 0
	s_mov_b64 s[6:7], s[12:13]
                                        ; implicit-def: $sgpr20
                                        ; implicit-def: $sgpr22
                                        ; implicit-def: $sgpr24
                                        ; implicit-def: $sgpr23
                                        ; implicit-def: $sgpr25
	s_delay_alu instid0(VALU_DEP_2) | instskip(NEXT) | instid1(VALU_DEP_2)
	v_lshl_add_u64 v[20:21], v[20:21], 2, s[14:15]
	v_lshl_add_u64 v[22:23], v[22:23], 2, s[14:15]
	s_branch .LBB871_13
.LBB871_12:                             ;   in Loop: Header=BB871_13 Depth=1
	s_or_b32 exec_lo, exec_lo, s26
	s_and_b32 s0, s0, s25
	s_delay_alu instid0(SALU_CYCLE_1) | instskip(SKIP_1) | instid1(SALU_CYCLE_1)
	s_or_b32 s0, vcc_lo, s0
	s_and_b32 s26, exec_lo, s24
	s_or_b32 s21, s26, s21
	s_and_not1_b32 s25, s25, exec_lo
	s_and_b32 s0, s0, exec_lo
	s_and_not1_b32 s22, s22, exec_lo
	s_and_b32 s26, s23, exec_lo
	s_and_not1_b32 s20, s20, exec_lo
	s_or_b32 s25, s25, s0
	s_or_b32 s22, s22, s26
	;; [unrolled: 1-line block ×3, first 2 shown]
	s_and_not1_b32 exec_lo, exec_lo, s21
	s_cbranch_execz .LBB871_15
.LBB871_13:                             ; =>This Inner Loop Header: Depth=1
	global_load_b32 v25, v[20:21], off
	global_load_b32 v26, v[22:23], off
	s_or_b32 s23, s23, exec_lo
	s_or_b32 s24, s24, exec_lo
	s_wait_loadcnt 0x0
	v_cmp_lt_f32_e32 vcc_lo, v25, v26
	v_cmp_ngt_f32_e64 s0, v25, v26
	s_xor_b32 s27, vcc_lo, s0
	s_delay_alu instid0(SALU_CYCLE_1)
	s_and_saveexec_b32 s26, s27
	s_cbranch_execz .LBB871_12
; %bb.14:                               ;   in Loop: Header=BB871_13 Depth=1
	s_add_nc_u64 s[6:7], s[6:7], -1
	v_add_nc_u64_e32 v[20:21], 4, v[20:21]
	s_cmp_eq_u64 s[6:7], 0
	v_add_nc_u64_e32 v[22:23], 4, v[22:23]
	s_cselect_b32 s27, -1, 0
	s_and_not1_b32 s24, s24, exec_lo
	s_and_b32 s27, s27, exec_lo
	s_and_not1_b32 s23, s23, exec_lo
	s_or_b32 s24, s24, s27
	s_branch .LBB871_12
.LBB871_15:
	s_or_b32 exec_lo, exec_lo, s21
	s_and_saveexec_b32 s0, s22
	s_delay_alu instid0(SALU_CYCLE_1)
	s_xor_b32 s0, exec_lo, s0
; %bb.16:
	v_dual_cndmask_b32 v21, v11, v13, s20 :: v_dual_cndmask_b32 v20, v10, v12, s20
	v_dual_cndmask_b32 v13, v13, v11, s20 :: v_dual_cndmask_b32 v12, v12, v10, s20
	s_delay_alu instid0(VALU_DEP_2)
	v_mov_b64_e32 v[10:11], v[20:21]
; %bb.17:
	s_or_b32 exec_lo, exec_lo, s0
.LBB871_18:
	s_delay_alu instid0(SALU_CYCLE_1)
	s_and_not1_b32 vcc_lo, exec_lo, s5
	s_cbranch_vccnz .LBB871_32
; %bb.19:
	v_mul_u64_e32 v[20:21], s[12:13], v[8:9]
	v_mul_u64_e32 v[22:23], s[12:13], v[6:7]
	s_mov_b32 s21, 0
	s_mov_b64 s[6:7], s[12:13]
                                        ; implicit-def: $sgpr20
                                        ; implicit-def: $sgpr22
                                        ; implicit-def: $sgpr24
                                        ; implicit-def: $sgpr23
                                        ; implicit-def: $sgpr25
	s_delay_alu instid0(VALU_DEP_2) | instskip(NEXT) | instid1(VALU_DEP_2)
	v_lshl_add_u64 v[20:21], v[20:21], 2, s[14:15]
	v_lshl_add_u64 v[22:23], v[22:23], 2, s[14:15]
	s_branch .LBB871_21
.LBB871_20:                             ;   in Loop: Header=BB871_21 Depth=1
	s_or_b32 exec_lo, exec_lo, s26
	s_and_b32 s0, s0, s25
	s_delay_alu instid0(SALU_CYCLE_1) | instskip(SKIP_1) | instid1(SALU_CYCLE_1)
	s_or_b32 s0, vcc_lo, s0
	s_and_b32 s26, exec_lo, s24
	s_or_b32 s21, s26, s21
	s_and_not1_b32 s25, s25, exec_lo
	s_and_b32 s0, s0, exec_lo
	s_and_not1_b32 s22, s22, exec_lo
	s_and_b32 s26, s23, exec_lo
	s_and_not1_b32 s20, s20, exec_lo
	s_or_b32 s25, s25, s0
	s_or_b32 s22, s22, s26
	;; [unrolled: 1-line block ×3, first 2 shown]
	s_and_not1_b32 exec_lo, exec_lo, s21
	s_cbranch_execz .LBB871_23
.LBB871_21:                             ; =>This Inner Loop Header: Depth=1
	global_load_b32 v25, v[20:21], off
	global_load_b32 v26, v[22:23], off
	s_or_b32 s23, s23, exec_lo
	s_or_b32 s24, s24, exec_lo
	s_wait_loadcnt 0x0
	v_cmp_lt_f32_e32 vcc_lo, v25, v26
	v_cmp_ngt_f32_e64 s0, v25, v26
	s_xor_b32 s27, vcc_lo, s0
	s_delay_alu instid0(SALU_CYCLE_1)
	s_and_saveexec_b32 s26, s27
	s_cbranch_execz .LBB871_20
; %bb.22:                               ;   in Loop: Header=BB871_21 Depth=1
	s_add_nc_u64 s[6:7], s[6:7], -1
	v_add_nc_u64_e32 v[20:21], 4, v[20:21]
	s_cmp_eq_u64 s[6:7], 0
	v_add_nc_u64_e32 v[22:23], 4, v[22:23]
	s_cselect_b32 s27, -1, 0
	s_and_not1_b32 s24, s24, exec_lo
	s_and_b32 s27, s27, exec_lo
	s_and_not1_b32 s23, s23, exec_lo
	s_or_b32 s24, s24, s27
	s_branch .LBB871_20
.LBB871_23:
	s_or_b32 exec_lo, exec_lo, s21
	s_and_saveexec_b32 s0, s22
	s_delay_alu instid0(SALU_CYCLE_1)
	s_xor_b32 s0, exec_lo, s0
; %bb.24:
	v_dual_cndmask_b32 v21, v7, v9, s20 :: v_dual_cndmask_b32 v20, v6, v8, s20
	v_dual_cndmask_b32 v9, v9, v7, s20 :: v_dual_cndmask_b32 v8, v8, v6, s20
	s_delay_alu instid0(VALU_DEP_2)
	v_mov_b64_e32 v[6:7], v[20:21]
; %bb.25:
	s_or_b32 exec_lo, exec_lo, s0
	v_mul_u64_e32 v[20:21], s[12:13], v[4:5]
	v_mul_u64_e32 v[22:23], s[12:13], v[2:3]
	s_mov_b32 s21, 0
	s_mov_b64 s[6:7], s[12:13]
                                        ; implicit-def: $sgpr20
                                        ; implicit-def: $sgpr22
                                        ; implicit-def: $sgpr24
                                        ; implicit-def: $sgpr23
                                        ; implicit-def: $sgpr25
	s_delay_alu instid0(VALU_DEP_2) | instskip(NEXT) | instid1(VALU_DEP_2)
	v_lshl_add_u64 v[20:21], v[20:21], 2, s[14:15]
	v_lshl_add_u64 v[22:23], v[22:23], 2, s[14:15]
	s_branch .LBB871_27
.LBB871_26:                             ;   in Loop: Header=BB871_27 Depth=1
	s_or_b32 exec_lo, exec_lo, s26
	s_and_b32 s0, s0, s25
	s_delay_alu instid0(SALU_CYCLE_1) | instskip(SKIP_1) | instid1(SALU_CYCLE_1)
	s_or_b32 s0, vcc_lo, s0
	s_and_b32 s26, exec_lo, s24
	s_or_b32 s21, s26, s21
	s_and_not1_b32 s25, s25, exec_lo
	s_and_b32 s0, s0, exec_lo
	s_and_not1_b32 s22, s22, exec_lo
	s_and_b32 s26, s23, exec_lo
	s_and_not1_b32 s20, s20, exec_lo
	s_or_b32 s25, s25, s0
	s_or_b32 s22, s22, s26
	;; [unrolled: 1-line block ×3, first 2 shown]
	s_and_not1_b32 exec_lo, exec_lo, s21
	s_cbranch_execz .LBB871_29
.LBB871_27:                             ; =>This Inner Loop Header: Depth=1
	global_load_b32 v25, v[20:21], off
	global_load_b32 v26, v[22:23], off
	s_or_b32 s23, s23, exec_lo
	s_or_b32 s24, s24, exec_lo
	s_wait_loadcnt 0x0
	v_cmp_lt_f32_e32 vcc_lo, v25, v26
	v_cmp_ngt_f32_e64 s0, v25, v26
	s_xor_b32 s27, vcc_lo, s0
	s_delay_alu instid0(SALU_CYCLE_1)
	s_and_saveexec_b32 s26, s27
	s_cbranch_execz .LBB871_26
; %bb.28:                               ;   in Loop: Header=BB871_27 Depth=1
	s_add_nc_u64 s[6:7], s[6:7], -1
	v_add_nc_u64_e32 v[20:21], 4, v[20:21]
	s_cmp_eq_u64 s[6:7], 0
	v_add_nc_u64_e32 v[22:23], 4, v[22:23]
	s_cselect_b32 s27, -1, 0
	s_and_not1_b32 s24, s24, exec_lo
	s_and_b32 s27, s27, exec_lo
	s_and_not1_b32 s23, s23, exec_lo
	s_or_b32 s24, s24, s27
	s_branch .LBB871_26
.LBB871_29:
	s_or_b32 exec_lo, exec_lo, s21
	s_and_saveexec_b32 s0, s22
	s_delay_alu instid0(SALU_CYCLE_1)
	s_xor_b32 s0, exec_lo, s0
; %bb.30:
	v_dual_cndmask_b32 v21, v3, v5, s20 :: v_dual_cndmask_b32 v20, v2, v4, s20
	v_dual_cndmask_b32 v5, v5, v3, s20 :: v_dual_cndmask_b32 v4, v4, v2, s20
	s_delay_alu instid0(VALU_DEP_2)
	v_mov_b64_e32 v[2:3], v[20:21]
; %bb.31:
	s_or_b32 exec_lo, exec_lo, s0
.LBB871_32:
	s_delay_alu instid0(SALU_CYCLE_1)
	s_and_b32 vcc_lo, exec_lo, s5
	s_cbranch_vccz .LBB871_46
; %bb.33:
	s_delay_alu instid0(VALU_DEP_1) | instskip(SKIP_3) | instid1(VALU_DEP_2)
	v_mul_u64_e32 v[20:21], s[12:13], v[10:11]
	v_mul_u64_e32 v[22:23], s[12:13], v[16:17]
	s_mov_b32 s20, 0
	s_mov_b64 s[6:7], s[12:13]
                                        ; implicit-def: $sgpr5
                                        ; implicit-def: $sgpr21
                                        ; implicit-def: $sgpr23
                                        ; implicit-def: $sgpr22
                                        ; implicit-def: $sgpr24
	v_lshl_add_u64 v[20:21], v[20:21], 2, s[14:15]
	s_delay_alu instid0(VALU_DEP_2)
	v_lshl_add_u64 v[22:23], v[22:23], 2, s[14:15]
	s_branch .LBB871_35
.LBB871_34:                             ;   in Loop: Header=BB871_35 Depth=1
	s_or_b32 exec_lo, exec_lo, s25
	s_and_b32 s0, s0, s24
	s_delay_alu instid0(SALU_CYCLE_1) | instskip(SKIP_1) | instid1(SALU_CYCLE_1)
	s_or_b32 s0, vcc_lo, s0
	s_and_b32 s25, exec_lo, s23
	s_or_b32 s20, s25, s20
	s_and_not1_b32 s24, s24, exec_lo
	s_and_b32 s0, s0, exec_lo
	s_and_not1_b32 s21, s21, exec_lo
	s_and_b32 s25, s22, exec_lo
	s_and_not1_b32 s5, s5, exec_lo
	s_or_b32 s24, s24, s0
	s_or_b32 s21, s21, s25
	;; [unrolled: 1-line block ×3, first 2 shown]
	s_and_not1_b32 exec_lo, exec_lo, s20
	s_cbranch_execz .LBB871_37
.LBB871_35:                             ; =>This Inner Loop Header: Depth=1
	global_load_b32 v25, v[20:21], off
	global_load_b32 v26, v[22:23], off
	s_or_b32 s22, s22, exec_lo
	s_or_b32 s23, s23, exec_lo
	s_wait_loadcnt 0x0
	v_cmp_lt_f32_e32 vcc_lo, v25, v26
	v_cmp_ngt_f32_e64 s0, v25, v26
	s_xor_b32 s26, vcc_lo, s0
	s_delay_alu instid0(SALU_CYCLE_1)
	s_and_saveexec_b32 s25, s26
	s_cbranch_execz .LBB871_34
; %bb.36:                               ;   in Loop: Header=BB871_35 Depth=1
	s_add_nc_u64 s[6:7], s[6:7], -1
	v_add_nc_u64_e32 v[20:21], 4, v[20:21]
	s_cmp_eq_u64 s[6:7], 0
	v_add_nc_u64_e32 v[22:23], 4, v[22:23]
	s_cselect_b32 s26, -1, 0
	s_and_not1_b32 s23, s23, exec_lo
	s_and_b32 s26, s26, exec_lo
	s_and_not1_b32 s22, s22, exec_lo
	s_or_b32 s23, s23, s26
	s_branch .LBB871_34
.LBB871_37:
	s_or_b32 exec_lo, exec_lo, s20
	s_and_saveexec_b32 s0, s21
	s_delay_alu instid0(SALU_CYCLE_1)
	s_xor_b32 s0, exec_lo, s0
; %bb.38:
	v_dual_cndmask_b32 v21, v17, v11, s5 :: v_dual_cndmask_b32 v20, v16, v10, s5
	v_dual_cndmask_b32 v11, v11, v17, s5 :: v_dual_cndmask_b32 v10, v10, v16, s5
	s_delay_alu instid0(VALU_DEP_2)
	v_mov_b64_e32 v[16:17], v[20:21]
; %bb.39:
	s_or_b32 exec_lo, exec_lo, s0
	v_mul_u64_e32 v[20:21], s[12:13], v[6:7]
	v_mul_u64_e32 v[22:23], s[12:13], v[12:13]
	s_mov_b32 s20, 0
	s_mov_b64 s[6:7], s[12:13]
                                        ; implicit-def: $sgpr5
                                        ; implicit-def: $sgpr21
                                        ; implicit-def: $sgpr23
                                        ; implicit-def: $sgpr22
                                        ; implicit-def: $sgpr24
	s_delay_alu instid0(VALU_DEP_2) | instskip(NEXT) | instid1(VALU_DEP_2)
	v_lshl_add_u64 v[20:21], v[20:21], 2, s[14:15]
	v_lshl_add_u64 v[22:23], v[22:23], 2, s[14:15]
	s_branch .LBB871_41
.LBB871_40:                             ;   in Loop: Header=BB871_41 Depth=1
	s_or_b32 exec_lo, exec_lo, s25
	s_and_b32 s0, s0, s24
	s_delay_alu instid0(SALU_CYCLE_1) | instskip(SKIP_1) | instid1(SALU_CYCLE_1)
	s_or_b32 s0, vcc_lo, s0
	s_and_b32 s25, exec_lo, s23
	s_or_b32 s20, s25, s20
	s_and_not1_b32 s24, s24, exec_lo
	s_and_b32 s0, s0, exec_lo
	s_and_not1_b32 s21, s21, exec_lo
	s_and_b32 s25, s22, exec_lo
	s_and_not1_b32 s5, s5, exec_lo
	s_or_b32 s24, s24, s0
	s_or_b32 s21, s21, s25
	;; [unrolled: 1-line block ×3, first 2 shown]
	s_and_not1_b32 exec_lo, exec_lo, s20
	s_cbranch_execz .LBB871_43
.LBB871_41:                             ; =>This Inner Loop Header: Depth=1
	global_load_b32 v25, v[20:21], off
	global_load_b32 v26, v[22:23], off
	s_or_b32 s22, s22, exec_lo
	s_or_b32 s23, s23, exec_lo
	s_wait_loadcnt 0x0
	v_cmp_lt_f32_e32 vcc_lo, v25, v26
	v_cmp_ngt_f32_e64 s0, v25, v26
	s_xor_b32 s26, vcc_lo, s0
	s_delay_alu instid0(SALU_CYCLE_1)
	s_and_saveexec_b32 s25, s26
	s_cbranch_execz .LBB871_40
; %bb.42:                               ;   in Loop: Header=BB871_41 Depth=1
	s_add_nc_u64 s[6:7], s[6:7], -1
	v_add_nc_u64_e32 v[20:21], 4, v[20:21]
	s_cmp_eq_u64 s[6:7], 0
	v_add_nc_u64_e32 v[22:23], 4, v[22:23]
	s_cselect_b32 s26, -1, 0
	s_and_not1_b32 s23, s23, exec_lo
	s_and_b32 s26, s26, exec_lo
	s_and_not1_b32 s22, s22, exec_lo
	s_or_b32 s23, s23, s26
	s_branch .LBB871_40
.LBB871_43:
	s_or_b32 exec_lo, exec_lo, s20
	s_and_saveexec_b32 s0, s21
	s_delay_alu instid0(SALU_CYCLE_1)
	s_xor_b32 s0, exec_lo, s0
; %bb.44:
	v_dual_cndmask_b32 v21, v13, v7, s5 :: v_dual_cndmask_b32 v20, v12, v6, s5
	v_dual_cndmask_b32 v7, v7, v13, s5 :: v_dual_cndmask_b32 v6, v6, v12, s5
	s_delay_alu instid0(VALU_DEP_2)
	v_mov_b64_e32 v[12:13], v[20:21]
; %bb.45:
	s_or_b32 exec_lo, exec_lo, s0
.LBB871_46:
	v_cmp_ne_u32_e32 vcc_lo, 1, v45
	s_cbranch_vccnz .LBB871_60
; %bb.47:
	s_delay_alu instid0(VALU_DEP_2) | instskip(SKIP_3) | instid1(VALU_DEP_2)
	v_mul_u64_e32 v[20:21], s[12:13], v[2:3]
	v_mul_u64_e32 v[22:23], s[12:13], v[8:9]
	s_mov_b32 s20, 0
	s_mov_b64 s[6:7], s[12:13]
                                        ; implicit-def: $sgpr5
                                        ; implicit-def: $sgpr21
                                        ; implicit-def: $sgpr23
                                        ; implicit-def: $sgpr22
                                        ; implicit-def: $sgpr24
	v_lshl_add_u64 v[20:21], v[20:21], 2, s[14:15]
	s_delay_alu instid0(VALU_DEP_2)
	v_lshl_add_u64 v[22:23], v[22:23], 2, s[14:15]
	s_branch .LBB871_49
.LBB871_48:                             ;   in Loop: Header=BB871_49 Depth=1
	s_or_b32 exec_lo, exec_lo, s25
	s_and_b32 s0, s0, s24
	s_delay_alu instid0(SALU_CYCLE_1) | instskip(SKIP_1) | instid1(SALU_CYCLE_1)
	s_or_b32 s0, vcc_lo, s0
	s_and_b32 s25, exec_lo, s23
	s_or_b32 s20, s25, s20
	s_and_not1_b32 s24, s24, exec_lo
	s_and_b32 s0, s0, exec_lo
	s_and_not1_b32 s21, s21, exec_lo
	s_and_b32 s25, s22, exec_lo
	s_and_not1_b32 s5, s5, exec_lo
	s_or_b32 s24, s24, s0
	s_or_b32 s21, s21, s25
	;; [unrolled: 1-line block ×3, first 2 shown]
	s_and_not1_b32 exec_lo, exec_lo, s20
	s_cbranch_execz .LBB871_51
.LBB871_49:                             ; =>This Inner Loop Header: Depth=1
	global_load_b32 v25, v[20:21], off
	global_load_b32 v26, v[22:23], off
	s_or_b32 s22, s22, exec_lo
	s_or_b32 s23, s23, exec_lo
	s_wait_loadcnt 0x0
	v_cmp_lt_f32_e32 vcc_lo, v25, v26
	v_cmp_ngt_f32_e64 s0, v25, v26
	s_xor_b32 s26, vcc_lo, s0
	s_delay_alu instid0(SALU_CYCLE_1)
	s_and_saveexec_b32 s25, s26
	s_cbranch_execz .LBB871_48
; %bb.50:                               ;   in Loop: Header=BB871_49 Depth=1
	s_add_nc_u64 s[6:7], s[6:7], -1
	v_add_nc_u64_e32 v[20:21], 4, v[20:21]
	s_cmp_eq_u64 s[6:7], 0
	v_add_nc_u64_e32 v[22:23], 4, v[22:23]
	s_cselect_b32 s26, -1, 0
	s_and_not1_b32 s23, s23, exec_lo
	s_and_b32 s26, s26, exec_lo
	s_and_not1_b32 s22, s22, exec_lo
	s_or_b32 s23, s23, s26
	s_branch .LBB871_48
.LBB871_51:
	s_or_b32 exec_lo, exec_lo, s20
	s_and_saveexec_b32 s0, s21
	s_delay_alu instid0(SALU_CYCLE_1)
	s_xor_b32 s0, exec_lo, s0
; %bb.52:
	v_dual_cndmask_b32 v21, v9, v3, s5 :: v_dual_cndmask_b32 v20, v8, v2, s5
	v_dual_cndmask_b32 v3, v3, v9, s5 :: v_dual_cndmask_b32 v2, v2, v8, s5
	s_delay_alu instid0(VALU_DEP_2)
	v_mov_b64_e32 v[8:9], v[20:21]
; %bb.53:
	s_or_b32 exec_lo, exec_lo, s0
	v_mul_u64_e32 v[20:21], s[12:13], v[16:17]
	v_mul_u64_e32 v[22:23], s[12:13], v[14:15]
	s_mov_b32 s20, 0
	s_mov_b64 s[6:7], s[12:13]
                                        ; implicit-def: $sgpr5
                                        ; implicit-def: $sgpr21
                                        ; implicit-def: $sgpr23
                                        ; implicit-def: $sgpr22
                                        ; implicit-def: $sgpr24
	s_delay_alu instid0(VALU_DEP_2) | instskip(NEXT) | instid1(VALU_DEP_2)
	v_lshl_add_u64 v[20:21], v[20:21], 2, s[14:15]
	v_lshl_add_u64 v[22:23], v[22:23], 2, s[14:15]
	s_branch .LBB871_55
.LBB871_54:                             ;   in Loop: Header=BB871_55 Depth=1
	s_or_b32 exec_lo, exec_lo, s25
	s_and_b32 s0, s0, s24
	s_delay_alu instid0(SALU_CYCLE_1) | instskip(SKIP_1) | instid1(SALU_CYCLE_1)
	s_or_b32 s0, vcc_lo, s0
	s_and_b32 s25, exec_lo, s23
	s_or_b32 s20, s25, s20
	s_and_not1_b32 s24, s24, exec_lo
	s_and_b32 s0, s0, exec_lo
	s_and_not1_b32 s21, s21, exec_lo
	s_and_b32 s25, s22, exec_lo
	s_and_not1_b32 s5, s5, exec_lo
	s_or_b32 s24, s24, s0
	s_or_b32 s21, s21, s25
	;; [unrolled: 1-line block ×3, first 2 shown]
	s_and_not1_b32 exec_lo, exec_lo, s20
	s_cbranch_execz .LBB871_57
.LBB871_55:                             ; =>This Inner Loop Header: Depth=1
	global_load_b32 v25, v[20:21], off
	global_load_b32 v26, v[22:23], off
	s_or_b32 s22, s22, exec_lo
	s_or_b32 s23, s23, exec_lo
	s_wait_loadcnt 0x0
	v_cmp_lt_f32_e32 vcc_lo, v25, v26
	v_cmp_ngt_f32_e64 s0, v25, v26
	s_xor_b32 s26, vcc_lo, s0
	s_delay_alu instid0(SALU_CYCLE_1)
	s_and_saveexec_b32 s25, s26
	s_cbranch_execz .LBB871_54
; %bb.56:                               ;   in Loop: Header=BB871_55 Depth=1
	s_add_nc_u64 s[6:7], s[6:7], -1
	v_add_nc_u64_e32 v[20:21], 4, v[20:21]
	s_cmp_eq_u64 s[6:7], 0
	v_add_nc_u64_e32 v[22:23], 4, v[22:23]
	s_cselect_b32 s26, -1, 0
	s_and_not1_b32 s23, s23, exec_lo
	s_and_b32 s26, s26, exec_lo
	s_and_not1_b32 s22, s22, exec_lo
	s_or_b32 s23, s23, s26
	s_branch .LBB871_54
.LBB871_57:
	s_or_b32 exec_lo, exec_lo, s20
	s_and_saveexec_b32 s0, s21
	s_delay_alu instid0(SALU_CYCLE_1)
	s_xor_b32 s0, exec_lo, s0
; %bb.58:
	v_dual_cndmask_b32 v21, v17, v15, s5 :: v_dual_cndmask_b32 v20, v16, v14, s5
	v_dual_cndmask_b32 v15, v15, v17, s5 :: v_dual_cndmask_b32 v14, v14, v16, s5
	s_delay_alu instid0(VALU_DEP_2)
	v_mov_b64_e32 v[16:17], v[20:21]
; %bb.59:
	s_or_b32 exec_lo, exec_lo, s0
.LBB871_60:
	v_cmp_ne_u32_e32 vcc_lo, 1, v45
	s_cbranch_vccnz .LBB871_74
; %bb.61:
	s_delay_alu instid0(VALU_DEP_3) | instskip(SKIP_3) | instid1(VALU_DEP_2)
	v_mul_u64_e32 v[20:21], s[12:13], v[12:13]
	v_mul_u64_e32 v[22:23], s[12:13], v[10:11]
	s_mov_b32 s20, 0
	s_mov_b64 s[6:7], s[12:13]
                                        ; implicit-def: $sgpr5
                                        ; implicit-def: $sgpr21
                                        ; implicit-def: $sgpr23
                                        ; implicit-def: $sgpr22
                                        ; implicit-def: $sgpr24
	v_lshl_add_u64 v[20:21], v[20:21], 2, s[14:15]
	s_delay_alu instid0(VALU_DEP_2)
	v_lshl_add_u64 v[22:23], v[22:23], 2, s[14:15]
	s_branch .LBB871_63
.LBB871_62:                             ;   in Loop: Header=BB871_63 Depth=1
	s_or_b32 exec_lo, exec_lo, s25
	s_and_b32 s0, s0, s24
	s_delay_alu instid0(SALU_CYCLE_1) | instskip(SKIP_1) | instid1(SALU_CYCLE_1)
	s_or_b32 s0, vcc_lo, s0
	s_and_b32 s25, exec_lo, s23
	s_or_b32 s20, s25, s20
	s_and_not1_b32 s24, s24, exec_lo
	s_and_b32 s0, s0, exec_lo
	s_and_not1_b32 s21, s21, exec_lo
	s_and_b32 s25, s22, exec_lo
	s_and_not1_b32 s5, s5, exec_lo
	s_or_b32 s24, s24, s0
	s_or_b32 s21, s21, s25
	;; [unrolled: 1-line block ×3, first 2 shown]
	s_and_not1_b32 exec_lo, exec_lo, s20
	s_cbranch_execz .LBB871_65
.LBB871_63:                             ; =>This Inner Loop Header: Depth=1
	global_load_b32 v25, v[20:21], off
	global_load_b32 v26, v[22:23], off
	s_or_b32 s22, s22, exec_lo
	s_or_b32 s23, s23, exec_lo
	s_wait_loadcnt 0x0
	v_cmp_lt_f32_e32 vcc_lo, v25, v26
	v_cmp_ngt_f32_e64 s0, v25, v26
	s_xor_b32 s26, vcc_lo, s0
	s_delay_alu instid0(SALU_CYCLE_1)
	s_and_saveexec_b32 s25, s26
	s_cbranch_execz .LBB871_62
; %bb.64:                               ;   in Loop: Header=BB871_63 Depth=1
	s_add_nc_u64 s[6:7], s[6:7], -1
	v_add_nc_u64_e32 v[20:21], 4, v[20:21]
	s_cmp_eq_u64 s[6:7], 0
	v_add_nc_u64_e32 v[22:23], 4, v[22:23]
	s_cselect_b32 s26, -1, 0
	s_and_not1_b32 s23, s23, exec_lo
	s_and_b32 s26, s26, exec_lo
	s_and_not1_b32 s22, s22, exec_lo
	s_or_b32 s23, s23, s26
	s_branch .LBB871_62
.LBB871_65:
	s_or_b32 exec_lo, exec_lo, s20
	s_and_saveexec_b32 s0, s21
	s_delay_alu instid0(SALU_CYCLE_1)
	s_xor_b32 s0, exec_lo, s0
; %bb.66:
	v_dual_cndmask_b32 v21, v11, v13, s5 :: v_dual_cndmask_b32 v20, v10, v12, s5
	v_dual_cndmask_b32 v13, v13, v11, s5 :: v_dual_cndmask_b32 v12, v12, v10, s5
	s_delay_alu instid0(VALU_DEP_2)
	v_mov_b64_e32 v[10:11], v[20:21]
; %bb.67:
	s_or_b32 exec_lo, exec_lo, s0
	v_mul_u64_e32 v[20:21], s[12:13], v[8:9]
	v_mul_u64_e32 v[22:23], s[12:13], v[6:7]
	s_mov_b32 s20, 0
	s_mov_b64 s[6:7], s[12:13]
                                        ; implicit-def: $sgpr5
                                        ; implicit-def: $sgpr21
                                        ; implicit-def: $sgpr23
                                        ; implicit-def: $sgpr22
                                        ; implicit-def: $sgpr24
	s_delay_alu instid0(VALU_DEP_2) | instskip(NEXT) | instid1(VALU_DEP_2)
	v_lshl_add_u64 v[20:21], v[20:21], 2, s[14:15]
	v_lshl_add_u64 v[22:23], v[22:23], 2, s[14:15]
	s_branch .LBB871_69
.LBB871_68:                             ;   in Loop: Header=BB871_69 Depth=1
	s_or_b32 exec_lo, exec_lo, s25
	s_and_b32 s0, s0, s24
	s_delay_alu instid0(SALU_CYCLE_1) | instskip(SKIP_1) | instid1(SALU_CYCLE_1)
	s_or_b32 s0, vcc_lo, s0
	s_and_b32 s25, exec_lo, s23
	s_or_b32 s20, s25, s20
	s_and_not1_b32 s24, s24, exec_lo
	s_and_b32 s0, s0, exec_lo
	s_and_not1_b32 s21, s21, exec_lo
	s_and_b32 s25, s22, exec_lo
	s_and_not1_b32 s5, s5, exec_lo
	s_or_b32 s24, s24, s0
	s_or_b32 s21, s21, s25
	;; [unrolled: 1-line block ×3, first 2 shown]
	s_and_not1_b32 exec_lo, exec_lo, s20
	s_cbranch_execz .LBB871_71
.LBB871_69:                             ; =>This Inner Loop Header: Depth=1
	global_load_b32 v25, v[20:21], off
	global_load_b32 v26, v[22:23], off
	s_or_b32 s22, s22, exec_lo
	s_or_b32 s23, s23, exec_lo
	s_wait_loadcnt 0x0
	v_cmp_lt_f32_e32 vcc_lo, v25, v26
	v_cmp_ngt_f32_e64 s0, v25, v26
	s_xor_b32 s26, vcc_lo, s0
	s_delay_alu instid0(SALU_CYCLE_1)
	s_and_saveexec_b32 s25, s26
	s_cbranch_execz .LBB871_68
; %bb.70:                               ;   in Loop: Header=BB871_69 Depth=1
	s_add_nc_u64 s[6:7], s[6:7], -1
	v_add_nc_u64_e32 v[20:21], 4, v[20:21]
	s_cmp_eq_u64 s[6:7], 0
	v_add_nc_u64_e32 v[22:23], 4, v[22:23]
	s_cselect_b32 s26, -1, 0
	s_and_not1_b32 s23, s23, exec_lo
	s_and_b32 s26, s26, exec_lo
	s_and_not1_b32 s22, s22, exec_lo
	s_or_b32 s23, s23, s26
	s_branch .LBB871_68
.LBB871_71:
	s_or_b32 exec_lo, exec_lo, s20
	s_and_saveexec_b32 s0, s21
	s_delay_alu instid0(SALU_CYCLE_1)
	s_xor_b32 s0, exec_lo, s0
; %bb.72:
	v_dual_cndmask_b32 v21, v7, v9, s5 :: v_dual_cndmask_b32 v20, v6, v8, s5
	v_dual_cndmask_b32 v9, v9, v7, s5 :: v_dual_cndmask_b32 v8, v8, v6, s5
	s_delay_alu instid0(VALU_DEP_2)
	v_mov_b64_e32 v[6:7], v[20:21]
; %bb.73:
	s_or_b32 exec_lo, exec_lo, s0
.LBB871_74:
	v_cmp_ne_u32_e32 vcc_lo, 1, v45
	s_cbranch_vccnz .LBB871_88
; %bb.75:
	v_mul_u64_e32 v[20:21], s[12:13], v[4:5]
	v_mul_u64_e32 v[22:23], s[12:13], v[2:3]
	s_mov_b32 s20, 0
	s_mov_b64 s[6:7], s[12:13]
                                        ; implicit-def: $sgpr5
                                        ; implicit-def: $sgpr21
                                        ; implicit-def: $sgpr23
                                        ; implicit-def: $sgpr22
                                        ; implicit-def: $sgpr24
	s_delay_alu instid0(VALU_DEP_2) | instskip(NEXT) | instid1(VALU_DEP_2)
	v_lshl_add_u64 v[20:21], v[20:21], 2, s[14:15]
	v_lshl_add_u64 v[22:23], v[22:23], 2, s[14:15]
	s_branch .LBB871_77
.LBB871_76:                             ;   in Loop: Header=BB871_77 Depth=1
	s_or_b32 exec_lo, exec_lo, s25
	s_and_b32 s0, s0, s24
	s_delay_alu instid0(SALU_CYCLE_1) | instskip(SKIP_1) | instid1(SALU_CYCLE_1)
	s_or_b32 s0, vcc_lo, s0
	s_and_b32 s25, exec_lo, s23
	s_or_b32 s20, s25, s20
	s_and_not1_b32 s24, s24, exec_lo
	s_and_b32 s0, s0, exec_lo
	s_and_not1_b32 s21, s21, exec_lo
	s_and_b32 s25, s22, exec_lo
	s_and_not1_b32 s5, s5, exec_lo
	s_or_b32 s24, s24, s0
	s_or_b32 s21, s21, s25
	;; [unrolled: 1-line block ×3, first 2 shown]
	s_and_not1_b32 exec_lo, exec_lo, s20
	s_cbranch_execz .LBB871_79
.LBB871_77:                             ; =>This Inner Loop Header: Depth=1
	global_load_b32 v25, v[20:21], off
	global_load_b32 v26, v[22:23], off
	s_or_b32 s22, s22, exec_lo
	s_or_b32 s23, s23, exec_lo
	s_wait_loadcnt 0x0
	v_cmp_lt_f32_e32 vcc_lo, v25, v26
	v_cmp_ngt_f32_e64 s0, v25, v26
	s_xor_b32 s26, vcc_lo, s0
	s_delay_alu instid0(SALU_CYCLE_1)
	s_and_saveexec_b32 s25, s26
	s_cbranch_execz .LBB871_76
; %bb.78:                               ;   in Loop: Header=BB871_77 Depth=1
	s_add_nc_u64 s[6:7], s[6:7], -1
	v_add_nc_u64_e32 v[20:21], 4, v[20:21]
	s_cmp_eq_u64 s[6:7], 0
	v_add_nc_u64_e32 v[22:23], 4, v[22:23]
	s_cselect_b32 s26, -1, 0
	s_and_not1_b32 s23, s23, exec_lo
	s_and_b32 s26, s26, exec_lo
	s_and_not1_b32 s22, s22, exec_lo
	s_or_b32 s23, s23, s26
	s_branch .LBB871_76
.LBB871_79:
	s_or_b32 exec_lo, exec_lo, s20
	s_and_saveexec_b32 s0, s21
	s_delay_alu instid0(SALU_CYCLE_1)
	s_xor_b32 s0, exec_lo, s0
; %bb.80:
	v_dual_cndmask_b32 v21, v3, v5, s5 :: v_dual_cndmask_b32 v20, v2, v4, s5
	v_dual_cndmask_b32 v5, v5, v3, s5 :: v_dual_cndmask_b32 v4, v4, v2, s5
	s_delay_alu instid0(VALU_DEP_2)
	v_mov_b64_e32 v[2:3], v[20:21]
; %bb.81:
	s_or_b32 exec_lo, exec_lo, s0
	v_mul_u64_e32 v[20:21], s[12:13], v[10:11]
	v_mul_u64_e32 v[22:23], s[12:13], v[16:17]
	s_mov_b32 s20, 0
	s_mov_b64 s[6:7], s[12:13]
                                        ; implicit-def: $sgpr5
                                        ; implicit-def: $sgpr21
                                        ; implicit-def: $sgpr23
                                        ; implicit-def: $sgpr22
                                        ; implicit-def: $sgpr24
	s_delay_alu instid0(VALU_DEP_2) | instskip(NEXT) | instid1(VALU_DEP_2)
	v_lshl_add_u64 v[20:21], v[20:21], 2, s[14:15]
	v_lshl_add_u64 v[22:23], v[22:23], 2, s[14:15]
	s_branch .LBB871_83
.LBB871_82:                             ;   in Loop: Header=BB871_83 Depth=1
	s_or_b32 exec_lo, exec_lo, s25
	s_and_b32 s0, s0, s24
	s_delay_alu instid0(SALU_CYCLE_1) | instskip(SKIP_1) | instid1(SALU_CYCLE_1)
	s_or_b32 s0, vcc_lo, s0
	s_and_b32 s25, exec_lo, s23
	s_or_b32 s20, s25, s20
	s_and_not1_b32 s24, s24, exec_lo
	s_and_b32 s0, s0, exec_lo
	s_and_not1_b32 s21, s21, exec_lo
	s_and_b32 s25, s22, exec_lo
	s_and_not1_b32 s5, s5, exec_lo
	s_or_b32 s24, s24, s0
	s_or_b32 s21, s21, s25
	;; [unrolled: 1-line block ×3, first 2 shown]
	s_and_not1_b32 exec_lo, exec_lo, s20
	s_cbranch_execz .LBB871_85
.LBB871_83:                             ; =>This Inner Loop Header: Depth=1
	global_load_b32 v25, v[20:21], off
	global_load_b32 v26, v[22:23], off
	s_or_b32 s22, s22, exec_lo
	s_or_b32 s23, s23, exec_lo
	s_wait_loadcnt 0x0
	v_cmp_lt_f32_e32 vcc_lo, v25, v26
	v_cmp_ngt_f32_e64 s0, v25, v26
	s_xor_b32 s26, vcc_lo, s0
	s_delay_alu instid0(SALU_CYCLE_1)
	s_and_saveexec_b32 s25, s26
	s_cbranch_execz .LBB871_82
; %bb.84:                               ;   in Loop: Header=BB871_83 Depth=1
	s_add_nc_u64 s[6:7], s[6:7], -1
	v_add_nc_u64_e32 v[20:21], 4, v[20:21]
	s_cmp_eq_u64 s[6:7], 0
	v_add_nc_u64_e32 v[22:23], 4, v[22:23]
	s_cselect_b32 s26, -1, 0
	s_and_not1_b32 s23, s23, exec_lo
	s_and_b32 s26, s26, exec_lo
	s_and_not1_b32 s22, s22, exec_lo
	s_or_b32 s23, s23, s26
	s_branch .LBB871_82
.LBB871_85:
	s_or_b32 exec_lo, exec_lo, s20
	s_and_saveexec_b32 s0, s21
	s_delay_alu instid0(SALU_CYCLE_1)
	s_xor_b32 s0, exec_lo, s0
; %bb.86:
	v_dual_cndmask_b32 v21, v17, v11, s5 :: v_dual_cndmask_b32 v20, v16, v10, s5
	v_dual_cndmask_b32 v11, v11, v17, s5 :: v_dual_cndmask_b32 v10, v10, v16, s5
	s_delay_alu instid0(VALU_DEP_2)
	v_mov_b64_e32 v[16:17], v[20:21]
; %bb.87:
	s_or_b32 exec_lo, exec_lo, s0
.LBB871_88:
	v_cmp_ne_u32_e32 vcc_lo, 1, v45
	s_cbranch_vccnz .LBB871_102
; %bb.89:
	s_delay_alu instid0(VALU_DEP_3) | instskip(SKIP_3) | instid1(VALU_DEP_2)
	v_mul_u64_e32 v[20:21], s[12:13], v[6:7]
	v_mul_u64_e32 v[22:23], s[12:13], v[12:13]
	s_mov_b32 s20, 0
	s_mov_b64 s[6:7], s[12:13]
                                        ; implicit-def: $sgpr5
                                        ; implicit-def: $sgpr21
                                        ; implicit-def: $sgpr23
                                        ; implicit-def: $sgpr22
                                        ; implicit-def: $sgpr24
	v_lshl_add_u64 v[20:21], v[20:21], 2, s[14:15]
	s_delay_alu instid0(VALU_DEP_2)
	v_lshl_add_u64 v[22:23], v[22:23], 2, s[14:15]
	s_branch .LBB871_91
.LBB871_90:                             ;   in Loop: Header=BB871_91 Depth=1
	s_or_b32 exec_lo, exec_lo, s25
	s_and_b32 s0, s0, s24
	s_delay_alu instid0(SALU_CYCLE_1) | instskip(SKIP_1) | instid1(SALU_CYCLE_1)
	s_or_b32 s0, vcc_lo, s0
	s_and_b32 s25, exec_lo, s23
	s_or_b32 s20, s25, s20
	s_and_not1_b32 s24, s24, exec_lo
	s_and_b32 s0, s0, exec_lo
	s_and_not1_b32 s21, s21, exec_lo
	s_and_b32 s25, s22, exec_lo
	s_and_not1_b32 s5, s5, exec_lo
	s_or_b32 s24, s24, s0
	s_or_b32 s21, s21, s25
	;; [unrolled: 1-line block ×3, first 2 shown]
	s_and_not1_b32 exec_lo, exec_lo, s20
	s_cbranch_execz .LBB871_93
.LBB871_91:                             ; =>This Inner Loop Header: Depth=1
	global_load_b32 v25, v[20:21], off
	global_load_b32 v26, v[22:23], off
	s_or_b32 s22, s22, exec_lo
	s_or_b32 s23, s23, exec_lo
	s_wait_loadcnt 0x0
	v_cmp_lt_f32_e32 vcc_lo, v25, v26
	v_cmp_ngt_f32_e64 s0, v25, v26
	s_xor_b32 s26, vcc_lo, s0
	s_delay_alu instid0(SALU_CYCLE_1)
	s_and_saveexec_b32 s25, s26
	s_cbranch_execz .LBB871_90
; %bb.92:                               ;   in Loop: Header=BB871_91 Depth=1
	s_add_nc_u64 s[6:7], s[6:7], -1
	v_add_nc_u64_e32 v[20:21], 4, v[20:21]
	s_cmp_eq_u64 s[6:7], 0
	v_add_nc_u64_e32 v[22:23], 4, v[22:23]
	s_cselect_b32 s26, -1, 0
	s_and_not1_b32 s23, s23, exec_lo
	s_and_b32 s26, s26, exec_lo
	s_and_not1_b32 s22, s22, exec_lo
	s_or_b32 s23, s23, s26
	s_branch .LBB871_90
.LBB871_93:
	s_or_b32 exec_lo, exec_lo, s20
	s_and_saveexec_b32 s0, s21
	s_delay_alu instid0(SALU_CYCLE_1)
	s_xor_b32 s0, exec_lo, s0
; %bb.94:
	v_dual_cndmask_b32 v21, v13, v7, s5 :: v_dual_cndmask_b32 v20, v12, v6, s5
	v_dual_cndmask_b32 v7, v7, v13, s5 :: v_dual_cndmask_b32 v6, v6, v12, s5
	s_delay_alu instid0(VALU_DEP_2)
	v_mov_b64_e32 v[12:13], v[20:21]
; %bb.95:
	s_or_b32 exec_lo, exec_lo, s0
	v_mul_u64_e32 v[20:21], s[12:13], v[2:3]
	v_mul_u64_e32 v[22:23], s[12:13], v[8:9]
	s_mov_b32 s20, 0
	s_mov_b64 s[6:7], s[12:13]
                                        ; implicit-def: $sgpr5
                                        ; implicit-def: $sgpr21
                                        ; implicit-def: $sgpr23
                                        ; implicit-def: $sgpr22
                                        ; implicit-def: $sgpr24
	s_delay_alu instid0(VALU_DEP_2) | instskip(NEXT) | instid1(VALU_DEP_2)
	v_lshl_add_u64 v[20:21], v[20:21], 2, s[14:15]
	v_lshl_add_u64 v[22:23], v[22:23], 2, s[14:15]
	s_branch .LBB871_97
.LBB871_96:                             ;   in Loop: Header=BB871_97 Depth=1
	s_or_b32 exec_lo, exec_lo, s25
	s_and_b32 s0, s0, s24
	s_delay_alu instid0(SALU_CYCLE_1) | instskip(SKIP_1) | instid1(SALU_CYCLE_1)
	s_or_b32 s0, vcc_lo, s0
	s_and_b32 s25, exec_lo, s23
	s_or_b32 s20, s25, s20
	s_and_not1_b32 s24, s24, exec_lo
	s_and_b32 s0, s0, exec_lo
	s_and_not1_b32 s21, s21, exec_lo
	s_and_b32 s25, s22, exec_lo
	s_and_not1_b32 s5, s5, exec_lo
	s_or_b32 s24, s24, s0
	s_or_b32 s21, s21, s25
	;; [unrolled: 1-line block ×3, first 2 shown]
	s_and_not1_b32 exec_lo, exec_lo, s20
	s_cbranch_execz .LBB871_99
.LBB871_97:                             ; =>This Inner Loop Header: Depth=1
	global_load_b32 v25, v[20:21], off
	global_load_b32 v26, v[22:23], off
	s_or_b32 s22, s22, exec_lo
	s_or_b32 s23, s23, exec_lo
	s_wait_loadcnt 0x0
	v_cmp_lt_f32_e32 vcc_lo, v25, v26
	v_cmp_ngt_f32_e64 s0, v25, v26
	s_xor_b32 s26, vcc_lo, s0
	s_delay_alu instid0(SALU_CYCLE_1)
	s_and_saveexec_b32 s25, s26
	s_cbranch_execz .LBB871_96
; %bb.98:                               ;   in Loop: Header=BB871_97 Depth=1
	s_add_nc_u64 s[6:7], s[6:7], -1
	v_add_nc_u64_e32 v[20:21], 4, v[20:21]
	s_cmp_eq_u64 s[6:7], 0
	v_add_nc_u64_e32 v[22:23], 4, v[22:23]
	s_cselect_b32 s26, -1, 0
	s_and_not1_b32 s23, s23, exec_lo
	s_and_b32 s26, s26, exec_lo
	s_and_not1_b32 s22, s22, exec_lo
	s_or_b32 s23, s23, s26
	s_branch .LBB871_96
.LBB871_99:
	s_or_b32 exec_lo, exec_lo, s20
	s_and_saveexec_b32 s0, s21
	s_delay_alu instid0(SALU_CYCLE_1)
	s_xor_b32 s0, exec_lo, s0
; %bb.100:
	v_dual_cndmask_b32 v21, v9, v3, s5 :: v_dual_cndmask_b32 v20, v8, v2, s5
	v_dual_cndmask_b32 v3, v3, v9, s5 :: v_dual_cndmask_b32 v2, v2, v8, s5
	s_delay_alu instid0(VALU_DEP_2)
	v_mov_b64_e32 v[8:9], v[20:21]
; %bb.101:
	s_or_b32 exec_lo, exec_lo, s0
.LBB871_102:
	v_cmp_ne_u32_e32 vcc_lo, 1, v45
	s_cbranch_vccnz .LBB871_116
; %bb.103:
	s_delay_alu instid0(VALU_DEP_3) | instskip(SKIP_3) | instid1(VALU_DEP_2)
	v_mul_u64_e32 v[20:21], s[12:13], v[16:17]
	v_mul_u64_e32 v[22:23], s[12:13], v[14:15]
	s_mov_b32 s20, 0
	s_mov_b64 s[6:7], s[12:13]
                                        ; implicit-def: $sgpr5
                                        ; implicit-def: $sgpr21
                                        ; implicit-def: $sgpr23
                                        ; implicit-def: $sgpr22
                                        ; implicit-def: $sgpr24
	v_lshl_add_u64 v[20:21], v[20:21], 2, s[14:15]
	s_delay_alu instid0(VALU_DEP_2)
	v_lshl_add_u64 v[22:23], v[22:23], 2, s[14:15]
	s_branch .LBB871_105
.LBB871_104:                            ;   in Loop: Header=BB871_105 Depth=1
	s_or_b32 exec_lo, exec_lo, s25
	s_and_b32 s0, s0, s24
	s_delay_alu instid0(SALU_CYCLE_1) | instskip(SKIP_1) | instid1(SALU_CYCLE_1)
	s_or_b32 s0, vcc_lo, s0
	s_and_b32 s25, exec_lo, s23
	s_or_b32 s20, s25, s20
	s_and_not1_b32 s24, s24, exec_lo
	s_and_b32 s0, s0, exec_lo
	s_and_not1_b32 s21, s21, exec_lo
	s_and_b32 s25, s22, exec_lo
	s_and_not1_b32 s5, s5, exec_lo
	s_or_b32 s24, s24, s0
	s_or_b32 s21, s21, s25
	;; [unrolled: 1-line block ×3, first 2 shown]
	s_and_not1_b32 exec_lo, exec_lo, s20
	s_cbranch_execz .LBB871_107
.LBB871_105:                            ; =>This Inner Loop Header: Depth=1
	global_load_b32 v25, v[20:21], off
	global_load_b32 v26, v[22:23], off
	s_or_b32 s22, s22, exec_lo
	s_or_b32 s23, s23, exec_lo
	s_wait_loadcnt 0x0
	v_cmp_lt_f32_e32 vcc_lo, v25, v26
	v_cmp_ngt_f32_e64 s0, v25, v26
	s_xor_b32 s26, vcc_lo, s0
	s_delay_alu instid0(SALU_CYCLE_1)
	s_and_saveexec_b32 s25, s26
	s_cbranch_execz .LBB871_104
; %bb.106:                              ;   in Loop: Header=BB871_105 Depth=1
	s_add_nc_u64 s[6:7], s[6:7], -1
	v_add_nc_u64_e32 v[20:21], 4, v[20:21]
	s_cmp_eq_u64 s[6:7], 0
	v_add_nc_u64_e32 v[22:23], 4, v[22:23]
	s_cselect_b32 s26, -1, 0
	s_and_not1_b32 s23, s23, exec_lo
	s_and_b32 s26, s26, exec_lo
	s_and_not1_b32 s22, s22, exec_lo
	s_or_b32 s23, s23, s26
	s_branch .LBB871_104
.LBB871_107:
	s_or_b32 exec_lo, exec_lo, s20
	s_and_saveexec_b32 s0, s21
	s_delay_alu instid0(SALU_CYCLE_1)
	s_xor_b32 s0, exec_lo, s0
; %bb.108:
	v_dual_cndmask_b32 v21, v17, v15, s5 :: v_dual_cndmask_b32 v20, v16, v14, s5
	v_dual_cndmask_b32 v15, v15, v17, s5 :: v_dual_cndmask_b32 v14, v14, v16, s5
	s_delay_alu instid0(VALU_DEP_2)
	v_mov_b64_e32 v[16:17], v[20:21]
; %bb.109:
	s_or_b32 exec_lo, exec_lo, s0
	v_mul_u64_e32 v[20:21], s[12:13], v[12:13]
	v_mul_u64_e32 v[22:23], s[12:13], v[10:11]
	s_mov_b32 s20, 0
	s_mov_b64 s[6:7], s[12:13]
                                        ; implicit-def: $sgpr5
                                        ; implicit-def: $sgpr21
                                        ; implicit-def: $sgpr23
                                        ; implicit-def: $sgpr22
                                        ; implicit-def: $sgpr24
	s_delay_alu instid0(VALU_DEP_2) | instskip(NEXT) | instid1(VALU_DEP_2)
	v_lshl_add_u64 v[20:21], v[20:21], 2, s[14:15]
	v_lshl_add_u64 v[22:23], v[22:23], 2, s[14:15]
	s_branch .LBB871_111
.LBB871_110:                            ;   in Loop: Header=BB871_111 Depth=1
	s_or_b32 exec_lo, exec_lo, s25
	s_and_b32 s0, s0, s24
	s_delay_alu instid0(SALU_CYCLE_1) | instskip(SKIP_1) | instid1(SALU_CYCLE_1)
	s_or_b32 s0, vcc_lo, s0
	s_and_b32 s25, exec_lo, s23
	s_or_b32 s20, s25, s20
	s_and_not1_b32 s24, s24, exec_lo
	s_and_b32 s0, s0, exec_lo
	s_and_not1_b32 s21, s21, exec_lo
	s_and_b32 s25, s22, exec_lo
	s_and_not1_b32 s5, s5, exec_lo
	s_or_b32 s24, s24, s0
	s_or_b32 s21, s21, s25
	;; [unrolled: 1-line block ×3, first 2 shown]
	s_and_not1_b32 exec_lo, exec_lo, s20
	s_cbranch_execz .LBB871_113
.LBB871_111:                            ; =>This Inner Loop Header: Depth=1
	global_load_b32 v25, v[20:21], off
	global_load_b32 v26, v[22:23], off
	s_or_b32 s22, s22, exec_lo
	s_or_b32 s23, s23, exec_lo
	s_wait_loadcnt 0x0
	v_cmp_lt_f32_e32 vcc_lo, v25, v26
	v_cmp_ngt_f32_e64 s0, v25, v26
	s_xor_b32 s26, vcc_lo, s0
	s_delay_alu instid0(SALU_CYCLE_1)
	s_and_saveexec_b32 s25, s26
	s_cbranch_execz .LBB871_110
; %bb.112:                              ;   in Loop: Header=BB871_111 Depth=1
	s_add_nc_u64 s[6:7], s[6:7], -1
	v_add_nc_u64_e32 v[20:21], 4, v[20:21]
	s_cmp_eq_u64 s[6:7], 0
	v_add_nc_u64_e32 v[22:23], 4, v[22:23]
	s_cselect_b32 s26, -1, 0
	s_and_not1_b32 s23, s23, exec_lo
	s_and_b32 s26, s26, exec_lo
	s_and_not1_b32 s22, s22, exec_lo
	s_or_b32 s23, s23, s26
	s_branch .LBB871_110
.LBB871_113:
	s_or_b32 exec_lo, exec_lo, s20
	s_and_saveexec_b32 s0, s21
	s_delay_alu instid0(SALU_CYCLE_1)
	s_xor_b32 s0, exec_lo, s0
; %bb.114:
	v_dual_cndmask_b32 v21, v11, v13, s5 :: v_dual_cndmask_b32 v20, v10, v12, s5
	v_dual_cndmask_b32 v13, v13, v11, s5 :: v_dual_cndmask_b32 v12, v12, v10, s5
	s_delay_alu instid0(VALU_DEP_2)
	v_mov_b64_e32 v[10:11], v[20:21]
; %bb.115:
	s_or_b32 exec_lo, exec_lo, s0
.LBB871_116:
	v_cmp_ne_u32_e32 vcc_lo, 1, v45
	s_cbranch_vccnz .LBB871_190
; %bb.117:
	s_delay_alu instid0(VALU_DEP_3) | instskip(SKIP_3) | instid1(VALU_DEP_2)
	v_mul_u64_e32 v[20:21], s[12:13], v[8:9]
	v_mul_u64_e32 v[22:23], s[12:13], v[6:7]
	s_mov_b32 s20, 0
	s_mov_b64 s[6:7], s[12:13]
                                        ; implicit-def: $sgpr5
                                        ; implicit-def: $sgpr21
                                        ; implicit-def: $sgpr23
                                        ; implicit-def: $sgpr22
                                        ; implicit-def: $sgpr24
	v_lshl_add_u64 v[20:21], v[20:21], 2, s[14:15]
	s_delay_alu instid0(VALU_DEP_2)
	v_lshl_add_u64 v[22:23], v[22:23], 2, s[14:15]
	s_branch .LBB871_119
.LBB871_118:                            ;   in Loop: Header=BB871_119 Depth=1
	s_or_b32 exec_lo, exec_lo, s25
	s_and_b32 s0, s0, s24
	s_delay_alu instid0(SALU_CYCLE_1) | instskip(SKIP_1) | instid1(SALU_CYCLE_1)
	s_or_b32 s0, vcc_lo, s0
	s_and_b32 s25, exec_lo, s23
	s_or_b32 s20, s25, s20
	s_and_not1_b32 s24, s24, exec_lo
	s_and_b32 s0, s0, exec_lo
	s_and_not1_b32 s21, s21, exec_lo
	s_and_b32 s25, s22, exec_lo
	s_and_not1_b32 s5, s5, exec_lo
	s_or_b32 s24, s24, s0
	s_or_b32 s21, s21, s25
	;; [unrolled: 1-line block ×3, first 2 shown]
	s_and_not1_b32 exec_lo, exec_lo, s20
	s_cbranch_execz .LBB871_121
.LBB871_119:                            ; =>This Inner Loop Header: Depth=1
	global_load_b32 v25, v[20:21], off
	global_load_b32 v26, v[22:23], off
	s_or_b32 s22, s22, exec_lo
	s_or_b32 s23, s23, exec_lo
	s_wait_loadcnt 0x0
	v_cmp_lt_f32_e32 vcc_lo, v25, v26
	v_cmp_ngt_f32_e64 s0, v25, v26
	s_xor_b32 s26, vcc_lo, s0
	s_delay_alu instid0(SALU_CYCLE_1)
	s_and_saveexec_b32 s25, s26
	s_cbranch_execz .LBB871_118
; %bb.120:                              ;   in Loop: Header=BB871_119 Depth=1
	s_add_nc_u64 s[6:7], s[6:7], -1
	v_add_nc_u64_e32 v[20:21], 4, v[20:21]
	s_cmp_eq_u64 s[6:7], 0
	v_add_nc_u64_e32 v[22:23], 4, v[22:23]
	s_cselect_b32 s26, -1, 0
	s_and_not1_b32 s23, s23, exec_lo
	s_and_b32 s26, s26, exec_lo
	s_and_not1_b32 s22, s22, exec_lo
	s_or_b32 s23, s23, s26
	s_branch .LBB871_118
.LBB871_121:
	s_or_b32 exec_lo, exec_lo, s20
	s_and_saveexec_b32 s0, s21
	s_delay_alu instid0(SALU_CYCLE_1)
	s_xor_b32 s0, exec_lo, s0
; %bb.122:
	v_dual_cndmask_b32 v21, v7, v9, s5 :: v_dual_cndmask_b32 v20, v6, v8, s5
	v_dual_cndmask_b32 v9, v9, v7, s5 :: v_dual_cndmask_b32 v8, v8, v6, s5
	s_delay_alu instid0(VALU_DEP_2)
	v_mov_b64_e32 v[6:7], v[20:21]
; %bb.123:
	s_or_b32 exec_lo, exec_lo, s0
	v_mul_u64_e32 v[20:21], s[12:13], v[4:5]
	v_mul_u64_e32 v[22:23], s[12:13], v[2:3]
	s_mov_b32 s20, 0
	s_mov_b64 s[6:7], s[12:13]
                                        ; implicit-def: $sgpr5
                                        ; implicit-def: $sgpr21
                                        ; implicit-def: $sgpr23
                                        ; implicit-def: $sgpr22
                                        ; implicit-def: $sgpr24
	s_delay_alu instid0(VALU_DEP_2) | instskip(NEXT) | instid1(VALU_DEP_2)
	v_lshl_add_u64 v[20:21], v[20:21], 2, s[14:15]
	v_lshl_add_u64 v[22:23], v[22:23], 2, s[14:15]
	s_branch .LBB871_125
.LBB871_124:                            ;   in Loop: Header=BB871_125 Depth=1
	s_or_b32 exec_lo, exec_lo, s25
	s_and_b32 s0, s0, s24
	s_delay_alu instid0(SALU_CYCLE_1) | instskip(SKIP_1) | instid1(SALU_CYCLE_1)
	s_or_b32 s0, vcc_lo, s0
	s_and_b32 s25, exec_lo, s23
	s_or_b32 s20, s25, s20
	s_and_not1_b32 s24, s24, exec_lo
	s_and_b32 s0, s0, exec_lo
	s_and_not1_b32 s21, s21, exec_lo
	s_and_b32 s25, s22, exec_lo
	s_and_not1_b32 s5, s5, exec_lo
	s_or_b32 s24, s24, s0
	s_or_b32 s21, s21, s25
	;; [unrolled: 1-line block ×3, first 2 shown]
	s_and_not1_b32 exec_lo, exec_lo, s20
	s_cbranch_execz .LBB871_127
.LBB871_125:                            ; =>This Inner Loop Header: Depth=1
	global_load_b32 v25, v[20:21], off
	global_load_b32 v26, v[22:23], off
	s_or_b32 s22, s22, exec_lo
	s_or_b32 s23, s23, exec_lo
	s_wait_loadcnt 0x0
	v_cmp_lt_f32_e32 vcc_lo, v25, v26
	v_cmp_ngt_f32_e64 s0, v25, v26
	s_xor_b32 s26, vcc_lo, s0
	s_delay_alu instid0(SALU_CYCLE_1)
	s_and_saveexec_b32 s25, s26
	s_cbranch_execz .LBB871_124
; %bb.126:                              ;   in Loop: Header=BB871_125 Depth=1
	s_add_nc_u64 s[6:7], s[6:7], -1
	v_add_nc_u64_e32 v[20:21], 4, v[20:21]
	s_cmp_eq_u64 s[6:7], 0
	v_add_nc_u64_e32 v[22:23], 4, v[22:23]
	s_cselect_b32 s26, -1, 0
	s_and_not1_b32 s23, s23, exec_lo
	s_and_b32 s26, s26, exec_lo
	s_and_not1_b32 s22, s22, exec_lo
	s_or_b32 s23, s23, s26
	s_branch .LBB871_124
.LBB871_127:
	s_or_b32 exec_lo, exec_lo, s20
	s_and_saveexec_b32 s0, s21
	s_delay_alu instid0(SALU_CYCLE_1)
	s_xor_b32 s0, exec_lo, s0
; %bb.128:
	v_dual_cndmask_b32 v21, v3, v5, s5 :: v_dual_cndmask_b32 v20, v2, v4, s5
	v_dual_cndmask_b32 v5, v5, v3, s5 :: v_dual_cndmask_b32 v4, v4, v2, s5
	s_delay_alu instid0(VALU_DEP_2)
	v_mov_b64_e32 v[2:3], v[20:21]
; %bb.129:
	s_or_b32 exec_lo, exec_lo, s0
	v_mul_u64_e32 v[20:21], s[12:13], v[10:11]
	v_mul_u64_e32 v[22:23], s[12:13], v[16:17]
	s_mov_b32 s20, 0
	s_mov_b64 s[6:7], s[12:13]
                                        ; implicit-def: $sgpr5
                                        ; implicit-def: $sgpr21
                                        ; implicit-def: $sgpr23
                                        ; implicit-def: $sgpr22
                                        ; implicit-def: $sgpr24
	s_delay_alu instid0(VALU_DEP_2) | instskip(NEXT) | instid1(VALU_DEP_2)
	v_lshl_add_u64 v[20:21], v[20:21], 2, s[14:15]
	v_lshl_add_u64 v[22:23], v[22:23], 2, s[14:15]
	s_branch .LBB871_131
.LBB871_130:                            ;   in Loop: Header=BB871_131 Depth=1
	s_or_b32 exec_lo, exec_lo, s25
	s_and_b32 s0, s0, s24
	s_delay_alu instid0(SALU_CYCLE_1) | instskip(SKIP_1) | instid1(SALU_CYCLE_1)
	s_or_b32 s0, vcc_lo, s0
	s_and_b32 s25, exec_lo, s23
	s_or_b32 s20, s25, s20
	s_and_not1_b32 s24, s24, exec_lo
	s_and_b32 s0, s0, exec_lo
	s_and_not1_b32 s21, s21, exec_lo
	s_and_b32 s25, s22, exec_lo
	s_and_not1_b32 s5, s5, exec_lo
	s_or_b32 s24, s24, s0
	s_or_b32 s21, s21, s25
	;; [unrolled: 1-line block ×3, first 2 shown]
	s_and_not1_b32 exec_lo, exec_lo, s20
	s_cbranch_execz .LBB871_133
.LBB871_131:                            ; =>This Inner Loop Header: Depth=1
	global_load_b32 v25, v[20:21], off
	global_load_b32 v26, v[22:23], off
	s_or_b32 s22, s22, exec_lo
	s_or_b32 s23, s23, exec_lo
	s_wait_loadcnt 0x0
	v_cmp_lt_f32_e32 vcc_lo, v25, v26
	v_cmp_ngt_f32_e64 s0, v25, v26
	s_xor_b32 s26, vcc_lo, s0
	s_delay_alu instid0(SALU_CYCLE_1)
	s_and_saveexec_b32 s25, s26
	s_cbranch_execz .LBB871_130
; %bb.132:                              ;   in Loop: Header=BB871_131 Depth=1
	s_add_nc_u64 s[6:7], s[6:7], -1
	v_add_nc_u64_e32 v[20:21], 4, v[20:21]
	s_cmp_eq_u64 s[6:7], 0
	v_add_nc_u64_e32 v[22:23], 4, v[22:23]
	s_cselect_b32 s26, -1, 0
	s_and_not1_b32 s23, s23, exec_lo
	s_and_b32 s26, s26, exec_lo
	s_and_not1_b32 s22, s22, exec_lo
	s_or_b32 s23, s23, s26
	s_branch .LBB871_130
.LBB871_133:
	s_or_b32 exec_lo, exec_lo, s20
	s_and_saveexec_b32 s0, s21
	s_delay_alu instid0(SALU_CYCLE_1)
	s_xor_b32 s0, exec_lo, s0
; %bb.134:
	v_dual_cndmask_b32 v21, v17, v11, s5 :: v_dual_cndmask_b32 v20, v16, v10, s5
	v_dual_cndmask_b32 v11, v11, v17, s5 :: v_dual_cndmask_b32 v10, v10, v16, s5
	s_delay_alu instid0(VALU_DEP_2)
	v_mov_b64_e32 v[16:17], v[20:21]
; %bb.135:
	s_or_b32 exec_lo, exec_lo, s0
	v_mul_u64_e32 v[20:21], s[12:13], v[6:7]
	v_mul_u64_e32 v[22:23], s[12:13], v[12:13]
	s_mov_b32 s20, 0
	s_mov_b64 s[6:7], s[12:13]
                                        ; implicit-def: $sgpr5
                                        ; implicit-def: $sgpr21
                                        ; implicit-def: $sgpr23
                                        ; implicit-def: $sgpr22
                                        ; implicit-def: $sgpr24
	s_delay_alu instid0(VALU_DEP_2) | instskip(NEXT) | instid1(VALU_DEP_2)
	v_lshl_add_u64 v[20:21], v[20:21], 2, s[14:15]
	v_lshl_add_u64 v[22:23], v[22:23], 2, s[14:15]
	s_branch .LBB871_137
.LBB871_136:                            ;   in Loop: Header=BB871_137 Depth=1
	s_or_b32 exec_lo, exec_lo, s25
	s_and_b32 s0, s0, s24
	s_delay_alu instid0(SALU_CYCLE_1) | instskip(SKIP_1) | instid1(SALU_CYCLE_1)
	s_or_b32 s0, vcc_lo, s0
	s_and_b32 s25, exec_lo, s23
	s_or_b32 s20, s25, s20
	s_and_not1_b32 s24, s24, exec_lo
	s_and_b32 s0, s0, exec_lo
	s_and_not1_b32 s21, s21, exec_lo
	s_and_b32 s25, s22, exec_lo
	s_and_not1_b32 s5, s5, exec_lo
	s_or_b32 s24, s24, s0
	s_or_b32 s21, s21, s25
	;; [unrolled: 1-line block ×3, first 2 shown]
	s_and_not1_b32 exec_lo, exec_lo, s20
	s_cbranch_execz .LBB871_139
.LBB871_137:                            ; =>This Inner Loop Header: Depth=1
	global_load_b32 v25, v[20:21], off
	global_load_b32 v26, v[22:23], off
	s_or_b32 s22, s22, exec_lo
	s_or_b32 s23, s23, exec_lo
	s_wait_loadcnt 0x0
	v_cmp_lt_f32_e32 vcc_lo, v25, v26
	v_cmp_ngt_f32_e64 s0, v25, v26
	s_xor_b32 s26, vcc_lo, s0
	s_delay_alu instid0(SALU_CYCLE_1)
	s_and_saveexec_b32 s25, s26
	s_cbranch_execz .LBB871_136
; %bb.138:                              ;   in Loop: Header=BB871_137 Depth=1
	s_add_nc_u64 s[6:7], s[6:7], -1
	v_add_nc_u64_e32 v[20:21], 4, v[20:21]
	s_cmp_eq_u64 s[6:7], 0
	v_add_nc_u64_e32 v[22:23], 4, v[22:23]
	s_cselect_b32 s26, -1, 0
	s_and_not1_b32 s23, s23, exec_lo
	s_and_b32 s26, s26, exec_lo
	s_and_not1_b32 s22, s22, exec_lo
	s_or_b32 s23, s23, s26
	s_branch .LBB871_136
.LBB871_139:
	s_or_b32 exec_lo, exec_lo, s20
	s_and_saveexec_b32 s0, s21
	s_delay_alu instid0(SALU_CYCLE_1)
	s_xor_b32 s0, exec_lo, s0
; %bb.140:
	v_dual_cndmask_b32 v21, v13, v7, s5 :: v_dual_cndmask_b32 v20, v12, v6, s5
	v_dual_cndmask_b32 v7, v7, v13, s5 :: v_dual_cndmask_b32 v6, v6, v12, s5
	s_delay_alu instid0(VALU_DEP_2)
	v_mov_b64_e32 v[12:13], v[20:21]
; %bb.141:
	s_or_b32 exec_lo, exec_lo, s0
	v_mul_u64_e32 v[20:21], s[12:13], v[2:3]
	v_mul_u64_e32 v[22:23], s[12:13], v[8:9]
	s_mov_b32 s20, 0
	s_mov_b64 s[6:7], s[12:13]
                                        ; implicit-def: $sgpr5
                                        ; implicit-def: $sgpr21
                                        ; implicit-def: $sgpr23
                                        ; implicit-def: $sgpr22
                                        ; implicit-def: $sgpr24
	s_delay_alu instid0(VALU_DEP_2) | instskip(NEXT) | instid1(VALU_DEP_2)
	v_lshl_add_u64 v[20:21], v[20:21], 2, s[14:15]
	v_lshl_add_u64 v[22:23], v[22:23], 2, s[14:15]
	s_branch .LBB871_143
.LBB871_142:                            ;   in Loop: Header=BB871_143 Depth=1
	s_or_b32 exec_lo, exec_lo, s25
	s_and_b32 s0, s0, s24
	s_delay_alu instid0(SALU_CYCLE_1) | instskip(SKIP_1) | instid1(SALU_CYCLE_1)
	s_or_b32 s0, vcc_lo, s0
	s_and_b32 s25, exec_lo, s23
	s_or_b32 s20, s25, s20
	s_and_not1_b32 s24, s24, exec_lo
	s_and_b32 s0, s0, exec_lo
	s_and_not1_b32 s21, s21, exec_lo
	s_and_b32 s25, s22, exec_lo
	s_and_not1_b32 s5, s5, exec_lo
	s_or_b32 s24, s24, s0
	s_or_b32 s21, s21, s25
	;; [unrolled: 1-line block ×3, first 2 shown]
	s_and_not1_b32 exec_lo, exec_lo, s20
	s_cbranch_execz .LBB871_145
.LBB871_143:                            ; =>This Inner Loop Header: Depth=1
	global_load_b32 v25, v[20:21], off
	global_load_b32 v26, v[22:23], off
	s_or_b32 s22, s22, exec_lo
	s_or_b32 s23, s23, exec_lo
	s_wait_loadcnt 0x0
	v_cmp_lt_f32_e32 vcc_lo, v25, v26
	v_cmp_ngt_f32_e64 s0, v25, v26
	s_xor_b32 s26, vcc_lo, s0
	s_delay_alu instid0(SALU_CYCLE_1)
	s_and_saveexec_b32 s25, s26
	s_cbranch_execz .LBB871_142
; %bb.144:                              ;   in Loop: Header=BB871_143 Depth=1
	s_add_nc_u64 s[6:7], s[6:7], -1
	v_add_nc_u64_e32 v[20:21], 4, v[20:21]
	s_cmp_eq_u64 s[6:7], 0
	v_add_nc_u64_e32 v[22:23], 4, v[22:23]
	s_cselect_b32 s26, -1, 0
	s_and_not1_b32 s23, s23, exec_lo
	s_and_b32 s26, s26, exec_lo
	s_and_not1_b32 s22, s22, exec_lo
	s_or_b32 s23, s23, s26
	s_branch .LBB871_142
.LBB871_145:
	s_or_b32 exec_lo, exec_lo, s20
	s_and_saveexec_b32 s0, s21
	s_delay_alu instid0(SALU_CYCLE_1)
	s_xor_b32 s0, exec_lo, s0
; %bb.146:
	v_dual_cndmask_b32 v21, v9, v3, s5 :: v_dual_cndmask_b32 v20, v8, v2, s5
	v_dual_cndmask_b32 v3, v3, v9, s5 :: v_dual_cndmask_b32 v2, v2, v8, s5
	s_delay_alu instid0(VALU_DEP_2)
	v_mov_b64_e32 v[8:9], v[20:21]
; %bb.147:
	s_or_b32 exec_lo, exec_lo, s0
	v_mul_u64_e32 v[20:21], s[12:13], v[16:17]
	v_mul_u64_e32 v[22:23], s[12:13], v[14:15]
	s_mov_b32 s20, 0
	s_mov_b64 s[6:7], s[12:13]
                                        ; implicit-def: $sgpr5
                                        ; implicit-def: $sgpr21
                                        ; implicit-def: $sgpr23
                                        ; implicit-def: $sgpr22
                                        ; implicit-def: $sgpr24
	s_delay_alu instid0(VALU_DEP_2) | instskip(NEXT) | instid1(VALU_DEP_2)
	v_lshl_add_u64 v[20:21], v[20:21], 2, s[14:15]
	v_lshl_add_u64 v[22:23], v[22:23], 2, s[14:15]
	s_branch .LBB871_149
.LBB871_148:                            ;   in Loop: Header=BB871_149 Depth=1
	s_or_b32 exec_lo, exec_lo, s25
	s_and_b32 s0, s0, s24
	s_delay_alu instid0(SALU_CYCLE_1) | instskip(SKIP_1) | instid1(SALU_CYCLE_1)
	s_or_b32 s0, vcc_lo, s0
	s_and_b32 s25, exec_lo, s23
	s_or_b32 s20, s25, s20
	s_and_not1_b32 s24, s24, exec_lo
	s_and_b32 s0, s0, exec_lo
	s_and_not1_b32 s21, s21, exec_lo
	s_and_b32 s25, s22, exec_lo
	s_and_not1_b32 s5, s5, exec_lo
	s_or_b32 s24, s24, s0
	s_or_b32 s21, s21, s25
	;; [unrolled: 1-line block ×3, first 2 shown]
	s_and_not1_b32 exec_lo, exec_lo, s20
	s_cbranch_execz .LBB871_151
.LBB871_149:                            ; =>This Inner Loop Header: Depth=1
	global_load_b32 v25, v[20:21], off
	global_load_b32 v26, v[22:23], off
	s_or_b32 s22, s22, exec_lo
	s_or_b32 s23, s23, exec_lo
	s_wait_loadcnt 0x0
	v_cmp_lt_f32_e32 vcc_lo, v25, v26
	v_cmp_ngt_f32_e64 s0, v25, v26
	s_xor_b32 s26, vcc_lo, s0
	s_delay_alu instid0(SALU_CYCLE_1)
	s_and_saveexec_b32 s25, s26
	s_cbranch_execz .LBB871_148
; %bb.150:                              ;   in Loop: Header=BB871_149 Depth=1
	s_add_nc_u64 s[6:7], s[6:7], -1
	v_add_nc_u64_e32 v[20:21], 4, v[20:21]
	s_cmp_eq_u64 s[6:7], 0
	v_add_nc_u64_e32 v[22:23], 4, v[22:23]
	s_cselect_b32 s26, -1, 0
	s_and_not1_b32 s23, s23, exec_lo
	s_and_b32 s26, s26, exec_lo
	s_and_not1_b32 s22, s22, exec_lo
	s_or_b32 s23, s23, s26
	s_branch .LBB871_148
.LBB871_151:
	s_or_b32 exec_lo, exec_lo, s20
	s_and_saveexec_b32 s0, s21
	s_delay_alu instid0(SALU_CYCLE_1)
	s_xor_b32 s0, exec_lo, s0
; %bb.152:
	v_dual_cndmask_b32 v21, v17, v15, s5 :: v_dual_cndmask_b32 v20, v16, v14, s5
	v_dual_cndmask_b32 v15, v15, v17, s5 :: v_dual_cndmask_b32 v14, v14, v16, s5
	s_delay_alu instid0(VALU_DEP_2)
	v_mov_b64_e32 v[16:17], v[20:21]
; %bb.153:
	s_or_b32 exec_lo, exec_lo, s0
	v_mul_u64_e32 v[20:21], s[12:13], v[12:13]
	v_mul_u64_e32 v[22:23], s[12:13], v[10:11]
	s_mov_b32 s20, 0
	s_mov_b64 s[6:7], s[12:13]
                                        ; implicit-def: $sgpr5
                                        ; implicit-def: $sgpr21
                                        ; implicit-def: $sgpr23
                                        ; implicit-def: $sgpr22
                                        ; implicit-def: $sgpr24
	s_delay_alu instid0(VALU_DEP_2) | instskip(NEXT) | instid1(VALU_DEP_2)
	v_lshl_add_u64 v[20:21], v[20:21], 2, s[14:15]
	v_lshl_add_u64 v[22:23], v[22:23], 2, s[14:15]
	s_branch .LBB871_155
.LBB871_154:                            ;   in Loop: Header=BB871_155 Depth=1
	s_or_b32 exec_lo, exec_lo, s25
	s_and_b32 s0, s0, s24
	s_delay_alu instid0(SALU_CYCLE_1) | instskip(SKIP_1) | instid1(SALU_CYCLE_1)
	s_or_b32 s0, vcc_lo, s0
	s_and_b32 s25, exec_lo, s23
	s_or_b32 s20, s25, s20
	s_and_not1_b32 s24, s24, exec_lo
	s_and_b32 s0, s0, exec_lo
	s_and_not1_b32 s21, s21, exec_lo
	s_and_b32 s25, s22, exec_lo
	s_and_not1_b32 s5, s5, exec_lo
	s_or_b32 s24, s24, s0
	s_or_b32 s21, s21, s25
	;; [unrolled: 1-line block ×3, first 2 shown]
	s_and_not1_b32 exec_lo, exec_lo, s20
	s_cbranch_execz .LBB871_157
.LBB871_155:                            ; =>This Inner Loop Header: Depth=1
	global_load_b32 v25, v[20:21], off
	global_load_b32 v26, v[22:23], off
	s_or_b32 s22, s22, exec_lo
	s_or_b32 s23, s23, exec_lo
	s_wait_loadcnt 0x0
	v_cmp_lt_f32_e32 vcc_lo, v25, v26
	v_cmp_ngt_f32_e64 s0, v25, v26
	s_xor_b32 s26, vcc_lo, s0
	s_delay_alu instid0(SALU_CYCLE_1)
	s_and_saveexec_b32 s25, s26
	s_cbranch_execz .LBB871_154
; %bb.156:                              ;   in Loop: Header=BB871_155 Depth=1
	s_add_nc_u64 s[6:7], s[6:7], -1
	v_add_nc_u64_e32 v[20:21], 4, v[20:21]
	s_cmp_eq_u64 s[6:7], 0
	v_add_nc_u64_e32 v[22:23], 4, v[22:23]
	s_cselect_b32 s26, -1, 0
	s_and_not1_b32 s23, s23, exec_lo
	s_and_b32 s26, s26, exec_lo
	s_and_not1_b32 s22, s22, exec_lo
	s_or_b32 s23, s23, s26
	s_branch .LBB871_154
.LBB871_157:
	s_or_b32 exec_lo, exec_lo, s20
	s_and_saveexec_b32 s0, s21
	s_delay_alu instid0(SALU_CYCLE_1)
	s_xor_b32 s0, exec_lo, s0
; %bb.158:
	v_dual_cndmask_b32 v21, v11, v13, s5 :: v_dual_cndmask_b32 v20, v10, v12, s5
	v_dual_cndmask_b32 v13, v13, v11, s5 :: v_dual_cndmask_b32 v12, v12, v10, s5
	s_delay_alu instid0(VALU_DEP_2)
	v_mov_b64_e32 v[10:11], v[20:21]
; %bb.159:
	s_or_b32 exec_lo, exec_lo, s0
	v_mul_u64_e32 v[20:21], s[12:13], v[8:9]
	v_mul_u64_e32 v[22:23], s[12:13], v[6:7]
	s_mov_b32 s20, 0
	s_mov_b64 s[6:7], s[12:13]
                                        ; implicit-def: $sgpr5
                                        ; implicit-def: $sgpr21
                                        ; implicit-def: $sgpr23
                                        ; implicit-def: $sgpr22
                                        ; implicit-def: $sgpr24
	s_delay_alu instid0(VALU_DEP_2) | instskip(NEXT) | instid1(VALU_DEP_2)
	v_lshl_add_u64 v[20:21], v[20:21], 2, s[14:15]
	v_lshl_add_u64 v[22:23], v[22:23], 2, s[14:15]
	s_branch .LBB871_161
.LBB871_160:                            ;   in Loop: Header=BB871_161 Depth=1
	s_or_b32 exec_lo, exec_lo, s25
	s_and_b32 s0, s0, s24
	s_delay_alu instid0(SALU_CYCLE_1) | instskip(SKIP_1) | instid1(SALU_CYCLE_1)
	s_or_b32 s0, vcc_lo, s0
	s_and_b32 s25, exec_lo, s23
	s_or_b32 s20, s25, s20
	s_and_not1_b32 s24, s24, exec_lo
	s_and_b32 s0, s0, exec_lo
	s_and_not1_b32 s21, s21, exec_lo
	s_and_b32 s25, s22, exec_lo
	s_and_not1_b32 s5, s5, exec_lo
	s_or_b32 s24, s24, s0
	s_or_b32 s21, s21, s25
	;; [unrolled: 1-line block ×3, first 2 shown]
	s_and_not1_b32 exec_lo, exec_lo, s20
	s_cbranch_execz .LBB871_163
.LBB871_161:                            ; =>This Inner Loop Header: Depth=1
	global_load_b32 v25, v[20:21], off
	global_load_b32 v26, v[22:23], off
	s_or_b32 s22, s22, exec_lo
	s_or_b32 s23, s23, exec_lo
	s_wait_loadcnt 0x0
	v_cmp_lt_f32_e32 vcc_lo, v25, v26
	v_cmp_ngt_f32_e64 s0, v25, v26
	s_xor_b32 s26, vcc_lo, s0
	s_delay_alu instid0(SALU_CYCLE_1)
	s_and_saveexec_b32 s25, s26
	s_cbranch_execz .LBB871_160
; %bb.162:                              ;   in Loop: Header=BB871_161 Depth=1
	s_add_nc_u64 s[6:7], s[6:7], -1
	v_add_nc_u64_e32 v[20:21], 4, v[20:21]
	s_cmp_eq_u64 s[6:7], 0
	v_add_nc_u64_e32 v[22:23], 4, v[22:23]
	s_cselect_b32 s26, -1, 0
	s_and_not1_b32 s23, s23, exec_lo
	s_and_b32 s26, s26, exec_lo
	s_and_not1_b32 s22, s22, exec_lo
	s_or_b32 s23, s23, s26
	s_branch .LBB871_160
.LBB871_163:
	s_or_b32 exec_lo, exec_lo, s20
	s_and_saveexec_b32 s0, s21
	s_delay_alu instid0(SALU_CYCLE_1)
	s_xor_b32 s0, exec_lo, s0
; %bb.164:
	v_dual_cndmask_b32 v21, v7, v9, s5 :: v_dual_cndmask_b32 v20, v6, v8, s5
	v_dual_cndmask_b32 v9, v9, v7, s5 :: v_dual_cndmask_b32 v8, v8, v6, s5
	s_delay_alu instid0(VALU_DEP_2)
	v_mov_b64_e32 v[6:7], v[20:21]
; %bb.165:
	s_or_b32 exec_lo, exec_lo, s0
	v_mul_u64_e32 v[20:21], s[12:13], v[4:5]
	v_mul_u64_e32 v[22:23], s[12:13], v[2:3]
	s_mov_b32 s20, 0
	s_mov_b64 s[6:7], s[12:13]
                                        ; implicit-def: $sgpr5
                                        ; implicit-def: $sgpr21
                                        ; implicit-def: $sgpr23
                                        ; implicit-def: $sgpr22
                                        ; implicit-def: $sgpr24
	s_delay_alu instid0(VALU_DEP_2) | instskip(NEXT) | instid1(VALU_DEP_2)
	v_lshl_add_u64 v[20:21], v[20:21], 2, s[14:15]
	v_lshl_add_u64 v[22:23], v[22:23], 2, s[14:15]
	s_branch .LBB871_167
.LBB871_166:                            ;   in Loop: Header=BB871_167 Depth=1
	s_or_b32 exec_lo, exec_lo, s25
	s_and_b32 s0, s0, s24
	s_delay_alu instid0(SALU_CYCLE_1) | instskip(SKIP_1) | instid1(SALU_CYCLE_1)
	s_or_b32 s0, vcc_lo, s0
	s_and_b32 s25, exec_lo, s23
	s_or_b32 s20, s25, s20
	s_and_not1_b32 s24, s24, exec_lo
	s_and_b32 s0, s0, exec_lo
	s_and_not1_b32 s21, s21, exec_lo
	s_and_b32 s25, s22, exec_lo
	s_and_not1_b32 s5, s5, exec_lo
	s_or_b32 s24, s24, s0
	s_or_b32 s21, s21, s25
	;; [unrolled: 1-line block ×3, first 2 shown]
	s_and_not1_b32 exec_lo, exec_lo, s20
	s_cbranch_execz .LBB871_169
.LBB871_167:                            ; =>This Inner Loop Header: Depth=1
	global_load_b32 v25, v[20:21], off
	global_load_b32 v26, v[22:23], off
	s_or_b32 s22, s22, exec_lo
	s_or_b32 s23, s23, exec_lo
	s_wait_loadcnt 0x0
	v_cmp_lt_f32_e32 vcc_lo, v25, v26
	v_cmp_ngt_f32_e64 s0, v25, v26
	s_xor_b32 s26, vcc_lo, s0
	s_delay_alu instid0(SALU_CYCLE_1)
	s_and_saveexec_b32 s25, s26
	s_cbranch_execz .LBB871_166
; %bb.168:                              ;   in Loop: Header=BB871_167 Depth=1
	s_add_nc_u64 s[6:7], s[6:7], -1
	v_add_nc_u64_e32 v[20:21], 4, v[20:21]
	s_cmp_eq_u64 s[6:7], 0
	v_add_nc_u64_e32 v[22:23], 4, v[22:23]
	s_cselect_b32 s26, -1, 0
	s_and_not1_b32 s23, s23, exec_lo
	s_and_b32 s26, s26, exec_lo
	s_and_not1_b32 s22, s22, exec_lo
	s_or_b32 s23, s23, s26
	s_branch .LBB871_166
.LBB871_169:
	s_or_b32 exec_lo, exec_lo, s20
	s_and_saveexec_b32 s0, s21
	s_delay_alu instid0(SALU_CYCLE_1)
	s_xor_b32 s0, exec_lo, s0
; %bb.170:
	v_dual_cndmask_b32 v21, v3, v5, s5 :: v_dual_cndmask_b32 v20, v2, v4, s5
	v_dual_cndmask_b32 v5, v5, v3, s5 :: v_dual_cndmask_b32 v4, v4, v2, s5
	s_delay_alu instid0(VALU_DEP_2)
	v_mov_b64_e32 v[2:3], v[20:21]
; %bb.171:
	s_or_b32 exec_lo, exec_lo, s0
	v_mul_u64_e32 v[20:21], s[12:13], v[10:11]
	v_mul_u64_e32 v[22:23], s[12:13], v[16:17]
	s_mov_b32 s20, 0
	s_mov_b64 s[6:7], s[12:13]
                                        ; implicit-def: $sgpr5
                                        ; implicit-def: $sgpr21
                                        ; implicit-def: $sgpr23
                                        ; implicit-def: $sgpr22
                                        ; implicit-def: $sgpr24
	s_delay_alu instid0(VALU_DEP_2) | instskip(NEXT) | instid1(VALU_DEP_2)
	v_lshl_add_u64 v[20:21], v[20:21], 2, s[14:15]
	v_lshl_add_u64 v[22:23], v[22:23], 2, s[14:15]
	s_branch .LBB871_173
.LBB871_172:                            ;   in Loop: Header=BB871_173 Depth=1
	s_or_b32 exec_lo, exec_lo, s25
	s_and_b32 s0, s0, s24
	s_delay_alu instid0(SALU_CYCLE_1) | instskip(SKIP_1) | instid1(SALU_CYCLE_1)
	s_or_b32 s0, vcc_lo, s0
	s_and_b32 s25, exec_lo, s23
	s_or_b32 s20, s25, s20
	s_and_not1_b32 s24, s24, exec_lo
	s_and_b32 s0, s0, exec_lo
	s_and_not1_b32 s21, s21, exec_lo
	s_and_b32 s25, s22, exec_lo
	s_and_not1_b32 s5, s5, exec_lo
	s_or_b32 s24, s24, s0
	s_or_b32 s21, s21, s25
	;; [unrolled: 1-line block ×3, first 2 shown]
	s_and_not1_b32 exec_lo, exec_lo, s20
	s_cbranch_execz .LBB871_175
.LBB871_173:                            ; =>This Inner Loop Header: Depth=1
	global_load_b32 v25, v[20:21], off
	global_load_b32 v26, v[22:23], off
	s_or_b32 s22, s22, exec_lo
	s_or_b32 s23, s23, exec_lo
	s_wait_loadcnt 0x0
	v_cmp_lt_f32_e32 vcc_lo, v25, v26
	v_cmp_ngt_f32_e64 s0, v25, v26
	s_xor_b32 s26, vcc_lo, s0
	s_delay_alu instid0(SALU_CYCLE_1)
	s_and_saveexec_b32 s25, s26
	s_cbranch_execz .LBB871_172
; %bb.174:                              ;   in Loop: Header=BB871_173 Depth=1
	s_add_nc_u64 s[6:7], s[6:7], -1
	v_add_nc_u64_e32 v[20:21], 4, v[20:21]
	s_cmp_eq_u64 s[6:7], 0
	v_add_nc_u64_e32 v[22:23], 4, v[22:23]
	s_cselect_b32 s26, -1, 0
	s_and_not1_b32 s23, s23, exec_lo
	s_and_b32 s26, s26, exec_lo
	s_and_not1_b32 s22, s22, exec_lo
	s_or_b32 s23, s23, s26
	s_branch .LBB871_172
.LBB871_175:
	s_or_b32 exec_lo, exec_lo, s20
	s_and_saveexec_b32 s0, s21
	s_delay_alu instid0(SALU_CYCLE_1)
	s_xor_b32 s0, exec_lo, s0
; %bb.176:
	v_dual_cndmask_b32 v21, v17, v11, s5 :: v_dual_cndmask_b32 v20, v16, v10, s5
	v_dual_cndmask_b32 v11, v11, v17, s5 :: v_dual_cndmask_b32 v10, v10, v16, s5
	s_delay_alu instid0(VALU_DEP_2)
	v_mov_b64_e32 v[16:17], v[20:21]
; %bb.177:
	s_or_b32 exec_lo, exec_lo, s0
	v_mul_u64_e32 v[20:21], s[12:13], v[6:7]
	v_mul_u64_e32 v[22:23], s[12:13], v[12:13]
	s_mov_b32 s20, 0
	s_mov_b64 s[6:7], s[12:13]
                                        ; implicit-def: $sgpr5
                                        ; implicit-def: $sgpr21
                                        ; implicit-def: $sgpr23
                                        ; implicit-def: $sgpr22
                                        ; implicit-def: $sgpr24
	s_delay_alu instid0(VALU_DEP_2) | instskip(NEXT) | instid1(VALU_DEP_2)
	v_lshl_add_u64 v[20:21], v[20:21], 2, s[14:15]
	v_lshl_add_u64 v[22:23], v[22:23], 2, s[14:15]
	s_branch .LBB871_179
.LBB871_178:                            ;   in Loop: Header=BB871_179 Depth=1
	s_or_b32 exec_lo, exec_lo, s25
	s_and_b32 s0, s0, s24
	s_delay_alu instid0(SALU_CYCLE_1) | instskip(SKIP_1) | instid1(SALU_CYCLE_1)
	s_or_b32 s0, vcc_lo, s0
	s_and_b32 s25, exec_lo, s23
	s_or_b32 s20, s25, s20
	s_and_not1_b32 s24, s24, exec_lo
	s_and_b32 s0, s0, exec_lo
	s_and_not1_b32 s21, s21, exec_lo
	s_and_b32 s25, s22, exec_lo
	s_and_not1_b32 s5, s5, exec_lo
	s_or_b32 s24, s24, s0
	s_or_b32 s21, s21, s25
	;; [unrolled: 1-line block ×3, first 2 shown]
	s_and_not1_b32 exec_lo, exec_lo, s20
	s_cbranch_execz .LBB871_181
.LBB871_179:                            ; =>This Inner Loop Header: Depth=1
	global_load_b32 v25, v[20:21], off
	global_load_b32 v26, v[22:23], off
	s_or_b32 s22, s22, exec_lo
	s_or_b32 s23, s23, exec_lo
	s_wait_loadcnt 0x0
	v_cmp_lt_f32_e32 vcc_lo, v25, v26
	v_cmp_ngt_f32_e64 s0, v25, v26
	s_xor_b32 s26, vcc_lo, s0
	s_delay_alu instid0(SALU_CYCLE_1)
	s_and_saveexec_b32 s25, s26
	s_cbranch_execz .LBB871_178
; %bb.180:                              ;   in Loop: Header=BB871_179 Depth=1
	s_add_nc_u64 s[6:7], s[6:7], -1
	v_add_nc_u64_e32 v[20:21], 4, v[20:21]
	s_cmp_eq_u64 s[6:7], 0
	v_add_nc_u64_e32 v[22:23], 4, v[22:23]
	s_cselect_b32 s26, -1, 0
	s_and_not1_b32 s23, s23, exec_lo
	s_and_b32 s26, s26, exec_lo
	s_and_not1_b32 s22, s22, exec_lo
	s_or_b32 s23, s23, s26
	s_branch .LBB871_178
.LBB871_181:
	s_or_b32 exec_lo, exec_lo, s20
	s_and_saveexec_b32 s0, s21
	s_delay_alu instid0(SALU_CYCLE_1)
	s_xor_b32 s0, exec_lo, s0
; %bb.182:
	v_dual_cndmask_b32 v21, v13, v7, s5 :: v_dual_cndmask_b32 v20, v12, v6, s5
	v_dual_cndmask_b32 v7, v7, v13, s5 :: v_dual_cndmask_b32 v6, v6, v12, s5
	s_delay_alu instid0(VALU_DEP_2)
	v_mov_b64_e32 v[12:13], v[20:21]
; %bb.183:
	s_or_b32 exec_lo, exec_lo, s0
	v_mul_u64_e32 v[20:21], s[12:13], v[2:3]
	v_mul_u64_e32 v[22:23], s[12:13], v[8:9]
	s_mov_b32 s20, 0
	s_mov_b64 s[6:7], s[12:13]
                                        ; implicit-def: $sgpr5
                                        ; implicit-def: $sgpr21
                                        ; implicit-def: $sgpr23
                                        ; implicit-def: $sgpr22
                                        ; implicit-def: $sgpr24
	s_delay_alu instid0(VALU_DEP_2) | instskip(NEXT) | instid1(VALU_DEP_2)
	v_lshl_add_u64 v[20:21], v[20:21], 2, s[14:15]
	v_lshl_add_u64 v[22:23], v[22:23], 2, s[14:15]
	s_branch .LBB871_185
.LBB871_184:                            ;   in Loop: Header=BB871_185 Depth=1
	s_or_b32 exec_lo, exec_lo, s25
	s_and_b32 s0, s0, s24
	s_delay_alu instid0(SALU_CYCLE_1) | instskip(SKIP_1) | instid1(SALU_CYCLE_1)
	s_or_b32 s0, vcc_lo, s0
	s_and_b32 s25, exec_lo, s23
	s_or_b32 s20, s25, s20
	s_and_not1_b32 s24, s24, exec_lo
	s_and_b32 s0, s0, exec_lo
	s_and_not1_b32 s21, s21, exec_lo
	s_and_b32 s25, s22, exec_lo
	s_and_not1_b32 s5, s5, exec_lo
	s_or_b32 s24, s24, s0
	s_or_b32 s21, s21, s25
	;; [unrolled: 1-line block ×3, first 2 shown]
	s_and_not1_b32 exec_lo, exec_lo, s20
	s_cbranch_execz .LBB871_187
.LBB871_185:                            ; =>This Inner Loop Header: Depth=1
	global_load_b32 v25, v[20:21], off
	global_load_b32 v26, v[22:23], off
	s_or_b32 s22, s22, exec_lo
	s_or_b32 s23, s23, exec_lo
	s_wait_loadcnt 0x0
	v_cmp_lt_f32_e32 vcc_lo, v25, v26
	v_cmp_ngt_f32_e64 s0, v25, v26
	s_xor_b32 s26, vcc_lo, s0
	s_delay_alu instid0(SALU_CYCLE_1)
	s_and_saveexec_b32 s25, s26
	s_cbranch_execz .LBB871_184
; %bb.186:                              ;   in Loop: Header=BB871_185 Depth=1
	s_add_nc_u64 s[6:7], s[6:7], -1
	v_add_nc_u64_e32 v[20:21], 4, v[20:21]
	s_cmp_eq_u64 s[6:7], 0
	v_add_nc_u64_e32 v[22:23], 4, v[22:23]
	s_cselect_b32 s26, -1, 0
	s_and_not1_b32 s23, s23, exec_lo
	s_and_b32 s26, s26, exec_lo
	s_and_not1_b32 s22, s22, exec_lo
	s_or_b32 s23, s23, s26
	s_branch .LBB871_184
.LBB871_187:
	s_or_b32 exec_lo, exec_lo, s20
	s_and_saveexec_b32 s0, s21
	s_delay_alu instid0(SALU_CYCLE_1)
	s_xor_b32 s0, exec_lo, s0
; %bb.188:
	v_dual_cndmask_b32 v21, v9, v3, s5 :: v_dual_cndmask_b32 v20, v8, v2, s5
	v_dual_cndmask_b32 v3, v3, v9, s5 :: v_dual_cndmask_b32 v2, v2, v8, s5
	s_delay_alu instid0(VALU_DEP_2)
	v_mov_b64_e32 v[8:9], v[20:21]
; %bb.189:
	s_or_b32 exec_lo, exec_lo, s0
.LBB871_190:
	s_delay_alu instid0(SALU_CYCLE_1) | instskip(SKIP_4) | instid1(VALU_DEP_1)
	s_or_b32 exec_lo, exec_lo, s1
	v_mbcnt_lo_u32_b32 v20, -1, 0
	v_and_b32_e32 v21, 0xffffff00, v24
	s_mov_b32 s1, 0
	s_mov_b32 s5, exec_lo
	v_dual_lshlrev_b32 v48, 3, v20 :: v_dual_lshlrev_b32 v46, 3, v21
	v_sub_nc_u32_e64 v47, 0x800, v21 clamp
	s_delay_alu instid0(VALU_DEP_2) | instskip(SKIP_1) | instid1(VALU_DEP_4)
	v_or_b32_e32 v22, 8, v48
	v_and_b32_e32 v26, 0xf0, v48
	v_lshl_or_b32 v49, v20, 6, v46
	ds_store_b128 v49, v[14:17]
	ds_store_b128 v49, v[10:13] offset:16
	v_min_u32_e32 v50, v47, v22
	v_and_b32_e32 v22, 8, v48
	v_lshl_or_b32 v25, v26, 3, v46
	ds_store_b128 v49, v[6:9] offset:32
	ds_store_b128 v49, v[2:5] offset:48
	v_add_min_u32_e64 v51, v50, 8, v47
	v_min_u32_e32 v27, v47, v22
	v_sub_nc_u32_e32 v22, v50, v26
	; wave barrier
	s_delay_alu instid0(VALU_DEP_3) | instskip(NEXT) | instid1(VALU_DEP_2)
	v_sub_nc_u32_e32 v21, v51, v50
	v_min_u32_e32 v28, v27, v22
	s_delay_alu instid0(VALU_DEP_2) | instskip(NEXT) | instid1(VALU_DEP_1)
	v_sub_nc_u32_e64 v24, v27, v21 clamp
	v_cmpx_lt_u32_e64 v24, v28
	s_cbranch_execz .LBB871_201
; %bb.191:
	v_dual_lshlrev_b32 v20, 3, v50 :: v_dual_lshlrev_b32 v21, 3, v27
	s_lshl_b64 s[6:7], s[12:13], 2
	s_delay_alu instid0(VALU_DEP_1)
	v_add3_u32 v29, v46, v20, v21
	s_branch .LBB871_194
.LBB871_192:                            ;   in Loop: Header=BB871_194 Depth=1
	s_or_b32 exec_lo, exec_lo, s23
.LBB871_193:                            ;   in Loop: Header=BB871_194 Depth=1
	s_delay_alu instid0(VALU_DEP_1) | instskip(NEXT) | instid1(VALU_DEP_1)
	v_dual_add_nc_u32 v20, 1, v30 :: v_dual_cndmask_b32 v28, v28, v30, s22
	v_cndmask_b32_e64 v24, v20, v24, s22
	s_delay_alu instid0(VALU_DEP_1) | instskip(SKIP_1) | instid1(SALU_CYCLE_1)
	v_cmp_ge_u32_e32 vcc_lo, v24, v28
	s_or_b32 s1, vcc_lo, s1
	s_and_not1_b32 exec_lo, exec_lo, s1
	s_cbranch_execz .LBB871_200
.LBB871_194:                            ; =>This Loop Header: Depth=1
                                        ;     Child Loop BB871_197 Depth 2
	v_add_nc_u32_e32 v20, v28, v24
	v_cmp_ne_u32_e32 vcc_lo, 1, v45
	s_delay_alu instid0(VALU_DEP_2)
	v_lshrrev_b32_e32 v30, 1, v20
	s_cbranch_vccnz .LBB871_199
; %bb.195:                              ;   in Loop: Header=BB871_194 Depth=1
	s_delay_alu instid0(VALU_DEP_1) | instskip(SKIP_3) | instid1(VALU_DEP_2)
	v_not_b32_e32 v20, v30
	v_lshl_add_u32 v21, v30, 3, v25
	s_mov_b32 s23, 0
	s_mov_b64 s[20:21], s[12:13]
                                        ; implicit-def: $sgpr22
                                        ; implicit-def: $sgpr24
                                        ; implicit-def: $sgpr25
                                        ; implicit-def: $sgpr26
	v_lshl_add_u32 v20, v20, 3, v29
	ds_load_b64 v[32:33], v20
	ds_load_b64 v[34:35], v21
	s_wait_dscnt 0x1
	v_mad_nc_u64_u32 v[20:21], s6, v32, s[14:15]
	s_wait_dscnt 0x0
	v_mad_nc_u64_u32 v[22:23], s6, v34, s[14:15]
	s_delay_alu instid0(VALU_DEP_2) | instskip(NEXT) | instid1(VALU_DEP_2)
	v_mad_u32 v21, s7, v32, v21
	v_mad_u32 v23, s7, v34, v23
	s_delay_alu instid0(VALU_DEP_2) | instskip(NEXT) | instid1(VALU_DEP_2)
	v_mad_u32 v21, s6, v33, v21
	v_mad_u32 v23, s6, v35, v23
	s_branch .LBB871_197
.LBB871_196:                            ;   in Loop: Header=BB871_197 Depth=2
	s_or_b32 exec_lo, exec_lo, s0
	s_delay_alu instid0(SALU_CYCLE_1) | instskip(NEXT) | instid1(SALU_CYCLE_1)
	s_and_b32 s0, exec_lo, s24
	s_or_b32 s23, s0, s23
	s_and_not1_b32 s0, s26, exec_lo
	s_and_b32 s26, s27, exec_lo
	s_and_not1_b32 s22, s22, exec_lo
	s_and_b32 s27, s25, exec_lo
	s_or_b32 s26, s0, s26
	s_or_b32 s22, s22, s27
	s_and_not1_b32 exec_lo, exec_lo, s23
	s_cbranch_execz .LBB871_192
.LBB871_197:                            ;   Parent Loop BB871_194 Depth=1
                                        ; =>  This Inner Loop Header: Depth=2
	global_load_b32 v31, v[20:21], off
	global_load_b32 v32, v[22:23], off
	s_and_not1_b32 s25, s25, exec_lo
	s_or_b32 s24, s24, exec_lo
	s_wait_loadcnt 0x0
	v_cmp_ngt_f32_e32 vcc_lo, v31, v32
	v_cmp_lt_f32_e64 s0, v31, v32
	s_and_b32 s27, vcc_lo, s26
	s_xor_b32 s29, s0, vcc_lo
	s_or_b32 s27, s0, s27
	s_delay_alu instid0(SALU_CYCLE_1) | instskip(NEXT) | instid1(SALU_CYCLE_1)
	s_and_b32 s28, s27, exec_lo
	s_or_b32 s25, s25, s28
	s_and_saveexec_b32 s0, s29
	s_cbranch_execz .LBB871_196
; %bb.198:                              ;   in Loop: Header=BB871_197 Depth=2
	s_add_nc_u64 s[20:21], s[20:21], -1
	v_add_nc_u64_e32 v[20:21], 4, v[20:21]
	s_cmp_eq_u64 s[20:21], 0
	v_add_nc_u64_e32 v[22:23], 4, v[22:23]
	s_cselect_b32 s26, -1, 0
	s_and_not1_b32 s24, s24, exec_lo
	s_and_b32 s26, s26, exec_lo
	s_and_not1_b32 s25, s25, exec_lo
	s_or_b32 s24, s24, s26
                                        ; implicit-def: $sgpr26
	s_branch .LBB871_196
.LBB871_199:                            ;   in Loop: Header=BB871_194 Depth=1
	s_mov_b32 s22, 0
	s_branch .LBB871_193
.LBB871_200:
	s_or_b32 exec_lo, exec_lo, s1
.LBB871_201:
	s_delay_alu instid0(SALU_CYCLE_1) | instskip(SKIP_2) | instid1(VALU_DEP_2)
	s_or_b32 exec_lo, exec_lo, s5
	v_dual_add_nc_u32 v21, v50, v27 :: v_dual_add_nc_u32 v20, v24, v26
	v_cmp_lt_i64_e64 s5, s[12:13], 1
	v_sub_nc_u32_e32 v21, v21, v24
	s_delay_alu instid0(VALU_DEP_3) | instskip(NEXT) | instid1(VALU_DEP_2)
	v_cmp_le_u32_e32 vcc_lo, v20, v50
	v_cmp_le_u32_e64 s0, v21, v51
	s_or_b32 s0, vcc_lo, s0
	s_delay_alu instid0(SALU_CYCLE_1)
	s_and_saveexec_b32 s20, s0
	s_cbranch_execz .LBB871_269
; %bb.202:
	s_mov_b32 s1, exec_lo
	v_cmp_ge_u32_e32 vcc_lo, v20, v50
                                        ; implicit-def: $vgpr2_vgpr3
	v_cmpx_lt_u32_e64 v20, v50
; %bb.203:
	v_lshl_add_u32 v2, v24, 3, v25
	ds_load_b64 v[2:3], v2
; %bb.204:
	s_or_b32 exec_lo, exec_lo, s1
	v_cmp_ge_u32_e64 s0, v21, v51
	s_mov_b32 s6, exec_lo
                                        ; implicit-def: $vgpr4_vgpr5
	v_cmpx_lt_u32_e64 v21, v51
; %bb.205:
	v_lshl_add_u32 v4, v21, 3, v46
	ds_load_b64 v[4:5], v4
; %bb.206:
	s_or_b32 exec_lo, exec_lo, s6
	s_or_b32 s1, vcc_lo, s0
	s_xor_b32 s6, vcc_lo, -1
	s_nor_b32 s7, s1, s5
	s_or_b32 s1, s0, s6
	s_and_saveexec_b32 s21, s7
	s_cbranch_execz .LBB871_212
; %bb.207:
	s_wait_dscnt 0x0
	v_mul_u64_e32 v[6:7], s[12:13], v[4:5]
	v_mul_u64_e32 v[8:9], s[12:13], v[2:3]
	s_mov_b32 s22, 0
	s_mov_b64 s[6:7], s[12:13]
                                        ; implicit-def: $sgpr23
                                        ; implicit-def: $sgpr24
                                        ; implicit-def: $sgpr25
                                        ; implicit-def: $sgpr26
	s_delay_alu instid0(VALU_DEP_2) | instskip(NEXT) | instid1(VALU_DEP_2)
	v_lshl_add_u64 v[6:7], v[6:7], 2, s[14:15]
	v_lshl_add_u64 v[8:9], v[8:9], 2, s[14:15]
	s_branch .LBB871_209
.LBB871_208:                            ;   in Loop: Header=BB871_209 Depth=1
	s_or_b32 exec_lo, exec_lo, s0
	s_delay_alu instid0(SALU_CYCLE_1) | instskip(NEXT) | instid1(SALU_CYCLE_1)
	s_and_b32 s0, exec_lo, s24
	s_or_b32 s22, s0, s22
	s_and_not1_b32 s0, s26, exec_lo
	s_and_b32 s26, s27, exec_lo
	s_and_not1_b32 s23, s23, exec_lo
	s_and_b32 s27, s25, exec_lo
	s_or_b32 s26, s0, s26
	s_or_b32 s23, s23, s27
	s_and_not1_b32 exec_lo, exec_lo, s22
	s_cbranch_execz .LBB871_211
.LBB871_209:                            ; =>This Inner Loop Header: Depth=1
	global_load_b32 v10, v[6:7], off
	global_load_b32 v11, v[8:9], off
	s_and_not1_b32 s25, s25, exec_lo
	s_or_b32 s24, s24, exec_lo
	s_wait_loadcnt 0x0
	v_cmp_ngt_f32_e32 vcc_lo, v10, v11
	v_cmp_lt_f32_e64 s0, v10, v11
	s_and_b32 s27, vcc_lo, s26
	s_xor_b32 s29, s0, vcc_lo
	s_or_b32 s27, s0, s27
	s_delay_alu instid0(SALU_CYCLE_1) | instskip(NEXT) | instid1(SALU_CYCLE_1)
	s_and_b32 s28, s27, exec_lo
	s_or_b32 s25, s25, s28
	s_and_saveexec_b32 s0, s29
	s_cbranch_execz .LBB871_208
; %bb.210:                              ;   in Loop: Header=BB871_209 Depth=1
	s_add_nc_u64 s[6:7], s[6:7], -1
	v_add_nc_u64_e32 v[6:7], 4, v[6:7]
	s_cmp_eq_u64 s[6:7], 0
	v_add_nc_u64_e32 v[8:9], 4, v[8:9]
	s_cselect_b32 s26, -1, 0
	s_and_not1_b32 s24, s24, exec_lo
	s_and_b32 s26, s26, exec_lo
	s_and_not1_b32 s25, s25, exec_lo
	s_or_b32 s24, s24, s26
                                        ; implicit-def: $sgpr26
	s_branch .LBB871_208
.LBB871_211:
	s_or_b32 exec_lo, exec_lo, s22
	s_xor_b32 s0, s23, -1
	s_and_not1_b32 s1, s1, exec_lo
	s_and_b32 s0, s0, exec_lo
	s_delay_alu instid0(SALU_CYCLE_1)
	s_or_b32 s1, s1, s0
.LBB871_212:
	s_or_b32 exec_lo, exec_lo, s21
	v_dual_cndmask_b32 v6, v21, v20, s1 :: v_dual_cndmask_b32 v7, v51, v50, s1
	s_mov_b32 s22, -1
	s_mov_b32 s21, -1
	s_mov_b32 s23, exec_lo
	s_delay_alu instid0(VALU_DEP_1) | instskip(NEXT) | instid1(VALU_DEP_1)
	v_add_nc_u32_e32 v8, 1, v6
	v_add_min_u32_e64 v6, v7, -1, v8
	s_delay_alu instid0(VALU_DEP_1)
	v_lshl_add_u32 v6, v6, 3, v46
	ds_load_b64 v[6:7], v6
	s_wait_dscnt 0x0
	v_cndmask_b32_e64 v15, v7, v5, s1
	v_dual_cndmask_b32 v10, v8, v21, s1 :: v_dual_cndmask_b32 v14, v6, v4, s1
	v_dual_cndmask_b32 v11, v20, v8, s1 :: v_dual_cndmask_b32 v17, v3, v7, s1
	v_cndmask_b32_e64 v16, v2, v6, s1
	s_delay_alu instid0(VALU_DEP_3)
	v_cmpx_lt_u32_e64 v10, v51
	s_cbranch_execz .LBB871_220
; %bb.213:
	s_delay_alu instid0(VALU_DEP_3) | instskip(SKIP_1) | instid1(SALU_CYCLE_1)
	v_cmp_lt_u32_e64 s21, v11, v50
	s_xor_b32 s0, s5, -1
	s_and_b32 s0, s21, s0
	s_delay_alu instid0(SALU_CYCLE_1)
	s_and_saveexec_b32 s24, s0
	s_cbranch_execz .LBB871_219
; %bb.214:
	v_mul_u64_e32 v[6:7], s[12:13], v[14:15]
	v_mul_u64_e32 v[8:9], s[12:13], v[16:17]
	s_mov_b32 s25, 0
	s_mov_b64 s[6:7], s[12:13]
                                        ; implicit-def: $sgpr26
                                        ; implicit-def: $sgpr27
                                        ; implicit-def: $sgpr28
                                        ; implicit-def: $sgpr29
	s_delay_alu instid0(VALU_DEP_2) | instskip(NEXT) | instid1(VALU_DEP_2)
	v_lshl_add_u64 v[6:7], v[6:7], 2, s[14:15]
	v_lshl_add_u64 v[8:9], v[8:9], 2, s[14:15]
	s_branch .LBB871_216
.LBB871_215:                            ;   in Loop: Header=BB871_216 Depth=1
	s_or_b32 exec_lo, exec_lo, s0
	s_delay_alu instid0(SALU_CYCLE_1) | instskip(NEXT) | instid1(SALU_CYCLE_1)
	s_and_b32 s0, exec_lo, s27
	s_or_b32 s25, s0, s25
	s_and_not1_b32 s0, s29, exec_lo
	s_and_b32 s29, s30, exec_lo
	s_and_not1_b32 s26, s26, exec_lo
	s_and_b32 s30, s28, exec_lo
	s_or_b32 s29, s0, s29
	s_or_b32 s26, s26, s30
	s_and_not1_b32 exec_lo, exec_lo, s25
	s_cbranch_execz .LBB871_218
.LBB871_216:                            ; =>This Inner Loop Header: Depth=1
	global_load_b32 v12, v[6:7], off
	global_load_b32 v13, v[8:9], off
	s_and_not1_b32 s28, s28, exec_lo
	s_or_b32 s27, s27, exec_lo
	s_wait_loadcnt 0x0
	v_cmp_ngt_f32_e32 vcc_lo, v12, v13
	v_cmp_lt_f32_e64 s0, v12, v13
	s_and_b32 s30, vcc_lo, s29
	s_xor_b32 s33, s0, vcc_lo
	s_or_b32 s30, s0, s30
	s_delay_alu instid0(SALU_CYCLE_1) | instskip(NEXT) | instid1(SALU_CYCLE_1)
	s_and_b32 s31, s30, exec_lo
	s_or_b32 s28, s28, s31
	s_and_saveexec_b32 s0, s33
	s_cbranch_execz .LBB871_215
; %bb.217:                              ;   in Loop: Header=BB871_216 Depth=1
	s_add_nc_u64 s[6:7], s[6:7], -1
	v_add_nc_u64_e32 v[6:7], 4, v[6:7]
	s_cmp_eq_u64 s[6:7], 0
	v_add_nc_u64_e32 v[8:9], 4, v[8:9]
	s_cselect_b32 s29, -1, 0
	s_and_not1_b32 s27, s27, exec_lo
	s_and_b32 s29, s29, exec_lo
	s_and_not1_b32 s28, s28, exec_lo
	s_or_b32 s27, s27, s29
                                        ; implicit-def: $sgpr29
	s_branch .LBB871_215
.LBB871_218:
	s_or_b32 exec_lo, exec_lo, s25
	s_xor_b32 s0, s26, -1
	s_and_not1_b32 s6, s21, exec_lo
	s_and_b32 s0, s0, exec_lo
	s_delay_alu instid0(SALU_CYCLE_1)
	s_or_b32 s21, s6, s0
.LBB871_219:
	s_or_b32 exec_lo, exec_lo, s24
	s_delay_alu instid0(SALU_CYCLE_1)
	s_or_not1_b32 s21, s21, exec_lo
.LBB871_220:
	s_or_b32 exec_lo, exec_lo, s23
	v_dual_cndmask_b32 v6, v10, v11, s21 :: v_dual_cndmask_b32 v7, v51, v50, s21
	s_mov_b32 s23, exec_lo
	s_delay_alu instid0(VALU_DEP_1) | instskip(NEXT) | instid1(VALU_DEP_1)
	v_add_nc_u32_e32 v8, 1, v6
	v_add_min_u32_e64 v6, v7, -1, v8
	s_delay_alu instid0(VALU_DEP_1)
	v_lshl_add_u32 v6, v6, 3, v46
	ds_load_b64 v[6:7], v6
	v_cndmask_b32_e64 v13, v11, v8, s21
	s_wait_dscnt 0x0
	v_dual_cndmask_b32 v11, v7, v15, s21 :: v_dual_cndmask_b32 v12, v8, v10, s21
	v_dual_cndmask_b32 v21, v17, v7, s21 :: v_dual_cndmask_b32 v10, v6, v14, s21
	v_cndmask_b32_e64 v20, v16, v6, s21
	s_delay_alu instid0(VALU_DEP_3)
	v_cmpx_lt_u32_e64 v12, v51
	s_cbranch_execz .LBB871_228
; %bb.221:
	v_cmp_lt_u32_e64 s22, v13, v50
	s_xor_b32 s0, s5, -1
	s_delay_alu instid0(SALU_CYCLE_1) | instskip(NEXT) | instid1(SALU_CYCLE_1)
	s_and_b32 s0, s22, s0
	s_and_saveexec_b32 s24, s0
	s_cbranch_execz .LBB871_227
; %bb.222:
	v_mul_u64_e32 v[6:7], s[12:13], v[10:11]
	v_mul_u64_e32 v[8:9], s[12:13], v[20:21]
	s_mov_b32 s25, 0
	s_mov_b64 s[6:7], s[12:13]
                                        ; implicit-def: $sgpr26
                                        ; implicit-def: $sgpr27
                                        ; implicit-def: $sgpr28
                                        ; implicit-def: $sgpr29
	s_delay_alu instid0(VALU_DEP_2) | instskip(NEXT) | instid1(VALU_DEP_2)
	v_lshl_add_u64 v[6:7], v[6:7], 2, s[14:15]
	v_lshl_add_u64 v[8:9], v[8:9], 2, s[14:15]
	s_branch .LBB871_224
.LBB871_223:                            ;   in Loop: Header=BB871_224 Depth=1
	s_or_b32 exec_lo, exec_lo, s0
	s_delay_alu instid0(SALU_CYCLE_1) | instskip(NEXT) | instid1(SALU_CYCLE_1)
	s_and_b32 s0, exec_lo, s27
	s_or_b32 s25, s0, s25
	s_and_not1_b32 s0, s29, exec_lo
	s_and_b32 s29, s30, exec_lo
	s_and_not1_b32 s26, s26, exec_lo
	s_and_b32 s30, s28, exec_lo
	s_or_b32 s29, s0, s29
	s_or_b32 s26, s26, s30
	s_and_not1_b32 exec_lo, exec_lo, s25
	s_cbranch_execz .LBB871_226
.LBB871_224:                            ; =>This Inner Loop Header: Depth=1
	global_load_b32 v22, v[6:7], off
	global_load_b32 v23, v[8:9], off
	s_and_not1_b32 s28, s28, exec_lo
	s_or_b32 s27, s27, exec_lo
	s_wait_loadcnt 0x0
	v_cmp_ngt_f32_e32 vcc_lo, v22, v23
	v_cmp_lt_f32_e64 s0, v22, v23
	s_and_b32 s30, vcc_lo, s29
	s_xor_b32 s33, s0, vcc_lo
	s_or_b32 s30, s0, s30
	s_delay_alu instid0(SALU_CYCLE_1) | instskip(NEXT) | instid1(SALU_CYCLE_1)
	s_and_b32 s31, s30, exec_lo
	s_or_b32 s28, s28, s31
	s_and_saveexec_b32 s0, s33
	s_cbranch_execz .LBB871_223
; %bb.225:                              ;   in Loop: Header=BB871_224 Depth=1
	s_add_nc_u64 s[6:7], s[6:7], -1
	v_add_nc_u64_e32 v[6:7], 4, v[6:7]
	s_cmp_eq_u64 s[6:7], 0
	v_add_nc_u64_e32 v[8:9], 4, v[8:9]
	s_cselect_b32 s29, -1, 0
	s_and_not1_b32 s27, s27, exec_lo
	s_and_b32 s29, s29, exec_lo
	s_and_not1_b32 s28, s28, exec_lo
	s_or_b32 s27, s27, s29
                                        ; implicit-def: $sgpr29
	s_branch .LBB871_223
.LBB871_226:
	s_or_b32 exec_lo, exec_lo, s25
	s_xor_b32 s0, s26, -1
	s_and_not1_b32 s6, s22, exec_lo
	s_and_b32 s0, s0, exec_lo
	s_delay_alu instid0(SALU_CYCLE_1)
	s_or_b32 s22, s6, s0
.LBB871_227:
	s_or_b32 exec_lo, exec_lo, s24
	s_delay_alu instid0(SALU_CYCLE_1)
	s_or_not1_b32 s22, s22, exec_lo
.LBB871_228:
	s_or_b32 exec_lo, exec_lo, s23
	v_dual_cndmask_b32 v6, v12, v13, s22 :: v_dual_cndmask_b32 v7, v51, v50, s22
	s_mov_b32 s24, -1
	s_mov_b32 s23, -1
	s_mov_b32 s25, exec_lo
	s_delay_alu instid0(VALU_DEP_1) | instskip(NEXT) | instid1(VALU_DEP_1)
	v_add_nc_u32_e32 v8, 1, v6
	v_add_min_u32_e64 v6, v7, -1, v8
	s_delay_alu instid0(VALU_DEP_1)
	v_lshl_add_u32 v6, v6, 3, v46
	ds_load_b64 v[6:7], v6
	s_wait_dscnt 0x0
	v_dual_cndmask_b32 v25, v13, v8, s22 :: v_dual_cndmask_b32 v22, v20, v6, s22
	v_dual_cndmask_b32 v13, v7, v11, s22 :: v_dual_cndmask_b32 v24, v8, v12, s22
	;; [unrolled: 1-line block ×3, first 2 shown]
	s_delay_alu instid0(VALU_DEP_2)
	v_cmpx_lt_u32_e64 v24, v51
	s_cbranch_execz .LBB871_236
; %bb.229:
	v_cmp_lt_u32_e64 s23, v25, v50
	s_xor_b32 s0, s5, -1
	s_delay_alu instid0(SALU_CYCLE_1) | instskip(NEXT) | instid1(SALU_CYCLE_1)
	s_and_b32 s0, s23, s0
	s_and_saveexec_b32 s26, s0
	s_cbranch_execz .LBB871_235
; %bb.230:
	v_mul_u64_e32 v[6:7], s[12:13], v[12:13]
	v_mul_u64_e32 v[8:9], s[12:13], v[22:23]
	s_mov_b32 s27, 0
	s_mov_b64 s[6:7], s[12:13]
                                        ; implicit-def: $sgpr28
                                        ; implicit-def: $sgpr29
                                        ; implicit-def: $sgpr30
                                        ; implicit-def: $sgpr31
	s_delay_alu instid0(VALU_DEP_2) | instskip(NEXT) | instid1(VALU_DEP_2)
	v_lshl_add_u64 v[6:7], v[6:7], 2, s[14:15]
	v_lshl_add_u64 v[8:9], v[8:9], 2, s[14:15]
	s_branch .LBB871_232
.LBB871_231:                            ;   in Loop: Header=BB871_232 Depth=1
	s_or_b32 exec_lo, exec_lo, s0
	s_delay_alu instid0(SALU_CYCLE_1) | instskip(NEXT) | instid1(SALU_CYCLE_1)
	s_and_b32 s0, exec_lo, s29
	s_or_b32 s27, s0, s27
	s_and_not1_b32 s0, s31, exec_lo
	s_and_b32 s31, s33, exec_lo
	s_and_not1_b32 s28, s28, exec_lo
	s_and_b32 s33, s30, exec_lo
	s_or_b32 s31, s0, s31
	s_or_b32 s28, s28, s33
	s_and_not1_b32 exec_lo, exec_lo, s27
	s_cbranch_execz .LBB871_234
.LBB871_232:                            ; =>This Inner Loop Header: Depth=1
	global_load_b32 v26, v[6:7], off
	global_load_b32 v27, v[8:9], off
	s_and_not1_b32 s30, s30, exec_lo
	s_or_b32 s29, s29, exec_lo
	s_wait_loadcnt 0x0
	v_cmp_ngt_f32_e32 vcc_lo, v26, v27
	v_cmp_lt_f32_e64 s0, v26, v27
	s_and_b32 s33, vcc_lo, s31
	s_xor_b32 s35, s0, vcc_lo
	s_or_b32 s33, s0, s33
	s_delay_alu instid0(SALU_CYCLE_1) | instskip(NEXT) | instid1(SALU_CYCLE_1)
	s_and_b32 s34, s33, exec_lo
	s_or_b32 s30, s30, s34
	s_and_saveexec_b32 s0, s35
	s_cbranch_execz .LBB871_231
; %bb.233:                              ;   in Loop: Header=BB871_232 Depth=1
	s_add_nc_u64 s[6:7], s[6:7], -1
	v_add_nc_u64_e32 v[6:7], 4, v[6:7]
	s_cmp_eq_u64 s[6:7], 0
	v_add_nc_u64_e32 v[8:9], 4, v[8:9]
	s_cselect_b32 s31, -1, 0
	s_and_not1_b32 s29, s29, exec_lo
	s_and_b32 s31, s31, exec_lo
	s_and_not1_b32 s30, s30, exec_lo
	s_or_b32 s29, s29, s31
                                        ; implicit-def: $sgpr31
	s_branch .LBB871_231
.LBB871_234:
	s_or_b32 exec_lo, exec_lo, s27
	s_xor_b32 s0, s28, -1
	s_and_not1_b32 s6, s23, exec_lo
	s_and_b32 s0, s0, exec_lo
	s_delay_alu instid0(SALU_CYCLE_1)
	s_or_b32 s23, s6, s0
.LBB871_235:
	s_or_b32 exec_lo, exec_lo, s26
	s_delay_alu instid0(SALU_CYCLE_1)
	s_or_not1_b32 s23, s23, exec_lo
.LBB871_236:
	s_or_b32 exec_lo, exec_lo, s25
	v_dual_cndmask_b32 v6, v24, v25, s23 :: v_dual_cndmask_b32 v7, v51, v50, s23
	s_mov_b32 s25, exec_lo
	s_delay_alu instid0(VALU_DEP_1) | instskip(NEXT) | instid1(VALU_DEP_1)
	v_add_nc_u32_e32 v6, 1, v6
	v_add_min_u32_e64 v7, v7, -1, v6
	s_delay_alu instid0(VALU_DEP_1)
	v_lshl_add_u32 v7, v7, 3, v46
	ds_load_b64 v[8:9], v7
	s_wait_dscnt 0x0
	v_dual_cndmask_b32 v7, v9, v13, s23 :: v_dual_cndmask_b32 v28, v6, v24, s23
	v_dual_cndmask_b32 v29, v25, v6, s23 :: v_dual_cndmask_b32 v6, v8, v12, s23
	;; [unrolled: 1-line block ×3, first 2 shown]
	s_delay_alu instid0(VALU_DEP_3)
	v_cmpx_lt_u32_e64 v28, v51
	s_cbranch_execz .LBB871_244
; %bb.237:
	s_delay_alu instid0(VALU_DEP_3) | instskip(SKIP_1) | instid1(SALU_CYCLE_1)
	v_cmp_lt_u32_e64 s24, v29, v50
	s_xor_b32 s0, s5, -1
	s_and_b32 s0, s24, s0
	s_delay_alu instid0(SALU_CYCLE_1)
	s_and_saveexec_b32 s26, s0
	s_cbranch_execz .LBB871_243
; %bb.238:
	v_mul_u64_e32 v[8:9], s[12:13], v[6:7]
	v_mul_u64_e32 v[26:27], s[12:13], v[24:25]
	s_mov_b32 s27, 0
	s_mov_b64 s[6:7], s[12:13]
                                        ; implicit-def: $sgpr28
                                        ; implicit-def: $sgpr29
                                        ; implicit-def: $sgpr30
                                        ; implicit-def: $sgpr31
	s_delay_alu instid0(VALU_DEP_2) | instskip(NEXT) | instid1(VALU_DEP_2)
	v_lshl_add_u64 v[8:9], v[8:9], 2, s[14:15]
	v_lshl_add_u64 v[26:27], v[26:27], 2, s[14:15]
	s_branch .LBB871_240
.LBB871_239:                            ;   in Loop: Header=BB871_240 Depth=1
	s_or_b32 exec_lo, exec_lo, s0
	s_delay_alu instid0(SALU_CYCLE_1) | instskip(NEXT) | instid1(SALU_CYCLE_1)
	s_and_b32 s0, exec_lo, s29
	s_or_b32 s27, s0, s27
	s_and_not1_b32 s0, s31, exec_lo
	s_and_b32 s31, s33, exec_lo
	s_and_not1_b32 s28, s28, exec_lo
	s_and_b32 s33, s30, exec_lo
	s_or_b32 s31, s0, s31
	s_or_b32 s28, s28, s33
	s_and_not1_b32 exec_lo, exec_lo, s27
	s_cbranch_execz .LBB871_242
.LBB871_240:                            ; =>This Inner Loop Header: Depth=1
	global_load_b32 v30, v[8:9], off
	global_load_b32 v31, v[26:27], off
	s_and_not1_b32 s30, s30, exec_lo
	s_or_b32 s29, s29, exec_lo
	s_wait_loadcnt 0x0
	v_cmp_ngt_f32_e32 vcc_lo, v30, v31
	v_cmp_lt_f32_e64 s0, v30, v31
	s_and_b32 s33, vcc_lo, s31
	s_xor_b32 s35, s0, vcc_lo
	s_or_b32 s33, s0, s33
	s_delay_alu instid0(SALU_CYCLE_1) | instskip(NEXT) | instid1(SALU_CYCLE_1)
	s_and_b32 s34, s33, exec_lo
	s_or_b32 s30, s30, s34
	s_and_saveexec_b32 s0, s35
	s_cbranch_execz .LBB871_239
; %bb.241:                              ;   in Loop: Header=BB871_240 Depth=1
	s_add_nc_u64 s[6:7], s[6:7], -1
	v_add_nc_u64_e32 v[8:9], 4, v[8:9]
	s_cmp_eq_u64 s[6:7], 0
	v_add_nc_u64_e32 v[26:27], 4, v[26:27]
	s_cselect_b32 s31, -1, 0
	s_and_not1_b32 s29, s29, exec_lo
	s_and_b32 s31, s31, exec_lo
	s_and_not1_b32 s30, s30, exec_lo
	s_or_b32 s29, s29, s31
                                        ; implicit-def: $sgpr31
	s_branch .LBB871_239
.LBB871_242:
	s_or_b32 exec_lo, exec_lo, s27
	s_xor_b32 s0, s28, -1
	s_and_not1_b32 s6, s24, exec_lo
	s_and_b32 s0, s0, exec_lo
	s_delay_alu instid0(SALU_CYCLE_1)
	s_or_b32 s24, s6, s0
.LBB871_243:
	s_or_b32 exec_lo, exec_lo, s26
	s_delay_alu instid0(SALU_CYCLE_1)
	s_or_not1_b32 s24, s24, exec_lo
.LBB871_244:
	s_or_b32 exec_lo, exec_lo, s25
	v_dual_cndmask_b32 v8, v28, v29, s24 :: v_dual_cndmask_b32 v9, v51, v50, s24
	s_mov_b32 s25, -1
	s_mov_b32 s26, -1
	s_mov_b32 s27, exec_lo
	s_delay_alu instid0(VALU_DEP_1) | instskip(NEXT) | instid1(VALU_DEP_1)
	v_add_nc_u32_e32 v8, 1, v8
	v_add_min_u32_e64 v9, v9, -1, v8
	s_delay_alu instid0(VALU_DEP_1)
	v_lshl_add_u32 v9, v9, 3, v46
	ds_load_b64 v[26:27], v9
	s_wait_dscnt 0x0
	v_dual_cndmask_b32 v9, v27, v7, s24 :: v_dual_cndmask_b32 v32, v8, v28, s24
	v_dual_cndmask_b32 v33, v29, v8, s24 :: v_dual_cndmask_b32 v8, v26, v6, s24
	;; [unrolled: 1-line block ×3, first 2 shown]
	s_delay_alu instid0(VALU_DEP_3)
	v_cmpx_lt_u32_e64 v32, v51
	s_cbranch_execz .LBB871_252
; %bb.245:
	s_delay_alu instid0(VALU_DEP_3) | instskip(SKIP_1) | instid1(SALU_CYCLE_1)
	v_cmp_lt_u32_e64 s26, v33, v50
	s_xor_b32 s0, s5, -1
	s_and_b32 s0, s26, s0
	s_delay_alu instid0(SALU_CYCLE_1)
	s_and_saveexec_b32 s28, s0
	s_cbranch_execz .LBB871_251
; %bb.246:
	v_mul_u64_e32 v[28:29], s[12:13], v[8:9]
	v_mul_u64_e32 v[30:31], s[12:13], v[26:27]
	s_mov_b32 s29, 0
	s_mov_b64 s[6:7], s[12:13]
                                        ; implicit-def: $sgpr30
                                        ; implicit-def: $sgpr31
                                        ; implicit-def: $sgpr33
                                        ; implicit-def: $sgpr34
	s_delay_alu instid0(VALU_DEP_2) | instskip(NEXT) | instid1(VALU_DEP_2)
	v_lshl_add_u64 v[28:29], v[28:29], 2, s[14:15]
	v_lshl_add_u64 v[30:31], v[30:31], 2, s[14:15]
	s_branch .LBB871_248
.LBB871_247:                            ;   in Loop: Header=BB871_248 Depth=1
	s_or_b32 exec_lo, exec_lo, s0
	s_delay_alu instid0(SALU_CYCLE_1) | instskip(NEXT) | instid1(SALU_CYCLE_1)
	s_and_b32 s0, exec_lo, s31
	s_or_b32 s29, s0, s29
	s_and_not1_b32 s0, s34, exec_lo
	s_and_b32 s34, s35, exec_lo
	s_and_not1_b32 s30, s30, exec_lo
	s_and_b32 s35, s33, exec_lo
	s_or_b32 s34, s0, s34
	s_or_b32 s30, s30, s35
	s_and_not1_b32 exec_lo, exec_lo, s29
	s_cbranch_execz .LBB871_250
.LBB871_248:                            ; =>This Inner Loop Header: Depth=1
	global_load_b32 v34, v[28:29], off
	global_load_b32 v35, v[30:31], off
	s_and_not1_b32 s33, s33, exec_lo
	s_or_b32 s31, s31, exec_lo
	s_wait_loadcnt 0x0
	v_cmp_ngt_f32_e32 vcc_lo, v34, v35
	v_cmp_lt_f32_e64 s0, v34, v35
	s_and_b32 s35, vcc_lo, s34
	s_xor_b32 s37, s0, vcc_lo
	s_or_b32 s35, s0, s35
	s_delay_alu instid0(SALU_CYCLE_1) | instskip(NEXT) | instid1(SALU_CYCLE_1)
	s_and_b32 s36, s35, exec_lo
	s_or_b32 s33, s33, s36
	s_and_saveexec_b32 s0, s37
	s_cbranch_execz .LBB871_247
; %bb.249:                              ;   in Loop: Header=BB871_248 Depth=1
	s_add_nc_u64 s[6:7], s[6:7], -1
	v_add_nc_u64_e32 v[28:29], 4, v[28:29]
	s_cmp_eq_u64 s[6:7], 0
	v_add_nc_u64_e32 v[30:31], 4, v[30:31]
	s_cselect_b32 s34, -1, 0
	s_and_not1_b32 s31, s31, exec_lo
	s_and_b32 s34, s34, exec_lo
	s_and_not1_b32 s33, s33, exec_lo
	s_or_b32 s31, s31, s34
                                        ; implicit-def: $sgpr34
	s_branch .LBB871_247
.LBB871_250:
	s_or_b32 exec_lo, exec_lo, s29
	s_xor_b32 s0, s30, -1
	s_and_not1_b32 s6, s26, exec_lo
	s_and_b32 s0, s0, exec_lo
	s_delay_alu instid0(SALU_CYCLE_1)
	s_or_b32 s26, s6, s0
.LBB871_251:
	s_or_b32 exec_lo, exec_lo, s28
	s_delay_alu instid0(SALU_CYCLE_1)
	s_or_not1_b32 s26, s26, exec_lo
.LBB871_252:
	s_or_b32 exec_lo, exec_lo, s27
	v_dual_cndmask_b32 v28, v32, v33, s26 :: v_dual_cndmask_b32 v29, v51, v50, s26
	s_mov_b32 s27, exec_lo
	s_delay_alu instid0(VALU_DEP_1) | instskip(NEXT) | instid1(VALU_DEP_1)
	v_add_nc_u32_e32 v28, 1, v28
	v_add_min_u32_e64 v29, v29, -1, v28
	s_delay_alu instid0(VALU_DEP_1)
	v_lshl_add_u32 v29, v29, 3, v46
	ds_load_b64 v[30:31], v29
	s_wait_dscnt 0x0
	v_dual_cndmask_b32 v29, v31, v9, s26 :: v_dual_cndmask_b32 v53, v28, v32, s26
	v_dual_cndmask_b32 v31, v27, v31, s26 :: v_dual_cndmask_b32 v52, v33, v28, s26
	v_cndmask_b32_e64 v28, v30, v8, s26
	v_cndmask_b32_e64 v30, v26, v30, s26
	s_delay_alu instid0(VALU_DEP_4)
	v_cmpx_lt_u32_e64 v53, v51
	s_cbranch_execz .LBB871_260
; %bb.253:
	v_cmp_lt_u32_e64 s25, v52, v50
	s_xor_b32 s0, s5, -1
	s_delay_alu instid0(SALU_CYCLE_1) | instskip(NEXT) | instid1(SALU_CYCLE_1)
	s_and_b32 s0, s25, s0
	s_and_saveexec_b32 s28, s0
	s_cbranch_execz .LBB871_259
; %bb.254:
	v_mul_u64_e32 v[32:33], s[12:13], v[28:29]
	v_mul_u64_e32 v[34:35], s[12:13], v[30:31]
	s_mov_b32 s29, 0
	s_mov_b64 s[6:7], s[12:13]
                                        ; implicit-def: $sgpr30
                                        ; implicit-def: $sgpr31
                                        ; implicit-def: $sgpr33
                                        ; implicit-def: $sgpr34
	s_delay_alu instid0(VALU_DEP_2) | instskip(NEXT) | instid1(VALU_DEP_2)
	v_lshl_add_u64 v[32:33], v[32:33], 2, s[14:15]
	v_lshl_add_u64 v[34:35], v[34:35], 2, s[14:15]
	s_branch .LBB871_256
.LBB871_255:                            ;   in Loop: Header=BB871_256 Depth=1
	s_or_b32 exec_lo, exec_lo, s0
	s_delay_alu instid0(SALU_CYCLE_1) | instskip(NEXT) | instid1(SALU_CYCLE_1)
	s_and_b32 s0, exec_lo, s31
	s_or_b32 s29, s0, s29
	s_and_not1_b32 s0, s34, exec_lo
	s_and_b32 s34, s35, exec_lo
	s_and_not1_b32 s30, s30, exec_lo
	s_and_b32 s35, s33, exec_lo
	s_or_b32 s34, s0, s34
	s_or_b32 s30, s30, s35
	s_and_not1_b32 exec_lo, exec_lo, s29
	s_cbranch_execz .LBB871_258
.LBB871_256:                            ; =>This Inner Loop Header: Depth=1
	global_load_b32 v54, v[32:33], off
	global_load_b32 v55, v[34:35], off
	s_and_not1_b32 s33, s33, exec_lo
	s_or_b32 s31, s31, exec_lo
	s_wait_loadcnt 0x0
	v_cmp_ngt_f32_e32 vcc_lo, v54, v55
	v_cmp_lt_f32_e64 s0, v54, v55
	s_and_b32 s35, vcc_lo, s34
	s_xor_b32 s37, s0, vcc_lo
	s_or_b32 s35, s0, s35
	s_delay_alu instid0(SALU_CYCLE_1) | instskip(NEXT) | instid1(SALU_CYCLE_1)
	s_and_b32 s36, s35, exec_lo
	s_or_b32 s33, s33, s36
	s_and_saveexec_b32 s0, s37
	s_cbranch_execz .LBB871_255
; %bb.257:                              ;   in Loop: Header=BB871_256 Depth=1
	s_add_nc_u64 s[6:7], s[6:7], -1
	v_add_nc_u64_e32 v[32:33], 4, v[32:33]
	s_cmp_eq_u64 s[6:7], 0
	v_add_nc_u64_e32 v[34:35], 4, v[34:35]
	s_cselect_b32 s34, -1, 0
	s_and_not1_b32 s31, s31, exec_lo
	s_and_b32 s34, s34, exec_lo
	s_and_not1_b32 s33, s33, exec_lo
	s_or_b32 s31, s31, s34
                                        ; implicit-def: $sgpr34
	s_branch .LBB871_255
.LBB871_258:
	s_or_b32 exec_lo, exec_lo, s29
	s_xor_b32 s0, s30, -1
	s_and_not1_b32 s6, s25, exec_lo
	s_and_b32 s0, s0, exec_lo
	s_delay_alu instid0(SALU_CYCLE_1)
	s_or_b32 s25, s6, s0
.LBB871_259:
	s_or_b32 exec_lo, exec_lo, s28
	s_delay_alu instid0(SALU_CYCLE_1)
	s_or_not1_b32 s25, s25, exec_lo
.LBB871_260:
	s_or_b32 exec_lo, exec_lo, s27
	v_dual_cndmask_b32 v32, v53, v52, s25 :: v_dual_cndmask_b32 v33, v51, v50, s25
	v_dual_cndmask_b32 v8, v8, v26, s26 :: v_dual_cndmask_b32 v7, v7, v25, s24
	v_dual_cndmask_b32 v6, v6, v24, s24 :: v_dual_cndmask_b32 v13, v13, v23, s23
	s_delay_alu instid0(VALU_DEP_3) | instskip(SKIP_2) | instid1(VALU_DEP_3)
	v_dual_add_nc_u32 v34, 1, v32 :: v_dual_cndmask_b32 v9, v9, v27, s26
	v_dual_cndmask_b32 v12, v12, v22, s23 :: v_dual_cndmask_b32 v11, v11, v21, s22
	v_dual_cndmask_b32 v10, v10, v20, s22 :: v_dual_cndmask_b32 v17, v15, v17, s21
	v_add_min_u32_e64 v32, v33, -1, v34
	v_dual_cndmask_b32 v16, v14, v16, s21 :: v_dual_cndmask_b32 v15, v5, v3, s1
	v_dual_cndmask_b32 v14, v4, v2, s1 :: v_dual_cndmask_b32 v20, v34, v53, s25
	s_delay_alu instid0(VALU_DEP_3)
	v_lshl_add_u32 v32, v32, 3, v46
	v_dual_cndmask_b32 v3, v29, v31, s25 :: v_dual_cndmask_b32 v2, v28, v30, s25
	s_mov_b32 s1, exec_lo
	ds_load_b64 v[32:33], v32
	s_wait_dscnt 0x0
	v_dual_cndmask_b32 v5, v31, v33, s25 :: v_dual_cndmask_b32 v4, v30, v32, s25
	v_cmpx_lt_u32_e64 v20, v51
	s_cbranch_execz .LBB871_268
; %bb.261:
	v_dual_cndmask_b32 v22, v52, v34, s25 :: v_dual_cndmask_b32 v21, v33, v29, s25
	s_delay_alu instid0(VALU_DEP_1) | instskip(NEXT) | instid1(VALU_DEP_2)
	v_cmp_ge_u32_e32 vcc_lo, v22, v50
	v_dual_cndmask_b32 v20, v32, v28, s25 :: v_dual_cndmask_b32 v23, v5, v21, vcc_lo
	s_delay_alu instid0(VALU_DEP_1) | instskip(SKIP_1) | instid1(SALU_CYCLE_1)
	v_cndmask_b32_e32 v22, v4, v20, vcc_lo
	s_nor_b32 s0, vcc_lo, s5
	s_and_saveexec_b32 s21, s0
	s_cbranch_execz .LBB871_267
; %bb.262:
	v_mul_u64_e32 v[22:23], s[12:13], v[20:21]
	v_mul_u64_e32 v[24:25], s[12:13], v[4:5]
	s_mov_b32 s22, 0
	s_mov_b64 s[6:7], s[12:13]
                                        ; implicit-def: $sgpr23
                                        ; implicit-def: $sgpr24
                                        ; implicit-def: $sgpr25
                                        ; implicit-def: $sgpr26
	s_delay_alu instid0(VALU_DEP_2) | instskip(NEXT) | instid1(VALU_DEP_2)
	v_lshl_add_u64 v[22:23], v[22:23], 2, s[14:15]
	v_lshl_add_u64 v[24:25], v[24:25], 2, s[14:15]
	s_branch .LBB871_264
.LBB871_263:                            ;   in Loop: Header=BB871_264 Depth=1
	s_or_b32 exec_lo, exec_lo, s0
	s_delay_alu instid0(SALU_CYCLE_1) | instskip(NEXT) | instid1(SALU_CYCLE_1)
	s_and_b32 s0, exec_lo, s24
	s_or_b32 s22, s0, s22
	s_and_not1_b32 s0, s26, exec_lo
	s_and_b32 s26, s27, exec_lo
	s_and_not1_b32 s23, s23, exec_lo
	s_and_b32 s27, s25, exec_lo
	s_or_b32 s26, s0, s26
	s_or_b32 s23, s23, s27
	s_and_not1_b32 exec_lo, exec_lo, s22
	s_cbranch_execz .LBB871_266
.LBB871_264:                            ; =>This Inner Loop Header: Depth=1
	global_load_b32 v26, v[22:23], off
	global_load_b32 v27, v[24:25], off
	s_and_not1_b32 s25, s25, exec_lo
	s_or_b32 s24, s24, exec_lo
	s_wait_loadcnt 0x0
	v_cmp_ngt_f32_e32 vcc_lo, v26, v27
	v_cmp_lt_f32_e64 s0, v26, v27
	s_and_b32 s27, vcc_lo, s26
	s_xor_b32 s29, s0, vcc_lo
	s_or_b32 s27, s0, s27
	s_delay_alu instid0(SALU_CYCLE_1) | instskip(NEXT) | instid1(SALU_CYCLE_1)
	s_and_b32 s28, s27, exec_lo
	s_or_b32 s25, s25, s28
	s_and_saveexec_b32 s0, s29
	s_cbranch_execz .LBB871_263
; %bb.265:                              ;   in Loop: Header=BB871_264 Depth=1
	s_add_nc_u64 s[6:7], s[6:7], -1
	v_add_nc_u64_e32 v[22:23], 4, v[22:23]
	s_cmp_eq_u64 s[6:7], 0
	v_add_nc_u64_e32 v[24:25], 4, v[24:25]
	s_cselect_b32 s26, -1, 0
	s_and_not1_b32 s24, s24, exec_lo
	s_and_b32 s26, s26, exec_lo
	s_and_not1_b32 s25, s25, exec_lo
	s_or_b32 s24, s24, s26
                                        ; implicit-def: $sgpr26
	s_branch .LBB871_263
.LBB871_266:
	s_or_b32 exec_lo, exec_lo, s22
	v_dual_cndmask_b32 v23, v5, v21, s23 :: v_dual_cndmask_b32 v22, v4, v20, s23
.LBB871_267:
	s_or_b32 exec_lo, exec_lo, s21
	s_delay_alu instid0(VALU_DEP_1)
	v_mov_b64_e32 v[4:5], v[22:23]
.LBB871_268:
	s_or_b32 exec_lo, exec_lo, s1
.LBB871_269:
	s_delay_alu instid0(SALU_CYCLE_1)
	s_or_b32 exec_lo, exec_lo, s20
	v_and_b32_e32 v26, 0xe0, v48
	s_mov_b32 s1, exec_lo
	; wave barrier
	ds_store_b128 v49, v[14:17]
	ds_store_b128 v49, v[10:13] offset:16
	v_or_b32_e32 v20, 16, v26
	v_lshl_add_u32 v25, v26, 3, v46
	ds_store_b128 v49, v[6:9] offset:32
	ds_store_b128 v49, v[2:5] offset:48
	; wave barrier
	v_min_u32_e32 v50, v47, v20
	v_and_b32_e32 v20, 24, v48
	s_delay_alu instid0(VALU_DEP_2) | instskip(NEXT) | instid1(VALU_DEP_2)
	v_add_min_u32_e64 v51, v50, 16, v47
	v_min_u32_e32 v27, v47, v20
	v_sub_nc_u32_e32 v21, v50, v26
	s_delay_alu instid0(VALU_DEP_3) | instskip(NEXT) | instid1(VALU_DEP_2)
	v_sub_nc_u32_e32 v20, v51, v50
	v_min_u32_e32 v28, v27, v21
	s_delay_alu instid0(VALU_DEP_2) | instskip(NEXT) | instid1(VALU_DEP_1)
	v_sub_nc_u32_e64 v24, v27, v20 clamp
	v_cmpx_lt_u32_e64 v24, v28
	s_cbranch_execz .LBB871_279
; %bb.270:
	v_dual_lshlrev_b32 v20, 3, v50 :: v_dual_lshlrev_b32 v21, 3, v27
	s_lshl_b64 s[6:7], s[12:13], 2
	s_mov_b32 s22, 0
	s_delay_alu instid0(VALU_DEP_1)
	v_add3_u32 v29, v46, v20, v21
	s_branch .LBB871_273
.LBB871_271:                            ;   in Loop: Header=BB871_273 Depth=1
	s_or_b32 exec_lo, exec_lo, s24
.LBB871_272:                            ;   in Loop: Header=BB871_273 Depth=1
	s_delay_alu instid0(VALU_DEP_1) | instskip(NEXT) | instid1(VALU_DEP_1)
	v_dual_add_nc_u32 v20, 1, v30 :: v_dual_cndmask_b32 v28, v28, v30, s23
	v_cndmask_b32_e64 v24, v20, v24, s23
	s_delay_alu instid0(VALU_DEP_1) | instskip(SKIP_1) | instid1(SALU_CYCLE_1)
	v_cmp_ge_u32_e32 vcc_lo, v24, v28
	s_or_b32 s22, vcc_lo, s22
	s_and_not1_b32 exec_lo, exec_lo, s22
	s_cbranch_execz .LBB871_278
.LBB871_273:                            ; =>This Loop Header: Depth=1
                                        ;     Child Loop BB871_276 Depth 2
	v_add_nc_u32_e32 v20, v28, v24
	v_cmp_ne_u32_e32 vcc_lo, 1, v45
	s_mov_b32 s23, 0
	s_delay_alu instid0(VALU_DEP_2)
	v_lshrrev_b32_e32 v30, 1, v20
	s_cbranch_vccnz .LBB871_272
; %bb.274:                              ;   in Loop: Header=BB871_273 Depth=1
	s_delay_alu instid0(VALU_DEP_1) | instskip(SKIP_3) | instid1(VALU_DEP_2)
	v_not_b32_e32 v20, v30
	v_lshl_add_u32 v21, v30, 3, v25
	s_mov_b32 s24, 0
	s_mov_b64 s[20:21], s[12:13]
                                        ; implicit-def: $sgpr23
                                        ; implicit-def: $sgpr25
                                        ; implicit-def: $sgpr26
                                        ; implicit-def: $sgpr27
	v_lshl_add_u32 v20, v20, 3, v29
	ds_load_b64 v[32:33], v20
	ds_load_b64 v[34:35], v21
	s_wait_dscnt 0x1
	v_mad_nc_u64_u32 v[20:21], s6, v32, s[14:15]
	s_wait_dscnt 0x0
	v_mad_nc_u64_u32 v[22:23], s6, v34, s[14:15]
	s_delay_alu instid0(VALU_DEP_2) | instskip(NEXT) | instid1(VALU_DEP_2)
	v_mad_u32 v21, s7, v32, v21
	v_mad_u32 v23, s7, v34, v23
	s_delay_alu instid0(VALU_DEP_2) | instskip(NEXT) | instid1(VALU_DEP_2)
	v_mad_u32 v21, s6, v33, v21
	v_mad_u32 v23, s6, v35, v23
	s_branch .LBB871_276
.LBB871_275:                            ;   in Loop: Header=BB871_276 Depth=2
	s_or_b32 exec_lo, exec_lo, s0
	s_delay_alu instid0(SALU_CYCLE_1) | instskip(NEXT) | instid1(SALU_CYCLE_1)
	s_and_b32 s0, exec_lo, s25
	s_or_b32 s24, s0, s24
	s_and_not1_b32 s0, s27, exec_lo
	s_and_b32 s27, s28, exec_lo
	s_and_not1_b32 s23, s23, exec_lo
	s_and_b32 s28, s26, exec_lo
	s_or_b32 s27, s0, s27
	s_or_b32 s23, s23, s28
	s_and_not1_b32 exec_lo, exec_lo, s24
	s_cbranch_execz .LBB871_271
.LBB871_276:                            ;   Parent Loop BB871_273 Depth=1
                                        ; =>  This Inner Loop Header: Depth=2
	global_load_b32 v31, v[20:21], off
	global_load_b32 v32, v[22:23], off
	s_and_not1_b32 s26, s26, exec_lo
	s_or_b32 s25, s25, exec_lo
	s_wait_loadcnt 0x0
	v_cmp_ngt_f32_e32 vcc_lo, v31, v32
	v_cmp_lt_f32_e64 s0, v31, v32
	s_and_b32 s28, vcc_lo, s27
	s_xor_b32 s30, s0, vcc_lo
	s_or_b32 s28, s0, s28
	s_delay_alu instid0(SALU_CYCLE_1) | instskip(NEXT) | instid1(SALU_CYCLE_1)
	s_and_b32 s29, s28, exec_lo
	s_or_b32 s26, s26, s29
	s_and_saveexec_b32 s0, s30
	s_cbranch_execz .LBB871_275
; %bb.277:                              ;   in Loop: Header=BB871_276 Depth=2
	s_add_nc_u64 s[20:21], s[20:21], -1
	v_add_nc_u64_e32 v[20:21], 4, v[20:21]
	s_cmp_eq_u64 s[20:21], 0
	v_add_nc_u64_e32 v[22:23], 4, v[22:23]
	s_cselect_b32 s27, -1, 0
	s_and_not1_b32 s25, s25, exec_lo
	s_and_b32 s27, s27, exec_lo
	s_and_not1_b32 s26, s26, exec_lo
	s_or_b32 s25, s25, s27
                                        ; implicit-def: $sgpr27
	s_branch .LBB871_275
.LBB871_278:
	s_or_b32 exec_lo, exec_lo, s22
.LBB871_279:
	s_delay_alu instid0(SALU_CYCLE_1) | instskip(SKIP_1) | instid1(VALU_DEP_1)
	s_or_b32 exec_lo, exec_lo, s1
	v_dual_add_nc_u32 v21, v50, v27 :: v_dual_add_nc_u32 v20, v24, v26
	v_sub_nc_u32_e32 v21, v21, v24
	s_delay_alu instid0(VALU_DEP_2) | instskip(NEXT) | instid1(VALU_DEP_2)
	v_cmp_le_u32_e32 vcc_lo, v20, v50
	v_cmp_le_u32_e64 s0, v21, v51
	s_or_b32 s0, vcc_lo, s0
	s_delay_alu instid0(SALU_CYCLE_1)
	s_and_saveexec_b32 s20, s0
	s_cbranch_execz .LBB871_347
; %bb.280:
	s_mov_b32 s1, exec_lo
	v_cmp_ge_u32_e32 vcc_lo, v20, v50
                                        ; implicit-def: $vgpr2_vgpr3
	v_cmpx_lt_u32_e64 v20, v50
; %bb.281:
	v_lshl_add_u32 v2, v24, 3, v25
	ds_load_b64 v[2:3], v2
; %bb.282:
	s_or_b32 exec_lo, exec_lo, s1
	v_cmp_ge_u32_e64 s0, v21, v51
	s_mov_b32 s6, exec_lo
                                        ; implicit-def: $vgpr4_vgpr5
	v_cmpx_lt_u32_e64 v21, v51
; %bb.283:
	v_lshl_add_u32 v4, v21, 3, v46
	ds_load_b64 v[4:5], v4
; %bb.284:
	s_or_b32 exec_lo, exec_lo, s6
	s_or_b32 s1, vcc_lo, s0
	s_xor_b32 s6, vcc_lo, -1
	s_nor_b32 s7, s1, s5
	s_or_b32 s1, s0, s6
	s_and_saveexec_b32 s21, s7
	s_cbranch_execz .LBB871_290
; %bb.285:
	s_wait_dscnt 0x0
	v_mul_u64_e32 v[6:7], s[12:13], v[4:5]
	v_mul_u64_e32 v[8:9], s[12:13], v[2:3]
	s_mov_b32 s22, 0
	s_mov_b64 s[6:7], s[12:13]
                                        ; implicit-def: $sgpr23
                                        ; implicit-def: $sgpr24
                                        ; implicit-def: $sgpr25
                                        ; implicit-def: $sgpr26
	s_delay_alu instid0(VALU_DEP_2) | instskip(NEXT) | instid1(VALU_DEP_2)
	v_lshl_add_u64 v[6:7], v[6:7], 2, s[14:15]
	v_lshl_add_u64 v[8:9], v[8:9], 2, s[14:15]
	s_branch .LBB871_287
.LBB871_286:                            ;   in Loop: Header=BB871_287 Depth=1
	s_or_b32 exec_lo, exec_lo, s0
	s_delay_alu instid0(SALU_CYCLE_1) | instskip(NEXT) | instid1(SALU_CYCLE_1)
	s_and_b32 s0, exec_lo, s24
	s_or_b32 s22, s0, s22
	s_and_not1_b32 s0, s26, exec_lo
	s_and_b32 s26, s27, exec_lo
	s_and_not1_b32 s23, s23, exec_lo
	s_and_b32 s27, s25, exec_lo
	s_or_b32 s26, s0, s26
	s_or_b32 s23, s23, s27
	s_and_not1_b32 exec_lo, exec_lo, s22
	s_cbranch_execz .LBB871_289
.LBB871_287:                            ; =>This Inner Loop Header: Depth=1
	global_load_b32 v10, v[6:7], off
	global_load_b32 v11, v[8:9], off
	s_and_not1_b32 s25, s25, exec_lo
	s_or_b32 s24, s24, exec_lo
	s_wait_loadcnt 0x0
	v_cmp_ngt_f32_e32 vcc_lo, v10, v11
	v_cmp_lt_f32_e64 s0, v10, v11
	s_and_b32 s27, vcc_lo, s26
	s_xor_b32 s29, s0, vcc_lo
	s_or_b32 s27, s0, s27
	s_delay_alu instid0(SALU_CYCLE_1) | instskip(NEXT) | instid1(SALU_CYCLE_1)
	s_and_b32 s28, s27, exec_lo
	s_or_b32 s25, s25, s28
	s_and_saveexec_b32 s0, s29
	s_cbranch_execz .LBB871_286
; %bb.288:                              ;   in Loop: Header=BB871_287 Depth=1
	s_add_nc_u64 s[6:7], s[6:7], -1
	v_add_nc_u64_e32 v[6:7], 4, v[6:7]
	s_cmp_eq_u64 s[6:7], 0
	v_add_nc_u64_e32 v[8:9], 4, v[8:9]
	s_cselect_b32 s26, -1, 0
	s_and_not1_b32 s24, s24, exec_lo
	s_and_b32 s26, s26, exec_lo
	s_and_not1_b32 s25, s25, exec_lo
	s_or_b32 s24, s24, s26
                                        ; implicit-def: $sgpr26
	s_branch .LBB871_286
.LBB871_289:
	s_or_b32 exec_lo, exec_lo, s22
	s_xor_b32 s0, s23, -1
	s_and_not1_b32 s1, s1, exec_lo
	s_and_b32 s0, s0, exec_lo
	s_delay_alu instid0(SALU_CYCLE_1)
	s_or_b32 s1, s1, s0
.LBB871_290:
	s_or_b32 exec_lo, exec_lo, s21
	v_dual_cndmask_b32 v6, v21, v20, s1 :: v_dual_cndmask_b32 v7, v51, v50, s1
	s_mov_b32 s22, -1
	s_mov_b32 s21, -1
	s_mov_b32 s23, exec_lo
	s_delay_alu instid0(VALU_DEP_1) | instskip(NEXT) | instid1(VALU_DEP_1)
	v_add_nc_u32_e32 v8, 1, v6
	v_add_min_u32_e64 v6, v7, -1, v8
	s_delay_alu instid0(VALU_DEP_1)
	v_lshl_add_u32 v6, v6, 3, v46
	ds_load_b64 v[6:7], v6
	s_wait_dscnt 0x0
	v_cndmask_b32_e64 v15, v7, v5, s1
	v_dual_cndmask_b32 v10, v8, v21, s1 :: v_dual_cndmask_b32 v14, v6, v4, s1
	v_dual_cndmask_b32 v11, v20, v8, s1 :: v_dual_cndmask_b32 v17, v3, v7, s1
	v_cndmask_b32_e64 v16, v2, v6, s1
	s_delay_alu instid0(VALU_DEP_3)
	v_cmpx_lt_u32_e64 v10, v51
	s_cbranch_execz .LBB871_298
; %bb.291:
	s_delay_alu instid0(VALU_DEP_3) | instskip(SKIP_1) | instid1(SALU_CYCLE_1)
	v_cmp_lt_u32_e64 s21, v11, v50
	s_xor_b32 s0, s5, -1
	s_and_b32 s0, s21, s0
	s_delay_alu instid0(SALU_CYCLE_1)
	s_and_saveexec_b32 s24, s0
	s_cbranch_execz .LBB871_297
; %bb.292:
	v_mul_u64_e32 v[6:7], s[12:13], v[14:15]
	v_mul_u64_e32 v[8:9], s[12:13], v[16:17]
	s_mov_b32 s25, 0
	s_mov_b64 s[6:7], s[12:13]
                                        ; implicit-def: $sgpr26
                                        ; implicit-def: $sgpr27
                                        ; implicit-def: $sgpr28
                                        ; implicit-def: $sgpr29
	s_delay_alu instid0(VALU_DEP_2) | instskip(NEXT) | instid1(VALU_DEP_2)
	v_lshl_add_u64 v[6:7], v[6:7], 2, s[14:15]
	v_lshl_add_u64 v[8:9], v[8:9], 2, s[14:15]
	s_branch .LBB871_294
.LBB871_293:                            ;   in Loop: Header=BB871_294 Depth=1
	s_or_b32 exec_lo, exec_lo, s0
	s_delay_alu instid0(SALU_CYCLE_1) | instskip(NEXT) | instid1(SALU_CYCLE_1)
	s_and_b32 s0, exec_lo, s27
	s_or_b32 s25, s0, s25
	s_and_not1_b32 s0, s29, exec_lo
	s_and_b32 s29, s30, exec_lo
	s_and_not1_b32 s26, s26, exec_lo
	s_and_b32 s30, s28, exec_lo
	s_or_b32 s29, s0, s29
	s_or_b32 s26, s26, s30
	s_and_not1_b32 exec_lo, exec_lo, s25
	s_cbranch_execz .LBB871_296
.LBB871_294:                            ; =>This Inner Loop Header: Depth=1
	global_load_b32 v12, v[6:7], off
	global_load_b32 v13, v[8:9], off
	s_and_not1_b32 s28, s28, exec_lo
	s_or_b32 s27, s27, exec_lo
	s_wait_loadcnt 0x0
	v_cmp_ngt_f32_e32 vcc_lo, v12, v13
	v_cmp_lt_f32_e64 s0, v12, v13
	s_and_b32 s30, vcc_lo, s29
	s_xor_b32 s33, s0, vcc_lo
	s_or_b32 s30, s0, s30
	s_delay_alu instid0(SALU_CYCLE_1) | instskip(NEXT) | instid1(SALU_CYCLE_1)
	s_and_b32 s31, s30, exec_lo
	s_or_b32 s28, s28, s31
	s_and_saveexec_b32 s0, s33
	s_cbranch_execz .LBB871_293
; %bb.295:                              ;   in Loop: Header=BB871_294 Depth=1
	s_add_nc_u64 s[6:7], s[6:7], -1
	v_add_nc_u64_e32 v[6:7], 4, v[6:7]
	s_cmp_eq_u64 s[6:7], 0
	v_add_nc_u64_e32 v[8:9], 4, v[8:9]
	s_cselect_b32 s29, -1, 0
	s_and_not1_b32 s27, s27, exec_lo
	s_and_b32 s29, s29, exec_lo
	s_and_not1_b32 s28, s28, exec_lo
	s_or_b32 s27, s27, s29
                                        ; implicit-def: $sgpr29
	s_branch .LBB871_293
.LBB871_296:
	s_or_b32 exec_lo, exec_lo, s25
	s_xor_b32 s0, s26, -1
	s_and_not1_b32 s6, s21, exec_lo
	s_and_b32 s0, s0, exec_lo
	s_delay_alu instid0(SALU_CYCLE_1)
	s_or_b32 s21, s6, s0
.LBB871_297:
	s_or_b32 exec_lo, exec_lo, s24
	s_delay_alu instid0(SALU_CYCLE_1)
	s_or_not1_b32 s21, s21, exec_lo
.LBB871_298:
	s_or_b32 exec_lo, exec_lo, s23
	v_dual_cndmask_b32 v6, v10, v11, s21 :: v_dual_cndmask_b32 v7, v51, v50, s21
	s_mov_b32 s23, exec_lo
	s_delay_alu instid0(VALU_DEP_1) | instskip(NEXT) | instid1(VALU_DEP_1)
	v_add_nc_u32_e32 v8, 1, v6
	v_add_min_u32_e64 v6, v7, -1, v8
	s_delay_alu instid0(VALU_DEP_1)
	v_lshl_add_u32 v6, v6, 3, v46
	ds_load_b64 v[6:7], v6
	v_cndmask_b32_e64 v13, v11, v8, s21
	s_wait_dscnt 0x0
	v_dual_cndmask_b32 v11, v7, v15, s21 :: v_dual_cndmask_b32 v12, v8, v10, s21
	v_dual_cndmask_b32 v21, v17, v7, s21 :: v_dual_cndmask_b32 v10, v6, v14, s21
	v_cndmask_b32_e64 v20, v16, v6, s21
	s_delay_alu instid0(VALU_DEP_3)
	v_cmpx_lt_u32_e64 v12, v51
	s_cbranch_execz .LBB871_306
; %bb.299:
	v_cmp_lt_u32_e64 s22, v13, v50
	s_xor_b32 s0, s5, -1
	s_delay_alu instid0(SALU_CYCLE_1) | instskip(NEXT) | instid1(SALU_CYCLE_1)
	s_and_b32 s0, s22, s0
	s_and_saveexec_b32 s24, s0
	s_cbranch_execz .LBB871_305
; %bb.300:
	v_mul_u64_e32 v[6:7], s[12:13], v[10:11]
	v_mul_u64_e32 v[8:9], s[12:13], v[20:21]
	s_mov_b32 s25, 0
	s_mov_b64 s[6:7], s[12:13]
                                        ; implicit-def: $sgpr26
                                        ; implicit-def: $sgpr27
                                        ; implicit-def: $sgpr28
                                        ; implicit-def: $sgpr29
	s_delay_alu instid0(VALU_DEP_2) | instskip(NEXT) | instid1(VALU_DEP_2)
	v_lshl_add_u64 v[6:7], v[6:7], 2, s[14:15]
	v_lshl_add_u64 v[8:9], v[8:9], 2, s[14:15]
	s_branch .LBB871_302
.LBB871_301:                            ;   in Loop: Header=BB871_302 Depth=1
	s_or_b32 exec_lo, exec_lo, s0
	s_delay_alu instid0(SALU_CYCLE_1) | instskip(NEXT) | instid1(SALU_CYCLE_1)
	s_and_b32 s0, exec_lo, s27
	s_or_b32 s25, s0, s25
	s_and_not1_b32 s0, s29, exec_lo
	s_and_b32 s29, s30, exec_lo
	s_and_not1_b32 s26, s26, exec_lo
	s_and_b32 s30, s28, exec_lo
	s_or_b32 s29, s0, s29
	s_or_b32 s26, s26, s30
	s_and_not1_b32 exec_lo, exec_lo, s25
	s_cbranch_execz .LBB871_304
.LBB871_302:                            ; =>This Inner Loop Header: Depth=1
	global_load_b32 v22, v[6:7], off
	global_load_b32 v23, v[8:9], off
	s_and_not1_b32 s28, s28, exec_lo
	s_or_b32 s27, s27, exec_lo
	s_wait_loadcnt 0x0
	v_cmp_ngt_f32_e32 vcc_lo, v22, v23
	v_cmp_lt_f32_e64 s0, v22, v23
	s_and_b32 s30, vcc_lo, s29
	s_xor_b32 s33, s0, vcc_lo
	s_or_b32 s30, s0, s30
	s_delay_alu instid0(SALU_CYCLE_1) | instskip(NEXT) | instid1(SALU_CYCLE_1)
	s_and_b32 s31, s30, exec_lo
	s_or_b32 s28, s28, s31
	s_and_saveexec_b32 s0, s33
	s_cbranch_execz .LBB871_301
; %bb.303:                              ;   in Loop: Header=BB871_302 Depth=1
	s_add_nc_u64 s[6:7], s[6:7], -1
	v_add_nc_u64_e32 v[6:7], 4, v[6:7]
	s_cmp_eq_u64 s[6:7], 0
	v_add_nc_u64_e32 v[8:9], 4, v[8:9]
	s_cselect_b32 s29, -1, 0
	s_and_not1_b32 s27, s27, exec_lo
	s_and_b32 s29, s29, exec_lo
	s_and_not1_b32 s28, s28, exec_lo
	s_or_b32 s27, s27, s29
                                        ; implicit-def: $sgpr29
	s_branch .LBB871_301
.LBB871_304:
	s_or_b32 exec_lo, exec_lo, s25
	s_xor_b32 s0, s26, -1
	s_and_not1_b32 s6, s22, exec_lo
	s_and_b32 s0, s0, exec_lo
	s_delay_alu instid0(SALU_CYCLE_1)
	s_or_b32 s22, s6, s0
.LBB871_305:
	s_or_b32 exec_lo, exec_lo, s24
	s_delay_alu instid0(SALU_CYCLE_1)
	s_or_not1_b32 s22, s22, exec_lo
.LBB871_306:
	s_or_b32 exec_lo, exec_lo, s23
	v_dual_cndmask_b32 v6, v12, v13, s22 :: v_dual_cndmask_b32 v7, v51, v50, s22
	s_mov_b32 s24, -1
	s_mov_b32 s23, -1
	s_mov_b32 s25, exec_lo
	s_delay_alu instid0(VALU_DEP_1) | instskip(NEXT) | instid1(VALU_DEP_1)
	v_add_nc_u32_e32 v8, 1, v6
	v_add_min_u32_e64 v6, v7, -1, v8
	s_delay_alu instid0(VALU_DEP_1)
	v_lshl_add_u32 v6, v6, 3, v46
	ds_load_b64 v[6:7], v6
	s_wait_dscnt 0x0
	v_dual_cndmask_b32 v25, v13, v8, s22 :: v_dual_cndmask_b32 v22, v20, v6, s22
	v_dual_cndmask_b32 v13, v7, v11, s22 :: v_dual_cndmask_b32 v24, v8, v12, s22
	;; [unrolled: 1-line block ×3, first 2 shown]
	s_delay_alu instid0(VALU_DEP_2)
	v_cmpx_lt_u32_e64 v24, v51
	s_cbranch_execz .LBB871_314
; %bb.307:
	v_cmp_lt_u32_e64 s23, v25, v50
	s_xor_b32 s0, s5, -1
	s_delay_alu instid0(SALU_CYCLE_1) | instskip(NEXT) | instid1(SALU_CYCLE_1)
	s_and_b32 s0, s23, s0
	s_and_saveexec_b32 s26, s0
	s_cbranch_execz .LBB871_313
; %bb.308:
	v_mul_u64_e32 v[6:7], s[12:13], v[12:13]
	v_mul_u64_e32 v[8:9], s[12:13], v[22:23]
	s_mov_b32 s27, 0
	s_mov_b64 s[6:7], s[12:13]
                                        ; implicit-def: $sgpr28
                                        ; implicit-def: $sgpr29
                                        ; implicit-def: $sgpr30
                                        ; implicit-def: $sgpr31
	s_delay_alu instid0(VALU_DEP_2) | instskip(NEXT) | instid1(VALU_DEP_2)
	v_lshl_add_u64 v[6:7], v[6:7], 2, s[14:15]
	v_lshl_add_u64 v[8:9], v[8:9], 2, s[14:15]
	s_branch .LBB871_310
.LBB871_309:                            ;   in Loop: Header=BB871_310 Depth=1
	s_or_b32 exec_lo, exec_lo, s0
	s_delay_alu instid0(SALU_CYCLE_1) | instskip(NEXT) | instid1(SALU_CYCLE_1)
	s_and_b32 s0, exec_lo, s29
	s_or_b32 s27, s0, s27
	s_and_not1_b32 s0, s31, exec_lo
	s_and_b32 s31, s33, exec_lo
	s_and_not1_b32 s28, s28, exec_lo
	s_and_b32 s33, s30, exec_lo
	s_or_b32 s31, s0, s31
	s_or_b32 s28, s28, s33
	s_and_not1_b32 exec_lo, exec_lo, s27
	s_cbranch_execz .LBB871_312
.LBB871_310:                            ; =>This Inner Loop Header: Depth=1
	global_load_b32 v26, v[6:7], off
	global_load_b32 v27, v[8:9], off
	s_and_not1_b32 s30, s30, exec_lo
	s_or_b32 s29, s29, exec_lo
	s_wait_loadcnt 0x0
	v_cmp_ngt_f32_e32 vcc_lo, v26, v27
	v_cmp_lt_f32_e64 s0, v26, v27
	s_and_b32 s33, vcc_lo, s31
	s_xor_b32 s35, s0, vcc_lo
	s_or_b32 s33, s0, s33
	s_delay_alu instid0(SALU_CYCLE_1) | instskip(NEXT) | instid1(SALU_CYCLE_1)
	s_and_b32 s34, s33, exec_lo
	s_or_b32 s30, s30, s34
	s_and_saveexec_b32 s0, s35
	s_cbranch_execz .LBB871_309
; %bb.311:                              ;   in Loop: Header=BB871_310 Depth=1
	s_add_nc_u64 s[6:7], s[6:7], -1
	v_add_nc_u64_e32 v[6:7], 4, v[6:7]
	s_cmp_eq_u64 s[6:7], 0
	v_add_nc_u64_e32 v[8:9], 4, v[8:9]
	s_cselect_b32 s31, -1, 0
	s_and_not1_b32 s29, s29, exec_lo
	s_and_b32 s31, s31, exec_lo
	s_and_not1_b32 s30, s30, exec_lo
	s_or_b32 s29, s29, s31
                                        ; implicit-def: $sgpr31
	s_branch .LBB871_309
.LBB871_312:
	s_or_b32 exec_lo, exec_lo, s27
	s_xor_b32 s0, s28, -1
	s_and_not1_b32 s6, s23, exec_lo
	s_and_b32 s0, s0, exec_lo
	s_delay_alu instid0(SALU_CYCLE_1)
	s_or_b32 s23, s6, s0
.LBB871_313:
	s_or_b32 exec_lo, exec_lo, s26
	s_delay_alu instid0(SALU_CYCLE_1)
	s_or_not1_b32 s23, s23, exec_lo
.LBB871_314:
	s_or_b32 exec_lo, exec_lo, s25
	v_dual_cndmask_b32 v6, v24, v25, s23 :: v_dual_cndmask_b32 v7, v51, v50, s23
	s_mov_b32 s25, exec_lo
	s_delay_alu instid0(VALU_DEP_1) | instskip(NEXT) | instid1(VALU_DEP_1)
	v_add_nc_u32_e32 v6, 1, v6
	v_add_min_u32_e64 v7, v7, -1, v6
	s_delay_alu instid0(VALU_DEP_1)
	v_lshl_add_u32 v7, v7, 3, v46
	ds_load_b64 v[8:9], v7
	s_wait_dscnt 0x0
	v_dual_cndmask_b32 v7, v9, v13, s23 :: v_dual_cndmask_b32 v28, v6, v24, s23
	v_dual_cndmask_b32 v29, v25, v6, s23 :: v_dual_cndmask_b32 v6, v8, v12, s23
	;; [unrolled: 1-line block ×3, first 2 shown]
	s_delay_alu instid0(VALU_DEP_3)
	v_cmpx_lt_u32_e64 v28, v51
	s_cbranch_execz .LBB871_322
; %bb.315:
	s_delay_alu instid0(VALU_DEP_3) | instskip(SKIP_1) | instid1(SALU_CYCLE_1)
	v_cmp_lt_u32_e64 s24, v29, v50
	s_xor_b32 s0, s5, -1
	s_and_b32 s0, s24, s0
	s_delay_alu instid0(SALU_CYCLE_1)
	s_and_saveexec_b32 s26, s0
	s_cbranch_execz .LBB871_321
; %bb.316:
	v_mul_u64_e32 v[8:9], s[12:13], v[6:7]
	v_mul_u64_e32 v[26:27], s[12:13], v[24:25]
	s_mov_b32 s27, 0
	s_mov_b64 s[6:7], s[12:13]
                                        ; implicit-def: $sgpr28
                                        ; implicit-def: $sgpr29
                                        ; implicit-def: $sgpr30
                                        ; implicit-def: $sgpr31
	s_delay_alu instid0(VALU_DEP_2) | instskip(NEXT) | instid1(VALU_DEP_2)
	v_lshl_add_u64 v[8:9], v[8:9], 2, s[14:15]
	v_lshl_add_u64 v[26:27], v[26:27], 2, s[14:15]
	s_branch .LBB871_318
.LBB871_317:                            ;   in Loop: Header=BB871_318 Depth=1
	s_or_b32 exec_lo, exec_lo, s0
	s_delay_alu instid0(SALU_CYCLE_1) | instskip(NEXT) | instid1(SALU_CYCLE_1)
	s_and_b32 s0, exec_lo, s29
	s_or_b32 s27, s0, s27
	s_and_not1_b32 s0, s31, exec_lo
	s_and_b32 s31, s33, exec_lo
	s_and_not1_b32 s28, s28, exec_lo
	s_and_b32 s33, s30, exec_lo
	s_or_b32 s31, s0, s31
	s_or_b32 s28, s28, s33
	s_and_not1_b32 exec_lo, exec_lo, s27
	s_cbranch_execz .LBB871_320
.LBB871_318:                            ; =>This Inner Loop Header: Depth=1
	global_load_b32 v30, v[8:9], off
	global_load_b32 v31, v[26:27], off
	s_and_not1_b32 s30, s30, exec_lo
	s_or_b32 s29, s29, exec_lo
	s_wait_loadcnt 0x0
	v_cmp_ngt_f32_e32 vcc_lo, v30, v31
	v_cmp_lt_f32_e64 s0, v30, v31
	s_and_b32 s33, vcc_lo, s31
	s_xor_b32 s35, s0, vcc_lo
	s_or_b32 s33, s0, s33
	s_delay_alu instid0(SALU_CYCLE_1) | instskip(NEXT) | instid1(SALU_CYCLE_1)
	s_and_b32 s34, s33, exec_lo
	s_or_b32 s30, s30, s34
	s_and_saveexec_b32 s0, s35
	s_cbranch_execz .LBB871_317
; %bb.319:                              ;   in Loop: Header=BB871_318 Depth=1
	s_add_nc_u64 s[6:7], s[6:7], -1
	v_add_nc_u64_e32 v[8:9], 4, v[8:9]
	s_cmp_eq_u64 s[6:7], 0
	v_add_nc_u64_e32 v[26:27], 4, v[26:27]
	s_cselect_b32 s31, -1, 0
	s_and_not1_b32 s29, s29, exec_lo
	s_and_b32 s31, s31, exec_lo
	s_and_not1_b32 s30, s30, exec_lo
	s_or_b32 s29, s29, s31
                                        ; implicit-def: $sgpr31
	s_branch .LBB871_317
.LBB871_320:
	s_or_b32 exec_lo, exec_lo, s27
	s_xor_b32 s0, s28, -1
	s_and_not1_b32 s6, s24, exec_lo
	s_and_b32 s0, s0, exec_lo
	s_delay_alu instid0(SALU_CYCLE_1)
	s_or_b32 s24, s6, s0
.LBB871_321:
	s_or_b32 exec_lo, exec_lo, s26
	s_delay_alu instid0(SALU_CYCLE_1)
	s_or_not1_b32 s24, s24, exec_lo
.LBB871_322:
	s_or_b32 exec_lo, exec_lo, s25
	v_dual_cndmask_b32 v8, v28, v29, s24 :: v_dual_cndmask_b32 v9, v51, v50, s24
	s_mov_b32 s25, -1
	s_mov_b32 s26, -1
	s_mov_b32 s27, exec_lo
	s_delay_alu instid0(VALU_DEP_1) | instskip(NEXT) | instid1(VALU_DEP_1)
	v_add_nc_u32_e32 v8, 1, v8
	v_add_min_u32_e64 v9, v9, -1, v8
	s_delay_alu instid0(VALU_DEP_1)
	v_lshl_add_u32 v9, v9, 3, v46
	ds_load_b64 v[26:27], v9
	s_wait_dscnt 0x0
	v_dual_cndmask_b32 v9, v27, v7, s24 :: v_dual_cndmask_b32 v32, v8, v28, s24
	v_dual_cndmask_b32 v33, v29, v8, s24 :: v_dual_cndmask_b32 v8, v26, v6, s24
	;; [unrolled: 1-line block ×3, first 2 shown]
	s_delay_alu instid0(VALU_DEP_3)
	v_cmpx_lt_u32_e64 v32, v51
	s_cbranch_execz .LBB871_330
; %bb.323:
	s_delay_alu instid0(VALU_DEP_3) | instskip(SKIP_1) | instid1(SALU_CYCLE_1)
	v_cmp_lt_u32_e64 s26, v33, v50
	s_xor_b32 s0, s5, -1
	s_and_b32 s0, s26, s0
	s_delay_alu instid0(SALU_CYCLE_1)
	s_and_saveexec_b32 s28, s0
	s_cbranch_execz .LBB871_329
; %bb.324:
	v_mul_u64_e32 v[28:29], s[12:13], v[8:9]
	v_mul_u64_e32 v[30:31], s[12:13], v[26:27]
	s_mov_b32 s29, 0
	s_mov_b64 s[6:7], s[12:13]
                                        ; implicit-def: $sgpr30
                                        ; implicit-def: $sgpr31
                                        ; implicit-def: $sgpr33
                                        ; implicit-def: $sgpr34
	s_delay_alu instid0(VALU_DEP_2) | instskip(NEXT) | instid1(VALU_DEP_2)
	v_lshl_add_u64 v[28:29], v[28:29], 2, s[14:15]
	v_lshl_add_u64 v[30:31], v[30:31], 2, s[14:15]
	s_branch .LBB871_326
.LBB871_325:                            ;   in Loop: Header=BB871_326 Depth=1
	s_or_b32 exec_lo, exec_lo, s0
	s_delay_alu instid0(SALU_CYCLE_1) | instskip(NEXT) | instid1(SALU_CYCLE_1)
	s_and_b32 s0, exec_lo, s31
	s_or_b32 s29, s0, s29
	s_and_not1_b32 s0, s34, exec_lo
	s_and_b32 s34, s35, exec_lo
	s_and_not1_b32 s30, s30, exec_lo
	s_and_b32 s35, s33, exec_lo
	s_or_b32 s34, s0, s34
	s_or_b32 s30, s30, s35
	s_and_not1_b32 exec_lo, exec_lo, s29
	s_cbranch_execz .LBB871_328
.LBB871_326:                            ; =>This Inner Loop Header: Depth=1
	global_load_b32 v34, v[28:29], off
	global_load_b32 v35, v[30:31], off
	s_and_not1_b32 s33, s33, exec_lo
	s_or_b32 s31, s31, exec_lo
	s_wait_loadcnt 0x0
	v_cmp_ngt_f32_e32 vcc_lo, v34, v35
	v_cmp_lt_f32_e64 s0, v34, v35
	s_and_b32 s35, vcc_lo, s34
	s_xor_b32 s37, s0, vcc_lo
	s_or_b32 s35, s0, s35
	s_delay_alu instid0(SALU_CYCLE_1) | instskip(NEXT) | instid1(SALU_CYCLE_1)
	s_and_b32 s36, s35, exec_lo
	s_or_b32 s33, s33, s36
	s_and_saveexec_b32 s0, s37
	s_cbranch_execz .LBB871_325
; %bb.327:                              ;   in Loop: Header=BB871_326 Depth=1
	s_add_nc_u64 s[6:7], s[6:7], -1
	v_add_nc_u64_e32 v[28:29], 4, v[28:29]
	s_cmp_eq_u64 s[6:7], 0
	v_add_nc_u64_e32 v[30:31], 4, v[30:31]
	s_cselect_b32 s34, -1, 0
	s_and_not1_b32 s31, s31, exec_lo
	s_and_b32 s34, s34, exec_lo
	s_and_not1_b32 s33, s33, exec_lo
	s_or_b32 s31, s31, s34
                                        ; implicit-def: $sgpr34
	s_branch .LBB871_325
.LBB871_328:
	s_or_b32 exec_lo, exec_lo, s29
	s_xor_b32 s0, s30, -1
	s_and_not1_b32 s6, s26, exec_lo
	s_and_b32 s0, s0, exec_lo
	s_delay_alu instid0(SALU_CYCLE_1)
	s_or_b32 s26, s6, s0
.LBB871_329:
	s_or_b32 exec_lo, exec_lo, s28
	s_delay_alu instid0(SALU_CYCLE_1)
	s_or_not1_b32 s26, s26, exec_lo
.LBB871_330:
	s_or_b32 exec_lo, exec_lo, s27
	v_dual_cndmask_b32 v28, v32, v33, s26 :: v_dual_cndmask_b32 v29, v51, v50, s26
	s_mov_b32 s27, exec_lo
	s_delay_alu instid0(VALU_DEP_1) | instskip(NEXT) | instid1(VALU_DEP_1)
	v_add_nc_u32_e32 v28, 1, v28
	v_add_min_u32_e64 v29, v29, -1, v28
	s_delay_alu instid0(VALU_DEP_1)
	v_lshl_add_u32 v29, v29, 3, v46
	ds_load_b64 v[30:31], v29
	s_wait_dscnt 0x0
	v_dual_cndmask_b32 v29, v31, v9, s26 :: v_dual_cndmask_b32 v53, v28, v32, s26
	v_dual_cndmask_b32 v31, v27, v31, s26 :: v_dual_cndmask_b32 v52, v33, v28, s26
	v_cndmask_b32_e64 v28, v30, v8, s26
	v_cndmask_b32_e64 v30, v26, v30, s26
	s_delay_alu instid0(VALU_DEP_4)
	v_cmpx_lt_u32_e64 v53, v51
	s_cbranch_execz .LBB871_338
; %bb.331:
	v_cmp_lt_u32_e64 s25, v52, v50
	s_xor_b32 s0, s5, -1
	s_delay_alu instid0(SALU_CYCLE_1) | instskip(NEXT) | instid1(SALU_CYCLE_1)
	s_and_b32 s0, s25, s0
	s_and_saveexec_b32 s28, s0
	s_cbranch_execz .LBB871_337
; %bb.332:
	v_mul_u64_e32 v[32:33], s[12:13], v[28:29]
	v_mul_u64_e32 v[34:35], s[12:13], v[30:31]
	s_mov_b32 s29, 0
	s_mov_b64 s[6:7], s[12:13]
                                        ; implicit-def: $sgpr30
                                        ; implicit-def: $sgpr31
                                        ; implicit-def: $sgpr33
                                        ; implicit-def: $sgpr34
	s_delay_alu instid0(VALU_DEP_2) | instskip(NEXT) | instid1(VALU_DEP_2)
	v_lshl_add_u64 v[32:33], v[32:33], 2, s[14:15]
	v_lshl_add_u64 v[34:35], v[34:35], 2, s[14:15]
	s_branch .LBB871_334
.LBB871_333:                            ;   in Loop: Header=BB871_334 Depth=1
	s_or_b32 exec_lo, exec_lo, s0
	s_delay_alu instid0(SALU_CYCLE_1) | instskip(NEXT) | instid1(SALU_CYCLE_1)
	s_and_b32 s0, exec_lo, s31
	s_or_b32 s29, s0, s29
	s_and_not1_b32 s0, s34, exec_lo
	s_and_b32 s34, s35, exec_lo
	s_and_not1_b32 s30, s30, exec_lo
	s_and_b32 s35, s33, exec_lo
	s_or_b32 s34, s0, s34
	s_or_b32 s30, s30, s35
	s_and_not1_b32 exec_lo, exec_lo, s29
	s_cbranch_execz .LBB871_336
.LBB871_334:                            ; =>This Inner Loop Header: Depth=1
	global_load_b32 v54, v[32:33], off
	global_load_b32 v55, v[34:35], off
	s_and_not1_b32 s33, s33, exec_lo
	s_or_b32 s31, s31, exec_lo
	s_wait_loadcnt 0x0
	v_cmp_ngt_f32_e32 vcc_lo, v54, v55
	v_cmp_lt_f32_e64 s0, v54, v55
	s_and_b32 s35, vcc_lo, s34
	s_xor_b32 s37, s0, vcc_lo
	s_or_b32 s35, s0, s35
	s_delay_alu instid0(SALU_CYCLE_1) | instskip(NEXT) | instid1(SALU_CYCLE_1)
	s_and_b32 s36, s35, exec_lo
	s_or_b32 s33, s33, s36
	s_and_saveexec_b32 s0, s37
	s_cbranch_execz .LBB871_333
; %bb.335:                              ;   in Loop: Header=BB871_334 Depth=1
	s_add_nc_u64 s[6:7], s[6:7], -1
	v_add_nc_u64_e32 v[32:33], 4, v[32:33]
	s_cmp_eq_u64 s[6:7], 0
	v_add_nc_u64_e32 v[34:35], 4, v[34:35]
	s_cselect_b32 s34, -1, 0
	s_and_not1_b32 s31, s31, exec_lo
	s_and_b32 s34, s34, exec_lo
	s_and_not1_b32 s33, s33, exec_lo
	s_or_b32 s31, s31, s34
                                        ; implicit-def: $sgpr34
	s_branch .LBB871_333
.LBB871_336:
	s_or_b32 exec_lo, exec_lo, s29
	s_xor_b32 s0, s30, -1
	s_and_not1_b32 s6, s25, exec_lo
	s_and_b32 s0, s0, exec_lo
	s_delay_alu instid0(SALU_CYCLE_1)
	s_or_b32 s25, s6, s0
.LBB871_337:
	s_or_b32 exec_lo, exec_lo, s28
	s_delay_alu instid0(SALU_CYCLE_1)
	s_or_not1_b32 s25, s25, exec_lo
.LBB871_338:
	s_or_b32 exec_lo, exec_lo, s27
	v_dual_cndmask_b32 v32, v53, v52, s25 :: v_dual_cndmask_b32 v33, v51, v50, s25
	v_dual_cndmask_b32 v8, v8, v26, s26 :: v_dual_cndmask_b32 v7, v7, v25, s24
	;; [unrolled: 1-line block ×3, first 2 shown]
	s_delay_alu instid0(VALU_DEP_3) | instskip(SKIP_2) | instid1(VALU_DEP_3)
	v_dual_add_nc_u32 v34, 1, v32 :: v_dual_cndmask_b32 v9, v9, v27, s26
	v_dual_cndmask_b32 v12, v12, v22, s23 :: v_dual_cndmask_b32 v11, v11, v21, s22
	v_dual_cndmask_b32 v10, v10, v20, s22 :: v_dual_cndmask_b32 v17, v15, v17, s21
	v_add_min_u32_e64 v32, v33, -1, v34
	v_dual_cndmask_b32 v16, v14, v16, s21 :: v_dual_cndmask_b32 v15, v5, v3, s1
	v_dual_cndmask_b32 v14, v4, v2, s1 :: v_dual_cndmask_b32 v20, v34, v53, s25
	s_delay_alu instid0(VALU_DEP_3)
	v_lshl_add_u32 v32, v32, 3, v46
	v_dual_cndmask_b32 v3, v29, v31, s25 :: v_dual_cndmask_b32 v2, v28, v30, s25
	s_mov_b32 s1, exec_lo
	ds_load_b64 v[32:33], v32
	s_wait_dscnt 0x0
	v_dual_cndmask_b32 v5, v31, v33, s25 :: v_dual_cndmask_b32 v4, v30, v32, s25
	v_cmpx_lt_u32_e64 v20, v51
	s_cbranch_execz .LBB871_346
; %bb.339:
	v_dual_cndmask_b32 v22, v52, v34, s25 :: v_dual_cndmask_b32 v21, v33, v29, s25
	s_delay_alu instid0(VALU_DEP_1) | instskip(NEXT) | instid1(VALU_DEP_2)
	v_cmp_ge_u32_e32 vcc_lo, v22, v50
	v_dual_cndmask_b32 v20, v32, v28, s25 :: v_dual_cndmask_b32 v23, v5, v21, vcc_lo
	s_delay_alu instid0(VALU_DEP_1) | instskip(SKIP_1) | instid1(SALU_CYCLE_1)
	v_cndmask_b32_e32 v22, v4, v20, vcc_lo
	s_nor_b32 s0, vcc_lo, s5
	s_and_saveexec_b32 s21, s0
	s_cbranch_execz .LBB871_345
; %bb.340:
	v_mul_u64_e32 v[22:23], s[12:13], v[20:21]
	v_mul_u64_e32 v[24:25], s[12:13], v[4:5]
	s_mov_b32 s22, 0
	s_mov_b64 s[6:7], s[12:13]
                                        ; implicit-def: $sgpr23
                                        ; implicit-def: $sgpr24
                                        ; implicit-def: $sgpr25
                                        ; implicit-def: $sgpr26
	s_delay_alu instid0(VALU_DEP_2) | instskip(NEXT) | instid1(VALU_DEP_2)
	v_lshl_add_u64 v[22:23], v[22:23], 2, s[14:15]
	v_lshl_add_u64 v[24:25], v[24:25], 2, s[14:15]
	s_branch .LBB871_342
.LBB871_341:                            ;   in Loop: Header=BB871_342 Depth=1
	s_or_b32 exec_lo, exec_lo, s0
	s_delay_alu instid0(SALU_CYCLE_1) | instskip(NEXT) | instid1(SALU_CYCLE_1)
	s_and_b32 s0, exec_lo, s24
	s_or_b32 s22, s0, s22
	s_and_not1_b32 s0, s26, exec_lo
	s_and_b32 s26, s27, exec_lo
	s_and_not1_b32 s23, s23, exec_lo
	s_and_b32 s27, s25, exec_lo
	s_or_b32 s26, s0, s26
	s_or_b32 s23, s23, s27
	s_and_not1_b32 exec_lo, exec_lo, s22
	s_cbranch_execz .LBB871_344
.LBB871_342:                            ; =>This Inner Loop Header: Depth=1
	global_load_b32 v26, v[22:23], off
	global_load_b32 v27, v[24:25], off
	s_and_not1_b32 s25, s25, exec_lo
	s_or_b32 s24, s24, exec_lo
	s_wait_loadcnt 0x0
	v_cmp_ngt_f32_e32 vcc_lo, v26, v27
	v_cmp_lt_f32_e64 s0, v26, v27
	s_and_b32 s27, vcc_lo, s26
	s_xor_b32 s29, s0, vcc_lo
	s_or_b32 s27, s0, s27
	s_delay_alu instid0(SALU_CYCLE_1) | instskip(NEXT) | instid1(SALU_CYCLE_1)
	s_and_b32 s28, s27, exec_lo
	s_or_b32 s25, s25, s28
	s_and_saveexec_b32 s0, s29
	s_cbranch_execz .LBB871_341
; %bb.343:                              ;   in Loop: Header=BB871_342 Depth=1
	s_add_nc_u64 s[6:7], s[6:7], -1
	v_add_nc_u64_e32 v[22:23], 4, v[22:23]
	s_cmp_eq_u64 s[6:7], 0
	v_add_nc_u64_e32 v[24:25], 4, v[24:25]
	s_cselect_b32 s26, -1, 0
	s_and_not1_b32 s24, s24, exec_lo
	s_and_b32 s26, s26, exec_lo
	s_and_not1_b32 s25, s25, exec_lo
	s_or_b32 s24, s24, s26
                                        ; implicit-def: $sgpr26
	s_branch .LBB871_341
.LBB871_344:
	s_or_b32 exec_lo, exec_lo, s22
	v_dual_cndmask_b32 v23, v5, v21, s23 :: v_dual_cndmask_b32 v22, v4, v20, s23
.LBB871_345:
	s_or_b32 exec_lo, exec_lo, s21
	s_delay_alu instid0(VALU_DEP_1)
	v_mov_b64_e32 v[4:5], v[22:23]
.LBB871_346:
	s_or_b32 exec_lo, exec_lo, s1
.LBB871_347:
	s_delay_alu instid0(SALU_CYCLE_1)
	s_or_b32 exec_lo, exec_lo, s20
	v_and_b32_e32 v26, 0xc0, v48
	s_mov_b32 s1, exec_lo
	; wave barrier
	ds_store_b128 v49, v[14:17]
	ds_store_b128 v49, v[10:13] offset:16
	v_or_b32_e32 v20, 32, v26
	v_lshl_add_u32 v25, v26, 3, v46
	ds_store_b128 v49, v[6:9] offset:32
	ds_store_b128 v49, v[2:5] offset:48
	; wave barrier
	v_min_u32_e32 v50, v47, v20
	v_and_b32_e32 v20, 56, v48
	s_delay_alu instid0(VALU_DEP_2) | instskip(NEXT) | instid1(VALU_DEP_2)
	v_add_min_u32_e64 v51, v50, 32, v47
	v_min_u32_e32 v27, v47, v20
	v_sub_nc_u32_e32 v21, v50, v26
	s_delay_alu instid0(VALU_DEP_3) | instskip(NEXT) | instid1(VALU_DEP_2)
	v_sub_nc_u32_e32 v20, v51, v50
	v_min_u32_e32 v28, v27, v21
	s_delay_alu instid0(VALU_DEP_2) | instskip(NEXT) | instid1(VALU_DEP_1)
	v_sub_nc_u32_e64 v24, v27, v20 clamp
	v_cmpx_lt_u32_e64 v24, v28
	s_cbranch_execz .LBB871_357
; %bb.348:
	v_dual_lshlrev_b32 v20, 3, v50 :: v_dual_lshlrev_b32 v21, 3, v27
	s_lshl_b64 s[6:7], s[12:13], 2
	s_mov_b32 s22, 0
	s_delay_alu instid0(VALU_DEP_1)
	v_add3_u32 v29, v46, v20, v21
	s_branch .LBB871_351
.LBB871_349:                            ;   in Loop: Header=BB871_351 Depth=1
	s_or_b32 exec_lo, exec_lo, s24
.LBB871_350:                            ;   in Loop: Header=BB871_351 Depth=1
	s_delay_alu instid0(VALU_DEP_1) | instskip(NEXT) | instid1(VALU_DEP_1)
	v_dual_add_nc_u32 v20, 1, v30 :: v_dual_cndmask_b32 v28, v28, v30, s23
	v_cndmask_b32_e64 v24, v20, v24, s23
	s_delay_alu instid0(VALU_DEP_1) | instskip(SKIP_1) | instid1(SALU_CYCLE_1)
	v_cmp_ge_u32_e32 vcc_lo, v24, v28
	s_or_b32 s22, vcc_lo, s22
	s_and_not1_b32 exec_lo, exec_lo, s22
	s_cbranch_execz .LBB871_356
.LBB871_351:                            ; =>This Loop Header: Depth=1
                                        ;     Child Loop BB871_354 Depth 2
	v_add_nc_u32_e32 v20, v28, v24
	v_cmp_ne_u32_e32 vcc_lo, 1, v45
	s_mov_b32 s23, 0
	s_delay_alu instid0(VALU_DEP_2)
	v_lshrrev_b32_e32 v30, 1, v20
	s_cbranch_vccnz .LBB871_350
; %bb.352:                              ;   in Loop: Header=BB871_351 Depth=1
	s_delay_alu instid0(VALU_DEP_1) | instskip(SKIP_3) | instid1(VALU_DEP_2)
	v_not_b32_e32 v20, v30
	v_lshl_add_u32 v21, v30, 3, v25
	s_mov_b32 s24, 0
	s_mov_b64 s[20:21], s[12:13]
                                        ; implicit-def: $sgpr23
                                        ; implicit-def: $sgpr25
                                        ; implicit-def: $sgpr26
                                        ; implicit-def: $sgpr27
	v_lshl_add_u32 v20, v20, 3, v29
	ds_load_b64 v[32:33], v20
	ds_load_b64 v[34:35], v21
	s_wait_dscnt 0x1
	v_mad_nc_u64_u32 v[20:21], s6, v32, s[14:15]
	s_wait_dscnt 0x0
	v_mad_nc_u64_u32 v[22:23], s6, v34, s[14:15]
	s_delay_alu instid0(VALU_DEP_2) | instskip(NEXT) | instid1(VALU_DEP_2)
	v_mad_u32 v21, s7, v32, v21
	v_mad_u32 v23, s7, v34, v23
	s_delay_alu instid0(VALU_DEP_2) | instskip(NEXT) | instid1(VALU_DEP_2)
	v_mad_u32 v21, s6, v33, v21
	v_mad_u32 v23, s6, v35, v23
	s_branch .LBB871_354
.LBB871_353:                            ;   in Loop: Header=BB871_354 Depth=2
	s_or_b32 exec_lo, exec_lo, s0
	s_delay_alu instid0(SALU_CYCLE_1) | instskip(NEXT) | instid1(SALU_CYCLE_1)
	s_and_b32 s0, exec_lo, s25
	s_or_b32 s24, s0, s24
	s_and_not1_b32 s0, s27, exec_lo
	s_and_b32 s27, s28, exec_lo
	s_and_not1_b32 s23, s23, exec_lo
	s_and_b32 s28, s26, exec_lo
	s_or_b32 s27, s0, s27
	s_or_b32 s23, s23, s28
	s_and_not1_b32 exec_lo, exec_lo, s24
	s_cbranch_execz .LBB871_349
.LBB871_354:                            ;   Parent Loop BB871_351 Depth=1
                                        ; =>  This Inner Loop Header: Depth=2
	global_load_b32 v31, v[20:21], off
	global_load_b32 v32, v[22:23], off
	s_and_not1_b32 s26, s26, exec_lo
	s_or_b32 s25, s25, exec_lo
	s_wait_loadcnt 0x0
	v_cmp_ngt_f32_e32 vcc_lo, v31, v32
	v_cmp_lt_f32_e64 s0, v31, v32
	s_and_b32 s28, vcc_lo, s27
	s_xor_b32 s30, s0, vcc_lo
	s_or_b32 s28, s0, s28
	s_delay_alu instid0(SALU_CYCLE_1) | instskip(NEXT) | instid1(SALU_CYCLE_1)
	s_and_b32 s29, s28, exec_lo
	s_or_b32 s26, s26, s29
	s_and_saveexec_b32 s0, s30
	s_cbranch_execz .LBB871_353
; %bb.355:                              ;   in Loop: Header=BB871_354 Depth=2
	s_add_nc_u64 s[20:21], s[20:21], -1
	v_add_nc_u64_e32 v[20:21], 4, v[20:21]
	s_cmp_eq_u64 s[20:21], 0
	v_add_nc_u64_e32 v[22:23], 4, v[22:23]
	s_cselect_b32 s27, -1, 0
	s_and_not1_b32 s25, s25, exec_lo
	s_and_b32 s27, s27, exec_lo
	s_and_not1_b32 s26, s26, exec_lo
	s_or_b32 s25, s25, s27
                                        ; implicit-def: $sgpr27
	s_branch .LBB871_353
.LBB871_356:
	s_or_b32 exec_lo, exec_lo, s22
.LBB871_357:
	s_delay_alu instid0(SALU_CYCLE_1) | instskip(SKIP_1) | instid1(VALU_DEP_1)
	s_or_b32 exec_lo, exec_lo, s1
	v_dual_add_nc_u32 v21, v50, v27 :: v_dual_add_nc_u32 v20, v24, v26
	v_sub_nc_u32_e32 v21, v21, v24
	s_delay_alu instid0(VALU_DEP_2) | instskip(NEXT) | instid1(VALU_DEP_2)
	v_cmp_le_u32_e32 vcc_lo, v20, v50
	v_cmp_le_u32_e64 s0, v21, v51
	s_or_b32 s0, vcc_lo, s0
	s_delay_alu instid0(SALU_CYCLE_1)
	s_and_saveexec_b32 s20, s0
	s_cbranch_execz .LBB871_425
; %bb.358:
	s_mov_b32 s1, exec_lo
	v_cmp_ge_u32_e32 vcc_lo, v20, v50
                                        ; implicit-def: $vgpr2_vgpr3
	v_cmpx_lt_u32_e64 v20, v50
; %bb.359:
	v_lshl_add_u32 v2, v24, 3, v25
	ds_load_b64 v[2:3], v2
; %bb.360:
	s_or_b32 exec_lo, exec_lo, s1
	v_cmp_ge_u32_e64 s0, v21, v51
	s_mov_b32 s6, exec_lo
                                        ; implicit-def: $vgpr4_vgpr5
	v_cmpx_lt_u32_e64 v21, v51
; %bb.361:
	v_lshl_add_u32 v4, v21, 3, v46
	ds_load_b64 v[4:5], v4
; %bb.362:
	s_or_b32 exec_lo, exec_lo, s6
	s_or_b32 s1, vcc_lo, s0
	s_xor_b32 s6, vcc_lo, -1
	s_nor_b32 s7, s1, s5
	s_or_b32 s1, s0, s6
	s_and_saveexec_b32 s21, s7
	s_cbranch_execz .LBB871_368
; %bb.363:
	s_wait_dscnt 0x0
	v_mul_u64_e32 v[6:7], s[12:13], v[4:5]
	v_mul_u64_e32 v[8:9], s[12:13], v[2:3]
	s_mov_b32 s22, 0
	s_mov_b64 s[6:7], s[12:13]
                                        ; implicit-def: $sgpr23
                                        ; implicit-def: $sgpr24
                                        ; implicit-def: $sgpr25
                                        ; implicit-def: $sgpr26
	s_delay_alu instid0(VALU_DEP_2) | instskip(NEXT) | instid1(VALU_DEP_2)
	v_lshl_add_u64 v[6:7], v[6:7], 2, s[14:15]
	v_lshl_add_u64 v[8:9], v[8:9], 2, s[14:15]
	s_branch .LBB871_365
.LBB871_364:                            ;   in Loop: Header=BB871_365 Depth=1
	s_or_b32 exec_lo, exec_lo, s0
	s_delay_alu instid0(SALU_CYCLE_1) | instskip(NEXT) | instid1(SALU_CYCLE_1)
	s_and_b32 s0, exec_lo, s24
	s_or_b32 s22, s0, s22
	s_and_not1_b32 s0, s26, exec_lo
	s_and_b32 s26, s27, exec_lo
	s_and_not1_b32 s23, s23, exec_lo
	s_and_b32 s27, s25, exec_lo
	s_or_b32 s26, s0, s26
	s_or_b32 s23, s23, s27
	s_and_not1_b32 exec_lo, exec_lo, s22
	s_cbranch_execz .LBB871_367
.LBB871_365:                            ; =>This Inner Loop Header: Depth=1
	global_load_b32 v10, v[6:7], off
	global_load_b32 v11, v[8:9], off
	s_and_not1_b32 s25, s25, exec_lo
	s_or_b32 s24, s24, exec_lo
	s_wait_loadcnt 0x0
	v_cmp_ngt_f32_e32 vcc_lo, v10, v11
	v_cmp_lt_f32_e64 s0, v10, v11
	s_and_b32 s27, vcc_lo, s26
	s_xor_b32 s29, s0, vcc_lo
	s_or_b32 s27, s0, s27
	s_delay_alu instid0(SALU_CYCLE_1) | instskip(NEXT) | instid1(SALU_CYCLE_1)
	s_and_b32 s28, s27, exec_lo
	s_or_b32 s25, s25, s28
	s_and_saveexec_b32 s0, s29
	s_cbranch_execz .LBB871_364
; %bb.366:                              ;   in Loop: Header=BB871_365 Depth=1
	s_add_nc_u64 s[6:7], s[6:7], -1
	v_add_nc_u64_e32 v[6:7], 4, v[6:7]
	s_cmp_eq_u64 s[6:7], 0
	v_add_nc_u64_e32 v[8:9], 4, v[8:9]
	s_cselect_b32 s26, -1, 0
	s_and_not1_b32 s24, s24, exec_lo
	s_and_b32 s26, s26, exec_lo
	s_and_not1_b32 s25, s25, exec_lo
	s_or_b32 s24, s24, s26
                                        ; implicit-def: $sgpr26
	s_branch .LBB871_364
.LBB871_367:
	s_or_b32 exec_lo, exec_lo, s22
	s_xor_b32 s0, s23, -1
	s_and_not1_b32 s1, s1, exec_lo
	s_and_b32 s0, s0, exec_lo
	s_delay_alu instid0(SALU_CYCLE_1)
	s_or_b32 s1, s1, s0
.LBB871_368:
	s_or_b32 exec_lo, exec_lo, s21
	v_dual_cndmask_b32 v6, v21, v20, s1 :: v_dual_cndmask_b32 v7, v51, v50, s1
	s_mov_b32 s22, -1
	s_mov_b32 s21, -1
	s_mov_b32 s23, exec_lo
	s_delay_alu instid0(VALU_DEP_1) | instskip(NEXT) | instid1(VALU_DEP_1)
	v_add_nc_u32_e32 v8, 1, v6
	v_add_min_u32_e64 v6, v7, -1, v8
	s_delay_alu instid0(VALU_DEP_1)
	v_lshl_add_u32 v6, v6, 3, v46
	ds_load_b64 v[6:7], v6
	s_wait_dscnt 0x0
	v_cndmask_b32_e64 v15, v7, v5, s1
	v_dual_cndmask_b32 v10, v8, v21, s1 :: v_dual_cndmask_b32 v14, v6, v4, s1
	v_dual_cndmask_b32 v11, v20, v8, s1 :: v_dual_cndmask_b32 v17, v3, v7, s1
	v_cndmask_b32_e64 v16, v2, v6, s1
	s_delay_alu instid0(VALU_DEP_3)
	v_cmpx_lt_u32_e64 v10, v51
	s_cbranch_execz .LBB871_376
; %bb.369:
	s_delay_alu instid0(VALU_DEP_3) | instskip(SKIP_1) | instid1(SALU_CYCLE_1)
	v_cmp_lt_u32_e64 s21, v11, v50
	s_xor_b32 s0, s5, -1
	s_and_b32 s0, s21, s0
	s_delay_alu instid0(SALU_CYCLE_1)
	s_and_saveexec_b32 s24, s0
	s_cbranch_execz .LBB871_375
; %bb.370:
	v_mul_u64_e32 v[6:7], s[12:13], v[14:15]
	v_mul_u64_e32 v[8:9], s[12:13], v[16:17]
	s_mov_b32 s25, 0
	s_mov_b64 s[6:7], s[12:13]
                                        ; implicit-def: $sgpr26
                                        ; implicit-def: $sgpr27
                                        ; implicit-def: $sgpr28
                                        ; implicit-def: $sgpr29
	s_delay_alu instid0(VALU_DEP_2) | instskip(NEXT) | instid1(VALU_DEP_2)
	v_lshl_add_u64 v[6:7], v[6:7], 2, s[14:15]
	v_lshl_add_u64 v[8:9], v[8:9], 2, s[14:15]
	s_branch .LBB871_372
.LBB871_371:                            ;   in Loop: Header=BB871_372 Depth=1
	s_or_b32 exec_lo, exec_lo, s0
	s_delay_alu instid0(SALU_CYCLE_1) | instskip(NEXT) | instid1(SALU_CYCLE_1)
	s_and_b32 s0, exec_lo, s27
	s_or_b32 s25, s0, s25
	s_and_not1_b32 s0, s29, exec_lo
	s_and_b32 s29, s30, exec_lo
	s_and_not1_b32 s26, s26, exec_lo
	s_and_b32 s30, s28, exec_lo
	s_or_b32 s29, s0, s29
	s_or_b32 s26, s26, s30
	s_and_not1_b32 exec_lo, exec_lo, s25
	s_cbranch_execz .LBB871_374
.LBB871_372:                            ; =>This Inner Loop Header: Depth=1
	global_load_b32 v12, v[6:7], off
	global_load_b32 v13, v[8:9], off
	s_and_not1_b32 s28, s28, exec_lo
	s_or_b32 s27, s27, exec_lo
	s_wait_loadcnt 0x0
	v_cmp_ngt_f32_e32 vcc_lo, v12, v13
	v_cmp_lt_f32_e64 s0, v12, v13
	s_and_b32 s30, vcc_lo, s29
	s_xor_b32 s33, s0, vcc_lo
	s_or_b32 s30, s0, s30
	s_delay_alu instid0(SALU_CYCLE_1) | instskip(NEXT) | instid1(SALU_CYCLE_1)
	s_and_b32 s31, s30, exec_lo
	s_or_b32 s28, s28, s31
	s_and_saveexec_b32 s0, s33
	s_cbranch_execz .LBB871_371
; %bb.373:                              ;   in Loop: Header=BB871_372 Depth=1
	s_add_nc_u64 s[6:7], s[6:7], -1
	v_add_nc_u64_e32 v[6:7], 4, v[6:7]
	s_cmp_eq_u64 s[6:7], 0
	v_add_nc_u64_e32 v[8:9], 4, v[8:9]
	s_cselect_b32 s29, -1, 0
	s_and_not1_b32 s27, s27, exec_lo
	s_and_b32 s29, s29, exec_lo
	s_and_not1_b32 s28, s28, exec_lo
	s_or_b32 s27, s27, s29
                                        ; implicit-def: $sgpr29
	s_branch .LBB871_371
.LBB871_374:
	s_or_b32 exec_lo, exec_lo, s25
	s_xor_b32 s0, s26, -1
	s_and_not1_b32 s6, s21, exec_lo
	s_and_b32 s0, s0, exec_lo
	s_delay_alu instid0(SALU_CYCLE_1)
	s_or_b32 s21, s6, s0
.LBB871_375:
	s_or_b32 exec_lo, exec_lo, s24
	s_delay_alu instid0(SALU_CYCLE_1)
	s_or_not1_b32 s21, s21, exec_lo
.LBB871_376:
	s_or_b32 exec_lo, exec_lo, s23
	v_dual_cndmask_b32 v6, v10, v11, s21 :: v_dual_cndmask_b32 v7, v51, v50, s21
	s_mov_b32 s23, exec_lo
	s_delay_alu instid0(VALU_DEP_1) | instskip(NEXT) | instid1(VALU_DEP_1)
	v_add_nc_u32_e32 v8, 1, v6
	v_add_min_u32_e64 v6, v7, -1, v8
	s_delay_alu instid0(VALU_DEP_1)
	v_lshl_add_u32 v6, v6, 3, v46
	ds_load_b64 v[6:7], v6
	v_cndmask_b32_e64 v13, v11, v8, s21
	s_wait_dscnt 0x0
	v_dual_cndmask_b32 v11, v7, v15, s21 :: v_dual_cndmask_b32 v12, v8, v10, s21
	v_dual_cndmask_b32 v21, v17, v7, s21 :: v_dual_cndmask_b32 v10, v6, v14, s21
	v_cndmask_b32_e64 v20, v16, v6, s21
	s_delay_alu instid0(VALU_DEP_3)
	v_cmpx_lt_u32_e64 v12, v51
	s_cbranch_execz .LBB871_384
; %bb.377:
	v_cmp_lt_u32_e64 s22, v13, v50
	s_xor_b32 s0, s5, -1
	s_delay_alu instid0(SALU_CYCLE_1) | instskip(NEXT) | instid1(SALU_CYCLE_1)
	s_and_b32 s0, s22, s0
	s_and_saveexec_b32 s24, s0
	s_cbranch_execz .LBB871_383
; %bb.378:
	v_mul_u64_e32 v[6:7], s[12:13], v[10:11]
	v_mul_u64_e32 v[8:9], s[12:13], v[20:21]
	s_mov_b32 s25, 0
	s_mov_b64 s[6:7], s[12:13]
                                        ; implicit-def: $sgpr26
                                        ; implicit-def: $sgpr27
                                        ; implicit-def: $sgpr28
                                        ; implicit-def: $sgpr29
	s_delay_alu instid0(VALU_DEP_2) | instskip(NEXT) | instid1(VALU_DEP_2)
	v_lshl_add_u64 v[6:7], v[6:7], 2, s[14:15]
	v_lshl_add_u64 v[8:9], v[8:9], 2, s[14:15]
	s_branch .LBB871_380
.LBB871_379:                            ;   in Loop: Header=BB871_380 Depth=1
	s_or_b32 exec_lo, exec_lo, s0
	s_delay_alu instid0(SALU_CYCLE_1) | instskip(NEXT) | instid1(SALU_CYCLE_1)
	s_and_b32 s0, exec_lo, s27
	s_or_b32 s25, s0, s25
	s_and_not1_b32 s0, s29, exec_lo
	s_and_b32 s29, s30, exec_lo
	s_and_not1_b32 s26, s26, exec_lo
	s_and_b32 s30, s28, exec_lo
	s_or_b32 s29, s0, s29
	s_or_b32 s26, s26, s30
	s_and_not1_b32 exec_lo, exec_lo, s25
	s_cbranch_execz .LBB871_382
.LBB871_380:                            ; =>This Inner Loop Header: Depth=1
	global_load_b32 v22, v[6:7], off
	global_load_b32 v23, v[8:9], off
	s_and_not1_b32 s28, s28, exec_lo
	s_or_b32 s27, s27, exec_lo
	s_wait_loadcnt 0x0
	v_cmp_ngt_f32_e32 vcc_lo, v22, v23
	v_cmp_lt_f32_e64 s0, v22, v23
	s_and_b32 s30, vcc_lo, s29
	s_xor_b32 s33, s0, vcc_lo
	s_or_b32 s30, s0, s30
	s_delay_alu instid0(SALU_CYCLE_1) | instskip(NEXT) | instid1(SALU_CYCLE_1)
	s_and_b32 s31, s30, exec_lo
	s_or_b32 s28, s28, s31
	s_and_saveexec_b32 s0, s33
	s_cbranch_execz .LBB871_379
; %bb.381:                              ;   in Loop: Header=BB871_380 Depth=1
	s_add_nc_u64 s[6:7], s[6:7], -1
	v_add_nc_u64_e32 v[6:7], 4, v[6:7]
	s_cmp_eq_u64 s[6:7], 0
	v_add_nc_u64_e32 v[8:9], 4, v[8:9]
	s_cselect_b32 s29, -1, 0
	s_and_not1_b32 s27, s27, exec_lo
	s_and_b32 s29, s29, exec_lo
	s_and_not1_b32 s28, s28, exec_lo
	s_or_b32 s27, s27, s29
                                        ; implicit-def: $sgpr29
	s_branch .LBB871_379
.LBB871_382:
	s_or_b32 exec_lo, exec_lo, s25
	s_xor_b32 s0, s26, -1
	s_and_not1_b32 s6, s22, exec_lo
	s_and_b32 s0, s0, exec_lo
	s_delay_alu instid0(SALU_CYCLE_1)
	s_or_b32 s22, s6, s0
.LBB871_383:
	s_or_b32 exec_lo, exec_lo, s24
	s_delay_alu instid0(SALU_CYCLE_1)
	s_or_not1_b32 s22, s22, exec_lo
.LBB871_384:
	s_or_b32 exec_lo, exec_lo, s23
	v_dual_cndmask_b32 v6, v12, v13, s22 :: v_dual_cndmask_b32 v7, v51, v50, s22
	s_mov_b32 s24, -1
	s_mov_b32 s23, -1
	s_mov_b32 s25, exec_lo
	s_delay_alu instid0(VALU_DEP_1) | instskip(NEXT) | instid1(VALU_DEP_1)
	v_add_nc_u32_e32 v8, 1, v6
	v_add_min_u32_e64 v6, v7, -1, v8
	s_delay_alu instid0(VALU_DEP_1)
	v_lshl_add_u32 v6, v6, 3, v46
	ds_load_b64 v[6:7], v6
	s_wait_dscnt 0x0
	v_dual_cndmask_b32 v25, v13, v8, s22 :: v_dual_cndmask_b32 v22, v20, v6, s22
	v_dual_cndmask_b32 v13, v7, v11, s22 :: v_dual_cndmask_b32 v24, v8, v12, s22
	;; [unrolled: 1-line block ×3, first 2 shown]
	s_delay_alu instid0(VALU_DEP_2)
	v_cmpx_lt_u32_e64 v24, v51
	s_cbranch_execz .LBB871_392
; %bb.385:
	v_cmp_lt_u32_e64 s23, v25, v50
	s_xor_b32 s0, s5, -1
	s_delay_alu instid0(SALU_CYCLE_1) | instskip(NEXT) | instid1(SALU_CYCLE_1)
	s_and_b32 s0, s23, s0
	s_and_saveexec_b32 s26, s0
	s_cbranch_execz .LBB871_391
; %bb.386:
	v_mul_u64_e32 v[6:7], s[12:13], v[12:13]
	v_mul_u64_e32 v[8:9], s[12:13], v[22:23]
	s_mov_b32 s27, 0
	s_mov_b64 s[6:7], s[12:13]
                                        ; implicit-def: $sgpr28
                                        ; implicit-def: $sgpr29
                                        ; implicit-def: $sgpr30
                                        ; implicit-def: $sgpr31
	s_delay_alu instid0(VALU_DEP_2) | instskip(NEXT) | instid1(VALU_DEP_2)
	v_lshl_add_u64 v[6:7], v[6:7], 2, s[14:15]
	v_lshl_add_u64 v[8:9], v[8:9], 2, s[14:15]
	s_branch .LBB871_388
.LBB871_387:                            ;   in Loop: Header=BB871_388 Depth=1
	s_or_b32 exec_lo, exec_lo, s0
	s_delay_alu instid0(SALU_CYCLE_1) | instskip(NEXT) | instid1(SALU_CYCLE_1)
	s_and_b32 s0, exec_lo, s29
	s_or_b32 s27, s0, s27
	s_and_not1_b32 s0, s31, exec_lo
	s_and_b32 s31, s33, exec_lo
	s_and_not1_b32 s28, s28, exec_lo
	s_and_b32 s33, s30, exec_lo
	s_or_b32 s31, s0, s31
	s_or_b32 s28, s28, s33
	s_and_not1_b32 exec_lo, exec_lo, s27
	s_cbranch_execz .LBB871_390
.LBB871_388:                            ; =>This Inner Loop Header: Depth=1
	global_load_b32 v26, v[6:7], off
	global_load_b32 v27, v[8:9], off
	s_and_not1_b32 s30, s30, exec_lo
	s_or_b32 s29, s29, exec_lo
	s_wait_loadcnt 0x0
	v_cmp_ngt_f32_e32 vcc_lo, v26, v27
	v_cmp_lt_f32_e64 s0, v26, v27
	s_and_b32 s33, vcc_lo, s31
	s_xor_b32 s35, s0, vcc_lo
	s_or_b32 s33, s0, s33
	s_delay_alu instid0(SALU_CYCLE_1) | instskip(NEXT) | instid1(SALU_CYCLE_1)
	s_and_b32 s34, s33, exec_lo
	s_or_b32 s30, s30, s34
	s_and_saveexec_b32 s0, s35
	s_cbranch_execz .LBB871_387
; %bb.389:                              ;   in Loop: Header=BB871_388 Depth=1
	s_add_nc_u64 s[6:7], s[6:7], -1
	v_add_nc_u64_e32 v[6:7], 4, v[6:7]
	s_cmp_eq_u64 s[6:7], 0
	v_add_nc_u64_e32 v[8:9], 4, v[8:9]
	s_cselect_b32 s31, -1, 0
	s_and_not1_b32 s29, s29, exec_lo
	s_and_b32 s31, s31, exec_lo
	s_and_not1_b32 s30, s30, exec_lo
	s_or_b32 s29, s29, s31
                                        ; implicit-def: $sgpr31
	s_branch .LBB871_387
.LBB871_390:
	s_or_b32 exec_lo, exec_lo, s27
	s_xor_b32 s0, s28, -1
	s_and_not1_b32 s6, s23, exec_lo
	s_and_b32 s0, s0, exec_lo
	s_delay_alu instid0(SALU_CYCLE_1)
	s_or_b32 s23, s6, s0
.LBB871_391:
	s_or_b32 exec_lo, exec_lo, s26
	s_delay_alu instid0(SALU_CYCLE_1)
	s_or_not1_b32 s23, s23, exec_lo
.LBB871_392:
	s_or_b32 exec_lo, exec_lo, s25
	v_dual_cndmask_b32 v6, v24, v25, s23 :: v_dual_cndmask_b32 v7, v51, v50, s23
	s_mov_b32 s25, exec_lo
	s_delay_alu instid0(VALU_DEP_1) | instskip(NEXT) | instid1(VALU_DEP_1)
	v_add_nc_u32_e32 v6, 1, v6
	v_add_min_u32_e64 v7, v7, -1, v6
	s_delay_alu instid0(VALU_DEP_1)
	v_lshl_add_u32 v7, v7, 3, v46
	ds_load_b64 v[8:9], v7
	s_wait_dscnt 0x0
	v_dual_cndmask_b32 v7, v9, v13, s23 :: v_dual_cndmask_b32 v28, v6, v24, s23
	v_dual_cndmask_b32 v29, v25, v6, s23 :: v_dual_cndmask_b32 v6, v8, v12, s23
	v_dual_cndmask_b32 v25, v23, v9, s23 :: v_dual_cndmask_b32 v24, v22, v8, s23
	s_delay_alu instid0(VALU_DEP_3)
	v_cmpx_lt_u32_e64 v28, v51
	s_cbranch_execz .LBB871_400
; %bb.393:
	s_delay_alu instid0(VALU_DEP_3) | instskip(SKIP_1) | instid1(SALU_CYCLE_1)
	v_cmp_lt_u32_e64 s24, v29, v50
	s_xor_b32 s0, s5, -1
	s_and_b32 s0, s24, s0
	s_delay_alu instid0(SALU_CYCLE_1)
	s_and_saveexec_b32 s26, s0
	s_cbranch_execz .LBB871_399
; %bb.394:
	v_mul_u64_e32 v[8:9], s[12:13], v[6:7]
	v_mul_u64_e32 v[26:27], s[12:13], v[24:25]
	s_mov_b32 s27, 0
	s_mov_b64 s[6:7], s[12:13]
                                        ; implicit-def: $sgpr28
                                        ; implicit-def: $sgpr29
                                        ; implicit-def: $sgpr30
                                        ; implicit-def: $sgpr31
	s_delay_alu instid0(VALU_DEP_2) | instskip(NEXT) | instid1(VALU_DEP_2)
	v_lshl_add_u64 v[8:9], v[8:9], 2, s[14:15]
	v_lshl_add_u64 v[26:27], v[26:27], 2, s[14:15]
	s_branch .LBB871_396
.LBB871_395:                            ;   in Loop: Header=BB871_396 Depth=1
	s_or_b32 exec_lo, exec_lo, s0
	s_delay_alu instid0(SALU_CYCLE_1) | instskip(NEXT) | instid1(SALU_CYCLE_1)
	s_and_b32 s0, exec_lo, s29
	s_or_b32 s27, s0, s27
	s_and_not1_b32 s0, s31, exec_lo
	s_and_b32 s31, s33, exec_lo
	s_and_not1_b32 s28, s28, exec_lo
	s_and_b32 s33, s30, exec_lo
	s_or_b32 s31, s0, s31
	s_or_b32 s28, s28, s33
	s_and_not1_b32 exec_lo, exec_lo, s27
	s_cbranch_execz .LBB871_398
.LBB871_396:                            ; =>This Inner Loop Header: Depth=1
	global_load_b32 v30, v[8:9], off
	global_load_b32 v31, v[26:27], off
	s_and_not1_b32 s30, s30, exec_lo
	s_or_b32 s29, s29, exec_lo
	s_wait_loadcnt 0x0
	v_cmp_ngt_f32_e32 vcc_lo, v30, v31
	v_cmp_lt_f32_e64 s0, v30, v31
	s_and_b32 s33, vcc_lo, s31
	s_xor_b32 s35, s0, vcc_lo
	s_or_b32 s33, s0, s33
	s_delay_alu instid0(SALU_CYCLE_1) | instskip(NEXT) | instid1(SALU_CYCLE_1)
	s_and_b32 s34, s33, exec_lo
	s_or_b32 s30, s30, s34
	s_and_saveexec_b32 s0, s35
	s_cbranch_execz .LBB871_395
; %bb.397:                              ;   in Loop: Header=BB871_396 Depth=1
	s_add_nc_u64 s[6:7], s[6:7], -1
	v_add_nc_u64_e32 v[8:9], 4, v[8:9]
	s_cmp_eq_u64 s[6:7], 0
	v_add_nc_u64_e32 v[26:27], 4, v[26:27]
	s_cselect_b32 s31, -1, 0
	s_and_not1_b32 s29, s29, exec_lo
	s_and_b32 s31, s31, exec_lo
	s_and_not1_b32 s30, s30, exec_lo
	s_or_b32 s29, s29, s31
                                        ; implicit-def: $sgpr31
	s_branch .LBB871_395
.LBB871_398:
	s_or_b32 exec_lo, exec_lo, s27
	s_xor_b32 s0, s28, -1
	s_and_not1_b32 s6, s24, exec_lo
	s_and_b32 s0, s0, exec_lo
	s_delay_alu instid0(SALU_CYCLE_1)
	s_or_b32 s24, s6, s0
.LBB871_399:
	s_or_b32 exec_lo, exec_lo, s26
	s_delay_alu instid0(SALU_CYCLE_1)
	s_or_not1_b32 s24, s24, exec_lo
.LBB871_400:
	s_or_b32 exec_lo, exec_lo, s25
	v_dual_cndmask_b32 v8, v28, v29, s24 :: v_dual_cndmask_b32 v9, v51, v50, s24
	s_mov_b32 s25, -1
	s_mov_b32 s26, -1
	s_mov_b32 s27, exec_lo
	s_delay_alu instid0(VALU_DEP_1) | instskip(NEXT) | instid1(VALU_DEP_1)
	v_add_nc_u32_e32 v8, 1, v8
	v_add_min_u32_e64 v9, v9, -1, v8
	s_delay_alu instid0(VALU_DEP_1)
	v_lshl_add_u32 v9, v9, 3, v46
	ds_load_b64 v[26:27], v9
	s_wait_dscnt 0x0
	v_dual_cndmask_b32 v9, v27, v7, s24 :: v_dual_cndmask_b32 v32, v8, v28, s24
	v_dual_cndmask_b32 v33, v29, v8, s24 :: v_dual_cndmask_b32 v8, v26, v6, s24
	;; [unrolled: 1-line block ×3, first 2 shown]
	s_delay_alu instid0(VALU_DEP_3)
	v_cmpx_lt_u32_e64 v32, v51
	s_cbranch_execz .LBB871_408
; %bb.401:
	s_delay_alu instid0(VALU_DEP_3) | instskip(SKIP_1) | instid1(SALU_CYCLE_1)
	v_cmp_lt_u32_e64 s26, v33, v50
	s_xor_b32 s0, s5, -1
	s_and_b32 s0, s26, s0
	s_delay_alu instid0(SALU_CYCLE_1)
	s_and_saveexec_b32 s28, s0
	s_cbranch_execz .LBB871_407
; %bb.402:
	v_mul_u64_e32 v[28:29], s[12:13], v[8:9]
	v_mul_u64_e32 v[30:31], s[12:13], v[26:27]
	s_mov_b32 s29, 0
	s_mov_b64 s[6:7], s[12:13]
                                        ; implicit-def: $sgpr30
                                        ; implicit-def: $sgpr31
                                        ; implicit-def: $sgpr33
                                        ; implicit-def: $sgpr34
	s_delay_alu instid0(VALU_DEP_2) | instskip(NEXT) | instid1(VALU_DEP_2)
	v_lshl_add_u64 v[28:29], v[28:29], 2, s[14:15]
	v_lshl_add_u64 v[30:31], v[30:31], 2, s[14:15]
	s_branch .LBB871_404
.LBB871_403:                            ;   in Loop: Header=BB871_404 Depth=1
	s_or_b32 exec_lo, exec_lo, s0
	s_delay_alu instid0(SALU_CYCLE_1) | instskip(NEXT) | instid1(SALU_CYCLE_1)
	s_and_b32 s0, exec_lo, s31
	s_or_b32 s29, s0, s29
	s_and_not1_b32 s0, s34, exec_lo
	s_and_b32 s34, s35, exec_lo
	s_and_not1_b32 s30, s30, exec_lo
	s_and_b32 s35, s33, exec_lo
	s_or_b32 s34, s0, s34
	s_or_b32 s30, s30, s35
	s_and_not1_b32 exec_lo, exec_lo, s29
	s_cbranch_execz .LBB871_406
.LBB871_404:                            ; =>This Inner Loop Header: Depth=1
	global_load_b32 v34, v[28:29], off
	global_load_b32 v35, v[30:31], off
	s_and_not1_b32 s33, s33, exec_lo
	s_or_b32 s31, s31, exec_lo
	s_wait_loadcnt 0x0
	v_cmp_ngt_f32_e32 vcc_lo, v34, v35
	v_cmp_lt_f32_e64 s0, v34, v35
	s_and_b32 s35, vcc_lo, s34
	s_xor_b32 s37, s0, vcc_lo
	s_or_b32 s35, s0, s35
	s_delay_alu instid0(SALU_CYCLE_1) | instskip(NEXT) | instid1(SALU_CYCLE_1)
	s_and_b32 s36, s35, exec_lo
	s_or_b32 s33, s33, s36
	s_and_saveexec_b32 s0, s37
	s_cbranch_execz .LBB871_403
; %bb.405:                              ;   in Loop: Header=BB871_404 Depth=1
	s_add_nc_u64 s[6:7], s[6:7], -1
	v_add_nc_u64_e32 v[28:29], 4, v[28:29]
	s_cmp_eq_u64 s[6:7], 0
	v_add_nc_u64_e32 v[30:31], 4, v[30:31]
	s_cselect_b32 s34, -1, 0
	s_and_not1_b32 s31, s31, exec_lo
	s_and_b32 s34, s34, exec_lo
	s_and_not1_b32 s33, s33, exec_lo
	s_or_b32 s31, s31, s34
                                        ; implicit-def: $sgpr34
	s_branch .LBB871_403
.LBB871_406:
	s_or_b32 exec_lo, exec_lo, s29
	s_xor_b32 s0, s30, -1
	s_and_not1_b32 s6, s26, exec_lo
	s_and_b32 s0, s0, exec_lo
	s_delay_alu instid0(SALU_CYCLE_1)
	s_or_b32 s26, s6, s0
.LBB871_407:
	s_or_b32 exec_lo, exec_lo, s28
	s_delay_alu instid0(SALU_CYCLE_1)
	s_or_not1_b32 s26, s26, exec_lo
.LBB871_408:
	s_or_b32 exec_lo, exec_lo, s27
	v_dual_cndmask_b32 v28, v32, v33, s26 :: v_dual_cndmask_b32 v29, v51, v50, s26
	s_mov_b32 s27, exec_lo
	s_delay_alu instid0(VALU_DEP_1) | instskip(NEXT) | instid1(VALU_DEP_1)
	v_add_nc_u32_e32 v28, 1, v28
	v_add_min_u32_e64 v29, v29, -1, v28
	s_delay_alu instid0(VALU_DEP_1)
	v_lshl_add_u32 v29, v29, 3, v46
	ds_load_b64 v[30:31], v29
	s_wait_dscnt 0x0
	v_dual_cndmask_b32 v29, v31, v9, s26 :: v_dual_cndmask_b32 v53, v28, v32, s26
	v_dual_cndmask_b32 v31, v27, v31, s26 :: v_dual_cndmask_b32 v52, v33, v28, s26
	v_cndmask_b32_e64 v28, v30, v8, s26
	v_cndmask_b32_e64 v30, v26, v30, s26
	s_delay_alu instid0(VALU_DEP_4)
	v_cmpx_lt_u32_e64 v53, v51
	s_cbranch_execz .LBB871_416
; %bb.409:
	v_cmp_lt_u32_e64 s25, v52, v50
	s_xor_b32 s0, s5, -1
	s_delay_alu instid0(SALU_CYCLE_1) | instskip(NEXT) | instid1(SALU_CYCLE_1)
	s_and_b32 s0, s25, s0
	s_and_saveexec_b32 s28, s0
	s_cbranch_execz .LBB871_415
; %bb.410:
	v_mul_u64_e32 v[32:33], s[12:13], v[28:29]
	v_mul_u64_e32 v[34:35], s[12:13], v[30:31]
	s_mov_b32 s29, 0
	s_mov_b64 s[6:7], s[12:13]
                                        ; implicit-def: $sgpr30
                                        ; implicit-def: $sgpr31
                                        ; implicit-def: $sgpr33
                                        ; implicit-def: $sgpr34
	s_delay_alu instid0(VALU_DEP_2) | instskip(NEXT) | instid1(VALU_DEP_2)
	v_lshl_add_u64 v[32:33], v[32:33], 2, s[14:15]
	v_lshl_add_u64 v[34:35], v[34:35], 2, s[14:15]
	s_branch .LBB871_412
.LBB871_411:                            ;   in Loop: Header=BB871_412 Depth=1
	s_or_b32 exec_lo, exec_lo, s0
	s_delay_alu instid0(SALU_CYCLE_1) | instskip(NEXT) | instid1(SALU_CYCLE_1)
	s_and_b32 s0, exec_lo, s31
	s_or_b32 s29, s0, s29
	s_and_not1_b32 s0, s34, exec_lo
	s_and_b32 s34, s35, exec_lo
	s_and_not1_b32 s30, s30, exec_lo
	s_and_b32 s35, s33, exec_lo
	s_or_b32 s34, s0, s34
	s_or_b32 s30, s30, s35
	s_and_not1_b32 exec_lo, exec_lo, s29
	s_cbranch_execz .LBB871_414
.LBB871_412:                            ; =>This Inner Loop Header: Depth=1
	global_load_b32 v54, v[32:33], off
	global_load_b32 v55, v[34:35], off
	s_and_not1_b32 s33, s33, exec_lo
	s_or_b32 s31, s31, exec_lo
	s_wait_loadcnt 0x0
	v_cmp_ngt_f32_e32 vcc_lo, v54, v55
	v_cmp_lt_f32_e64 s0, v54, v55
	s_and_b32 s35, vcc_lo, s34
	s_xor_b32 s37, s0, vcc_lo
	s_or_b32 s35, s0, s35
	s_delay_alu instid0(SALU_CYCLE_1) | instskip(NEXT) | instid1(SALU_CYCLE_1)
	s_and_b32 s36, s35, exec_lo
	s_or_b32 s33, s33, s36
	s_and_saveexec_b32 s0, s37
	s_cbranch_execz .LBB871_411
; %bb.413:                              ;   in Loop: Header=BB871_412 Depth=1
	s_add_nc_u64 s[6:7], s[6:7], -1
	v_add_nc_u64_e32 v[32:33], 4, v[32:33]
	s_cmp_eq_u64 s[6:7], 0
	v_add_nc_u64_e32 v[34:35], 4, v[34:35]
	s_cselect_b32 s34, -1, 0
	s_and_not1_b32 s31, s31, exec_lo
	s_and_b32 s34, s34, exec_lo
	s_and_not1_b32 s33, s33, exec_lo
	s_or_b32 s31, s31, s34
                                        ; implicit-def: $sgpr34
	s_branch .LBB871_411
.LBB871_414:
	s_or_b32 exec_lo, exec_lo, s29
	s_xor_b32 s0, s30, -1
	s_and_not1_b32 s6, s25, exec_lo
	s_and_b32 s0, s0, exec_lo
	s_delay_alu instid0(SALU_CYCLE_1)
	s_or_b32 s25, s6, s0
.LBB871_415:
	s_or_b32 exec_lo, exec_lo, s28
	s_delay_alu instid0(SALU_CYCLE_1)
	s_or_not1_b32 s25, s25, exec_lo
.LBB871_416:
	s_or_b32 exec_lo, exec_lo, s27
	v_dual_cndmask_b32 v32, v53, v52, s25 :: v_dual_cndmask_b32 v33, v51, v50, s25
	v_dual_cndmask_b32 v8, v8, v26, s26 :: v_dual_cndmask_b32 v7, v7, v25, s24
	;; [unrolled: 1-line block ×3, first 2 shown]
	s_delay_alu instid0(VALU_DEP_3) | instskip(SKIP_2) | instid1(VALU_DEP_3)
	v_dual_add_nc_u32 v34, 1, v32 :: v_dual_cndmask_b32 v9, v9, v27, s26
	v_dual_cndmask_b32 v12, v12, v22, s23 :: v_dual_cndmask_b32 v11, v11, v21, s22
	v_dual_cndmask_b32 v10, v10, v20, s22 :: v_dual_cndmask_b32 v17, v15, v17, s21
	v_add_min_u32_e64 v32, v33, -1, v34
	v_dual_cndmask_b32 v16, v14, v16, s21 :: v_dual_cndmask_b32 v15, v5, v3, s1
	v_dual_cndmask_b32 v14, v4, v2, s1 :: v_dual_cndmask_b32 v20, v34, v53, s25
	s_delay_alu instid0(VALU_DEP_3)
	v_lshl_add_u32 v32, v32, 3, v46
	v_dual_cndmask_b32 v3, v29, v31, s25 :: v_dual_cndmask_b32 v2, v28, v30, s25
	s_mov_b32 s1, exec_lo
	ds_load_b64 v[32:33], v32
	s_wait_dscnt 0x0
	v_dual_cndmask_b32 v5, v31, v33, s25 :: v_dual_cndmask_b32 v4, v30, v32, s25
	v_cmpx_lt_u32_e64 v20, v51
	s_cbranch_execz .LBB871_424
; %bb.417:
	v_dual_cndmask_b32 v22, v52, v34, s25 :: v_dual_cndmask_b32 v21, v33, v29, s25
	s_delay_alu instid0(VALU_DEP_1) | instskip(NEXT) | instid1(VALU_DEP_2)
	v_cmp_ge_u32_e32 vcc_lo, v22, v50
	v_dual_cndmask_b32 v20, v32, v28, s25 :: v_dual_cndmask_b32 v23, v5, v21, vcc_lo
	s_delay_alu instid0(VALU_DEP_1) | instskip(SKIP_1) | instid1(SALU_CYCLE_1)
	v_cndmask_b32_e32 v22, v4, v20, vcc_lo
	s_nor_b32 s0, vcc_lo, s5
	s_and_saveexec_b32 s21, s0
	s_cbranch_execz .LBB871_423
; %bb.418:
	v_mul_u64_e32 v[22:23], s[12:13], v[20:21]
	v_mul_u64_e32 v[24:25], s[12:13], v[4:5]
	s_mov_b32 s22, 0
	s_mov_b64 s[6:7], s[12:13]
                                        ; implicit-def: $sgpr23
                                        ; implicit-def: $sgpr24
                                        ; implicit-def: $sgpr25
                                        ; implicit-def: $sgpr26
	s_delay_alu instid0(VALU_DEP_2) | instskip(NEXT) | instid1(VALU_DEP_2)
	v_lshl_add_u64 v[22:23], v[22:23], 2, s[14:15]
	v_lshl_add_u64 v[24:25], v[24:25], 2, s[14:15]
	s_branch .LBB871_420
.LBB871_419:                            ;   in Loop: Header=BB871_420 Depth=1
	s_or_b32 exec_lo, exec_lo, s0
	s_delay_alu instid0(SALU_CYCLE_1) | instskip(NEXT) | instid1(SALU_CYCLE_1)
	s_and_b32 s0, exec_lo, s24
	s_or_b32 s22, s0, s22
	s_and_not1_b32 s0, s26, exec_lo
	s_and_b32 s26, s27, exec_lo
	s_and_not1_b32 s23, s23, exec_lo
	s_and_b32 s27, s25, exec_lo
	s_or_b32 s26, s0, s26
	s_or_b32 s23, s23, s27
	s_and_not1_b32 exec_lo, exec_lo, s22
	s_cbranch_execz .LBB871_422
.LBB871_420:                            ; =>This Inner Loop Header: Depth=1
	global_load_b32 v26, v[22:23], off
	global_load_b32 v27, v[24:25], off
	s_and_not1_b32 s25, s25, exec_lo
	s_or_b32 s24, s24, exec_lo
	s_wait_loadcnt 0x0
	v_cmp_ngt_f32_e32 vcc_lo, v26, v27
	v_cmp_lt_f32_e64 s0, v26, v27
	s_and_b32 s27, vcc_lo, s26
	s_xor_b32 s29, s0, vcc_lo
	s_or_b32 s27, s0, s27
	s_delay_alu instid0(SALU_CYCLE_1) | instskip(NEXT) | instid1(SALU_CYCLE_1)
	s_and_b32 s28, s27, exec_lo
	s_or_b32 s25, s25, s28
	s_and_saveexec_b32 s0, s29
	s_cbranch_execz .LBB871_419
; %bb.421:                              ;   in Loop: Header=BB871_420 Depth=1
	s_add_nc_u64 s[6:7], s[6:7], -1
	v_add_nc_u64_e32 v[22:23], 4, v[22:23]
	s_cmp_eq_u64 s[6:7], 0
	v_add_nc_u64_e32 v[24:25], 4, v[24:25]
	s_cselect_b32 s26, -1, 0
	s_and_not1_b32 s24, s24, exec_lo
	s_and_b32 s26, s26, exec_lo
	s_and_not1_b32 s25, s25, exec_lo
	s_or_b32 s24, s24, s26
                                        ; implicit-def: $sgpr26
	s_branch .LBB871_419
.LBB871_422:
	s_or_b32 exec_lo, exec_lo, s22
	v_dual_cndmask_b32 v23, v5, v21, s23 :: v_dual_cndmask_b32 v22, v4, v20, s23
.LBB871_423:
	s_or_b32 exec_lo, exec_lo, s21
	s_delay_alu instid0(VALU_DEP_1)
	v_mov_b64_e32 v[4:5], v[22:23]
.LBB871_424:
	s_or_b32 exec_lo, exec_lo, s1
.LBB871_425:
	s_delay_alu instid0(SALU_CYCLE_1)
	s_or_b32 exec_lo, exec_lo, s20
	v_and_b32_e32 v26, 0x80, v48
	s_mov_b32 s1, exec_lo
	; wave barrier
	ds_store_b128 v49, v[14:17]
	ds_store_b128 v49, v[10:13] offset:16
	v_or_b32_e32 v20, 64, v26
	v_lshl_add_u32 v25, v26, 3, v46
	ds_store_b128 v49, v[6:9] offset:32
	ds_store_b128 v49, v[2:5] offset:48
	; wave barrier
	v_min_u32_e32 v50, v47, v20
	v_and_b32_e32 v20, 0x78, v48
	s_delay_alu instid0(VALU_DEP_2) | instskip(NEXT) | instid1(VALU_DEP_2)
	v_add_min_u32_e64 v48, v50, 64, v47
	v_min_u32_e32 v27, v47, v20
	v_sub_nc_u32_e32 v21, v50, v26
	s_delay_alu instid0(VALU_DEP_3) | instskip(NEXT) | instid1(VALU_DEP_2)
	v_sub_nc_u32_e32 v20, v48, v50
	v_min_u32_e32 v28, v27, v21
	s_delay_alu instid0(VALU_DEP_2) | instskip(NEXT) | instid1(VALU_DEP_1)
	v_sub_nc_u32_e64 v24, v27, v20 clamp
	v_cmpx_lt_u32_e64 v24, v28
	s_cbranch_execz .LBB871_435
; %bb.426:
	v_dual_lshlrev_b32 v20, 3, v50 :: v_dual_lshlrev_b32 v21, 3, v27
	s_lshl_b64 s[6:7], s[12:13], 2
	s_mov_b32 s22, 0
	s_delay_alu instid0(VALU_DEP_1)
	v_add3_u32 v29, v46, v20, v21
	s_branch .LBB871_429
.LBB871_427:                            ;   in Loop: Header=BB871_429 Depth=1
	s_or_b32 exec_lo, exec_lo, s24
.LBB871_428:                            ;   in Loop: Header=BB871_429 Depth=1
	s_delay_alu instid0(VALU_DEP_1) | instskip(NEXT) | instid1(VALU_DEP_1)
	v_dual_add_nc_u32 v20, 1, v30 :: v_dual_cndmask_b32 v28, v28, v30, s23
	v_cndmask_b32_e64 v24, v20, v24, s23
	s_delay_alu instid0(VALU_DEP_1) | instskip(SKIP_1) | instid1(SALU_CYCLE_1)
	v_cmp_ge_u32_e32 vcc_lo, v24, v28
	s_or_b32 s22, vcc_lo, s22
	s_and_not1_b32 exec_lo, exec_lo, s22
	s_cbranch_execz .LBB871_434
.LBB871_429:                            ; =>This Loop Header: Depth=1
                                        ;     Child Loop BB871_432 Depth 2
	v_add_nc_u32_e32 v20, v28, v24
	v_cmp_ne_u32_e32 vcc_lo, 1, v45
	s_mov_b32 s23, 0
	s_delay_alu instid0(VALU_DEP_2)
	v_lshrrev_b32_e32 v30, 1, v20
	s_cbranch_vccnz .LBB871_428
; %bb.430:                              ;   in Loop: Header=BB871_429 Depth=1
	s_delay_alu instid0(VALU_DEP_1) | instskip(SKIP_3) | instid1(VALU_DEP_2)
	v_not_b32_e32 v20, v30
	v_lshl_add_u32 v21, v30, 3, v25
	s_mov_b32 s24, 0
	s_mov_b64 s[20:21], s[12:13]
                                        ; implicit-def: $sgpr23
                                        ; implicit-def: $sgpr25
                                        ; implicit-def: $sgpr26
                                        ; implicit-def: $sgpr27
	v_lshl_add_u32 v20, v20, 3, v29
	ds_load_b64 v[32:33], v20
	ds_load_b64 v[34:35], v21
	s_wait_dscnt 0x1
	v_mad_nc_u64_u32 v[20:21], s6, v32, s[14:15]
	s_wait_dscnt 0x0
	v_mad_nc_u64_u32 v[22:23], s6, v34, s[14:15]
	s_delay_alu instid0(VALU_DEP_2) | instskip(NEXT) | instid1(VALU_DEP_2)
	v_mad_u32 v21, s7, v32, v21
	v_mad_u32 v23, s7, v34, v23
	s_delay_alu instid0(VALU_DEP_2) | instskip(NEXT) | instid1(VALU_DEP_2)
	v_mad_u32 v21, s6, v33, v21
	v_mad_u32 v23, s6, v35, v23
	s_branch .LBB871_432
.LBB871_431:                            ;   in Loop: Header=BB871_432 Depth=2
	s_or_b32 exec_lo, exec_lo, s0
	s_delay_alu instid0(SALU_CYCLE_1) | instskip(NEXT) | instid1(SALU_CYCLE_1)
	s_and_b32 s0, exec_lo, s25
	s_or_b32 s24, s0, s24
	s_and_not1_b32 s0, s27, exec_lo
	s_and_b32 s27, s28, exec_lo
	s_and_not1_b32 s23, s23, exec_lo
	s_and_b32 s28, s26, exec_lo
	s_or_b32 s27, s0, s27
	s_or_b32 s23, s23, s28
	s_and_not1_b32 exec_lo, exec_lo, s24
	s_cbranch_execz .LBB871_427
.LBB871_432:                            ;   Parent Loop BB871_429 Depth=1
                                        ; =>  This Inner Loop Header: Depth=2
	global_load_b32 v31, v[20:21], off
	global_load_b32 v32, v[22:23], off
	s_and_not1_b32 s26, s26, exec_lo
	s_or_b32 s25, s25, exec_lo
	s_wait_loadcnt 0x0
	v_cmp_ngt_f32_e32 vcc_lo, v31, v32
	v_cmp_lt_f32_e64 s0, v31, v32
	s_and_b32 s28, vcc_lo, s27
	s_xor_b32 s30, s0, vcc_lo
	s_or_b32 s28, s0, s28
	s_delay_alu instid0(SALU_CYCLE_1) | instskip(NEXT) | instid1(SALU_CYCLE_1)
	s_and_b32 s29, s28, exec_lo
	s_or_b32 s26, s26, s29
	s_and_saveexec_b32 s0, s30
	s_cbranch_execz .LBB871_431
; %bb.433:                              ;   in Loop: Header=BB871_432 Depth=2
	s_add_nc_u64 s[20:21], s[20:21], -1
	v_add_nc_u64_e32 v[20:21], 4, v[20:21]
	s_cmp_eq_u64 s[20:21], 0
	v_add_nc_u64_e32 v[22:23], 4, v[22:23]
	s_cselect_b32 s27, -1, 0
	s_and_not1_b32 s25, s25, exec_lo
	s_and_b32 s27, s27, exec_lo
	s_and_not1_b32 s26, s26, exec_lo
	s_or_b32 s25, s25, s27
                                        ; implicit-def: $sgpr27
	s_branch .LBB871_431
.LBB871_434:
	s_or_b32 exec_lo, exec_lo, s22
.LBB871_435:
	s_delay_alu instid0(SALU_CYCLE_1) | instskip(SKIP_1) | instid1(VALU_DEP_1)
	s_or_b32 exec_lo, exec_lo, s1
	v_dual_add_nc_u32 v21, v50, v27 :: v_dual_add_nc_u32 v20, v24, v26
	v_sub_nc_u32_e32 v21, v21, v24
	s_delay_alu instid0(VALU_DEP_2) | instskip(NEXT) | instid1(VALU_DEP_2)
	v_cmp_le_u32_e32 vcc_lo, v20, v50
	v_cmp_le_u32_e64 s0, v21, v48
	s_or_b32 s0, vcc_lo, s0
	s_delay_alu instid0(SALU_CYCLE_1)
	s_and_saveexec_b32 s20, s0
	s_cbranch_execz .LBB871_503
; %bb.436:
	s_mov_b32 s1, exec_lo
	v_cmp_ge_u32_e32 vcc_lo, v20, v50
                                        ; implicit-def: $vgpr2_vgpr3
	v_cmpx_lt_u32_e64 v20, v50
; %bb.437:
	v_lshl_add_u32 v2, v24, 3, v25
	ds_load_b64 v[2:3], v2
; %bb.438:
	s_or_b32 exec_lo, exec_lo, s1
	v_cmp_ge_u32_e64 s0, v21, v48
	s_mov_b32 s6, exec_lo
                                        ; implicit-def: $vgpr4_vgpr5
	v_cmpx_lt_u32_e64 v21, v48
; %bb.439:
	v_lshl_add_u32 v4, v21, 3, v46
	ds_load_b64 v[4:5], v4
; %bb.440:
	s_or_b32 exec_lo, exec_lo, s6
	s_or_b32 s1, vcc_lo, s0
	s_xor_b32 s6, vcc_lo, -1
	s_nor_b32 s7, s1, s5
	s_or_b32 s1, s0, s6
	s_and_saveexec_b32 s21, s7
	s_cbranch_execz .LBB871_446
; %bb.441:
	s_wait_dscnt 0x0
	v_mul_u64_e32 v[6:7], s[12:13], v[4:5]
	v_mul_u64_e32 v[8:9], s[12:13], v[2:3]
	s_mov_b32 s22, 0
	s_mov_b64 s[6:7], s[12:13]
                                        ; implicit-def: $sgpr23
                                        ; implicit-def: $sgpr24
                                        ; implicit-def: $sgpr25
                                        ; implicit-def: $sgpr26
	s_delay_alu instid0(VALU_DEP_2) | instskip(NEXT) | instid1(VALU_DEP_2)
	v_lshl_add_u64 v[6:7], v[6:7], 2, s[14:15]
	v_lshl_add_u64 v[8:9], v[8:9], 2, s[14:15]
	s_branch .LBB871_443
.LBB871_442:                            ;   in Loop: Header=BB871_443 Depth=1
	s_or_b32 exec_lo, exec_lo, s0
	s_delay_alu instid0(SALU_CYCLE_1) | instskip(NEXT) | instid1(SALU_CYCLE_1)
	s_and_b32 s0, exec_lo, s24
	s_or_b32 s22, s0, s22
	s_and_not1_b32 s0, s26, exec_lo
	s_and_b32 s26, s27, exec_lo
	s_and_not1_b32 s23, s23, exec_lo
	s_and_b32 s27, s25, exec_lo
	s_or_b32 s26, s0, s26
	s_or_b32 s23, s23, s27
	s_and_not1_b32 exec_lo, exec_lo, s22
	s_cbranch_execz .LBB871_445
.LBB871_443:                            ; =>This Inner Loop Header: Depth=1
	global_load_b32 v10, v[6:7], off
	global_load_b32 v11, v[8:9], off
	s_and_not1_b32 s25, s25, exec_lo
	s_or_b32 s24, s24, exec_lo
	s_wait_loadcnt 0x0
	v_cmp_ngt_f32_e32 vcc_lo, v10, v11
	v_cmp_lt_f32_e64 s0, v10, v11
	s_and_b32 s27, vcc_lo, s26
	s_xor_b32 s29, s0, vcc_lo
	s_or_b32 s27, s0, s27
	s_delay_alu instid0(SALU_CYCLE_1) | instskip(NEXT) | instid1(SALU_CYCLE_1)
	s_and_b32 s28, s27, exec_lo
	s_or_b32 s25, s25, s28
	s_and_saveexec_b32 s0, s29
	s_cbranch_execz .LBB871_442
; %bb.444:                              ;   in Loop: Header=BB871_443 Depth=1
	s_add_nc_u64 s[6:7], s[6:7], -1
	v_add_nc_u64_e32 v[6:7], 4, v[6:7]
	s_cmp_eq_u64 s[6:7], 0
	v_add_nc_u64_e32 v[8:9], 4, v[8:9]
	s_cselect_b32 s26, -1, 0
	s_and_not1_b32 s24, s24, exec_lo
	s_and_b32 s26, s26, exec_lo
	s_and_not1_b32 s25, s25, exec_lo
	s_or_b32 s24, s24, s26
                                        ; implicit-def: $sgpr26
	s_branch .LBB871_442
.LBB871_445:
	s_or_b32 exec_lo, exec_lo, s22
	s_xor_b32 s0, s23, -1
	s_and_not1_b32 s1, s1, exec_lo
	s_and_b32 s0, s0, exec_lo
	s_delay_alu instid0(SALU_CYCLE_1)
	s_or_b32 s1, s1, s0
.LBB871_446:
	s_or_b32 exec_lo, exec_lo, s21
	v_dual_cndmask_b32 v6, v21, v20, s1 :: v_dual_cndmask_b32 v7, v48, v50, s1
	s_mov_b32 s22, -1
	s_mov_b32 s21, -1
	s_mov_b32 s23, exec_lo
	s_delay_alu instid0(VALU_DEP_1) | instskip(NEXT) | instid1(VALU_DEP_1)
	v_add_nc_u32_e32 v8, 1, v6
	v_add_min_u32_e64 v6, v7, -1, v8
	s_delay_alu instid0(VALU_DEP_1)
	v_lshl_add_u32 v6, v6, 3, v46
	ds_load_b64 v[6:7], v6
	s_wait_dscnt 0x0
	v_cndmask_b32_e64 v15, v7, v5, s1
	v_dual_cndmask_b32 v10, v8, v21, s1 :: v_dual_cndmask_b32 v14, v6, v4, s1
	v_dual_cndmask_b32 v11, v20, v8, s1 :: v_dual_cndmask_b32 v17, v3, v7, s1
	v_cndmask_b32_e64 v16, v2, v6, s1
	s_delay_alu instid0(VALU_DEP_3)
	v_cmpx_lt_u32_e64 v10, v48
	s_cbranch_execz .LBB871_454
; %bb.447:
	s_delay_alu instid0(VALU_DEP_3) | instskip(SKIP_1) | instid1(SALU_CYCLE_1)
	v_cmp_lt_u32_e64 s21, v11, v50
	s_xor_b32 s0, s5, -1
	s_and_b32 s0, s21, s0
	s_delay_alu instid0(SALU_CYCLE_1)
	s_and_saveexec_b32 s24, s0
	s_cbranch_execz .LBB871_453
; %bb.448:
	v_mul_u64_e32 v[6:7], s[12:13], v[14:15]
	v_mul_u64_e32 v[8:9], s[12:13], v[16:17]
	s_mov_b32 s25, 0
	s_mov_b64 s[6:7], s[12:13]
                                        ; implicit-def: $sgpr26
                                        ; implicit-def: $sgpr27
                                        ; implicit-def: $sgpr28
                                        ; implicit-def: $sgpr29
	s_delay_alu instid0(VALU_DEP_2) | instskip(NEXT) | instid1(VALU_DEP_2)
	v_lshl_add_u64 v[6:7], v[6:7], 2, s[14:15]
	v_lshl_add_u64 v[8:9], v[8:9], 2, s[14:15]
	s_branch .LBB871_450
.LBB871_449:                            ;   in Loop: Header=BB871_450 Depth=1
	s_or_b32 exec_lo, exec_lo, s0
	s_delay_alu instid0(SALU_CYCLE_1) | instskip(NEXT) | instid1(SALU_CYCLE_1)
	s_and_b32 s0, exec_lo, s27
	s_or_b32 s25, s0, s25
	s_and_not1_b32 s0, s29, exec_lo
	s_and_b32 s29, s30, exec_lo
	s_and_not1_b32 s26, s26, exec_lo
	s_and_b32 s30, s28, exec_lo
	s_or_b32 s29, s0, s29
	s_or_b32 s26, s26, s30
	s_and_not1_b32 exec_lo, exec_lo, s25
	s_cbranch_execz .LBB871_452
.LBB871_450:                            ; =>This Inner Loop Header: Depth=1
	global_load_b32 v12, v[6:7], off
	global_load_b32 v13, v[8:9], off
	s_and_not1_b32 s28, s28, exec_lo
	s_or_b32 s27, s27, exec_lo
	s_wait_loadcnt 0x0
	v_cmp_ngt_f32_e32 vcc_lo, v12, v13
	v_cmp_lt_f32_e64 s0, v12, v13
	s_and_b32 s30, vcc_lo, s29
	s_xor_b32 s33, s0, vcc_lo
	s_or_b32 s30, s0, s30
	s_delay_alu instid0(SALU_CYCLE_1) | instskip(NEXT) | instid1(SALU_CYCLE_1)
	s_and_b32 s31, s30, exec_lo
	s_or_b32 s28, s28, s31
	s_and_saveexec_b32 s0, s33
	s_cbranch_execz .LBB871_449
; %bb.451:                              ;   in Loop: Header=BB871_450 Depth=1
	s_add_nc_u64 s[6:7], s[6:7], -1
	v_add_nc_u64_e32 v[6:7], 4, v[6:7]
	s_cmp_eq_u64 s[6:7], 0
	v_add_nc_u64_e32 v[8:9], 4, v[8:9]
	s_cselect_b32 s29, -1, 0
	s_and_not1_b32 s27, s27, exec_lo
	s_and_b32 s29, s29, exec_lo
	s_and_not1_b32 s28, s28, exec_lo
	s_or_b32 s27, s27, s29
                                        ; implicit-def: $sgpr29
	s_branch .LBB871_449
.LBB871_452:
	s_or_b32 exec_lo, exec_lo, s25
	s_xor_b32 s0, s26, -1
	s_and_not1_b32 s6, s21, exec_lo
	s_and_b32 s0, s0, exec_lo
	s_delay_alu instid0(SALU_CYCLE_1)
	s_or_b32 s21, s6, s0
.LBB871_453:
	s_or_b32 exec_lo, exec_lo, s24
	s_delay_alu instid0(SALU_CYCLE_1)
	s_or_not1_b32 s21, s21, exec_lo
.LBB871_454:
	s_or_b32 exec_lo, exec_lo, s23
	v_dual_cndmask_b32 v6, v10, v11, s21 :: v_dual_cndmask_b32 v7, v48, v50, s21
	s_mov_b32 s23, exec_lo
	s_delay_alu instid0(VALU_DEP_1) | instskip(NEXT) | instid1(VALU_DEP_1)
	v_add_nc_u32_e32 v8, 1, v6
	v_add_min_u32_e64 v6, v7, -1, v8
	s_delay_alu instid0(VALU_DEP_1)
	v_lshl_add_u32 v6, v6, 3, v46
	ds_load_b64 v[6:7], v6
	v_cndmask_b32_e64 v13, v11, v8, s21
	s_wait_dscnt 0x0
	v_dual_cndmask_b32 v11, v7, v15, s21 :: v_dual_cndmask_b32 v12, v8, v10, s21
	v_dual_cndmask_b32 v21, v17, v7, s21 :: v_dual_cndmask_b32 v10, v6, v14, s21
	v_cndmask_b32_e64 v20, v16, v6, s21
	s_delay_alu instid0(VALU_DEP_3)
	v_cmpx_lt_u32_e64 v12, v48
	s_cbranch_execz .LBB871_462
; %bb.455:
	v_cmp_lt_u32_e64 s22, v13, v50
	s_xor_b32 s0, s5, -1
	s_delay_alu instid0(SALU_CYCLE_1) | instskip(NEXT) | instid1(SALU_CYCLE_1)
	s_and_b32 s0, s22, s0
	s_and_saveexec_b32 s24, s0
	s_cbranch_execz .LBB871_461
; %bb.456:
	v_mul_u64_e32 v[6:7], s[12:13], v[10:11]
	v_mul_u64_e32 v[8:9], s[12:13], v[20:21]
	s_mov_b32 s25, 0
	s_mov_b64 s[6:7], s[12:13]
                                        ; implicit-def: $sgpr26
                                        ; implicit-def: $sgpr27
                                        ; implicit-def: $sgpr28
                                        ; implicit-def: $sgpr29
	s_delay_alu instid0(VALU_DEP_2) | instskip(NEXT) | instid1(VALU_DEP_2)
	v_lshl_add_u64 v[6:7], v[6:7], 2, s[14:15]
	v_lshl_add_u64 v[8:9], v[8:9], 2, s[14:15]
	s_branch .LBB871_458
.LBB871_457:                            ;   in Loop: Header=BB871_458 Depth=1
	s_or_b32 exec_lo, exec_lo, s0
	s_delay_alu instid0(SALU_CYCLE_1) | instskip(NEXT) | instid1(SALU_CYCLE_1)
	s_and_b32 s0, exec_lo, s27
	s_or_b32 s25, s0, s25
	s_and_not1_b32 s0, s29, exec_lo
	s_and_b32 s29, s30, exec_lo
	s_and_not1_b32 s26, s26, exec_lo
	s_and_b32 s30, s28, exec_lo
	s_or_b32 s29, s0, s29
	s_or_b32 s26, s26, s30
	s_and_not1_b32 exec_lo, exec_lo, s25
	s_cbranch_execz .LBB871_460
.LBB871_458:                            ; =>This Inner Loop Header: Depth=1
	global_load_b32 v22, v[6:7], off
	global_load_b32 v23, v[8:9], off
	s_and_not1_b32 s28, s28, exec_lo
	s_or_b32 s27, s27, exec_lo
	s_wait_loadcnt 0x0
	v_cmp_ngt_f32_e32 vcc_lo, v22, v23
	v_cmp_lt_f32_e64 s0, v22, v23
	s_and_b32 s30, vcc_lo, s29
	s_xor_b32 s33, s0, vcc_lo
	s_or_b32 s30, s0, s30
	s_delay_alu instid0(SALU_CYCLE_1) | instskip(NEXT) | instid1(SALU_CYCLE_1)
	s_and_b32 s31, s30, exec_lo
	s_or_b32 s28, s28, s31
	s_and_saveexec_b32 s0, s33
	s_cbranch_execz .LBB871_457
; %bb.459:                              ;   in Loop: Header=BB871_458 Depth=1
	s_add_nc_u64 s[6:7], s[6:7], -1
	v_add_nc_u64_e32 v[6:7], 4, v[6:7]
	s_cmp_eq_u64 s[6:7], 0
	v_add_nc_u64_e32 v[8:9], 4, v[8:9]
	s_cselect_b32 s29, -1, 0
	s_and_not1_b32 s27, s27, exec_lo
	s_and_b32 s29, s29, exec_lo
	s_and_not1_b32 s28, s28, exec_lo
	s_or_b32 s27, s27, s29
                                        ; implicit-def: $sgpr29
	s_branch .LBB871_457
.LBB871_460:
	s_or_b32 exec_lo, exec_lo, s25
	s_xor_b32 s0, s26, -1
	s_and_not1_b32 s6, s22, exec_lo
	s_and_b32 s0, s0, exec_lo
	s_delay_alu instid0(SALU_CYCLE_1)
	s_or_b32 s22, s6, s0
.LBB871_461:
	s_or_b32 exec_lo, exec_lo, s24
	s_delay_alu instid0(SALU_CYCLE_1)
	s_or_not1_b32 s22, s22, exec_lo
.LBB871_462:
	s_or_b32 exec_lo, exec_lo, s23
	v_cndmask_b32_e64 v6, v12, v13, s22
	v_cndmask_b32_e64 v7, v48, v50, s22
	s_mov_b32 s24, -1
	s_mov_b32 s23, -1
	s_mov_b32 s25, exec_lo
	v_add_nc_u32_e32 v8, 1, v6
	s_delay_alu instid0(VALU_DEP_1) | instskip(SKIP_1) | instid1(VALU_DEP_2)
	v_add_min_u32_e64 v6, v7, -1, v8
	v_cndmask_b32_e64 v25, v13, v8, s22
	v_lshl_add_u32 v6, v6, 3, v46
	ds_load_b64 v[6:7], v6
	s_wait_dscnt 0x0
	v_dual_cndmask_b32 v13, v7, v11, s22 :: v_dual_cndmask_b32 v24, v8, v12, s22
	v_dual_cndmask_b32 v12, v6, v10, s22 :: v_dual_cndmask_b32 v23, v21, v7, s22
	v_cndmask_b32_e64 v22, v20, v6, s22
	s_delay_alu instid0(VALU_DEP_3)
	v_cmpx_lt_u32_e64 v24, v48
	s_cbranch_execz .LBB871_470
; %bb.463:
	v_cmp_lt_u32_e64 s23, v25, v50
	s_xor_b32 s0, s5, -1
	s_delay_alu instid0(SALU_CYCLE_1) | instskip(NEXT) | instid1(SALU_CYCLE_1)
	s_and_b32 s0, s23, s0
	s_and_saveexec_b32 s26, s0
	s_cbranch_execz .LBB871_469
; %bb.464:
	v_mul_u64_e32 v[6:7], s[12:13], v[12:13]
	v_mul_u64_e32 v[8:9], s[12:13], v[22:23]
	s_mov_b32 s27, 0
	s_mov_b64 s[6:7], s[12:13]
                                        ; implicit-def: $sgpr28
                                        ; implicit-def: $sgpr29
                                        ; implicit-def: $sgpr30
                                        ; implicit-def: $sgpr31
	s_delay_alu instid0(VALU_DEP_2) | instskip(NEXT) | instid1(VALU_DEP_2)
	v_lshl_add_u64 v[6:7], v[6:7], 2, s[14:15]
	v_lshl_add_u64 v[8:9], v[8:9], 2, s[14:15]
	s_branch .LBB871_466
.LBB871_465:                            ;   in Loop: Header=BB871_466 Depth=1
	s_or_b32 exec_lo, exec_lo, s0
	s_delay_alu instid0(SALU_CYCLE_1) | instskip(NEXT) | instid1(SALU_CYCLE_1)
	s_and_b32 s0, exec_lo, s29
	s_or_b32 s27, s0, s27
	s_and_not1_b32 s0, s31, exec_lo
	s_and_b32 s31, s33, exec_lo
	s_and_not1_b32 s28, s28, exec_lo
	s_and_b32 s33, s30, exec_lo
	s_or_b32 s31, s0, s31
	s_or_b32 s28, s28, s33
	s_and_not1_b32 exec_lo, exec_lo, s27
	s_cbranch_execz .LBB871_468
.LBB871_466:                            ; =>This Inner Loop Header: Depth=1
	global_load_b32 v26, v[6:7], off
	global_load_b32 v27, v[8:9], off
	s_and_not1_b32 s30, s30, exec_lo
	s_or_b32 s29, s29, exec_lo
	s_wait_loadcnt 0x0
	v_cmp_ngt_f32_e32 vcc_lo, v26, v27
	v_cmp_lt_f32_e64 s0, v26, v27
	s_and_b32 s33, vcc_lo, s31
	s_xor_b32 s35, s0, vcc_lo
	s_or_b32 s33, s0, s33
	s_delay_alu instid0(SALU_CYCLE_1) | instskip(NEXT) | instid1(SALU_CYCLE_1)
	s_and_b32 s34, s33, exec_lo
	s_or_b32 s30, s30, s34
	s_and_saveexec_b32 s0, s35
	s_cbranch_execz .LBB871_465
; %bb.467:                              ;   in Loop: Header=BB871_466 Depth=1
	s_add_nc_u64 s[6:7], s[6:7], -1
	v_add_nc_u64_e32 v[6:7], 4, v[6:7]
	s_cmp_eq_u64 s[6:7], 0
	v_add_nc_u64_e32 v[8:9], 4, v[8:9]
	s_cselect_b32 s31, -1, 0
	s_and_not1_b32 s29, s29, exec_lo
	s_and_b32 s31, s31, exec_lo
	s_and_not1_b32 s30, s30, exec_lo
	s_or_b32 s29, s29, s31
                                        ; implicit-def: $sgpr31
	s_branch .LBB871_465
.LBB871_468:
	s_or_b32 exec_lo, exec_lo, s27
	s_xor_b32 s0, s28, -1
	s_and_not1_b32 s6, s23, exec_lo
	s_and_b32 s0, s0, exec_lo
	s_delay_alu instid0(SALU_CYCLE_1)
	s_or_b32 s23, s6, s0
.LBB871_469:
	s_or_b32 exec_lo, exec_lo, s26
	s_delay_alu instid0(SALU_CYCLE_1)
	s_or_not1_b32 s23, s23, exec_lo
.LBB871_470:
	s_or_b32 exec_lo, exec_lo, s25
	v_cndmask_b32_e64 v6, v24, v25, s23
	s_mov_b32 s25, exec_lo
	s_delay_alu instid0(VALU_DEP_1) | instskip(NEXT) | instid1(VALU_DEP_1)
	v_add_nc_u32_e32 v6, 1, v6
	v_dual_cndmask_b32 v7, v48, v50, s23 :: v_dual_cndmask_b32 v28, v6, v24, s23
	s_delay_alu instid0(VALU_DEP_1) | instskip(NEXT) | instid1(VALU_DEP_1)
	v_add_min_u32_e64 v7, v7, -1, v6
	v_lshl_add_u32 v7, v7, 3, v46
	ds_load_b64 v[8:9], v7
	s_wait_dscnt 0x0
	v_cndmask_b32_e64 v7, v9, v13, s23
	v_dual_cndmask_b32 v29, v25, v6, s23 :: v_dual_cndmask_b32 v6, v8, v12, s23
	v_dual_cndmask_b32 v25, v23, v9, s23 :: v_dual_cndmask_b32 v24, v22, v8, s23
	v_cmpx_lt_u32_e64 v28, v48
	s_cbranch_execz .LBB871_478
; %bb.471:
	s_delay_alu instid0(VALU_DEP_3) | instskip(SKIP_1) | instid1(SALU_CYCLE_1)
	v_cmp_lt_u32_e64 s24, v29, v50
	s_xor_b32 s0, s5, -1
	s_and_b32 s0, s24, s0
	s_delay_alu instid0(SALU_CYCLE_1)
	s_and_saveexec_b32 s26, s0
	s_cbranch_execz .LBB871_477
; %bb.472:
	v_mul_u64_e32 v[8:9], s[12:13], v[6:7]
	v_mul_u64_e32 v[26:27], s[12:13], v[24:25]
	s_mov_b32 s27, 0
	s_mov_b64 s[6:7], s[12:13]
                                        ; implicit-def: $sgpr28
                                        ; implicit-def: $sgpr29
                                        ; implicit-def: $sgpr30
                                        ; implicit-def: $sgpr31
	s_delay_alu instid0(VALU_DEP_2) | instskip(NEXT) | instid1(VALU_DEP_2)
	v_lshl_add_u64 v[8:9], v[8:9], 2, s[14:15]
	v_lshl_add_u64 v[26:27], v[26:27], 2, s[14:15]
	s_branch .LBB871_474
.LBB871_473:                            ;   in Loop: Header=BB871_474 Depth=1
	s_or_b32 exec_lo, exec_lo, s0
	s_delay_alu instid0(SALU_CYCLE_1) | instskip(NEXT) | instid1(SALU_CYCLE_1)
	s_and_b32 s0, exec_lo, s29
	s_or_b32 s27, s0, s27
	s_and_not1_b32 s0, s31, exec_lo
	s_and_b32 s31, s33, exec_lo
	s_and_not1_b32 s28, s28, exec_lo
	s_and_b32 s33, s30, exec_lo
	s_or_b32 s31, s0, s31
	s_or_b32 s28, s28, s33
	s_and_not1_b32 exec_lo, exec_lo, s27
	s_cbranch_execz .LBB871_476
.LBB871_474:                            ; =>This Inner Loop Header: Depth=1
	global_load_b32 v30, v[8:9], off
	global_load_b32 v31, v[26:27], off
	s_and_not1_b32 s30, s30, exec_lo
	s_or_b32 s29, s29, exec_lo
	s_wait_loadcnt 0x0
	v_cmp_ngt_f32_e32 vcc_lo, v30, v31
	v_cmp_lt_f32_e64 s0, v30, v31
	s_and_b32 s33, vcc_lo, s31
	s_xor_b32 s35, s0, vcc_lo
	s_or_b32 s33, s0, s33
	s_delay_alu instid0(SALU_CYCLE_1) | instskip(NEXT) | instid1(SALU_CYCLE_1)
	s_and_b32 s34, s33, exec_lo
	s_or_b32 s30, s30, s34
	s_and_saveexec_b32 s0, s35
	s_cbranch_execz .LBB871_473
; %bb.475:                              ;   in Loop: Header=BB871_474 Depth=1
	s_add_nc_u64 s[6:7], s[6:7], -1
	v_add_nc_u64_e32 v[8:9], 4, v[8:9]
	s_cmp_eq_u64 s[6:7], 0
	v_add_nc_u64_e32 v[26:27], 4, v[26:27]
	s_cselect_b32 s31, -1, 0
	s_and_not1_b32 s29, s29, exec_lo
	s_and_b32 s31, s31, exec_lo
	s_and_not1_b32 s30, s30, exec_lo
	s_or_b32 s29, s29, s31
                                        ; implicit-def: $sgpr31
	s_branch .LBB871_473
.LBB871_476:
	s_or_b32 exec_lo, exec_lo, s27
	s_xor_b32 s0, s28, -1
	s_and_not1_b32 s6, s24, exec_lo
	s_and_b32 s0, s0, exec_lo
	s_delay_alu instid0(SALU_CYCLE_1)
	s_or_b32 s24, s6, s0
.LBB871_477:
	s_or_b32 exec_lo, exec_lo, s26
	s_delay_alu instid0(SALU_CYCLE_1)
	s_or_not1_b32 s24, s24, exec_lo
.LBB871_478:
	s_or_b32 exec_lo, exec_lo, s25
	v_cndmask_b32_e64 v8, v28, v29, s24
	v_cndmask_b32_e64 v9, v48, v50, s24
	s_mov_b32 s25, -1
	s_mov_b32 s26, -1
	s_mov_b32 s27, exec_lo
	v_add_nc_u32_e32 v8, 1, v8
	s_delay_alu instid0(VALU_DEP_1) | instskip(NEXT) | instid1(VALU_DEP_1)
	v_add_min_u32_e64 v9, v9, -1, v8
	v_lshl_add_u32 v9, v9, 3, v46
	ds_load_b64 v[26:27], v9
	v_cndmask_b32_e64 v32, v8, v28, s24
	s_wait_dscnt 0x0
	v_dual_cndmask_b32 v33, v29, v8, s24 :: v_dual_cndmask_b32 v9, v27, v7, s24
	v_dual_cndmask_b32 v8, v26, v6, s24 :: v_dual_cndmask_b32 v27, v25, v27, s24
	v_cndmask_b32_e64 v26, v24, v26, s24
	v_cmpx_lt_u32_e64 v32, v48
	s_cbranch_execz .LBB871_486
; %bb.479:
	v_cmp_lt_u32_e64 s26, v33, v50
	s_xor_b32 s0, s5, -1
	s_delay_alu instid0(SALU_CYCLE_1) | instskip(NEXT) | instid1(SALU_CYCLE_1)
	s_and_b32 s0, s26, s0
	s_and_saveexec_b32 s28, s0
	s_cbranch_execz .LBB871_485
; %bb.480:
	v_mul_u64_e32 v[28:29], s[12:13], v[8:9]
	v_mul_u64_e32 v[30:31], s[12:13], v[26:27]
	s_mov_b32 s29, 0
	s_mov_b64 s[6:7], s[12:13]
                                        ; implicit-def: $sgpr30
                                        ; implicit-def: $sgpr31
                                        ; implicit-def: $sgpr33
                                        ; implicit-def: $sgpr34
	s_delay_alu instid0(VALU_DEP_2) | instskip(NEXT) | instid1(VALU_DEP_2)
	v_lshl_add_u64 v[28:29], v[28:29], 2, s[14:15]
	v_lshl_add_u64 v[30:31], v[30:31], 2, s[14:15]
	s_branch .LBB871_482
.LBB871_481:                            ;   in Loop: Header=BB871_482 Depth=1
	s_or_b32 exec_lo, exec_lo, s0
	s_delay_alu instid0(SALU_CYCLE_1) | instskip(NEXT) | instid1(SALU_CYCLE_1)
	s_and_b32 s0, exec_lo, s31
	s_or_b32 s29, s0, s29
	s_and_not1_b32 s0, s34, exec_lo
	s_and_b32 s34, s35, exec_lo
	s_and_not1_b32 s30, s30, exec_lo
	s_and_b32 s35, s33, exec_lo
	s_or_b32 s34, s0, s34
	s_or_b32 s30, s30, s35
	s_and_not1_b32 exec_lo, exec_lo, s29
	s_cbranch_execz .LBB871_484
.LBB871_482:                            ; =>This Inner Loop Header: Depth=1
	global_load_b32 v34, v[28:29], off
	global_load_b32 v35, v[30:31], off
	s_and_not1_b32 s33, s33, exec_lo
	s_or_b32 s31, s31, exec_lo
	s_wait_loadcnt 0x0
	v_cmp_ngt_f32_e32 vcc_lo, v34, v35
	v_cmp_lt_f32_e64 s0, v34, v35
	s_and_b32 s35, vcc_lo, s34
	s_xor_b32 s37, s0, vcc_lo
	s_or_b32 s35, s0, s35
	s_delay_alu instid0(SALU_CYCLE_1) | instskip(NEXT) | instid1(SALU_CYCLE_1)
	s_and_b32 s36, s35, exec_lo
	s_or_b32 s33, s33, s36
	s_and_saveexec_b32 s0, s37
	s_cbranch_execz .LBB871_481
; %bb.483:                              ;   in Loop: Header=BB871_482 Depth=1
	s_add_nc_u64 s[6:7], s[6:7], -1
	v_add_nc_u64_e32 v[28:29], 4, v[28:29]
	s_cmp_eq_u64 s[6:7], 0
	v_add_nc_u64_e32 v[30:31], 4, v[30:31]
	s_cselect_b32 s34, -1, 0
	s_and_not1_b32 s31, s31, exec_lo
	s_and_b32 s34, s34, exec_lo
	s_and_not1_b32 s33, s33, exec_lo
	s_or_b32 s31, s31, s34
                                        ; implicit-def: $sgpr34
	s_branch .LBB871_481
.LBB871_484:
	s_or_b32 exec_lo, exec_lo, s29
	s_xor_b32 s0, s30, -1
	s_and_not1_b32 s6, s26, exec_lo
	s_and_b32 s0, s0, exec_lo
	s_delay_alu instid0(SALU_CYCLE_1)
	s_or_b32 s26, s6, s0
.LBB871_485:
	s_or_b32 exec_lo, exec_lo, s28
	s_delay_alu instid0(SALU_CYCLE_1)
	s_or_not1_b32 s26, s26, exec_lo
.LBB871_486:
	s_or_b32 exec_lo, exec_lo, s27
	v_cndmask_b32_e64 v28, v32, v33, s26
	v_cndmask_b32_e64 v29, v48, v50, s26
	s_mov_b32 s27, exec_lo
	s_delay_alu instid0(VALU_DEP_2) | instskip(NEXT) | instid1(VALU_DEP_1)
	v_add_nc_u32_e32 v28, 1, v28
	v_add_min_u32_e64 v29, v29, -1, v28
	s_delay_alu instid0(VALU_DEP_1)
	v_lshl_add_u32 v29, v29, 3, v46
	ds_load_b64 v[30:31], v29
	v_cndmask_b32_e64 v49, v28, v32, s26
	s_wait_dscnt 0x0
	v_dual_cndmask_b32 v47, v33, v28, s26 :: v_dual_cndmask_b32 v29, v31, v9, s26
	v_dual_cndmask_b32 v28, v30, v8, s26 :: v_dual_cndmask_b32 v31, v27, v31, s26
	v_cndmask_b32_e64 v30, v26, v30, s26
	v_cmpx_lt_u32_e64 v49, v48
	s_cbranch_execz .LBB871_494
; %bb.487:
	v_cmp_lt_u32_e64 s25, v47, v50
	s_xor_b32 s0, s5, -1
	s_delay_alu instid0(SALU_CYCLE_1) | instskip(NEXT) | instid1(SALU_CYCLE_1)
	s_and_b32 s0, s25, s0
	s_and_saveexec_b32 s28, s0
	s_cbranch_execz .LBB871_493
; %bb.488:
	v_mul_u64_e32 v[32:33], s[12:13], v[28:29]
	v_mul_u64_e32 v[34:35], s[12:13], v[30:31]
	s_mov_b32 s29, 0
	s_mov_b64 s[6:7], s[12:13]
                                        ; implicit-def: $sgpr30
                                        ; implicit-def: $sgpr31
                                        ; implicit-def: $sgpr33
                                        ; implicit-def: $sgpr34
	s_delay_alu instid0(VALU_DEP_2) | instskip(NEXT) | instid1(VALU_DEP_2)
	v_lshl_add_u64 v[32:33], v[32:33], 2, s[14:15]
	v_lshl_add_u64 v[34:35], v[34:35], 2, s[14:15]
	s_branch .LBB871_490
.LBB871_489:                            ;   in Loop: Header=BB871_490 Depth=1
	s_or_b32 exec_lo, exec_lo, s0
	s_delay_alu instid0(SALU_CYCLE_1) | instskip(NEXT) | instid1(SALU_CYCLE_1)
	s_and_b32 s0, exec_lo, s31
	s_or_b32 s29, s0, s29
	s_and_not1_b32 s0, s34, exec_lo
	s_and_b32 s34, s35, exec_lo
	s_and_not1_b32 s30, s30, exec_lo
	s_and_b32 s35, s33, exec_lo
	s_or_b32 s34, s0, s34
	s_or_b32 s30, s30, s35
	s_and_not1_b32 exec_lo, exec_lo, s29
	s_cbranch_execz .LBB871_492
.LBB871_490:                            ; =>This Inner Loop Header: Depth=1
	global_load_b32 v51, v[32:33], off
	global_load_b32 v52, v[34:35], off
	s_and_not1_b32 s33, s33, exec_lo
	s_or_b32 s31, s31, exec_lo
	s_wait_loadcnt 0x0
	v_cmp_ngt_f32_e32 vcc_lo, v51, v52
	v_cmp_lt_f32_e64 s0, v51, v52
	s_and_b32 s35, vcc_lo, s34
	s_xor_b32 s37, s0, vcc_lo
	s_or_b32 s35, s0, s35
	s_delay_alu instid0(SALU_CYCLE_1) | instskip(NEXT) | instid1(SALU_CYCLE_1)
	s_and_b32 s36, s35, exec_lo
	s_or_b32 s33, s33, s36
	s_and_saveexec_b32 s0, s37
	s_cbranch_execz .LBB871_489
; %bb.491:                              ;   in Loop: Header=BB871_490 Depth=1
	s_add_nc_u64 s[6:7], s[6:7], -1
	v_add_nc_u64_e32 v[32:33], 4, v[32:33]
	s_cmp_eq_u64 s[6:7], 0
	v_add_nc_u64_e32 v[34:35], 4, v[34:35]
	s_cselect_b32 s34, -1, 0
	s_and_not1_b32 s31, s31, exec_lo
	s_and_b32 s34, s34, exec_lo
	s_and_not1_b32 s33, s33, exec_lo
	s_or_b32 s31, s31, s34
                                        ; implicit-def: $sgpr34
	s_branch .LBB871_489
.LBB871_492:
	s_or_b32 exec_lo, exec_lo, s29
	s_xor_b32 s0, s30, -1
	s_and_not1_b32 s6, s25, exec_lo
	s_and_b32 s0, s0, exec_lo
	s_delay_alu instid0(SALU_CYCLE_1)
	s_or_b32 s25, s6, s0
.LBB871_493:
	s_or_b32 exec_lo, exec_lo, s28
	s_delay_alu instid0(SALU_CYCLE_1)
	s_or_not1_b32 s25, s25, exec_lo
.LBB871_494:
	s_or_b32 exec_lo, exec_lo, s27
	v_dual_cndmask_b32 v32, v49, v47, s25 :: v_dual_cndmask_b32 v33, v48, v50, s25
	v_dual_cndmask_b32 v8, v8, v26, s26 :: v_dual_cndmask_b32 v7, v7, v25, s24
	;; [unrolled: 1-line block ×3, first 2 shown]
	s_delay_alu instid0(VALU_DEP_3) | instskip(SKIP_2) | instid1(VALU_DEP_3)
	v_dual_add_nc_u32 v34, 1, v32 :: v_dual_cndmask_b32 v9, v9, v27, s26
	v_dual_cndmask_b32 v12, v12, v22, s23 :: v_dual_cndmask_b32 v11, v11, v21, s22
	v_dual_cndmask_b32 v10, v10, v20, s22 :: v_dual_cndmask_b32 v17, v15, v17, s21
	v_add_min_u32_e64 v32, v33, -1, v34
	v_dual_cndmask_b32 v16, v14, v16, s21 :: v_dual_cndmask_b32 v15, v5, v3, s1
	v_dual_cndmask_b32 v14, v4, v2, s1 :: v_dual_cndmask_b32 v20, v34, v49, s25
	s_delay_alu instid0(VALU_DEP_3)
	v_lshl_add_u32 v32, v32, 3, v46
	v_dual_cndmask_b32 v3, v29, v31, s25 :: v_dual_cndmask_b32 v2, v28, v30, s25
	s_mov_b32 s1, exec_lo
	ds_load_b64 v[32:33], v32
	s_wait_dscnt 0x0
	v_dual_cndmask_b32 v5, v31, v33, s25 :: v_dual_cndmask_b32 v4, v30, v32, s25
	v_cmpx_lt_u32_e64 v20, v48
	s_cbranch_execz .LBB871_502
; %bb.495:
	v_dual_cndmask_b32 v22, v47, v34, s25 :: v_dual_cndmask_b32 v21, v33, v29, s25
	s_delay_alu instid0(VALU_DEP_1) | instskip(NEXT) | instid1(VALU_DEP_2)
	v_cmp_ge_u32_e32 vcc_lo, v22, v50
	v_dual_cndmask_b32 v20, v32, v28, s25 :: v_dual_cndmask_b32 v23, v5, v21, vcc_lo
	s_delay_alu instid0(VALU_DEP_1) | instskip(SKIP_1) | instid1(SALU_CYCLE_1)
	v_cndmask_b32_e32 v22, v4, v20, vcc_lo
	s_nor_b32 s0, vcc_lo, s5
	s_and_saveexec_b32 s21, s0
	s_cbranch_execz .LBB871_501
; %bb.496:
	v_mul_u64_e32 v[22:23], s[12:13], v[20:21]
	v_mul_u64_e32 v[24:25], s[12:13], v[4:5]
	s_mov_b32 s22, 0
	s_mov_b64 s[6:7], s[12:13]
                                        ; implicit-def: $sgpr23
                                        ; implicit-def: $sgpr24
                                        ; implicit-def: $sgpr25
                                        ; implicit-def: $sgpr26
	s_delay_alu instid0(VALU_DEP_2) | instskip(NEXT) | instid1(VALU_DEP_2)
	v_lshl_add_u64 v[22:23], v[22:23], 2, s[14:15]
	v_lshl_add_u64 v[24:25], v[24:25], 2, s[14:15]
	s_branch .LBB871_498
.LBB871_497:                            ;   in Loop: Header=BB871_498 Depth=1
	s_or_b32 exec_lo, exec_lo, s0
	s_delay_alu instid0(SALU_CYCLE_1) | instskip(NEXT) | instid1(SALU_CYCLE_1)
	s_and_b32 s0, exec_lo, s24
	s_or_b32 s22, s0, s22
	s_and_not1_b32 s0, s26, exec_lo
	s_and_b32 s26, s27, exec_lo
	s_and_not1_b32 s23, s23, exec_lo
	s_and_b32 s27, s25, exec_lo
	s_or_b32 s26, s0, s26
	s_or_b32 s23, s23, s27
	s_and_not1_b32 exec_lo, exec_lo, s22
	s_cbranch_execz .LBB871_500
.LBB871_498:                            ; =>This Inner Loop Header: Depth=1
	global_load_b32 v26, v[22:23], off
	global_load_b32 v27, v[24:25], off
	s_and_not1_b32 s25, s25, exec_lo
	s_or_b32 s24, s24, exec_lo
	s_wait_loadcnt 0x0
	v_cmp_ngt_f32_e32 vcc_lo, v26, v27
	v_cmp_lt_f32_e64 s0, v26, v27
	s_and_b32 s27, vcc_lo, s26
	s_xor_b32 s29, s0, vcc_lo
	s_or_b32 s27, s0, s27
	s_delay_alu instid0(SALU_CYCLE_1) | instskip(NEXT) | instid1(SALU_CYCLE_1)
	s_and_b32 s28, s27, exec_lo
	s_or_b32 s25, s25, s28
	s_and_saveexec_b32 s0, s29
	s_cbranch_execz .LBB871_497
; %bb.499:                              ;   in Loop: Header=BB871_498 Depth=1
	s_add_nc_u64 s[6:7], s[6:7], -1
	v_add_nc_u64_e32 v[22:23], 4, v[22:23]
	s_cmp_eq_u64 s[6:7], 0
	v_add_nc_u64_e32 v[24:25], 4, v[24:25]
	s_cselect_b32 s26, -1, 0
	s_and_not1_b32 s24, s24, exec_lo
	s_and_b32 s26, s26, exec_lo
	s_and_not1_b32 s25, s25, exec_lo
	s_or_b32 s24, s24, s26
                                        ; implicit-def: $sgpr26
	s_branch .LBB871_497
.LBB871_500:
	s_or_b32 exec_lo, exec_lo, s22
	v_dual_cndmask_b32 v23, v5, v21, s23 :: v_dual_cndmask_b32 v22, v4, v20, s23
.LBB871_501:
	s_or_b32 exec_lo, exec_lo, s21
	s_delay_alu instid0(VALU_DEP_1)
	v_mov_b64_e32 v[4:5], v[22:23]
.LBB871_502:
	s_or_b32 exec_lo, exec_lo, s1
.LBB871_503:
	s_delay_alu instid0(SALU_CYCLE_1)
	s_or_b32 exec_lo, exec_lo, s20
	v_lshlrev_b32_e32 v24, 3, v1
	s_lshl_b64 s[6:7], s[12:13], 2
	s_movk_i32 s23, 0x80
	s_xor_b32 s22, s5, -1
	; wave barrier
	s_wait_dscnt 0x0
	s_barrier_signal -1
	s_barrier_wait -1
.LBB871_504:                            ; =>This Loop Header: Depth=1
                                        ;     Child Loop BB871_508 Depth 2
                                        ;       Child Loop BB871_511 Depth 3
                                        ;     Child Loop BB871_522 Depth 2
                                        ;     Child Loop BB871_529 Depth 2
	;; [unrolled: 1-line block ×8, first 2 shown]
	s_lshl_b32 s24, s23, 1
	s_mov_b32 s1, exec_lo
	s_sub_co_i32 s0, 0, s24
	ds_store_b128 v24, v[14:17]
	ds_store_b128 v24, v[10:13] offset:16
	ds_store_b128 v24, v[6:9] offset:32
	;; [unrolled: 1-line block ×3, first 2 shown]
	v_and_b32_e32 v29, s0, v1
	s_add_co_i32 s0, s24, -1
	s_wait_dscnt 0x0
	v_and_b32_e32 v20, s0, v1
	s_barrier_signal -1
	v_add_min_u32_e64 v25, v29, s23, 0x800
	s_barrier_wait -1
	s_delay_alu instid0(VALU_DEP_2) | instskip(NEXT) | instid1(VALU_DEP_2)
	v_min_u32_e32 v30, 0x800, v20
	v_dual_lshlrev_b32 v28, 3, v29 :: v_dual_sub_nc_u32 v20, v25, v29
	v_add_min_u32_e64 v26, v25, s23, 0x800
	s_delay_alu instid0(VALU_DEP_2) | instskip(NEXT) | instid1(VALU_DEP_2)
	v_min_u32_e32 v31, v30, v20
	v_sub_nc_u32_e32 v21, v26, v25
	s_delay_alu instid0(VALU_DEP_1) | instskip(NEXT) | instid1(VALU_DEP_1)
	v_sub_nc_u32_e64 v27, v30, v21 clamp
	v_cmpx_lt_u32_e64 v27, v31
	s_cbranch_execz .LBB871_514
; %bb.505:                              ;   in Loop: Header=BB871_504 Depth=1
	v_lshlrev_b32_e32 v20, 3, v30
	s_mov_b32 s25, 0
	s_delay_alu instid0(VALU_DEP_1)
	v_lshl_add_u32 v32, v25, 3, v20
	s_branch .LBB871_508
.LBB871_506:                            ;   in Loop: Header=BB871_508 Depth=2
	s_or_b32 exec_lo, exec_lo, s27
.LBB871_507:                            ;   in Loop: Header=BB871_508 Depth=2
	s_delay_alu instid0(VALU_DEP_1) | instskip(NEXT) | instid1(VALU_DEP_1)
	v_dual_add_nc_u32 v20, 1, v33 :: v_dual_cndmask_b32 v31, v31, v33, s26
	v_cndmask_b32_e64 v27, v20, v27, s26
	s_delay_alu instid0(VALU_DEP_1) | instskip(SKIP_1) | instid1(SALU_CYCLE_1)
	v_cmp_ge_u32_e32 vcc_lo, v27, v31
	s_or_b32 s25, vcc_lo, s25
	s_and_not1_b32 exec_lo, exec_lo, s25
	s_cbranch_execz .LBB871_513
.LBB871_508:                            ;   Parent Loop BB871_504 Depth=1
                                        ; =>  This Loop Header: Depth=2
                                        ;       Child Loop BB871_511 Depth 3
	v_add_nc_u32_e32 v20, v31, v27
	v_cmp_ne_u32_e32 vcc_lo, 1, v45
	s_mov_b32 s26, 0
	s_delay_alu instid0(VALU_DEP_2)
	v_lshrrev_b32_e32 v33, 1, v20
	s_cbranch_vccnz .LBB871_507
; %bb.509:                              ;   in Loop: Header=BB871_508 Depth=2
	s_delay_alu instid0(VALU_DEP_1) | instskip(SKIP_3) | instid1(VALU_DEP_2)
	v_not_b32_e32 v20, v33
	v_lshl_add_u32 v21, v33, 3, v28
	s_mov_b32 s27, 0
	s_mov_b64 s[20:21], s[12:13]
                                        ; implicit-def: $sgpr26
                                        ; implicit-def: $sgpr28
                                        ; implicit-def: $sgpr29
                                        ; implicit-def: $sgpr30
	v_lshl_add_u32 v20, v20, 3, v32
	ds_load_b64 v[34:35], v20
	ds_load_b64 v[46:47], v21
	s_wait_dscnt 0x1
	v_mad_nc_u64_u32 v[20:21], s6, v34, s[14:15]
	s_wait_dscnt 0x0
	v_mad_nc_u64_u32 v[22:23], s6, v46, s[14:15]
	s_delay_alu instid0(VALU_DEP_2) | instskip(NEXT) | instid1(VALU_DEP_2)
	v_mad_u32 v21, s7, v34, v21
	v_mad_u32 v23, s7, v46, v23
	s_delay_alu instid0(VALU_DEP_2) | instskip(NEXT) | instid1(VALU_DEP_2)
	v_mad_u32 v21, s6, v35, v21
	v_mad_u32 v23, s6, v47, v23
	s_branch .LBB871_511
.LBB871_510:                            ;   in Loop: Header=BB871_511 Depth=3
	s_or_b32 exec_lo, exec_lo, s0
	s_delay_alu instid0(SALU_CYCLE_1) | instskip(NEXT) | instid1(SALU_CYCLE_1)
	s_and_b32 s0, exec_lo, s28
	s_or_b32 s27, s0, s27
	s_and_not1_b32 s0, s30, exec_lo
	s_and_b32 s30, s31, exec_lo
	s_and_not1_b32 s26, s26, exec_lo
	s_and_b32 s31, s29, exec_lo
	s_or_b32 s30, s0, s30
	s_or_b32 s26, s26, s31
	s_and_not1_b32 exec_lo, exec_lo, s27
	s_cbranch_execz .LBB871_506
.LBB871_511:                            ;   Parent Loop BB871_504 Depth=1
                                        ;     Parent Loop BB871_508 Depth=2
                                        ; =>    This Inner Loop Header: Depth=3
	global_load_b32 v34, v[20:21], off
	global_load_b32 v35, v[22:23], off
	s_and_not1_b32 s29, s29, exec_lo
	s_or_b32 s28, s28, exec_lo
	s_wait_loadcnt 0x0
	v_cmp_ngt_f32_e32 vcc_lo, v34, v35
	v_cmp_lt_f32_e64 s0, v34, v35
	s_and_b32 s31, vcc_lo, s30
	s_xor_b32 s34, s0, vcc_lo
	s_or_b32 s31, s0, s31
	s_delay_alu instid0(SALU_CYCLE_1) | instskip(NEXT) | instid1(SALU_CYCLE_1)
	s_and_b32 s33, s31, exec_lo
	s_or_b32 s29, s29, s33
	s_and_saveexec_b32 s0, s34
	s_cbranch_execz .LBB871_510
; %bb.512:                              ;   in Loop: Header=BB871_511 Depth=3
	s_add_nc_u64 s[20:21], s[20:21], -1
	v_add_nc_u64_e32 v[20:21], 4, v[20:21]
	s_cmp_eq_u64 s[20:21], 0
	v_add_nc_u64_e32 v[22:23], 4, v[22:23]
	s_cselect_b32 s30, -1, 0
	s_and_not1_b32 s28, s28, exec_lo
	s_and_b32 s30, s30, exec_lo
	s_and_not1_b32 s29, s29, exec_lo
	s_or_b32 s28, s28, s30
                                        ; implicit-def: $sgpr30
	s_branch .LBB871_510
.LBB871_513:                            ;   in Loop: Header=BB871_504 Depth=1
	s_or_b32 exec_lo, exec_lo, s25
.LBB871_514:                            ;   in Loop: Header=BB871_504 Depth=1
	s_delay_alu instid0(SALU_CYCLE_1) | instskip(SKIP_1) | instid1(VALU_DEP_1)
	s_or_b32 exec_lo, exec_lo, s1
	v_dual_sub_nc_u32 v21, v30, v27 :: v_dual_add_nc_u32 v20, v27, v29
	v_add_nc_u32_e32 v21, v21, v25
	s_delay_alu instid0(VALU_DEP_2) | instskip(NEXT) | instid1(VALU_DEP_2)
	v_cmp_le_u32_e32 vcc_lo, v20, v25
	v_cmp_le_u32_e64 s0, v21, v26
	s_or_b32 s0, vcc_lo, s0
	s_delay_alu instid0(SALU_CYCLE_1)
	s_and_saveexec_b32 s25, s0
	s_cbranch_execz .LBB871_582
; %bb.515:                              ;   in Loop: Header=BB871_504 Depth=1
	s_mov_b32 s1, exec_lo
	v_cmp_ge_u32_e32 vcc_lo, v20, v25
                                        ; implicit-def: $vgpr2_vgpr3
	v_cmpx_lt_u32_e64 v20, v25
; %bb.516:                              ;   in Loop: Header=BB871_504 Depth=1
	v_lshl_add_u32 v2, v27, 3, v28
	ds_load_b64 v[2:3], v2
; %bb.517:                              ;   in Loop: Header=BB871_504 Depth=1
	s_or_b32 exec_lo, exec_lo, s1
	v_cmp_ge_u32_e64 s0, v21, v26
	s_mov_b32 s20, exec_lo
                                        ; implicit-def: $vgpr14_vgpr15
	v_cmpx_lt_u32_e64 v21, v26
; %bb.518:                              ;   in Loop: Header=BB871_504 Depth=1
	v_lshlrev_b32_e32 v4, 3, v21
	ds_load_b64 v[14:15], v4
; %bb.519:                              ;   in Loop: Header=BB871_504 Depth=1
	s_or_b32 exec_lo, exec_lo, s20
	s_or_b32 s1, vcc_lo, s0
	s_xor_b32 s20, vcc_lo, -1
	s_nor_b32 s21, s1, s5
	s_or_b32 s1, s0, s20
	s_and_saveexec_b32 s26, s21
	s_cbranch_execz .LBB871_525
; %bb.520:                              ;   in Loop: Header=BB871_504 Depth=1
	s_wait_dscnt 0x0
	v_mad_nc_u64_u32 v[4:5], s6, v14, s[14:15]
	v_mad_nc_u64_u32 v[6:7], s6, v2, s[14:15]
	s_mov_b32 s27, 0
	s_mov_b64 s[20:21], s[12:13]
                                        ; implicit-def: $sgpr28
                                        ; implicit-def: $sgpr29
                                        ; implicit-def: $sgpr30
                                        ; implicit-def: $sgpr31
	s_delay_alu instid0(VALU_DEP_2) | instskip(NEXT) | instid1(VALU_DEP_2)
	v_mad_u32 v5, s7, v14, v5
	v_mad_u32 v7, s7, v2, v7
	s_delay_alu instid0(VALU_DEP_2) | instskip(NEXT) | instid1(VALU_DEP_2)
	v_mad_u32 v5, s6, v15, v5
	v_mad_u32 v7, s6, v3, v7
	s_branch .LBB871_522
.LBB871_521:                            ;   in Loop: Header=BB871_522 Depth=2
	s_or_b32 exec_lo, exec_lo, s0
	s_delay_alu instid0(SALU_CYCLE_1) | instskip(NEXT) | instid1(SALU_CYCLE_1)
	s_and_b32 s0, exec_lo, s29
	s_or_b32 s27, s0, s27
	s_and_not1_b32 s0, s31, exec_lo
	s_and_b32 s31, s33, exec_lo
	s_and_not1_b32 s28, s28, exec_lo
	s_and_b32 s33, s30, exec_lo
	s_or_b32 s31, s0, s31
	s_or_b32 s28, s28, s33
	s_and_not1_b32 exec_lo, exec_lo, s27
	s_cbranch_execz .LBB871_524
.LBB871_522:                            ;   Parent Loop BB871_504 Depth=1
                                        ; =>  This Inner Loop Header: Depth=2
	global_load_b32 v8, v[4:5], off
	global_load_b32 v9, v[6:7], off
	s_and_not1_b32 s30, s30, exec_lo
	s_or_b32 s29, s29, exec_lo
	s_wait_loadcnt 0x0
	v_cmp_ngt_f32_e32 vcc_lo, v8, v9
	v_cmp_lt_f32_e64 s0, v8, v9
	s_and_b32 s33, vcc_lo, s31
	s_xor_b32 s35, s0, vcc_lo
	s_or_b32 s33, s0, s33
	s_delay_alu instid0(SALU_CYCLE_1) | instskip(NEXT) | instid1(SALU_CYCLE_1)
	s_and_b32 s34, s33, exec_lo
	s_or_b32 s30, s30, s34
	s_and_saveexec_b32 s0, s35
	s_cbranch_execz .LBB871_521
; %bb.523:                              ;   in Loop: Header=BB871_522 Depth=2
	s_add_nc_u64 s[20:21], s[20:21], -1
	v_add_nc_u64_e32 v[4:5], 4, v[4:5]
	s_cmp_eq_u64 s[20:21], 0
	v_add_nc_u64_e32 v[6:7], 4, v[6:7]
	s_cselect_b32 s31, -1, 0
	s_and_not1_b32 s29, s29, exec_lo
	s_and_b32 s31, s31, exec_lo
	s_and_not1_b32 s30, s30, exec_lo
	s_or_b32 s29, s29, s31
                                        ; implicit-def: $sgpr31
	s_branch .LBB871_521
.LBB871_524:                            ;   in Loop: Header=BB871_504 Depth=1
	s_or_b32 exec_lo, exec_lo, s27
	s_xor_b32 s0, s28, -1
	s_and_not1_b32 s1, s1, exec_lo
	s_and_b32 s0, s0, exec_lo
	s_delay_alu instid0(SALU_CYCLE_1)
	s_or_b32 s1, s1, s0
.LBB871_525:                            ;   in Loop: Header=BB871_504 Depth=1
	s_or_b32 exec_lo, exec_lo, s26
	v_dual_cndmask_b32 v4, v21, v20, s1 :: v_dual_cndmask_b32 v5, v26, v25, s1
	s_mov_b32 s27, -1
	s_mov_b32 s26, -1
	s_mov_b32 s28, exec_lo
	s_delay_alu instid0(VALU_DEP_1) | instskip(NEXT) | instid1(VALU_DEP_1)
	v_add_nc_u32_e32 v6, 1, v4
	v_add_min_u32_e64 v4, v5, -1, v6
	s_delay_alu instid0(VALU_DEP_1)
	v_dual_lshlrev_b32 v4, 3, v4 :: v_dual_cndmask_b32 v8, v6, v21, s1
	v_cndmask_b32_e64 v9, v20, v6, s1
	ds_load_b64 v[4:5], v4
	s_wait_dscnt 0x0
	v_dual_cndmask_b32 v16, v5, v15, s1 :: v_dual_cndmask_b32 v20, v4, v14, s1
	v_dual_cndmask_b32 v17, v3, v5, s1 :: v_dual_cndmask_b32 v21, v2, v4, s1
	v_cmpx_lt_u32_e64 v8, v26
	s_cbranch_execz .LBB871_533
; %bb.526:                              ;   in Loop: Header=BB871_504 Depth=1
	v_cmp_lt_u32_e64 s26, v9, v25
	s_and_b32 s0, s26, s22
	s_delay_alu instid0(SALU_CYCLE_1)
	s_and_saveexec_b32 s29, s0
	s_cbranch_execz .LBB871_532
; %bb.527:                              ;   in Loop: Header=BB871_504 Depth=1
	v_mad_nc_u64_u32 v[4:5], s6, v20, s[14:15]
	v_mad_nc_u64_u32 v[6:7], s6, v21, s[14:15]
	s_mov_b32 s30, 0
	s_mov_b64 s[20:21], s[12:13]
                                        ; implicit-def: $sgpr31
                                        ; implicit-def: $sgpr33
                                        ; implicit-def: $sgpr34
                                        ; implicit-def: $sgpr35
	s_delay_alu instid0(VALU_DEP_2) | instskip(NEXT) | instid1(VALU_DEP_2)
	v_mad_u32 v5, s7, v20, v5
	v_mad_u32 v7, s7, v21, v7
	s_delay_alu instid0(VALU_DEP_2) | instskip(NEXT) | instid1(VALU_DEP_2)
	v_mad_u32 v5, s6, v16, v5
	v_mad_u32 v7, s6, v17, v7
	s_branch .LBB871_529
.LBB871_528:                            ;   in Loop: Header=BB871_529 Depth=2
	s_or_b32 exec_lo, exec_lo, s0
	s_delay_alu instid0(SALU_CYCLE_1) | instskip(NEXT) | instid1(SALU_CYCLE_1)
	s_and_b32 s0, exec_lo, s33
	s_or_b32 s30, s0, s30
	s_and_not1_b32 s0, s35, exec_lo
	s_and_b32 s35, s36, exec_lo
	s_and_not1_b32 s31, s31, exec_lo
	s_and_b32 s36, s34, exec_lo
	s_or_b32 s35, s0, s35
	s_or_b32 s31, s31, s36
	s_and_not1_b32 exec_lo, exec_lo, s30
	s_cbranch_execz .LBB871_531
.LBB871_529:                            ;   Parent Loop BB871_504 Depth=1
                                        ; =>  This Inner Loop Header: Depth=2
	global_load_b32 v10, v[4:5], off
	global_load_b32 v11, v[6:7], off
	s_and_not1_b32 s34, s34, exec_lo
	s_or_b32 s33, s33, exec_lo
	s_wait_loadcnt 0x0
	v_cmp_ngt_f32_e32 vcc_lo, v10, v11
	v_cmp_lt_f32_e64 s0, v10, v11
	s_and_b32 s36, vcc_lo, s35
	s_xor_b32 s38, s0, vcc_lo
	s_or_b32 s36, s0, s36
	s_delay_alu instid0(SALU_CYCLE_1) | instskip(NEXT) | instid1(SALU_CYCLE_1)
	s_and_b32 s37, s36, exec_lo
	s_or_b32 s34, s34, s37
	s_and_saveexec_b32 s0, s38
	s_cbranch_execz .LBB871_528
; %bb.530:                              ;   in Loop: Header=BB871_529 Depth=2
	s_add_nc_u64 s[20:21], s[20:21], -1
	v_add_nc_u64_e32 v[4:5], 4, v[4:5]
	s_cmp_eq_u64 s[20:21], 0
	v_add_nc_u64_e32 v[6:7], 4, v[6:7]
	s_cselect_b32 s35, -1, 0
	s_and_not1_b32 s33, s33, exec_lo
	s_and_b32 s35, s35, exec_lo
	s_and_not1_b32 s34, s34, exec_lo
	s_or_b32 s33, s33, s35
                                        ; implicit-def: $sgpr35
	s_branch .LBB871_528
.LBB871_531:                            ;   in Loop: Header=BB871_504 Depth=1
	s_or_b32 exec_lo, exec_lo, s30
	s_xor_b32 s0, s31, -1
	s_and_not1_b32 s20, s26, exec_lo
	s_and_b32 s0, s0, exec_lo
	s_delay_alu instid0(SALU_CYCLE_1)
	s_or_b32 s26, s20, s0
.LBB871_532:                            ;   in Loop: Header=BB871_504 Depth=1
	s_or_b32 exec_lo, exec_lo, s29
	s_delay_alu instid0(SALU_CYCLE_1)
	s_or_not1_b32 s26, s26, exec_lo
.LBB871_533:                            ;   in Loop: Header=BB871_504 Depth=1
	s_or_b32 exec_lo, exec_lo, s28
	v_cndmask_b32_e64 v4, v8, v9, s26
	v_cndmask_b32_e64 v5, v26, v25, s26
	s_mov_b32 s28, exec_lo
	s_delay_alu instid0(VALU_DEP_2) | instskip(NEXT) | instid1(VALU_DEP_1)
	v_add_nc_u32_e32 v6, 1, v4
	v_add_min_u32_e64 v4, v5, -1, v6
	v_dual_cndmask_b32 v8, v6, v8, s26 :: v_dual_cndmask_b32 v9, v9, v6, s26
	s_delay_alu instid0(VALU_DEP_2)
	v_lshlrev_b32_e32 v4, 3, v4
	ds_load_b64 v[4:5], v4
	s_wait_dscnt 0x0
	v_cndmask_b32_e64 v10, v5, v16, s26
	v_dual_cndmask_b32 v22, v4, v20, s26 :: v_dual_cndmask_b32 v11, v17, v5, s26
	v_cndmask_b32_e64 v23, v21, v4, s26
	v_cmpx_lt_u32_e64 v8, v26
	s_cbranch_execz .LBB871_541
; %bb.534:                              ;   in Loop: Header=BB871_504 Depth=1
	v_cmp_lt_u32_e64 s27, v9, v25
	s_and_b32 s0, s27, s22
	s_delay_alu instid0(SALU_CYCLE_1)
	s_and_saveexec_b32 s29, s0
	s_cbranch_execz .LBB871_540
; %bb.535:                              ;   in Loop: Header=BB871_504 Depth=1
	v_mad_nc_u64_u32 v[4:5], s6, v22, s[14:15]
	v_mad_nc_u64_u32 v[6:7], s6, v23, s[14:15]
	s_mov_b32 s30, 0
	s_mov_b64 s[20:21], s[12:13]
                                        ; implicit-def: $sgpr31
                                        ; implicit-def: $sgpr33
                                        ; implicit-def: $sgpr34
                                        ; implicit-def: $sgpr35
	s_delay_alu instid0(VALU_DEP_2) | instskip(NEXT) | instid1(VALU_DEP_2)
	v_mad_u32 v5, s7, v22, v5
	v_mad_u32 v7, s7, v23, v7
	s_delay_alu instid0(VALU_DEP_2) | instskip(NEXT) | instid1(VALU_DEP_2)
	v_mad_u32 v5, s6, v10, v5
	v_mad_u32 v7, s6, v11, v7
	s_branch .LBB871_537
.LBB871_536:                            ;   in Loop: Header=BB871_537 Depth=2
	s_or_b32 exec_lo, exec_lo, s0
	s_delay_alu instid0(SALU_CYCLE_1) | instskip(NEXT) | instid1(SALU_CYCLE_1)
	s_and_b32 s0, exec_lo, s33
	s_or_b32 s30, s0, s30
	s_and_not1_b32 s0, s35, exec_lo
	s_and_b32 s35, s36, exec_lo
	s_and_not1_b32 s31, s31, exec_lo
	s_and_b32 s36, s34, exec_lo
	s_or_b32 s35, s0, s35
	s_or_b32 s31, s31, s36
	s_and_not1_b32 exec_lo, exec_lo, s30
	s_cbranch_execz .LBB871_539
.LBB871_537:                            ;   Parent Loop BB871_504 Depth=1
                                        ; =>  This Inner Loop Header: Depth=2
	global_load_b32 v12, v[4:5], off
	global_load_b32 v13, v[6:7], off
	s_and_not1_b32 s34, s34, exec_lo
	s_or_b32 s33, s33, exec_lo
	s_wait_loadcnt 0x0
	v_cmp_ngt_f32_e32 vcc_lo, v12, v13
	v_cmp_lt_f32_e64 s0, v12, v13
	s_and_b32 s36, vcc_lo, s35
	s_xor_b32 s38, s0, vcc_lo
	s_or_b32 s36, s0, s36
	s_delay_alu instid0(SALU_CYCLE_1) | instskip(NEXT) | instid1(SALU_CYCLE_1)
	s_and_b32 s37, s36, exec_lo
	s_or_b32 s34, s34, s37
	s_and_saveexec_b32 s0, s38
	s_cbranch_execz .LBB871_536
; %bb.538:                              ;   in Loop: Header=BB871_537 Depth=2
	s_add_nc_u64 s[20:21], s[20:21], -1
	v_add_nc_u64_e32 v[4:5], 4, v[4:5]
	s_cmp_eq_u64 s[20:21], 0
	v_add_nc_u64_e32 v[6:7], 4, v[6:7]
	s_cselect_b32 s35, -1, 0
	s_and_not1_b32 s33, s33, exec_lo
	s_and_b32 s35, s35, exec_lo
	s_and_not1_b32 s34, s34, exec_lo
	s_or_b32 s33, s33, s35
                                        ; implicit-def: $sgpr35
	s_branch .LBB871_536
.LBB871_539:                            ;   in Loop: Header=BB871_504 Depth=1
	s_or_b32 exec_lo, exec_lo, s30
	s_xor_b32 s0, s31, -1
	s_and_not1_b32 s20, s27, exec_lo
	s_and_b32 s0, s0, exec_lo
	s_delay_alu instid0(SALU_CYCLE_1)
	s_or_b32 s27, s20, s0
.LBB871_540:                            ;   in Loop: Header=BB871_504 Depth=1
	s_or_b32 exec_lo, exec_lo, s29
	s_delay_alu instid0(SALU_CYCLE_1)
	s_or_not1_b32 s27, s27, exec_lo
.LBB871_541:                            ;   in Loop: Header=BB871_504 Depth=1
	s_or_b32 exec_lo, exec_lo, s28
	v_cndmask_b32_e64 v4, v8, v9, s27
	v_cndmask_b32_e64 v5, v26, v25, s27
	s_mov_b32 s29, -1
	s_mov_b32 s28, -1
	s_mov_b32 s30, exec_lo
	v_add_nc_u32_e32 v6, 1, v4
	s_delay_alu instid0(VALU_DEP_1) | instskip(SKIP_1) | instid1(VALU_DEP_2)
	v_add_min_u32_e64 v4, v5, -1, v6
	v_dual_cndmask_b32 v8, v6, v8, s27 :: v_dual_cndmask_b32 v9, v9, v6, s27
	v_lshlrev_b32_e32 v4, 3, v4
	ds_load_b64 v[4:5], v4
	s_wait_dscnt 0x0
	v_dual_cndmask_b32 v12, v5, v10, s27 :: v_dual_cndmask_b32 v13, v11, v5, s27
	v_dual_cndmask_b32 v27, v4, v22, s27 :: v_dual_cndmask_b32 v28, v23, v4, s27
	v_cmpx_lt_u32_e64 v8, v26
	s_cbranch_execz .LBB871_549
; %bb.542:                              ;   in Loop: Header=BB871_504 Depth=1
	v_cmp_lt_u32_e64 s28, v9, v25
	s_and_b32 s0, s28, s22
	s_delay_alu instid0(SALU_CYCLE_1)
	s_and_saveexec_b32 s31, s0
	s_cbranch_execz .LBB871_548
; %bb.543:                              ;   in Loop: Header=BB871_504 Depth=1
	v_mad_nc_u64_u32 v[4:5], s6, v27, s[14:15]
	v_mad_nc_u64_u32 v[6:7], s6, v28, s[14:15]
	s_mov_b32 s33, 0
	s_mov_b64 s[20:21], s[12:13]
                                        ; implicit-def: $sgpr34
                                        ; implicit-def: $sgpr35
                                        ; implicit-def: $sgpr36
                                        ; implicit-def: $sgpr37
	s_delay_alu instid0(VALU_DEP_2) | instskip(NEXT) | instid1(VALU_DEP_2)
	v_mad_u32 v5, s7, v27, v5
	v_mad_u32 v7, s7, v28, v7
	s_delay_alu instid0(VALU_DEP_2) | instskip(NEXT) | instid1(VALU_DEP_2)
	v_mad_u32 v5, s6, v12, v5
	v_mad_u32 v7, s6, v13, v7
	s_branch .LBB871_545
.LBB871_544:                            ;   in Loop: Header=BB871_545 Depth=2
	s_or_b32 exec_lo, exec_lo, s0
	s_delay_alu instid0(SALU_CYCLE_1) | instskip(NEXT) | instid1(SALU_CYCLE_1)
	s_and_b32 s0, exec_lo, s35
	s_or_b32 s33, s0, s33
	s_and_not1_b32 s0, s37, exec_lo
	s_and_b32 s37, s38, exec_lo
	s_and_not1_b32 s34, s34, exec_lo
	s_and_b32 s38, s36, exec_lo
	s_or_b32 s37, s0, s37
	s_or_b32 s34, s34, s38
	s_and_not1_b32 exec_lo, exec_lo, s33
	s_cbranch_execz .LBB871_547
.LBB871_545:                            ;   Parent Loop BB871_504 Depth=1
                                        ; =>  This Inner Loop Header: Depth=2
	global_load_b32 v29, v[4:5], off
	global_load_b32 v30, v[6:7], off
	s_and_not1_b32 s36, s36, exec_lo
	s_or_b32 s35, s35, exec_lo
	s_wait_loadcnt 0x0
	v_cmp_ngt_f32_e32 vcc_lo, v29, v30
	v_cmp_lt_f32_e64 s0, v29, v30
	s_and_b32 s38, vcc_lo, s37
	s_xor_b32 s40, s0, vcc_lo
	s_or_b32 s38, s0, s38
	s_delay_alu instid0(SALU_CYCLE_1) | instskip(NEXT) | instid1(SALU_CYCLE_1)
	s_and_b32 s39, s38, exec_lo
	s_or_b32 s36, s36, s39
	s_and_saveexec_b32 s0, s40
	s_cbranch_execz .LBB871_544
; %bb.546:                              ;   in Loop: Header=BB871_545 Depth=2
	s_add_nc_u64 s[20:21], s[20:21], -1
	v_add_nc_u64_e32 v[4:5], 4, v[4:5]
	s_cmp_eq_u64 s[20:21], 0
	v_add_nc_u64_e32 v[6:7], 4, v[6:7]
	s_cselect_b32 s37, -1, 0
	s_and_not1_b32 s35, s35, exec_lo
	s_and_b32 s37, s37, exec_lo
	s_and_not1_b32 s36, s36, exec_lo
	s_or_b32 s35, s35, s37
                                        ; implicit-def: $sgpr37
	s_branch .LBB871_544
.LBB871_547:                            ;   in Loop: Header=BB871_504 Depth=1
	s_or_b32 exec_lo, exec_lo, s33
	s_xor_b32 s0, s34, -1
	s_and_not1_b32 s20, s28, exec_lo
	s_and_b32 s0, s0, exec_lo
	s_delay_alu instid0(SALU_CYCLE_1)
	s_or_b32 s28, s20, s0
.LBB871_548:                            ;   in Loop: Header=BB871_504 Depth=1
	s_or_b32 exec_lo, exec_lo, s31
	s_delay_alu instid0(SALU_CYCLE_1)
	s_or_not1_b32 s28, s28, exec_lo
.LBB871_549:                            ;   in Loop: Header=BB871_504 Depth=1
	s_or_b32 exec_lo, exec_lo, s30
	v_cndmask_b32_e64 v4, v8, v9, s28
	v_cndmask_b32_e64 v5, v26, v25, s28
	s_mov_b32 s30, exec_lo
	s_delay_alu instid0(VALU_DEP_2) | instskip(NEXT) | instid1(VALU_DEP_1)
	v_add_nc_u32_e32 v6, 1, v4
	v_add_min_u32_e64 v4, v5, -1, v6
	v_dual_cndmask_b32 v8, v6, v8, s28 :: v_dual_cndmask_b32 v9, v9, v6, s28
	s_delay_alu instid0(VALU_DEP_2)
	v_lshlrev_b32_e32 v4, 3, v4
	ds_load_b64 v[4:5], v4
	s_wait_dscnt 0x0
	v_dual_cndmask_b32 v29, v5, v12, s28 :: v_dual_cndmask_b32 v30, v4, v27, s28
	v_dual_cndmask_b32 v31, v13, v5, s28 :: v_dual_cndmask_b32 v32, v28, v4, s28
	v_cmpx_lt_u32_e64 v8, v26
	s_cbranch_execz .LBB871_557
; %bb.550:                              ;   in Loop: Header=BB871_504 Depth=1
	v_cmp_lt_u32_e64 s29, v9, v25
	s_and_b32 s0, s29, s22
	s_delay_alu instid0(SALU_CYCLE_1)
	s_and_saveexec_b32 s31, s0
	s_cbranch_execz .LBB871_556
; %bb.551:                              ;   in Loop: Header=BB871_504 Depth=1
	v_mad_nc_u64_u32 v[4:5], s6, v30, s[14:15]
	v_mad_nc_u64_u32 v[6:7], s6, v32, s[14:15]
	s_mov_b32 s33, 0
	s_mov_b64 s[20:21], s[12:13]
                                        ; implicit-def: $sgpr34
                                        ; implicit-def: $sgpr35
                                        ; implicit-def: $sgpr36
                                        ; implicit-def: $sgpr37
	s_delay_alu instid0(VALU_DEP_2) | instskip(NEXT) | instid1(VALU_DEP_2)
	v_mad_u32 v5, s7, v30, v5
	v_mad_u32 v7, s7, v32, v7
	s_delay_alu instid0(VALU_DEP_2) | instskip(NEXT) | instid1(VALU_DEP_2)
	v_mad_u32 v5, s6, v29, v5
	v_mad_u32 v7, s6, v31, v7
	s_branch .LBB871_553
.LBB871_552:                            ;   in Loop: Header=BB871_553 Depth=2
	s_or_b32 exec_lo, exec_lo, s0
	s_delay_alu instid0(SALU_CYCLE_1) | instskip(NEXT) | instid1(SALU_CYCLE_1)
	s_and_b32 s0, exec_lo, s35
	s_or_b32 s33, s0, s33
	s_and_not1_b32 s0, s37, exec_lo
	s_and_b32 s37, s38, exec_lo
	s_and_not1_b32 s34, s34, exec_lo
	s_and_b32 s38, s36, exec_lo
	s_or_b32 s37, s0, s37
	s_or_b32 s34, s34, s38
	s_and_not1_b32 exec_lo, exec_lo, s33
	s_cbranch_execz .LBB871_555
.LBB871_553:                            ;   Parent Loop BB871_504 Depth=1
                                        ; =>  This Inner Loop Header: Depth=2
	global_load_b32 v33, v[4:5], off
	global_load_b32 v34, v[6:7], off
	s_and_not1_b32 s36, s36, exec_lo
	s_or_b32 s35, s35, exec_lo
	s_wait_loadcnt 0x0
	v_cmp_ngt_f32_e32 vcc_lo, v33, v34
	v_cmp_lt_f32_e64 s0, v33, v34
	s_and_b32 s38, vcc_lo, s37
	s_xor_b32 s40, s0, vcc_lo
	s_or_b32 s38, s0, s38
	s_delay_alu instid0(SALU_CYCLE_1) | instskip(NEXT) | instid1(SALU_CYCLE_1)
	s_and_b32 s39, s38, exec_lo
	s_or_b32 s36, s36, s39
	s_and_saveexec_b32 s0, s40
	s_cbranch_execz .LBB871_552
; %bb.554:                              ;   in Loop: Header=BB871_553 Depth=2
	s_add_nc_u64 s[20:21], s[20:21], -1
	v_add_nc_u64_e32 v[4:5], 4, v[4:5]
	s_cmp_eq_u64 s[20:21], 0
	v_add_nc_u64_e32 v[6:7], 4, v[6:7]
	s_cselect_b32 s37, -1, 0
	s_and_not1_b32 s35, s35, exec_lo
	s_and_b32 s37, s37, exec_lo
	s_and_not1_b32 s36, s36, exec_lo
	s_or_b32 s35, s35, s37
                                        ; implicit-def: $sgpr37
	s_branch .LBB871_552
.LBB871_555:                            ;   in Loop: Header=BB871_504 Depth=1
	s_or_b32 exec_lo, exec_lo, s33
	s_xor_b32 s0, s34, -1
	s_and_not1_b32 s20, s29, exec_lo
	s_and_b32 s0, s0, exec_lo
	s_delay_alu instid0(SALU_CYCLE_1)
	s_or_b32 s29, s20, s0
.LBB871_556:                            ;   in Loop: Header=BB871_504 Depth=1
	s_or_b32 exec_lo, exec_lo, s31
	s_delay_alu instid0(SALU_CYCLE_1)
	s_or_not1_b32 s29, s29, exec_lo
.LBB871_557:                            ;   in Loop: Header=BB871_504 Depth=1
	s_or_b32 exec_lo, exec_lo, s30
	v_cndmask_b32_e64 v4, v8, v9, s29
	v_cndmask_b32_e64 v5, v26, v25, s29
	s_mov_b32 s30, -1
	s_mov_b32 s31, -1
	s_mov_b32 s33, exec_lo
	v_add_nc_u32_e32 v6, 1, v4
	s_delay_alu instid0(VALU_DEP_1) | instskip(SKIP_1) | instid1(VALU_DEP_2)
	v_add_min_u32_e64 v4, v5, -1, v6
	v_dual_cndmask_b32 v8, v6, v8, s29 :: v_dual_cndmask_b32 v9, v9, v6, s29
	v_lshlrev_b32_e32 v4, 3, v4
	ds_load_b64 v[4:5], v4
	s_wait_dscnt 0x0
	v_dual_cndmask_b32 v33, v5, v29, s29 :: v_dual_cndmask_b32 v34, v4, v30, s29
	v_dual_cndmask_b32 v35, v31, v5, s29 :: v_dual_cndmask_b32 v46, v32, v4, s29
	v_cmpx_lt_u32_e64 v8, v26
	s_cbranch_execz .LBB871_565
; %bb.558:                              ;   in Loop: Header=BB871_504 Depth=1
	v_cmp_lt_u32_e64 s31, v9, v25
	s_and_b32 s0, s31, s22
	s_delay_alu instid0(SALU_CYCLE_1)
	s_and_saveexec_b32 s34, s0
	s_cbranch_execz .LBB871_564
; %bb.559:                              ;   in Loop: Header=BB871_504 Depth=1
	v_mad_nc_u64_u32 v[4:5], s6, v34, s[14:15]
	v_mad_nc_u64_u32 v[6:7], s6, v46, s[14:15]
	s_mov_b32 s35, 0
	s_mov_b64 s[20:21], s[12:13]
                                        ; implicit-def: $sgpr36
                                        ; implicit-def: $sgpr37
                                        ; implicit-def: $sgpr38
                                        ; implicit-def: $sgpr39
	s_delay_alu instid0(VALU_DEP_2) | instskip(NEXT) | instid1(VALU_DEP_2)
	v_mad_u32 v5, s7, v34, v5
	v_mad_u32 v7, s7, v46, v7
	s_delay_alu instid0(VALU_DEP_2) | instskip(NEXT) | instid1(VALU_DEP_2)
	v_mad_u32 v5, s6, v33, v5
	v_mad_u32 v7, s6, v35, v7
	s_branch .LBB871_561
.LBB871_560:                            ;   in Loop: Header=BB871_561 Depth=2
	s_or_b32 exec_lo, exec_lo, s0
	s_delay_alu instid0(SALU_CYCLE_1) | instskip(NEXT) | instid1(SALU_CYCLE_1)
	s_and_b32 s0, exec_lo, s37
	s_or_b32 s35, s0, s35
	s_and_not1_b32 s0, s39, exec_lo
	s_and_b32 s39, s40, exec_lo
	s_and_not1_b32 s36, s36, exec_lo
	s_and_b32 s40, s38, exec_lo
	s_or_b32 s39, s0, s39
	s_or_b32 s36, s36, s40
	s_and_not1_b32 exec_lo, exec_lo, s35
	s_cbranch_execz .LBB871_563
.LBB871_561:                            ;   Parent Loop BB871_504 Depth=1
                                        ; =>  This Inner Loop Header: Depth=2
	global_load_b32 v47, v[4:5], off
	global_load_b32 v48, v[6:7], off
	s_and_not1_b32 s38, s38, exec_lo
	s_or_b32 s37, s37, exec_lo
	s_wait_loadcnt 0x0
	v_cmp_ngt_f32_e32 vcc_lo, v47, v48
	v_cmp_lt_f32_e64 s0, v47, v48
	s_and_b32 s40, vcc_lo, s39
	s_xor_b32 s42, s0, vcc_lo
	s_or_b32 s40, s0, s40
	s_delay_alu instid0(SALU_CYCLE_1) | instskip(NEXT) | instid1(SALU_CYCLE_1)
	s_and_b32 s41, s40, exec_lo
	s_or_b32 s38, s38, s41
	s_and_saveexec_b32 s0, s42
	s_cbranch_execz .LBB871_560
; %bb.562:                              ;   in Loop: Header=BB871_561 Depth=2
	s_add_nc_u64 s[20:21], s[20:21], -1
	v_add_nc_u64_e32 v[4:5], 4, v[4:5]
	s_cmp_eq_u64 s[20:21], 0
	v_add_nc_u64_e32 v[6:7], 4, v[6:7]
	s_cselect_b32 s39, -1, 0
	s_and_not1_b32 s37, s37, exec_lo
	s_and_b32 s39, s39, exec_lo
	s_and_not1_b32 s38, s38, exec_lo
	s_or_b32 s37, s37, s39
                                        ; implicit-def: $sgpr39
	s_branch .LBB871_560
.LBB871_563:                            ;   in Loop: Header=BB871_504 Depth=1
	s_or_b32 exec_lo, exec_lo, s35
	s_xor_b32 s0, s36, -1
	s_and_not1_b32 s20, s31, exec_lo
	s_and_b32 s0, s0, exec_lo
	s_delay_alu instid0(SALU_CYCLE_1)
	s_or_b32 s31, s20, s0
.LBB871_564:                            ;   in Loop: Header=BB871_504 Depth=1
	s_or_b32 exec_lo, exec_lo, s34
	s_delay_alu instid0(SALU_CYCLE_1)
	s_or_not1_b32 s31, s31, exec_lo
.LBB871_565:                            ;   in Loop: Header=BB871_504 Depth=1
	s_or_b32 exec_lo, exec_lo, s33
	v_cndmask_b32_e64 v4, v8, v9, s31
	v_cndmask_b32_e64 v5, v26, v25, s31
	s_mov_b32 s33, exec_lo
	s_delay_alu instid0(VALU_DEP_2) | instskip(NEXT) | instid1(VALU_DEP_1)
	v_add_nc_u32_e32 v6, 1, v4
	v_add_min_u32_e64 v4, v5, -1, v6
	v_dual_cndmask_b32 v51, v6, v8, s31 :: v_dual_cndmask_b32 v8, v9, v6, s31
	s_delay_alu instid0(VALU_DEP_2)
	v_lshlrev_b32_e32 v4, 3, v4
	ds_load_b64 v[4:5], v4
	s_wait_dscnt 0x0
	v_dual_cndmask_b32 v47, v5, v33, s31 :: v_dual_cndmask_b32 v48, v4, v34, s31
	v_dual_cndmask_b32 v49, v35, v5, s31 :: v_dual_cndmask_b32 v50, v46, v4, s31
	v_cmpx_lt_u32_e64 v51, v26
	s_cbranch_execz .LBB871_573
; %bb.566:                              ;   in Loop: Header=BB871_504 Depth=1
	v_cmp_lt_u32_e64 s30, v8, v25
	s_and_b32 s0, s30, s22
	s_delay_alu instid0(SALU_CYCLE_1)
	s_and_saveexec_b32 s34, s0
	s_cbranch_execz .LBB871_572
; %bb.567:                              ;   in Loop: Header=BB871_504 Depth=1
	v_mad_nc_u64_u32 v[4:5], s6, v48, s[14:15]
	v_mad_nc_u64_u32 v[6:7], s6, v50, s[14:15]
	s_mov_b32 s35, 0
	s_mov_b64 s[20:21], s[12:13]
                                        ; implicit-def: $sgpr36
                                        ; implicit-def: $sgpr37
                                        ; implicit-def: $sgpr38
                                        ; implicit-def: $sgpr39
	s_delay_alu instid0(VALU_DEP_2) | instskip(NEXT) | instid1(VALU_DEP_2)
	v_mad_u32 v5, s7, v48, v5
	v_mad_u32 v7, s7, v50, v7
	s_delay_alu instid0(VALU_DEP_2) | instskip(NEXT) | instid1(VALU_DEP_2)
	v_mad_u32 v5, s6, v47, v5
	v_mad_u32 v7, s6, v49, v7
	s_branch .LBB871_569
.LBB871_568:                            ;   in Loop: Header=BB871_569 Depth=2
	s_or_b32 exec_lo, exec_lo, s0
	s_delay_alu instid0(SALU_CYCLE_1) | instskip(NEXT) | instid1(SALU_CYCLE_1)
	s_and_b32 s0, exec_lo, s37
	s_or_b32 s35, s0, s35
	s_and_not1_b32 s0, s39, exec_lo
	s_and_b32 s39, s40, exec_lo
	s_and_not1_b32 s36, s36, exec_lo
	s_and_b32 s40, s38, exec_lo
	s_or_b32 s39, s0, s39
	s_or_b32 s36, s36, s40
	s_and_not1_b32 exec_lo, exec_lo, s35
	s_cbranch_execz .LBB871_571
.LBB871_569:                            ;   Parent Loop BB871_504 Depth=1
                                        ; =>  This Inner Loop Header: Depth=2
	global_load_b32 v9, v[4:5], off
	global_load_b32 v52, v[6:7], off
	s_and_not1_b32 s38, s38, exec_lo
	s_or_b32 s37, s37, exec_lo
	s_wait_loadcnt 0x0
	v_cmp_ngt_f32_e32 vcc_lo, v9, v52
	v_cmp_lt_f32_e64 s0, v9, v52
	s_and_b32 s40, vcc_lo, s39
	s_xor_b32 s42, s0, vcc_lo
	s_or_b32 s40, s0, s40
	s_delay_alu instid0(SALU_CYCLE_1) | instskip(NEXT) | instid1(SALU_CYCLE_1)
	s_and_b32 s41, s40, exec_lo
	s_or_b32 s38, s38, s41
	s_and_saveexec_b32 s0, s42
	s_cbranch_execz .LBB871_568
; %bb.570:                              ;   in Loop: Header=BB871_569 Depth=2
	s_add_nc_u64 s[20:21], s[20:21], -1
	v_add_nc_u64_e32 v[4:5], 4, v[4:5]
	s_cmp_eq_u64 s[20:21], 0
	v_add_nc_u64_e32 v[6:7], 4, v[6:7]
	s_cselect_b32 s39, -1, 0
	s_and_not1_b32 s37, s37, exec_lo
	s_and_b32 s39, s39, exec_lo
	s_and_not1_b32 s38, s38, exec_lo
	s_or_b32 s37, s37, s39
                                        ; implicit-def: $sgpr39
	s_branch .LBB871_568
.LBB871_571:                            ;   in Loop: Header=BB871_504 Depth=1
	s_or_b32 exec_lo, exec_lo, s35
	s_xor_b32 s0, s36, -1
	s_and_not1_b32 s20, s30, exec_lo
	s_and_b32 s0, s0, exec_lo
	s_delay_alu instid0(SALU_CYCLE_1)
	s_or_b32 s30, s20, s0
.LBB871_572:                            ;   in Loop: Header=BB871_504 Depth=1
	s_or_b32 exec_lo, exec_lo, s34
	s_delay_alu instid0(SALU_CYCLE_1)
	s_or_not1_b32 s30, s30, exec_lo
.LBB871_573:                            ;   in Loop: Header=BB871_504 Depth=1
	s_or_b32 exec_lo, exec_lo, s33
	v_dual_cndmask_b32 v4, v51, v8, s30 :: v_dual_cndmask_b32 v5, v26, v25, s30
	s_mov_b32 s33, exec_lo
	s_delay_alu instid0(VALU_DEP_1) | instskip(NEXT) | instid1(VALU_DEP_1)
	v_add_nc_u32_e32 v9, 1, v4
	v_add_min_u32_e64 v4, v5, -1, v9
	s_delay_alu instid0(VALU_DEP_1) | instskip(SKIP_4) | instid1(VALU_DEP_2)
	v_lshlrev_b32_e32 v4, 3, v4
	ds_load_b64 v[6:7], v4
	s_wait_dscnt 0x0
	v_dual_cndmask_b32 v51, v9, v51, s30 :: v_dual_cndmask_b32 v4, v50, v6, s30
	v_cndmask_b32_e64 v5, v49, v7, s30
	v_cmpx_lt_u32_e64 v51, v26
	s_cbranch_execz .LBB871_581
; %bb.574:                              ;   in Loop: Header=BB871_504 Depth=1
	v_dual_cndmask_b32 v8, v8, v9, s30 :: v_dual_cndmask_b32 v26, v7, v47, s30
	s_delay_alu instid0(VALU_DEP_1) | instskip(NEXT) | instid1(VALU_DEP_2)
	v_cmp_ge_u32_e32 vcc_lo, v8, v25
	v_dual_cndmask_b32 v51, v6, v48, s30 :: v_dual_cndmask_b32 v7, v5, v26, vcc_lo
	s_delay_alu instid0(VALU_DEP_1) | instskip(SKIP_1) | instid1(SALU_CYCLE_1)
	v_cndmask_b32_e32 v6, v4, v51, vcc_lo
	s_nor_b32 s0, vcc_lo, s5
	s_and_saveexec_b32 s34, s0
	s_cbranch_execz .LBB871_580
; %bb.575:                              ;   in Loop: Header=BB871_504 Depth=1
	v_mad_nc_u64_u32 v[6:7], s6, v51, s[14:15]
	v_mad_nc_u64_u32 v[8:9], s6, v4, s[14:15]
	s_mov_b32 s35, 0
	s_mov_b64 s[20:21], s[12:13]
                                        ; implicit-def: $sgpr36
                                        ; implicit-def: $sgpr37
                                        ; implicit-def: $sgpr38
                                        ; implicit-def: $sgpr39
	s_delay_alu instid0(VALU_DEP_2) | instskip(NEXT) | instid1(VALU_DEP_2)
	v_mad_u32 v7, s7, v51, v7
	v_mad_u32 v9, s7, v4, v9
	s_delay_alu instid0(VALU_DEP_2) | instskip(NEXT) | instid1(VALU_DEP_2)
	v_mad_u32 v7, s6, v26, v7
	v_mad_u32 v9, s6, v5, v9
	s_branch .LBB871_577
.LBB871_576:                            ;   in Loop: Header=BB871_577 Depth=2
	s_or_b32 exec_lo, exec_lo, s0
	s_delay_alu instid0(SALU_CYCLE_1) | instskip(NEXT) | instid1(SALU_CYCLE_1)
	s_and_b32 s0, exec_lo, s37
	s_or_b32 s35, s0, s35
	s_and_not1_b32 s0, s39, exec_lo
	s_and_b32 s39, s40, exec_lo
	s_and_not1_b32 s36, s36, exec_lo
	s_and_b32 s40, s38, exec_lo
	s_or_b32 s39, s0, s39
	s_or_b32 s36, s36, s40
	s_and_not1_b32 exec_lo, exec_lo, s35
	s_cbranch_execz .LBB871_579
.LBB871_577:                            ;   Parent Loop BB871_504 Depth=1
                                        ; =>  This Inner Loop Header: Depth=2
	global_load_b32 v25, v[6:7], off
	global_load_b32 v52, v[8:9], off
	s_and_not1_b32 s38, s38, exec_lo
	s_or_b32 s37, s37, exec_lo
	s_wait_loadcnt 0x0
	v_cmp_ngt_f32_e32 vcc_lo, v25, v52
	v_cmp_lt_f32_e64 s0, v25, v52
	s_and_b32 s40, vcc_lo, s39
	s_xor_b32 s42, s0, vcc_lo
	s_or_b32 s40, s0, s40
	s_delay_alu instid0(SALU_CYCLE_1) | instskip(NEXT) | instid1(SALU_CYCLE_1)
	s_and_b32 s41, s40, exec_lo
	s_or_b32 s38, s38, s41
	s_and_saveexec_b32 s0, s42
	s_cbranch_execz .LBB871_576
; %bb.578:                              ;   in Loop: Header=BB871_577 Depth=2
	s_add_nc_u64 s[20:21], s[20:21], -1
	v_add_nc_u64_e32 v[6:7], 4, v[6:7]
	s_cmp_eq_u64 s[20:21], 0
	v_add_nc_u64_e32 v[8:9], 4, v[8:9]
	s_cselect_b32 s39, -1, 0
	s_and_not1_b32 s37, s37, exec_lo
	s_and_b32 s39, s39, exec_lo
	s_and_not1_b32 s38, s38, exec_lo
	s_or_b32 s37, s37, s39
                                        ; implicit-def: $sgpr39
	s_branch .LBB871_576
.LBB871_579:                            ;   in Loop: Header=BB871_504 Depth=1
	s_or_b32 exec_lo, exec_lo, s35
	v_dual_cndmask_b32 v7, v5, v26, s36 :: v_dual_cndmask_b32 v6, v4, v51, s36
.LBB871_580:                            ;   in Loop: Header=BB871_504 Depth=1
	s_or_b32 exec_lo, exec_lo, s34
	s_delay_alu instid0(VALU_DEP_1)
	v_mov_b64_e32 v[4:5], v[6:7]
.LBB871_581:                            ;   in Loop: Header=BB871_504 Depth=1
	s_or_b32 exec_lo, exec_lo, s33
	v_dual_cndmask_b32 v9, v33, v35, s31 :: v_dual_cndmask_b32 v8, v34, v46, s31
	v_dual_cndmask_b32 v7, v29, v31, s29 :: v_dual_cndmask_b32 v6, v30, v32, s29
	;; [unrolled: 1-line block ×7, first 2 shown]
.LBB871_582:                            ;   in Loop: Header=BB871_504 Depth=1
	s_or_b32 exec_lo, exec_lo, s25
	s_cmp_lt_u32 s23, 0x400
	s_barrier_signal -1
	s_barrier_wait -1
	s_cbranch_scc0 .LBB871_584
; %bb.583:                              ;   in Loop: Header=BB871_504 Depth=1
	s_mov_b32 s23, s24
	s_branch .LBB871_504
.LBB871_584:
	s_barrier_signal -1
	s_barrier_wait -1
	ds_store_2addr_b64 v44, v[14:15], v[16:17] offset1:1
	ds_store_2addr_b64 v44, v[10:11], v[12:13] offset0:2 offset1:3
	ds_store_2addr_b64 v44, v[6:7], v[8:9] offset0:4 offset1:5
	;; [unrolled: 1-line block ×3, first 2 shown]
	s_wait_dscnt 0x0
	s_barrier_signal -1
	s_barrier_wait -1
	ds_load_b64 v[4:5], v36
	ds_load_b64 v[6:7], v37 offset:2048
	ds_load_b64 v[8:9], v38 offset:4096
	;; [unrolled: 1-line block ×7, first 2 shown]
	s_mov_b32 s20, -1
	s_wait_dscnt 0x7
	global_store_b64 v18, v[4:5], s[10:11] scale_offset
	s_wait_dscnt 0x6
	global_store_b64 v18, v[6:7], s[10:11] offset:2048 scale_offset
	s_wait_dscnt 0x5
	global_store_b64 v18, v[8:9], s[10:11] offset:4096 scale_offset
	;; [unrolled: 2-line block ×6, first 2 shown]
	s_branch .LBB871_1227
.LBB871_585:
	s_lshl_b64 s[0:1], s[2:3], 11
                                        ; implicit-def: $vgpr2_vgpr3
	s_delay_alu instid0(SALU_CYCLE_1) | instskip(NEXT) | instid1(SALU_CYCLE_1)
	s_sub_co_i32 s21, s4, s0
	v_cmp_gt_u32_e64 s0, s21, v18
	s_wait_xcnt 0x0
	s_and_saveexec_b32 s1, s0
	s_cbranch_execz .LBB871_587
; %bb.586:
	s_wait_dscnt 0x0
	global_load_b64 v[2:3], v18, s[18:19] scale_offset
.LBB871_587:
	s_wait_xcnt 0x0
	s_or_b32 exec_lo, exec_lo, s1
	v_add_nc_u32_e32 v1, 0x100, v18
                                        ; implicit-def: $vgpr4_vgpr5
	s_delay_alu instid0(VALU_DEP_1)
	v_cmp_gt_u32_e64 s1, s21, v1
	s_and_saveexec_b32 s2, s1
	s_cbranch_execz .LBB871_589
; %bb.588:
	global_load_b64 v[4:5], v18, s[18:19] offset:2048 scale_offset
.LBB871_589:
	s_wait_xcnt 0x0
	s_or_b32 exec_lo, exec_lo, s2
	v_add_nc_u32_e32 v19, 0x200, v18
                                        ; implicit-def: $vgpr6_vgpr7
	s_delay_alu instid0(VALU_DEP_1)
	v_cmp_gt_u32_e64 s2, s21, v19
	s_and_saveexec_b32 s3, s2
	s_cbranch_execz .LBB871_591
; %bb.590:
	global_load_b64 v[6:7], v18, s[18:19] offset:4096 scale_offset
.LBB871_591:
	s_wait_xcnt 0x0
	s_or_b32 exec_lo, exec_lo, s3
	v_add_nc_u32_e32 v20, 0x300, v18
                                        ; implicit-def: $vgpr10_vgpr11
	s_delay_alu instid0(VALU_DEP_1)
	v_cmp_gt_u32_e64 s3, s21, v20
	s_and_saveexec_b32 s4, s3
	s_cbranch_execz .LBB871_593
; %bb.592:
	global_load_b64 v[10:11], v18, s[18:19] offset:6144 scale_offset
.LBB871_593:
	s_wait_xcnt 0x0
	s_or_b32 exec_lo, exec_lo, s4
	v_or_b32_e32 v22, 0x400, v18
                                        ; implicit-def: $vgpr8_vgpr9
	s_delay_alu instid0(VALU_DEP_1)
	v_cmp_gt_u32_e64 s4, s21, v22
	s_and_saveexec_b32 s5, s4
	s_cbranch_execz .LBB871_595
; %bb.594:
	global_load_b64 v[8:9], v18, s[18:19] offset:8192 scale_offset
.LBB871_595:
	s_wait_xcnt 0x0
	s_or_b32 exec_lo, exec_lo, s5
	v_add_nc_u32_e32 v23, 0x500, v18
                                        ; implicit-def: $vgpr12_vgpr13
	s_delay_alu instid0(VALU_DEP_1)
	v_cmp_gt_u32_e64 s5, s21, v23
	s_and_saveexec_b32 s6, s5
	s_cbranch_execz .LBB871_597
; %bb.596:
	global_load_b64 v[12:13], v18, s[18:19] offset:10240 scale_offset
.LBB871_597:
	s_wait_xcnt 0x0
	s_or_b32 exec_lo, exec_lo, s6
	v_add_nc_u32_e32 v24, 0x600, v18
                                        ; implicit-def: $vgpr14_vgpr15
	s_delay_alu instid0(VALU_DEP_1)
	v_cmp_gt_u32_e64 s6, s21, v24
	s_and_saveexec_b32 s7, s6
	s_cbranch_execz .LBB871_599
; %bb.598:
	global_load_b64 v[14:15], v18, s[18:19] offset:12288 scale_offset
.LBB871_599:
	s_wait_xcnt 0x0
	s_or_b32 exec_lo, exec_lo, s7
	v_add_nc_u32_e32 v25, 0x700, v18
                                        ; implicit-def: $vgpr16_vgpr17
	s_delay_alu instid0(VALU_DEP_1)
	v_cmp_gt_u32_e64 s20, s21, v25
	s_and_saveexec_b32 s7, s20
	s_cbranch_execz .LBB871_601
; %bb.600:
	global_load_b64 v[16:17], v18, s[18:19] offset:14336 scale_offset
.LBB871_601:
	s_wait_xcnt 0x0
	s_or_b32 exec_lo, exec_lo, s7
	v_dual_lshrrev_b32 v21, 2, v18 :: v_dual_lshrrev_b32 v1, 2, v1
	v_dual_lshrrev_b32 v19, 2, v19 :: v_dual_lshrrev_b32 v26, 2, v20
	v_lshlrev_b32_e32 v20, 3, v18
	s_delay_alu instid0(VALU_DEP_3) | instskip(NEXT) | instid1(VALU_DEP_4)
	v_and_b32_e32 v21, 0xf8, v21
	v_and_b32_e32 v1, 0x1f8, v1
	s_delay_alu instid0(VALU_DEP_4)
	v_and_b32_e32 v27, 0x1f8, v19
	v_and_b32_e32 v26, 0x1f8, v26
	s_cmp_lt_u32 s9, s8
	v_add_nc_u32_e32 v19, v21, v20
	v_dual_add_nc_u32 v21, v1, v20 :: v_dual_lshrrev_b32 v1, 2, v22
	v_dual_lshrrev_b32 v22, 2, v23 :: v_dual_add_nc_u32 v36, v27, v20
	v_add_nc_u32_e32 v37, v26, v20
	v_dual_lshrrev_b32 v23, 2, v24 :: v_dual_lshrrev_b32 v24, 2, v25
	s_wait_loadcnt_dscnt 0x0
	ds_store_b64 v19, v[2:3]
	ds_store_b64 v21, v[4:5] offset:2048
	ds_store_b64 v36, v[6:7] offset:4096
	;; [unrolled: 1-line block ×3, first 2 shown]
	v_and_b32_e32 v1, 0x1f8, v1
	v_lshlrev_b32_e32 v5, 1, v18
	v_and_b32_e32 v2, 0x3f8, v22
	v_and_b32_e32 v3, 0x3f8, v23
	;; [unrolled: 1-line block ×3, first 2 shown]
	v_add_nc_u32_e32 v38, v1, v20
	v_and_b32_e32 v1, 0x7f8, v5
	s_delay_alu instid0(VALU_DEP_4) | instskip(NEXT) | instid1(VALU_DEP_4)
	v_dual_add_nc_u32 v39, v2, v20 :: v_dual_add_nc_u32 v40, v3, v20
	v_add_nc_u32_e32 v41, v4, v20
	ds_store_b64 v38, v[8:9] offset:8192
	ds_store_b64 v39, v[12:13] offset:10240
	;; [unrolled: 1-line block ×4, first 2 shown]
	v_lshl_add_u32 v42, v18, 6, v1
	s_wait_storecnt_dscnt 0x0
	s_barrier_signal -1
	s_barrier_wait -1
	ds_load_2addr_b64 v[14:17], v42 offset1:1
	ds_load_2addr_b64 v[10:13], v42 offset0:2 offset1:3
	ds_load_2addr_b64 v[6:9], v42 offset0:4 offset1:5
	;; [unrolled: 1-line block ×3, first 2 shown]
	s_wait_dscnt 0x0
	s_barrier_signal -1
	s_barrier_wait -1
	s_load_u16 s7, s[16:17], 0xe
	s_cselect_b32 s8, 12, 18
	s_mov_b32 s9, 0
	v_bfe_u32 v1, v0, 10, 10
	s_wait_xcnt 0x0
	s_add_nc_u64 s[16:17], s[16:17], s[8:9]
	v_bfe_u32 v0, v0, 20, 10
	s_load_u16 s8, s[16:17], 0x0
	v_cmp_gt_i64_e64 s18, s[12:13], 0
	v_cmp_lt_i64_e64 s19, s[12:13], 1
	s_wait_kmcnt 0x0
	v_mad_u32_u24 v0, v0, s7, v1
	s_delay_alu instid0(VALU_DEP_1) | instskip(NEXT) | instid1(VALU_DEP_1)
	v_mul_lo_u32 v0, v0, s8
	v_add_lshl_u32 v24, v0, v18, 3
	s_delay_alu instid0(VALU_DEP_1) | instskip(NEXT) | instid1(VALU_DEP_1)
	v_sub_nc_u32_e64 v25, s21, v24 clamp
	v_cmp_lt_u32_e32 vcc_lo, 1, v25
	s_and_b32 s23, vcc_lo, s18
	s_delay_alu instid0(SALU_CYCLE_1)
	s_and_saveexec_b32 s8, s23
	s_cbranch_execz .LBB871_609
; %bb.602:
	v_mul_u64_e32 v[0:1], s[12:13], v[16:17]
	v_mul_u64_e32 v[22:23], s[12:13], v[14:15]
	s_mov_b64 s[16:17], s[12:13]
                                        ; implicit-def: $sgpr22
                                        ; implicit-def: $sgpr24
                                        ; implicit-def: $sgpr26
                                        ; implicit-def: $sgpr25
                                        ; implicit-def: $sgpr27
	s_delay_alu instid0(VALU_DEP_2) | instskip(NEXT) | instid1(VALU_DEP_2)
	v_lshl_add_u64 v[0:1], v[0:1], 2, s[14:15]
	v_lshl_add_u64 v[22:23], v[22:23], 2, s[14:15]
	s_branch .LBB871_604
.LBB871_603:                            ;   in Loop: Header=BB871_604 Depth=1
	s_or_b32 exec_lo, exec_lo, s28
	s_and_b32 s7, s7, s27
	s_delay_alu instid0(SALU_CYCLE_1) | instskip(SKIP_1) | instid1(SALU_CYCLE_1)
	s_or_b32 s7, vcc_lo, s7
	s_and_b32 s28, exec_lo, s26
	s_or_b32 s9, s28, s9
	s_and_not1_b32 s27, s27, exec_lo
	s_and_b32 s7, s7, exec_lo
	s_and_not1_b32 s24, s24, exec_lo
	s_and_b32 s28, s25, exec_lo
	s_and_not1_b32 s22, s22, exec_lo
	s_or_b32 s27, s27, s7
	s_or_b32 s24, s24, s28
	;; [unrolled: 1-line block ×3, first 2 shown]
	s_and_not1_b32 exec_lo, exec_lo, s9
	s_cbranch_execz .LBB871_606
.LBB871_604:                            ; =>This Inner Loop Header: Depth=1
	global_load_b32 v26, v[0:1], off
	global_load_b32 v27, v[22:23], off
	s_or_b32 s25, s25, exec_lo
	s_or_b32 s26, s26, exec_lo
	s_wait_loadcnt 0x0
	v_cmp_lt_f32_e32 vcc_lo, v26, v27
	v_cmp_ngt_f32_e64 s7, v26, v27
	s_xor_b32 s29, vcc_lo, s7
	s_delay_alu instid0(SALU_CYCLE_1)
	s_and_saveexec_b32 s28, s29
	s_cbranch_execz .LBB871_603
; %bb.605:                              ;   in Loop: Header=BB871_604 Depth=1
	s_add_nc_u64 s[16:17], s[16:17], -1
	v_add_nc_u64_e32 v[0:1], 4, v[0:1]
	s_cmp_eq_u64 s[16:17], 0
	v_add_nc_u64_e32 v[22:23], 4, v[22:23]
	s_cselect_b32 s29, -1, 0
	s_and_not1_b32 s26, s26, exec_lo
	s_and_b32 s29, s29, exec_lo
	s_and_not1_b32 s25, s25, exec_lo
	s_or_b32 s26, s26, s29
	s_branch .LBB871_603
.LBB871_606:
	s_or_b32 exec_lo, exec_lo, s9
	s_and_saveexec_b32 s7, s24
	s_delay_alu instid0(SALU_CYCLE_1)
	s_xor_b32 s7, exec_lo, s7
; %bb.607:
	v_dual_cndmask_b32 v1, v17, v15, s22 :: v_dual_cndmask_b32 v0, v16, v14, s22
	v_dual_cndmask_b32 v15, v15, v17, s22 :: v_dual_cndmask_b32 v14, v14, v16, s22
	s_delay_alu instid0(VALU_DEP_2)
	v_mov_b64_e32 v[16:17], v[0:1]
; %bb.608:
	s_or_b32 exec_lo, exec_lo, s7
.LBB871_609:
	s_delay_alu instid0(SALU_CYCLE_1) | instskip(SKIP_2) | instid1(SALU_CYCLE_1)
	s_or_b32 exec_lo, exec_lo, s8
	v_cmp_lt_u32_e32 vcc_lo, 3, v25
	s_xor_b32 s22, s19, -1
	s_and_b32 s16, vcc_lo, s22
	s_delay_alu instid0(SALU_CYCLE_1)
	s_and_saveexec_b32 s17, s16
	s_cbranch_execz .LBB871_617
; %bb.610:
	v_mul_u64_e32 v[0:1], s[12:13], v[12:13]
	v_mul_u64_e32 v[22:23], s[12:13], v[10:11]
	s_mov_b32 s25, 0
	s_mov_b64 s[8:9], s[12:13]
                                        ; implicit-def: $sgpr24
                                        ; implicit-def: $sgpr26
                                        ; implicit-def: $sgpr28
                                        ; implicit-def: $sgpr27
                                        ; implicit-def: $sgpr29
	s_delay_alu instid0(VALU_DEP_2) | instskip(NEXT) | instid1(VALU_DEP_2)
	v_lshl_add_u64 v[0:1], v[0:1], 2, s[14:15]
	v_lshl_add_u64 v[22:23], v[22:23], 2, s[14:15]
	s_branch .LBB871_612
.LBB871_611:                            ;   in Loop: Header=BB871_612 Depth=1
	s_or_b32 exec_lo, exec_lo, s30
	s_and_b32 s7, s7, s29
	s_delay_alu instid0(SALU_CYCLE_1) | instskip(SKIP_1) | instid1(SALU_CYCLE_1)
	s_or_b32 s7, vcc_lo, s7
	s_and_b32 s30, exec_lo, s28
	s_or_b32 s25, s30, s25
	s_and_not1_b32 s29, s29, exec_lo
	s_and_b32 s7, s7, exec_lo
	s_and_not1_b32 s26, s26, exec_lo
	s_and_b32 s30, s27, exec_lo
	s_and_not1_b32 s24, s24, exec_lo
	s_or_b32 s29, s29, s7
	s_or_b32 s26, s26, s30
	;; [unrolled: 1-line block ×3, first 2 shown]
	s_and_not1_b32 exec_lo, exec_lo, s25
	s_cbranch_execz .LBB871_614
.LBB871_612:                            ; =>This Inner Loop Header: Depth=1
	global_load_b32 v26, v[0:1], off
	global_load_b32 v27, v[22:23], off
	s_or_b32 s27, s27, exec_lo
	s_or_b32 s28, s28, exec_lo
	s_wait_loadcnt 0x0
	v_cmp_lt_f32_e32 vcc_lo, v26, v27
	v_cmp_ngt_f32_e64 s7, v26, v27
	s_xor_b32 s31, vcc_lo, s7
	s_delay_alu instid0(SALU_CYCLE_1)
	s_and_saveexec_b32 s30, s31
	s_cbranch_execz .LBB871_611
; %bb.613:                              ;   in Loop: Header=BB871_612 Depth=1
	s_add_nc_u64 s[8:9], s[8:9], -1
	v_add_nc_u64_e32 v[0:1], 4, v[0:1]
	s_cmp_eq_u64 s[8:9], 0
	v_add_nc_u64_e32 v[22:23], 4, v[22:23]
	s_cselect_b32 s31, -1, 0
	s_and_not1_b32 s28, s28, exec_lo
	s_and_b32 s31, s31, exec_lo
	s_and_not1_b32 s27, s27, exec_lo
	s_or_b32 s28, s28, s31
	s_branch .LBB871_611
.LBB871_614:
	s_or_b32 exec_lo, exec_lo, s25
	s_and_saveexec_b32 s7, s26
	s_delay_alu instid0(SALU_CYCLE_1)
	s_xor_b32 s7, exec_lo, s7
; %bb.615:
	v_dual_cndmask_b32 v1, v11, v13, s24 :: v_dual_cndmask_b32 v0, v10, v12, s24
	v_dual_cndmask_b32 v13, v13, v11, s24 :: v_dual_cndmask_b32 v12, v12, v10, s24
	s_delay_alu instid0(VALU_DEP_2)
	v_mov_b64_e32 v[10:11], v[0:1]
; %bb.616:
	s_or_b32 exec_lo, exec_lo, s7
.LBB871_617:
	s_delay_alu instid0(SALU_CYCLE_1) | instskip(SKIP_2) | instid1(SALU_CYCLE_1)
	s_or_b32 exec_lo, exec_lo, s17
	v_cmp_lt_u32_e32 vcc_lo, 5, v25
	s_and_b32 s17, vcc_lo, s22
	s_and_saveexec_b32 s24, s17
	s_cbranch_execz .LBB871_625
; %bb.618:
	v_mul_u64_e32 v[0:1], s[12:13], v[8:9]
	v_mul_u64_e32 v[22:23], s[12:13], v[6:7]
	s_mov_b32 s26, 0
	s_mov_b64 s[8:9], s[12:13]
                                        ; implicit-def: $sgpr25
                                        ; implicit-def: $sgpr27
                                        ; implicit-def: $sgpr29
                                        ; implicit-def: $sgpr28
                                        ; implicit-def: $sgpr30
	s_delay_alu instid0(VALU_DEP_2) | instskip(NEXT) | instid1(VALU_DEP_2)
	v_lshl_add_u64 v[0:1], v[0:1], 2, s[14:15]
	v_lshl_add_u64 v[22:23], v[22:23], 2, s[14:15]
	s_branch .LBB871_620
.LBB871_619:                            ;   in Loop: Header=BB871_620 Depth=1
	s_or_b32 exec_lo, exec_lo, s31
	s_and_b32 s7, s7, s30
	s_delay_alu instid0(SALU_CYCLE_1) | instskip(SKIP_1) | instid1(SALU_CYCLE_1)
	s_or_b32 s7, vcc_lo, s7
	s_and_b32 s31, exec_lo, s29
	s_or_b32 s26, s31, s26
	s_and_not1_b32 s30, s30, exec_lo
	s_and_b32 s7, s7, exec_lo
	s_and_not1_b32 s27, s27, exec_lo
	s_and_b32 s31, s28, exec_lo
	s_and_not1_b32 s25, s25, exec_lo
	s_or_b32 s30, s30, s7
	s_or_b32 s27, s27, s31
	;; [unrolled: 1-line block ×3, first 2 shown]
	s_and_not1_b32 exec_lo, exec_lo, s26
	s_cbranch_execz .LBB871_622
.LBB871_620:                            ; =>This Inner Loop Header: Depth=1
	global_load_b32 v26, v[0:1], off
	global_load_b32 v27, v[22:23], off
	s_or_b32 s28, s28, exec_lo
	s_or_b32 s29, s29, exec_lo
	s_wait_loadcnt 0x0
	v_cmp_lt_f32_e32 vcc_lo, v26, v27
	v_cmp_ngt_f32_e64 s7, v26, v27
	s_xor_b32 s33, vcc_lo, s7
	s_delay_alu instid0(SALU_CYCLE_1)
	s_and_saveexec_b32 s31, s33
	s_cbranch_execz .LBB871_619
; %bb.621:                              ;   in Loop: Header=BB871_620 Depth=1
	s_add_nc_u64 s[8:9], s[8:9], -1
	v_add_nc_u64_e32 v[0:1], 4, v[0:1]
	s_cmp_eq_u64 s[8:9], 0
	v_add_nc_u64_e32 v[22:23], 4, v[22:23]
	s_cselect_b32 s33, -1, 0
	s_and_not1_b32 s29, s29, exec_lo
	s_and_b32 s33, s33, exec_lo
	s_and_not1_b32 s28, s28, exec_lo
	s_or_b32 s29, s29, s33
	s_branch .LBB871_619
.LBB871_622:
	s_or_b32 exec_lo, exec_lo, s26
	s_and_saveexec_b32 s7, s27
	s_delay_alu instid0(SALU_CYCLE_1)
	s_xor_b32 s7, exec_lo, s7
; %bb.623:
	v_dual_cndmask_b32 v1, v7, v9, s25 :: v_dual_cndmask_b32 v0, v6, v8, s25
	v_dual_cndmask_b32 v9, v9, v7, s25 :: v_dual_cndmask_b32 v8, v8, v6, s25
	s_delay_alu instid0(VALU_DEP_2)
	v_mov_b64_e32 v[6:7], v[0:1]
; %bb.624:
	s_or_b32 exec_lo, exec_lo, s7
.LBB871_625:
	s_delay_alu instid0(SALU_CYCLE_1) | instskip(SKIP_2) | instid1(SALU_CYCLE_1)
	s_or_b32 exec_lo, exec_lo, s24
	v_cmp_lt_u32_e32 vcc_lo, 7, v25
	s_and_b32 s24, vcc_lo, s22
	s_and_saveexec_b32 s25, s24
	s_cbranch_execz .LBB871_633
; %bb.626:
	v_mul_u64_e32 v[0:1], s[12:13], v[4:5]
	v_mul_u64_e32 v[22:23], s[12:13], v[2:3]
	s_mov_b32 s27, 0
	s_mov_b64 s[8:9], s[12:13]
                                        ; implicit-def: $sgpr26
                                        ; implicit-def: $sgpr28
                                        ; implicit-def: $sgpr30
                                        ; implicit-def: $sgpr29
                                        ; implicit-def: $sgpr31
	s_delay_alu instid0(VALU_DEP_2) | instskip(NEXT) | instid1(VALU_DEP_2)
	v_lshl_add_u64 v[0:1], v[0:1], 2, s[14:15]
	v_lshl_add_u64 v[22:23], v[22:23], 2, s[14:15]
	s_branch .LBB871_628
.LBB871_627:                            ;   in Loop: Header=BB871_628 Depth=1
	s_or_b32 exec_lo, exec_lo, s33
	s_and_b32 s7, s7, s31
	s_delay_alu instid0(SALU_CYCLE_1) | instskip(SKIP_1) | instid1(SALU_CYCLE_1)
	s_or_b32 s7, vcc_lo, s7
	s_and_b32 s33, exec_lo, s30
	s_or_b32 s27, s33, s27
	s_and_not1_b32 s31, s31, exec_lo
	s_and_b32 s7, s7, exec_lo
	s_and_not1_b32 s28, s28, exec_lo
	s_and_b32 s33, s29, exec_lo
	s_and_not1_b32 s26, s26, exec_lo
	s_or_b32 s31, s31, s7
	s_or_b32 s28, s28, s33
	;; [unrolled: 1-line block ×3, first 2 shown]
	s_and_not1_b32 exec_lo, exec_lo, s27
	s_cbranch_execz .LBB871_630
.LBB871_628:                            ; =>This Inner Loop Header: Depth=1
	global_load_b32 v26, v[0:1], off
	global_load_b32 v27, v[22:23], off
	s_or_b32 s29, s29, exec_lo
	s_or_b32 s30, s30, exec_lo
	s_wait_loadcnt 0x0
	v_cmp_lt_f32_e32 vcc_lo, v26, v27
	v_cmp_ngt_f32_e64 s7, v26, v27
	s_xor_b32 s34, vcc_lo, s7
	s_delay_alu instid0(SALU_CYCLE_1)
	s_and_saveexec_b32 s33, s34
	s_cbranch_execz .LBB871_627
; %bb.629:                              ;   in Loop: Header=BB871_628 Depth=1
	s_add_nc_u64 s[8:9], s[8:9], -1
	v_add_nc_u64_e32 v[0:1], 4, v[0:1]
	s_cmp_eq_u64 s[8:9], 0
	v_add_nc_u64_e32 v[22:23], 4, v[22:23]
	s_cselect_b32 s34, -1, 0
	s_and_not1_b32 s30, s30, exec_lo
	s_and_b32 s34, s34, exec_lo
	s_and_not1_b32 s29, s29, exec_lo
	s_or_b32 s30, s30, s34
	s_branch .LBB871_627
.LBB871_630:
	s_or_b32 exec_lo, exec_lo, s27
	s_and_saveexec_b32 s7, s28
	s_delay_alu instid0(SALU_CYCLE_1)
	s_xor_b32 s7, exec_lo, s7
; %bb.631:
	v_dual_cndmask_b32 v1, v3, v5, s26 :: v_dual_cndmask_b32 v0, v2, v4, s26
	v_dual_cndmask_b32 v5, v5, v3, s26 :: v_dual_cndmask_b32 v4, v4, v2, s26
	s_delay_alu instid0(VALU_DEP_2)
	v_mov_b64_e32 v[2:3], v[0:1]
; %bb.632:
	s_or_b32 exec_lo, exec_lo, s7
.LBB871_633:
	s_delay_alu instid0(SALU_CYCLE_1) | instskip(SKIP_2) | instid1(SALU_CYCLE_1)
	s_or_b32 exec_lo, exec_lo, s25
	v_cmp_lt_u32_e32 vcc_lo, 2, v25
	s_and_b32 s25, vcc_lo, s22
	s_and_saveexec_b32 s7, s25
	s_delay_alu instid0(SALU_CYCLE_1)
	s_xor_b32 s26, exec_lo, s7
	s_cbranch_execz .LBB871_641
; %bb.634:
	v_mul_u64_e32 v[0:1], s[12:13], v[10:11]
	v_mul_u64_e32 v[22:23], s[12:13], v[16:17]
	s_mov_b32 s28, 0
	s_mov_b64 s[8:9], s[12:13]
                                        ; implicit-def: $sgpr27
                                        ; implicit-def: $sgpr29
                                        ; implicit-def: $sgpr31
                                        ; implicit-def: $sgpr30
                                        ; implicit-def: $sgpr33
	s_delay_alu instid0(VALU_DEP_2) | instskip(NEXT) | instid1(VALU_DEP_2)
	v_lshl_add_u64 v[0:1], v[0:1], 2, s[14:15]
	v_lshl_add_u64 v[22:23], v[22:23], 2, s[14:15]
	s_branch .LBB871_636
.LBB871_635:                            ;   in Loop: Header=BB871_636 Depth=1
	s_or_b32 exec_lo, exec_lo, s34
	s_and_b32 s7, s7, s33
	s_delay_alu instid0(SALU_CYCLE_1) | instskip(SKIP_1) | instid1(SALU_CYCLE_1)
	s_or_b32 s7, vcc_lo, s7
	s_and_b32 s34, exec_lo, s31
	s_or_b32 s28, s34, s28
	s_and_not1_b32 s33, s33, exec_lo
	s_and_b32 s7, s7, exec_lo
	s_and_not1_b32 s29, s29, exec_lo
	s_and_b32 s34, s30, exec_lo
	s_and_not1_b32 s27, s27, exec_lo
	s_or_b32 s33, s33, s7
	s_or_b32 s29, s29, s34
	;; [unrolled: 1-line block ×3, first 2 shown]
	s_and_not1_b32 exec_lo, exec_lo, s28
	s_cbranch_execz .LBB871_638
.LBB871_636:                            ; =>This Inner Loop Header: Depth=1
	global_load_b32 v26, v[0:1], off
	global_load_b32 v27, v[22:23], off
	s_or_b32 s30, s30, exec_lo
	s_or_b32 s31, s31, exec_lo
	s_wait_loadcnt 0x0
	v_cmp_lt_f32_e32 vcc_lo, v26, v27
	v_cmp_ngt_f32_e64 s7, v26, v27
	s_xor_b32 s35, vcc_lo, s7
	s_delay_alu instid0(SALU_CYCLE_1)
	s_and_saveexec_b32 s34, s35
	s_cbranch_execz .LBB871_635
; %bb.637:                              ;   in Loop: Header=BB871_636 Depth=1
	s_add_nc_u64 s[8:9], s[8:9], -1
	v_add_nc_u64_e32 v[0:1], 4, v[0:1]
	s_cmp_eq_u64 s[8:9], 0
	v_add_nc_u64_e32 v[22:23], 4, v[22:23]
	s_cselect_b32 s35, -1, 0
	s_and_not1_b32 s31, s31, exec_lo
	s_and_b32 s35, s35, exec_lo
	s_and_not1_b32 s30, s30, exec_lo
	s_or_b32 s31, s31, s35
	s_branch .LBB871_635
.LBB871_638:
	s_or_b32 exec_lo, exec_lo, s28
	s_and_saveexec_b32 s7, s29
	s_delay_alu instid0(SALU_CYCLE_1)
	s_xor_b32 s7, exec_lo, s7
; %bb.639:
	v_dual_cndmask_b32 v1, v17, v11, s27 :: v_dual_cndmask_b32 v0, v16, v10, s27
	v_dual_cndmask_b32 v11, v11, v17, s27 :: v_dual_cndmask_b32 v10, v10, v16, s27
	s_delay_alu instid0(VALU_DEP_2)
	v_mov_b64_e32 v[16:17], v[0:1]
; %bb.640:
	s_or_b32 exec_lo, exec_lo, s7
.LBB871_641:
	s_delay_alu instid0(SALU_CYCLE_1) | instskip(SKIP_2) | instid1(SALU_CYCLE_1)
	s_or_b32 exec_lo, exec_lo, s26
	v_cmp_lt_u32_e32 vcc_lo, 4, v25
	s_and_b32 s26, vcc_lo, s22
	s_and_saveexec_b32 s27, s26
	s_cbranch_execz .LBB871_649
; %bb.642:
	v_mul_u64_e32 v[0:1], s[12:13], v[6:7]
	v_mul_u64_e32 v[22:23], s[12:13], v[12:13]
	s_mov_b32 s29, 0
	s_mov_b64 s[8:9], s[12:13]
                                        ; implicit-def: $sgpr28
                                        ; implicit-def: $sgpr30
                                        ; implicit-def: $sgpr33
                                        ; implicit-def: $sgpr31
                                        ; implicit-def: $sgpr34
	s_delay_alu instid0(VALU_DEP_2) | instskip(NEXT) | instid1(VALU_DEP_2)
	v_lshl_add_u64 v[0:1], v[0:1], 2, s[14:15]
	v_lshl_add_u64 v[22:23], v[22:23], 2, s[14:15]
	s_branch .LBB871_644
.LBB871_643:                            ;   in Loop: Header=BB871_644 Depth=1
	s_or_b32 exec_lo, exec_lo, s35
	s_and_b32 s7, s7, s34
	s_delay_alu instid0(SALU_CYCLE_1) | instskip(SKIP_1) | instid1(SALU_CYCLE_1)
	s_or_b32 s7, vcc_lo, s7
	s_and_b32 s35, exec_lo, s33
	s_or_b32 s29, s35, s29
	s_and_not1_b32 s34, s34, exec_lo
	s_and_b32 s7, s7, exec_lo
	s_and_not1_b32 s30, s30, exec_lo
	s_and_b32 s35, s31, exec_lo
	s_and_not1_b32 s28, s28, exec_lo
	s_or_b32 s34, s34, s7
	s_or_b32 s30, s30, s35
	;; [unrolled: 1-line block ×3, first 2 shown]
	s_and_not1_b32 exec_lo, exec_lo, s29
	s_cbranch_execz .LBB871_646
.LBB871_644:                            ; =>This Inner Loop Header: Depth=1
	global_load_b32 v26, v[0:1], off
	global_load_b32 v27, v[22:23], off
	s_or_b32 s31, s31, exec_lo
	s_or_b32 s33, s33, exec_lo
	s_wait_loadcnt 0x0
	v_cmp_lt_f32_e32 vcc_lo, v26, v27
	v_cmp_ngt_f32_e64 s7, v26, v27
	s_xor_b32 s36, vcc_lo, s7
	s_delay_alu instid0(SALU_CYCLE_1)
	s_and_saveexec_b32 s35, s36
	s_cbranch_execz .LBB871_643
; %bb.645:                              ;   in Loop: Header=BB871_644 Depth=1
	s_add_nc_u64 s[8:9], s[8:9], -1
	v_add_nc_u64_e32 v[0:1], 4, v[0:1]
	s_cmp_eq_u64 s[8:9], 0
	v_add_nc_u64_e32 v[22:23], 4, v[22:23]
	s_cselect_b32 s36, -1, 0
	s_and_not1_b32 s33, s33, exec_lo
	s_and_b32 s36, s36, exec_lo
	s_and_not1_b32 s31, s31, exec_lo
	s_or_b32 s33, s33, s36
	s_branch .LBB871_643
.LBB871_646:
	s_or_b32 exec_lo, exec_lo, s29
	s_and_saveexec_b32 s7, s30
	s_delay_alu instid0(SALU_CYCLE_1)
	s_xor_b32 s7, exec_lo, s7
; %bb.647:
	v_dual_cndmask_b32 v1, v13, v7, s28 :: v_dual_cndmask_b32 v0, v12, v6, s28
	v_dual_cndmask_b32 v7, v7, v13, s28 :: v_dual_cndmask_b32 v6, v6, v12, s28
	s_delay_alu instid0(VALU_DEP_2)
	v_mov_b64_e32 v[12:13], v[0:1]
; %bb.648:
	s_or_b32 exec_lo, exec_lo, s7
.LBB871_649:
	s_delay_alu instid0(SALU_CYCLE_1) | instskip(SKIP_2) | instid1(SALU_CYCLE_1)
	s_or_b32 exec_lo, exec_lo, s27
	v_cmp_lt_u32_e32 vcc_lo, 6, v25
	s_and_b32 s27, vcc_lo, s22
	s_and_saveexec_b32 s28, s27
	s_cbranch_execnz .LBB871_671
; %bb.650:
	s_or_b32 exec_lo, exec_lo, s28
	s_and_saveexec_b32 s28, s23
	s_cbranch_execnz .LBB871_678
.LBB871_651:
	s_or_b32 exec_lo, exec_lo, s28
	s_and_saveexec_b32 s28, s16
	s_cbranch_execnz .LBB871_685
.LBB871_652:
	s_or_b32 exec_lo, exec_lo, s28
	s_and_saveexec_b32 s28, s17
	s_cbranch_execnz .LBB871_692
.LBB871_653:
	s_or_b32 exec_lo, exec_lo, s28
	s_and_saveexec_b32 s28, s24
	s_cbranch_execnz .LBB871_699
.LBB871_654:
	s_or_b32 exec_lo, exec_lo, s28
	s_and_saveexec_b32 s28, s25
	s_cbranch_execnz .LBB871_706
.LBB871_655:
	s_or_b32 exec_lo, exec_lo, s28
	s_and_saveexec_b32 s28, s26
	s_cbranch_execnz .LBB871_713
.LBB871_656:
	s_or_b32 exec_lo, exec_lo, s28
	s_and_saveexec_b32 s28, s27
	s_cbranch_execnz .LBB871_720
.LBB871_657:
	s_or_b32 exec_lo, exec_lo, s28
	s_and_saveexec_b32 s28, s23
	s_cbranch_execnz .LBB871_727
.LBB871_658:
	s_or_b32 exec_lo, exec_lo, s28
	s_and_saveexec_b32 s28, s16
	s_cbranch_execnz .LBB871_734
.LBB871_659:
	s_or_b32 exec_lo, exec_lo, s28
	s_and_saveexec_b32 s28, s17
	s_cbranch_execnz .LBB871_741
.LBB871_660:
	s_or_b32 exec_lo, exec_lo, s28
	s_and_saveexec_b32 s28, s24
	s_cbranch_execnz .LBB871_748
.LBB871_661:
	s_or_b32 exec_lo, exec_lo, s28
	s_and_saveexec_b32 s28, s25
	s_cbranch_execnz .LBB871_755
.LBB871_662:
	s_or_b32 exec_lo, exec_lo, s28
	s_and_saveexec_b32 s28, s26
	s_cbranch_execnz .LBB871_762
.LBB871_663:
	s_or_b32 exec_lo, exec_lo, s28
	s_and_saveexec_b32 s28, s27
	s_cbranch_execnz .LBB871_769
.LBB871_664:
	s_or_b32 exec_lo, exec_lo, s28
	s_and_saveexec_b32 s28, s23
	s_cbranch_execnz .LBB871_776
.LBB871_665:
	s_or_b32 exec_lo, exec_lo, s28
	s_and_saveexec_b32 s23, s16
	s_cbranch_execnz .LBB871_783
.LBB871_666:
	s_or_b32 exec_lo, exec_lo, s23
	s_and_saveexec_b32 s16, s17
	s_cbranch_execnz .LBB871_790
.LBB871_667:
	s_or_b32 exec_lo, exec_lo, s16
	s_and_saveexec_b32 s16, s24
	s_cbranch_execnz .LBB871_797
.LBB871_668:
	s_or_b32 exec_lo, exec_lo, s16
	s_and_saveexec_b32 s16, s25
	s_cbranch_execnz .LBB871_804
.LBB871_669:
	s_or_b32 exec_lo, exec_lo, s16
	s_and_saveexec_b32 s16, s26
	s_cbranch_execnz .LBB871_811
.LBB871_670:
	s_or_b32 exec_lo, exec_lo, s16
	s_and_saveexec_b32 s16, s27
	s_cbranch_execnz .LBB871_818
	s_branch .LBB871_825
.LBB871_671:
	v_mul_u64_e32 v[0:1], s[12:13], v[2:3]
	v_mul_u64_e32 v[22:23], s[12:13], v[8:9]
	s_mov_b32 s30, 0
	s_mov_b64 s[8:9], s[12:13]
                                        ; implicit-def: $sgpr29
                                        ; implicit-def: $sgpr31
                                        ; implicit-def: $sgpr34
                                        ; implicit-def: $sgpr33
                                        ; implicit-def: $sgpr35
	s_delay_alu instid0(VALU_DEP_2) | instskip(NEXT) | instid1(VALU_DEP_2)
	v_lshl_add_u64 v[0:1], v[0:1], 2, s[14:15]
	v_lshl_add_u64 v[22:23], v[22:23], 2, s[14:15]
	s_branch .LBB871_673
.LBB871_672:                            ;   in Loop: Header=BB871_673 Depth=1
	s_or_b32 exec_lo, exec_lo, s36
	s_and_b32 s7, s7, s35
	s_delay_alu instid0(SALU_CYCLE_1) | instskip(SKIP_1) | instid1(SALU_CYCLE_1)
	s_or_b32 s7, vcc_lo, s7
	s_and_b32 s36, exec_lo, s34
	s_or_b32 s30, s36, s30
	s_and_not1_b32 s35, s35, exec_lo
	s_and_b32 s7, s7, exec_lo
	s_and_not1_b32 s31, s31, exec_lo
	s_and_b32 s36, s33, exec_lo
	s_and_not1_b32 s29, s29, exec_lo
	s_or_b32 s35, s35, s7
	s_or_b32 s31, s31, s36
	;; [unrolled: 1-line block ×3, first 2 shown]
	s_and_not1_b32 exec_lo, exec_lo, s30
	s_cbranch_execz .LBB871_675
.LBB871_673:                            ; =>This Inner Loop Header: Depth=1
	global_load_b32 v25, v[0:1], off
	global_load_b32 v26, v[22:23], off
	s_or_b32 s33, s33, exec_lo
	s_or_b32 s34, s34, exec_lo
	s_wait_loadcnt 0x0
	v_cmp_lt_f32_e32 vcc_lo, v25, v26
	v_cmp_ngt_f32_e64 s7, v25, v26
	s_xor_b32 s37, vcc_lo, s7
	s_delay_alu instid0(SALU_CYCLE_1)
	s_and_saveexec_b32 s36, s37
	s_cbranch_execz .LBB871_672
; %bb.674:                              ;   in Loop: Header=BB871_673 Depth=1
	s_add_nc_u64 s[8:9], s[8:9], -1
	v_add_nc_u64_e32 v[0:1], 4, v[0:1]
	s_cmp_eq_u64 s[8:9], 0
	v_add_nc_u64_e32 v[22:23], 4, v[22:23]
	s_cselect_b32 s37, -1, 0
	s_and_not1_b32 s34, s34, exec_lo
	s_and_b32 s37, s37, exec_lo
	s_and_not1_b32 s33, s33, exec_lo
	s_or_b32 s34, s34, s37
	s_branch .LBB871_672
.LBB871_675:
	s_or_b32 exec_lo, exec_lo, s30
	s_and_saveexec_b32 s7, s31
	s_delay_alu instid0(SALU_CYCLE_1)
	s_xor_b32 s7, exec_lo, s7
; %bb.676:
	v_dual_cndmask_b32 v1, v9, v3, s29 :: v_dual_cndmask_b32 v0, v8, v2, s29
	v_dual_cndmask_b32 v3, v3, v9, s29 :: v_dual_cndmask_b32 v2, v2, v8, s29
	s_delay_alu instid0(VALU_DEP_2)
	v_mov_b64_e32 v[8:9], v[0:1]
; %bb.677:
	s_or_b32 exec_lo, exec_lo, s7
	s_delay_alu instid0(SALU_CYCLE_1)
	s_or_b32 exec_lo, exec_lo, s28
	s_and_saveexec_b32 s28, s23
	s_cbranch_execz .LBB871_651
.LBB871_678:
	v_mul_u64_e32 v[0:1], s[12:13], v[16:17]
	v_mul_u64_e32 v[22:23], s[12:13], v[14:15]
	s_mov_b32 s30, 0
	s_mov_b64 s[8:9], s[12:13]
                                        ; implicit-def: $sgpr29
                                        ; implicit-def: $sgpr31
                                        ; implicit-def: $sgpr34
                                        ; implicit-def: $sgpr33
                                        ; implicit-def: $sgpr35
	s_delay_alu instid0(VALU_DEP_2) | instskip(NEXT) | instid1(VALU_DEP_2)
	v_lshl_add_u64 v[0:1], v[0:1], 2, s[14:15]
	v_lshl_add_u64 v[22:23], v[22:23], 2, s[14:15]
	s_branch .LBB871_680
.LBB871_679:                            ;   in Loop: Header=BB871_680 Depth=1
	s_or_b32 exec_lo, exec_lo, s36
	s_and_b32 s7, s7, s35
	s_delay_alu instid0(SALU_CYCLE_1) | instskip(SKIP_1) | instid1(SALU_CYCLE_1)
	s_or_b32 s7, vcc_lo, s7
	s_and_b32 s36, exec_lo, s34
	s_or_b32 s30, s36, s30
	s_and_not1_b32 s35, s35, exec_lo
	s_and_b32 s7, s7, exec_lo
	s_and_not1_b32 s31, s31, exec_lo
	s_and_b32 s36, s33, exec_lo
	s_and_not1_b32 s29, s29, exec_lo
	s_or_b32 s35, s35, s7
	s_or_b32 s31, s31, s36
	;; [unrolled: 1-line block ×3, first 2 shown]
	s_and_not1_b32 exec_lo, exec_lo, s30
	s_cbranch_execz .LBB871_682
.LBB871_680:                            ; =>This Inner Loop Header: Depth=1
	global_load_b32 v25, v[0:1], off
	global_load_b32 v26, v[22:23], off
	s_or_b32 s33, s33, exec_lo
	s_or_b32 s34, s34, exec_lo
	s_wait_loadcnt 0x0
	v_cmp_lt_f32_e32 vcc_lo, v25, v26
	v_cmp_ngt_f32_e64 s7, v25, v26
	s_xor_b32 s37, vcc_lo, s7
	s_delay_alu instid0(SALU_CYCLE_1)
	s_and_saveexec_b32 s36, s37
	s_cbranch_execz .LBB871_679
; %bb.681:                              ;   in Loop: Header=BB871_680 Depth=1
	s_add_nc_u64 s[8:9], s[8:9], -1
	v_add_nc_u64_e32 v[0:1], 4, v[0:1]
	s_cmp_eq_u64 s[8:9], 0
	v_add_nc_u64_e32 v[22:23], 4, v[22:23]
	s_cselect_b32 s37, -1, 0
	s_and_not1_b32 s34, s34, exec_lo
	s_and_b32 s37, s37, exec_lo
	s_and_not1_b32 s33, s33, exec_lo
	s_or_b32 s34, s34, s37
	s_branch .LBB871_679
.LBB871_682:
	s_or_b32 exec_lo, exec_lo, s30
	s_and_saveexec_b32 s7, s31
	s_delay_alu instid0(SALU_CYCLE_1)
	s_xor_b32 s7, exec_lo, s7
; %bb.683:
	v_dual_cndmask_b32 v1, v17, v15, s29 :: v_dual_cndmask_b32 v0, v16, v14, s29
	v_dual_cndmask_b32 v15, v15, v17, s29 :: v_dual_cndmask_b32 v14, v14, v16, s29
	s_delay_alu instid0(VALU_DEP_2)
	v_mov_b64_e32 v[16:17], v[0:1]
; %bb.684:
	s_or_b32 exec_lo, exec_lo, s7
	s_delay_alu instid0(SALU_CYCLE_1)
	s_or_b32 exec_lo, exec_lo, s28
	s_and_saveexec_b32 s28, s16
	s_cbranch_execz .LBB871_652
.LBB871_685:
	v_mul_u64_e32 v[0:1], s[12:13], v[12:13]
	v_mul_u64_e32 v[22:23], s[12:13], v[10:11]
	s_mov_b32 s30, 0
	s_mov_b64 s[8:9], s[12:13]
                                        ; implicit-def: $sgpr29
                                        ; implicit-def: $sgpr31
                                        ; implicit-def: $sgpr34
                                        ; implicit-def: $sgpr33
                                        ; implicit-def: $sgpr35
	s_delay_alu instid0(VALU_DEP_2) | instskip(NEXT) | instid1(VALU_DEP_2)
	v_lshl_add_u64 v[0:1], v[0:1], 2, s[14:15]
	v_lshl_add_u64 v[22:23], v[22:23], 2, s[14:15]
	s_branch .LBB871_687
.LBB871_686:                            ;   in Loop: Header=BB871_687 Depth=1
	s_or_b32 exec_lo, exec_lo, s36
	s_and_b32 s7, s7, s35
	s_delay_alu instid0(SALU_CYCLE_1) | instskip(SKIP_1) | instid1(SALU_CYCLE_1)
	s_or_b32 s7, vcc_lo, s7
	s_and_b32 s36, exec_lo, s34
	s_or_b32 s30, s36, s30
	s_and_not1_b32 s35, s35, exec_lo
	s_and_b32 s7, s7, exec_lo
	s_and_not1_b32 s31, s31, exec_lo
	s_and_b32 s36, s33, exec_lo
	s_and_not1_b32 s29, s29, exec_lo
	s_or_b32 s35, s35, s7
	s_or_b32 s31, s31, s36
	;; [unrolled: 1-line block ×3, first 2 shown]
	s_and_not1_b32 exec_lo, exec_lo, s30
	s_cbranch_execz .LBB871_689
.LBB871_687:                            ; =>This Inner Loop Header: Depth=1
	global_load_b32 v25, v[0:1], off
	global_load_b32 v26, v[22:23], off
	s_or_b32 s33, s33, exec_lo
	s_or_b32 s34, s34, exec_lo
	s_wait_loadcnt 0x0
	v_cmp_lt_f32_e32 vcc_lo, v25, v26
	v_cmp_ngt_f32_e64 s7, v25, v26
	s_xor_b32 s37, vcc_lo, s7
	s_delay_alu instid0(SALU_CYCLE_1)
	s_and_saveexec_b32 s36, s37
	s_cbranch_execz .LBB871_686
; %bb.688:                              ;   in Loop: Header=BB871_687 Depth=1
	s_add_nc_u64 s[8:9], s[8:9], -1
	v_add_nc_u64_e32 v[0:1], 4, v[0:1]
	s_cmp_eq_u64 s[8:9], 0
	v_add_nc_u64_e32 v[22:23], 4, v[22:23]
	s_cselect_b32 s37, -1, 0
	s_and_not1_b32 s34, s34, exec_lo
	s_and_b32 s37, s37, exec_lo
	s_and_not1_b32 s33, s33, exec_lo
	s_or_b32 s34, s34, s37
	s_branch .LBB871_686
.LBB871_689:
	s_or_b32 exec_lo, exec_lo, s30
	s_and_saveexec_b32 s7, s31
	s_delay_alu instid0(SALU_CYCLE_1)
	s_xor_b32 s7, exec_lo, s7
; %bb.690:
	v_dual_cndmask_b32 v1, v11, v13, s29 :: v_dual_cndmask_b32 v0, v10, v12, s29
	v_dual_cndmask_b32 v13, v13, v11, s29 :: v_dual_cndmask_b32 v12, v12, v10, s29
	s_delay_alu instid0(VALU_DEP_2)
	v_mov_b64_e32 v[10:11], v[0:1]
; %bb.691:
	s_or_b32 exec_lo, exec_lo, s7
	s_delay_alu instid0(SALU_CYCLE_1)
	s_or_b32 exec_lo, exec_lo, s28
	s_and_saveexec_b32 s28, s17
	s_cbranch_execz .LBB871_653
.LBB871_692:
	v_mul_u64_e32 v[0:1], s[12:13], v[8:9]
	v_mul_u64_e32 v[22:23], s[12:13], v[6:7]
	s_mov_b32 s30, 0
	s_mov_b64 s[8:9], s[12:13]
                                        ; implicit-def: $sgpr29
                                        ; implicit-def: $sgpr31
                                        ; implicit-def: $sgpr34
                                        ; implicit-def: $sgpr33
                                        ; implicit-def: $sgpr35
	s_delay_alu instid0(VALU_DEP_2) | instskip(NEXT) | instid1(VALU_DEP_2)
	v_lshl_add_u64 v[0:1], v[0:1], 2, s[14:15]
	v_lshl_add_u64 v[22:23], v[22:23], 2, s[14:15]
	s_branch .LBB871_694
.LBB871_693:                            ;   in Loop: Header=BB871_694 Depth=1
	s_or_b32 exec_lo, exec_lo, s36
	s_and_b32 s7, s7, s35
	s_delay_alu instid0(SALU_CYCLE_1) | instskip(SKIP_1) | instid1(SALU_CYCLE_1)
	s_or_b32 s7, vcc_lo, s7
	s_and_b32 s36, exec_lo, s34
	s_or_b32 s30, s36, s30
	s_and_not1_b32 s35, s35, exec_lo
	s_and_b32 s7, s7, exec_lo
	s_and_not1_b32 s31, s31, exec_lo
	s_and_b32 s36, s33, exec_lo
	s_and_not1_b32 s29, s29, exec_lo
	s_or_b32 s35, s35, s7
	s_or_b32 s31, s31, s36
	;; [unrolled: 1-line block ×3, first 2 shown]
	s_and_not1_b32 exec_lo, exec_lo, s30
	s_cbranch_execz .LBB871_696
.LBB871_694:                            ; =>This Inner Loop Header: Depth=1
	global_load_b32 v25, v[0:1], off
	global_load_b32 v26, v[22:23], off
	s_or_b32 s33, s33, exec_lo
	s_or_b32 s34, s34, exec_lo
	s_wait_loadcnt 0x0
	v_cmp_lt_f32_e32 vcc_lo, v25, v26
	v_cmp_ngt_f32_e64 s7, v25, v26
	s_xor_b32 s37, vcc_lo, s7
	s_delay_alu instid0(SALU_CYCLE_1)
	s_and_saveexec_b32 s36, s37
	s_cbranch_execz .LBB871_693
; %bb.695:                              ;   in Loop: Header=BB871_694 Depth=1
	s_add_nc_u64 s[8:9], s[8:9], -1
	v_add_nc_u64_e32 v[0:1], 4, v[0:1]
	s_cmp_eq_u64 s[8:9], 0
	v_add_nc_u64_e32 v[22:23], 4, v[22:23]
	s_cselect_b32 s37, -1, 0
	s_and_not1_b32 s34, s34, exec_lo
	s_and_b32 s37, s37, exec_lo
	s_and_not1_b32 s33, s33, exec_lo
	s_or_b32 s34, s34, s37
	s_branch .LBB871_693
.LBB871_696:
	s_or_b32 exec_lo, exec_lo, s30
	s_and_saveexec_b32 s7, s31
	s_delay_alu instid0(SALU_CYCLE_1)
	s_xor_b32 s7, exec_lo, s7
; %bb.697:
	v_dual_cndmask_b32 v1, v7, v9, s29 :: v_dual_cndmask_b32 v0, v6, v8, s29
	v_dual_cndmask_b32 v9, v9, v7, s29 :: v_dual_cndmask_b32 v8, v8, v6, s29
	s_delay_alu instid0(VALU_DEP_2)
	v_mov_b64_e32 v[6:7], v[0:1]
; %bb.698:
	s_or_b32 exec_lo, exec_lo, s7
	s_delay_alu instid0(SALU_CYCLE_1)
	s_or_b32 exec_lo, exec_lo, s28
	s_and_saveexec_b32 s28, s24
	s_cbranch_execz .LBB871_654
.LBB871_699:
	v_mul_u64_e32 v[0:1], s[12:13], v[4:5]
	v_mul_u64_e32 v[22:23], s[12:13], v[2:3]
	s_mov_b32 s30, 0
	s_mov_b64 s[8:9], s[12:13]
                                        ; implicit-def: $sgpr29
                                        ; implicit-def: $sgpr31
                                        ; implicit-def: $sgpr34
                                        ; implicit-def: $sgpr33
                                        ; implicit-def: $sgpr35
	s_delay_alu instid0(VALU_DEP_2) | instskip(NEXT) | instid1(VALU_DEP_2)
	v_lshl_add_u64 v[0:1], v[0:1], 2, s[14:15]
	v_lshl_add_u64 v[22:23], v[22:23], 2, s[14:15]
	s_branch .LBB871_701
.LBB871_700:                            ;   in Loop: Header=BB871_701 Depth=1
	s_or_b32 exec_lo, exec_lo, s36
	s_and_b32 s7, s7, s35
	s_delay_alu instid0(SALU_CYCLE_1) | instskip(SKIP_1) | instid1(SALU_CYCLE_1)
	s_or_b32 s7, vcc_lo, s7
	s_and_b32 s36, exec_lo, s34
	s_or_b32 s30, s36, s30
	s_and_not1_b32 s35, s35, exec_lo
	s_and_b32 s7, s7, exec_lo
	s_and_not1_b32 s31, s31, exec_lo
	s_and_b32 s36, s33, exec_lo
	s_and_not1_b32 s29, s29, exec_lo
	s_or_b32 s35, s35, s7
	s_or_b32 s31, s31, s36
	;; [unrolled: 1-line block ×3, first 2 shown]
	s_and_not1_b32 exec_lo, exec_lo, s30
	s_cbranch_execz .LBB871_703
.LBB871_701:                            ; =>This Inner Loop Header: Depth=1
	global_load_b32 v25, v[0:1], off
	global_load_b32 v26, v[22:23], off
	s_or_b32 s33, s33, exec_lo
	s_or_b32 s34, s34, exec_lo
	s_wait_loadcnt 0x0
	v_cmp_lt_f32_e32 vcc_lo, v25, v26
	v_cmp_ngt_f32_e64 s7, v25, v26
	s_xor_b32 s37, vcc_lo, s7
	s_delay_alu instid0(SALU_CYCLE_1)
	s_and_saveexec_b32 s36, s37
	s_cbranch_execz .LBB871_700
; %bb.702:                              ;   in Loop: Header=BB871_701 Depth=1
	s_add_nc_u64 s[8:9], s[8:9], -1
	v_add_nc_u64_e32 v[0:1], 4, v[0:1]
	s_cmp_eq_u64 s[8:9], 0
	v_add_nc_u64_e32 v[22:23], 4, v[22:23]
	s_cselect_b32 s37, -1, 0
	s_and_not1_b32 s34, s34, exec_lo
	s_and_b32 s37, s37, exec_lo
	s_and_not1_b32 s33, s33, exec_lo
	s_or_b32 s34, s34, s37
	s_branch .LBB871_700
.LBB871_703:
	s_or_b32 exec_lo, exec_lo, s30
	s_and_saveexec_b32 s7, s31
	s_delay_alu instid0(SALU_CYCLE_1)
	s_xor_b32 s7, exec_lo, s7
; %bb.704:
	v_dual_cndmask_b32 v1, v3, v5, s29 :: v_dual_cndmask_b32 v0, v2, v4, s29
	v_dual_cndmask_b32 v5, v5, v3, s29 :: v_dual_cndmask_b32 v4, v4, v2, s29
	s_delay_alu instid0(VALU_DEP_2)
	v_mov_b64_e32 v[2:3], v[0:1]
; %bb.705:
	s_or_b32 exec_lo, exec_lo, s7
	s_delay_alu instid0(SALU_CYCLE_1)
	s_or_b32 exec_lo, exec_lo, s28
	s_and_saveexec_b32 s28, s25
	s_cbranch_execz .LBB871_655
.LBB871_706:
	v_mul_u64_e32 v[0:1], s[12:13], v[10:11]
	v_mul_u64_e32 v[22:23], s[12:13], v[16:17]
	s_mov_b32 s30, 0
	s_mov_b64 s[8:9], s[12:13]
                                        ; implicit-def: $sgpr29
                                        ; implicit-def: $sgpr31
                                        ; implicit-def: $sgpr34
                                        ; implicit-def: $sgpr33
                                        ; implicit-def: $sgpr35
	s_delay_alu instid0(VALU_DEP_2) | instskip(NEXT) | instid1(VALU_DEP_2)
	v_lshl_add_u64 v[0:1], v[0:1], 2, s[14:15]
	v_lshl_add_u64 v[22:23], v[22:23], 2, s[14:15]
	s_branch .LBB871_708
.LBB871_707:                            ;   in Loop: Header=BB871_708 Depth=1
	s_or_b32 exec_lo, exec_lo, s36
	s_and_b32 s7, s7, s35
	s_delay_alu instid0(SALU_CYCLE_1) | instskip(SKIP_1) | instid1(SALU_CYCLE_1)
	s_or_b32 s7, vcc_lo, s7
	s_and_b32 s36, exec_lo, s34
	s_or_b32 s30, s36, s30
	s_and_not1_b32 s35, s35, exec_lo
	s_and_b32 s7, s7, exec_lo
	s_and_not1_b32 s31, s31, exec_lo
	s_and_b32 s36, s33, exec_lo
	s_and_not1_b32 s29, s29, exec_lo
	s_or_b32 s35, s35, s7
	s_or_b32 s31, s31, s36
	;; [unrolled: 1-line block ×3, first 2 shown]
	s_and_not1_b32 exec_lo, exec_lo, s30
	s_cbranch_execz .LBB871_710
.LBB871_708:                            ; =>This Inner Loop Header: Depth=1
	global_load_b32 v25, v[0:1], off
	global_load_b32 v26, v[22:23], off
	s_or_b32 s33, s33, exec_lo
	s_or_b32 s34, s34, exec_lo
	s_wait_loadcnt 0x0
	v_cmp_lt_f32_e32 vcc_lo, v25, v26
	v_cmp_ngt_f32_e64 s7, v25, v26
	s_xor_b32 s37, vcc_lo, s7
	s_delay_alu instid0(SALU_CYCLE_1)
	s_and_saveexec_b32 s36, s37
	s_cbranch_execz .LBB871_707
; %bb.709:                              ;   in Loop: Header=BB871_708 Depth=1
	s_add_nc_u64 s[8:9], s[8:9], -1
	v_add_nc_u64_e32 v[0:1], 4, v[0:1]
	s_cmp_eq_u64 s[8:9], 0
	v_add_nc_u64_e32 v[22:23], 4, v[22:23]
	s_cselect_b32 s37, -1, 0
	s_and_not1_b32 s34, s34, exec_lo
	s_and_b32 s37, s37, exec_lo
	s_and_not1_b32 s33, s33, exec_lo
	s_or_b32 s34, s34, s37
	s_branch .LBB871_707
.LBB871_710:
	s_or_b32 exec_lo, exec_lo, s30
	s_and_saveexec_b32 s7, s31
	s_delay_alu instid0(SALU_CYCLE_1)
	s_xor_b32 s7, exec_lo, s7
; %bb.711:
	v_dual_cndmask_b32 v1, v17, v11, s29 :: v_dual_cndmask_b32 v0, v16, v10, s29
	v_dual_cndmask_b32 v11, v11, v17, s29 :: v_dual_cndmask_b32 v10, v10, v16, s29
	s_delay_alu instid0(VALU_DEP_2)
	v_mov_b64_e32 v[16:17], v[0:1]
; %bb.712:
	s_or_b32 exec_lo, exec_lo, s7
	s_delay_alu instid0(SALU_CYCLE_1)
	s_or_b32 exec_lo, exec_lo, s28
	s_and_saveexec_b32 s28, s26
	s_cbranch_execz .LBB871_656
.LBB871_713:
	v_mul_u64_e32 v[0:1], s[12:13], v[6:7]
	v_mul_u64_e32 v[22:23], s[12:13], v[12:13]
	s_mov_b32 s30, 0
	s_mov_b64 s[8:9], s[12:13]
                                        ; implicit-def: $sgpr29
                                        ; implicit-def: $sgpr31
                                        ; implicit-def: $sgpr34
                                        ; implicit-def: $sgpr33
                                        ; implicit-def: $sgpr35
	s_delay_alu instid0(VALU_DEP_2) | instskip(NEXT) | instid1(VALU_DEP_2)
	v_lshl_add_u64 v[0:1], v[0:1], 2, s[14:15]
	v_lshl_add_u64 v[22:23], v[22:23], 2, s[14:15]
	s_branch .LBB871_715
.LBB871_714:                            ;   in Loop: Header=BB871_715 Depth=1
	s_or_b32 exec_lo, exec_lo, s36
	s_and_b32 s7, s7, s35
	s_delay_alu instid0(SALU_CYCLE_1) | instskip(SKIP_1) | instid1(SALU_CYCLE_1)
	s_or_b32 s7, vcc_lo, s7
	s_and_b32 s36, exec_lo, s34
	s_or_b32 s30, s36, s30
	s_and_not1_b32 s35, s35, exec_lo
	s_and_b32 s7, s7, exec_lo
	s_and_not1_b32 s31, s31, exec_lo
	s_and_b32 s36, s33, exec_lo
	s_and_not1_b32 s29, s29, exec_lo
	s_or_b32 s35, s35, s7
	s_or_b32 s31, s31, s36
	;; [unrolled: 1-line block ×3, first 2 shown]
	s_and_not1_b32 exec_lo, exec_lo, s30
	s_cbranch_execz .LBB871_717
.LBB871_715:                            ; =>This Inner Loop Header: Depth=1
	global_load_b32 v25, v[0:1], off
	global_load_b32 v26, v[22:23], off
	s_or_b32 s33, s33, exec_lo
	s_or_b32 s34, s34, exec_lo
	s_wait_loadcnt 0x0
	v_cmp_lt_f32_e32 vcc_lo, v25, v26
	v_cmp_ngt_f32_e64 s7, v25, v26
	s_xor_b32 s37, vcc_lo, s7
	s_delay_alu instid0(SALU_CYCLE_1)
	s_and_saveexec_b32 s36, s37
	s_cbranch_execz .LBB871_714
; %bb.716:                              ;   in Loop: Header=BB871_715 Depth=1
	s_add_nc_u64 s[8:9], s[8:9], -1
	v_add_nc_u64_e32 v[0:1], 4, v[0:1]
	s_cmp_eq_u64 s[8:9], 0
	v_add_nc_u64_e32 v[22:23], 4, v[22:23]
	s_cselect_b32 s37, -1, 0
	s_and_not1_b32 s34, s34, exec_lo
	s_and_b32 s37, s37, exec_lo
	s_and_not1_b32 s33, s33, exec_lo
	s_or_b32 s34, s34, s37
	s_branch .LBB871_714
.LBB871_717:
	s_or_b32 exec_lo, exec_lo, s30
	s_and_saveexec_b32 s7, s31
	s_delay_alu instid0(SALU_CYCLE_1)
	s_xor_b32 s7, exec_lo, s7
; %bb.718:
	v_dual_cndmask_b32 v1, v13, v7, s29 :: v_dual_cndmask_b32 v0, v12, v6, s29
	v_dual_cndmask_b32 v7, v7, v13, s29 :: v_dual_cndmask_b32 v6, v6, v12, s29
	s_delay_alu instid0(VALU_DEP_2)
	v_mov_b64_e32 v[12:13], v[0:1]
; %bb.719:
	s_or_b32 exec_lo, exec_lo, s7
	s_delay_alu instid0(SALU_CYCLE_1)
	s_or_b32 exec_lo, exec_lo, s28
	s_and_saveexec_b32 s28, s27
	s_cbranch_execz .LBB871_657
.LBB871_720:
	v_mul_u64_e32 v[0:1], s[12:13], v[2:3]
	v_mul_u64_e32 v[22:23], s[12:13], v[8:9]
	s_mov_b32 s30, 0
	s_mov_b64 s[8:9], s[12:13]
                                        ; implicit-def: $sgpr29
                                        ; implicit-def: $sgpr31
                                        ; implicit-def: $sgpr34
                                        ; implicit-def: $sgpr33
                                        ; implicit-def: $sgpr35
	s_delay_alu instid0(VALU_DEP_2) | instskip(NEXT) | instid1(VALU_DEP_2)
	v_lshl_add_u64 v[0:1], v[0:1], 2, s[14:15]
	v_lshl_add_u64 v[22:23], v[22:23], 2, s[14:15]
	s_branch .LBB871_722
.LBB871_721:                            ;   in Loop: Header=BB871_722 Depth=1
	s_or_b32 exec_lo, exec_lo, s36
	s_and_b32 s7, s7, s35
	s_delay_alu instid0(SALU_CYCLE_1) | instskip(SKIP_1) | instid1(SALU_CYCLE_1)
	s_or_b32 s7, vcc_lo, s7
	s_and_b32 s36, exec_lo, s34
	s_or_b32 s30, s36, s30
	s_and_not1_b32 s35, s35, exec_lo
	s_and_b32 s7, s7, exec_lo
	s_and_not1_b32 s31, s31, exec_lo
	s_and_b32 s36, s33, exec_lo
	s_and_not1_b32 s29, s29, exec_lo
	s_or_b32 s35, s35, s7
	s_or_b32 s31, s31, s36
	;; [unrolled: 1-line block ×3, first 2 shown]
	s_and_not1_b32 exec_lo, exec_lo, s30
	s_cbranch_execz .LBB871_724
.LBB871_722:                            ; =>This Inner Loop Header: Depth=1
	global_load_b32 v25, v[0:1], off
	global_load_b32 v26, v[22:23], off
	s_or_b32 s33, s33, exec_lo
	s_or_b32 s34, s34, exec_lo
	s_wait_loadcnt 0x0
	v_cmp_lt_f32_e32 vcc_lo, v25, v26
	v_cmp_ngt_f32_e64 s7, v25, v26
	s_xor_b32 s37, vcc_lo, s7
	s_delay_alu instid0(SALU_CYCLE_1)
	s_and_saveexec_b32 s36, s37
	s_cbranch_execz .LBB871_721
; %bb.723:                              ;   in Loop: Header=BB871_722 Depth=1
	s_add_nc_u64 s[8:9], s[8:9], -1
	v_add_nc_u64_e32 v[0:1], 4, v[0:1]
	s_cmp_eq_u64 s[8:9], 0
	v_add_nc_u64_e32 v[22:23], 4, v[22:23]
	s_cselect_b32 s37, -1, 0
	s_and_not1_b32 s34, s34, exec_lo
	s_and_b32 s37, s37, exec_lo
	s_and_not1_b32 s33, s33, exec_lo
	s_or_b32 s34, s34, s37
	s_branch .LBB871_721
.LBB871_724:
	s_or_b32 exec_lo, exec_lo, s30
	s_and_saveexec_b32 s7, s31
	s_delay_alu instid0(SALU_CYCLE_1)
	s_xor_b32 s7, exec_lo, s7
; %bb.725:
	v_dual_cndmask_b32 v1, v9, v3, s29 :: v_dual_cndmask_b32 v0, v8, v2, s29
	v_dual_cndmask_b32 v3, v3, v9, s29 :: v_dual_cndmask_b32 v2, v2, v8, s29
	s_delay_alu instid0(VALU_DEP_2)
	v_mov_b64_e32 v[8:9], v[0:1]
; %bb.726:
	s_or_b32 exec_lo, exec_lo, s7
	s_delay_alu instid0(SALU_CYCLE_1)
	s_or_b32 exec_lo, exec_lo, s28
	s_and_saveexec_b32 s28, s23
	s_cbranch_execz .LBB871_658
.LBB871_727:
	v_mul_u64_e32 v[0:1], s[12:13], v[16:17]
	v_mul_u64_e32 v[22:23], s[12:13], v[14:15]
	s_mov_b32 s30, 0
	s_mov_b64 s[8:9], s[12:13]
                                        ; implicit-def: $sgpr29
                                        ; implicit-def: $sgpr31
                                        ; implicit-def: $sgpr34
                                        ; implicit-def: $sgpr33
                                        ; implicit-def: $sgpr35
	s_delay_alu instid0(VALU_DEP_2) | instskip(NEXT) | instid1(VALU_DEP_2)
	v_lshl_add_u64 v[0:1], v[0:1], 2, s[14:15]
	v_lshl_add_u64 v[22:23], v[22:23], 2, s[14:15]
	s_branch .LBB871_729
.LBB871_728:                            ;   in Loop: Header=BB871_729 Depth=1
	s_or_b32 exec_lo, exec_lo, s36
	s_and_b32 s7, s7, s35
	s_delay_alu instid0(SALU_CYCLE_1) | instskip(SKIP_1) | instid1(SALU_CYCLE_1)
	s_or_b32 s7, vcc_lo, s7
	s_and_b32 s36, exec_lo, s34
	s_or_b32 s30, s36, s30
	s_and_not1_b32 s35, s35, exec_lo
	s_and_b32 s7, s7, exec_lo
	s_and_not1_b32 s31, s31, exec_lo
	s_and_b32 s36, s33, exec_lo
	s_and_not1_b32 s29, s29, exec_lo
	s_or_b32 s35, s35, s7
	s_or_b32 s31, s31, s36
	;; [unrolled: 1-line block ×3, first 2 shown]
	s_and_not1_b32 exec_lo, exec_lo, s30
	s_cbranch_execz .LBB871_731
.LBB871_729:                            ; =>This Inner Loop Header: Depth=1
	global_load_b32 v25, v[0:1], off
	global_load_b32 v26, v[22:23], off
	s_or_b32 s33, s33, exec_lo
	s_or_b32 s34, s34, exec_lo
	s_wait_loadcnt 0x0
	v_cmp_lt_f32_e32 vcc_lo, v25, v26
	v_cmp_ngt_f32_e64 s7, v25, v26
	s_xor_b32 s37, vcc_lo, s7
	s_delay_alu instid0(SALU_CYCLE_1)
	s_and_saveexec_b32 s36, s37
	s_cbranch_execz .LBB871_728
; %bb.730:                              ;   in Loop: Header=BB871_729 Depth=1
	s_add_nc_u64 s[8:9], s[8:9], -1
	v_add_nc_u64_e32 v[0:1], 4, v[0:1]
	s_cmp_eq_u64 s[8:9], 0
	v_add_nc_u64_e32 v[22:23], 4, v[22:23]
	s_cselect_b32 s37, -1, 0
	s_and_not1_b32 s34, s34, exec_lo
	s_and_b32 s37, s37, exec_lo
	s_and_not1_b32 s33, s33, exec_lo
	s_or_b32 s34, s34, s37
	s_branch .LBB871_728
.LBB871_731:
	s_or_b32 exec_lo, exec_lo, s30
	s_and_saveexec_b32 s7, s31
	s_delay_alu instid0(SALU_CYCLE_1)
	s_xor_b32 s7, exec_lo, s7
; %bb.732:
	v_dual_cndmask_b32 v1, v17, v15, s29 :: v_dual_cndmask_b32 v0, v16, v14, s29
	v_dual_cndmask_b32 v15, v15, v17, s29 :: v_dual_cndmask_b32 v14, v14, v16, s29
	s_delay_alu instid0(VALU_DEP_2)
	v_mov_b64_e32 v[16:17], v[0:1]
; %bb.733:
	s_or_b32 exec_lo, exec_lo, s7
	s_delay_alu instid0(SALU_CYCLE_1)
	s_or_b32 exec_lo, exec_lo, s28
	s_and_saveexec_b32 s28, s16
	s_cbranch_execz .LBB871_659
.LBB871_734:
	v_mul_u64_e32 v[0:1], s[12:13], v[12:13]
	v_mul_u64_e32 v[22:23], s[12:13], v[10:11]
	s_mov_b32 s30, 0
	s_mov_b64 s[8:9], s[12:13]
                                        ; implicit-def: $sgpr29
                                        ; implicit-def: $sgpr31
                                        ; implicit-def: $sgpr34
                                        ; implicit-def: $sgpr33
                                        ; implicit-def: $sgpr35
	s_delay_alu instid0(VALU_DEP_2) | instskip(NEXT) | instid1(VALU_DEP_2)
	v_lshl_add_u64 v[0:1], v[0:1], 2, s[14:15]
	v_lshl_add_u64 v[22:23], v[22:23], 2, s[14:15]
	s_branch .LBB871_736
.LBB871_735:                            ;   in Loop: Header=BB871_736 Depth=1
	s_or_b32 exec_lo, exec_lo, s36
	s_and_b32 s7, s7, s35
	s_delay_alu instid0(SALU_CYCLE_1) | instskip(SKIP_1) | instid1(SALU_CYCLE_1)
	s_or_b32 s7, vcc_lo, s7
	s_and_b32 s36, exec_lo, s34
	s_or_b32 s30, s36, s30
	s_and_not1_b32 s35, s35, exec_lo
	s_and_b32 s7, s7, exec_lo
	s_and_not1_b32 s31, s31, exec_lo
	s_and_b32 s36, s33, exec_lo
	s_and_not1_b32 s29, s29, exec_lo
	s_or_b32 s35, s35, s7
	s_or_b32 s31, s31, s36
	;; [unrolled: 1-line block ×3, first 2 shown]
	s_and_not1_b32 exec_lo, exec_lo, s30
	s_cbranch_execz .LBB871_738
.LBB871_736:                            ; =>This Inner Loop Header: Depth=1
	global_load_b32 v25, v[0:1], off
	global_load_b32 v26, v[22:23], off
	s_or_b32 s33, s33, exec_lo
	s_or_b32 s34, s34, exec_lo
	s_wait_loadcnt 0x0
	v_cmp_lt_f32_e32 vcc_lo, v25, v26
	v_cmp_ngt_f32_e64 s7, v25, v26
	s_xor_b32 s37, vcc_lo, s7
	s_delay_alu instid0(SALU_CYCLE_1)
	s_and_saveexec_b32 s36, s37
	s_cbranch_execz .LBB871_735
; %bb.737:                              ;   in Loop: Header=BB871_736 Depth=1
	s_add_nc_u64 s[8:9], s[8:9], -1
	v_add_nc_u64_e32 v[0:1], 4, v[0:1]
	s_cmp_eq_u64 s[8:9], 0
	v_add_nc_u64_e32 v[22:23], 4, v[22:23]
	s_cselect_b32 s37, -1, 0
	s_and_not1_b32 s34, s34, exec_lo
	s_and_b32 s37, s37, exec_lo
	s_and_not1_b32 s33, s33, exec_lo
	s_or_b32 s34, s34, s37
	s_branch .LBB871_735
.LBB871_738:
	s_or_b32 exec_lo, exec_lo, s30
	s_and_saveexec_b32 s7, s31
	s_delay_alu instid0(SALU_CYCLE_1)
	s_xor_b32 s7, exec_lo, s7
; %bb.739:
	v_dual_cndmask_b32 v1, v11, v13, s29 :: v_dual_cndmask_b32 v0, v10, v12, s29
	v_dual_cndmask_b32 v13, v13, v11, s29 :: v_dual_cndmask_b32 v12, v12, v10, s29
	s_delay_alu instid0(VALU_DEP_2)
	v_mov_b64_e32 v[10:11], v[0:1]
; %bb.740:
	s_or_b32 exec_lo, exec_lo, s7
	s_delay_alu instid0(SALU_CYCLE_1)
	s_or_b32 exec_lo, exec_lo, s28
	s_and_saveexec_b32 s28, s17
	s_cbranch_execz .LBB871_660
.LBB871_741:
	v_mul_u64_e32 v[0:1], s[12:13], v[8:9]
	v_mul_u64_e32 v[22:23], s[12:13], v[6:7]
	s_mov_b32 s30, 0
	s_mov_b64 s[8:9], s[12:13]
                                        ; implicit-def: $sgpr29
                                        ; implicit-def: $sgpr31
                                        ; implicit-def: $sgpr34
                                        ; implicit-def: $sgpr33
                                        ; implicit-def: $sgpr35
	s_delay_alu instid0(VALU_DEP_2) | instskip(NEXT) | instid1(VALU_DEP_2)
	v_lshl_add_u64 v[0:1], v[0:1], 2, s[14:15]
	v_lshl_add_u64 v[22:23], v[22:23], 2, s[14:15]
	s_branch .LBB871_743
.LBB871_742:                            ;   in Loop: Header=BB871_743 Depth=1
	s_or_b32 exec_lo, exec_lo, s36
	s_and_b32 s7, s7, s35
	s_delay_alu instid0(SALU_CYCLE_1) | instskip(SKIP_1) | instid1(SALU_CYCLE_1)
	s_or_b32 s7, vcc_lo, s7
	s_and_b32 s36, exec_lo, s34
	s_or_b32 s30, s36, s30
	s_and_not1_b32 s35, s35, exec_lo
	s_and_b32 s7, s7, exec_lo
	s_and_not1_b32 s31, s31, exec_lo
	s_and_b32 s36, s33, exec_lo
	s_and_not1_b32 s29, s29, exec_lo
	s_or_b32 s35, s35, s7
	s_or_b32 s31, s31, s36
	;; [unrolled: 1-line block ×3, first 2 shown]
	s_and_not1_b32 exec_lo, exec_lo, s30
	s_cbranch_execz .LBB871_745
.LBB871_743:                            ; =>This Inner Loop Header: Depth=1
	global_load_b32 v25, v[0:1], off
	global_load_b32 v26, v[22:23], off
	s_or_b32 s33, s33, exec_lo
	s_or_b32 s34, s34, exec_lo
	s_wait_loadcnt 0x0
	v_cmp_lt_f32_e32 vcc_lo, v25, v26
	v_cmp_ngt_f32_e64 s7, v25, v26
	s_xor_b32 s37, vcc_lo, s7
	s_delay_alu instid0(SALU_CYCLE_1)
	s_and_saveexec_b32 s36, s37
	s_cbranch_execz .LBB871_742
; %bb.744:                              ;   in Loop: Header=BB871_743 Depth=1
	s_add_nc_u64 s[8:9], s[8:9], -1
	v_add_nc_u64_e32 v[0:1], 4, v[0:1]
	s_cmp_eq_u64 s[8:9], 0
	v_add_nc_u64_e32 v[22:23], 4, v[22:23]
	s_cselect_b32 s37, -1, 0
	s_and_not1_b32 s34, s34, exec_lo
	s_and_b32 s37, s37, exec_lo
	s_and_not1_b32 s33, s33, exec_lo
	s_or_b32 s34, s34, s37
	s_branch .LBB871_742
.LBB871_745:
	s_or_b32 exec_lo, exec_lo, s30
	s_and_saveexec_b32 s7, s31
	s_delay_alu instid0(SALU_CYCLE_1)
	s_xor_b32 s7, exec_lo, s7
; %bb.746:
	v_dual_cndmask_b32 v1, v7, v9, s29 :: v_dual_cndmask_b32 v0, v6, v8, s29
	v_dual_cndmask_b32 v9, v9, v7, s29 :: v_dual_cndmask_b32 v8, v8, v6, s29
	s_delay_alu instid0(VALU_DEP_2)
	v_mov_b64_e32 v[6:7], v[0:1]
; %bb.747:
	s_or_b32 exec_lo, exec_lo, s7
	s_delay_alu instid0(SALU_CYCLE_1)
	s_or_b32 exec_lo, exec_lo, s28
	s_and_saveexec_b32 s28, s24
	s_cbranch_execz .LBB871_661
.LBB871_748:
	v_mul_u64_e32 v[0:1], s[12:13], v[4:5]
	v_mul_u64_e32 v[22:23], s[12:13], v[2:3]
	s_mov_b32 s30, 0
	s_mov_b64 s[8:9], s[12:13]
                                        ; implicit-def: $sgpr29
                                        ; implicit-def: $sgpr31
                                        ; implicit-def: $sgpr34
                                        ; implicit-def: $sgpr33
                                        ; implicit-def: $sgpr35
	s_delay_alu instid0(VALU_DEP_2) | instskip(NEXT) | instid1(VALU_DEP_2)
	v_lshl_add_u64 v[0:1], v[0:1], 2, s[14:15]
	v_lshl_add_u64 v[22:23], v[22:23], 2, s[14:15]
	s_branch .LBB871_750
.LBB871_749:                            ;   in Loop: Header=BB871_750 Depth=1
	s_or_b32 exec_lo, exec_lo, s36
	s_and_b32 s7, s7, s35
	s_delay_alu instid0(SALU_CYCLE_1) | instskip(SKIP_1) | instid1(SALU_CYCLE_1)
	s_or_b32 s7, vcc_lo, s7
	s_and_b32 s36, exec_lo, s34
	s_or_b32 s30, s36, s30
	s_and_not1_b32 s35, s35, exec_lo
	s_and_b32 s7, s7, exec_lo
	s_and_not1_b32 s31, s31, exec_lo
	s_and_b32 s36, s33, exec_lo
	s_and_not1_b32 s29, s29, exec_lo
	s_or_b32 s35, s35, s7
	s_or_b32 s31, s31, s36
	;; [unrolled: 1-line block ×3, first 2 shown]
	s_and_not1_b32 exec_lo, exec_lo, s30
	s_cbranch_execz .LBB871_752
.LBB871_750:                            ; =>This Inner Loop Header: Depth=1
	global_load_b32 v25, v[0:1], off
	global_load_b32 v26, v[22:23], off
	s_or_b32 s33, s33, exec_lo
	s_or_b32 s34, s34, exec_lo
	s_wait_loadcnt 0x0
	v_cmp_lt_f32_e32 vcc_lo, v25, v26
	v_cmp_ngt_f32_e64 s7, v25, v26
	s_xor_b32 s37, vcc_lo, s7
	s_delay_alu instid0(SALU_CYCLE_1)
	s_and_saveexec_b32 s36, s37
	s_cbranch_execz .LBB871_749
; %bb.751:                              ;   in Loop: Header=BB871_750 Depth=1
	s_add_nc_u64 s[8:9], s[8:9], -1
	v_add_nc_u64_e32 v[0:1], 4, v[0:1]
	s_cmp_eq_u64 s[8:9], 0
	v_add_nc_u64_e32 v[22:23], 4, v[22:23]
	s_cselect_b32 s37, -1, 0
	s_and_not1_b32 s34, s34, exec_lo
	s_and_b32 s37, s37, exec_lo
	s_and_not1_b32 s33, s33, exec_lo
	s_or_b32 s34, s34, s37
	s_branch .LBB871_749
.LBB871_752:
	s_or_b32 exec_lo, exec_lo, s30
	s_and_saveexec_b32 s7, s31
	s_delay_alu instid0(SALU_CYCLE_1)
	s_xor_b32 s7, exec_lo, s7
; %bb.753:
	v_dual_cndmask_b32 v1, v3, v5, s29 :: v_dual_cndmask_b32 v0, v2, v4, s29
	v_dual_cndmask_b32 v5, v5, v3, s29 :: v_dual_cndmask_b32 v4, v4, v2, s29
	s_delay_alu instid0(VALU_DEP_2)
	v_mov_b64_e32 v[2:3], v[0:1]
; %bb.754:
	s_or_b32 exec_lo, exec_lo, s7
	s_delay_alu instid0(SALU_CYCLE_1)
	s_or_b32 exec_lo, exec_lo, s28
	s_and_saveexec_b32 s28, s25
	s_cbranch_execz .LBB871_662
.LBB871_755:
	v_mul_u64_e32 v[0:1], s[12:13], v[10:11]
	v_mul_u64_e32 v[22:23], s[12:13], v[16:17]
	s_mov_b32 s30, 0
	s_mov_b64 s[8:9], s[12:13]
                                        ; implicit-def: $sgpr29
                                        ; implicit-def: $sgpr31
                                        ; implicit-def: $sgpr34
                                        ; implicit-def: $sgpr33
                                        ; implicit-def: $sgpr35
	s_delay_alu instid0(VALU_DEP_2) | instskip(NEXT) | instid1(VALU_DEP_2)
	v_lshl_add_u64 v[0:1], v[0:1], 2, s[14:15]
	v_lshl_add_u64 v[22:23], v[22:23], 2, s[14:15]
	s_branch .LBB871_757
.LBB871_756:                            ;   in Loop: Header=BB871_757 Depth=1
	s_or_b32 exec_lo, exec_lo, s36
	s_and_b32 s7, s7, s35
	s_delay_alu instid0(SALU_CYCLE_1) | instskip(SKIP_1) | instid1(SALU_CYCLE_1)
	s_or_b32 s7, vcc_lo, s7
	s_and_b32 s36, exec_lo, s34
	s_or_b32 s30, s36, s30
	s_and_not1_b32 s35, s35, exec_lo
	s_and_b32 s7, s7, exec_lo
	s_and_not1_b32 s31, s31, exec_lo
	s_and_b32 s36, s33, exec_lo
	s_and_not1_b32 s29, s29, exec_lo
	s_or_b32 s35, s35, s7
	s_or_b32 s31, s31, s36
	;; [unrolled: 1-line block ×3, first 2 shown]
	s_and_not1_b32 exec_lo, exec_lo, s30
	s_cbranch_execz .LBB871_759
.LBB871_757:                            ; =>This Inner Loop Header: Depth=1
	global_load_b32 v25, v[0:1], off
	global_load_b32 v26, v[22:23], off
	s_or_b32 s33, s33, exec_lo
	s_or_b32 s34, s34, exec_lo
	s_wait_loadcnt 0x0
	v_cmp_lt_f32_e32 vcc_lo, v25, v26
	v_cmp_ngt_f32_e64 s7, v25, v26
	s_xor_b32 s37, vcc_lo, s7
	s_delay_alu instid0(SALU_CYCLE_1)
	s_and_saveexec_b32 s36, s37
	s_cbranch_execz .LBB871_756
; %bb.758:                              ;   in Loop: Header=BB871_757 Depth=1
	s_add_nc_u64 s[8:9], s[8:9], -1
	v_add_nc_u64_e32 v[0:1], 4, v[0:1]
	s_cmp_eq_u64 s[8:9], 0
	v_add_nc_u64_e32 v[22:23], 4, v[22:23]
	s_cselect_b32 s37, -1, 0
	s_and_not1_b32 s34, s34, exec_lo
	s_and_b32 s37, s37, exec_lo
	s_and_not1_b32 s33, s33, exec_lo
	s_or_b32 s34, s34, s37
	s_branch .LBB871_756
.LBB871_759:
	s_or_b32 exec_lo, exec_lo, s30
	s_and_saveexec_b32 s7, s31
	s_delay_alu instid0(SALU_CYCLE_1)
	s_xor_b32 s7, exec_lo, s7
; %bb.760:
	v_dual_cndmask_b32 v1, v17, v11, s29 :: v_dual_cndmask_b32 v0, v16, v10, s29
	v_dual_cndmask_b32 v11, v11, v17, s29 :: v_dual_cndmask_b32 v10, v10, v16, s29
	s_delay_alu instid0(VALU_DEP_2)
	v_mov_b64_e32 v[16:17], v[0:1]
; %bb.761:
	s_or_b32 exec_lo, exec_lo, s7
	s_delay_alu instid0(SALU_CYCLE_1)
	s_or_b32 exec_lo, exec_lo, s28
	s_and_saveexec_b32 s28, s26
	s_cbranch_execz .LBB871_663
.LBB871_762:
	v_mul_u64_e32 v[0:1], s[12:13], v[6:7]
	v_mul_u64_e32 v[22:23], s[12:13], v[12:13]
	s_mov_b32 s30, 0
	s_mov_b64 s[8:9], s[12:13]
                                        ; implicit-def: $sgpr29
                                        ; implicit-def: $sgpr31
                                        ; implicit-def: $sgpr34
                                        ; implicit-def: $sgpr33
                                        ; implicit-def: $sgpr35
	s_delay_alu instid0(VALU_DEP_2) | instskip(NEXT) | instid1(VALU_DEP_2)
	v_lshl_add_u64 v[0:1], v[0:1], 2, s[14:15]
	v_lshl_add_u64 v[22:23], v[22:23], 2, s[14:15]
	s_branch .LBB871_764
.LBB871_763:                            ;   in Loop: Header=BB871_764 Depth=1
	s_or_b32 exec_lo, exec_lo, s36
	s_and_b32 s7, s7, s35
	s_delay_alu instid0(SALU_CYCLE_1) | instskip(SKIP_1) | instid1(SALU_CYCLE_1)
	s_or_b32 s7, vcc_lo, s7
	s_and_b32 s36, exec_lo, s34
	s_or_b32 s30, s36, s30
	s_and_not1_b32 s35, s35, exec_lo
	s_and_b32 s7, s7, exec_lo
	s_and_not1_b32 s31, s31, exec_lo
	s_and_b32 s36, s33, exec_lo
	s_and_not1_b32 s29, s29, exec_lo
	s_or_b32 s35, s35, s7
	s_or_b32 s31, s31, s36
	;; [unrolled: 1-line block ×3, first 2 shown]
	s_and_not1_b32 exec_lo, exec_lo, s30
	s_cbranch_execz .LBB871_766
.LBB871_764:                            ; =>This Inner Loop Header: Depth=1
	global_load_b32 v25, v[0:1], off
	global_load_b32 v26, v[22:23], off
	s_or_b32 s33, s33, exec_lo
	s_or_b32 s34, s34, exec_lo
	s_wait_loadcnt 0x0
	v_cmp_lt_f32_e32 vcc_lo, v25, v26
	v_cmp_ngt_f32_e64 s7, v25, v26
	s_xor_b32 s37, vcc_lo, s7
	s_delay_alu instid0(SALU_CYCLE_1)
	s_and_saveexec_b32 s36, s37
	s_cbranch_execz .LBB871_763
; %bb.765:                              ;   in Loop: Header=BB871_764 Depth=1
	s_add_nc_u64 s[8:9], s[8:9], -1
	v_add_nc_u64_e32 v[0:1], 4, v[0:1]
	s_cmp_eq_u64 s[8:9], 0
	v_add_nc_u64_e32 v[22:23], 4, v[22:23]
	s_cselect_b32 s37, -1, 0
	s_and_not1_b32 s34, s34, exec_lo
	s_and_b32 s37, s37, exec_lo
	s_and_not1_b32 s33, s33, exec_lo
	s_or_b32 s34, s34, s37
	s_branch .LBB871_763
.LBB871_766:
	s_or_b32 exec_lo, exec_lo, s30
	s_and_saveexec_b32 s7, s31
	s_delay_alu instid0(SALU_CYCLE_1)
	s_xor_b32 s7, exec_lo, s7
; %bb.767:
	v_dual_cndmask_b32 v1, v13, v7, s29 :: v_dual_cndmask_b32 v0, v12, v6, s29
	v_dual_cndmask_b32 v7, v7, v13, s29 :: v_dual_cndmask_b32 v6, v6, v12, s29
	s_delay_alu instid0(VALU_DEP_2)
	v_mov_b64_e32 v[12:13], v[0:1]
; %bb.768:
	s_or_b32 exec_lo, exec_lo, s7
	s_delay_alu instid0(SALU_CYCLE_1)
	s_or_b32 exec_lo, exec_lo, s28
	s_and_saveexec_b32 s28, s27
	s_cbranch_execz .LBB871_664
.LBB871_769:
	v_mul_u64_e32 v[0:1], s[12:13], v[2:3]
	v_mul_u64_e32 v[22:23], s[12:13], v[8:9]
	s_mov_b32 s30, 0
	s_mov_b64 s[8:9], s[12:13]
                                        ; implicit-def: $sgpr29
                                        ; implicit-def: $sgpr31
                                        ; implicit-def: $sgpr34
                                        ; implicit-def: $sgpr33
                                        ; implicit-def: $sgpr35
	s_delay_alu instid0(VALU_DEP_2) | instskip(NEXT) | instid1(VALU_DEP_2)
	v_lshl_add_u64 v[0:1], v[0:1], 2, s[14:15]
	v_lshl_add_u64 v[22:23], v[22:23], 2, s[14:15]
	s_branch .LBB871_771
.LBB871_770:                            ;   in Loop: Header=BB871_771 Depth=1
	s_or_b32 exec_lo, exec_lo, s36
	s_and_b32 s7, s7, s35
	s_delay_alu instid0(SALU_CYCLE_1) | instskip(SKIP_1) | instid1(SALU_CYCLE_1)
	s_or_b32 s7, vcc_lo, s7
	s_and_b32 s36, exec_lo, s34
	s_or_b32 s30, s36, s30
	s_and_not1_b32 s35, s35, exec_lo
	s_and_b32 s7, s7, exec_lo
	s_and_not1_b32 s31, s31, exec_lo
	s_and_b32 s36, s33, exec_lo
	s_and_not1_b32 s29, s29, exec_lo
	s_or_b32 s35, s35, s7
	s_or_b32 s31, s31, s36
	;; [unrolled: 1-line block ×3, first 2 shown]
	s_and_not1_b32 exec_lo, exec_lo, s30
	s_cbranch_execz .LBB871_773
.LBB871_771:                            ; =>This Inner Loop Header: Depth=1
	global_load_b32 v25, v[0:1], off
	global_load_b32 v26, v[22:23], off
	s_or_b32 s33, s33, exec_lo
	s_or_b32 s34, s34, exec_lo
	s_wait_loadcnt 0x0
	v_cmp_lt_f32_e32 vcc_lo, v25, v26
	v_cmp_ngt_f32_e64 s7, v25, v26
	s_xor_b32 s37, vcc_lo, s7
	s_delay_alu instid0(SALU_CYCLE_1)
	s_and_saveexec_b32 s36, s37
	s_cbranch_execz .LBB871_770
; %bb.772:                              ;   in Loop: Header=BB871_771 Depth=1
	s_add_nc_u64 s[8:9], s[8:9], -1
	v_add_nc_u64_e32 v[0:1], 4, v[0:1]
	s_cmp_eq_u64 s[8:9], 0
	v_add_nc_u64_e32 v[22:23], 4, v[22:23]
	s_cselect_b32 s37, -1, 0
	s_and_not1_b32 s34, s34, exec_lo
	s_and_b32 s37, s37, exec_lo
	s_and_not1_b32 s33, s33, exec_lo
	s_or_b32 s34, s34, s37
	s_branch .LBB871_770
.LBB871_773:
	s_or_b32 exec_lo, exec_lo, s30
	s_and_saveexec_b32 s7, s31
	s_delay_alu instid0(SALU_CYCLE_1)
	s_xor_b32 s7, exec_lo, s7
; %bb.774:
	v_dual_cndmask_b32 v1, v9, v3, s29 :: v_dual_cndmask_b32 v0, v8, v2, s29
	v_dual_cndmask_b32 v3, v3, v9, s29 :: v_dual_cndmask_b32 v2, v2, v8, s29
	s_delay_alu instid0(VALU_DEP_2)
	v_mov_b64_e32 v[8:9], v[0:1]
; %bb.775:
	s_or_b32 exec_lo, exec_lo, s7
	s_delay_alu instid0(SALU_CYCLE_1)
	s_or_b32 exec_lo, exec_lo, s28
	s_and_saveexec_b32 s28, s23
	s_cbranch_execz .LBB871_665
.LBB871_776:
	v_mul_u64_e32 v[0:1], s[12:13], v[16:17]
	v_mul_u64_e32 v[22:23], s[12:13], v[14:15]
	s_mov_b32 s29, 0
	s_mov_b64 s[8:9], s[12:13]
                                        ; implicit-def: $sgpr23
                                        ; implicit-def: $sgpr30
                                        ; implicit-def: $sgpr33
                                        ; implicit-def: $sgpr31
                                        ; implicit-def: $sgpr34
	s_delay_alu instid0(VALU_DEP_2) | instskip(NEXT) | instid1(VALU_DEP_2)
	v_lshl_add_u64 v[0:1], v[0:1], 2, s[14:15]
	v_lshl_add_u64 v[22:23], v[22:23], 2, s[14:15]
	s_branch .LBB871_778
.LBB871_777:                            ;   in Loop: Header=BB871_778 Depth=1
	s_or_b32 exec_lo, exec_lo, s35
	s_and_b32 s7, s7, s34
	s_delay_alu instid0(SALU_CYCLE_1) | instskip(SKIP_1) | instid1(SALU_CYCLE_1)
	s_or_b32 s7, vcc_lo, s7
	s_and_b32 s35, exec_lo, s33
	s_or_b32 s29, s35, s29
	s_and_not1_b32 s34, s34, exec_lo
	s_and_b32 s7, s7, exec_lo
	s_and_not1_b32 s30, s30, exec_lo
	s_and_b32 s35, s31, exec_lo
	s_and_not1_b32 s23, s23, exec_lo
	s_or_b32 s34, s34, s7
	s_or_b32 s30, s30, s35
	;; [unrolled: 1-line block ×3, first 2 shown]
	s_and_not1_b32 exec_lo, exec_lo, s29
	s_cbranch_execz .LBB871_780
.LBB871_778:                            ; =>This Inner Loop Header: Depth=1
	global_load_b32 v25, v[0:1], off
	global_load_b32 v26, v[22:23], off
	s_or_b32 s31, s31, exec_lo
	s_or_b32 s33, s33, exec_lo
	s_wait_loadcnt 0x0
	v_cmp_lt_f32_e32 vcc_lo, v25, v26
	v_cmp_ngt_f32_e64 s7, v25, v26
	s_xor_b32 s36, vcc_lo, s7
	s_delay_alu instid0(SALU_CYCLE_1)
	s_and_saveexec_b32 s35, s36
	s_cbranch_execz .LBB871_777
; %bb.779:                              ;   in Loop: Header=BB871_778 Depth=1
	s_add_nc_u64 s[8:9], s[8:9], -1
	v_add_nc_u64_e32 v[0:1], 4, v[0:1]
	s_cmp_eq_u64 s[8:9], 0
	v_add_nc_u64_e32 v[22:23], 4, v[22:23]
	s_cselect_b32 s36, -1, 0
	s_and_not1_b32 s33, s33, exec_lo
	s_and_b32 s36, s36, exec_lo
	s_and_not1_b32 s31, s31, exec_lo
	s_or_b32 s33, s33, s36
	s_branch .LBB871_777
.LBB871_780:
	s_or_b32 exec_lo, exec_lo, s29
	s_and_saveexec_b32 s7, s30
	s_delay_alu instid0(SALU_CYCLE_1)
	s_xor_b32 s7, exec_lo, s7
; %bb.781:
	v_dual_cndmask_b32 v1, v17, v15, s23 :: v_dual_cndmask_b32 v0, v16, v14, s23
	v_dual_cndmask_b32 v15, v15, v17, s23 :: v_dual_cndmask_b32 v14, v14, v16, s23
	s_delay_alu instid0(VALU_DEP_2)
	v_mov_b64_e32 v[16:17], v[0:1]
; %bb.782:
	s_or_b32 exec_lo, exec_lo, s7
	s_delay_alu instid0(SALU_CYCLE_1)
	s_or_b32 exec_lo, exec_lo, s28
	s_and_saveexec_b32 s23, s16
	s_cbranch_execz .LBB871_666
.LBB871_783:
	v_mul_u64_e32 v[0:1], s[12:13], v[12:13]
	v_mul_u64_e32 v[22:23], s[12:13], v[10:11]
	s_mov_b32 s28, 0
	s_mov_b64 s[8:9], s[12:13]
                                        ; implicit-def: $sgpr16
                                        ; implicit-def: $sgpr29
                                        ; implicit-def: $sgpr31
                                        ; implicit-def: $sgpr30
                                        ; implicit-def: $sgpr33
	s_delay_alu instid0(VALU_DEP_2) | instskip(NEXT) | instid1(VALU_DEP_2)
	v_lshl_add_u64 v[0:1], v[0:1], 2, s[14:15]
	v_lshl_add_u64 v[22:23], v[22:23], 2, s[14:15]
	s_branch .LBB871_785
.LBB871_784:                            ;   in Loop: Header=BB871_785 Depth=1
	s_or_b32 exec_lo, exec_lo, s34
	s_and_b32 s7, s7, s33
	s_delay_alu instid0(SALU_CYCLE_1) | instskip(SKIP_1) | instid1(SALU_CYCLE_1)
	s_or_b32 s7, vcc_lo, s7
	s_and_b32 s34, exec_lo, s31
	s_or_b32 s28, s34, s28
	s_and_not1_b32 s33, s33, exec_lo
	s_and_b32 s7, s7, exec_lo
	s_and_not1_b32 s29, s29, exec_lo
	s_and_b32 s34, s30, exec_lo
	s_and_not1_b32 s16, s16, exec_lo
	s_or_b32 s33, s33, s7
	s_or_b32 s29, s29, s34
	;; [unrolled: 1-line block ×3, first 2 shown]
	s_and_not1_b32 exec_lo, exec_lo, s28
	s_cbranch_execz .LBB871_787
.LBB871_785:                            ; =>This Inner Loop Header: Depth=1
	global_load_b32 v25, v[0:1], off
	global_load_b32 v26, v[22:23], off
	s_or_b32 s30, s30, exec_lo
	s_or_b32 s31, s31, exec_lo
	s_wait_loadcnt 0x0
	v_cmp_lt_f32_e32 vcc_lo, v25, v26
	v_cmp_ngt_f32_e64 s7, v25, v26
	s_xor_b32 s35, vcc_lo, s7
	s_delay_alu instid0(SALU_CYCLE_1)
	s_and_saveexec_b32 s34, s35
	s_cbranch_execz .LBB871_784
; %bb.786:                              ;   in Loop: Header=BB871_785 Depth=1
	s_add_nc_u64 s[8:9], s[8:9], -1
	v_add_nc_u64_e32 v[0:1], 4, v[0:1]
	s_cmp_eq_u64 s[8:9], 0
	v_add_nc_u64_e32 v[22:23], 4, v[22:23]
	s_cselect_b32 s35, -1, 0
	s_and_not1_b32 s31, s31, exec_lo
	s_and_b32 s35, s35, exec_lo
	s_and_not1_b32 s30, s30, exec_lo
	s_or_b32 s31, s31, s35
	s_branch .LBB871_784
.LBB871_787:
	s_or_b32 exec_lo, exec_lo, s28
	s_and_saveexec_b32 s7, s29
	s_delay_alu instid0(SALU_CYCLE_1)
	s_xor_b32 s7, exec_lo, s7
; %bb.788:
	v_dual_cndmask_b32 v1, v11, v13, s16 :: v_dual_cndmask_b32 v0, v10, v12, s16
	v_dual_cndmask_b32 v13, v13, v11, s16 :: v_dual_cndmask_b32 v12, v12, v10, s16
	s_delay_alu instid0(VALU_DEP_2)
	v_mov_b64_e32 v[10:11], v[0:1]
; %bb.789:
	s_or_b32 exec_lo, exec_lo, s7
	s_delay_alu instid0(SALU_CYCLE_1)
	s_or_b32 exec_lo, exec_lo, s23
	s_and_saveexec_b32 s16, s17
	s_cbranch_execz .LBB871_667
.LBB871_790:
	v_mul_u64_e32 v[0:1], s[12:13], v[8:9]
	v_mul_u64_e32 v[22:23], s[12:13], v[6:7]
	s_mov_b32 s23, 0
	s_mov_b64 s[8:9], s[12:13]
                                        ; implicit-def: $sgpr17
                                        ; implicit-def: $sgpr28
                                        ; implicit-def: $sgpr30
                                        ; implicit-def: $sgpr29
                                        ; implicit-def: $sgpr31
	s_delay_alu instid0(VALU_DEP_2) | instskip(NEXT) | instid1(VALU_DEP_2)
	v_lshl_add_u64 v[0:1], v[0:1], 2, s[14:15]
	v_lshl_add_u64 v[22:23], v[22:23], 2, s[14:15]
	s_branch .LBB871_792
.LBB871_791:                            ;   in Loop: Header=BB871_792 Depth=1
	s_or_b32 exec_lo, exec_lo, s33
	s_and_b32 s7, s7, s31
	s_delay_alu instid0(SALU_CYCLE_1) | instskip(SKIP_1) | instid1(SALU_CYCLE_1)
	s_or_b32 s7, vcc_lo, s7
	s_and_b32 s33, exec_lo, s30
	s_or_b32 s23, s33, s23
	s_and_not1_b32 s31, s31, exec_lo
	s_and_b32 s7, s7, exec_lo
	s_and_not1_b32 s28, s28, exec_lo
	s_and_b32 s33, s29, exec_lo
	s_and_not1_b32 s17, s17, exec_lo
	s_or_b32 s31, s31, s7
	s_or_b32 s28, s28, s33
	;; [unrolled: 1-line block ×3, first 2 shown]
	s_and_not1_b32 exec_lo, exec_lo, s23
	s_cbranch_execz .LBB871_794
.LBB871_792:                            ; =>This Inner Loop Header: Depth=1
	global_load_b32 v25, v[0:1], off
	global_load_b32 v26, v[22:23], off
	s_or_b32 s29, s29, exec_lo
	s_or_b32 s30, s30, exec_lo
	s_wait_loadcnt 0x0
	v_cmp_lt_f32_e32 vcc_lo, v25, v26
	v_cmp_ngt_f32_e64 s7, v25, v26
	s_xor_b32 s34, vcc_lo, s7
	s_delay_alu instid0(SALU_CYCLE_1)
	s_and_saveexec_b32 s33, s34
	s_cbranch_execz .LBB871_791
; %bb.793:                              ;   in Loop: Header=BB871_792 Depth=1
	s_add_nc_u64 s[8:9], s[8:9], -1
	v_add_nc_u64_e32 v[0:1], 4, v[0:1]
	s_cmp_eq_u64 s[8:9], 0
	v_add_nc_u64_e32 v[22:23], 4, v[22:23]
	s_cselect_b32 s34, -1, 0
	s_and_not1_b32 s30, s30, exec_lo
	s_and_b32 s34, s34, exec_lo
	s_and_not1_b32 s29, s29, exec_lo
	s_or_b32 s30, s30, s34
	s_branch .LBB871_791
.LBB871_794:
	s_or_b32 exec_lo, exec_lo, s23
	s_and_saveexec_b32 s7, s28
	s_delay_alu instid0(SALU_CYCLE_1)
	s_xor_b32 s7, exec_lo, s7
; %bb.795:
	v_dual_cndmask_b32 v1, v7, v9, s17 :: v_dual_cndmask_b32 v0, v6, v8, s17
	v_dual_cndmask_b32 v9, v9, v7, s17 :: v_dual_cndmask_b32 v8, v8, v6, s17
	s_delay_alu instid0(VALU_DEP_2)
	v_mov_b64_e32 v[6:7], v[0:1]
; %bb.796:
	s_or_b32 exec_lo, exec_lo, s7
	s_delay_alu instid0(SALU_CYCLE_1)
	s_or_b32 exec_lo, exec_lo, s16
	s_and_saveexec_b32 s16, s24
	s_cbranch_execz .LBB871_668
.LBB871_797:
	v_mul_u64_e32 v[0:1], s[12:13], v[4:5]
	v_mul_u64_e32 v[22:23], s[12:13], v[2:3]
	s_mov_b32 s23, 0
	s_mov_b64 s[8:9], s[12:13]
                                        ; implicit-def: $sgpr17
                                        ; implicit-def: $sgpr24
                                        ; implicit-def: $sgpr29
                                        ; implicit-def: $sgpr28
                                        ; implicit-def: $sgpr30
	s_delay_alu instid0(VALU_DEP_2) | instskip(NEXT) | instid1(VALU_DEP_2)
	v_lshl_add_u64 v[0:1], v[0:1], 2, s[14:15]
	v_lshl_add_u64 v[22:23], v[22:23], 2, s[14:15]
	s_branch .LBB871_799
.LBB871_798:                            ;   in Loop: Header=BB871_799 Depth=1
	s_or_b32 exec_lo, exec_lo, s31
	s_and_b32 s7, s7, s30
	s_delay_alu instid0(SALU_CYCLE_1) | instskip(SKIP_1) | instid1(SALU_CYCLE_1)
	s_or_b32 s7, vcc_lo, s7
	s_and_b32 s31, exec_lo, s29
	s_or_b32 s23, s31, s23
	s_and_not1_b32 s30, s30, exec_lo
	s_and_b32 s7, s7, exec_lo
	s_and_not1_b32 s24, s24, exec_lo
	s_and_b32 s31, s28, exec_lo
	s_and_not1_b32 s17, s17, exec_lo
	s_or_b32 s30, s30, s7
	s_or_b32 s24, s24, s31
	;; [unrolled: 1-line block ×3, first 2 shown]
	s_and_not1_b32 exec_lo, exec_lo, s23
	s_cbranch_execz .LBB871_801
.LBB871_799:                            ; =>This Inner Loop Header: Depth=1
	global_load_b32 v25, v[0:1], off
	global_load_b32 v26, v[22:23], off
	s_or_b32 s28, s28, exec_lo
	s_or_b32 s29, s29, exec_lo
	s_wait_loadcnt 0x0
	v_cmp_lt_f32_e32 vcc_lo, v25, v26
	v_cmp_ngt_f32_e64 s7, v25, v26
	s_xor_b32 s33, vcc_lo, s7
	s_delay_alu instid0(SALU_CYCLE_1)
	s_and_saveexec_b32 s31, s33
	s_cbranch_execz .LBB871_798
; %bb.800:                              ;   in Loop: Header=BB871_799 Depth=1
	s_add_nc_u64 s[8:9], s[8:9], -1
	v_add_nc_u64_e32 v[0:1], 4, v[0:1]
	s_cmp_eq_u64 s[8:9], 0
	v_add_nc_u64_e32 v[22:23], 4, v[22:23]
	s_cselect_b32 s33, -1, 0
	s_and_not1_b32 s29, s29, exec_lo
	s_and_b32 s33, s33, exec_lo
	s_and_not1_b32 s28, s28, exec_lo
	s_or_b32 s29, s29, s33
	s_branch .LBB871_798
.LBB871_801:
	s_or_b32 exec_lo, exec_lo, s23
	s_and_saveexec_b32 s7, s24
	s_delay_alu instid0(SALU_CYCLE_1)
	s_xor_b32 s7, exec_lo, s7
; %bb.802:
	v_dual_cndmask_b32 v1, v3, v5, s17 :: v_dual_cndmask_b32 v0, v2, v4, s17
	v_dual_cndmask_b32 v5, v5, v3, s17 :: v_dual_cndmask_b32 v4, v4, v2, s17
	s_delay_alu instid0(VALU_DEP_2)
	v_mov_b64_e32 v[2:3], v[0:1]
; %bb.803:
	s_or_b32 exec_lo, exec_lo, s7
	s_delay_alu instid0(SALU_CYCLE_1)
	s_or_b32 exec_lo, exec_lo, s16
	s_and_saveexec_b32 s16, s25
	s_cbranch_execz .LBB871_669
.LBB871_804:
	v_mul_u64_e32 v[0:1], s[12:13], v[10:11]
	v_mul_u64_e32 v[22:23], s[12:13], v[16:17]
	s_mov_b32 s23, 0
	s_mov_b64 s[8:9], s[12:13]
                                        ; implicit-def: $sgpr17
                                        ; implicit-def: $sgpr24
                                        ; implicit-def: $sgpr28
                                        ; implicit-def: $sgpr25
                                        ; implicit-def: $sgpr29
	s_delay_alu instid0(VALU_DEP_2) | instskip(NEXT) | instid1(VALU_DEP_2)
	v_lshl_add_u64 v[0:1], v[0:1], 2, s[14:15]
	v_lshl_add_u64 v[22:23], v[22:23], 2, s[14:15]
	s_branch .LBB871_806
.LBB871_805:                            ;   in Loop: Header=BB871_806 Depth=1
	s_or_b32 exec_lo, exec_lo, s30
	s_and_b32 s7, s7, s29
	s_delay_alu instid0(SALU_CYCLE_1) | instskip(SKIP_1) | instid1(SALU_CYCLE_1)
	s_or_b32 s7, vcc_lo, s7
	s_and_b32 s30, exec_lo, s28
	s_or_b32 s23, s30, s23
	s_and_not1_b32 s29, s29, exec_lo
	s_and_b32 s7, s7, exec_lo
	s_and_not1_b32 s24, s24, exec_lo
	s_and_b32 s30, s25, exec_lo
	s_and_not1_b32 s17, s17, exec_lo
	s_or_b32 s29, s29, s7
	s_or_b32 s24, s24, s30
	;; [unrolled: 1-line block ×3, first 2 shown]
	s_and_not1_b32 exec_lo, exec_lo, s23
	s_cbranch_execz .LBB871_808
.LBB871_806:                            ; =>This Inner Loop Header: Depth=1
	global_load_b32 v25, v[0:1], off
	global_load_b32 v26, v[22:23], off
	s_or_b32 s25, s25, exec_lo
	s_or_b32 s28, s28, exec_lo
	s_wait_loadcnt 0x0
	v_cmp_lt_f32_e32 vcc_lo, v25, v26
	v_cmp_ngt_f32_e64 s7, v25, v26
	s_xor_b32 s31, vcc_lo, s7
	s_delay_alu instid0(SALU_CYCLE_1)
	s_and_saveexec_b32 s30, s31
	s_cbranch_execz .LBB871_805
; %bb.807:                              ;   in Loop: Header=BB871_806 Depth=1
	s_add_nc_u64 s[8:9], s[8:9], -1
	v_add_nc_u64_e32 v[0:1], 4, v[0:1]
	s_cmp_eq_u64 s[8:9], 0
	v_add_nc_u64_e32 v[22:23], 4, v[22:23]
	s_cselect_b32 s31, -1, 0
	s_and_not1_b32 s28, s28, exec_lo
	s_and_b32 s31, s31, exec_lo
	s_and_not1_b32 s25, s25, exec_lo
	s_or_b32 s28, s28, s31
	s_branch .LBB871_805
.LBB871_808:
	s_or_b32 exec_lo, exec_lo, s23
	s_and_saveexec_b32 s7, s24
	s_delay_alu instid0(SALU_CYCLE_1)
	s_xor_b32 s7, exec_lo, s7
; %bb.809:
	v_dual_cndmask_b32 v1, v17, v11, s17 :: v_dual_cndmask_b32 v0, v16, v10, s17
	v_dual_cndmask_b32 v11, v11, v17, s17 :: v_dual_cndmask_b32 v10, v10, v16, s17
	s_delay_alu instid0(VALU_DEP_2)
	v_mov_b64_e32 v[16:17], v[0:1]
; %bb.810:
	s_or_b32 exec_lo, exec_lo, s7
	s_delay_alu instid0(SALU_CYCLE_1)
	s_or_b32 exec_lo, exec_lo, s16
	s_and_saveexec_b32 s16, s26
	s_cbranch_execz .LBB871_670
.LBB871_811:
	v_mul_u64_e32 v[0:1], s[12:13], v[6:7]
	v_mul_u64_e32 v[22:23], s[12:13], v[12:13]
	s_mov_b32 s23, 0
	s_mov_b64 s[8:9], s[12:13]
                                        ; implicit-def: $sgpr17
                                        ; implicit-def: $sgpr24
                                        ; implicit-def: $sgpr26
                                        ; implicit-def: $sgpr25
                                        ; implicit-def: $sgpr28
	s_delay_alu instid0(VALU_DEP_2) | instskip(NEXT) | instid1(VALU_DEP_2)
	v_lshl_add_u64 v[0:1], v[0:1], 2, s[14:15]
	v_lshl_add_u64 v[22:23], v[22:23], 2, s[14:15]
	s_branch .LBB871_813
.LBB871_812:                            ;   in Loop: Header=BB871_813 Depth=1
	s_or_b32 exec_lo, exec_lo, s29
	s_and_b32 s7, s7, s28
	s_delay_alu instid0(SALU_CYCLE_1) | instskip(SKIP_1) | instid1(SALU_CYCLE_1)
	s_or_b32 s7, vcc_lo, s7
	s_and_b32 s29, exec_lo, s26
	s_or_b32 s23, s29, s23
	s_and_not1_b32 s28, s28, exec_lo
	s_and_b32 s7, s7, exec_lo
	s_and_not1_b32 s24, s24, exec_lo
	s_and_b32 s29, s25, exec_lo
	s_and_not1_b32 s17, s17, exec_lo
	s_or_b32 s28, s28, s7
	s_or_b32 s24, s24, s29
	;; [unrolled: 1-line block ×3, first 2 shown]
	s_and_not1_b32 exec_lo, exec_lo, s23
	s_cbranch_execz .LBB871_815
.LBB871_813:                            ; =>This Inner Loop Header: Depth=1
	global_load_b32 v25, v[0:1], off
	global_load_b32 v26, v[22:23], off
	s_or_b32 s25, s25, exec_lo
	s_or_b32 s26, s26, exec_lo
	s_wait_loadcnt 0x0
	v_cmp_lt_f32_e32 vcc_lo, v25, v26
	v_cmp_ngt_f32_e64 s7, v25, v26
	s_xor_b32 s30, vcc_lo, s7
	s_delay_alu instid0(SALU_CYCLE_1)
	s_and_saveexec_b32 s29, s30
	s_cbranch_execz .LBB871_812
; %bb.814:                              ;   in Loop: Header=BB871_813 Depth=1
	s_add_nc_u64 s[8:9], s[8:9], -1
	v_add_nc_u64_e32 v[0:1], 4, v[0:1]
	s_cmp_eq_u64 s[8:9], 0
	v_add_nc_u64_e32 v[22:23], 4, v[22:23]
	s_cselect_b32 s30, -1, 0
	s_and_not1_b32 s26, s26, exec_lo
	s_and_b32 s30, s30, exec_lo
	s_and_not1_b32 s25, s25, exec_lo
	s_or_b32 s26, s26, s30
	s_branch .LBB871_812
.LBB871_815:
	s_or_b32 exec_lo, exec_lo, s23
	s_and_saveexec_b32 s7, s24
	s_delay_alu instid0(SALU_CYCLE_1)
	s_xor_b32 s7, exec_lo, s7
; %bb.816:
	v_dual_cndmask_b32 v1, v13, v7, s17 :: v_dual_cndmask_b32 v0, v12, v6, s17
	v_dual_cndmask_b32 v7, v7, v13, s17 :: v_dual_cndmask_b32 v6, v6, v12, s17
	s_delay_alu instid0(VALU_DEP_2)
	v_mov_b64_e32 v[12:13], v[0:1]
; %bb.817:
	s_or_b32 exec_lo, exec_lo, s7
	s_delay_alu instid0(SALU_CYCLE_1)
	s_or_b32 exec_lo, exec_lo, s16
	s_and_saveexec_b32 s16, s27
	s_cbranch_execz .LBB871_825
.LBB871_818:
	v_mul_u64_e32 v[0:1], s[12:13], v[2:3]
	v_mul_u64_e32 v[22:23], s[12:13], v[8:9]
	s_mov_b32 s23, 0
	s_mov_b64 s[8:9], s[12:13]
                                        ; implicit-def: $sgpr17
                                        ; implicit-def: $sgpr24
                                        ; implicit-def: $sgpr26
                                        ; implicit-def: $sgpr25
                                        ; implicit-def: $sgpr27
	s_delay_alu instid0(VALU_DEP_2) | instskip(NEXT) | instid1(VALU_DEP_2)
	v_lshl_add_u64 v[0:1], v[0:1], 2, s[14:15]
	v_lshl_add_u64 v[22:23], v[22:23], 2, s[14:15]
	s_branch .LBB871_820
.LBB871_819:                            ;   in Loop: Header=BB871_820 Depth=1
	s_or_b32 exec_lo, exec_lo, s28
	s_and_b32 s7, s7, s27
	s_delay_alu instid0(SALU_CYCLE_1) | instskip(SKIP_1) | instid1(SALU_CYCLE_1)
	s_or_b32 s7, vcc_lo, s7
	s_and_b32 s28, exec_lo, s26
	s_or_b32 s23, s28, s23
	s_and_not1_b32 s27, s27, exec_lo
	s_and_b32 s7, s7, exec_lo
	s_and_not1_b32 s24, s24, exec_lo
	s_and_b32 s28, s25, exec_lo
	s_and_not1_b32 s17, s17, exec_lo
	s_or_b32 s27, s27, s7
	s_or_b32 s24, s24, s28
	;; [unrolled: 1-line block ×3, first 2 shown]
	s_and_not1_b32 exec_lo, exec_lo, s23
	s_cbranch_execz .LBB871_822
.LBB871_820:                            ; =>This Inner Loop Header: Depth=1
	global_load_b32 v25, v[0:1], off
	global_load_b32 v26, v[22:23], off
	s_or_b32 s25, s25, exec_lo
	s_or_b32 s26, s26, exec_lo
	s_wait_loadcnt 0x0
	v_cmp_lt_f32_e32 vcc_lo, v25, v26
	v_cmp_ngt_f32_e64 s7, v25, v26
	s_xor_b32 s29, vcc_lo, s7
	s_delay_alu instid0(SALU_CYCLE_1)
	s_and_saveexec_b32 s28, s29
	s_cbranch_execz .LBB871_819
; %bb.821:                              ;   in Loop: Header=BB871_820 Depth=1
	s_add_nc_u64 s[8:9], s[8:9], -1
	v_add_nc_u64_e32 v[0:1], 4, v[0:1]
	s_cmp_eq_u64 s[8:9], 0
	v_add_nc_u64_e32 v[22:23], 4, v[22:23]
	s_cselect_b32 s29, -1, 0
	s_and_not1_b32 s26, s26, exec_lo
	s_and_b32 s29, s29, exec_lo
	s_and_not1_b32 s25, s25, exec_lo
	s_or_b32 s26, s26, s29
	s_branch .LBB871_819
.LBB871_822:
	s_or_b32 exec_lo, exec_lo, s23
	s_and_saveexec_b32 s7, s24
	s_delay_alu instid0(SALU_CYCLE_1)
	s_xor_b32 s7, exec_lo, s7
; %bb.823:
	v_dual_cndmask_b32 v1, v9, v3, s17 :: v_dual_cndmask_b32 v0, v8, v2, s17
	v_dual_cndmask_b32 v3, v3, v9, s17 :: v_dual_cndmask_b32 v2, v2, v8, s17
	s_delay_alu instid0(VALU_DEP_2)
	v_mov_b64_e32 v[8:9], v[0:1]
; %bb.824:
	s_or_b32 exec_lo, exec_lo, s7
.LBB871_825:
	s_delay_alu instid0(SALU_CYCLE_1) | instskip(SKIP_4) | instid1(VALU_DEP_1)
	s_or_b32 exec_lo, exec_lo, s16
	v_mbcnt_lo_u32_b32 v0, -1, 0
	v_and_b32_e32 v1, 0xffffff00, v24
	s_mov_b32 s23, 0
	s_mov_b32 s24, exec_lo
	v_dual_lshlrev_b32 v45, 3, v0 :: v_dual_lshlrev_b32 v43, 3, v1
	v_sub_nc_u32_e64 v44, s21, v1 clamp
	s_delay_alu instid0(VALU_DEP_2) | instskip(SKIP_1) | instid1(VALU_DEP_4)
	v_or_b32_e32 v22, 8, v45
	v_and_b32_e32 v26, 0xf0, v45
	v_lshl_or_b32 v46, v0, 6, v43
	ds_store_b128 v46, v[14:17]
	ds_store_b128 v46, v[10:13] offset:16
	v_min_u32_e32 v47, v44, v22
	v_and_b32_e32 v22, 8, v45
	v_lshl_or_b32 v25, v26, 3, v43
	ds_store_b128 v46, v[6:9] offset:32
	ds_store_b128 v46, v[2:5] offset:48
	v_add_min_u32_e64 v48, v47, 8, v44
	v_min_u32_e32 v27, v44, v22
	v_sub_nc_u32_e32 v22, v47, v26
	; wave barrier
	s_delay_alu instid0(VALU_DEP_3) | instskip(NEXT) | instid1(VALU_DEP_2)
	v_sub_nc_u32_e32 v1, v48, v47
	v_min_u32_e32 v28, v27, v22
	s_delay_alu instid0(VALU_DEP_2) | instskip(NEXT) | instid1(VALU_DEP_1)
	v_sub_nc_u32_e64 v24, v27, v1 clamp
	v_cmpx_lt_u32_e64 v24, v28
	s_cbranch_execz .LBB871_835
; %bb.826:
	v_lshlrev_b32_e32 v0, 3, v47
	v_lshlrev_b32_e32 v1, 3, v27
	s_lshl_b64 s[8:9], s[12:13], 2
	s_delay_alu instid0(VALU_DEP_1)
	v_add3_u32 v29, v43, v0, v1
	s_branch .LBB871_829
.LBB871_827:                            ;   in Loop: Header=BB871_829 Depth=1
	s_or_b32 exec_lo, exec_lo, s26
.LBB871_828:                            ;   in Loop: Header=BB871_829 Depth=1
	s_delay_alu instid0(VALU_DEP_1) | instskip(NEXT) | instid1(VALU_DEP_1)
	v_dual_add_nc_u32 v0, 1, v30 :: v_dual_cndmask_b32 v28, v28, v30, s25
	v_cndmask_b32_e64 v24, v0, v24, s25
	s_delay_alu instid0(VALU_DEP_1) | instskip(SKIP_1) | instid1(SALU_CYCLE_1)
	v_cmp_ge_u32_e32 vcc_lo, v24, v28
	s_or_b32 s23, vcc_lo, s23
	s_and_not1_b32 exec_lo, exec_lo, s23
	s_cbranch_execz .LBB871_834
.LBB871_829:                            ; =>This Loop Header: Depth=1
                                        ;     Child Loop BB871_832 Depth 2
	v_add_nc_u32_e32 v0, v28, v24
	s_and_not1_b32 vcc_lo, exec_lo, s18
	s_mov_b32 s25, 0
	s_delay_alu instid0(VALU_DEP_1)
	v_lshrrev_b32_e32 v30, 1, v0
	s_cbranch_vccnz .LBB871_828
; %bb.830:                              ;   in Loop: Header=BB871_829 Depth=1
	s_delay_alu instid0(VALU_DEP_1) | instskip(SKIP_3) | instid1(VALU_DEP_2)
	v_not_b32_e32 v0, v30
	v_lshl_add_u32 v1, v30, 3, v25
	s_mov_b32 s26, 0
	s_mov_b64 s[16:17], s[12:13]
                                        ; implicit-def: $sgpr25
                                        ; implicit-def: $sgpr27
                                        ; implicit-def: $sgpr28
                                        ; implicit-def: $sgpr29
	v_lshl_add_u32 v0, v0, 3, v29
	ds_load_b64 v[32:33], v0
	ds_load_b64 v[34:35], v1
	s_wait_dscnt 0x1
	v_mad_nc_u64_u32 v[0:1], s8, v32, s[14:15]
	s_wait_dscnt 0x0
	v_mad_nc_u64_u32 v[22:23], s8, v34, s[14:15]
	s_delay_alu instid0(VALU_DEP_2) | instskip(NEXT) | instid1(VALU_DEP_2)
	v_mad_u32 v1, s9, v32, v1
	v_mad_u32 v23, s9, v34, v23
	s_delay_alu instid0(VALU_DEP_2) | instskip(NEXT) | instid1(VALU_DEP_2)
	v_mad_u32 v1, s8, v33, v1
	v_mad_u32 v23, s8, v35, v23
	s_branch .LBB871_832
.LBB871_831:                            ;   in Loop: Header=BB871_832 Depth=2
	s_or_b32 exec_lo, exec_lo, s7
	s_delay_alu instid0(SALU_CYCLE_1) | instskip(NEXT) | instid1(SALU_CYCLE_1)
	s_and_b32 s7, exec_lo, s27
	s_or_b32 s26, s7, s26
	s_and_not1_b32 s7, s29, exec_lo
	s_and_b32 s29, s30, exec_lo
	s_and_not1_b32 s25, s25, exec_lo
	s_and_b32 s30, s28, exec_lo
	s_or_b32 s29, s7, s29
	s_or_b32 s25, s25, s30
	s_and_not1_b32 exec_lo, exec_lo, s26
	s_cbranch_execz .LBB871_827
.LBB871_832:                            ;   Parent Loop BB871_829 Depth=1
                                        ; =>  This Inner Loop Header: Depth=2
	global_load_b32 v31, v[0:1], off
	global_load_b32 v32, v[22:23], off
	s_and_not1_b32 s28, s28, exec_lo
	s_or_b32 s27, s27, exec_lo
	s_wait_loadcnt 0x0
	v_cmp_ngt_f32_e32 vcc_lo, v31, v32
	v_cmp_lt_f32_e64 s7, v31, v32
	s_and_b32 s30, vcc_lo, s29
	s_xor_b32 s33, s7, vcc_lo
	s_or_b32 s30, s7, s30
	s_delay_alu instid0(SALU_CYCLE_1) | instskip(NEXT) | instid1(SALU_CYCLE_1)
	s_and_b32 s31, s30, exec_lo
	s_or_b32 s28, s28, s31
	s_and_saveexec_b32 s7, s33
	s_cbranch_execz .LBB871_831
; %bb.833:                              ;   in Loop: Header=BB871_832 Depth=2
	s_add_nc_u64 s[16:17], s[16:17], -1
	v_add_nc_u64_e32 v[0:1], 4, v[0:1]
	s_cmp_eq_u64 s[16:17], 0
	v_add_nc_u64_e32 v[22:23], 4, v[22:23]
	s_cselect_b32 s29, -1, 0
	s_and_not1_b32 s27, s27, exec_lo
	s_and_b32 s29, s29, exec_lo
	s_and_not1_b32 s28, s28, exec_lo
	s_or_b32 s27, s27, s29
                                        ; implicit-def: $sgpr29
	s_branch .LBB871_831
.LBB871_834:
	s_or_b32 exec_lo, exec_lo, s23
.LBB871_835:
	s_delay_alu instid0(SALU_CYCLE_1) | instskip(SKIP_1) | instid1(VALU_DEP_1)
	s_or_b32 exec_lo, exec_lo, s24
	v_dual_add_nc_u32 v0, v47, v27 :: v_dual_add_nc_u32 v22, v24, v26
	v_sub_nc_u32_e32 v23, v0, v24
	s_delay_alu instid0(VALU_DEP_2) | instskip(NEXT) | instid1(VALU_DEP_2)
	v_cmp_le_u32_e32 vcc_lo, v22, v47
	v_cmp_le_u32_e64 s7, v23, v48
	s_or_b32 s7, vcc_lo, s7
	s_delay_alu instid0(SALU_CYCLE_1)
	s_and_saveexec_b32 s16, s7
	s_cbranch_execz .LBB871_903
; %bb.836:
	s_mov_b32 s8, exec_lo
	v_cmp_ge_u32_e32 vcc_lo, v22, v47
                                        ; implicit-def: $vgpr0_vgpr1
	v_cmpx_lt_u32_e64 v22, v47
; %bb.837:
	v_lshl_add_u32 v0, v24, 3, v25
	ds_load_b64 v[0:1], v0
; %bb.838:
	s_or_b32 exec_lo, exec_lo, s8
	v_cmp_ge_u32_e64 s7, v23, v48
	s_mov_b32 s9, exec_lo
                                        ; implicit-def: $vgpr2_vgpr3
	v_cmpx_lt_u32_e64 v23, v48
; %bb.839:
	v_lshl_add_u32 v2, v23, 3, v43
	ds_load_b64 v[2:3], v2
; %bb.840:
	s_or_b32 exec_lo, exec_lo, s9
	s_or_b32 s8, vcc_lo, s7
	s_xor_b32 s9, vcc_lo, -1
	s_nor_b32 s8, s8, s19
	s_or_b32 s17, s7, s9
	s_and_saveexec_b32 s23, s8
	s_cbranch_execz .LBB871_846
; %bb.841:
	s_wait_dscnt 0x0
	v_mul_u64_e32 v[4:5], s[12:13], v[2:3]
	v_mul_u64_e32 v[6:7], s[12:13], v[0:1]
	s_mov_b32 s24, 0
	s_mov_b64 s[8:9], s[12:13]
                                        ; implicit-def: $sgpr25
                                        ; implicit-def: $sgpr26
                                        ; implicit-def: $sgpr27
                                        ; implicit-def: $sgpr28
	s_delay_alu instid0(VALU_DEP_2) | instskip(NEXT) | instid1(VALU_DEP_2)
	v_lshl_add_u64 v[4:5], v[4:5], 2, s[14:15]
	v_lshl_add_u64 v[6:7], v[6:7], 2, s[14:15]
	s_branch .LBB871_843
.LBB871_842:                            ;   in Loop: Header=BB871_843 Depth=1
	s_or_b32 exec_lo, exec_lo, s7
	s_delay_alu instid0(SALU_CYCLE_1) | instskip(NEXT) | instid1(SALU_CYCLE_1)
	s_and_b32 s7, exec_lo, s26
	s_or_b32 s24, s7, s24
	s_and_not1_b32 s7, s28, exec_lo
	s_and_b32 s28, s29, exec_lo
	s_and_not1_b32 s25, s25, exec_lo
	s_and_b32 s29, s27, exec_lo
	s_or_b32 s28, s7, s28
	s_or_b32 s25, s25, s29
	s_and_not1_b32 exec_lo, exec_lo, s24
	s_cbranch_execz .LBB871_845
.LBB871_843:                            ; =>This Inner Loop Header: Depth=1
	global_load_b32 v8, v[4:5], off
	global_load_b32 v9, v[6:7], off
	s_and_not1_b32 s27, s27, exec_lo
	s_or_b32 s26, s26, exec_lo
	s_wait_loadcnt 0x0
	v_cmp_ngt_f32_e32 vcc_lo, v8, v9
	v_cmp_lt_f32_e64 s7, v8, v9
	s_and_b32 s29, vcc_lo, s28
	s_xor_b32 s31, s7, vcc_lo
	s_or_b32 s29, s7, s29
	s_delay_alu instid0(SALU_CYCLE_1) | instskip(NEXT) | instid1(SALU_CYCLE_1)
	s_and_b32 s30, s29, exec_lo
	s_or_b32 s27, s27, s30
	s_and_saveexec_b32 s7, s31
	s_cbranch_execz .LBB871_842
; %bb.844:                              ;   in Loop: Header=BB871_843 Depth=1
	s_add_nc_u64 s[8:9], s[8:9], -1
	v_add_nc_u64_e32 v[4:5], 4, v[4:5]
	s_cmp_eq_u64 s[8:9], 0
	v_add_nc_u64_e32 v[6:7], 4, v[6:7]
	s_cselect_b32 s28, -1, 0
	s_and_not1_b32 s26, s26, exec_lo
	s_and_b32 s28, s28, exec_lo
	s_and_not1_b32 s27, s27, exec_lo
	s_or_b32 s26, s26, s28
                                        ; implicit-def: $sgpr28
	s_branch .LBB871_842
.LBB871_845:
	s_or_b32 exec_lo, exec_lo, s24
	s_xor_b32 s7, s25, -1
	s_and_not1_b32 s8, s17, exec_lo
	s_and_b32 s7, s7, exec_lo
	s_delay_alu instid0(SALU_CYCLE_1)
	s_or_b32 s17, s8, s7
.LBB871_846:
	s_or_b32 exec_lo, exec_lo, s23
	v_dual_cndmask_b32 v4, v23, v22, s17 :: v_dual_cndmask_b32 v5, v48, v47, s17
	s_mov_b32 s24, -1
	s_mov_b32 s23, -1
	s_mov_b32 s25, exec_lo
	s_delay_alu instid0(VALU_DEP_1) | instskip(NEXT) | instid1(VALU_DEP_1)
	v_add_nc_u32_e32 v4, 1, v4
	v_add_min_u32_e64 v5, v5, -1, v4
	s_delay_alu instid0(VALU_DEP_1)
	v_lshl_add_u32 v5, v5, 3, v43
	ds_load_b64 v[6:7], v5
	s_wait_dscnt 0x0
	v_cndmask_b32_e64 v5, v7, v3, s17
	v_dual_cndmask_b32 v10, v4, v23, s17 :: v_dual_cndmask_b32 v11, v22, v4, s17
	v_dual_cndmask_b32 v4, v6, v2, s17 :: v_dual_cndmask_b32 v15, v1, v7, s17
	v_cndmask_b32_e64 v14, v0, v6, s17
	s_delay_alu instid0(VALU_DEP_3)
	v_cmpx_lt_u32_e64 v10, v48
	s_cbranch_execz .LBB871_854
; %bb.847:
	v_cmp_lt_u32_e64 s23, v11, v47
	s_and_b32 s7, s23, s22
	s_delay_alu instid0(SALU_CYCLE_1)
	s_and_saveexec_b32 s26, s7
	s_cbranch_execz .LBB871_853
; %bb.848:
	v_mul_u64_e32 v[6:7], s[12:13], v[4:5]
	v_mul_u64_e32 v[8:9], s[12:13], v[14:15]
	s_mov_b32 s27, 0
	s_mov_b64 s[8:9], s[12:13]
                                        ; implicit-def: $sgpr28
                                        ; implicit-def: $sgpr29
                                        ; implicit-def: $sgpr30
                                        ; implicit-def: $sgpr31
	s_delay_alu instid0(VALU_DEP_2) | instskip(NEXT) | instid1(VALU_DEP_2)
	v_lshl_add_u64 v[6:7], v[6:7], 2, s[14:15]
	v_lshl_add_u64 v[8:9], v[8:9], 2, s[14:15]
	s_branch .LBB871_850
.LBB871_849:                            ;   in Loop: Header=BB871_850 Depth=1
	s_or_b32 exec_lo, exec_lo, s7
	s_delay_alu instid0(SALU_CYCLE_1) | instskip(NEXT) | instid1(SALU_CYCLE_1)
	s_and_b32 s7, exec_lo, s29
	s_or_b32 s27, s7, s27
	s_and_not1_b32 s7, s31, exec_lo
	s_and_b32 s31, s33, exec_lo
	s_and_not1_b32 s28, s28, exec_lo
	s_and_b32 s33, s30, exec_lo
	s_or_b32 s31, s7, s31
	s_or_b32 s28, s28, s33
	s_and_not1_b32 exec_lo, exec_lo, s27
	s_cbranch_execz .LBB871_852
.LBB871_850:                            ; =>This Inner Loop Header: Depth=1
	global_load_b32 v12, v[6:7], off
	global_load_b32 v13, v[8:9], off
	s_and_not1_b32 s30, s30, exec_lo
	s_or_b32 s29, s29, exec_lo
	s_wait_loadcnt 0x0
	v_cmp_ngt_f32_e32 vcc_lo, v12, v13
	v_cmp_lt_f32_e64 s7, v12, v13
	s_and_b32 s33, vcc_lo, s31
	s_xor_b32 s35, s7, vcc_lo
	s_or_b32 s33, s7, s33
	s_delay_alu instid0(SALU_CYCLE_1) | instskip(NEXT) | instid1(SALU_CYCLE_1)
	s_and_b32 s34, s33, exec_lo
	s_or_b32 s30, s30, s34
	s_and_saveexec_b32 s7, s35
	s_cbranch_execz .LBB871_849
; %bb.851:                              ;   in Loop: Header=BB871_850 Depth=1
	s_add_nc_u64 s[8:9], s[8:9], -1
	v_add_nc_u64_e32 v[6:7], 4, v[6:7]
	s_cmp_eq_u64 s[8:9], 0
	v_add_nc_u64_e32 v[8:9], 4, v[8:9]
	s_cselect_b32 s31, -1, 0
	s_and_not1_b32 s29, s29, exec_lo
	s_and_b32 s31, s31, exec_lo
	s_and_not1_b32 s30, s30, exec_lo
	s_or_b32 s29, s29, s31
                                        ; implicit-def: $sgpr31
	s_branch .LBB871_849
.LBB871_852:
	s_or_b32 exec_lo, exec_lo, s27
	s_xor_b32 s7, s28, -1
	s_and_not1_b32 s8, s23, exec_lo
	s_and_b32 s7, s7, exec_lo
	s_delay_alu instid0(SALU_CYCLE_1)
	s_or_b32 s23, s8, s7
.LBB871_853:
	s_or_b32 exec_lo, exec_lo, s26
	s_delay_alu instid0(SALU_CYCLE_1)
	s_or_not1_b32 s23, s23, exec_lo
.LBB871_854:
	s_or_b32 exec_lo, exec_lo, s25
	v_cndmask_b32_e64 v6, v10, v11, s23
	v_cndmask_b32_e64 v7, v48, v47, s23
	s_mov_b32 s25, exec_lo
	s_delay_alu instid0(VALU_DEP_2) | instskip(NEXT) | instid1(VALU_DEP_1)
	v_add_nc_u32_e32 v8, 1, v6
	v_add_min_u32_e64 v6, v7, -1, v8
	v_cndmask_b32_e64 v12, v8, v10, s23
	s_delay_alu instid0(VALU_DEP_2)
	v_lshl_add_u32 v6, v6, 3, v43
	ds_load_b64 v[6:7], v6
	s_wait_dscnt 0x0
	v_dual_cndmask_b32 v13, v11, v8, s23 :: v_dual_cndmask_b32 v16, v14, v6, s23
	v_dual_cndmask_b32 v11, v7, v5, s23 :: v_dual_cndmask_b32 v10, v6, v4, s23
	v_cndmask_b32_e64 v17, v15, v7, s23
	v_cmpx_lt_u32_e64 v12, v48
	s_cbranch_execz .LBB871_862
; %bb.855:
	v_cmp_lt_u32_e64 s24, v13, v47
	s_and_b32 s7, s24, s22
	s_delay_alu instid0(SALU_CYCLE_1)
	s_and_saveexec_b32 s26, s7
	s_cbranch_execz .LBB871_861
; %bb.856:
	v_mul_u64_e32 v[6:7], s[12:13], v[10:11]
	v_mul_u64_e32 v[8:9], s[12:13], v[16:17]
	s_mov_b32 s27, 0
	s_mov_b64 s[8:9], s[12:13]
                                        ; implicit-def: $sgpr28
                                        ; implicit-def: $sgpr29
                                        ; implicit-def: $sgpr30
                                        ; implicit-def: $sgpr31
	s_delay_alu instid0(VALU_DEP_2) | instskip(NEXT) | instid1(VALU_DEP_2)
	v_lshl_add_u64 v[6:7], v[6:7], 2, s[14:15]
	v_lshl_add_u64 v[8:9], v[8:9], 2, s[14:15]
	s_branch .LBB871_858
.LBB871_857:                            ;   in Loop: Header=BB871_858 Depth=1
	s_or_b32 exec_lo, exec_lo, s7
	s_delay_alu instid0(SALU_CYCLE_1) | instskip(NEXT) | instid1(SALU_CYCLE_1)
	s_and_b32 s7, exec_lo, s29
	s_or_b32 s27, s7, s27
	s_and_not1_b32 s7, s31, exec_lo
	s_and_b32 s31, s33, exec_lo
	s_and_not1_b32 s28, s28, exec_lo
	s_and_b32 s33, s30, exec_lo
	s_or_b32 s31, s7, s31
	s_or_b32 s28, s28, s33
	s_and_not1_b32 exec_lo, exec_lo, s27
	s_cbranch_execz .LBB871_860
.LBB871_858:                            ; =>This Inner Loop Header: Depth=1
	global_load_b32 v22, v[6:7], off
	global_load_b32 v23, v[8:9], off
	s_and_not1_b32 s30, s30, exec_lo
	s_or_b32 s29, s29, exec_lo
	s_wait_loadcnt 0x0
	v_cmp_ngt_f32_e32 vcc_lo, v22, v23
	v_cmp_lt_f32_e64 s7, v22, v23
	s_and_b32 s33, vcc_lo, s31
	s_xor_b32 s35, s7, vcc_lo
	s_or_b32 s33, s7, s33
	s_delay_alu instid0(SALU_CYCLE_1) | instskip(NEXT) | instid1(SALU_CYCLE_1)
	s_and_b32 s34, s33, exec_lo
	s_or_b32 s30, s30, s34
	s_and_saveexec_b32 s7, s35
	s_cbranch_execz .LBB871_857
; %bb.859:                              ;   in Loop: Header=BB871_858 Depth=1
	s_add_nc_u64 s[8:9], s[8:9], -1
	v_add_nc_u64_e32 v[6:7], 4, v[6:7]
	s_cmp_eq_u64 s[8:9], 0
	v_add_nc_u64_e32 v[8:9], 4, v[8:9]
	s_cselect_b32 s31, -1, 0
	s_and_not1_b32 s29, s29, exec_lo
	s_and_b32 s31, s31, exec_lo
	s_and_not1_b32 s30, s30, exec_lo
	s_or_b32 s29, s29, s31
                                        ; implicit-def: $sgpr31
	s_branch .LBB871_857
.LBB871_860:
	s_or_b32 exec_lo, exec_lo, s27
	s_xor_b32 s7, s28, -1
	s_and_not1_b32 s8, s24, exec_lo
	s_and_b32 s7, s7, exec_lo
	s_delay_alu instid0(SALU_CYCLE_1)
	s_or_b32 s24, s8, s7
.LBB871_861:
	s_or_b32 exec_lo, exec_lo, s26
	s_delay_alu instid0(SALU_CYCLE_1)
	s_or_not1_b32 s24, s24, exec_lo
.LBB871_862:
	s_or_b32 exec_lo, exec_lo, s25
	v_cndmask_b32_e64 v6, v12, v13, s24
	v_cndmask_b32_e64 v7, v48, v47, s24
	s_mov_b32 s26, -1
	s_mov_b32 s25, -1
	s_mov_b32 s27, exec_lo
	v_add_nc_u32_e32 v8, 1, v6
	s_delay_alu instid0(VALU_DEP_1) | instskip(SKIP_1) | instid1(VALU_DEP_2)
	v_add_min_u32_e64 v6, v7, -1, v8
	v_cndmask_b32_e64 v25, v13, v8, s24
	v_lshl_add_u32 v6, v6, 3, v43
	ds_load_b64 v[6:7], v6
	s_wait_dscnt 0x0
	v_dual_cndmask_b32 v24, v8, v12, s24 :: v_dual_cndmask_b32 v13, v7, v11, s24
	v_dual_cndmask_b32 v12, v6, v10, s24 :: v_dual_cndmask_b32 v23, v17, v7, s24
	v_cndmask_b32_e64 v22, v16, v6, s24
	s_delay_alu instid0(VALU_DEP_3)
	v_cmpx_lt_u32_e64 v24, v48
	s_cbranch_execz .LBB871_870
; %bb.863:
	v_cmp_lt_u32_e64 s25, v25, v47
	s_and_b32 s7, s25, s22
	s_delay_alu instid0(SALU_CYCLE_1)
	s_and_saveexec_b32 s28, s7
	s_cbranch_execz .LBB871_869
; %bb.864:
	v_mul_u64_e32 v[6:7], s[12:13], v[12:13]
	v_mul_u64_e32 v[8:9], s[12:13], v[22:23]
	s_mov_b32 s29, 0
	s_mov_b64 s[8:9], s[12:13]
                                        ; implicit-def: $sgpr30
                                        ; implicit-def: $sgpr31
                                        ; implicit-def: $sgpr33
                                        ; implicit-def: $sgpr34
	s_delay_alu instid0(VALU_DEP_2) | instskip(NEXT) | instid1(VALU_DEP_2)
	v_lshl_add_u64 v[6:7], v[6:7], 2, s[14:15]
	v_lshl_add_u64 v[8:9], v[8:9], 2, s[14:15]
	s_branch .LBB871_866
.LBB871_865:                            ;   in Loop: Header=BB871_866 Depth=1
	s_or_b32 exec_lo, exec_lo, s7
	s_delay_alu instid0(SALU_CYCLE_1) | instskip(NEXT) | instid1(SALU_CYCLE_1)
	s_and_b32 s7, exec_lo, s31
	s_or_b32 s29, s7, s29
	s_and_not1_b32 s7, s34, exec_lo
	s_and_b32 s34, s35, exec_lo
	s_and_not1_b32 s30, s30, exec_lo
	s_and_b32 s35, s33, exec_lo
	s_or_b32 s34, s7, s34
	s_or_b32 s30, s30, s35
	s_and_not1_b32 exec_lo, exec_lo, s29
	s_cbranch_execz .LBB871_868
.LBB871_866:                            ; =>This Inner Loop Header: Depth=1
	global_load_b32 v26, v[6:7], off
	global_load_b32 v27, v[8:9], off
	s_and_not1_b32 s33, s33, exec_lo
	s_or_b32 s31, s31, exec_lo
	s_wait_loadcnt 0x0
	v_cmp_ngt_f32_e32 vcc_lo, v26, v27
	v_cmp_lt_f32_e64 s7, v26, v27
	s_and_b32 s35, vcc_lo, s34
	s_xor_b32 s37, s7, vcc_lo
	s_or_b32 s35, s7, s35
	s_delay_alu instid0(SALU_CYCLE_1) | instskip(NEXT) | instid1(SALU_CYCLE_1)
	s_and_b32 s36, s35, exec_lo
	s_or_b32 s33, s33, s36
	s_and_saveexec_b32 s7, s37
	s_cbranch_execz .LBB871_865
; %bb.867:                              ;   in Loop: Header=BB871_866 Depth=1
	s_add_nc_u64 s[8:9], s[8:9], -1
	v_add_nc_u64_e32 v[6:7], 4, v[6:7]
	s_cmp_eq_u64 s[8:9], 0
	v_add_nc_u64_e32 v[8:9], 4, v[8:9]
	s_cselect_b32 s34, -1, 0
	s_and_not1_b32 s31, s31, exec_lo
	s_and_b32 s34, s34, exec_lo
	s_and_not1_b32 s33, s33, exec_lo
	s_or_b32 s31, s31, s34
                                        ; implicit-def: $sgpr34
	s_branch .LBB871_865
.LBB871_868:
	s_or_b32 exec_lo, exec_lo, s29
	s_xor_b32 s7, s30, -1
	s_and_not1_b32 s8, s25, exec_lo
	s_and_b32 s7, s7, exec_lo
	s_delay_alu instid0(SALU_CYCLE_1)
	s_or_b32 s25, s8, s7
.LBB871_869:
	s_or_b32 exec_lo, exec_lo, s28
	s_delay_alu instid0(SALU_CYCLE_1)
	s_or_not1_b32 s25, s25, exec_lo
.LBB871_870:
	s_or_b32 exec_lo, exec_lo, s27
	v_cndmask_b32_e64 v6, v24, v25, s25
	v_cndmask_b32_e64 v7, v48, v47, s25
	s_mov_b32 s27, exec_lo
	s_delay_alu instid0(VALU_DEP_2) | instskip(NEXT) | instid1(VALU_DEP_1)
	v_add_nc_u32_e32 v6, 1, v6
	v_add_min_u32_e64 v7, v7, -1, v6
	v_dual_cndmask_b32 v28, v6, v24, s25 :: v_dual_cndmask_b32 v29, v25, v6, s25
	s_delay_alu instid0(VALU_DEP_2)
	v_lshl_add_u32 v7, v7, 3, v43
	ds_load_b64 v[8:9], v7
	s_wait_dscnt 0x0
	v_dual_cndmask_b32 v7, v9, v13, s25 :: v_dual_cndmask_b32 v6, v8, v12, s25
	v_dual_cndmask_b32 v25, v23, v9, s25 :: v_dual_cndmask_b32 v24, v22, v8, s25
	v_cmpx_lt_u32_e64 v28, v48
	s_cbranch_execz .LBB871_878
; %bb.871:
	v_cmp_lt_u32_e64 s26, v29, v47
	s_and_b32 s7, s26, s22
	s_delay_alu instid0(SALU_CYCLE_1)
	s_and_saveexec_b32 s28, s7
	s_cbranch_execz .LBB871_877
; %bb.872:
	v_mul_u64_e32 v[8:9], s[12:13], v[6:7]
	v_mul_u64_e32 v[26:27], s[12:13], v[24:25]
	s_mov_b32 s29, 0
	s_mov_b64 s[8:9], s[12:13]
                                        ; implicit-def: $sgpr30
                                        ; implicit-def: $sgpr31
                                        ; implicit-def: $sgpr33
                                        ; implicit-def: $sgpr34
	s_delay_alu instid0(VALU_DEP_2) | instskip(NEXT) | instid1(VALU_DEP_2)
	v_lshl_add_u64 v[8:9], v[8:9], 2, s[14:15]
	v_lshl_add_u64 v[26:27], v[26:27], 2, s[14:15]
	s_branch .LBB871_874
.LBB871_873:                            ;   in Loop: Header=BB871_874 Depth=1
	s_or_b32 exec_lo, exec_lo, s7
	s_delay_alu instid0(SALU_CYCLE_1) | instskip(NEXT) | instid1(SALU_CYCLE_1)
	s_and_b32 s7, exec_lo, s31
	s_or_b32 s29, s7, s29
	s_and_not1_b32 s7, s34, exec_lo
	s_and_b32 s34, s35, exec_lo
	s_and_not1_b32 s30, s30, exec_lo
	s_and_b32 s35, s33, exec_lo
	s_or_b32 s34, s7, s34
	s_or_b32 s30, s30, s35
	s_and_not1_b32 exec_lo, exec_lo, s29
	s_cbranch_execz .LBB871_876
.LBB871_874:                            ; =>This Inner Loop Header: Depth=1
	global_load_b32 v30, v[8:9], off
	global_load_b32 v31, v[26:27], off
	s_and_not1_b32 s33, s33, exec_lo
	s_or_b32 s31, s31, exec_lo
	s_wait_loadcnt 0x0
	v_cmp_ngt_f32_e32 vcc_lo, v30, v31
	v_cmp_lt_f32_e64 s7, v30, v31
	s_and_b32 s35, vcc_lo, s34
	s_xor_b32 s37, s7, vcc_lo
	s_or_b32 s35, s7, s35
	s_delay_alu instid0(SALU_CYCLE_1) | instskip(NEXT) | instid1(SALU_CYCLE_1)
	s_and_b32 s36, s35, exec_lo
	s_or_b32 s33, s33, s36
	s_and_saveexec_b32 s7, s37
	s_cbranch_execz .LBB871_873
; %bb.875:                              ;   in Loop: Header=BB871_874 Depth=1
	s_add_nc_u64 s[8:9], s[8:9], -1
	v_add_nc_u64_e32 v[8:9], 4, v[8:9]
	s_cmp_eq_u64 s[8:9], 0
	v_add_nc_u64_e32 v[26:27], 4, v[26:27]
	s_cselect_b32 s34, -1, 0
	s_and_not1_b32 s31, s31, exec_lo
	s_and_b32 s34, s34, exec_lo
	s_and_not1_b32 s33, s33, exec_lo
	s_or_b32 s31, s31, s34
                                        ; implicit-def: $sgpr34
	s_branch .LBB871_873
.LBB871_876:
	s_or_b32 exec_lo, exec_lo, s29
	s_xor_b32 s7, s30, -1
	s_and_not1_b32 s8, s26, exec_lo
	s_and_b32 s7, s7, exec_lo
	s_delay_alu instid0(SALU_CYCLE_1)
	s_or_b32 s26, s8, s7
.LBB871_877:
	s_or_b32 exec_lo, exec_lo, s28
	s_delay_alu instid0(SALU_CYCLE_1)
	s_or_not1_b32 s26, s26, exec_lo
.LBB871_878:
	s_or_b32 exec_lo, exec_lo, s27
	v_cndmask_b32_e64 v8, v28, v29, s26
	v_cndmask_b32_e64 v9, v48, v47, s26
	s_mov_b32 s27, -1
	s_mov_b32 s28, -1
	s_mov_b32 s29, exec_lo
	v_add_nc_u32_e32 v8, 1, v8
	s_delay_alu instid0(VALU_DEP_1) | instskip(NEXT) | instid1(VALU_DEP_1)
	v_add_min_u32_e64 v9, v9, -1, v8
	v_lshl_add_u32 v9, v9, 3, v43
	ds_load_b64 v[26:27], v9
	v_cndmask_b32_e64 v32, v8, v28, s26
	s_wait_dscnt 0x0
	v_dual_cndmask_b32 v33, v29, v8, s26 :: v_dual_cndmask_b32 v9, v27, v7, s26
	v_dual_cndmask_b32 v8, v26, v6, s26 :: v_dual_cndmask_b32 v27, v25, v27, s26
	v_cndmask_b32_e64 v26, v24, v26, s26
	v_cmpx_lt_u32_e64 v32, v48
	s_cbranch_execz .LBB871_886
; %bb.879:
	v_cmp_lt_u32_e64 s28, v33, v47
	s_and_b32 s7, s28, s22
	s_delay_alu instid0(SALU_CYCLE_1)
	s_and_saveexec_b32 s30, s7
	s_cbranch_execz .LBB871_885
; %bb.880:
	v_mul_u64_e32 v[28:29], s[12:13], v[8:9]
	v_mul_u64_e32 v[30:31], s[12:13], v[26:27]
	s_mov_b32 s31, 0
	s_mov_b64 s[8:9], s[12:13]
                                        ; implicit-def: $sgpr33
                                        ; implicit-def: $sgpr34
                                        ; implicit-def: $sgpr35
                                        ; implicit-def: $sgpr36
	s_delay_alu instid0(VALU_DEP_2) | instskip(NEXT) | instid1(VALU_DEP_2)
	v_lshl_add_u64 v[28:29], v[28:29], 2, s[14:15]
	v_lshl_add_u64 v[30:31], v[30:31], 2, s[14:15]
	s_branch .LBB871_882
.LBB871_881:                            ;   in Loop: Header=BB871_882 Depth=1
	s_or_b32 exec_lo, exec_lo, s7
	s_delay_alu instid0(SALU_CYCLE_1) | instskip(NEXT) | instid1(SALU_CYCLE_1)
	s_and_b32 s7, exec_lo, s34
	s_or_b32 s31, s7, s31
	s_and_not1_b32 s7, s36, exec_lo
	s_and_b32 s36, s37, exec_lo
	s_and_not1_b32 s33, s33, exec_lo
	s_and_b32 s37, s35, exec_lo
	s_or_b32 s36, s7, s36
	s_or_b32 s33, s33, s37
	s_and_not1_b32 exec_lo, exec_lo, s31
	s_cbranch_execz .LBB871_884
.LBB871_882:                            ; =>This Inner Loop Header: Depth=1
	global_load_b32 v34, v[28:29], off
	global_load_b32 v35, v[30:31], off
	s_and_not1_b32 s35, s35, exec_lo
	s_or_b32 s34, s34, exec_lo
	s_wait_loadcnt 0x0
	v_cmp_ngt_f32_e32 vcc_lo, v34, v35
	v_cmp_lt_f32_e64 s7, v34, v35
	s_and_b32 s37, vcc_lo, s36
	s_xor_b32 s39, s7, vcc_lo
	s_or_b32 s37, s7, s37
	s_delay_alu instid0(SALU_CYCLE_1) | instskip(NEXT) | instid1(SALU_CYCLE_1)
	s_and_b32 s38, s37, exec_lo
	s_or_b32 s35, s35, s38
	s_and_saveexec_b32 s7, s39
	s_cbranch_execz .LBB871_881
; %bb.883:                              ;   in Loop: Header=BB871_882 Depth=1
	s_add_nc_u64 s[8:9], s[8:9], -1
	v_add_nc_u64_e32 v[28:29], 4, v[28:29]
	s_cmp_eq_u64 s[8:9], 0
	v_add_nc_u64_e32 v[30:31], 4, v[30:31]
	s_cselect_b32 s36, -1, 0
	s_and_not1_b32 s34, s34, exec_lo
	s_and_b32 s36, s36, exec_lo
	s_and_not1_b32 s35, s35, exec_lo
	s_or_b32 s34, s34, s36
                                        ; implicit-def: $sgpr36
	s_branch .LBB871_881
.LBB871_884:
	s_or_b32 exec_lo, exec_lo, s31
	s_xor_b32 s7, s33, -1
	s_and_not1_b32 s8, s28, exec_lo
	s_and_b32 s7, s7, exec_lo
	s_delay_alu instid0(SALU_CYCLE_1)
	s_or_b32 s28, s8, s7
.LBB871_885:
	s_or_b32 exec_lo, exec_lo, s30
	s_delay_alu instid0(SALU_CYCLE_1)
	s_or_not1_b32 s28, s28, exec_lo
.LBB871_886:
	s_or_b32 exec_lo, exec_lo, s29
	v_cndmask_b32_e64 v28, v32, v33, s28
	v_cndmask_b32_e64 v29, v48, v47, s28
	s_mov_b32 s29, exec_lo
	s_delay_alu instid0(VALU_DEP_2) | instskip(NEXT) | instid1(VALU_DEP_1)
	v_add_nc_u32_e32 v28, 1, v28
	v_add_min_u32_e64 v29, v29, -1, v28
	s_delay_alu instid0(VALU_DEP_1)
	v_lshl_add_u32 v29, v29, 3, v43
	ds_load_b64 v[30:31], v29
	v_cndmask_b32_e64 v50, v28, v32, s28
	s_wait_dscnt 0x0
	v_dual_cndmask_b32 v49, v33, v28, s28 :: v_dual_cndmask_b32 v29, v31, v9, s28
	v_dual_cndmask_b32 v28, v30, v8, s28 :: v_dual_cndmask_b32 v31, v27, v31, s28
	v_cndmask_b32_e64 v30, v26, v30, s28
	v_cmpx_lt_u32_e64 v50, v48
	s_cbranch_execz .LBB871_894
; %bb.887:
	v_cmp_lt_u32_e64 s27, v49, v47
	s_and_b32 s7, s27, s22
	s_delay_alu instid0(SALU_CYCLE_1)
	s_and_saveexec_b32 s30, s7
	s_cbranch_execz .LBB871_893
; %bb.888:
	v_mul_u64_e32 v[32:33], s[12:13], v[28:29]
	v_mul_u64_e32 v[34:35], s[12:13], v[30:31]
	s_mov_b32 s31, 0
	s_mov_b64 s[8:9], s[12:13]
                                        ; implicit-def: $sgpr33
                                        ; implicit-def: $sgpr34
                                        ; implicit-def: $sgpr35
                                        ; implicit-def: $sgpr36
	s_delay_alu instid0(VALU_DEP_2) | instskip(NEXT) | instid1(VALU_DEP_2)
	v_lshl_add_u64 v[32:33], v[32:33], 2, s[14:15]
	v_lshl_add_u64 v[34:35], v[34:35], 2, s[14:15]
	s_branch .LBB871_890
.LBB871_889:                            ;   in Loop: Header=BB871_890 Depth=1
	s_or_b32 exec_lo, exec_lo, s7
	s_delay_alu instid0(SALU_CYCLE_1) | instskip(NEXT) | instid1(SALU_CYCLE_1)
	s_and_b32 s7, exec_lo, s34
	s_or_b32 s31, s7, s31
	s_and_not1_b32 s7, s36, exec_lo
	s_and_b32 s36, s37, exec_lo
	s_and_not1_b32 s33, s33, exec_lo
	s_and_b32 s37, s35, exec_lo
	s_or_b32 s36, s7, s36
	s_or_b32 s33, s33, s37
	s_and_not1_b32 exec_lo, exec_lo, s31
	s_cbranch_execz .LBB871_892
.LBB871_890:                            ; =>This Inner Loop Header: Depth=1
	global_load_b32 v51, v[32:33], off
	global_load_b32 v52, v[34:35], off
	s_and_not1_b32 s35, s35, exec_lo
	s_or_b32 s34, s34, exec_lo
	s_wait_loadcnt 0x0
	v_cmp_ngt_f32_e32 vcc_lo, v51, v52
	v_cmp_lt_f32_e64 s7, v51, v52
	s_and_b32 s37, vcc_lo, s36
	s_xor_b32 s39, s7, vcc_lo
	s_or_b32 s37, s7, s37
	s_delay_alu instid0(SALU_CYCLE_1) | instskip(NEXT) | instid1(SALU_CYCLE_1)
	s_and_b32 s38, s37, exec_lo
	s_or_b32 s35, s35, s38
	s_and_saveexec_b32 s7, s39
	s_cbranch_execz .LBB871_889
; %bb.891:                              ;   in Loop: Header=BB871_890 Depth=1
	s_add_nc_u64 s[8:9], s[8:9], -1
	v_add_nc_u64_e32 v[32:33], 4, v[32:33]
	s_cmp_eq_u64 s[8:9], 0
	v_add_nc_u64_e32 v[34:35], 4, v[34:35]
	s_cselect_b32 s36, -1, 0
	s_and_not1_b32 s34, s34, exec_lo
	s_and_b32 s36, s36, exec_lo
	s_and_not1_b32 s35, s35, exec_lo
	s_or_b32 s34, s34, s36
                                        ; implicit-def: $sgpr36
	s_branch .LBB871_889
.LBB871_892:
	s_or_b32 exec_lo, exec_lo, s31
	s_xor_b32 s7, s33, -1
	s_and_not1_b32 s8, s27, exec_lo
	s_and_b32 s7, s7, exec_lo
	s_delay_alu instid0(SALU_CYCLE_1)
	s_or_b32 s27, s8, s7
.LBB871_893:
	s_or_b32 exec_lo, exec_lo, s30
	s_delay_alu instid0(SALU_CYCLE_1)
	s_or_not1_b32 s27, s27, exec_lo
.LBB871_894:
	s_or_b32 exec_lo, exec_lo, s29
	v_dual_cndmask_b32 v32, v50, v49, s27 :: v_dual_cndmask_b32 v33, v48, v47, s27
	v_dual_cndmask_b32 v8, v8, v26, s28 :: v_dual_cndmask_b32 v7, v7, v25, s26
	;; [unrolled: 1-line block ×3, first 2 shown]
	s_delay_alu instid0(VALU_DEP_3) | instskip(SKIP_2) | instid1(VALU_DEP_3)
	v_dual_add_nc_u32 v34, 1, v32 :: v_dual_cndmask_b32 v9, v9, v27, s28
	v_dual_cndmask_b32 v12, v12, v22, s25 :: v_dual_cndmask_b32 v11, v11, v17, s24
	v_dual_cndmask_b32 v10, v10, v16, s24 :: v_dual_cndmask_b32 v17, v5, v15, s23
	v_add_min_u32_e64 v32, v33, -1, v34
	v_dual_cndmask_b32 v16, v4, v14, s23 :: v_dual_cndmask_b32 v15, v3, v1, s17
	v_dual_cndmask_b32 v14, v2, v0, s17 :: v_dual_cndmask_b32 v3, v29, v31, s27
	s_delay_alu instid0(VALU_DEP_3)
	v_lshl_add_u32 v32, v32, 3, v43
	s_mov_b32 s17, exec_lo
	ds_load_b64 v[32:33], v32
	v_cndmask_b32_e64 v0, v34, v50, s27
	s_wait_dscnt 0x0
	v_dual_cndmask_b32 v2, v28, v30, s27 :: v_dual_cndmask_b32 v4, v30, v32, s27
	v_cndmask_b32_e64 v5, v31, v33, s27
	s_delay_alu instid0(VALU_DEP_3)
	v_cmpx_lt_u32_e64 v0, v48
	s_cbranch_execz .LBB871_902
; %bb.895:
	v_dual_cndmask_b32 v22, v49, v34, s27 :: v_dual_cndmask_b32 v0, v32, v28, s27
	s_delay_alu instid0(VALU_DEP_1) | instskip(NEXT) | instid1(VALU_DEP_2)
	v_cmp_ge_u32_e32 vcc_lo, v22, v47
	v_dual_cndmask_b32 v1, v33, v29, s27 :: v_dual_cndmask_b32 v22, v4, v0, vcc_lo
	s_delay_alu instid0(VALU_DEP_1) | instskip(SKIP_1) | instid1(SALU_CYCLE_1)
	v_cndmask_b32_e32 v23, v5, v1, vcc_lo
	s_nor_b32 s7, vcc_lo, s19
	s_and_saveexec_b32 s23, s7
	s_cbranch_execz .LBB871_901
; %bb.896:
	v_mul_u64_e32 v[22:23], s[12:13], v[0:1]
	v_mul_u64_e32 v[24:25], s[12:13], v[4:5]
	s_mov_b32 s24, 0
	s_mov_b64 s[8:9], s[12:13]
                                        ; implicit-def: $sgpr25
                                        ; implicit-def: $sgpr26
                                        ; implicit-def: $sgpr27
                                        ; implicit-def: $sgpr28
	s_delay_alu instid0(VALU_DEP_2) | instskip(NEXT) | instid1(VALU_DEP_2)
	v_lshl_add_u64 v[22:23], v[22:23], 2, s[14:15]
	v_lshl_add_u64 v[24:25], v[24:25], 2, s[14:15]
	s_branch .LBB871_898
.LBB871_897:                            ;   in Loop: Header=BB871_898 Depth=1
	s_or_b32 exec_lo, exec_lo, s7
	s_delay_alu instid0(SALU_CYCLE_1) | instskip(NEXT) | instid1(SALU_CYCLE_1)
	s_and_b32 s7, exec_lo, s26
	s_or_b32 s24, s7, s24
	s_and_not1_b32 s7, s28, exec_lo
	s_and_b32 s28, s29, exec_lo
	s_and_not1_b32 s25, s25, exec_lo
	s_and_b32 s29, s27, exec_lo
	s_or_b32 s28, s7, s28
	s_or_b32 s25, s25, s29
	s_and_not1_b32 exec_lo, exec_lo, s24
	s_cbranch_execz .LBB871_900
.LBB871_898:                            ; =>This Inner Loop Header: Depth=1
	global_load_b32 v26, v[22:23], off
	global_load_b32 v27, v[24:25], off
	s_and_not1_b32 s27, s27, exec_lo
	s_or_b32 s26, s26, exec_lo
	s_wait_loadcnt 0x0
	v_cmp_ngt_f32_e32 vcc_lo, v26, v27
	v_cmp_lt_f32_e64 s7, v26, v27
	s_and_b32 s29, vcc_lo, s28
	s_xor_b32 s31, s7, vcc_lo
	s_or_b32 s29, s7, s29
	s_delay_alu instid0(SALU_CYCLE_1) | instskip(NEXT) | instid1(SALU_CYCLE_1)
	s_and_b32 s30, s29, exec_lo
	s_or_b32 s27, s27, s30
	s_and_saveexec_b32 s7, s31
	s_cbranch_execz .LBB871_897
; %bb.899:                              ;   in Loop: Header=BB871_898 Depth=1
	s_add_nc_u64 s[8:9], s[8:9], -1
	v_add_nc_u64_e32 v[22:23], 4, v[22:23]
	s_cmp_eq_u64 s[8:9], 0
	v_add_nc_u64_e32 v[24:25], 4, v[24:25]
	s_cselect_b32 s28, -1, 0
	s_and_not1_b32 s26, s26, exec_lo
	s_and_b32 s28, s28, exec_lo
	s_and_not1_b32 s27, s27, exec_lo
	s_or_b32 s26, s26, s28
                                        ; implicit-def: $sgpr28
	s_branch .LBB871_897
.LBB871_900:
	s_or_b32 exec_lo, exec_lo, s24
	v_dual_cndmask_b32 v23, v5, v1, s25 :: v_dual_cndmask_b32 v22, v4, v0, s25
.LBB871_901:
	s_or_b32 exec_lo, exec_lo, s23
	s_delay_alu instid0(VALU_DEP_1)
	v_mov_b64_e32 v[4:5], v[22:23]
.LBB871_902:
	s_or_b32 exec_lo, exec_lo, s17
.LBB871_903:
	s_delay_alu instid0(SALU_CYCLE_1)
	s_or_b32 exec_lo, exec_lo, s16
	v_and_b32_e32 v26, 0xe0, v45
	s_mov_b32 s23, exec_lo
	; wave barrier
	ds_store_b128 v46, v[14:17]
	ds_store_b128 v46, v[10:13] offset:16
	v_or_b32_e32 v0, 16, v26
	v_lshl_add_u32 v25, v26, 3, v43
	ds_store_b128 v46, v[6:9] offset:32
	ds_store_b128 v46, v[2:5] offset:48
	; wave barrier
	v_min_u32_e32 v47, v44, v0
	v_and_b32_e32 v0, 24, v45
	s_delay_alu instid0(VALU_DEP_2) | instskip(NEXT) | instid1(VALU_DEP_2)
	v_add_min_u32_e64 v48, v47, 16, v44
	v_min_u32_e32 v27, v44, v0
	s_delay_alu instid0(VALU_DEP_2) | instskip(NEXT) | instid1(VALU_DEP_1)
	v_dual_sub_nc_u32 v1, v47, v26 :: v_dual_sub_nc_u32 v0, v48, v47
	v_min_u32_e32 v28, v27, v1
	s_delay_alu instid0(VALU_DEP_2) | instskip(NEXT) | instid1(VALU_DEP_1)
	v_sub_nc_u32_e64 v24, v27, v0 clamp
	v_cmpx_lt_u32_e64 v24, v28
	s_cbranch_execz .LBB871_913
; %bb.904:
	v_lshlrev_b32_e32 v0, 3, v47
	v_lshlrev_b32_e32 v1, 3, v27
	s_lshl_b64 s[8:9], s[12:13], 2
	s_mov_b32 s24, 0
	s_delay_alu instid0(VALU_DEP_1)
	v_add3_u32 v29, v43, v0, v1
	s_branch .LBB871_907
.LBB871_905:                            ;   in Loop: Header=BB871_907 Depth=1
	s_or_b32 exec_lo, exec_lo, s26
.LBB871_906:                            ;   in Loop: Header=BB871_907 Depth=1
	s_delay_alu instid0(VALU_DEP_1) | instskip(NEXT) | instid1(VALU_DEP_1)
	v_dual_add_nc_u32 v0, 1, v30 :: v_dual_cndmask_b32 v28, v28, v30, s25
	v_cndmask_b32_e64 v24, v0, v24, s25
	s_delay_alu instid0(VALU_DEP_1) | instskip(SKIP_1) | instid1(SALU_CYCLE_1)
	v_cmp_ge_u32_e32 vcc_lo, v24, v28
	s_or_b32 s24, vcc_lo, s24
	s_and_not1_b32 exec_lo, exec_lo, s24
	s_cbranch_execz .LBB871_912
.LBB871_907:                            ; =>This Loop Header: Depth=1
                                        ;     Child Loop BB871_910 Depth 2
	v_add_nc_u32_e32 v0, v28, v24
	s_and_not1_b32 vcc_lo, exec_lo, s18
	s_mov_b32 s25, 0
	s_delay_alu instid0(VALU_DEP_1)
	v_lshrrev_b32_e32 v30, 1, v0
	s_cbranch_vccnz .LBB871_906
; %bb.908:                              ;   in Loop: Header=BB871_907 Depth=1
	s_delay_alu instid0(VALU_DEP_1) | instskip(SKIP_3) | instid1(VALU_DEP_2)
	v_not_b32_e32 v0, v30
	v_lshl_add_u32 v1, v30, 3, v25
	s_mov_b32 s26, 0
	s_mov_b64 s[16:17], s[12:13]
                                        ; implicit-def: $sgpr25
                                        ; implicit-def: $sgpr27
                                        ; implicit-def: $sgpr28
                                        ; implicit-def: $sgpr29
	v_lshl_add_u32 v0, v0, 3, v29
	ds_load_b64 v[32:33], v0
	ds_load_b64 v[34:35], v1
	s_wait_dscnt 0x1
	v_mad_nc_u64_u32 v[0:1], s8, v32, s[14:15]
	s_wait_dscnt 0x0
	v_mad_nc_u64_u32 v[22:23], s8, v34, s[14:15]
	s_delay_alu instid0(VALU_DEP_2) | instskip(NEXT) | instid1(VALU_DEP_2)
	v_mad_u32 v1, s9, v32, v1
	v_mad_u32 v23, s9, v34, v23
	s_delay_alu instid0(VALU_DEP_2) | instskip(NEXT) | instid1(VALU_DEP_2)
	v_mad_u32 v1, s8, v33, v1
	v_mad_u32 v23, s8, v35, v23
	s_branch .LBB871_910
.LBB871_909:                            ;   in Loop: Header=BB871_910 Depth=2
	s_or_b32 exec_lo, exec_lo, s7
	s_delay_alu instid0(SALU_CYCLE_1) | instskip(NEXT) | instid1(SALU_CYCLE_1)
	s_and_b32 s7, exec_lo, s27
	s_or_b32 s26, s7, s26
	s_and_not1_b32 s7, s29, exec_lo
	s_and_b32 s29, s30, exec_lo
	s_and_not1_b32 s25, s25, exec_lo
	s_and_b32 s30, s28, exec_lo
	s_or_b32 s29, s7, s29
	s_or_b32 s25, s25, s30
	s_and_not1_b32 exec_lo, exec_lo, s26
	s_cbranch_execz .LBB871_905
.LBB871_910:                            ;   Parent Loop BB871_907 Depth=1
                                        ; =>  This Inner Loop Header: Depth=2
	global_load_b32 v31, v[0:1], off
	global_load_b32 v32, v[22:23], off
	s_and_not1_b32 s28, s28, exec_lo
	s_or_b32 s27, s27, exec_lo
	s_wait_loadcnt 0x0
	v_cmp_ngt_f32_e32 vcc_lo, v31, v32
	v_cmp_lt_f32_e64 s7, v31, v32
	s_and_b32 s30, vcc_lo, s29
	s_xor_b32 s33, s7, vcc_lo
	s_or_b32 s30, s7, s30
	s_delay_alu instid0(SALU_CYCLE_1) | instskip(NEXT) | instid1(SALU_CYCLE_1)
	s_and_b32 s31, s30, exec_lo
	s_or_b32 s28, s28, s31
	s_and_saveexec_b32 s7, s33
	s_cbranch_execz .LBB871_909
; %bb.911:                              ;   in Loop: Header=BB871_910 Depth=2
	s_add_nc_u64 s[16:17], s[16:17], -1
	v_add_nc_u64_e32 v[0:1], 4, v[0:1]
	s_cmp_eq_u64 s[16:17], 0
	v_add_nc_u64_e32 v[22:23], 4, v[22:23]
	s_cselect_b32 s29, -1, 0
	s_and_not1_b32 s27, s27, exec_lo
	s_and_b32 s29, s29, exec_lo
	s_and_not1_b32 s28, s28, exec_lo
	s_or_b32 s27, s27, s29
                                        ; implicit-def: $sgpr29
	s_branch .LBB871_909
.LBB871_912:
	s_or_b32 exec_lo, exec_lo, s24
.LBB871_913:
	s_delay_alu instid0(SALU_CYCLE_1) | instskip(SKIP_1) | instid1(VALU_DEP_1)
	s_or_b32 exec_lo, exec_lo, s23
	v_dual_add_nc_u32 v0, v47, v27 :: v_dual_add_nc_u32 v22, v24, v26
	v_sub_nc_u32_e32 v23, v0, v24
	s_delay_alu instid0(VALU_DEP_2) | instskip(NEXT) | instid1(VALU_DEP_2)
	v_cmp_le_u32_e32 vcc_lo, v22, v47
	v_cmp_le_u32_e64 s7, v23, v48
	s_or_b32 s7, vcc_lo, s7
	s_delay_alu instid0(SALU_CYCLE_1)
	s_and_saveexec_b32 s16, s7
	s_cbranch_execz .LBB871_981
; %bb.914:
	s_mov_b32 s8, exec_lo
	v_cmp_ge_u32_e32 vcc_lo, v22, v47
                                        ; implicit-def: $vgpr0_vgpr1
	v_cmpx_lt_u32_e64 v22, v47
; %bb.915:
	v_lshl_add_u32 v0, v24, 3, v25
	ds_load_b64 v[0:1], v0
; %bb.916:
	s_or_b32 exec_lo, exec_lo, s8
	v_cmp_ge_u32_e64 s7, v23, v48
	s_mov_b32 s9, exec_lo
                                        ; implicit-def: $vgpr2_vgpr3
	v_cmpx_lt_u32_e64 v23, v48
; %bb.917:
	v_lshl_add_u32 v2, v23, 3, v43
	ds_load_b64 v[2:3], v2
; %bb.918:
	s_or_b32 exec_lo, exec_lo, s9
	s_or_b32 s8, vcc_lo, s7
	s_xor_b32 s9, vcc_lo, -1
	s_nor_b32 s8, s8, s19
	s_or_b32 s17, s7, s9
	s_and_saveexec_b32 s23, s8
	s_cbranch_execz .LBB871_924
; %bb.919:
	s_wait_dscnt 0x0
	v_mul_u64_e32 v[4:5], s[12:13], v[2:3]
	v_mul_u64_e32 v[6:7], s[12:13], v[0:1]
	s_mov_b32 s24, 0
	s_mov_b64 s[8:9], s[12:13]
                                        ; implicit-def: $sgpr25
                                        ; implicit-def: $sgpr26
                                        ; implicit-def: $sgpr27
                                        ; implicit-def: $sgpr28
	s_delay_alu instid0(VALU_DEP_2) | instskip(NEXT) | instid1(VALU_DEP_2)
	v_lshl_add_u64 v[4:5], v[4:5], 2, s[14:15]
	v_lshl_add_u64 v[6:7], v[6:7], 2, s[14:15]
	s_branch .LBB871_921
.LBB871_920:                            ;   in Loop: Header=BB871_921 Depth=1
	s_or_b32 exec_lo, exec_lo, s7
	s_delay_alu instid0(SALU_CYCLE_1) | instskip(NEXT) | instid1(SALU_CYCLE_1)
	s_and_b32 s7, exec_lo, s26
	s_or_b32 s24, s7, s24
	s_and_not1_b32 s7, s28, exec_lo
	s_and_b32 s28, s29, exec_lo
	s_and_not1_b32 s25, s25, exec_lo
	s_and_b32 s29, s27, exec_lo
	s_or_b32 s28, s7, s28
	s_or_b32 s25, s25, s29
	s_and_not1_b32 exec_lo, exec_lo, s24
	s_cbranch_execz .LBB871_923
.LBB871_921:                            ; =>This Inner Loop Header: Depth=1
	global_load_b32 v8, v[4:5], off
	global_load_b32 v9, v[6:7], off
	s_and_not1_b32 s27, s27, exec_lo
	s_or_b32 s26, s26, exec_lo
	s_wait_loadcnt 0x0
	v_cmp_ngt_f32_e32 vcc_lo, v8, v9
	v_cmp_lt_f32_e64 s7, v8, v9
	s_and_b32 s29, vcc_lo, s28
	s_xor_b32 s31, s7, vcc_lo
	s_or_b32 s29, s7, s29
	s_delay_alu instid0(SALU_CYCLE_1) | instskip(NEXT) | instid1(SALU_CYCLE_1)
	s_and_b32 s30, s29, exec_lo
	s_or_b32 s27, s27, s30
	s_and_saveexec_b32 s7, s31
	s_cbranch_execz .LBB871_920
; %bb.922:                              ;   in Loop: Header=BB871_921 Depth=1
	s_add_nc_u64 s[8:9], s[8:9], -1
	v_add_nc_u64_e32 v[4:5], 4, v[4:5]
	s_cmp_eq_u64 s[8:9], 0
	v_add_nc_u64_e32 v[6:7], 4, v[6:7]
	s_cselect_b32 s28, -1, 0
	s_and_not1_b32 s26, s26, exec_lo
	s_and_b32 s28, s28, exec_lo
	s_and_not1_b32 s27, s27, exec_lo
	s_or_b32 s26, s26, s28
                                        ; implicit-def: $sgpr28
	s_branch .LBB871_920
.LBB871_923:
	s_or_b32 exec_lo, exec_lo, s24
	s_xor_b32 s7, s25, -1
	s_and_not1_b32 s8, s17, exec_lo
	s_and_b32 s7, s7, exec_lo
	s_delay_alu instid0(SALU_CYCLE_1)
	s_or_b32 s17, s8, s7
.LBB871_924:
	s_or_b32 exec_lo, exec_lo, s23
	v_dual_cndmask_b32 v4, v23, v22, s17 :: v_dual_cndmask_b32 v5, v48, v47, s17
	s_mov_b32 s24, -1
	s_mov_b32 s23, -1
	s_mov_b32 s25, exec_lo
	s_delay_alu instid0(VALU_DEP_1) | instskip(NEXT) | instid1(VALU_DEP_1)
	v_add_nc_u32_e32 v4, 1, v4
	v_add_min_u32_e64 v5, v5, -1, v4
	s_delay_alu instid0(VALU_DEP_1)
	v_lshl_add_u32 v5, v5, 3, v43
	ds_load_b64 v[6:7], v5
	s_wait_dscnt 0x0
	v_cndmask_b32_e64 v5, v7, v3, s17
	v_dual_cndmask_b32 v10, v4, v23, s17 :: v_dual_cndmask_b32 v11, v22, v4, s17
	v_dual_cndmask_b32 v4, v6, v2, s17 :: v_dual_cndmask_b32 v15, v1, v7, s17
	v_cndmask_b32_e64 v14, v0, v6, s17
	s_delay_alu instid0(VALU_DEP_3)
	v_cmpx_lt_u32_e64 v10, v48
	s_cbranch_execz .LBB871_932
; %bb.925:
	v_cmp_lt_u32_e64 s23, v11, v47
	s_and_b32 s7, s23, s22
	s_delay_alu instid0(SALU_CYCLE_1)
	s_and_saveexec_b32 s26, s7
	s_cbranch_execz .LBB871_931
; %bb.926:
	v_mul_u64_e32 v[6:7], s[12:13], v[4:5]
	v_mul_u64_e32 v[8:9], s[12:13], v[14:15]
	s_mov_b32 s27, 0
	s_mov_b64 s[8:9], s[12:13]
                                        ; implicit-def: $sgpr28
                                        ; implicit-def: $sgpr29
                                        ; implicit-def: $sgpr30
                                        ; implicit-def: $sgpr31
	s_delay_alu instid0(VALU_DEP_2) | instskip(NEXT) | instid1(VALU_DEP_2)
	v_lshl_add_u64 v[6:7], v[6:7], 2, s[14:15]
	v_lshl_add_u64 v[8:9], v[8:9], 2, s[14:15]
	s_branch .LBB871_928
.LBB871_927:                            ;   in Loop: Header=BB871_928 Depth=1
	s_or_b32 exec_lo, exec_lo, s7
	s_delay_alu instid0(SALU_CYCLE_1) | instskip(NEXT) | instid1(SALU_CYCLE_1)
	s_and_b32 s7, exec_lo, s29
	s_or_b32 s27, s7, s27
	s_and_not1_b32 s7, s31, exec_lo
	s_and_b32 s31, s33, exec_lo
	s_and_not1_b32 s28, s28, exec_lo
	s_and_b32 s33, s30, exec_lo
	s_or_b32 s31, s7, s31
	s_or_b32 s28, s28, s33
	s_and_not1_b32 exec_lo, exec_lo, s27
	s_cbranch_execz .LBB871_930
.LBB871_928:                            ; =>This Inner Loop Header: Depth=1
	global_load_b32 v12, v[6:7], off
	global_load_b32 v13, v[8:9], off
	s_and_not1_b32 s30, s30, exec_lo
	s_or_b32 s29, s29, exec_lo
	s_wait_loadcnt 0x0
	v_cmp_ngt_f32_e32 vcc_lo, v12, v13
	v_cmp_lt_f32_e64 s7, v12, v13
	s_and_b32 s33, vcc_lo, s31
	s_xor_b32 s35, s7, vcc_lo
	s_or_b32 s33, s7, s33
	s_delay_alu instid0(SALU_CYCLE_1) | instskip(NEXT) | instid1(SALU_CYCLE_1)
	s_and_b32 s34, s33, exec_lo
	s_or_b32 s30, s30, s34
	s_and_saveexec_b32 s7, s35
	s_cbranch_execz .LBB871_927
; %bb.929:                              ;   in Loop: Header=BB871_928 Depth=1
	s_add_nc_u64 s[8:9], s[8:9], -1
	v_add_nc_u64_e32 v[6:7], 4, v[6:7]
	s_cmp_eq_u64 s[8:9], 0
	v_add_nc_u64_e32 v[8:9], 4, v[8:9]
	s_cselect_b32 s31, -1, 0
	s_and_not1_b32 s29, s29, exec_lo
	s_and_b32 s31, s31, exec_lo
	s_and_not1_b32 s30, s30, exec_lo
	s_or_b32 s29, s29, s31
                                        ; implicit-def: $sgpr31
	s_branch .LBB871_927
.LBB871_930:
	s_or_b32 exec_lo, exec_lo, s27
	s_xor_b32 s7, s28, -1
	s_and_not1_b32 s8, s23, exec_lo
	s_and_b32 s7, s7, exec_lo
	s_delay_alu instid0(SALU_CYCLE_1)
	s_or_b32 s23, s8, s7
.LBB871_931:
	s_or_b32 exec_lo, exec_lo, s26
	s_delay_alu instid0(SALU_CYCLE_1)
	s_or_not1_b32 s23, s23, exec_lo
.LBB871_932:
	s_or_b32 exec_lo, exec_lo, s25
	v_cndmask_b32_e64 v6, v10, v11, s23
	v_cndmask_b32_e64 v7, v48, v47, s23
	s_mov_b32 s25, exec_lo
	s_delay_alu instid0(VALU_DEP_2) | instskip(NEXT) | instid1(VALU_DEP_1)
	v_add_nc_u32_e32 v8, 1, v6
	v_add_min_u32_e64 v6, v7, -1, v8
	v_cndmask_b32_e64 v12, v8, v10, s23
	s_delay_alu instid0(VALU_DEP_2)
	v_lshl_add_u32 v6, v6, 3, v43
	ds_load_b64 v[6:7], v6
	s_wait_dscnt 0x0
	v_dual_cndmask_b32 v13, v11, v8, s23 :: v_dual_cndmask_b32 v16, v14, v6, s23
	v_dual_cndmask_b32 v11, v7, v5, s23 :: v_dual_cndmask_b32 v10, v6, v4, s23
	v_cndmask_b32_e64 v17, v15, v7, s23
	v_cmpx_lt_u32_e64 v12, v48
	s_cbranch_execz .LBB871_940
; %bb.933:
	v_cmp_lt_u32_e64 s24, v13, v47
	s_and_b32 s7, s24, s22
	s_delay_alu instid0(SALU_CYCLE_1)
	s_and_saveexec_b32 s26, s7
	s_cbranch_execz .LBB871_939
; %bb.934:
	v_mul_u64_e32 v[6:7], s[12:13], v[10:11]
	v_mul_u64_e32 v[8:9], s[12:13], v[16:17]
	s_mov_b32 s27, 0
	s_mov_b64 s[8:9], s[12:13]
                                        ; implicit-def: $sgpr28
                                        ; implicit-def: $sgpr29
                                        ; implicit-def: $sgpr30
                                        ; implicit-def: $sgpr31
	s_delay_alu instid0(VALU_DEP_2) | instskip(NEXT) | instid1(VALU_DEP_2)
	v_lshl_add_u64 v[6:7], v[6:7], 2, s[14:15]
	v_lshl_add_u64 v[8:9], v[8:9], 2, s[14:15]
	s_branch .LBB871_936
.LBB871_935:                            ;   in Loop: Header=BB871_936 Depth=1
	s_or_b32 exec_lo, exec_lo, s7
	s_delay_alu instid0(SALU_CYCLE_1) | instskip(NEXT) | instid1(SALU_CYCLE_1)
	s_and_b32 s7, exec_lo, s29
	s_or_b32 s27, s7, s27
	s_and_not1_b32 s7, s31, exec_lo
	s_and_b32 s31, s33, exec_lo
	s_and_not1_b32 s28, s28, exec_lo
	s_and_b32 s33, s30, exec_lo
	s_or_b32 s31, s7, s31
	s_or_b32 s28, s28, s33
	s_and_not1_b32 exec_lo, exec_lo, s27
	s_cbranch_execz .LBB871_938
.LBB871_936:                            ; =>This Inner Loop Header: Depth=1
	global_load_b32 v22, v[6:7], off
	global_load_b32 v23, v[8:9], off
	s_and_not1_b32 s30, s30, exec_lo
	s_or_b32 s29, s29, exec_lo
	s_wait_loadcnt 0x0
	v_cmp_ngt_f32_e32 vcc_lo, v22, v23
	v_cmp_lt_f32_e64 s7, v22, v23
	s_and_b32 s33, vcc_lo, s31
	s_xor_b32 s35, s7, vcc_lo
	s_or_b32 s33, s7, s33
	s_delay_alu instid0(SALU_CYCLE_1) | instskip(NEXT) | instid1(SALU_CYCLE_1)
	s_and_b32 s34, s33, exec_lo
	s_or_b32 s30, s30, s34
	s_and_saveexec_b32 s7, s35
	s_cbranch_execz .LBB871_935
; %bb.937:                              ;   in Loop: Header=BB871_936 Depth=1
	s_add_nc_u64 s[8:9], s[8:9], -1
	v_add_nc_u64_e32 v[6:7], 4, v[6:7]
	s_cmp_eq_u64 s[8:9], 0
	v_add_nc_u64_e32 v[8:9], 4, v[8:9]
	s_cselect_b32 s31, -1, 0
	s_and_not1_b32 s29, s29, exec_lo
	s_and_b32 s31, s31, exec_lo
	s_and_not1_b32 s30, s30, exec_lo
	s_or_b32 s29, s29, s31
                                        ; implicit-def: $sgpr31
	s_branch .LBB871_935
.LBB871_938:
	s_or_b32 exec_lo, exec_lo, s27
	s_xor_b32 s7, s28, -1
	s_and_not1_b32 s8, s24, exec_lo
	s_and_b32 s7, s7, exec_lo
	s_delay_alu instid0(SALU_CYCLE_1)
	s_or_b32 s24, s8, s7
.LBB871_939:
	s_or_b32 exec_lo, exec_lo, s26
	s_delay_alu instid0(SALU_CYCLE_1)
	s_or_not1_b32 s24, s24, exec_lo
.LBB871_940:
	s_or_b32 exec_lo, exec_lo, s25
	v_cndmask_b32_e64 v6, v12, v13, s24
	v_cndmask_b32_e64 v7, v48, v47, s24
	s_mov_b32 s26, -1
	s_mov_b32 s25, -1
	s_mov_b32 s27, exec_lo
	v_add_nc_u32_e32 v8, 1, v6
	s_delay_alu instid0(VALU_DEP_1) | instskip(SKIP_1) | instid1(VALU_DEP_2)
	v_add_min_u32_e64 v6, v7, -1, v8
	v_cndmask_b32_e64 v25, v13, v8, s24
	v_lshl_add_u32 v6, v6, 3, v43
	ds_load_b64 v[6:7], v6
	s_wait_dscnt 0x0
	v_dual_cndmask_b32 v24, v8, v12, s24 :: v_dual_cndmask_b32 v13, v7, v11, s24
	v_dual_cndmask_b32 v12, v6, v10, s24 :: v_dual_cndmask_b32 v23, v17, v7, s24
	v_cndmask_b32_e64 v22, v16, v6, s24
	s_delay_alu instid0(VALU_DEP_3)
	v_cmpx_lt_u32_e64 v24, v48
	s_cbranch_execz .LBB871_948
; %bb.941:
	v_cmp_lt_u32_e64 s25, v25, v47
	s_and_b32 s7, s25, s22
	s_delay_alu instid0(SALU_CYCLE_1)
	s_and_saveexec_b32 s28, s7
	s_cbranch_execz .LBB871_947
; %bb.942:
	v_mul_u64_e32 v[6:7], s[12:13], v[12:13]
	v_mul_u64_e32 v[8:9], s[12:13], v[22:23]
	s_mov_b32 s29, 0
	s_mov_b64 s[8:9], s[12:13]
                                        ; implicit-def: $sgpr30
                                        ; implicit-def: $sgpr31
                                        ; implicit-def: $sgpr33
                                        ; implicit-def: $sgpr34
	s_delay_alu instid0(VALU_DEP_2) | instskip(NEXT) | instid1(VALU_DEP_2)
	v_lshl_add_u64 v[6:7], v[6:7], 2, s[14:15]
	v_lshl_add_u64 v[8:9], v[8:9], 2, s[14:15]
	s_branch .LBB871_944
.LBB871_943:                            ;   in Loop: Header=BB871_944 Depth=1
	s_or_b32 exec_lo, exec_lo, s7
	s_delay_alu instid0(SALU_CYCLE_1) | instskip(NEXT) | instid1(SALU_CYCLE_1)
	s_and_b32 s7, exec_lo, s31
	s_or_b32 s29, s7, s29
	s_and_not1_b32 s7, s34, exec_lo
	s_and_b32 s34, s35, exec_lo
	s_and_not1_b32 s30, s30, exec_lo
	s_and_b32 s35, s33, exec_lo
	s_or_b32 s34, s7, s34
	s_or_b32 s30, s30, s35
	s_and_not1_b32 exec_lo, exec_lo, s29
	s_cbranch_execz .LBB871_946
.LBB871_944:                            ; =>This Inner Loop Header: Depth=1
	global_load_b32 v26, v[6:7], off
	global_load_b32 v27, v[8:9], off
	s_and_not1_b32 s33, s33, exec_lo
	s_or_b32 s31, s31, exec_lo
	s_wait_loadcnt 0x0
	v_cmp_ngt_f32_e32 vcc_lo, v26, v27
	v_cmp_lt_f32_e64 s7, v26, v27
	s_and_b32 s35, vcc_lo, s34
	s_xor_b32 s37, s7, vcc_lo
	s_or_b32 s35, s7, s35
	s_delay_alu instid0(SALU_CYCLE_1) | instskip(NEXT) | instid1(SALU_CYCLE_1)
	s_and_b32 s36, s35, exec_lo
	s_or_b32 s33, s33, s36
	s_and_saveexec_b32 s7, s37
	s_cbranch_execz .LBB871_943
; %bb.945:                              ;   in Loop: Header=BB871_944 Depth=1
	s_add_nc_u64 s[8:9], s[8:9], -1
	v_add_nc_u64_e32 v[6:7], 4, v[6:7]
	s_cmp_eq_u64 s[8:9], 0
	v_add_nc_u64_e32 v[8:9], 4, v[8:9]
	s_cselect_b32 s34, -1, 0
	s_and_not1_b32 s31, s31, exec_lo
	s_and_b32 s34, s34, exec_lo
	s_and_not1_b32 s33, s33, exec_lo
	s_or_b32 s31, s31, s34
                                        ; implicit-def: $sgpr34
	s_branch .LBB871_943
.LBB871_946:
	s_or_b32 exec_lo, exec_lo, s29
	s_xor_b32 s7, s30, -1
	s_and_not1_b32 s8, s25, exec_lo
	s_and_b32 s7, s7, exec_lo
	s_delay_alu instid0(SALU_CYCLE_1)
	s_or_b32 s25, s8, s7
.LBB871_947:
	s_or_b32 exec_lo, exec_lo, s28
	s_delay_alu instid0(SALU_CYCLE_1)
	s_or_not1_b32 s25, s25, exec_lo
.LBB871_948:
	s_or_b32 exec_lo, exec_lo, s27
	v_cndmask_b32_e64 v6, v24, v25, s25
	v_cndmask_b32_e64 v7, v48, v47, s25
	s_mov_b32 s27, exec_lo
	s_delay_alu instid0(VALU_DEP_2) | instskip(NEXT) | instid1(VALU_DEP_1)
	v_add_nc_u32_e32 v6, 1, v6
	v_add_min_u32_e64 v7, v7, -1, v6
	v_dual_cndmask_b32 v28, v6, v24, s25 :: v_dual_cndmask_b32 v29, v25, v6, s25
	s_delay_alu instid0(VALU_DEP_2)
	v_lshl_add_u32 v7, v7, 3, v43
	ds_load_b64 v[8:9], v7
	s_wait_dscnt 0x0
	v_dual_cndmask_b32 v7, v9, v13, s25 :: v_dual_cndmask_b32 v6, v8, v12, s25
	v_dual_cndmask_b32 v25, v23, v9, s25 :: v_dual_cndmask_b32 v24, v22, v8, s25
	v_cmpx_lt_u32_e64 v28, v48
	s_cbranch_execz .LBB871_956
; %bb.949:
	v_cmp_lt_u32_e64 s26, v29, v47
	s_and_b32 s7, s26, s22
	s_delay_alu instid0(SALU_CYCLE_1)
	s_and_saveexec_b32 s28, s7
	s_cbranch_execz .LBB871_955
; %bb.950:
	v_mul_u64_e32 v[8:9], s[12:13], v[6:7]
	v_mul_u64_e32 v[26:27], s[12:13], v[24:25]
	s_mov_b32 s29, 0
	s_mov_b64 s[8:9], s[12:13]
                                        ; implicit-def: $sgpr30
                                        ; implicit-def: $sgpr31
                                        ; implicit-def: $sgpr33
                                        ; implicit-def: $sgpr34
	s_delay_alu instid0(VALU_DEP_2) | instskip(NEXT) | instid1(VALU_DEP_2)
	v_lshl_add_u64 v[8:9], v[8:9], 2, s[14:15]
	v_lshl_add_u64 v[26:27], v[26:27], 2, s[14:15]
	s_branch .LBB871_952
.LBB871_951:                            ;   in Loop: Header=BB871_952 Depth=1
	s_or_b32 exec_lo, exec_lo, s7
	s_delay_alu instid0(SALU_CYCLE_1) | instskip(NEXT) | instid1(SALU_CYCLE_1)
	s_and_b32 s7, exec_lo, s31
	s_or_b32 s29, s7, s29
	s_and_not1_b32 s7, s34, exec_lo
	s_and_b32 s34, s35, exec_lo
	s_and_not1_b32 s30, s30, exec_lo
	s_and_b32 s35, s33, exec_lo
	s_or_b32 s34, s7, s34
	s_or_b32 s30, s30, s35
	s_and_not1_b32 exec_lo, exec_lo, s29
	s_cbranch_execz .LBB871_954
.LBB871_952:                            ; =>This Inner Loop Header: Depth=1
	global_load_b32 v30, v[8:9], off
	global_load_b32 v31, v[26:27], off
	s_and_not1_b32 s33, s33, exec_lo
	s_or_b32 s31, s31, exec_lo
	s_wait_loadcnt 0x0
	v_cmp_ngt_f32_e32 vcc_lo, v30, v31
	v_cmp_lt_f32_e64 s7, v30, v31
	s_and_b32 s35, vcc_lo, s34
	s_xor_b32 s37, s7, vcc_lo
	s_or_b32 s35, s7, s35
	s_delay_alu instid0(SALU_CYCLE_1) | instskip(NEXT) | instid1(SALU_CYCLE_1)
	s_and_b32 s36, s35, exec_lo
	s_or_b32 s33, s33, s36
	s_and_saveexec_b32 s7, s37
	s_cbranch_execz .LBB871_951
; %bb.953:                              ;   in Loop: Header=BB871_952 Depth=1
	s_add_nc_u64 s[8:9], s[8:9], -1
	v_add_nc_u64_e32 v[8:9], 4, v[8:9]
	s_cmp_eq_u64 s[8:9], 0
	v_add_nc_u64_e32 v[26:27], 4, v[26:27]
	s_cselect_b32 s34, -1, 0
	s_and_not1_b32 s31, s31, exec_lo
	s_and_b32 s34, s34, exec_lo
	s_and_not1_b32 s33, s33, exec_lo
	s_or_b32 s31, s31, s34
                                        ; implicit-def: $sgpr34
	s_branch .LBB871_951
.LBB871_954:
	s_or_b32 exec_lo, exec_lo, s29
	s_xor_b32 s7, s30, -1
	s_and_not1_b32 s8, s26, exec_lo
	s_and_b32 s7, s7, exec_lo
	s_delay_alu instid0(SALU_CYCLE_1)
	s_or_b32 s26, s8, s7
.LBB871_955:
	s_or_b32 exec_lo, exec_lo, s28
	s_delay_alu instid0(SALU_CYCLE_1)
	s_or_not1_b32 s26, s26, exec_lo
.LBB871_956:
	s_or_b32 exec_lo, exec_lo, s27
	v_cndmask_b32_e64 v8, v28, v29, s26
	v_cndmask_b32_e64 v9, v48, v47, s26
	s_mov_b32 s27, -1
	s_mov_b32 s28, -1
	s_mov_b32 s29, exec_lo
	v_add_nc_u32_e32 v8, 1, v8
	s_delay_alu instid0(VALU_DEP_1) | instskip(NEXT) | instid1(VALU_DEP_1)
	v_add_min_u32_e64 v9, v9, -1, v8
	v_lshl_add_u32 v9, v9, 3, v43
	ds_load_b64 v[26:27], v9
	v_cndmask_b32_e64 v32, v8, v28, s26
	s_wait_dscnt 0x0
	v_dual_cndmask_b32 v33, v29, v8, s26 :: v_dual_cndmask_b32 v9, v27, v7, s26
	v_dual_cndmask_b32 v8, v26, v6, s26 :: v_dual_cndmask_b32 v27, v25, v27, s26
	v_cndmask_b32_e64 v26, v24, v26, s26
	v_cmpx_lt_u32_e64 v32, v48
	s_cbranch_execz .LBB871_964
; %bb.957:
	v_cmp_lt_u32_e64 s28, v33, v47
	s_and_b32 s7, s28, s22
	s_delay_alu instid0(SALU_CYCLE_1)
	s_and_saveexec_b32 s30, s7
	s_cbranch_execz .LBB871_963
; %bb.958:
	v_mul_u64_e32 v[28:29], s[12:13], v[8:9]
	v_mul_u64_e32 v[30:31], s[12:13], v[26:27]
	s_mov_b32 s31, 0
	s_mov_b64 s[8:9], s[12:13]
                                        ; implicit-def: $sgpr33
                                        ; implicit-def: $sgpr34
                                        ; implicit-def: $sgpr35
                                        ; implicit-def: $sgpr36
	s_delay_alu instid0(VALU_DEP_2) | instskip(NEXT) | instid1(VALU_DEP_2)
	v_lshl_add_u64 v[28:29], v[28:29], 2, s[14:15]
	v_lshl_add_u64 v[30:31], v[30:31], 2, s[14:15]
	s_branch .LBB871_960
.LBB871_959:                            ;   in Loop: Header=BB871_960 Depth=1
	s_or_b32 exec_lo, exec_lo, s7
	s_delay_alu instid0(SALU_CYCLE_1) | instskip(NEXT) | instid1(SALU_CYCLE_1)
	s_and_b32 s7, exec_lo, s34
	s_or_b32 s31, s7, s31
	s_and_not1_b32 s7, s36, exec_lo
	s_and_b32 s36, s37, exec_lo
	s_and_not1_b32 s33, s33, exec_lo
	s_and_b32 s37, s35, exec_lo
	s_or_b32 s36, s7, s36
	s_or_b32 s33, s33, s37
	s_and_not1_b32 exec_lo, exec_lo, s31
	s_cbranch_execz .LBB871_962
.LBB871_960:                            ; =>This Inner Loop Header: Depth=1
	global_load_b32 v34, v[28:29], off
	global_load_b32 v35, v[30:31], off
	s_and_not1_b32 s35, s35, exec_lo
	s_or_b32 s34, s34, exec_lo
	s_wait_loadcnt 0x0
	v_cmp_ngt_f32_e32 vcc_lo, v34, v35
	v_cmp_lt_f32_e64 s7, v34, v35
	s_and_b32 s37, vcc_lo, s36
	s_xor_b32 s39, s7, vcc_lo
	s_or_b32 s37, s7, s37
	s_delay_alu instid0(SALU_CYCLE_1) | instskip(NEXT) | instid1(SALU_CYCLE_1)
	s_and_b32 s38, s37, exec_lo
	s_or_b32 s35, s35, s38
	s_and_saveexec_b32 s7, s39
	s_cbranch_execz .LBB871_959
; %bb.961:                              ;   in Loop: Header=BB871_960 Depth=1
	s_add_nc_u64 s[8:9], s[8:9], -1
	v_add_nc_u64_e32 v[28:29], 4, v[28:29]
	s_cmp_eq_u64 s[8:9], 0
	v_add_nc_u64_e32 v[30:31], 4, v[30:31]
	s_cselect_b32 s36, -1, 0
	s_and_not1_b32 s34, s34, exec_lo
	s_and_b32 s36, s36, exec_lo
	s_and_not1_b32 s35, s35, exec_lo
	s_or_b32 s34, s34, s36
                                        ; implicit-def: $sgpr36
	s_branch .LBB871_959
.LBB871_962:
	s_or_b32 exec_lo, exec_lo, s31
	s_xor_b32 s7, s33, -1
	s_and_not1_b32 s8, s28, exec_lo
	s_and_b32 s7, s7, exec_lo
	s_delay_alu instid0(SALU_CYCLE_1)
	s_or_b32 s28, s8, s7
.LBB871_963:
	s_or_b32 exec_lo, exec_lo, s30
	s_delay_alu instid0(SALU_CYCLE_1)
	s_or_not1_b32 s28, s28, exec_lo
.LBB871_964:
	s_or_b32 exec_lo, exec_lo, s29
	v_cndmask_b32_e64 v28, v32, v33, s28
	v_cndmask_b32_e64 v29, v48, v47, s28
	s_mov_b32 s29, exec_lo
	s_delay_alu instid0(VALU_DEP_2) | instskip(NEXT) | instid1(VALU_DEP_1)
	v_add_nc_u32_e32 v28, 1, v28
	v_add_min_u32_e64 v29, v29, -1, v28
	s_delay_alu instid0(VALU_DEP_1)
	v_lshl_add_u32 v29, v29, 3, v43
	ds_load_b64 v[30:31], v29
	v_cndmask_b32_e64 v50, v28, v32, s28
	s_wait_dscnt 0x0
	v_dual_cndmask_b32 v49, v33, v28, s28 :: v_dual_cndmask_b32 v29, v31, v9, s28
	v_dual_cndmask_b32 v28, v30, v8, s28 :: v_dual_cndmask_b32 v31, v27, v31, s28
	v_cndmask_b32_e64 v30, v26, v30, s28
	v_cmpx_lt_u32_e64 v50, v48
	s_cbranch_execz .LBB871_972
; %bb.965:
	v_cmp_lt_u32_e64 s27, v49, v47
	s_and_b32 s7, s27, s22
	s_delay_alu instid0(SALU_CYCLE_1)
	s_and_saveexec_b32 s30, s7
	s_cbranch_execz .LBB871_971
; %bb.966:
	v_mul_u64_e32 v[32:33], s[12:13], v[28:29]
	v_mul_u64_e32 v[34:35], s[12:13], v[30:31]
	s_mov_b32 s31, 0
	s_mov_b64 s[8:9], s[12:13]
                                        ; implicit-def: $sgpr33
                                        ; implicit-def: $sgpr34
                                        ; implicit-def: $sgpr35
                                        ; implicit-def: $sgpr36
	s_delay_alu instid0(VALU_DEP_2) | instskip(NEXT) | instid1(VALU_DEP_2)
	v_lshl_add_u64 v[32:33], v[32:33], 2, s[14:15]
	v_lshl_add_u64 v[34:35], v[34:35], 2, s[14:15]
	s_branch .LBB871_968
.LBB871_967:                            ;   in Loop: Header=BB871_968 Depth=1
	s_or_b32 exec_lo, exec_lo, s7
	s_delay_alu instid0(SALU_CYCLE_1) | instskip(NEXT) | instid1(SALU_CYCLE_1)
	s_and_b32 s7, exec_lo, s34
	s_or_b32 s31, s7, s31
	s_and_not1_b32 s7, s36, exec_lo
	s_and_b32 s36, s37, exec_lo
	s_and_not1_b32 s33, s33, exec_lo
	s_and_b32 s37, s35, exec_lo
	s_or_b32 s36, s7, s36
	s_or_b32 s33, s33, s37
	s_and_not1_b32 exec_lo, exec_lo, s31
	s_cbranch_execz .LBB871_970
.LBB871_968:                            ; =>This Inner Loop Header: Depth=1
	global_load_b32 v51, v[32:33], off
	global_load_b32 v52, v[34:35], off
	s_and_not1_b32 s35, s35, exec_lo
	s_or_b32 s34, s34, exec_lo
	s_wait_loadcnt 0x0
	v_cmp_ngt_f32_e32 vcc_lo, v51, v52
	v_cmp_lt_f32_e64 s7, v51, v52
	s_and_b32 s37, vcc_lo, s36
	s_xor_b32 s39, s7, vcc_lo
	s_or_b32 s37, s7, s37
	s_delay_alu instid0(SALU_CYCLE_1) | instskip(NEXT) | instid1(SALU_CYCLE_1)
	s_and_b32 s38, s37, exec_lo
	s_or_b32 s35, s35, s38
	s_and_saveexec_b32 s7, s39
	s_cbranch_execz .LBB871_967
; %bb.969:                              ;   in Loop: Header=BB871_968 Depth=1
	s_add_nc_u64 s[8:9], s[8:9], -1
	v_add_nc_u64_e32 v[32:33], 4, v[32:33]
	s_cmp_eq_u64 s[8:9], 0
	v_add_nc_u64_e32 v[34:35], 4, v[34:35]
	s_cselect_b32 s36, -1, 0
	s_and_not1_b32 s34, s34, exec_lo
	s_and_b32 s36, s36, exec_lo
	s_and_not1_b32 s35, s35, exec_lo
	s_or_b32 s34, s34, s36
                                        ; implicit-def: $sgpr36
	s_branch .LBB871_967
.LBB871_970:
	s_or_b32 exec_lo, exec_lo, s31
	s_xor_b32 s7, s33, -1
	s_and_not1_b32 s8, s27, exec_lo
	s_and_b32 s7, s7, exec_lo
	s_delay_alu instid0(SALU_CYCLE_1)
	s_or_b32 s27, s8, s7
.LBB871_971:
	s_or_b32 exec_lo, exec_lo, s30
	s_delay_alu instid0(SALU_CYCLE_1)
	s_or_not1_b32 s27, s27, exec_lo
.LBB871_972:
	s_or_b32 exec_lo, exec_lo, s29
	v_dual_cndmask_b32 v32, v50, v49, s27 :: v_dual_cndmask_b32 v33, v48, v47, s27
	v_dual_cndmask_b32 v8, v8, v26, s28 :: v_dual_cndmask_b32 v7, v7, v25, s26
	;; [unrolled: 1-line block ×3, first 2 shown]
	s_delay_alu instid0(VALU_DEP_3) | instskip(SKIP_2) | instid1(VALU_DEP_3)
	v_dual_add_nc_u32 v34, 1, v32 :: v_dual_cndmask_b32 v9, v9, v27, s28
	v_dual_cndmask_b32 v12, v12, v22, s25 :: v_dual_cndmask_b32 v11, v11, v17, s24
	v_dual_cndmask_b32 v10, v10, v16, s24 :: v_dual_cndmask_b32 v17, v5, v15, s23
	v_add_min_u32_e64 v32, v33, -1, v34
	v_dual_cndmask_b32 v16, v4, v14, s23 :: v_dual_cndmask_b32 v15, v3, v1, s17
	v_dual_cndmask_b32 v14, v2, v0, s17 :: v_dual_cndmask_b32 v3, v29, v31, s27
	s_delay_alu instid0(VALU_DEP_3)
	v_lshl_add_u32 v32, v32, 3, v43
	s_mov_b32 s17, exec_lo
	ds_load_b64 v[32:33], v32
	v_cndmask_b32_e64 v0, v34, v50, s27
	s_wait_dscnt 0x0
	v_dual_cndmask_b32 v2, v28, v30, s27 :: v_dual_cndmask_b32 v4, v30, v32, s27
	v_cndmask_b32_e64 v5, v31, v33, s27
	s_delay_alu instid0(VALU_DEP_3)
	v_cmpx_lt_u32_e64 v0, v48
	s_cbranch_execz .LBB871_980
; %bb.973:
	v_dual_cndmask_b32 v22, v49, v34, s27 :: v_dual_cndmask_b32 v0, v32, v28, s27
	s_delay_alu instid0(VALU_DEP_1) | instskip(NEXT) | instid1(VALU_DEP_2)
	v_cmp_ge_u32_e32 vcc_lo, v22, v47
	v_dual_cndmask_b32 v1, v33, v29, s27 :: v_dual_cndmask_b32 v22, v4, v0, vcc_lo
	s_delay_alu instid0(VALU_DEP_1) | instskip(SKIP_1) | instid1(SALU_CYCLE_1)
	v_cndmask_b32_e32 v23, v5, v1, vcc_lo
	s_nor_b32 s7, vcc_lo, s19
	s_and_saveexec_b32 s23, s7
	s_cbranch_execz .LBB871_979
; %bb.974:
	v_mul_u64_e32 v[22:23], s[12:13], v[0:1]
	v_mul_u64_e32 v[24:25], s[12:13], v[4:5]
	s_mov_b32 s24, 0
	s_mov_b64 s[8:9], s[12:13]
                                        ; implicit-def: $sgpr25
                                        ; implicit-def: $sgpr26
                                        ; implicit-def: $sgpr27
                                        ; implicit-def: $sgpr28
	s_delay_alu instid0(VALU_DEP_2) | instskip(NEXT) | instid1(VALU_DEP_2)
	v_lshl_add_u64 v[22:23], v[22:23], 2, s[14:15]
	v_lshl_add_u64 v[24:25], v[24:25], 2, s[14:15]
	s_branch .LBB871_976
.LBB871_975:                            ;   in Loop: Header=BB871_976 Depth=1
	s_or_b32 exec_lo, exec_lo, s7
	s_delay_alu instid0(SALU_CYCLE_1) | instskip(NEXT) | instid1(SALU_CYCLE_1)
	s_and_b32 s7, exec_lo, s26
	s_or_b32 s24, s7, s24
	s_and_not1_b32 s7, s28, exec_lo
	s_and_b32 s28, s29, exec_lo
	s_and_not1_b32 s25, s25, exec_lo
	s_and_b32 s29, s27, exec_lo
	s_or_b32 s28, s7, s28
	s_or_b32 s25, s25, s29
	s_and_not1_b32 exec_lo, exec_lo, s24
	s_cbranch_execz .LBB871_978
.LBB871_976:                            ; =>This Inner Loop Header: Depth=1
	global_load_b32 v26, v[22:23], off
	global_load_b32 v27, v[24:25], off
	s_and_not1_b32 s27, s27, exec_lo
	s_or_b32 s26, s26, exec_lo
	s_wait_loadcnt 0x0
	v_cmp_ngt_f32_e32 vcc_lo, v26, v27
	v_cmp_lt_f32_e64 s7, v26, v27
	s_and_b32 s29, vcc_lo, s28
	s_xor_b32 s31, s7, vcc_lo
	s_or_b32 s29, s7, s29
	s_delay_alu instid0(SALU_CYCLE_1) | instskip(NEXT) | instid1(SALU_CYCLE_1)
	s_and_b32 s30, s29, exec_lo
	s_or_b32 s27, s27, s30
	s_and_saveexec_b32 s7, s31
	s_cbranch_execz .LBB871_975
; %bb.977:                              ;   in Loop: Header=BB871_976 Depth=1
	s_add_nc_u64 s[8:9], s[8:9], -1
	v_add_nc_u64_e32 v[22:23], 4, v[22:23]
	s_cmp_eq_u64 s[8:9], 0
	v_add_nc_u64_e32 v[24:25], 4, v[24:25]
	s_cselect_b32 s28, -1, 0
	s_and_not1_b32 s26, s26, exec_lo
	s_and_b32 s28, s28, exec_lo
	s_and_not1_b32 s27, s27, exec_lo
	s_or_b32 s26, s26, s28
                                        ; implicit-def: $sgpr28
	s_branch .LBB871_975
.LBB871_978:
	s_or_b32 exec_lo, exec_lo, s24
	v_dual_cndmask_b32 v23, v5, v1, s25 :: v_dual_cndmask_b32 v22, v4, v0, s25
.LBB871_979:
	s_or_b32 exec_lo, exec_lo, s23
	s_delay_alu instid0(VALU_DEP_1)
	v_mov_b64_e32 v[4:5], v[22:23]
.LBB871_980:
	s_or_b32 exec_lo, exec_lo, s17
.LBB871_981:
	s_delay_alu instid0(SALU_CYCLE_1)
	s_or_b32 exec_lo, exec_lo, s16
	v_and_b32_e32 v26, 0xc0, v45
	s_mov_b32 s23, exec_lo
	; wave barrier
	ds_store_b128 v46, v[14:17]
	ds_store_b128 v46, v[10:13] offset:16
	v_or_b32_e32 v0, 32, v26
	v_lshl_add_u32 v25, v26, 3, v43
	ds_store_b128 v46, v[6:9] offset:32
	ds_store_b128 v46, v[2:5] offset:48
	; wave barrier
	v_min_u32_e32 v47, v44, v0
	v_and_b32_e32 v0, 56, v45
	s_delay_alu instid0(VALU_DEP_2) | instskip(NEXT) | instid1(VALU_DEP_2)
	v_add_min_u32_e64 v48, v47, 32, v44
	v_min_u32_e32 v27, v44, v0
	s_delay_alu instid0(VALU_DEP_2) | instskip(NEXT) | instid1(VALU_DEP_1)
	v_dual_sub_nc_u32 v1, v47, v26 :: v_dual_sub_nc_u32 v0, v48, v47
	v_min_u32_e32 v28, v27, v1
	s_delay_alu instid0(VALU_DEP_2) | instskip(NEXT) | instid1(VALU_DEP_1)
	v_sub_nc_u32_e64 v24, v27, v0 clamp
	v_cmpx_lt_u32_e64 v24, v28
	s_cbranch_execz .LBB871_991
; %bb.982:
	v_lshlrev_b32_e32 v0, 3, v47
	v_lshlrev_b32_e32 v1, 3, v27
	s_lshl_b64 s[8:9], s[12:13], 2
	s_mov_b32 s24, 0
	s_delay_alu instid0(VALU_DEP_1)
	v_add3_u32 v29, v43, v0, v1
	s_branch .LBB871_985
.LBB871_983:                            ;   in Loop: Header=BB871_985 Depth=1
	s_or_b32 exec_lo, exec_lo, s26
.LBB871_984:                            ;   in Loop: Header=BB871_985 Depth=1
	s_delay_alu instid0(VALU_DEP_1) | instskip(NEXT) | instid1(VALU_DEP_1)
	v_dual_add_nc_u32 v0, 1, v30 :: v_dual_cndmask_b32 v28, v28, v30, s25
	v_cndmask_b32_e64 v24, v0, v24, s25
	s_delay_alu instid0(VALU_DEP_1) | instskip(SKIP_1) | instid1(SALU_CYCLE_1)
	v_cmp_ge_u32_e32 vcc_lo, v24, v28
	s_or_b32 s24, vcc_lo, s24
	s_and_not1_b32 exec_lo, exec_lo, s24
	s_cbranch_execz .LBB871_990
.LBB871_985:                            ; =>This Loop Header: Depth=1
                                        ;     Child Loop BB871_988 Depth 2
	v_add_nc_u32_e32 v0, v28, v24
	s_and_not1_b32 vcc_lo, exec_lo, s18
	s_mov_b32 s25, 0
	s_delay_alu instid0(VALU_DEP_1)
	v_lshrrev_b32_e32 v30, 1, v0
	s_cbranch_vccnz .LBB871_984
; %bb.986:                              ;   in Loop: Header=BB871_985 Depth=1
	s_delay_alu instid0(VALU_DEP_1) | instskip(SKIP_3) | instid1(VALU_DEP_2)
	v_not_b32_e32 v0, v30
	v_lshl_add_u32 v1, v30, 3, v25
	s_mov_b32 s26, 0
	s_mov_b64 s[16:17], s[12:13]
                                        ; implicit-def: $sgpr25
                                        ; implicit-def: $sgpr27
                                        ; implicit-def: $sgpr28
                                        ; implicit-def: $sgpr29
	v_lshl_add_u32 v0, v0, 3, v29
	ds_load_b64 v[32:33], v0
	ds_load_b64 v[34:35], v1
	s_wait_dscnt 0x1
	v_mad_nc_u64_u32 v[0:1], s8, v32, s[14:15]
	s_wait_dscnt 0x0
	v_mad_nc_u64_u32 v[22:23], s8, v34, s[14:15]
	s_delay_alu instid0(VALU_DEP_2) | instskip(NEXT) | instid1(VALU_DEP_2)
	v_mad_u32 v1, s9, v32, v1
	v_mad_u32 v23, s9, v34, v23
	s_delay_alu instid0(VALU_DEP_2) | instskip(NEXT) | instid1(VALU_DEP_2)
	v_mad_u32 v1, s8, v33, v1
	v_mad_u32 v23, s8, v35, v23
	s_branch .LBB871_988
.LBB871_987:                            ;   in Loop: Header=BB871_988 Depth=2
	s_or_b32 exec_lo, exec_lo, s7
	s_delay_alu instid0(SALU_CYCLE_1) | instskip(NEXT) | instid1(SALU_CYCLE_1)
	s_and_b32 s7, exec_lo, s27
	s_or_b32 s26, s7, s26
	s_and_not1_b32 s7, s29, exec_lo
	s_and_b32 s29, s30, exec_lo
	s_and_not1_b32 s25, s25, exec_lo
	s_and_b32 s30, s28, exec_lo
	s_or_b32 s29, s7, s29
	s_or_b32 s25, s25, s30
	s_and_not1_b32 exec_lo, exec_lo, s26
	s_cbranch_execz .LBB871_983
.LBB871_988:                            ;   Parent Loop BB871_985 Depth=1
                                        ; =>  This Inner Loop Header: Depth=2
	global_load_b32 v31, v[0:1], off
	global_load_b32 v32, v[22:23], off
	s_and_not1_b32 s28, s28, exec_lo
	s_or_b32 s27, s27, exec_lo
	s_wait_loadcnt 0x0
	v_cmp_ngt_f32_e32 vcc_lo, v31, v32
	v_cmp_lt_f32_e64 s7, v31, v32
	s_and_b32 s30, vcc_lo, s29
	s_xor_b32 s33, s7, vcc_lo
	s_or_b32 s30, s7, s30
	s_delay_alu instid0(SALU_CYCLE_1) | instskip(NEXT) | instid1(SALU_CYCLE_1)
	s_and_b32 s31, s30, exec_lo
	s_or_b32 s28, s28, s31
	s_and_saveexec_b32 s7, s33
	s_cbranch_execz .LBB871_987
; %bb.989:                              ;   in Loop: Header=BB871_988 Depth=2
	s_add_nc_u64 s[16:17], s[16:17], -1
	v_add_nc_u64_e32 v[0:1], 4, v[0:1]
	s_cmp_eq_u64 s[16:17], 0
	v_add_nc_u64_e32 v[22:23], 4, v[22:23]
	s_cselect_b32 s29, -1, 0
	s_and_not1_b32 s27, s27, exec_lo
	s_and_b32 s29, s29, exec_lo
	s_and_not1_b32 s28, s28, exec_lo
	s_or_b32 s27, s27, s29
                                        ; implicit-def: $sgpr29
	s_branch .LBB871_987
.LBB871_990:
	s_or_b32 exec_lo, exec_lo, s24
.LBB871_991:
	s_delay_alu instid0(SALU_CYCLE_1) | instskip(SKIP_1) | instid1(VALU_DEP_1)
	s_or_b32 exec_lo, exec_lo, s23
	v_dual_add_nc_u32 v0, v47, v27 :: v_dual_add_nc_u32 v22, v24, v26
	v_sub_nc_u32_e32 v23, v0, v24
	s_delay_alu instid0(VALU_DEP_2) | instskip(NEXT) | instid1(VALU_DEP_2)
	v_cmp_le_u32_e32 vcc_lo, v22, v47
	v_cmp_le_u32_e64 s7, v23, v48
	s_or_b32 s7, vcc_lo, s7
	s_delay_alu instid0(SALU_CYCLE_1)
	s_and_saveexec_b32 s16, s7
	s_cbranch_execz .LBB871_1059
; %bb.992:
	s_mov_b32 s8, exec_lo
	v_cmp_ge_u32_e32 vcc_lo, v22, v47
                                        ; implicit-def: $vgpr0_vgpr1
	v_cmpx_lt_u32_e64 v22, v47
; %bb.993:
	v_lshl_add_u32 v0, v24, 3, v25
	ds_load_b64 v[0:1], v0
; %bb.994:
	s_or_b32 exec_lo, exec_lo, s8
	v_cmp_ge_u32_e64 s7, v23, v48
	s_mov_b32 s9, exec_lo
                                        ; implicit-def: $vgpr2_vgpr3
	v_cmpx_lt_u32_e64 v23, v48
; %bb.995:
	v_lshl_add_u32 v2, v23, 3, v43
	ds_load_b64 v[2:3], v2
; %bb.996:
	s_or_b32 exec_lo, exec_lo, s9
	s_or_b32 s8, vcc_lo, s7
	s_xor_b32 s9, vcc_lo, -1
	s_nor_b32 s8, s8, s19
	s_or_b32 s17, s7, s9
	s_and_saveexec_b32 s23, s8
	s_cbranch_execz .LBB871_1002
; %bb.997:
	s_wait_dscnt 0x0
	v_mul_u64_e32 v[4:5], s[12:13], v[2:3]
	v_mul_u64_e32 v[6:7], s[12:13], v[0:1]
	s_mov_b32 s24, 0
	s_mov_b64 s[8:9], s[12:13]
                                        ; implicit-def: $sgpr25
                                        ; implicit-def: $sgpr26
                                        ; implicit-def: $sgpr27
                                        ; implicit-def: $sgpr28
	s_delay_alu instid0(VALU_DEP_2) | instskip(NEXT) | instid1(VALU_DEP_2)
	v_lshl_add_u64 v[4:5], v[4:5], 2, s[14:15]
	v_lshl_add_u64 v[6:7], v[6:7], 2, s[14:15]
	s_branch .LBB871_999
.LBB871_998:                            ;   in Loop: Header=BB871_999 Depth=1
	s_or_b32 exec_lo, exec_lo, s7
	s_delay_alu instid0(SALU_CYCLE_1) | instskip(NEXT) | instid1(SALU_CYCLE_1)
	s_and_b32 s7, exec_lo, s26
	s_or_b32 s24, s7, s24
	s_and_not1_b32 s7, s28, exec_lo
	s_and_b32 s28, s29, exec_lo
	s_and_not1_b32 s25, s25, exec_lo
	s_and_b32 s29, s27, exec_lo
	s_or_b32 s28, s7, s28
	s_or_b32 s25, s25, s29
	s_and_not1_b32 exec_lo, exec_lo, s24
	s_cbranch_execz .LBB871_1001
.LBB871_999:                            ; =>This Inner Loop Header: Depth=1
	global_load_b32 v8, v[4:5], off
	global_load_b32 v9, v[6:7], off
	s_and_not1_b32 s27, s27, exec_lo
	s_or_b32 s26, s26, exec_lo
	s_wait_loadcnt 0x0
	v_cmp_ngt_f32_e32 vcc_lo, v8, v9
	v_cmp_lt_f32_e64 s7, v8, v9
	s_and_b32 s29, vcc_lo, s28
	s_xor_b32 s31, s7, vcc_lo
	s_or_b32 s29, s7, s29
	s_delay_alu instid0(SALU_CYCLE_1) | instskip(NEXT) | instid1(SALU_CYCLE_1)
	s_and_b32 s30, s29, exec_lo
	s_or_b32 s27, s27, s30
	s_and_saveexec_b32 s7, s31
	s_cbranch_execz .LBB871_998
; %bb.1000:                             ;   in Loop: Header=BB871_999 Depth=1
	s_add_nc_u64 s[8:9], s[8:9], -1
	v_add_nc_u64_e32 v[4:5], 4, v[4:5]
	s_cmp_eq_u64 s[8:9], 0
	v_add_nc_u64_e32 v[6:7], 4, v[6:7]
	s_cselect_b32 s28, -1, 0
	s_and_not1_b32 s26, s26, exec_lo
	s_and_b32 s28, s28, exec_lo
	s_and_not1_b32 s27, s27, exec_lo
	s_or_b32 s26, s26, s28
                                        ; implicit-def: $sgpr28
	s_branch .LBB871_998
.LBB871_1001:
	s_or_b32 exec_lo, exec_lo, s24
	s_xor_b32 s7, s25, -1
	s_and_not1_b32 s8, s17, exec_lo
	s_and_b32 s7, s7, exec_lo
	s_delay_alu instid0(SALU_CYCLE_1)
	s_or_b32 s17, s8, s7
.LBB871_1002:
	s_or_b32 exec_lo, exec_lo, s23
	v_dual_cndmask_b32 v4, v23, v22, s17 :: v_dual_cndmask_b32 v5, v48, v47, s17
	s_mov_b32 s24, -1
	s_mov_b32 s23, -1
	s_mov_b32 s25, exec_lo
	s_delay_alu instid0(VALU_DEP_1) | instskip(NEXT) | instid1(VALU_DEP_1)
	v_add_nc_u32_e32 v4, 1, v4
	v_add_min_u32_e64 v5, v5, -1, v4
	s_delay_alu instid0(VALU_DEP_1)
	v_lshl_add_u32 v5, v5, 3, v43
	ds_load_b64 v[6:7], v5
	s_wait_dscnt 0x0
	v_cndmask_b32_e64 v5, v7, v3, s17
	v_dual_cndmask_b32 v10, v4, v23, s17 :: v_dual_cndmask_b32 v11, v22, v4, s17
	v_dual_cndmask_b32 v4, v6, v2, s17 :: v_dual_cndmask_b32 v15, v1, v7, s17
	v_cndmask_b32_e64 v14, v0, v6, s17
	s_delay_alu instid0(VALU_DEP_3)
	v_cmpx_lt_u32_e64 v10, v48
	s_cbranch_execz .LBB871_1010
; %bb.1003:
	v_cmp_lt_u32_e64 s23, v11, v47
	s_and_b32 s7, s23, s22
	s_delay_alu instid0(SALU_CYCLE_1)
	s_and_saveexec_b32 s26, s7
	s_cbranch_execz .LBB871_1009
; %bb.1004:
	v_mul_u64_e32 v[6:7], s[12:13], v[4:5]
	v_mul_u64_e32 v[8:9], s[12:13], v[14:15]
	s_mov_b32 s27, 0
	s_mov_b64 s[8:9], s[12:13]
                                        ; implicit-def: $sgpr28
                                        ; implicit-def: $sgpr29
                                        ; implicit-def: $sgpr30
                                        ; implicit-def: $sgpr31
	s_delay_alu instid0(VALU_DEP_2) | instskip(NEXT) | instid1(VALU_DEP_2)
	v_lshl_add_u64 v[6:7], v[6:7], 2, s[14:15]
	v_lshl_add_u64 v[8:9], v[8:9], 2, s[14:15]
	s_branch .LBB871_1006
.LBB871_1005:                           ;   in Loop: Header=BB871_1006 Depth=1
	s_or_b32 exec_lo, exec_lo, s7
	s_delay_alu instid0(SALU_CYCLE_1) | instskip(NEXT) | instid1(SALU_CYCLE_1)
	s_and_b32 s7, exec_lo, s29
	s_or_b32 s27, s7, s27
	s_and_not1_b32 s7, s31, exec_lo
	s_and_b32 s31, s33, exec_lo
	s_and_not1_b32 s28, s28, exec_lo
	s_and_b32 s33, s30, exec_lo
	s_or_b32 s31, s7, s31
	s_or_b32 s28, s28, s33
	s_and_not1_b32 exec_lo, exec_lo, s27
	s_cbranch_execz .LBB871_1008
.LBB871_1006:                           ; =>This Inner Loop Header: Depth=1
	global_load_b32 v12, v[6:7], off
	global_load_b32 v13, v[8:9], off
	s_and_not1_b32 s30, s30, exec_lo
	s_or_b32 s29, s29, exec_lo
	s_wait_loadcnt 0x0
	v_cmp_ngt_f32_e32 vcc_lo, v12, v13
	v_cmp_lt_f32_e64 s7, v12, v13
	s_and_b32 s33, vcc_lo, s31
	s_xor_b32 s35, s7, vcc_lo
	s_or_b32 s33, s7, s33
	s_delay_alu instid0(SALU_CYCLE_1) | instskip(NEXT) | instid1(SALU_CYCLE_1)
	s_and_b32 s34, s33, exec_lo
	s_or_b32 s30, s30, s34
	s_and_saveexec_b32 s7, s35
	s_cbranch_execz .LBB871_1005
; %bb.1007:                             ;   in Loop: Header=BB871_1006 Depth=1
	s_add_nc_u64 s[8:9], s[8:9], -1
	v_add_nc_u64_e32 v[6:7], 4, v[6:7]
	s_cmp_eq_u64 s[8:9], 0
	v_add_nc_u64_e32 v[8:9], 4, v[8:9]
	s_cselect_b32 s31, -1, 0
	s_and_not1_b32 s29, s29, exec_lo
	s_and_b32 s31, s31, exec_lo
	s_and_not1_b32 s30, s30, exec_lo
	s_or_b32 s29, s29, s31
                                        ; implicit-def: $sgpr31
	s_branch .LBB871_1005
.LBB871_1008:
	s_or_b32 exec_lo, exec_lo, s27
	s_xor_b32 s7, s28, -1
	s_and_not1_b32 s8, s23, exec_lo
	s_and_b32 s7, s7, exec_lo
	s_delay_alu instid0(SALU_CYCLE_1)
	s_or_b32 s23, s8, s7
.LBB871_1009:
	s_or_b32 exec_lo, exec_lo, s26
	s_delay_alu instid0(SALU_CYCLE_1)
	s_or_not1_b32 s23, s23, exec_lo
.LBB871_1010:
	s_or_b32 exec_lo, exec_lo, s25
	v_cndmask_b32_e64 v6, v10, v11, s23
	v_cndmask_b32_e64 v7, v48, v47, s23
	s_mov_b32 s25, exec_lo
	s_delay_alu instid0(VALU_DEP_2) | instskip(NEXT) | instid1(VALU_DEP_1)
	v_add_nc_u32_e32 v8, 1, v6
	v_add_min_u32_e64 v6, v7, -1, v8
	v_cndmask_b32_e64 v12, v8, v10, s23
	s_delay_alu instid0(VALU_DEP_2)
	v_lshl_add_u32 v6, v6, 3, v43
	ds_load_b64 v[6:7], v6
	s_wait_dscnt 0x0
	v_dual_cndmask_b32 v13, v11, v8, s23 :: v_dual_cndmask_b32 v16, v14, v6, s23
	v_dual_cndmask_b32 v11, v7, v5, s23 :: v_dual_cndmask_b32 v10, v6, v4, s23
	v_cndmask_b32_e64 v17, v15, v7, s23
	v_cmpx_lt_u32_e64 v12, v48
	s_cbranch_execz .LBB871_1018
; %bb.1011:
	v_cmp_lt_u32_e64 s24, v13, v47
	s_and_b32 s7, s24, s22
	s_delay_alu instid0(SALU_CYCLE_1)
	s_and_saveexec_b32 s26, s7
	s_cbranch_execz .LBB871_1017
; %bb.1012:
	v_mul_u64_e32 v[6:7], s[12:13], v[10:11]
	v_mul_u64_e32 v[8:9], s[12:13], v[16:17]
	s_mov_b32 s27, 0
	s_mov_b64 s[8:9], s[12:13]
                                        ; implicit-def: $sgpr28
                                        ; implicit-def: $sgpr29
                                        ; implicit-def: $sgpr30
                                        ; implicit-def: $sgpr31
	s_delay_alu instid0(VALU_DEP_2) | instskip(NEXT) | instid1(VALU_DEP_2)
	v_lshl_add_u64 v[6:7], v[6:7], 2, s[14:15]
	v_lshl_add_u64 v[8:9], v[8:9], 2, s[14:15]
	s_branch .LBB871_1014
.LBB871_1013:                           ;   in Loop: Header=BB871_1014 Depth=1
	s_or_b32 exec_lo, exec_lo, s7
	s_delay_alu instid0(SALU_CYCLE_1) | instskip(NEXT) | instid1(SALU_CYCLE_1)
	s_and_b32 s7, exec_lo, s29
	s_or_b32 s27, s7, s27
	s_and_not1_b32 s7, s31, exec_lo
	s_and_b32 s31, s33, exec_lo
	s_and_not1_b32 s28, s28, exec_lo
	s_and_b32 s33, s30, exec_lo
	s_or_b32 s31, s7, s31
	s_or_b32 s28, s28, s33
	s_and_not1_b32 exec_lo, exec_lo, s27
	s_cbranch_execz .LBB871_1016
.LBB871_1014:                           ; =>This Inner Loop Header: Depth=1
	global_load_b32 v22, v[6:7], off
	global_load_b32 v23, v[8:9], off
	s_and_not1_b32 s30, s30, exec_lo
	s_or_b32 s29, s29, exec_lo
	s_wait_loadcnt 0x0
	v_cmp_ngt_f32_e32 vcc_lo, v22, v23
	v_cmp_lt_f32_e64 s7, v22, v23
	s_and_b32 s33, vcc_lo, s31
	s_xor_b32 s35, s7, vcc_lo
	s_or_b32 s33, s7, s33
	s_delay_alu instid0(SALU_CYCLE_1) | instskip(NEXT) | instid1(SALU_CYCLE_1)
	s_and_b32 s34, s33, exec_lo
	s_or_b32 s30, s30, s34
	s_and_saveexec_b32 s7, s35
	s_cbranch_execz .LBB871_1013
; %bb.1015:                             ;   in Loop: Header=BB871_1014 Depth=1
	s_add_nc_u64 s[8:9], s[8:9], -1
	v_add_nc_u64_e32 v[6:7], 4, v[6:7]
	s_cmp_eq_u64 s[8:9], 0
	v_add_nc_u64_e32 v[8:9], 4, v[8:9]
	s_cselect_b32 s31, -1, 0
	s_and_not1_b32 s29, s29, exec_lo
	s_and_b32 s31, s31, exec_lo
	s_and_not1_b32 s30, s30, exec_lo
	s_or_b32 s29, s29, s31
                                        ; implicit-def: $sgpr31
	s_branch .LBB871_1013
.LBB871_1016:
	s_or_b32 exec_lo, exec_lo, s27
	s_xor_b32 s7, s28, -1
	s_and_not1_b32 s8, s24, exec_lo
	s_and_b32 s7, s7, exec_lo
	s_delay_alu instid0(SALU_CYCLE_1)
	s_or_b32 s24, s8, s7
.LBB871_1017:
	s_or_b32 exec_lo, exec_lo, s26
	s_delay_alu instid0(SALU_CYCLE_1)
	s_or_not1_b32 s24, s24, exec_lo
.LBB871_1018:
	s_or_b32 exec_lo, exec_lo, s25
	v_cndmask_b32_e64 v6, v12, v13, s24
	v_cndmask_b32_e64 v7, v48, v47, s24
	s_mov_b32 s26, -1
	s_mov_b32 s25, -1
	s_mov_b32 s27, exec_lo
	v_add_nc_u32_e32 v8, 1, v6
	s_delay_alu instid0(VALU_DEP_1) | instskip(SKIP_1) | instid1(VALU_DEP_2)
	v_add_min_u32_e64 v6, v7, -1, v8
	v_cndmask_b32_e64 v25, v13, v8, s24
	v_lshl_add_u32 v6, v6, 3, v43
	ds_load_b64 v[6:7], v6
	s_wait_dscnt 0x0
	v_dual_cndmask_b32 v24, v8, v12, s24 :: v_dual_cndmask_b32 v13, v7, v11, s24
	v_dual_cndmask_b32 v12, v6, v10, s24 :: v_dual_cndmask_b32 v23, v17, v7, s24
	v_cndmask_b32_e64 v22, v16, v6, s24
	s_delay_alu instid0(VALU_DEP_3)
	v_cmpx_lt_u32_e64 v24, v48
	s_cbranch_execz .LBB871_1026
; %bb.1019:
	v_cmp_lt_u32_e64 s25, v25, v47
	s_and_b32 s7, s25, s22
	s_delay_alu instid0(SALU_CYCLE_1)
	s_and_saveexec_b32 s28, s7
	s_cbranch_execz .LBB871_1025
; %bb.1020:
	v_mul_u64_e32 v[6:7], s[12:13], v[12:13]
	v_mul_u64_e32 v[8:9], s[12:13], v[22:23]
	s_mov_b32 s29, 0
	s_mov_b64 s[8:9], s[12:13]
                                        ; implicit-def: $sgpr30
                                        ; implicit-def: $sgpr31
                                        ; implicit-def: $sgpr33
                                        ; implicit-def: $sgpr34
	s_delay_alu instid0(VALU_DEP_2) | instskip(NEXT) | instid1(VALU_DEP_2)
	v_lshl_add_u64 v[6:7], v[6:7], 2, s[14:15]
	v_lshl_add_u64 v[8:9], v[8:9], 2, s[14:15]
	s_branch .LBB871_1022
.LBB871_1021:                           ;   in Loop: Header=BB871_1022 Depth=1
	s_or_b32 exec_lo, exec_lo, s7
	s_delay_alu instid0(SALU_CYCLE_1) | instskip(NEXT) | instid1(SALU_CYCLE_1)
	s_and_b32 s7, exec_lo, s31
	s_or_b32 s29, s7, s29
	s_and_not1_b32 s7, s34, exec_lo
	s_and_b32 s34, s35, exec_lo
	s_and_not1_b32 s30, s30, exec_lo
	s_and_b32 s35, s33, exec_lo
	s_or_b32 s34, s7, s34
	s_or_b32 s30, s30, s35
	s_and_not1_b32 exec_lo, exec_lo, s29
	s_cbranch_execz .LBB871_1024
.LBB871_1022:                           ; =>This Inner Loop Header: Depth=1
	global_load_b32 v26, v[6:7], off
	global_load_b32 v27, v[8:9], off
	s_and_not1_b32 s33, s33, exec_lo
	s_or_b32 s31, s31, exec_lo
	s_wait_loadcnt 0x0
	v_cmp_ngt_f32_e32 vcc_lo, v26, v27
	v_cmp_lt_f32_e64 s7, v26, v27
	s_and_b32 s35, vcc_lo, s34
	s_xor_b32 s37, s7, vcc_lo
	s_or_b32 s35, s7, s35
	s_delay_alu instid0(SALU_CYCLE_1) | instskip(NEXT) | instid1(SALU_CYCLE_1)
	s_and_b32 s36, s35, exec_lo
	s_or_b32 s33, s33, s36
	s_and_saveexec_b32 s7, s37
	s_cbranch_execz .LBB871_1021
; %bb.1023:                             ;   in Loop: Header=BB871_1022 Depth=1
	s_add_nc_u64 s[8:9], s[8:9], -1
	v_add_nc_u64_e32 v[6:7], 4, v[6:7]
	s_cmp_eq_u64 s[8:9], 0
	v_add_nc_u64_e32 v[8:9], 4, v[8:9]
	s_cselect_b32 s34, -1, 0
	s_and_not1_b32 s31, s31, exec_lo
	s_and_b32 s34, s34, exec_lo
	s_and_not1_b32 s33, s33, exec_lo
	s_or_b32 s31, s31, s34
                                        ; implicit-def: $sgpr34
	s_branch .LBB871_1021
.LBB871_1024:
	s_or_b32 exec_lo, exec_lo, s29
	s_xor_b32 s7, s30, -1
	s_and_not1_b32 s8, s25, exec_lo
	s_and_b32 s7, s7, exec_lo
	s_delay_alu instid0(SALU_CYCLE_1)
	s_or_b32 s25, s8, s7
.LBB871_1025:
	s_or_b32 exec_lo, exec_lo, s28
	s_delay_alu instid0(SALU_CYCLE_1)
	s_or_not1_b32 s25, s25, exec_lo
.LBB871_1026:
	s_or_b32 exec_lo, exec_lo, s27
	v_cndmask_b32_e64 v6, v24, v25, s25
	v_cndmask_b32_e64 v7, v48, v47, s25
	s_mov_b32 s27, exec_lo
	s_delay_alu instid0(VALU_DEP_2) | instskip(NEXT) | instid1(VALU_DEP_1)
	v_add_nc_u32_e32 v6, 1, v6
	v_add_min_u32_e64 v7, v7, -1, v6
	v_dual_cndmask_b32 v28, v6, v24, s25 :: v_dual_cndmask_b32 v29, v25, v6, s25
	s_delay_alu instid0(VALU_DEP_2)
	v_lshl_add_u32 v7, v7, 3, v43
	ds_load_b64 v[8:9], v7
	s_wait_dscnt 0x0
	v_dual_cndmask_b32 v7, v9, v13, s25 :: v_dual_cndmask_b32 v6, v8, v12, s25
	v_dual_cndmask_b32 v25, v23, v9, s25 :: v_dual_cndmask_b32 v24, v22, v8, s25
	v_cmpx_lt_u32_e64 v28, v48
	s_cbranch_execz .LBB871_1034
; %bb.1027:
	v_cmp_lt_u32_e64 s26, v29, v47
	s_and_b32 s7, s26, s22
	s_delay_alu instid0(SALU_CYCLE_1)
	s_and_saveexec_b32 s28, s7
	s_cbranch_execz .LBB871_1033
; %bb.1028:
	v_mul_u64_e32 v[8:9], s[12:13], v[6:7]
	v_mul_u64_e32 v[26:27], s[12:13], v[24:25]
	s_mov_b32 s29, 0
	s_mov_b64 s[8:9], s[12:13]
                                        ; implicit-def: $sgpr30
                                        ; implicit-def: $sgpr31
                                        ; implicit-def: $sgpr33
                                        ; implicit-def: $sgpr34
	s_delay_alu instid0(VALU_DEP_2) | instskip(NEXT) | instid1(VALU_DEP_2)
	v_lshl_add_u64 v[8:9], v[8:9], 2, s[14:15]
	v_lshl_add_u64 v[26:27], v[26:27], 2, s[14:15]
	s_branch .LBB871_1030
.LBB871_1029:                           ;   in Loop: Header=BB871_1030 Depth=1
	s_or_b32 exec_lo, exec_lo, s7
	s_delay_alu instid0(SALU_CYCLE_1) | instskip(NEXT) | instid1(SALU_CYCLE_1)
	s_and_b32 s7, exec_lo, s31
	s_or_b32 s29, s7, s29
	s_and_not1_b32 s7, s34, exec_lo
	s_and_b32 s34, s35, exec_lo
	s_and_not1_b32 s30, s30, exec_lo
	s_and_b32 s35, s33, exec_lo
	s_or_b32 s34, s7, s34
	s_or_b32 s30, s30, s35
	s_and_not1_b32 exec_lo, exec_lo, s29
	s_cbranch_execz .LBB871_1032
.LBB871_1030:                           ; =>This Inner Loop Header: Depth=1
	global_load_b32 v30, v[8:9], off
	global_load_b32 v31, v[26:27], off
	s_and_not1_b32 s33, s33, exec_lo
	s_or_b32 s31, s31, exec_lo
	s_wait_loadcnt 0x0
	v_cmp_ngt_f32_e32 vcc_lo, v30, v31
	v_cmp_lt_f32_e64 s7, v30, v31
	s_and_b32 s35, vcc_lo, s34
	s_xor_b32 s37, s7, vcc_lo
	s_or_b32 s35, s7, s35
	s_delay_alu instid0(SALU_CYCLE_1) | instskip(NEXT) | instid1(SALU_CYCLE_1)
	s_and_b32 s36, s35, exec_lo
	s_or_b32 s33, s33, s36
	s_and_saveexec_b32 s7, s37
	s_cbranch_execz .LBB871_1029
; %bb.1031:                             ;   in Loop: Header=BB871_1030 Depth=1
	s_add_nc_u64 s[8:9], s[8:9], -1
	v_add_nc_u64_e32 v[8:9], 4, v[8:9]
	s_cmp_eq_u64 s[8:9], 0
	v_add_nc_u64_e32 v[26:27], 4, v[26:27]
	s_cselect_b32 s34, -1, 0
	s_and_not1_b32 s31, s31, exec_lo
	s_and_b32 s34, s34, exec_lo
	s_and_not1_b32 s33, s33, exec_lo
	s_or_b32 s31, s31, s34
                                        ; implicit-def: $sgpr34
	s_branch .LBB871_1029
.LBB871_1032:
	s_or_b32 exec_lo, exec_lo, s29
	s_xor_b32 s7, s30, -1
	s_and_not1_b32 s8, s26, exec_lo
	s_and_b32 s7, s7, exec_lo
	s_delay_alu instid0(SALU_CYCLE_1)
	s_or_b32 s26, s8, s7
.LBB871_1033:
	s_or_b32 exec_lo, exec_lo, s28
	s_delay_alu instid0(SALU_CYCLE_1)
	s_or_not1_b32 s26, s26, exec_lo
.LBB871_1034:
	s_or_b32 exec_lo, exec_lo, s27
	v_cndmask_b32_e64 v8, v28, v29, s26
	v_cndmask_b32_e64 v9, v48, v47, s26
	s_mov_b32 s27, -1
	s_mov_b32 s28, -1
	s_mov_b32 s29, exec_lo
	v_add_nc_u32_e32 v8, 1, v8
	s_delay_alu instid0(VALU_DEP_1) | instskip(NEXT) | instid1(VALU_DEP_1)
	v_add_min_u32_e64 v9, v9, -1, v8
	v_lshl_add_u32 v9, v9, 3, v43
	ds_load_b64 v[26:27], v9
	v_cndmask_b32_e64 v32, v8, v28, s26
	s_wait_dscnt 0x0
	v_dual_cndmask_b32 v33, v29, v8, s26 :: v_dual_cndmask_b32 v9, v27, v7, s26
	v_dual_cndmask_b32 v8, v26, v6, s26 :: v_dual_cndmask_b32 v27, v25, v27, s26
	v_cndmask_b32_e64 v26, v24, v26, s26
	v_cmpx_lt_u32_e64 v32, v48
	s_cbranch_execz .LBB871_1042
; %bb.1035:
	v_cmp_lt_u32_e64 s28, v33, v47
	s_and_b32 s7, s28, s22
	s_delay_alu instid0(SALU_CYCLE_1)
	s_and_saveexec_b32 s30, s7
	s_cbranch_execz .LBB871_1041
; %bb.1036:
	v_mul_u64_e32 v[28:29], s[12:13], v[8:9]
	v_mul_u64_e32 v[30:31], s[12:13], v[26:27]
	s_mov_b32 s31, 0
	s_mov_b64 s[8:9], s[12:13]
                                        ; implicit-def: $sgpr33
                                        ; implicit-def: $sgpr34
                                        ; implicit-def: $sgpr35
                                        ; implicit-def: $sgpr36
	s_delay_alu instid0(VALU_DEP_2) | instskip(NEXT) | instid1(VALU_DEP_2)
	v_lshl_add_u64 v[28:29], v[28:29], 2, s[14:15]
	v_lshl_add_u64 v[30:31], v[30:31], 2, s[14:15]
	s_branch .LBB871_1038
.LBB871_1037:                           ;   in Loop: Header=BB871_1038 Depth=1
	s_or_b32 exec_lo, exec_lo, s7
	s_delay_alu instid0(SALU_CYCLE_1) | instskip(NEXT) | instid1(SALU_CYCLE_1)
	s_and_b32 s7, exec_lo, s34
	s_or_b32 s31, s7, s31
	s_and_not1_b32 s7, s36, exec_lo
	s_and_b32 s36, s37, exec_lo
	s_and_not1_b32 s33, s33, exec_lo
	s_and_b32 s37, s35, exec_lo
	s_or_b32 s36, s7, s36
	s_or_b32 s33, s33, s37
	s_and_not1_b32 exec_lo, exec_lo, s31
	s_cbranch_execz .LBB871_1040
.LBB871_1038:                           ; =>This Inner Loop Header: Depth=1
	global_load_b32 v34, v[28:29], off
	global_load_b32 v35, v[30:31], off
	s_and_not1_b32 s35, s35, exec_lo
	s_or_b32 s34, s34, exec_lo
	s_wait_loadcnt 0x0
	v_cmp_ngt_f32_e32 vcc_lo, v34, v35
	v_cmp_lt_f32_e64 s7, v34, v35
	s_and_b32 s37, vcc_lo, s36
	s_xor_b32 s39, s7, vcc_lo
	s_or_b32 s37, s7, s37
	s_delay_alu instid0(SALU_CYCLE_1) | instskip(NEXT) | instid1(SALU_CYCLE_1)
	s_and_b32 s38, s37, exec_lo
	s_or_b32 s35, s35, s38
	s_and_saveexec_b32 s7, s39
	s_cbranch_execz .LBB871_1037
; %bb.1039:                             ;   in Loop: Header=BB871_1038 Depth=1
	s_add_nc_u64 s[8:9], s[8:9], -1
	v_add_nc_u64_e32 v[28:29], 4, v[28:29]
	s_cmp_eq_u64 s[8:9], 0
	v_add_nc_u64_e32 v[30:31], 4, v[30:31]
	s_cselect_b32 s36, -1, 0
	s_and_not1_b32 s34, s34, exec_lo
	s_and_b32 s36, s36, exec_lo
	s_and_not1_b32 s35, s35, exec_lo
	s_or_b32 s34, s34, s36
                                        ; implicit-def: $sgpr36
	s_branch .LBB871_1037
.LBB871_1040:
	s_or_b32 exec_lo, exec_lo, s31
	s_xor_b32 s7, s33, -1
	s_and_not1_b32 s8, s28, exec_lo
	s_and_b32 s7, s7, exec_lo
	s_delay_alu instid0(SALU_CYCLE_1)
	s_or_b32 s28, s8, s7
.LBB871_1041:
	s_or_b32 exec_lo, exec_lo, s30
	s_delay_alu instid0(SALU_CYCLE_1)
	s_or_not1_b32 s28, s28, exec_lo
.LBB871_1042:
	s_or_b32 exec_lo, exec_lo, s29
	v_cndmask_b32_e64 v28, v32, v33, s28
	v_cndmask_b32_e64 v29, v48, v47, s28
	s_mov_b32 s29, exec_lo
	s_delay_alu instid0(VALU_DEP_2) | instskip(NEXT) | instid1(VALU_DEP_1)
	v_add_nc_u32_e32 v28, 1, v28
	v_add_min_u32_e64 v29, v29, -1, v28
	s_delay_alu instid0(VALU_DEP_1)
	v_lshl_add_u32 v29, v29, 3, v43
	ds_load_b64 v[30:31], v29
	v_cndmask_b32_e64 v50, v28, v32, s28
	s_wait_dscnt 0x0
	v_dual_cndmask_b32 v49, v33, v28, s28 :: v_dual_cndmask_b32 v29, v31, v9, s28
	v_dual_cndmask_b32 v28, v30, v8, s28 :: v_dual_cndmask_b32 v31, v27, v31, s28
	v_cndmask_b32_e64 v30, v26, v30, s28
	v_cmpx_lt_u32_e64 v50, v48
	s_cbranch_execz .LBB871_1050
; %bb.1043:
	v_cmp_lt_u32_e64 s27, v49, v47
	s_and_b32 s7, s27, s22
	s_delay_alu instid0(SALU_CYCLE_1)
	s_and_saveexec_b32 s30, s7
	s_cbranch_execz .LBB871_1049
; %bb.1044:
	v_mul_u64_e32 v[32:33], s[12:13], v[28:29]
	v_mul_u64_e32 v[34:35], s[12:13], v[30:31]
	s_mov_b32 s31, 0
	s_mov_b64 s[8:9], s[12:13]
                                        ; implicit-def: $sgpr33
                                        ; implicit-def: $sgpr34
                                        ; implicit-def: $sgpr35
                                        ; implicit-def: $sgpr36
	s_delay_alu instid0(VALU_DEP_2) | instskip(NEXT) | instid1(VALU_DEP_2)
	v_lshl_add_u64 v[32:33], v[32:33], 2, s[14:15]
	v_lshl_add_u64 v[34:35], v[34:35], 2, s[14:15]
	s_branch .LBB871_1046
.LBB871_1045:                           ;   in Loop: Header=BB871_1046 Depth=1
	s_or_b32 exec_lo, exec_lo, s7
	s_delay_alu instid0(SALU_CYCLE_1) | instskip(NEXT) | instid1(SALU_CYCLE_1)
	s_and_b32 s7, exec_lo, s34
	s_or_b32 s31, s7, s31
	s_and_not1_b32 s7, s36, exec_lo
	s_and_b32 s36, s37, exec_lo
	s_and_not1_b32 s33, s33, exec_lo
	s_and_b32 s37, s35, exec_lo
	s_or_b32 s36, s7, s36
	s_or_b32 s33, s33, s37
	s_and_not1_b32 exec_lo, exec_lo, s31
	s_cbranch_execz .LBB871_1048
.LBB871_1046:                           ; =>This Inner Loop Header: Depth=1
	global_load_b32 v51, v[32:33], off
	global_load_b32 v52, v[34:35], off
	s_and_not1_b32 s35, s35, exec_lo
	s_or_b32 s34, s34, exec_lo
	s_wait_loadcnt 0x0
	v_cmp_ngt_f32_e32 vcc_lo, v51, v52
	v_cmp_lt_f32_e64 s7, v51, v52
	s_and_b32 s37, vcc_lo, s36
	s_xor_b32 s39, s7, vcc_lo
	s_or_b32 s37, s7, s37
	s_delay_alu instid0(SALU_CYCLE_1) | instskip(NEXT) | instid1(SALU_CYCLE_1)
	s_and_b32 s38, s37, exec_lo
	s_or_b32 s35, s35, s38
	s_and_saveexec_b32 s7, s39
	s_cbranch_execz .LBB871_1045
; %bb.1047:                             ;   in Loop: Header=BB871_1046 Depth=1
	s_add_nc_u64 s[8:9], s[8:9], -1
	v_add_nc_u64_e32 v[32:33], 4, v[32:33]
	s_cmp_eq_u64 s[8:9], 0
	v_add_nc_u64_e32 v[34:35], 4, v[34:35]
	s_cselect_b32 s36, -1, 0
	s_and_not1_b32 s34, s34, exec_lo
	s_and_b32 s36, s36, exec_lo
	s_and_not1_b32 s35, s35, exec_lo
	s_or_b32 s34, s34, s36
                                        ; implicit-def: $sgpr36
	s_branch .LBB871_1045
.LBB871_1048:
	s_or_b32 exec_lo, exec_lo, s31
	s_xor_b32 s7, s33, -1
	s_and_not1_b32 s8, s27, exec_lo
	s_and_b32 s7, s7, exec_lo
	s_delay_alu instid0(SALU_CYCLE_1)
	s_or_b32 s27, s8, s7
.LBB871_1049:
	s_or_b32 exec_lo, exec_lo, s30
	s_delay_alu instid0(SALU_CYCLE_1)
	s_or_not1_b32 s27, s27, exec_lo
.LBB871_1050:
	s_or_b32 exec_lo, exec_lo, s29
	v_dual_cndmask_b32 v32, v50, v49, s27 :: v_dual_cndmask_b32 v33, v48, v47, s27
	v_dual_cndmask_b32 v8, v8, v26, s28 :: v_dual_cndmask_b32 v7, v7, v25, s26
	;; [unrolled: 1-line block ×3, first 2 shown]
	s_delay_alu instid0(VALU_DEP_3) | instskip(SKIP_2) | instid1(VALU_DEP_3)
	v_dual_add_nc_u32 v34, 1, v32 :: v_dual_cndmask_b32 v9, v9, v27, s28
	v_dual_cndmask_b32 v12, v12, v22, s25 :: v_dual_cndmask_b32 v11, v11, v17, s24
	v_dual_cndmask_b32 v10, v10, v16, s24 :: v_dual_cndmask_b32 v17, v5, v15, s23
	v_add_min_u32_e64 v32, v33, -1, v34
	v_dual_cndmask_b32 v16, v4, v14, s23 :: v_dual_cndmask_b32 v15, v3, v1, s17
	v_dual_cndmask_b32 v14, v2, v0, s17 :: v_dual_cndmask_b32 v3, v29, v31, s27
	s_delay_alu instid0(VALU_DEP_3)
	v_lshl_add_u32 v32, v32, 3, v43
	s_mov_b32 s17, exec_lo
	ds_load_b64 v[32:33], v32
	v_cndmask_b32_e64 v0, v34, v50, s27
	s_wait_dscnt 0x0
	v_dual_cndmask_b32 v2, v28, v30, s27 :: v_dual_cndmask_b32 v4, v30, v32, s27
	v_cndmask_b32_e64 v5, v31, v33, s27
	s_delay_alu instid0(VALU_DEP_3)
	v_cmpx_lt_u32_e64 v0, v48
	s_cbranch_execz .LBB871_1058
; %bb.1051:
	v_dual_cndmask_b32 v22, v49, v34, s27 :: v_dual_cndmask_b32 v0, v32, v28, s27
	s_delay_alu instid0(VALU_DEP_1) | instskip(NEXT) | instid1(VALU_DEP_2)
	v_cmp_ge_u32_e32 vcc_lo, v22, v47
	v_dual_cndmask_b32 v1, v33, v29, s27 :: v_dual_cndmask_b32 v22, v4, v0, vcc_lo
	s_delay_alu instid0(VALU_DEP_1) | instskip(SKIP_1) | instid1(SALU_CYCLE_1)
	v_cndmask_b32_e32 v23, v5, v1, vcc_lo
	s_nor_b32 s7, vcc_lo, s19
	s_and_saveexec_b32 s23, s7
	s_cbranch_execz .LBB871_1057
; %bb.1052:
	v_mul_u64_e32 v[22:23], s[12:13], v[0:1]
	v_mul_u64_e32 v[24:25], s[12:13], v[4:5]
	s_mov_b32 s24, 0
	s_mov_b64 s[8:9], s[12:13]
                                        ; implicit-def: $sgpr25
                                        ; implicit-def: $sgpr26
                                        ; implicit-def: $sgpr27
                                        ; implicit-def: $sgpr28
	s_delay_alu instid0(VALU_DEP_2) | instskip(NEXT) | instid1(VALU_DEP_2)
	v_lshl_add_u64 v[22:23], v[22:23], 2, s[14:15]
	v_lshl_add_u64 v[24:25], v[24:25], 2, s[14:15]
	s_branch .LBB871_1054
.LBB871_1053:                           ;   in Loop: Header=BB871_1054 Depth=1
	s_or_b32 exec_lo, exec_lo, s7
	s_delay_alu instid0(SALU_CYCLE_1) | instskip(NEXT) | instid1(SALU_CYCLE_1)
	s_and_b32 s7, exec_lo, s26
	s_or_b32 s24, s7, s24
	s_and_not1_b32 s7, s28, exec_lo
	s_and_b32 s28, s29, exec_lo
	s_and_not1_b32 s25, s25, exec_lo
	s_and_b32 s29, s27, exec_lo
	s_or_b32 s28, s7, s28
	s_or_b32 s25, s25, s29
	s_and_not1_b32 exec_lo, exec_lo, s24
	s_cbranch_execz .LBB871_1056
.LBB871_1054:                           ; =>This Inner Loop Header: Depth=1
	global_load_b32 v26, v[22:23], off
	global_load_b32 v27, v[24:25], off
	s_and_not1_b32 s27, s27, exec_lo
	s_or_b32 s26, s26, exec_lo
	s_wait_loadcnt 0x0
	v_cmp_ngt_f32_e32 vcc_lo, v26, v27
	v_cmp_lt_f32_e64 s7, v26, v27
	s_and_b32 s29, vcc_lo, s28
	s_xor_b32 s31, s7, vcc_lo
	s_or_b32 s29, s7, s29
	s_delay_alu instid0(SALU_CYCLE_1) | instskip(NEXT) | instid1(SALU_CYCLE_1)
	s_and_b32 s30, s29, exec_lo
	s_or_b32 s27, s27, s30
	s_and_saveexec_b32 s7, s31
	s_cbranch_execz .LBB871_1053
; %bb.1055:                             ;   in Loop: Header=BB871_1054 Depth=1
	s_add_nc_u64 s[8:9], s[8:9], -1
	v_add_nc_u64_e32 v[22:23], 4, v[22:23]
	s_cmp_eq_u64 s[8:9], 0
	v_add_nc_u64_e32 v[24:25], 4, v[24:25]
	s_cselect_b32 s28, -1, 0
	s_and_not1_b32 s26, s26, exec_lo
	s_and_b32 s28, s28, exec_lo
	s_and_not1_b32 s27, s27, exec_lo
	s_or_b32 s26, s26, s28
                                        ; implicit-def: $sgpr28
	s_branch .LBB871_1053
.LBB871_1056:
	s_or_b32 exec_lo, exec_lo, s24
	v_dual_cndmask_b32 v23, v5, v1, s25 :: v_dual_cndmask_b32 v22, v4, v0, s25
.LBB871_1057:
	s_or_b32 exec_lo, exec_lo, s23
	s_delay_alu instid0(VALU_DEP_1)
	v_mov_b64_e32 v[4:5], v[22:23]
.LBB871_1058:
	s_or_b32 exec_lo, exec_lo, s17
.LBB871_1059:
	s_delay_alu instid0(SALU_CYCLE_1)
	s_or_b32 exec_lo, exec_lo, s16
	v_and_b32_e32 v26, 0x80, v45
	s_mov_b32 s23, exec_lo
	; wave barrier
	ds_store_b128 v46, v[14:17]
	ds_store_b128 v46, v[10:13] offset:16
	v_or_b32_e32 v0, 64, v26
	v_lshl_add_u32 v25, v26, 3, v43
	ds_store_b128 v46, v[6:9] offset:32
	ds_store_b128 v46, v[2:5] offset:48
	; wave barrier
	v_min_u32_e32 v47, v44, v0
	v_and_b32_e32 v0, 0x78, v45
	s_delay_alu instid0(VALU_DEP_2) | instskip(NEXT) | instid1(VALU_DEP_2)
	v_add_min_u32_e64 v45, v47, 64, v44
	v_min_u32_e32 v27, v44, v0
	s_delay_alu instid0(VALU_DEP_2) | instskip(NEXT) | instid1(VALU_DEP_1)
	v_dual_sub_nc_u32 v1, v47, v26 :: v_dual_sub_nc_u32 v0, v45, v47
	v_min_u32_e32 v28, v27, v1
	s_delay_alu instid0(VALU_DEP_2) | instskip(NEXT) | instid1(VALU_DEP_1)
	v_sub_nc_u32_e64 v24, v27, v0 clamp
	v_cmpx_lt_u32_e64 v24, v28
	s_cbranch_execz .LBB871_1069
; %bb.1060:
	v_lshlrev_b32_e32 v0, 3, v47
	v_lshlrev_b32_e32 v1, 3, v27
	s_lshl_b64 s[8:9], s[12:13], 2
	s_mov_b32 s24, 0
	s_delay_alu instid0(VALU_DEP_1)
	v_add3_u32 v29, v43, v0, v1
	s_branch .LBB871_1063
.LBB871_1061:                           ;   in Loop: Header=BB871_1063 Depth=1
	s_or_b32 exec_lo, exec_lo, s26
.LBB871_1062:                           ;   in Loop: Header=BB871_1063 Depth=1
	s_delay_alu instid0(VALU_DEP_1) | instskip(NEXT) | instid1(VALU_DEP_1)
	v_dual_add_nc_u32 v0, 1, v30 :: v_dual_cndmask_b32 v28, v28, v30, s25
	v_cndmask_b32_e64 v24, v0, v24, s25
	s_delay_alu instid0(VALU_DEP_1) | instskip(SKIP_1) | instid1(SALU_CYCLE_1)
	v_cmp_ge_u32_e32 vcc_lo, v24, v28
	s_or_b32 s24, vcc_lo, s24
	s_and_not1_b32 exec_lo, exec_lo, s24
	s_cbranch_execz .LBB871_1068
.LBB871_1063:                           ; =>This Loop Header: Depth=1
                                        ;     Child Loop BB871_1066 Depth 2
	v_add_nc_u32_e32 v0, v28, v24
	s_and_not1_b32 vcc_lo, exec_lo, s18
	s_mov_b32 s25, 0
	s_delay_alu instid0(VALU_DEP_1)
	v_lshrrev_b32_e32 v30, 1, v0
	s_cbranch_vccnz .LBB871_1062
; %bb.1064:                             ;   in Loop: Header=BB871_1063 Depth=1
	s_delay_alu instid0(VALU_DEP_1) | instskip(SKIP_3) | instid1(VALU_DEP_2)
	v_not_b32_e32 v0, v30
	v_lshl_add_u32 v1, v30, 3, v25
	s_mov_b32 s26, 0
	s_mov_b64 s[16:17], s[12:13]
                                        ; implicit-def: $sgpr25
                                        ; implicit-def: $sgpr27
                                        ; implicit-def: $sgpr28
                                        ; implicit-def: $sgpr29
	v_lshl_add_u32 v0, v0, 3, v29
	ds_load_b64 v[32:33], v0
	ds_load_b64 v[34:35], v1
	s_wait_dscnt 0x1
	v_mad_nc_u64_u32 v[0:1], s8, v32, s[14:15]
	s_wait_dscnt 0x0
	v_mad_nc_u64_u32 v[22:23], s8, v34, s[14:15]
	s_delay_alu instid0(VALU_DEP_2) | instskip(NEXT) | instid1(VALU_DEP_2)
	v_mad_u32 v1, s9, v32, v1
	v_mad_u32 v23, s9, v34, v23
	s_delay_alu instid0(VALU_DEP_2) | instskip(NEXT) | instid1(VALU_DEP_2)
	v_mad_u32 v1, s8, v33, v1
	v_mad_u32 v23, s8, v35, v23
	s_branch .LBB871_1066
.LBB871_1065:                           ;   in Loop: Header=BB871_1066 Depth=2
	s_or_b32 exec_lo, exec_lo, s7
	s_delay_alu instid0(SALU_CYCLE_1) | instskip(NEXT) | instid1(SALU_CYCLE_1)
	s_and_b32 s7, exec_lo, s27
	s_or_b32 s26, s7, s26
	s_and_not1_b32 s7, s29, exec_lo
	s_and_b32 s29, s30, exec_lo
	s_and_not1_b32 s25, s25, exec_lo
	s_and_b32 s30, s28, exec_lo
	s_or_b32 s29, s7, s29
	s_or_b32 s25, s25, s30
	s_and_not1_b32 exec_lo, exec_lo, s26
	s_cbranch_execz .LBB871_1061
.LBB871_1066:                           ;   Parent Loop BB871_1063 Depth=1
                                        ; =>  This Inner Loop Header: Depth=2
	global_load_b32 v31, v[0:1], off
	global_load_b32 v32, v[22:23], off
	s_and_not1_b32 s28, s28, exec_lo
	s_or_b32 s27, s27, exec_lo
	s_wait_loadcnt 0x0
	v_cmp_ngt_f32_e32 vcc_lo, v31, v32
	v_cmp_lt_f32_e64 s7, v31, v32
	s_and_b32 s30, vcc_lo, s29
	s_xor_b32 s33, s7, vcc_lo
	s_or_b32 s30, s7, s30
	s_delay_alu instid0(SALU_CYCLE_1) | instskip(NEXT) | instid1(SALU_CYCLE_1)
	s_and_b32 s31, s30, exec_lo
	s_or_b32 s28, s28, s31
	s_and_saveexec_b32 s7, s33
	s_cbranch_execz .LBB871_1065
; %bb.1067:                             ;   in Loop: Header=BB871_1066 Depth=2
	s_add_nc_u64 s[16:17], s[16:17], -1
	v_add_nc_u64_e32 v[0:1], 4, v[0:1]
	s_cmp_eq_u64 s[16:17], 0
	v_add_nc_u64_e32 v[22:23], 4, v[22:23]
	s_cselect_b32 s29, -1, 0
	s_and_not1_b32 s27, s27, exec_lo
	s_and_b32 s29, s29, exec_lo
	s_and_not1_b32 s28, s28, exec_lo
	s_or_b32 s27, s27, s29
                                        ; implicit-def: $sgpr29
	s_branch .LBB871_1065
.LBB871_1068:
	s_or_b32 exec_lo, exec_lo, s24
.LBB871_1069:
	s_delay_alu instid0(SALU_CYCLE_1) | instskip(SKIP_1) | instid1(VALU_DEP_1)
	s_or_b32 exec_lo, exec_lo, s23
	v_dual_add_nc_u32 v0, v47, v27 :: v_dual_add_nc_u32 v22, v24, v26
	v_sub_nc_u32_e32 v23, v0, v24
	s_delay_alu instid0(VALU_DEP_2) | instskip(NEXT) | instid1(VALU_DEP_2)
	v_cmp_le_u32_e32 vcc_lo, v22, v47
	v_cmp_le_u32_e64 s7, v23, v45
	s_or_b32 s7, vcc_lo, s7
	s_delay_alu instid0(SALU_CYCLE_1)
	s_and_saveexec_b32 s16, s7
	s_cbranch_execz .LBB871_1137
; %bb.1070:
	s_mov_b32 s8, exec_lo
	v_cmp_ge_u32_e32 vcc_lo, v22, v47
                                        ; implicit-def: $vgpr0_vgpr1
	v_cmpx_lt_u32_e64 v22, v47
; %bb.1071:
	v_lshl_add_u32 v0, v24, 3, v25
	ds_load_b64 v[0:1], v0
; %bb.1072:
	s_or_b32 exec_lo, exec_lo, s8
	v_cmp_ge_u32_e64 s7, v23, v45
	s_mov_b32 s9, exec_lo
                                        ; implicit-def: $vgpr2_vgpr3
	v_cmpx_lt_u32_e64 v23, v45
; %bb.1073:
	v_lshl_add_u32 v2, v23, 3, v43
	ds_load_b64 v[2:3], v2
; %bb.1074:
	s_or_b32 exec_lo, exec_lo, s9
	s_or_b32 s8, vcc_lo, s7
	s_xor_b32 s9, vcc_lo, -1
	s_nor_b32 s8, s8, s19
	s_or_b32 s17, s7, s9
	s_and_saveexec_b32 s23, s8
	s_cbranch_execz .LBB871_1080
; %bb.1075:
	s_wait_dscnt 0x0
	v_mul_u64_e32 v[4:5], s[12:13], v[2:3]
	v_mul_u64_e32 v[6:7], s[12:13], v[0:1]
	s_mov_b32 s24, 0
	s_mov_b64 s[8:9], s[12:13]
                                        ; implicit-def: $sgpr25
                                        ; implicit-def: $sgpr26
                                        ; implicit-def: $sgpr27
                                        ; implicit-def: $sgpr28
	s_delay_alu instid0(VALU_DEP_2) | instskip(NEXT) | instid1(VALU_DEP_2)
	v_lshl_add_u64 v[4:5], v[4:5], 2, s[14:15]
	v_lshl_add_u64 v[6:7], v[6:7], 2, s[14:15]
	s_branch .LBB871_1077
.LBB871_1076:                           ;   in Loop: Header=BB871_1077 Depth=1
	s_or_b32 exec_lo, exec_lo, s7
	s_delay_alu instid0(SALU_CYCLE_1) | instskip(NEXT) | instid1(SALU_CYCLE_1)
	s_and_b32 s7, exec_lo, s26
	s_or_b32 s24, s7, s24
	s_and_not1_b32 s7, s28, exec_lo
	s_and_b32 s28, s29, exec_lo
	s_and_not1_b32 s25, s25, exec_lo
	s_and_b32 s29, s27, exec_lo
	s_or_b32 s28, s7, s28
	s_or_b32 s25, s25, s29
	s_and_not1_b32 exec_lo, exec_lo, s24
	s_cbranch_execz .LBB871_1079
.LBB871_1077:                           ; =>This Inner Loop Header: Depth=1
	global_load_b32 v8, v[4:5], off
	global_load_b32 v9, v[6:7], off
	s_and_not1_b32 s27, s27, exec_lo
	s_or_b32 s26, s26, exec_lo
	s_wait_loadcnt 0x0
	v_cmp_ngt_f32_e32 vcc_lo, v8, v9
	v_cmp_lt_f32_e64 s7, v8, v9
	s_and_b32 s29, vcc_lo, s28
	s_xor_b32 s31, s7, vcc_lo
	s_or_b32 s29, s7, s29
	s_delay_alu instid0(SALU_CYCLE_1) | instskip(NEXT) | instid1(SALU_CYCLE_1)
	s_and_b32 s30, s29, exec_lo
	s_or_b32 s27, s27, s30
	s_and_saveexec_b32 s7, s31
	s_cbranch_execz .LBB871_1076
; %bb.1078:                             ;   in Loop: Header=BB871_1077 Depth=1
	s_add_nc_u64 s[8:9], s[8:9], -1
	v_add_nc_u64_e32 v[4:5], 4, v[4:5]
	s_cmp_eq_u64 s[8:9], 0
	v_add_nc_u64_e32 v[6:7], 4, v[6:7]
	s_cselect_b32 s28, -1, 0
	s_and_not1_b32 s26, s26, exec_lo
	s_and_b32 s28, s28, exec_lo
	s_and_not1_b32 s27, s27, exec_lo
	s_or_b32 s26, s26, s28
                                        ; implicit-def: $sgpr28
	s_branch .LBB871_1076
.LBB871_1079:
	s_or_b32 exec_lo, exec_lo, s24
	s_xor_b32 s7, s25, -1
	s_and_not1_b32 s8, s17, exec_lo
	s_and_b32 s7, s7, exec_lo
	s_delay_alu instid0(SALU_CYCLE_1)
	s_or_b32 s17, s8, s7
.LBB871_1080:
	s_or_b32 exec_lo, exec_lo, s23
	v_dual_cndmask_b32 v4, v23, v22, s17 :: v_dual_cndmask_b32 v5, v45, v47, s17
	s_mov_b32 s24, -1
	s_mov_b32 s23, -1
	s_mov_b32 s25, exec_lo
	s_delay_alu instid0(VALU_DEP_1) | instskip(NEXT) | instid1(VALU_DEP_1)
	v_add_nc_u32_e32 v4, 1, v4
	v_add_min_u32_e64 v5, v5, -1, v4
	s_delay_alu instid0(VALU_DEP_1)
	v_lshl_add_u32 v5, v5, 3, v43
	ds_load_b64 v[6:7], v5
	s_wait_dscnt 0x0
	v_cndmask_b32_e64 v5, v7, v3, s17
	v_dual_cndmask_b32 v10, v4, v23, s17 :: v_dual_cndmask_b32 v11, v22, v4, s17
	v_dual_cndmask_b32 v4, v6, v2, s17 :: v_dual_cndmask_b32 v15, v1, v7, s17
	v_cndmask_b32_e64 v14, v0, v6, s17
	s_delay_alu instid0(VALU_DEP_3)
	v_cmpx_lt_u32_e64 v10, v45
	s_cbranch_execz .LBB871_1088
; %bb.1081:
	v_cmp_lt_u32_e64 s23, v11, v47
	s_and_b32 s7, s23, s22
	s_delay_alu instid0(SALU_CYCLE_1)
	s_and_saveexec_b32 s26, s7
	s_cbranch_execz .LBB871_1087
; %bb.1082:
	v_mul_u64_e32 v[6:7], s[12:13], v[4:5]
	v_mul_u64_e32 v[8:9], s[12:13], v[14:15]
	s_mov_b32 s27, 0
	s_mov_b64 s[8:9], s[12:13]
                                        ; implicit-def: $sgpr28
                                        ; implicit-def: $sgpr29
                                        ; implicit-def: $sgpr30
                                        ; implicit-def: $sgpr31
	s_delay_alu instid0(VALU_DEP_2) | instskip(NEXT) | instid1(VALU_DEP_2)
	v_lshl_add_u64 v[6:7], v[6:7], 2, s[14:15]
	v_lshl_add_u64 v[8:9], v[8:9], 2, s[14:15]
	s_branch .LBB871_1084
.LBB871_1083:                           ;   in Loop: Header=BB871_1084 Depth=1
	s_or_b32 exec_lo, exec_lo, s7
	s_delay_alu instid0(SALU_CYCLE_1) | instskip(NEXT) | instid1(SALU_CYCLE_1)
	s_and_b32 s7, exec_lo, s29
	s_or_b32 s27, s7, s27
	s_and_not1_b32 s7, s31, exec_lo
	s_and_b32 s31, s33, exec_lo
	s_and_not1_b32 s28, s28, exec_lo
	s_and_b32 s33, s30, exec_lo
	s_or_b32 s31, s7, s31
	s_or_b32 s28, s28, s33
	s_and_not1_b32 exec_lo, exec_lo, s27
	s_cbranch_execz .LBB871_1086
.LBB871_1084:                           ; =>This Inner Loop Header: Depth=1
	global_load_b32 v12, v[6:7], off
	global_load_b32 v13, v[8:9], off
	s_and_not1_b32 s30, s30, exec_lo
	s_or_b32 s29, s29, exec_lo
	s_wait_loadcnt 0x0
	v_cmp_ngt_f32_e32 vcc_lo, v12, v13
	v_cmp_lt_f32_e64 s7, v12, v13
	s_and_b32 s33, vcc_lo, s31
	s_xor_b32 s35, s7, vcc_lo
	s_or_b32 s33, s7, s33
	s_delay_alu instid0(SALU_CYCLE_1) | instskip(NEXT) | instid1(SALU_CYCLE_1)
	s_and_b32 s34, s33, exec_lo
	s_or_b32 s30, s30, s34
	s_and_saveexec_b32 s7, s35
	s_cbranch_execz .LBB871_1083
; %bb.1085:                             ;   in Loop: Header=BB871_1084 Depth=1
	s_add_nc_u64 s[8:9], s[8:9], -1
	v_add_nc_u64_e32 v[6:7], 4, v[6:7]
	s_cmp_eq_u64 s[8:9], 0
	v_add_nc_u64_e32 v[8:9], 4, v[8:9]
	s_cselect_b32 s31, -1, 0
	s_and_not1_b32 s29, s29, exec_lo
	s_and_b32 s31, s31, exec_lo
	s_and_not1_b32 s30, s30, exec_lo
	s_or_b32 s29, s29, s31
                                        ; implicit-def: $sgpr31
	s_branch .LBB871_1083
.LBB871_1086:
	s_or_b32 exec_lo, exec_lo, s27
	s_xor_b32 s7, s28, -1
	s_and_not1_b32 s8, s23, exec_lo
	s_and_b32 s7, s7, exec_lo
	s_delay_alu instid0(SALU_CYCLE_1)
	s_or_b32 s23, s8, s7
.LBB871_1087:
	s_or_b32 exec_lo, exec_lo, s26
	s_delay_alu instid0(SALU_CYCLE_1)
	s_or_not1_b32 s23, s23, exec_lo
.LBB871_1088:
	s_or_b32 exec_lo, exec_lo, s25
	v_cndmask_b32_e64 v6, v10, v11, s23
	v_cndmask_b32_e64 v7, v45, v47, s23
	s_mov_b32 s25, exec_lo
	s_delay_alu instid0(VALU_DEP_2) | instskip(NEXT) | instid1(VALU_DEP_1)
	v_add_nc_u32_e32 v8, 1, v6
	v_add_min_u32_e64 v6, v7, -1, v8
	v_cndmask_b32_e64 v12, v8, v10, s23
	s_delay_alu instid0(VALU_DEP_2)
	v_lshl_add_u32 v6, v6, 3, v43
	ds_load_b64 v[6:7], v6
	s_wait_dscnt 0x0
	v_dual_cndmask_b32 v13, v11, v8, s23 :: v_dual_cndmask_b32 v16, v14, v6, s23
	v_dual_cndmask_b32 v11, v7, v5, s23 :: v_dual_cndmask_b32 v10, v6, v4, s23
	v_cndmask_b32_e64 v17, v15, v7, s23
	v_cmpx_lt_u32_e64 v12, v45
	s_cbranch_execz .LBB871_1096
; %bb.1089:
	v_cmp_lt_u32_e64 s24, v13, v47
	s_and_b32 s7, s24, s22
	s_delay_alu instid0(SALU_CYCLE_1)
	s_and_saveexec_b32 s26, s7
	s_cbranch_execz .LBB871_1095
; %bb.1090:
	v_mul_u64_e32 v[6:7], s[12:13], v[10:11]
	v_mul_u64_e32 v[8:9], s[12:13], v[16:17]
	s_mov_b32 s27, 0
	s_mov_b64 s[8:9], s[12:13]
                                        ; implicit-def: $sgpr28
                                        ; implicit-def: $sgpr29
                                        ; implicit-def: $sgpr30
                                        ; implicit-def: $sgpr31
	s_delay_alu instid0(VALU_DEP_2) | instskip(NEXT) | instid1(VALU_DEP_2)
	v_lshl_add_u64 v[6:7], v[6:7], 2, s[14:15]
	v_lshl_add_u64 v[8:9], v[8:9], 2, s[14:15]
	s_branch .LBB871_1092
.LBB871_1091:                           ;   in Loop: Header=BB871_1092 Depth=1
	s_or_b32 exec_lo, exec_lo, s7
	s_delay_alu instid0(SALU_CYCLE_1) | instskip(NEXT) | instid1(SALU_CYCLE_1)
	s_and_b32 s7, exec_lo, s29
	s_or_b32 s27, s7, s27
	s_and_not1_b32 s7, s31, exec_lo
	s_and_b32 s31, s33, exec_lo
	s_and_not1_b32 s28, s28, exec_lo
	s_and_b32 s33, s30, exec_lo
	s_or_b32 s31, s7, s31
	s_or_b32 s28, s28, s33
	s_and_not1_b32 exec_lo, exec_lo, s27
	s_cbranch_execz .LBB871_1094
.LBB871_1092:                           ; =>This Inner Loop Header: Depth=1
	global_load_b32 v22, v[6:7], off
	global_load_b32 v23, v[8:9], off
	s_and_not1_b32 s30, s30, exec_lo
	s_or_b32 s29, s29, exec_lo
	s_wait_loadcnt 0x0
	v_cmp_ngt_f32_e32 vcc_lo, v22, v23
	v_cmp_lt_f32_e64 s7, v22, v23
	s_and_b32 s33, vcc_lo, s31
	s_xor_b32 s35, s7, vcc_lo
	s_or_b32 s33, s7, s33
	s_delay_alu instid0(SALU_CYCLE_1) | instskip(NEXT) | instid1(SALU_CYCLE_1)
	s_and_b32 s34, s33, exec_lo
	s_or_b32 s30, s30, s34
	s_and_saveexec_b32 s7, s35
	s_cbranch_execz .LBB871_1091
; %bb.1093:                             ;   in Loop: Header=BB871_1092 Depth=1
	s_add_nc_u64 s[8:9], s[8:9], -1
	v_add_nc_u64_e32 v[6:7], 4, v[6:7]
	s_cmp_eq_u64 s[8:9], 0
	v_add_nc_u64_e32 v[8:9], 4, v[8:9]
	s_cselect_b32 s31, -1, 0
	s_and_not1_b32 s29, s29, exec_lo
	s_and_b32 s31, s31, exec_lo
	s_and_not1_b32 s30, s30, exec_lo
	s_or_b32 s29, s29, s31
                                        ; implicit-def: $sgpr31
	s_branch .LBB871_1091
.LBB871_1094:
	s_or_b32 exec_lo, exec_lo, s27
	s_xor_b32 s7, s28, -1
	s_and_not1_b32 s8, s24, exec_lo
	s_and_b32 s7, s7, exec_lo
	s_delay_alu instid0(SALU_CYCLE_1)
	s_or_b32 s24, s8, s7
.LBB871_1095:
	s_or_b32 exec_lo, exec_lo, s26
	s_delay_alu instid0(SALU_CYCLE_1)
	s_or_not1_b32 s24, s24, exec_lo
.LBB871_1096:
	s_or_b32 exec_lo, exec_lo, s25
	v_dual_cndmask_b32 v6, v12, v13, s24 :: v_dual_cndmask_b32 v7, v45, v47, s24
	s_mov_b32 s26, -1
	s_mov_b32 s25, -1
	s_mov_b32 s27, exec_lo
	s_delay_alu instid0(VALU_DEP_1) | instskip(NEXT) | instid1(VALU_DEP_1)
	v_add_nc_u32_e32 v8, 1, v6
	v_add_min_u32_e64 v6, v7, -1, v8
	s_delay_alu instid0(VALU_DEP_1)
	v_lshl_add_u32 v6, v6, 3, v43
	ds_load_b64 v[6:7], v6
	s_wait_dscnt 0x0
	v_dual_cndmask_b32 v25, v13, v8, s24 :: v_dual_cndmask_b32 v22, v16, v6, s24
	v_dual_cndmask_b32 v13, v7, v11, s24 :: v_dual_cndmask_b32 v24, v8, v12, s24
	;; [unrolled: 1-line block ×3, first 2 shown]
	s_delay_alu instid0(VALU_DEP_2)
	v_cmpx_lt_u32_e64 v24, v45
	s_cbranch_execz .LBB871_1104
; %bb.1097:
	v_cmp_lt_u32_e64 s25, v25, v47
	s_and_b32 s7, s25, s22
	s_delay_alu instid0(SALU_CYCLE_1)
	s_and_saveexec_b32 s28, s7
	s_cbranch_execz .LBB871_1103
; %bb.1098:
	v_mul_u64_e32 v[6:7], s[12:13], v[12:13]
	v_mul_u64_e32 v[8:9], s[12:13], v[22:23]
	s_mov_b32 s29, 0
	s_mov_b64 s[8:9], s[12:13]
                                        ; implicit-def: $sgpr30
                                        ; implicit-def: $sgpr31
                                        ; implicit-def: $sgpr33
                                        ; implicit-def: $sgpr34
	s_delay_alu instid0(VALU_DEP_2) | instskip(NEXT) | instid1(VALU_DEP_2)
	v_lshl_add_u64 v[6:7], v[6:7], 2, s[14:15]
	v_lshl_add_u64 v[8:9], v[8:9], 2, s[14:15]
	s_branch .LBB871_1100
.LBB871_1099:                           ;   in Loop: Header=BB871_1100 Depth=1
	s_or_b32 exec_lo, exec_lo, s7
	s_delay_alu instid0(SALU_CYCLE_1) | instskip(NEXT) | instid1(SALU_CYCLE_1)
	s_and_b32 s7, exec_lo, s31
	s_or_b32 s29, s7, s29
	s_and_not1_b32 s7, s34, exec_lo
	s_and_b32 s34, s35, exec_lo
	s_and_not1_b32 s30, s30, exec_lo
	s_and_b32 s35, s33, exec_lo
	s_or_b32 s34, s7, s34
	s_or_b32 s30, s30, s35
	s_and_not1_b32 exec_lo, exec_lo, s29
	s_cbranch_execz .LBB871_1102
.LBB871_1100:                           ; =>This Inner Loop Header: Depth=1
	global_load_b32 v26, v[6:7], off
	global_load_b32 v27, v[8:9], off
	s_and_not1_b32 s33, s33, exec_lo
	s_or_b32 s31, s31, exec_lo
	s_wait_loadcnt 0x0
	v_cmp_ngt_f32_e32 vcc_lo, v26, v27
	v_cmp_lt_f32_e64 s7, v26, v27
	s_and_b32 s35, vcc_lo, s34
	s_xor_b32 s37, s7, vcc_lo
	s_or_b32 s35, s7, s35
	s_delay_alu instid0(SALU_CYCLE_1) | instskip(NEXT) | instid1(SALU_CYCLE_1)
	s_and_b32 s36, s35, exec_lo
	s_or_b32 s33, s33, s36
	s_and_saveexec_b32 s7, s37
	s_cbranch_execz .LBB871_1099
; %bb.1101:                             ;   in Loop: Header=BB871_1100 Depth=1
	s_add_nc_u64 s[8:9], s[8:9], -1
	v_add_nc_u64_e32 v[6:7], 4, v[6:7]
	s_cmp_eq_u64 s[8:9], 0
	v_add_nc_u64_e32 v[8:9], 4, v[8:9]
	s_cselect_b32 s34, -1, 0
	s_and_not1_b32 s31, s31, exec_lo
	s_and_b32 s34, s34, exec_lo
	s_and_not1_b32 s33, s33, exec_lo
	s_or_b32 s31, s31, s34
                                        ; implicit-def: $sgpr34
	s_branch .LBB871_1099
.LBB871_1102:
	s_or_b32 exec_lo, exec_lo, s29
	s_xor_b32 s7, s30, -1
	s_and_not1_b32 s8, s25, exec_lo
	s_and_b32 s7, s7, exec_lo
	s_delay_alu instid0(SALU_CYCLE_1)
	s_or_b32 s25, s8, s7
.LBB871_1103:
	s_or_b32 exec_lo, exec_lo, s28
	s_delay_alu instid0(SALU_CYCLE_1)
	s_or_not1_b32 s25, s25, exec_lo
.LBB871_1104:
	s_or_b32 exec_lo, exec_lo, s27
	v_dual_cndmask_b32 v6, v24, v25, s25 :: v_dual_cndmask_b32 v7, v45, v47, s25
	s_mov_b32 s27, exec_lo
	s_delay_alu instid0(VALU_DEP_1) | instskip(NEXT) | instid1(VALU_DEP_1)
	v_add_nc_u32_e32 v6, 1, v6
	v_add_min_u32_e64 v7, v7, -1, v6
	s_delay_alu instid0(VALU_DEP_1)
	v_lshl_add_u32 v7, v7, 3, v43
	ds_load_b64 v[8:9], v7
	s_wait_dscnt 0x0
	v_dual_cndmask_b32 v7, v9, v13, s25 :: v_dual_cndmask_b32 v28, v6, v24, s25
	v_dual_cndmask_b32 v29, v25, v6, s25 :: v_dual_cndmask_b32 v6, v8, v12, s25
	;; [unrolled: 1-line block ×3, first 2 shown]
	s_delay_alu instid0(VALU_DEP_3)
	v_cmpx_lt_u32_e64 v28, v45
	s_cbranch_execz .LBB871_1112
; %bb.1105:
	s_delay_alu instid0(VALU_DEP_3) | instskip(SKIP_1) | instid1(SALU_CYCLE_1)
	v_cmp_lt_u32_e64 s26, v29, v47
	s_and_b32 s7, s26, s22
	s_and_saveexec_b32 s28, s7
	s_cbranch_execz .LBB871_1111
; %bb.1106:
	v_mul_u64_e32 v[8:9], s[12:13], v[6:7]
	v_mul_u64_e32 v[26:27], s[12:13], v[24:25]
	s_mov_b32 s29, 0
	s_mov_b64 s[8:9], s[12:13]
                                        ; implicit-def: $sgpr30
                                        ; implicit-def: $sgpr31
                                        ; implicit-def: $sgpr33
                                        ; implicit-def: $sgpr34
	s_delay_alu instid0(VALU_DEP_2) | instskip(NEXT) | instid1(VALU_DEP_2)
	v_lshl_add_u64 v[8:9], v[8:9], 2, s[14:15]
	v_lshl_add_u64 v[26:27], v[26:27], 2, s[14:15]
	s_branch .LBB871_1108
.LBB871_1107:                           ;   in Loop: Header=BB871_1108 Depth=1
	s_or_b32 exec_lo, exec_lo, s7
	s_delay_alu instid0(SALU_CYCLE_1) | instskip(NEXT) | instid1(SALU_CYCLE_1)
	s_and_b32 s7, exec_lo, s31
	s_or_b32 s29, s7, s29
	s_and_not1_b32 s7, s34, exec_lo
	s_and_b32 s34, s35, exec_lo
	s_and_not1_b32 s30, s30, exec_lo
	s_and_b32 s35, s33, exec_lo
	s_or_b32 s34, s7, s34
	s_or_b32 s30, s30, s35
	s_and_not1_b32 exec_lo, exec_lo, s29
	s_cbranch_execz .LBB871_1110
.LBB871_1108:                           ; =>This Inner Loop Header: Depth=1
	global_load_b32 v30, v[8:9], off
	global_load_b32 v31, v[26:27], off
	s_and_not1_b32 s33, s33, exec_lo
	s_or_b32 s31, s31, exec_lo
	s_wait_loadcnt 0x0
	v_cmp_ngt_f32_e32 vcc_lo, v30, v31
	v_cmp_lt_f32_e64 s7, v30, v31
	s_and_b32 s35, vcc_lo, s34
	s_xor_b32 s37, s7, vcc_lo
	s_or_b32 s35, s7, s35
	s_delay_alu instid0(SALU_CYCLE_1) | instskip(NEXT) | instid1(SALU_CYCLE_1)
	s_and_b32 s36, s35, exec_lo
	s_or_b32 s33, s33, s36
	s_and_saveexec_b32 s7, s37
	s_cbranch_execz .LBB871_1107
; %bb.1109:                             ;   in Loop: Header=BB871_1108 Depth=1
	s_add_nc_u64 s[8:9], s[8:9], -1
	v_add_nc_u64_e32 v[8:9], 4, v[8:9]
	s_cmp_eq_u64 s[8:9], 0
	v_add_nc_u64_e32 v[26:27], 4, v[26:27]
	s_cselect_b32 s34, -1, 0
	s_and_not1_b32 s31, s31, exec_lo
	s_and_b32 s34, s34, exec_lo
	s_and_not1_b32 s33, s33, exec_lo
	s_or_b32 s31, s31, s34
                                        ; implicit-def: $sgpr34
	s_branch .LBB871_1107
.LBB871_1110:
	s_or_b32 exec_lo, exec_lo, s29
	s_xor_b32 s7, s30, -1
	s_and_not1_b32 s8, s26, exec_lo
	s_and_b32 s7, s7, exec_lo
	s_delay_alu instid0(SALU_CYCLE_1)
	s_or_b32 s26, s8, s7
.LBB871_1111:
	s_or_b32 exec_lo, exec_lo, s28
	s_delay_alu instid0(SALU_CYCLE_1)
	s_or_not1_b32 s26, s26, exec_lo
.LBB871_1112:
	s_or_b32 exec_lo, exec_lo, s27
	v_dual_cndmask_b32 v8, v28, v29, s26 :: v_dual_cndmask_b32 v9, v45, v47, s26
	s_mov_b32 s27, -1
	s_mov_b32 s28, -1
	s_mov_b32 s29, exec_lo
	s_delay_alu instid0(VALU_DEP_1) | instskip(NEXT) | instid1(VALU_DEP_1)
	v_add_nc_u32_e32 v8, 1, v8
	v_add_min_u32_e64 v9, v9, -1, v8
	s_delay_alu instid0(VALU_DEP_1)
	v_lshl_add_u32 v9, v9, 3, v43
	ds_load_b64 v[26:27], v9
	s_wait_dscnt 0x0
	v_dual_cndmask_b32 v9, v27, v7, s26 :: v_dual_cndmask_b32 v32, v8, v28, s26
	v_dual_cndmask_b32 v33, v29, v8, s26 :: v_dual_cndmask_b32 v8, v26, v6, s26
	;; [unrolled: 1-line block ×3, first 2 shown]
	s_delay_alu instid0(VALU_DEP_3)
	v_cmpx_lt_u32_e64 v32, v45
	s_cbranch_execz .LBB871_1120
; %bb.1113:
	s_delay_alu instid0(VALU_DEP_3) | instskip(SKIP_1) | instid1(SALU_CYCLE_1)
	v_cmp_lt_u32_e64 s28, v33, v47
	s_and_b32 s7, s28, s22
	s_and_saveexec_b32 s30, s7
	s_cbranch_execz .LBB871_1119
; %bb.1114:
	v_mul_u64_e32 v[28:29], s[12:13], v[8:9]
	v_mul_u64_e32 v[30:31], s[12:13], v[26:27]
	s_mov_b32 s31, 0
	s_mov_b64 s[8:9], s[12:13]
                                        ; implicit-def: $sgpr33
                                        ; implicit-def: $sgpr34
                                        ; implicit-def: $sgpr35
                                        ; implicit-def: $sgpr36
	s_delay_alu instid0(VALU_DEP_2) | instskip(NEXT) | instid1(VALU_DEP_2)
	v_lshl_add_u64 v[28:29], v[28:29], 2, s[14:15]
	v_lshl_add_u64 v[30:31], v[30:31], 2, s[14:15]
	s_branch .LBB871_1116
.LBB871_1115:                           ;   in Loop: Header=BB871_1116 Depth=1
	s_or_b32 exec_lo, exec_lo, s7
	s_delay_alu instid0(SALU_CYCLE_1) | instskip(NEXT) | instid1(SALU_CYCLE_1)
	s_and_b32 s7, exec_lo, s34
	s_or_b32 s31, s7, s31
	s_and_not1_b32 s7, s36, exec_lo
	s_and_b32 s36, s37, exec_lo
	s_and_not1_b32 s33, s33, exec_lo
	s_and_b32 s37, s35, exec_lo
	s_or_b32 s36, s7, s36
	s_or_b32 s33, s33, s37
	s_and_not1_b32 exec_lo, exec_lo, s31
	s_cbranch_execz .LBB871_1118
.LBB871_1116:                           ; =>This Inner Loop Header: Depth=1
	global_load_b32 v34, v[28:29], off
	global_load_b32 v35, v[30:31], off
	s_and_not1_b32 s35, s35, exec_lo
	s_or_b32 s34, s34, exec_lo
	s_wait_loadcnt 0x0
	v_cmp_ngt_f32_e32 vcc_lo, v34, v35
	v_cmp_lt_f32_e64 s7, v34, v35
	s_and_b32 s37, vcc_lo, s36
	s_xor_b32 s39, s7, vcc_lo
	s_or_b32 s37, s7, s37
	s_delay_alu instid0(SALU_CYCLE_1) | instskip(NEXT) | instid1(SALU_CYCLE_1)
	s_and_b32 s38, s37, exec_lo
	s_or_b32 s35, s35, s38
	s_and_saveexec_b32 s7, s39
	s_cbranch_execz .LBB871_1115
; %bb.1117:                             ;   in Loop: Header=BB871_1116 Depth=1
	s_add_nc_u64 s[8:9], s[8:9], -1
	v_add_nc_u64_e32 v[28:29], 4, v[28:29]
	s_cmp_eq_u64 s[8:9], 0
	v_add_nc_u64_e32 v[30:31], 4, v[30:31]
	s_cselect_b32 s36, -1, 0
	s_and_not1_b32 s34, s34, exec_lo
	s_and_b32 s36, s36, exec_lo
	s_and_not1_b32 s35, s35, exec_lo
	s_or_b32 s34, s34, s36
                                        ; implicit-def: $sgpr36
	s_branch .LBB871_1115
.LBB871_1118:
	s_or_b32 exec_lo, exec_lo, s31
	s_xor_b32 s7, s33, -1
	s_and_not1_b32 s8, s28, exec_lo
	s_and_b32 s7, s7, exec_lo
	s_delay_alu instid0(SALU_CYCLE_1)
	s_or_b32 s28, s8, s7
.LBB871_1119:
	s_or_b32 exec_lo, exec_lo, s30
	s_delay_alu instid0(SALU_CYCLE_1)
	s_or_not1_b32 s28, s28, exec_lo
.LBB871_1120:
	s_or_b32 exec_lo, exec_lo, s29
	v_dual_cndmask_b32 v28, v32, v33, s28 :: v_dual_cndmask_b32 v29, v45, v47, s28
	s_mov_b32 s29, exec_lo
	s_delay_alu instid0(VALU_DEP_1) | instskip(NEXT) | instid1(VALU_DEP_1)
	v_add_nc_u32_e32 v28, 1, v28
	v_add_min_u32_e64 v29, v29, -1, v28
	s_delay_alu instid0(VALU_DEP_1)
	v_lshl_add_u32 v29, v29, 3, v43
	ds_load_b64 v[30:31], v29
	s_wait_dscnt 0x0
	v_dual_cndmask_b32 v29, v31, v9, s28 :: v_dual_cndmask_b32 v46, v28, v32, s28
	v_dual_cndmask_b32 v31, v27, v31, s28 :: v_dual_cndmask_b32 v44, v33, v28, s28
	v_cndmask_b32_e64 v28, v30, v8, s28
	v_cndmask_b32_e64 v30, v26, v30, s28
	s_delay_alu instid0(VALU_DEP_4)
	v_cmpx_lt_u32_e64 v46, v45
	s_cbranch_execz .LBB871_1128
; %bb.1121:
	v_cmp_lt_u32_e64 s27, v44, v47
	s_and_b32 s7, s27, s22
	s_delay_alu instid0(SALU_CYCLE_1)
	s_and_saveexec_b32 s30, s7
	s_cbranch_execz .LBB871_1127
; %bb.1122:
	v_mul_u64_e32 v[32:33], s[12:13], v[28:29]
	v_mul_u64_e32 v[34:35], s[12:13], v[30:31]
	s_mov_b32 s31, 0
	s_mov_b64 s[8:9], s[12:13]
                                        ; implicit-def: $sgpr33
                                        ; implicit-def: $sgpr34
                                        ; implicit-def: $sgpr35
                                        ; implicit-def: $sgpr36
	s_delay_alu instid0(VALU_DEP_2) | instskip(NEXT) | instid1(VALU_DEP_2)
	v_lshl_add_u64 v[32:33], v[32:33], 2, s[14:15]
	v_lshl_add_u64 v[34:35], v[34:35], 2, s[14:15]
	s_branch .LBB871_1124
.LBB871_1123:                           ;   in Loop: Header=BB871_1124 Depth=1
	s_or_b32 exec_lo, exec_lo, s7
	s_delay_alu instid0(SALU_CYCLE_1) | instskip(NEXT) | instid1(SALU_CYCLE_1)
	s_and_b32 s7, exec_lo, s34
	s_or_b32 s31, s7, s31
	s_and_not1_b32 s7, s36, exec_lo
	s_and_b32 s36, s37, exec_lo
	s_and_not1_b32 s33, s33, exec_lo
	s_and_b32 s37, s35, exec_lo
	s_or_b32 s36, s7, s36
	s_or_b32 s33, s33, s37
	s_and_not1_b32 exec_lo, exec_lo, s31
	s_cbranch_execz .LBB871_1126
.LBB871_1124:                           ; =>This Inner Loop Header: Depth=1
	global_load_b32 v48, v[32:33], off
	global_load_b32 v49, v[34:35], off
	s_and_not1_b32 s35, s35, exec_lo
	s_or_b32 s34, s34, exec_lo
	s_wait_loadcnt 0x0
	v_cmp_ngt_f32_e32 vcc_lo, v48, v49
	v_cmp_lt_f32_e64 s7, v48, v49
	s_and_b32 s37, vcc_lo, s36
	s_xor_b32 s39, s7, vcc_lo
	s_or_b32 s37, s7, s37
	s_delay_alu instid0(SALU_CYCLE_1) | instskip(NEXT) | instid1(SALU_CYCLE_1)
	s_and_b32 s38, s37, exec_lo
	s_or_b32 s35, s35, s38
	s_and_saveexec_b32 s7, s39
	s_cbranch_execz .LBB871_1123
; %bb.1125:                             ;   in Loop: Header=BB871_1124 Depth=1
	s_add_nc_u64 s[8:9], s[8:9], -1
	v_add_nc_u64_e32 v[32:33], 4, v[32:33]
	s_cmp_eq_u64 s[8:9], 0
	v_add_nc_u64_e32 v[34:35], 4, v[34:35]
	s_cselect_b32 s36, -1, 0
	s_and_not1_b32 s34, s34, exec_lo
	s_and_b32 s36, s36, exec_lo
	s_and_not1_b32 s35, s35, exec_lo
	s_or_b32 s34, s34, s36
                                        ; implicit-def: $sgpr36
	s_branch .LBB871_1123
.LBB871_1126:
	s_or_b32 exec_lo, exec_lo, s31
	s_xor_b32 s7, s33, -1
	s_and_not1_b32 s8, s27, exec_lo
	s_and_b32 s7, s7, exec_lo
	s_delay_alu instid0(SALU_CYCLE_1)
	s_or_b32 s27, s8, s7
.LBB871_1127:
	s_or_b32 exec_lo, exec_lo, s30
	s_delay_alu instid0(SALU_CYCLE_1)
	s_or_not1_b32 s27, s27, exec_lo
.LBB871_1128:
	s_or_b32 exec_lo, exec_lo, s29
	v_dual_cndmask_b32 v32, v46, v44, s27 :: v_dual_cndmask_b32 v33, v45, v47, s27
	v_dual_cndmask_b32 v8, v8, v26, s28 :: v_dual_cndmask_b32 v7, v7, v25, s26
	;; [unrolled: 1-line block ×3, first 2 shown]
	s_delay_alu instid0(VALU_DEP_3) | instskip(SKIP_2) | instid1(VALU_DEP_3)
	v_dual_add_nc_u32 v34, 1, v32 :: v_dual_cndmask_b32 v9, v9, v27, s28
	v_dual_cndmask_b32 v12, v12, v22, s25 :: v_dual_cndmask_b32 v11, v11, v17, s24
	v_dual_cndmask_b32 v10, v10, v16, s24 :: v_dual_cndmask_b32 v17, v5, v15, s23
	v_add_min_u32_e64 v32, v33, -1, v34
	v_dual_cndmask_b32 v16, v4, v14, s23 :: v_dual_cndmask_b32 v15, v3, v1, s17
	v_dual_cndmask_b32 v14, v2, v0, s17 :: v_dual_cndmask_b32 v3, v29, v31, s27
	s_delay_alu instid0(VALU_DEP_3)
	v_lshl_add_u32 v32, v32, 3, v43
	s_mov_b32 s17, exec_lo
	ds_load_b64 v[32:33], v32
	v_cndmask_b32_e64 v0, v34, v46, s27
	s_wait_dscnt 0x0
	v_dual_cndmask_b32 v2, v28, v30, s27 :: v_dual_cndmask_b32 v4, v30, v32, s27
	v_cndmask_b32_e64 v5, v31, v33, s27
	s_delay_alu instid0(VALU_DEP_3)
	v_cmpx_lt_u32_e64 v0, v45
	s_cbranch_execz .LBB871_1136
; %bb.1129:
	v_dual_cndmask_b32 v22, v44, v34, s27 :: v_dual_cndmask_b32 v1, v33, v29, s27
	s_delay_alu instid0(VALU_DEP_1) | instskip(NEXT) | instid1(VALU_DEP_2)
	v_cmp_ge_u32_e32 vcc_lo, v22, v47
	v_dual_cndmask_b32 v0, v32, v28, s27 :: v_dual_cndmask_b32 v23, v5, v1, vcc_lo
	s_delay_alu instid0(VALU_DEP_1) | instskip(SKIP_1) | instid1(SALU_CYCLE_1)
	v_cndmask_b32_e32 v22, v4, v0, vcc_lo
	s_nor_b32 s7, vcc_lo, s19
	s_and_saveexec_b32 s23, s7
	s_cbranch_execz .LBB871_1135
; %bb.1130:
	v_mul_u64_e32 v[22:23], s[12:13], v[0:1]
	v_mul_u64_e32 v[24:25], s[12:13], v[4:5]
	s_mov_b32 s24, 0
	s_mov_b64 s[8:9], s[12:13]
                                        ; implicit-def: $sgpr25
                                        ; implicit-def: $sgpr26
                                        ; implicit-def: $sgpr27
                                        ; implicit-def: $sgpr28
	s_delay_alu instid0(VALU_DEP_2) | instskip(NEXT) | instid1(VALU_DEP_2)
	v_lshl_add_u64 v[22:23], v[22:23], 2, s[14:15]
	v_lshl_add_u64 v[24:25], v[24:25], 2, s[14:15]
	s_branch .LBB871_1132
.LBB871_1131:                           ;   in Loop: Header=BB871_1132 Depth=1
	s_or_b32 exec_lo, exec_lo, s7
	s_delay_alu instid0(SALU_CYCLE_1) | instskip(NEXT) | instid1(SALU_CYCLE_1)
	s_and_b32 s7, exec_lo, s26
	s_or_b32 s24, s7, s24
	s_and_not1_b32 s7, s28, exec_lo
	s_and_b32 s28, s29, exec_lo
	s_and_not1_b32 s25, s25, exec_lo
	s_and_b32 s29, s27, exec_lo
	s_or_b32 s28, s7, s28
	s_or_b32 s25, s25, s29
	s_and_not1_b32 exec_lo, exec_lo, s24
	s_cbranch_execz .LBB871_1134
.LBB871_1132:                           ; =>This Inner Loop Header: Depth=1
	global_load_b32 v26, v[22:23], off
	global_load_b32 v27, v[24:25], off
	s_and_not1_b32 s27, s27, exec_lo
	s_or_b32 s26, s26, exec_lo
	s_wait_loadcnt 0x0
	v_cmp_ngt_f32_e32 vcc_lo, v26, v27
	v_cmp_lt_f32_e64 s7, v26, v27
	s_and_b32 s29, vcc_lo, s28
	s_xor_b32 s31, s7, vcc_lo
	s_or_b32 s29, s7, s29
	s_delay_alu instid0(SALU_CYCLE_1) | instskip(NEXT) | instid1(SALU_CYCLE_1)
	s_and_b32 s30, s29, exec_lo
	s_or_b32 s27, s27, s30
	s_and_saveexec_b32 s7, s31
	s_cbranch_execz .LBB871_1131
; %bb.1133:                             ;   in Loop: Header=BB871_1132 Depth=1
	s_add_nc_u64 s[8:9], s[8:9], -1
	v_add_nc_u64_e32 v[22:23], 4, v[22:23]
	s_cmp_eq_u64 s[8:9], 0
	v_add_nc_u64_e32 v[24:25], 4, v[24:25]
	s_cselect_b32 s28, -1, 0
	s_and_not1_b32 s26, s26, exec_lo
	s_and_b32 s28, s28, exec_lo
	s_and_not1_b32 s27, s27, exec_lo
	s_or_b32 s26, s26, s28
                                        ; implicit-def: $sgpr28
	s_branch .LBB871_1131
.LBB871_1134:
	s_or_b32 exec_lo, exec_lo, s24
	v_dual_cndmask_b32 v23, v5, v1, s25 :: v_dual_cndmask_b32 v22, v4, v0, s25
.LBB871_1135:
	s_or_b32 exec_lo, exec_lo, s23
	s_delay_alu instid0(VALU_DEP_1)
	v_mov_b64_e32 v[4:5], v[22:23]
.LBB871_1136:
	s_or_b32 exec_lo, exec_lo, s17
.LBB871_1137:
	s_delay_alu instid0(SALU_CYCLE_1)
	s_or_b32 exec_lo, exec_lo, s16
	s_cmp_lt_u32 s21, 0x81
	; wave barrier
	s_wait_dscnt 0x0
	s_barrier_signal -1
	s_barrier_wait -1
	s_cbranch_scc1 .LBB871_1218
; %bb.1138:
	v_lshlrev_b32_e32 v24, 3, v20
	s_lshl_b64 s[16:17], s[12:13], 2
	s_movk_i32 s23, 0x80
	s_branch .LBB871_1143
.LBB871_1139:                           ;   in Loop: Header=BB871_1143 Depth=1
	s_or_b32 exec_lo, exec_lo, s35
	v_dual_cndmask_b32 v7, v5, v26, s36 :: v_dual_cndmask_b32 v6, v4, v48, s36
.LBB871_1140:                           ;   in Loop: Header=BB871_1143 Depth=1
	s_or_b32 exec_lo, exec_lo, s34
	s_delay_alu instid0(VALU_DEP_1)
	v_mov_b64_e32 v[4:5], v[6:7]
.LBB871_1141:                           ;   in Loop: Header=BB871_1143 Depth=1
	s_or_b32 exec_lo, exec_lo, s33
	v_dual_cndmask_b32 v9, v33, v35, s31 :: v_dual_cndmask_b32 v6, v30, v32, s29
	v_dual_cndmask_b32 v8, v34, v43, s31 :: v_dual_cndmask_b32 v13, v12, v13, s28
	;; [unrolled: 1-line block ×3, first 2 shown]
	v_cndmask_b32_e64 v11, v10, v11, s27
	v_dual_cndmask_b32 v10, v17, v23, s27 :: v_dual_cndmask_b32 v17, v14, v16, s26
	v_cndmask_b32_e64 v16, v15, v22, s26
	v_dual_cndmask_b32 v15, v3, v1, s25 :: v_dual_cndmask_b32 v14, v2, v0, s25
	v_dual_cndmask_b32 v3, v44, v46, s30 :: v_dual_cndmask_b32 v2, v45, v47, s30
.LBB871_1142:                           ;   in Loop: Header=BB871_1143 Depth=1
	s_or_b32 exec_lo, exec_lo, s24
	s_cmp_lt_u32 s23, s21
	s_barrier_signal -1
	s_barrier_wait -1
	s_cbranch_scc0 .LBB871_1218
.LBB871_1143:                           ; =>This Loop Header: Depth=1
                                        ;     Child Loop BB871_1147 Depth 2
                                        ;       Child Loop BB871_1150 Depth 3
                                        ;     Child Loop BB871_1161 Depth 2
                                        ;     Child Loop BB871_1168 Depth 2
	;; [unrolled: 1-line block ×8, first 2 shown]
	s_mov_b32 s7, s23
	s_lshl_b32 s23, s23, 1
	s_mov_b32 s24, exec_lo
	s_sub_co_i32 s8, 0, s23
	ds_store_b128 v24, v[14:17]
	ds_store_b128 v24, v[10:13] offset:16
	ds_store_b128 v24, v[6:9] offset:32
	;; [unrolled: 1-line block ×3, first 2 shown]
	v_and_b32_e32 v29, s8, v20
	s_add_co_i32 s8, s23, -1
	s_wait_dscnt 0x0
	s_barrier_signal -1
	s_barrier_wait -1
	v_add_min_u32_e64 v25, v29, s7, s21
	s_delay_alu instid0(VALU_DEP_1) | instskip(NEXT) | instid1(VALU_DEP_1)
	v_add_min_u32_e64 v26, v25, s7, s21
	v_dual_sub_nc_u32 v1, v26, v25 :: v_dual_bitop2_b32 v0, s8, v20 bitop3:0x40
	v_lshlrev_b32_e32 v28, 3, v29
	s_delay_alu instid0(VALU_DEP_2) | instskip(SKIP_1) | instid1(VALU_DEP_2)
	v_min_u32_e32 v30, s21, v0
	v_sub_nc_u32_e32 v0, v25, v29
	v_sub_nc_u32_e64 v27, v30, v1 clamp
	s_delay_alu instid0(VALU_DEP_2) | instskip(NEXT) | instid1(VALU_DEP_1)
	v_min_u32_e32 v31, v30, v0
	v_cmpx_lt_u32_e64 v27, v31
	s_cbranch_execz .LBB871_1153
; %bb.1144:                             ;   in Loop: Header=BB871_1143 Depth=1
	v_lshlrev_b32_e32 v0, 3, v30
	s_mov_b32 s25, 0
	s_delay_alu instid0(VALU_DEP_1)
	v_lshl_add_u32 v32, v25, 3, v0
	s_branch .LBB871_1147
.LBB871_1145:                           ;   in Loop: Header=BB871_1147 Depth=2
	s_or_b32 exec_lo, exec_lo, s27
.LBB871_1146:                           ;   in Loop: Header=BB871_1147 Depth=2
	s_delay_alu instid0(VALU_DEP_1) | instskip(NEXT) | instid1(VALU_DEP_1)
	v_dual_add_nc_u32 v0, 1, v33 :: v_dual_cndmask_b32 v31, v31, v33, s26
	v_cndmask_b32_e64 v27, v0, v27, s26
	s_delay_alu instid0(VALU_DEP_1) | instskip(SKIP_1) | instid1(SALU_CYCLE_1)
	v_cmp_ge_u32_e32 vcc_lo, v27, v31
	s_or_b32 s25, vcc_lo, s25
	s_and_not1_b32 exec_lo, exec_lo, s25
	s_cbranch_execz .LBB871_1152
.LBB871_1147:                           ;   Parent Loop BB871_1143 Depth=1
                                        ; =>  This Loop Header: Depth=2
                                        ;       Child Loop BB871_1150 Depth 3
	v_add_nc_u32_e32 v0, v31, v27
	s_and_not1_b32 vcc_lo, exec_lo, s18
	s_mov_b32 s26, 0
	s_delay_alu instid0(VALU_DEP_1)
	v_lshrrev_b32_e32 v33, 1, v0
	s_cbranch_vccnz .LBB871_1146
; %bb.1148:                             ;   in Loop: Header=BB871_1147 Depth=2
	s_delay_alu instid0(VALU_DEP_1) | instskip(SKIP_3) | instid1(VALU_DEP_2)
	v_not_b32_e32 v0, v33
	v_lshl_add_u32 v1, v33, 3, v28
	s_mov_b32 s27, 0
	s_mov_b64 s[8:9], s[12:13]
                                        ; implicit-def: $sgpr26
                                        ; implicit-def: $sgpr28
                                        ; implicit-def: $sgpr29
                                        ; implicit-def: $sgpr30
	v_lshl_add_u32 v0, v0, 3, v32
	ds_load_b64 v[34:35], v0
	ds_load_b64 v[44:45], v1
	s_wait_dscnt 0x1
	v_mad_nc_u64_u32 v[0:1], s16, v34, s[14:15]
	s_wait_dscnt 0x0
	v_mad_nc_u64_u32 v[22:23], s16, v44, s[14:15]
	s_delay_alu instid0(VALU_DEP_2) | instskip(NEXT) | instid1(VALU_DEP_2)
	v_mad_u32 v1, s17, v34, v1
	v_mad_u32 v23, s17, v44, v23
	s_delay_alu instid0(VALU_DEP_2) | instskip(NEXT) | instid1(VALU_DEP_2)
	v_mad_u32 v1, s16, v35, v1
	v_mad_u32 v23, s16, v45, v23
	s_branch .LBB871_1150
.LBB871_1149:                           ;   in Loop: Header=BB871_1150 Depth=3
	s_or_b32 exec_lo, exec_lo, s7
	s_delay_alu instid0(SALU_CYCLE_1) | instskip(NEXT) | instid1(SALU_CYCLE_1)
	s_and_b32 s7, exec_lo, s28
	s_or_b32 s27, s7, s27
	s_and_not1_b32 s7, s30, exec_lo
	s_and_b32 s30, s31, exec_lo
	s_and_not1_b32 s26, s26, exec_lo
	s_and_b32 s31, s29, exec_lo
	s_or_b32 s30, s7, s30
	s_or_b32 s26, s26, s31
	s_and_not1_b32 exec_lo, exec_lo, s27
	s_cbranch_execz .LBB871_1145
.LBB871_1150:                           ;   Parent Loop BB871_1143 Depth=1
                                        ;     Parent Loop BB871_1147 Depth=2
                                        ; =>    This Inner Loop Header: Depth=3
	global_load_b32 v34, v[0:1], off
	global_load_b32 v35, v[22:23], off
	s_and_not1_b32 s29, s29, exec_lo
	s_or_b32 s28, s28, exec_lo
	s_wait_loadcnt 0x0
	v_cmp_ngt_f32_e32 vcc_lo, v34, v35
	v_cmp_lt_f32_e64 s7, v34, v35
	s_and_b32 s31, vcc_lo, s30
	s_xor_b32 s34, s7, vcc_lo
	s_or_b32 s31, s7, s31
	s_delay_alu instid0(SALU_CYCLE_1) | instskip(NEXT) | instid1(SALU_CYCLE_1)
	s_and_b32 s33, s31, exec_lo
	s_or_b32 s29, s29, s33
	s_and_saveexec_b32 s7, s34
	s_cbranch_execz .LBB871_1149
; %bb.1151:                             ;   in Loop: Header=BB871_1150 Depth=3
	s_add_nc_u64 s[8:9], s[8:9], -1
	v_add_nc_u64_e32 v[0:1], 4, v[0:1]
	s_cmp_eq_u64 s[8:9], 0
	v_add_nc_u64_e32 v[22:23], 4, v[22:23]
	s_cselect_b32 s30, -1, 0
	s_and_not1_b32 s28, s28, exec_lo
	s_and_b32 s30, s30, exec_lo
	s_and_not1_b32 s29, s29, exec_lo
	s_or_b32 s28, s28, s30
                                        ; implicit-def: $sgpr30
	s_branch .LBB871_1149
.LBB871_1152:                           ;   in Loop: Header=BB871_1143 Depth=1
	s_or_b32 exec_lo, exec_lo, s25
.LBB871_1153:                           ;   in Loop: Header=BB871_1143 Depth=1
	s_delay_alu instid0(SALU_CYCLE_1) | instskip(SKIP_1) | instid1(VALU_DEP_1)
	s_or_b32 exec_lo, exec_lo, s24
	v_dual_sub_nc_u32 v0, v30, v27 :: v_dual_add_nc_u32 v22, v27, v29
	v_add_nc_u32_e32 v23, v0, v25
	s_delay_alu instid0(VALU_DEP_2) | instskip(NEXT) | instid1(VALU_DEP_2)
	v_cmp_le_u32_e32 vcc_lo, v22, v25
	v_cmp_le_u32_e64 s7, v23, v26
	s_or_b32 s7, vcc_lo, s7
	s_delay_alu instid0(SALU_CYCLE_1)
	s_and_saveexec_b32 s24, s7
	s_cbranch_execz .LBB871_1142
; %bb.1154:                             ;   in Loop: Header=BB871_1143 Depth=1
	s_mov_b32 s8, exec_lo
	v_cmp_ge_u32_e32 vcc_lo, v22, v25
                                        ; implicit-def: $vgpr0_vgpr1
	v_cmpx_lt_u32_e64 v22, v25
; %bb.1155:                             ;   in Loop: Header=BB871_1143 Depth=1
	v_lshl_add_u32 v0, v27, 3, v28
	ds_load_b64 v[0:1], v0
; %bb.1156:                             ;   in Loop: Header=BB871_1143 Depth=1
	s_or_b32 exec_lo, exec_lo, s8
	v_cmp_ge_u32_e64 s7, v23, v26
	s_mov_b32 s9, exec_lo
                                        ; implicit-def: $vgpr2_vgpr3
	v_cmpx_lt_u32_e64 v23, v26
; %bb.1157:                             ;   in Loop: Header=BB871_1143 Depth=1
	v_lshlrev_b32_e32 v2, 3, v23
	ds_load_b64 v[2:3], v2
; %bb.1158:                             ;   in Loop: Header=BB871_1143 Depth=1
	s_or_b32 exec_lo, exec_lo, s9
	s_or_b32 s8, vcc_lo, s7
	s_xor_b32 s9, vcc_lo, -1
	s_nor_b32 s8, s8, s19
	s_or_b32 s25, s7, s9
	s_and_saveexec_b32 s26, s8
	s_cbranch_execz .LBB871_1164
; %bb.1159:                             ;   in Loop: Header=BB871_1143 Depth=1
	s_wait_dscnt 0x0
	v_mad_nc_u64_u32 v[4:5], s16, v2, s[14:15]
	v_mad_nc_u64_u32 v[6:7], s16, v0, s[14:15]
	s_mov_b32 s27, 0
	s_mov_b64 s[8:9], s[12:13]
                                        ; implicit-def: $sgpr28
                                        ; implicit-def: $sgpr29
                                        ; implicit-def: $sgpr30
                                        ; implicit-def: $sgpr31
	s_delay_alu instid0(VALU_DEP_2) | instskip(NEXT) | instid1(VALU_DEP_2)
	v_mad_u32 v5, s17, v2, v5
	v_mad_u32 v7, s17, v0, v7
	s_delay_alu instid0(VALU_DEP_2) | instskip(NEXT) | instid1(VALU_DEP_2)
	v_mad_u32 v5, s16, v3, v5
	v_mad_u32 v7, s16, v1, v7
	s_branch .LBB871_1161
.LBB871_1160:                           ;   in Loop: Header=BB871_1161 Depth=2
	s_or_b32 exec_lo, exec_lo, s7
	s_delay_alu instid0(SALU_CYCLE_1) | instskip(NEXT) | instid1(SALU_CYCLE_1)
	s_and_b32 s7, exec_lo, s29
	s_or_b32 s27, s7, s27
	s_and_not1_b32 s7, s31, exec_lo
	s_and_b32 s31, s33, exec_lo
	s_and_not1_b32 s28, s28, exec_lo
	s_and_b32 s33, s30, exec_lo
	s_or_b32 s31, s7, s31
	s_or_b32 s28, s28, s33
	s_and_not1_b32 exec_lo, exec_lo, s27
	s_cbranch_execz .LBB871_1163
.LBB871_1161:                           ;   Parent Loop BB871_1143 Depth=1
                                        ; =>  This Inner Loop Header: Depth=2
	global_load_b32 v8, v[4:5], off
	global_load_b32 v9, v[6:7], off
	s_and_not1_b32 s30, s30, exec_lo
	s_or_b32 s29, s29, exec_lo
	s_wait_loadcnt 0x0
	v_cmp_ngt_f32_e32 vcc_lo, v8, v9
	v_cmp_lt_f32_e64 s7, v8, v9
	s_and_b32 s33, vcc_lo, s31
	s_xor_b32 s35, s7, vcc_lo
	s_or_b32 s33, s7, s33
	s_delay_alu instid0(SALU_CYCLE_1) | instskip(NEXT) | instid1(SALU_CYCLE_1)
	s_and_b32 s34, s33, exec_lo
	s_or_b32 s30, s30, s34
	s_and_saveexec_b32 s7, s35
	s_cbranch_execz .LBB871_1160
; %bb.1162:                             ;   in Loop: Header=BB871_1161 Depth=2
	s_add_nc_u64 s[8:9], s[8:9], -1
	v_add_nc_u64_e32 v[4:5], 4, v[4:5]
	s_cmp_eq_u64 s[8:9], 0
	v_add_nc_u64_e32 v[6:7], 4, v[6:7]
	s_cselect_b32 s31, -1, 0
	s_and_not1_b32 s29, s29, exec_lo
	s_and_b32 s31, s31, exec_lo
	s_and_not1_b32 s30, s30, exec_lo
	s_or_b32 s29, s29, s31
                                        ; implicit-def: $sgpr31
	s_branch .LBB871_1160
.LBB871_1163:                           ;   in Loop: Header=BB871_1143 Depth=1
	s_or_b32 exec_lo, exec_lo, s27
	s_xor_b32 s7, s28, -1
	s_and_not1_b32 s8, s25, exec_lo
	s_and_b32 s7, s7, exec_lo
	s_delay_alu instid0(SALU_CYCLE_1)
	s_or_b32 s25, s8, s7
.LBB871_1164:                           ;   in Loop: Header=BB871_1143 Depth=1
	s_or_b32 exec_lo, exec_lo, s26
	v_dual_cndmask_b32 v4, v23, v22, s25 :: v_dual_cndmask_b32 v5, v26, v25, s25
	s_mov_b32 s27, -1
	s_mov_b32 s26, -1
	s_mov_b32 s28, exec_lo
	s_delay_alu instid0(VALU_DEP_1) | instskip(NEXT) | instid1(VALU_DEP_1)
	v_add_nc_u32_e32 v6, 1, v4
	v_add_min_u32_e64 v4, v5, -1, v6
	s_delay_alu instid0(VALU_DEP_1)
	v_lshlrev_b32_e32 v4, 3, v4
	ds_load_b64 v[4:5], v4
	v_cndmask_b32_e64 v8, v6, v23, s25
	s_wait_dscnt 0x0
	v_dual_cndmask_b32 v9, v22, v6, s25 :: v_dual_cndmask_b32 v14, v5, v3, s25
	v_dual_cndmask_b32 v15, v4, v2, s25 :: v_dual_cndmask_b32 v16, v1, v5, s25
	v_cndmask_b32_e64 v22, v0, v4, s25
	v_cmpx_lt_u32_e64 v8, v26
	s_cbranch_execz .LBB871_1172
; %bb.1165:                             ;   in Loop: Header=BB871_1143 Depth=1
	v_cmp_lt_u32_e64 s26, v9, v25
	s_and_b32 s7, s26, s22
	s_delay_alu instid0(SALU_CYCLE_1)
	s_and_saveexec_b32 s29, s7
	s_cbranch_execz .LBB871_1171
; %bb.1166:                             ;   in Loop: Header=BB871_1143 Depth=1
	v_mad_nc_u64_u32 v[4:5], s16, v15, s[14:15]
	v_mad_nc_u64_u32 v[6:7], s16, v22, s[14:15]
	s_mov_b32 s30, 0
	s_mov_b64 s[8:9], s[12:13]
                                        ; implicit-def: $sgpr31
                                        ; implicit-def: $sgpr33
                                        ; implicit-def: $sgpr34
                                        ; implicit-def: $sgpr35
	s_delay_alu instid0(VALU_DEP_2) | instskip(NEXT) | instid1(VALU_DEP_2)
	v_mad_u32 v5, s17, v15, v5
	v_mad_u32 v7, s17, v22, v7
	s_delay_alu instid0(VALU_DEP_2) | instskip(NEXT) | instid1(VALU_DEP_2)
	v_mad_u32 v5, s16, v14, v5
	v_mad_u32 v7, s16, v16, v7
	s_branch .LBB871_1168
.LBB871_1167:                           ;   in Loop: Header=BB871_1168 Depth=2
	s_or_b32 exec_lo, exec_lo, s7
	s_delay_alu instid0(SALU_CYCLE_1) | instskip(NEXT) | instid1(SALU_CYCLE_1)
	s_and_b32 s7, exec_lo, s33
	s_or_b32 s30, s7, s30
	s_and_not1_b32 s7, s35, exec_lo
	s_and_b32 s35, s36, exec_lo
	s_and_not1_b32 s31, s31, exec_lo
	s_and_b32 s36, s34, exec_lo
	s_or_b32 s35, s7, s35
	s_or_b32 s31, s31, s36
	s_and_not1_b32 exec_lo, exec_lo, s30
	s_cbranch_execz .LBB871_1170
.LBB871_1168:                           ;   Parent Loop BB871_1143 Depth=1
                                        ; =>  This Inner Loop Header: Depth=2
	global_load_b32 v10, v[4:5], off
	global_load_b32 v11, v[6:7], off
	s_and_not1_b32 s34, s34, exec_lo
	s_or_b32 s33, s33, exec_lo
	s_wait_loadcnt 0x0
	v_cmp_ngt_f32_e32 vcc_lo, v10, v11
	v_cmp_lt_f32_e64 s7, v10, v11
	s_and_b32 s36, vcc_lo, s35
	s_xor_b32 s38, s7, vcc_lo
	s_or_b32 s36, s7, s36
	s_delay_alu instid0(SALU_CYCLE_1) | instskip(NEXT) | instid1(SALU_CYCLE_1)
	s_and_b32 s37, s36, exec_lo
	s_or_b32 s34, s34, s37
	s_and_saveexec_b32 s7, s38
	s_cbranch_execz .LBB871_1167
; %bb.1169:                             ;   in Loop: Header=BB871_1168 Depth=2
	s_add_nc_u64 s[8:9], s[8:9], -1
	v_add_nc_u64_e32 v[4:5], 4, v[4:5]
	s_cmp_eq_u64 s[8:9], 0
	v_add_nc_u64_e32 v[6:7], 4, v[6:7]
	s_cselect_b32 s35, -1, 0
	s_and_not1_b32 s33, s33, exec_lo
	s_and_b32 s35, s35, exec_lo
	s_and_not1_b32 s34, s34, exec_lo
	s_or_b32 s33, s33, s35
                                        ; implicit-def: $sgpr35
	s_branch .LBB871_1167
.LBB871_1170:                           ;   in Loop: Header=BB871_1143 Depth=1
	s_or_b32 exec_lo, exec_lo, s30
	s_xor_b32 s7, s31, -1
	s_and_not1_b32 s8, s26, exec_lo
	s_and_b32 s7, s7, exec_lo
	s_delay_alu instid0(SALU_CYCLE_1)
	s_or_b32 s26, s8, s7
.LBB871_1171:                           ;   in Loop: Header=BB871_1143 Depth=1
	s_or_b32 exec_lo, exec_lo, s29
	s_delay_alu instid0(SALU_CYCLE_1)
	s_or_not1_b32 s26, s26, exec_lo
.LBB871_1172:                           ;   in Loop: Header=BB871_1143 Depth=1
	s_or_b32 exec_lo, exec_lo, s28
	v_cndmask_b32_e64 v4, v8, v9, s26
	v_cndmask_b32_e64 v5, v26, v25, s26
	s_mov_b32 s28, exec_lo
	s_delay_alu instid0(VALU_DEP_2) | instskip(NEXT) | instid1(VALU_DEP_1)
	v_add_nc_u32_e32 v6, 1, v4
	v_add_min_u32_e64 v4, v5, -1, v6
	v_dual_cndmask_b32 v8, v6, v8, s26 :: v_dual_cndmask_b32 v9, v9, v6, s26
	s_delay_alu instid0(VALU_DEP_2)
	v_lshlrev_b32_e32 v4, 3, v4
	ds_load_b64 v[4:5], v4
	s_wait_dscnt 0x0
	v_dual_cndmask_b32 v10, v5, v14, s26 :: v_dual_cndmask_b32 v17, v4, v15, s26
	v_dual_cndmask_b32 v11, v16, v5, s26 :: v_dual_cndmask_b32 v23, v22, v4, s26
	v_cmpx_lt_u32_e64 v8, v26
	s_cbranch_execz .LBB871_1180
; %bb.1173:                             ;   in Loop: Header=BB871_1143 Depth=1
	v_cmp_lt_u32_e64 s27, v9, v25
	s_and_b32 s7, s27, s22
	s_delay_alu instid0(SALU_CYCLE_1)
	s_and_saveexec_b32 s29, s7
	s_cbranch_execz .LBB871_1179
; %bb.1174:                             ;   in Loop: Header=BB871_1143 Depth=1
	v_mad_nc_u64_u32 v[4:5], s16, v17, s[14:15]
	v_mad_nc_u64_u32 v[6:7], s16, v23, s[14:15]
	s_mov_b32 s30, 0
	s_mov_b64 s[8:9], s[12:13]
                                        ; implicit-def: $sgpr31
                                        ; implicit-def: $sgpr33
                                        ; implicit-def: $sgpr34
                                        ; implicit-def: $sgpr35
	s_delay_alu instid0(VALU_DEP_2) | instskip(NEXT) | instid1(VALU_DEP_2)
	v_mad_u32 v5, s17, v17, v5
	v_mad_u32 v7, s17, v23, v7
	s_delay_alu instid0(VALU_DEP_2) | instskip(NEXT) | instid1(VALU_DEP_2)
	v_mad_u32 v5, s16, v10, v5
	v_mad_u32 v7, s16, v11, v7
	s_branch .LBB871_1176
.LBB871_1175:                           ;   in Loop: Header=BB871_1176 Depth=2
	s_or_b32 exec_lo, exec_lo, s7
	s_delay_alu instid0(SALU_CYCLE_1) | instskip(NEXT) | instid1(SALU_CYCLE_1)
	s_and_b32 s7, exec_lo, s33
	s_or_b32 s30, s7, s30
	s_and_not1_b32 s7, s35, exec_lo
	s_and_b32 s35, s36, exec_lo
	s_and_not1_b32 s31, s31, exec_lo
	s_and_b32 s36, s34, exec_lo
	s_or_b32 s35, s7, s35
	s_or_b32 s31, s31, s36
	s_and_not1_b32 exec_lo, exec_lo, s30
	s_cbranch_execz .LBB871_1178
.LBB871_1176:                           ;   Parent Loop BB871_1143 Depth=1
                                        ; =>  This Inner Loop Header: Depth=2
	global_load_b32 v12, v[4:5], off
	global_load_b32 v13, v[6:7], off
	s_and_not1_b32 s34, s34, exec_lo
	s_or_b32 s33, s33, exec_lo
	s_wait_loadcnt 0x0
	v_cmp_ngt_f32_e32 vcc_lo, v12, v13
	v_cmp_lt_f32_e64 s7, v12, v13
	s_and_b32 s36, vcc_lo, s35
	s_xor_b32 s38, s7, vcc_lo
	s_or_b32 s36, s7, s36
	s_delay_alu instid0(SALU_CYCLE_1) | instskip(NEXT) | instid1(SALU_CYCLE_1)
	s_and_b32 s37, s36, exec_lo
	s_or_b32 s34, s34, s37
	s_and_saveexec_b32 s7, s38
	s_cbranch_execz .LBB871_1175
; %bb.1177:                             ;   in Loop: Header=BB871_1176 Depth=2
	s_add_nc_u64 s[8:9], s[8:9], -1
	v_add_nc_u64_e32 v[4:5], 4, v[4:5]
	s_cmp_eq_u64 s[8:9], 0
	v_add_nc_u64_e32 v[6:7], 4, v[6:7]
	s_cselect_b32 s35, -1, 0
	s_and_not1_b32 s33, s33, exec_lo
	s_and_b32 s35, s35, exec_lo
	s_and_not1_b32 s34, s34, exec_lo
	s_or_b32 s33, s33, s35
                                        ; implicit-def: $sgpr35
	s_branch .LBB871_1175
.LBB871_1178:                           ;   in Loop: Header=BB871_1143 Depth=1
	s_or_b32 exec_lo, exec_lo, s30
	s_xor_b32 s7, s31, -1
	s_and_not1_b32 s8, s27, exec_lo
	s_and_b32 s7, s7, exec_lo
	s_delay_alu instid0(SALU_CYCLE_1)
	s_or_b32 s27, s8, s7
.LBB871_1179:                           ;   in Loop: Header=BB871_1143 Depth=1
	s_or_b32 exec_lo, exec_lo, s29
	s_delay_alu instid0(SALU_CYCLE_1)
	s_or_not1_b32 s27, s27, exec_lo
.LBB871_1180:                           ;   in Loop: Header=BB871_1143 Depth=1
	s_or_b32 exec_lo, exec_lo, s28
	v_cndmask_b32_e64 v4, v8, v9, s27
	v_cndmask_b32_e64 v5, v26, v25, s27
	s_mov_b32 s29, -1
	s_mov_b32 s28, -1
	s_mov_b32 s30, exec_lo
	v_add_nc_u32_e32 v6, 1, v4
	s_delay_alu instid0(VALU_DEP_1) | instskip(SKIP_1) | instid1(VALU_DEP_2)
	v_add_min_u32_e64 v4, v5, -1, v6
	v_dual_cndmask_b32 v8, v6, v8, s27 :: v_dual_cndmask_b32 v9, v9, v6, s27
	v_lshlrev_b32_e32 v4, 3, v4
	ds_load_b64 v[4:5], v4
	s_wait_dscnt 0x0
	v_dual_cndmask_b32 v12, v5, v10, s27 :: v_dual_cndmask_b32 v27, v4, v17, s27
	v_cndmask_b32_e64 v13, v11, v5, s27
	v_cndmask_b32_e64 v28, v23, v4, s27
	v_cmpx_lt_u32_e64 v8, v26
	s_cbranch_execz .LBB871_1188
; %bb.1181:                             ;   in Loop: Header=BB871_1143 Depth=1
	v_cmp_lt_u32_e64 s28, v9, v25
	s_and_b32 s7, s28, s22
	s_delay_alu instid0(SALU_CYCLE_1)
	s_and_saveexec_b32 s31, s7
	s_cbranch_execz .LBB871_1187
; %bb.1182:                             ;   in Loop: Header=BB871_1143 Depth=1
	v_mad_nc_u64_u32 v[4:5], s16, v27, s[14:15]
	v_mad_nc_u64_u32 v[6:7], s16, v28, s[14:15]
	s_mov_b32 s33, 0
	s_mov_b64 s[8:9], s[12:13]
                                        ; implicit-def: $sgpr34
                                        ; implicit-def: $sgpr35
                                        ; implicit-def: $sgpr36
                                        ; implicit-def: $sgpr37
	s_delay_alu instid0(VALU_DEP_2) | instskip(NEXT) | instid1(VALU_DEP_2)
	v_mad_u32 v5, s17, v27, v5
	v_mad_u32 v7, s17, v28, v7
	s_delay_alu instid0(VALU_DEP_2) | instskip(NEXT) | instid1(VALU_DEP_2)
	v_mad_u32 v5, s16, v12, v5
	v_mad_u32 v7, s16, v13, v7
	s_branch .LBB871_1184
.LBB871_1183:                           ;   in Loop: Header=BB871_1184 Depth=2
	s_or_b32 exec_lo, exec_lo, s7
	s_delay_alu instid0(SALU_CYCLE_1) | instskip(NEXT) | instid1(SALU_CYCLE_1)
	s_and_b32 s7, exec_lo, s35
	s_or_b32 s33, s7, s33
	s_and_not1_b32 s7, s37, exec_lo
	s_and_b32 s37, s38, exec_lo
	s_and_not1_b32 s34, s34, exec_lo
	s_and_b32 s38, s36, exec_lo
	s_or_b32 s37, s7, s37
	s_or_b32 s34, s34, s38
	s_and_not1_b32 exec_lo, exec_lo, s33
	s_cbranch_execz .LBB871_1186
.LBB871_1184:                           ;   Parent Loop BB871_1143 Depth=1
                                        ; =>  This Inner Loop Header: Depth=2
	global_load_b32 v29, v[4:5], off
	global_load_b32 v30, v[6:7], off
	s_and_not1_b32 s36, s36, exec_lo
	s_or_b32 s35, s35, exec_lo
	s_wait_loadcnt 0x0
	v_cmp_ngt_f32_e32 vcc_lo, v29, v30
	v_cmp_lt_f32_e64 s7, v29, v30
	s_and_b32 s38, vcc_lo, s37
	s_xor_b32 s40, s7, vcc_lo
	s_or_b32 s38, s7, s38
	s_delay_alu instid0(SALU_CYCLE_1) | instskip(NEXT) | instid1(SALU_CYCLE_1)
	s_and_b32 s39, s38, exec_lo
	s_or_b32 s36, s36, s39
	s_and_saveexec_b32 s7, s40
	s_cbranch_execz .LBB871_1183
; %bb.1185:                             ;   in Loop: Header=BB871_1184 Depth=2
	s_add_nc_u64 s[8:9], s[8:9], -1
	v_add_nc_u64_e32 v[4:5], 4, v[4:5]
	s_cmp_eq_u64 s[8:9], 0
	v_add_nc_u64_e32 v[6:7], 4, v[6:7]
	s_cselect_b32 s37, -1, 0
	s_and_not1_b32 s35, s35, exec_lo
	s_and_b32 s37, s37, exec_lo
	s_and_not1_b32 s36, s36, exec_lo
	s_or_b32 s35, s35, s37
                                        ; implicit-def: $sgpr37
	s_branch .LBB871_1183
.LBB871_1186:                           ;   in Loop: Header=BB871_1143 Depth=1
	s_or_b32 exec_lo, exec_lo, s33
	s_xor_b32 s7, s34, -1
	s_and_not1_b32 s8, s28, exec_lo
	s_and_b32 s7, s7, exec_lo
	s_delay_alu instid0(SALU_CYCLE_1)
	s_or_b32 s28, s8, s7
.LBB871_1187:                           ;   in Loop: Header=BB871_1143 Depth=1
	s_or_b32 exec_lo, exec_lo, s31
	s_delay_alu instid0(SALU_CYCLE_1)
	s_or_not1_b32 s28, s28, exec_lo
.LBB871_1188:                           ;   in Loop: Header=BB871_1143 Depth=1
	s_or_b32 exec_lo, exec_lo, s30
	v_cndmask_b32_e64 v4, v8, v9, s28
	v_cndmask_b32_e64 v5, v26, v25, s28
	s_mov_b32 s30, exec_lo
	s_delay_alu instid0(VALU_DEP_2) | instskip(NEXT) | instid1(VALU_DEP_1)
	v_add_nc_u32_e32 v6, 1, v4
	v_add_min_u32_e64 v4, v5, -1, v6
	v_dual_cndmask_b32 v8, v6, v8, s28 :: v_dual_cndmask_b32 v9, v9, v6, s28
	s_delay_alu instid0(VALU_DEP_2)
	v_lshlrev_b32_e32 v4, 3, v4
	ds_load_b64 v[4:5], v4
	s_wait_dscnt 0x0
	v_dual_cndmask_b32 v29, v5, v12, s28 :: v_dual_cndmask_b32 v30, v4, v27, s28
	v_dual_cndmask_b32 v31, v13, v5, s28 :: v_dual_cndmask_b32 v32, v28, v4, s28
	v_cmpx_lt_u32_e64 v8, v26
	s_cbranch_execz .LBB871_1196
; %bb.1189:                             ;   in Loop: Header=BB871_1143 Depth=1
	v_cmp_lt_u32_e64 s29, v9, v25
	s_and_b32 s7, s29, s22
	s_delay_alu instid0(SALU_CYCLE_1)
	s_and_saveexec_b32 s31, s7
	s_cbranch_execz .LBB871_1195
; %bb.1190:                             ;   in Loop: Header=BB871_1143 Depth=1
	v_mad_nc_u64_u32 v[4:5], s16, v30, s[14:15]
	v_mad_nc_u64_u32 v[6:7], s16, v32, s[14:15]
	s_mov_b32 s33, 0
	s_mov_b64 s[8:9], s[12:13]
                                        ; implicit-def: $sgpr34
                                        ; implicit-def: $sgpr35
                                        ; implicit-def: $sgpr36
                                        ; implicit-def: $sgpr37
	s_delay_alu instid0(VALU_DEP_2) | instskip(NEXT) | instid1(VALU_DEP_2)
	v_mad_u32 v5, s17, v30, v5
	v_mad_u32 v7, s17, v32, v7
	s_delay_alu instid0(VALU_DEP_2) | instskip(NEXT) | instid1(VALU_DEP_2)
	v_mad_u32 v5, s16, v29, v5
	v_mad_u32 v7, s16, v31, v7
	s_branch .LBB871_1192
.LBB871_1191:                           ;   in Loop: Header=BB871_1192 Depth=2
	s_or_b32 exec_lo, exec_lo, s7
	s_delay_alu instid0(SALU_CYCLE_1) | instskip(NEXT) | instid1(SALU_CYCLE_1)
	s_and_b32 s7, exec_lo, s35
	s_or_b32 s33, s7, s33
	s_and_not1_b32 s7, s37, exec_lo
	s_and_b32 s37, s38, exec_lo
	s_and_not1_b32 s34, s34, exec_lo
	s_and_b32 s38, s36, exec_lo
	s_or_b32 s37, s7, s37
	s_or_b32 s34, s34, s38
	s_and_not1_b32 exec_lo, exec_lo, s33
	s_cbranch_execz .LBB871_1194
.LBB871_1192:                           ;   Parent Loop BB871_1143 Depth=1
                                        ; =>  This Inner Loop Header: Depth=2
	global_load_b32 v33, v[4:5], off
	global_load_b32 v34, v[6:7], off
	s_and_not1_b32 s36, s36, exec_lo
	s_or_b32 s35, s35, exec_lo
	s_wait_loadcnt 0x0
	v_cmp_ngt_f32_e32 vcc_lo, v33, v34
	v_cmp_lt_f32_e64 s7, v33, v34
	s_and_b32 s38, vcc_lo, s37
	s_xor_b32 s40, s7, vcc_lo
	s_or_b32 s38, s7, s38
	s_delay_alu instid0(SALU_CYCLE_1) | instskip(NEXT) | instid1(SALU_CYCLE_1)
	s_and_b32 s39, s38, exec_lo
	s_or_b32 s36, s36, s39
	s_and_saveexec_b32 s7, s40
	s_cbranch_execz .LBB871_1191
; %bb.1193:                             ;   in Loop: Header=BB871_1192 Depth=2
	s_add_nc_u64 s[8:9], s[8:9], -1
	v_add_nc_u64_e32 v[4:5], 4, v[4:5]
	s_cmp_eq_u64 s[8:9], 0
	v_add_nc_u64_e32 v[6:7], 4, v[6:7]
	s_cselect_b32 s37, -1, 0
	s_and_not1_b32 s35, s35, exec_lo
	s_and_b32 s37, s37, exec_lo
	s_and_not1_b32 s36, s36, exec_lo
	s_or_b32 s35, s35, s37
                                        ; implicit-def: $sgpr37
	s_branch .LBB871_1191
.LBB871_1194:                           ;   in Loop: Header=BB871_1143 Depth=1
	s_or_b32 exec_lo, exec_lo, s33
	s_xor_b32 s7, s34, -1
	s_and_not1_b32 s8, s29, exec_lo
	s_and_b32 s7, s7, exec_lo
	s_delay_alu instid0(SALU_CYCLE_1)
	s_or_b32 s29, s8, s7
.LBB871_1195:                           ;   in Loop: Header=BB871_1143 Depth=1
	s_or_b32 exec_lo, exec_lo, s31
	s_delay_alu instid0(SALU_CYCLE_1)
	s_or_not1_b32 s29, s29, exec_lo
.LBB871_1196:                           ;   in Loop: Header=BB871_1143 Depth=1
	s_or_b32 exec_lo, exec_lo, s30
	v_cndmask_b32_e64 v4, v8, v9, s29
	v_cndmask_b32_e64 v5, v26, v25, s29
	s_mov_b32 s30, -1
	s_mov_b32 s31, -1
	s_mov_b32 s33, exec_lo
	v_add_nc_u32_e32 v6, 1, v4
	s_delay_alu instid0(VALU_DEP_1) | instskip(SKIP_1) | instid1(VALU_DEP_2)
	v_add_min_u32_e64 v4, v5, -1, v6
	v_dual_cndmask_b32 v8, v6, v8, s29 :: v_dual_cndmask_b32 v9, v9, v6, s29
	v_lshlrev_b32_e32 v4, 3, v4
	ds_load_b64 v[4:5], v4
	s_wait_dscnt 0x0
	v_dual_cndmask_b32 v33, v5, v29, s29 :: v_dual_cndmask_b32 v34, v4, v30, s29
	v_dual_cndmask_b32 v35, v31, v5, s29 :: v_dual_cndmask_b32 v43, v32, v4, s29
	v_cmpx_lt_u32_e64 v8, v26
	s_cbranch_execz .LBB871_1204
; %bb.1197:                             ;   in Loop: Header=BB871_1143 Depth=1
	v_cmp_lt_u32_e64 s31, v9, v25
	s_and_b32 s7, s31, s22
	s_delay_alu instid0(SALU_CYCLE_1)
	s_and_saveexec_b32 s34, s7
	s_cbranch_execz .LBB871_1203
; %bb.1198:                             ;   in Loop: Header=BB871_1143 Depth=1
	v_mad_nc_u64_u32 v[4:5], s16, v34, s[14:15]
	v_mad_nc_u64_u32 v[6:7], s16, v43, s[14:15]
	s_mov_b32 s35, 0
	s_mov_b64 s[8:9], s[12:13]
                                        ; implicit-def: $sgpr36
                                        ; implicit-def: $sgpr37
                                        ; implicit-def: $sgpr38
                                        ; implicit-def: $sgpr39
	s_delay_alu instid0(VALU_DEP_2) | instskip(NEXT) | instid1(VALU_DEP_2)
	v_mad_u32 v5, s17, v34, v5
	v_mad_u32 v7, s17, v43, v7
	s_delay_alu instid0(VALU_DEP_2) | instskip(NEXT) | instid1(VALU_DEP_2)
	v_mad_u32 v5, s16, v33, v5
	v_mad_u32 v7, s16, v35, v7
	s_branch .LBB871_1200
.LBB871_1199:                           ;   in Loop: Header=BB871_1200 Depth=2
	s_or_b32 exec_lo, exec_lo, s7
	s_delay_alu instid0(SALU_CYCLE_1) | instskip(NEXT) | instid1(SALU_CYCLE_1)
	s_and_b32 s7, exec_lo, s37
	s_or_b32 s35, s7, s35
	s_and_not1_b32 s7, s39, exec_lo
	s_and_b32 s39, s40, exec_lo
	s_and_not1_b32 s36, s36, exec_lo
	s_and_b32 s40, s38, exec_lo
	s_or_b32 s39, s7, s39
	s_or_b32 s36, s36, s40
	s_and_not1_b32 exec_lo, exec_lo, s35
	s_cbranch_execz .LBB871_1202
.LBB871_1200:                           ;   Parent Loop BB871_1143 Depth=1
                                        ; =>  This Inner Loop Header: Depth=2
	global_load_b32 v44, v[4:5], off
	global_load_b32 v45, v[6:7], off
	s_and_not1_b32 s38, s38, exec_lo
	s_or_b32 s37, s37, exec_lo
	s_wait_loadcnt 0x0
	v_cmp_ngt_f32_e32 vcc_lo, v44, v45
	v_cmp_lt_f32_e64 s7, v44, v45
	s_and_b32 s40, vcc_lo, s39
	s_xor_b32 s42, s7, vcc_lo
	s_or_b32 s40, s7, s40
	s_delay_alu instid0(SALU_CYCLE_1) | instskip(NEXT) | instid1(SALU_CYCLE_1)
	s_and_b32 s41, s40, exec_lo
	s_or_b32 s38, s38, s41
	s_and_saveexec_b32 s7, s42
	s_cbranch_execz .LBB871_1199
; %bb.1201:                             ;   in Loop: Header=BB871_1200 Depth=2
	s_add_nc_u64 s[8:9], s[8:9], -1
	v_add_nc_u64_e32 v[4:5], 4, v[4:5]
	s_cmp_eq_u64 s[8:9], 0
	v_add_nc_u64_e32 v[6:7], 4, v[6:7]
	s_cselect_b32 s39, -1, 0
	s_and_not1_b32 s37, s37, exec_lo
	s_and_b32 s39, s39, exec_lo
	s_and_not1_b32 s38, s38, exec_lo
	s_or_b32 s37, s37, s39
                                        ; implicit-def: $sgpr39
	s_branch .LBB871_1199
.LBB871_1202:                           ;   in Loop: Header=BB871_1143 Depth=1
	s_or_b32 exec_lo, exec_lo, s35
	s_xor_b32 s7, s36, -1
	s_and_not1_b32 s8, s31, exec_lo
	s_and_b32 s7, s7, exec_lo
	s_delay_alu instid0(SALU_CYCLE_1)
	s_or_b32 s31, s8, s7
.LBB871_1203:                           ;   in Loop: Header=BB871_1143 Depth=1
	s_or_b32 exec_lo, exec_lo, s34
	s_delay_alu instid0(SALU_CYCLE_1)
	s_or_not1_b32 s31, s31, exec_lo
.LBB871_1204:                           ;   in Loop: Header=BB871_1143 Depth=1
	s_or_b32 exec_lo, exec_lo, s33
	v_cndmask_b32_e64 v4, v8, v9, s31
	v_cndmask_b32_e64 v5, v26, v25, s31
	s_mov_b32 s33, exec_lo
	s_delay_alu instid0(VALU_DEP_2) | instskip(NEXT) | instid1(VALU_DEP_1)
	v_add_nc_u32_e32 v6, 1, v4
	v_add_min_u32_e64 v4, v5, -1, v6
	v_dual_cndmask_b32 v48, v6, v8, s31 :: v_dual_cndmask_b32 v8, v9, v6, s31
	s_delay_alu instid0(VALU_DEP_2)
	v_lshlrev_b32_e32 v4, 3, v4
	ds_load_b64 v[4:5], v4
	s_wait_dscnt 0x0
	v_dual_cndmask_b32 v44, v5, v33, s31 :: v_dual_cndmask_b32 v45, v4, v34, s31
	v_cndmask_b32_e64 v46, v35, v5, s31
	v_cndmask_b32_e64 v47, v43, v4, s31
	v_cmpx_lt_u32_e64 v48, v26
	s_cbranch_execz .LBB871_1212
; %bb.1205:                             ;   in Loop: Header=BB871_1143 Depth=1
	v_cmp_lt_u32_e64 s30, v8, v25
	s_and_b32 s7, s30, s22
	s_delay_alu instid0(SALU_CYCLE_1)
	s_and_saveexec_b32 s34, s7
	s_cbranch_execz .LBB871_1211
; %bb.1206:                             ;   in Loop: Header=BB871_1143 Depth=1
	v_mad_nc_u64_u32 v[4:5], s16, v45, s[14:15]
	v_mad_nc_u64_u32 v[6:7], s16, v47, s[14:15]
	s_mov_b32 s35, 0
	s_mov_b64 s[8:9], s[12:13]
                                        ; implicit-def: $sgpr36
                                        ; implicit-def: $sgpr37
                                        ; implicit-def: $sgpr38
                                        ; implicit-def: $sgpr39
	s_delay_alu instid0(VALU_DEP_2) | instskip(NEXT) | instid1(VALU_DEP_2)
	v_mad_u32 v5, s17, v45, v5
	v_mad_u32 v7, s17, v47, v7
	s_delay_alu instid0(VALU_DEP_2) | instskip(NEXT) | instid1(VALU_DEP_2)
	v_mad_u32 v5, s16, v44, v5
	v_mad_u32 v7, s16, v46, v7
	s_branch .LBB871_1208
.LBB871_1207:                           ;   in Loop: Header=BB871_1208 Depth=2
	s_or_b32 exec_lo, exec_lo, s7
	s_delay_alu instid0(SALU_CYCLE_1) | instskip(NEXT) | instid1(SALU_CYCLE_1)
	s_and_b32 s7, exec_lo, s37
	s_or_b32 s35, s7, s35
	s_and_not1_b32 s7, s39, exec_lo
	s_and_b32 s39, s40, exec_lo
	s_and_not1_b32 s36, s36, exec_lo
	s_and_b32 s40, s38, exec_lo
	s_or_b32 s39, s7, s39
	s_or_b32 s36, s36, s40
	s_and_not1_b32 exec_lo, exec_lo, s35
	s_cbranch_execz .LBB871_1210
.LBB871_1208:                           ;   Parent Loop BB871_1143 Depth=1
                                        ; =>  This Inner Loop Header: Depth=2
	global_load_b32 v9, v[4:5], off
	global_load_b32 v49, v[6:7], off
	s_and_not1_b32 s38, s38, exec_lo
	s_or_b32 s37, s37, exec_lo
	s_wait_loadcnt 0x0
	v_cmp_ngt_f32_e32 vcc_lo, v9, v49
	v_cmp_lt_f32_e64 s7, v9, v49
	s_and_b32 s40, vcc_lo, s39
	s_xor_b32 s42, s7, vcc_lo
	s_or_b32 s40, s7, s40
	s_delay_alu instid0(SALU_CYCLE_1) | instskip(NEXT) | instid1(SALU_CYCLE_1)
	s_and_b32 s41, s40, exec_lo
	s_or_b32 s38, s38, s41
	s_and_saveexec_b32 s7, s42
	s_cbranch_execz .LBB871_1207
; %bb.1209:                             ;   in Loop: Header=BB871_1208 Depth=2
	s_add_nc_u64 s[8:9], s[8:9], -1
	v_add_nc_u64_e32 v[4:5], 4, v[4:5]
	s_cmp_eq_u64 s[8:9], 0
	v_add_nc_u64_e32 v[6:7], 4, v[6:7]
	s_cselect_b32 s39, -1, 0
	s_and_not1_b32 s37, s37, exec_lo
	s_and_b32 s39, s39, exec_lo
	s_and_not1_b32 s38, s38, exec_lo
	s_or_b32 s37, s37, s39
                                        ; implicit-def: $sgpr39
	s_branch .LBB871_1207
.LBB871_1210:                           ;   in Loop: Header=BB871_1143 Depth=1
	s_or_b32 exec_lo, exec_lo, s35
	s_xor_b32 s7, s36, -1
	s_and_not1_b32 s8, s30, exec_lo
	s_and_b32 s7, s7, exec_lo
	s_delay_alu instid0(SALU_CYCLE_1)
	s_or_b32 s30, s8, s7
.LBB871_1211:                           ;   in Loop: Header=BB871_1143 Depth=1
	s_or_b32 exec_lo, exec_lo, s34
	s_delay_alu instid0(SALU_CYCLE_1)
	s_or_not1_b32 s30, s30, exec_lo
.LBB871_1212:                           ;   in Loop: Header=BB871_1143 Depth=1
	s_or_b32 exec_lo, exec_lo, s33
	v_dual_cndmask_b32 v4, v48, v8, s30 :: v_dual_cndmask_b32 v5, v26, v25, s30
	s_mov_b32 s33, exec_lo
	s_delay_alu instid0(VALU_DEP_1) | instskip(NEXT) | instid1(VALU_DEP_1)
	v_add_nc_u32_e32 v9, 1, v4
	v_add_min_u32_e64 v4, v5, -1, v9
	s_delay_alu instid0(VALU_DEP_1) | instskip(SKIP_4) | instid1(VALU_DEP_2)
	v_lshlrev_b32_e32 v4, 3, v4
	ds_load_b64 v[6:7], v4
	s_wait_dscnt 0x0
	v_dual_cndmask_b32 v48, v9, v48, s30 :: v_dual_cndmask_b32 v5, v46, v7, s30
	v_cndmask_b32_e64 v4, v47, v6, s30
	v_cmpx_lt_u32_e64 v48, v26
	s_cbranch_execz .LBB871_1141
; %bb.1213:                             ;   in Loop: Header=BB871_1143 Depth=1
	v_dual_cndmask_b32 v8, v8, v9, s30 :: v_dual_cndmask_b32 v26, v7, v44, s30
	s_delay_alu instid0(VALU_DEP_1) | instskip(NEXT) | instid1(VALU_DEP_2)
	v_cmp_ge_u32_e32 vcc_lo, v8, v25
	v_dual_cndmask_b32 v48, v6, v45, s30 :: v_dual_cndmask_b32 v7, v5, v26, vcc_lo
	s_delay_alu instid0(VALU_DEP_1) | instskip(SKIP_1) | instid1(SALU_CYCLE_1)
	v_cndmask_b32_e32 v6, v4, v48, vcc_lo
	s_nor_b32 s7, vcc_lo, s19
	s_and_saveexec_b32 s34, s7
	s_cbranch_execz .LBB871_1140
; %bb.1214:                             ;   in Loop: Header=BB871_1143 Depth=1
	v_mad_nc_u64_u32 v[6:7], s16, v48, s[14:15]
	v_mad_nc_u64_u32 v[8:9], s16, v4, s[14:15]
	s_mov_b32 s35, 0
	s_mov_b64 s[8:9], s[12:13]
                                        ; implicit-def: $sgpr36
                                        ; implicit-def: $sgpr37
                                        ; implicit-def: $sgpr38
                                        ; implicit-def: $sgpr39
	s_delay_alu instid0(VALU_DEP_2) | instskip(NEXT) | instid1(VALU_DEP_2)
	v_mad_u32 v7, s17, v48, v7
	v_mad_u32 v9, s17, v4, v9
	s_delay_alu instid0(VALU_DEP_2) | instskip(NEXT) | instid1(VALU_DEP_2)
	v_mad_u32 v7, s16, v26, v7
	v_mad_u32 v9, s16, v5, v9
	s_branch .LBB871_1216
.LBB871_1215:                           ;   in Loop: Header=BB871_1216 Depth=2
	s_or_b32 exec_lo, exec_lo, s7
	s_delay_alu instid0(SALU_CYCLE_1) | instskip(NEXT) | instid1(SALU_CYCLE_1)
	s_and_b32 s7, exec_lo, s37
	s_or_b32 s35, s7, s35
	s_and_not1_b32 s7, s39, exec_lo
	s_and_b32 s39, s40, exec_lo
	s_and_not1_b32 s36, s36, exec_lo
	s_and_b32 s40, s38, exec_lo
	s_or_b32 s39, s7, s39
	s_or_b32 s36, s36, s40
	s_and_not1_b32 exec_lo, exec_lo, s35
	s_cbranch_execz .LBB871_1139
.LBB871_1216:                           ;   Parent Loop BB871_1143 Depth=1
                                        ; =>  This Inner Loop Header: Depth=2
	global_load_b32 v25, v[6:7], off
	global_load_b32 v49, v[8:9], off
	s_and_not1_b32 s38, s38, exec_lo
	s_or_b32 s37, s37, exec_lo
	s_wait_loadcnt 0x0
	v_cmp_ngt_f32_e32 vcc_lo, v25, v49
	v_cmp_lt_f32_e64 s7, v25, v49
	s_and_b32 s40, vcc_lo, s39
	s_xor_b32 s42, s7, vcc_lo
	s_or_b32 s40, s7, s40
	s_delay_alu instid0(SALU_CYCLE_1) | instskip(NEXT) | instid1(SALU_CYCLE_1)
	s_and_b32 s41, s40, exec_lo
	s_or_b32 s38, s38, s41
	s_and_saveexec_b32 s7, s42
	s_cbranch_execz .LBB871_1215
; %bb.1217:                             ;   in Loop: Header=BB871_1216 Depth=2
	s_add_nc_u64 s[8:9], s[8:9], -1
	v_add_nc_u64_e32 v[6:7], 4, v[6:7]
	s_cmp_eq_u64 s[8:9], 0
	v_add_nc_u64_e32 v[8:9], 4, v[8:9]
	s_cselect_b32 s39, -1, 0
	s_and_not1_b32 s37, s37, exec_lo
	s_and_b32 s39, s39, exec_lo
	s_and_not1_b32 s38, s38, exec_lo
	s_or_b32 s37, s37, s39
                                        ; implicit-def: $sgpr39
	s_branch .LBB871_1215
.LBB871_1218:
	s_barrier_signal -1
	s_barrier_wait -1
	ds_store_2addr_b64 v42, v[14:15], v[16:17] offset1:1
	ds_store_2addr_b64 v42, v[10:11], v[12:13] offset0:2 offset1:3
	ds_store_2addr_b64 v42, v[6:7], v[8:9] offset0:4 offset1:5
	;; [unrolled: 1-line block ×3, first 2 shown]
	s_wait_dscnt 0x0
	s_barrier_signal -1
	s_barrier_wait -1
	ds_load_b64 v[14:15], v21 offset:2048
	ds_load_b64 v[12:13], v36 offset:4096
	;; [unrolled: 1-line block ×7, first 2 shown]
	v_mov_b32_e32 v21, 0
	s_delay_alu instid0(VALU_DEP_1)
	v_add_nc_u64_e32 v[4:5], s[10:11], v[20:21]
	s_and_saveexec_b32 s7, s0
	s_cbranch_execnz .LBB871_1230
; %bb.1219:
	s_or_b32 exec_lo, exec_lo, s7
	s_and_saveexec_b32 s0, s1
	s_cbranch_execnz .LBB871_1231
.LBB871_1220:
	s_or_b32 exec_lo, exec_lo, s0
	s_and_saveexec_b32 s0, s2
	s_cbranch_execnz .LBB871_1232
.LBB871_1221:
	s_or_b32 exec_lo, exec_lo, s0
	s_and_saveexec_b32 s0, s3
	s_cbranch_execnz .LBB871_1233
.LBB871_1222:
	s_or_b32 exec_lo, exec_lo, s0
	s_and_saveexec_b32 s0, s4
	s_cbranch_execnz .LBB871_1234
.LBB871_1223:
	s_or_b32 exec_lo, exec_lo, s0
	s_and_saveexec_b32 s0, s5
	s_cbranch_execnz .LBB871_1235
.LBB871_1224:
	s_or_b32 exec_lo, exec_lo, s0
	s_and_saveexec_b32 s0, s6
	s_cbranch_execz .LBB871_1226
.LBB871_1225:
	s_wait_dscnt 0x1
	global_store_b64 v[4:5], v[0:1], off offset:12288
.LBB871_1226:
	s_wait_xcnt 0x0
	s_or_b32 exec_lo, exec_lo, s0
	v_mov_b32_e32 v19, v21
.LBB871_1227:
	s_wait_xcnt 0x0
	s_and_saveexec_b32 s0, s20
	s_cbranch_execz .LBB871_1229
; %bb.1228:
	s_wait_dscnt 0x1
	v_lshl_add_u64 v[0:1], v[18:19], 3, s[10:11]
	s_wait_dscnt 0x0
	global_store_b64 v[0:1], v[2:3], off offset:14336
.LBB871_1229:
	s_endpgm
.LBB871_1230:
	ds_load_b64 v[16:17], v19
	s_wait_dscnt 0x0
	global_store_b64 v[4:5], v[16:17], off
	s_wait_xcnt 0x0
	s_or_b32 exec_lo, exec_lo, s7
	s_and_saveexec_b32 s0, s1
	s_cbranch_execz .LBB871_1220
.LBB871_1231:
	s_wait_dscnt 0x6
	global_store_b64 v[4:5], v[14:15], off offset:2048
	s_wait_xcnt 0x0
	s_or_b32 exec_lo, exec_lo, s0
	s_and_saveexec_b32 s0, s2
	s_cbranch_execz .LBB871_1221
.LBB871_1232:
	s_wait_dscnt 0x5
	global_store_b64 v[4:5], v[12:13], off offset:4096
	s_wait_xcnt 0x0
	s_or_b32 exec_lo, exec_lo, s0
	s_and_saveexec_b32 s0, s3
	s_cbranch_execz .LBB871_1222
.LBB871_1233:
	s_wait_dscnt 0x4
	global_store_b64 v[4:5], v[10:11], off offset:6144
	s_wait_xcnt 0x0
	s_or_b32 exec_lo, exec_lo, s0
	s_and_saveexec_b32 s0, s4
	s_cbranch_execz .LBB871_1223
.LBB871_1234:
	s_wait_dscnt 0x3
	global_store_b64 v[4:5], v[8:9], off offset:8192
	s_wait_xcnt 0x0
	s_or_b32 exec_lo, exec_lo, s0
	s_and_saveexec_b32 s0, s5
	s_cbranch_execz .LBB871_1224
.LBB871_1235:
	s_wait_dscnt 0x2
	global_store_b64 v[4:5], v[6:7], off offset:10240
	s_wait_xcnt 0x0
	s_or_b32 exec_lo, exec_lo, s0
	s_and_saveexec_b32 s0, s6
	s_cbranch_execnz .LBB871_1225
	s_branch .LBB871_1226
	.section	.rodata,"a",@progbits
	.p2align	6, 0x0
	.amdhsa_kernel _ZN7rocprim17ROCPRIM_400000_NS6detail17trampoline_kernelINS0_14default_configENS1_37merge_sort_block_sort_config_selectorIlNS0_10empty_typeEEEZNS1_21merge_sort_block_sortIS3_PlS8_PS5_S9_ZN2at6native12_GLOBAL__N_124unique_dim_cuda_templateIfEESt5tupleIJNSA_6TensorESF_SF_EERKSF_lbbbEUlllE_EE10hipError_tT0_T1_T2_T3_mRjT4_P12ihipStream_tbNS1_7vsmem_tEEUlT_E_NS1_11comp_targetILNS1_3genE0ELNS1_11target_archE4294967295ELNS1_3gpuE0ELNS1_3repE0EEENS1_30default_config_static_selectorELNS0_4arch9wavefront6targetE0EEEvSM_
		.amdhsa_group_segment_fixed_size 16896
		.amdhsa_private_segment_fixed_size 0
		.amdhsa_kernarg_size 328
		.amdhsa_user_sgpr_count 2
		.amdhsa_user_sgpr_dispatch_ptr 0
		.amdhsa_user_sgpr_queue_ptr 0
		.amdhsa_user_sgpr_kernarg_segment_ptr 1
		.amdhsa_user_sgpr_dispatch_id 0
		.amdhsa_user_sgpr_kernarg_preload_length 0
		.amdhsa_user_sgpr_kernarg_preload_offset 0
		.amdhsa_user_sgpr_private_segment_size 0
		.amdhsa_wavefront_size32 1
		.amdhsa_uses_dynamic_stack 0
		.amdhsa_enable_private_segment 0
		.amdhsa_system_sgpr_workgroup_id_x 1
		.amdhsa_system_sgpr_workgroup_id_y 1
		.amdhsa_system_sgpr_workgroup_id_z 1
		.amdhsa_system_sgpr_workgroup_info 0
		.amdhsa_system_vgpr_workitem_id 2
		.amdhsa_next_free_vgpr 56
		.amdhsa_next_free_sgpr 43
		.amdhsa_named_barrier_count 0
		.amdhsa_reserve_vcc 1
		.amdhsa_float_round_mode_32 0
		.amdhsa_float_round_mode_16_64 0
		.amdhsa_float_denorm_mode_32 3
		.amdhsa_float_denorm_mode_16_64 3
		.amdhsa_fp16_overflow 0
		.amdhsa_memory_ordered 1
		.amdhsa_forward_progress 1
		.amdhsa_inst_pref_size 255
		.amdhsa_round_robin_scheduling 0
		.amdhsa_exception_fp_ieee_invalid_op 0
		.amdhsa_exception_fp_denorm_src 0
		.amdhsa_exception_fp_ieee_div_zero 0
		.amdhsa_exception_fp_ieee_overflow 0
		.amdhsa_exception_fp_ieee_underflow 0
		.amdhsa_exception_fp_ieee_inexact 0
		.amdhsa_exception_int_div_zero 0
	.end_amdhsa_kernel
	.section	.text._ZN7rocprim17ROCPRIM_400000_NS6detail17trampoline_kernelINS0_14default_configENS1_37merge_sort_block_sort_config_selectorIlNS0_10empty_typeEEEZNS1_21merge_sort_block_sortIS3_PlS8_PS5_S9_ZN2at6native12_GLOBAL__N_124unique_dim_cuda_templateIfEESt5tupleIJNSA_6TensorESF_SF_EERKSF_lbbbEUlllE_EE10hipError_tT0_T1_T2_T3_mRjT4_P12ihipStream_tbNS1_7vsmem_tEEUlT_E_NS1_11comp_targetILNS1_3genE0ELNS1_11target_archE4294967295ELNS1_3gpuE0ELNS1_3repE0EEENS1_30default_config_static_selectorELNS0_4arch9wavefront6targetE0EEEvSM_,"axG",@progbits,_ZN7rocprim17ROCPRIM_400000_NS6detail17trampoline_kernelINS0_14default_configENS1_37merge_sort_block_sort_config_selectorIlNS0_10empty_typeEEEZNS1_21merge_sort_block_sortIS3_PlS8_PS5_S9_ZN2at6native12_GLOBAL__N_124unique_dim_cuda_templateIfEESt5tupleIJNSA_6TensorESF_SF_EERKSF_lbbbEUlllE_EE10hipError_tT0_T1_T2_T3_mRjT4_P12ihipStream_tbNS1_7vsmem_tEEUlT_E_NS1_11comp_targetILNS1_3genE0ELNS1_11target_archE4294967295ELNS1_3gpuE0ELNS1_3repE0EEENS1_30default_config_static_selectorELNS0_4arch9wavefront6targetE0EEEvSM_,comdat
.Lfunc_end871:
	.size	_ZN7rocprim17ROCPRIM_400000_NS6detail17trampoline_kernelINS0_14default_configENS1_37merge_sort_block_sort_config_selectorIlNS0_10empty_typeEEEZNS1_21merge_sort_block_sortIS3_PlS8_PS5_S9_ZN2at6native12_GLOBAL__N_124unique_dim_cuda_templateIfEESt5tupleIJNSA_6TensorESF_SF_EERKSF_lbbbEUlllE_EE10hipError_tT0_T1_T2_T3_mRjT4_P12ihipStream_tbNS1_7vsmem_tEEUlT_E_NS1_11comp_targetILNS1_3genE0ELNS1_11target_archE4294967295ELNS1_3gpuE0ELNS1_3repE0EEENS1_30default_config_static_selectorELNS0_4arch9wavefront6targetE0EEEvSM_, .Lfunc_end871-_ZN7rocprim17ROCPRIM_400000_NS6detail17trampoline_kernelINS0_14default_configENS1_37merge_sort_block_sort_config_selectorIlNS0_10empty_typeEEEZNS1_21merge_sort_block_sortIS3_PlS8_PS5_S9_ZN2at6native12_GLOBAL__N_124unique_dim_cuda_templateIfEESt5tupleIJNSA_6TensorESF_SF_EERKSF_lbbbEUlllE_EE10hipError_tT0_T1_T2_T3_mRjT4_P12ihipStream_tbNS1_7vsmem_tEEUlT_E_NS1_11comp_targetILNS1_3genE0ELNS1_11target_archE4294967295ELNS1_3gpuE0ELNS1_3repE0EEENS1_30default_config_static_selectorELNS0_4arch9wavefront6targetE0EEEvSM_
                                        ; -- End function
	.set _ZN7rocprim17ROCPRIM_400000_NS6detail17trampoline_kernelINS0_14default_configENS1_37merge_sort_block_sort_config_selectorIlNS0_10empty_typeEEEZNS1_21merge_sort_block_sortIS3_PlS8_PS5_S9_ZN2at6native12_GLOBAL__N_124unique_dim_cuda_templateIfEESt5tupleIJNSA_6TensorESF_SF_EERKSF_lbbbEUlllE_EE10hipError_tT0_T1_T2_T3_mRjT4_P12ihipStream_tbNS1_7vsmem_tEEUlT_E_NS1_11comp_targetILNS1_3genE0ELNS1_11target_archE4294967295ELNS1_3gpuE0ELNS1_3repE0EEENS1_30default_config_static_selectorELNS0_4arch9wavefront6targetE0EEEvSM_.num_vgpr, 56
	.set _ZN7rocprim17ROCPRIM_400000_NS6detail17trampoline_kernelINS0_14default_configENS1_37merge_sort_block_sort_config_selectorIlNS0_10empty_typeEEEZNS1_21merge_sort_block_sortIS3_PlS8_PS5_S9_ZN2at6native12_GLOBAL__N_124unique_dim_cuda_templateIfEESt5tupleIJNSA_6TensorESF_SF_EERKSF_lbbbEUlllE_EE10hipError_tT0_T1_T2_T3_mRjT4_P12ihipStream_tbNS1_7vsmem_tEEUlT_E_NS1_11comp_targetILNS1_3genE0ELNS1_11target_archE4294967295ELNS1_3gpuE0ELNS1_3repE0EEENS1_30default_config_static_selectorELNS0_4arch9wavefront6targetE0EEEvSM_.num_agpr, 0
	.set _ZN7rocprim17ROCPRIM_400000_NS6detail17trampoline_kernelINS0_14default_configENS1_37merge_sort_block_sort_config_selectorIlNS0_10empty_typeEEEZNS1_21merge_sort_block_sortIS3_PlS8_PS5_S9_ZN2at6native12_GLOBAL__N_124unique_dim_cuda_templateIfEESt5tupleIJNSA_6TensorESF_SF_EERKSF_lbbbEUlllE_EE10hipError_tT0_T1_T2_T3_mRjT4_P12ihipStream_tbNS1_7vsmem_tEEUlT_E_NS1_11comp_targetILNS1_3genE0ELNS1_11target_archE4294967295ELNS1_3gpuE0ELNS1_3repE0EEENS1_30default_config_static_selectorELNS0_4arch9wavefront6targetE0EEEvSM_.numbered_sgpr, 43
	.set _ZN7rocprim17ROCPRIM_400000_NS6detail17trampoline_kernelINS0_14default_configENS1_37merge_sort_block_sort_config_selectorIlNS0_10empty_typeEEEZNS1_21merge_sort_block_sortIS3_PlS8_PS5_S9_ZN2at6native12_GLOBAL__N_124unique_dim_cuda_templateIfEESt5tupleIJNSA_6TensorESF_SF_EERKSF_lbbbEUlllE_EE10hipError_tT0_T1_T2_T3_mRjT4_P12ihipStream_tbNS1_7vsmem_tEEUlT_E_NS1_11comp_targetILNS1_3genE0ELNS1_11target_archE4294967295ELNS1_3gpuE0ELNS1_3repE0EEENS1_30default_config_static_selectorELNS0_4arch9wavefront6targetE0EEEvSM_.num_named_barrier, 0
	.set _ZN7rocprim17ROCPRIM_400000_NS6detail17trampoline_kernelINS0_14default_configENS1_37merge_sort_block_sort_config_selectorIlNS0_10empty_typeEEEZNS1_21merge_sort_block_sortIS3_PlS8_PS5_S9_ZN2at6native12_GLOBAL__N_124unique_dim_cuda_templateIfEESt5tupleIJNSA_6TensorESF_SF_EERKSF_lbbbEUlllE_EE10hipError_tT0_T1_T2_T3_mRjT4_P12ihipStream_tbNS1_7vsmem_tEEUlT_E_NS1_11comp_targetILNS1_3genE0ELNS1_11target_archE4294967295ELNS1_3gpuE0ELNS1_3repE0EEENS1_30default_config_static_selectorELNS0_4arch9wavefront6targetE0EEEvSM_.private_seg_size, 0
	.set _ZN7rocprim17ROCPRIM_400000_NS6detail17trampoline_kernelINS0_14default_configENS1_37merge_sort_block_sort_config_selectorIlNS0_10empty_typeEEEZNS1_21merge_sort_block_sortIS3_PlS8_PS5_S9_ZN2at6native12_GLOBAL__N_124unique_dim_cuda_templateIfEESt5tupleIJNSA_6TensorESF_SF_EERKSF_lbbbEUlllE_EE10hipError_tT0_T1_T2_T3_mRjT4_P12ihipStream_tbNS1_7vsmem_tEEUlT_E_NS1_11comp_targetILNS1_3genE0ELNS1_11target_archE4294967295ELNS1_3gpuE0ELNS1_3repE0EEENS1_30default_config_static_selectorELNS0_4arch9wavefront6targetE0EEEvSM_.uses_vcc, 1
	.set _ZN7rocprim17ROCPRIM_400000_NS6detail17trampoline_kernelINS0_14default_configENS1_37merge_sort_block_sort_config_selectorIlNS0_10empty_typeEEEZNS1_21merge_sort_block_sortIS3_PlS8_PS5_S9_ZN2at6native12_GLOBAL__N_124unique_dim_cuda_templateIfEESt5tupleIJNSA_6TensorESF_SF_EERKSF_lbbbEUlllE_EE10hipError_tT0_T1_T2_T3_mRjT4_P12ihipStream_tbNS1_7vsmem_tEEUlT_E_NS1_11comp_targetILNS1_3genE0ELNS1_11target_archE4294967295ELNS1_3gpuE0ELNS1_3repE0EEENS1_30default_config_static_selectorELNS0_4arch9wavefront6targetE0EEEvSM_.uses_flat_scratch, 0
	.set _ZN7rocprim17ROCPRIM_400000_NS6detail17trampoline_kernelINS0_14default_configENS1_37merge_sort_block_sort_config_selectorIlNS0_10empty_typeEEEZNS1_21merge_sort_block_sortIS3_PlS8_PS5_S9_ZN2at6native12_GLOBAL__N_124unique_dim_cuda_templateIfEESt5tupleIJNSA_6TensorESF_SF_EERKSF_lbbbEUlllE_EE10hipError_tT0_T1_T2_T3_mRjT4_P12ihipStream_tbNS1_7vsmem_tEEUlT_E_NS1_11comp_targetILNS1_3genE0ELNS1_11target_archE4294967295ELNS1_3gpuE0ELNS1_3repE0EEENS1_30default_config_static_selectorELNS0_4arch9wavefront6targetE0EEEvSM_.has_dyn_sized_stack, 0
	.set _ZN7rocprim17ROCPRIM_400000_NS6detail17trampoline_kernelINS0_14default_configENS1_37merge_sort_block_sort_config_selectorIlNS0_10empty_typeEEEZNS1_21merge_sort_block_sortIS3_PlS8_PS5_S9_ZN2at6native12_GLOBAL__N_124unique_dim_cuda_templateIfEESt5tupleIJNSA_6TensorESF_SF_EERKSF_lbbbEUlllE_EE10hipError_tT0_T1_T2_T3_mRjT4_P12ihipStream_tbNS1_7vsmem_tEEUlT_E_NS1_11comp_targetILNS1_3genE0ELNS1_11target_archE4294967295ELNS1_3gpuE0ELNS1_3repE0EEENS1_30default_config_static_selectorELNS0_4arch9wavefront6targetE0EEEvSM_.has_recursion, 0
	.set _ZN7rocprim17ROCPRIM_400000_NS6detail17trampoline_kernelINS0_14default_configENS1_37merge_sort_block_sort_config_selectorIlNS0_10empty_typeEEEZNS1_21merge_sort_block_sortIS3_PlS8_PS5_S9_ZN2at6native12_GLOBAL__N_124unique_dim_cuda_templateIfEESt5tupleIJNSA_6TensorESF_SF_EERKSF_lbbbEUlllE_EE10hipError_tT0_T1_T2_T3_mRjT4_P12ihipStream_tbNS1_7vsmem_tEEUlT_E_NS1_11comp_targetILNS1_3genE0ELNS1_11target_archE4294967295ELNS1_3gpuE0ELNS1_3repE0EEENS1_30default_config_static_selectorELNS0_4arch9wavefront6targetE0EEEvSM_.has_indirect_call, 0
	.section	.AMDGPU.csdata,"",@progbits
; Kernel info:
; codeLenInByte = 55648
; TotalNumSgprs: 45
; NumVgprs: 56
; ScratchSize: 0
; MemoryBound: 0
; FloatMode: 240
; IeeeMode: 1
; LDSByteSize: 16896 bytes/workgroup (compile time only)
; SGPRBlocks: 0
; VGPRBlocks: 3
; NumSGPRsForWavesPerEU: 45
; NumVGPRsForWavesPerEU: 56
; NamedBarCnt: 0
; Occupancy: 16
; WaveLimiterHint : 1
; COMPUTE_PGM_RSRC2:SCRATCH_EN: 0
; COMPUTE_PGM_RSRC2:USER_SGPR: 2
; COMPUTE_PGM_RSRC2:TRAP_HANDLER: 0
; COMPUTE_PGM_RSRC2:TGID_X_EN: 1
; COMPUTE_PGM_RSRC2:TGID_Y_EN: 1
; COMPUTE_PGM_RSRC2:TGID_Z_EN: 1
; COMPUTE_PGM_RSRC2:TIDIG_COMP_CNT: 2
	.section	.text._ZN7rocprim17ROCPRIM_400000_NS6detail17trampoline_kernelINS0_14default_configENS1_37merge_sort_block_sort_config_selectorIlNS0_10empty_typeEEEZNS1_21merge_sort_block_sortIS3_PlS8_PS5_S9_ZN2at6native12_GLOBAL__N_124unique_dim_cuda_templateIfEESt5tupleIJNSA_6TensorESF_SF_EERKSF_lbbbEUlllE_EE10hipError_tT0_T1_T2_T3_mRjT4_P12ihipStream_tbNS1_7vsmem_tEEUlT_E_NS1_11comp_targetILNS1_3genE5ELNS1_11target_archE942ELNS1_3gpuE9ELNS1_3repE0EEENS1_30default_config_static_selectorELNS0_4arch9wavefront6targetE0EEEvSM_,"axG",@progbits,_ZN7rocprim17ROCPRIM_400000_NS6detail17trampoline_kernelINS0_14default_configENS1_37merge_sort_block_sort_config_selectorIlNS0_10empty_typeEEEZNS1_21merge_sort_block_sortIS3_PlS8_PS5_S9_ZN2at6native12_GLOBAL__N_124unique_dim_cuda_templateIfEESt5tupleIJNSA_6TensorESF_SF_EERKSF_lbbbEUlllE_EE10hipError_tT0_T1_T2_T3_mRjT4_P12ihipStream_tbNS1_7vsmem_tEEUlT_E_NS1_11comp_targetILNS1_3genE5ELNS1_11target_archE942ELNS1_3gpuE9ELNS1_3repE0EEENS1_30default_config_static_selectorELNS0_4arch9wavefront6targetE0EEEvSM_,comdat
	.globl	_ZN7rocprim17ROCPRIM_400000_NS6detail17trampoline_kernelINS0_14default_configENS1_37merge_sort_block_sort_config_selectorIlNS0_10empty_typeEEEZNS1_21merge_sort_block_sortIS3_PlS8_PS5_S9_ZN2at6native12_GLOBAL__N_124unique_dim_cuda_templateIfEESt5tupleIJNSA_6TensorESF_SF_EERKSF_lbbbEUlllE_EE10hipError_tT0_T1_T2_T3_mRjT4_P12ihipStream_tbNS1_7vsmem_tEEUlT_E_NS1_11comp_targetILNS1_3genE5ELNS1_11target_archE942ELNS1_3gpuE9ELNS1_3repE0EEENS1_30default_config_static_selectorELNS0_4arch9wavefront6targetE0EEEvSM_ ; -- Begin function _ZN7rocprim17ROCPRIM_400000_NS6detail17trampoline_kernelINS0_14default_configENS1_37merge_sort_block_sort_config_selectorIlNS0_10empty_typeEEEZNS1_21merge_sort_block_sortIS3_PlS8_PS5_S9_ZN2at6native12_GLOBAL__N_124unique_dim_cuda_templateIfEESt5tupleIJNSA_6TensorESF_SF_EERKSF_lbbbEUlllE_EE10hipError_tT0_T1_T2_T3_mRjT4_P12ihipStream_tbNS1_7vsmem_tEEUlT_E_NS1_11comp_targetILNS1_3genE5ELNS1_11target_archE942ELNS1_3gpuE9ELNS1_3repE0EEENS1_30default_config_static_selectorELNS0_4arch9wavefront6targetE0EEEvSM_
	.p2align	8
	.type	_ZN7rocprim17ROCPRIM_400000_NS6detail17trampoline_kernelINS0_14default_configENS1_37merge_sort_block_sort_config_selectorIlNS0_10empty_typeEEEZNS1_21merge_sort_block_sortIS3_PlS8_PS5_S9_ZN2at6native12_GLOBAL__N_124unique_dim_cuda_templateIfEESt5tupleIJNSA_6TensorESF_SF_EERKSF_lbbbEUlllE_EE10hipError_tT0_T1_T2_T3_mRjT4_P12ihipStream_tbNS1_7vsmem_tEEUlT_E_NS1_11comp_targetILNS1_3genE5ELNS1_11target_archE942ELNS1_3gpuE9ELNS1_3repE0EEENS1_30default_config_static_selectorELNS0_4arch9wavefront6targetE0EEEvSM_,@function
_ZN7rocprim17ROCPRIM_400000_NS6detail17trampoline_kernelINS0_14default_configENS1_37merge_sort_block_sort_config_selectorIlNS0_10empty_typeEEEZNS1_21merge_sort_block_sortIS3_PlS8_PS5_S9_ZN2at6native12_GLOBAL__N_124unique_dim_cuda_templateIfEESt5tupleIJNSA_6TensorESF_SF_EERKSF_lbbbEUlllE_EE10hipError_tT0_T1_T2_T3_mRjT4_P12ihipStream_tbNS1_7vsmem_tEEUlT_E_NS1_11comp_targetILNS1_3genE5ELNS1_11target_archE942ELNS1_3gpuE9ELNS1_3repE0EEENS1_30default_config_static_selectorELNS0_4arch9wavefront6targetE0EEEvSM_: ; @_ZN7rocprim17ROCPRIM_400000_NS6detail17trampoline_kernelINS0_14default_configENS1_37merge_sort_block_sort_config_selectorIlNS0_10empty_typeEEEZNS1_21merge_sort_block_sortIS3_PlS8_PS5_S9_ZN2at6native12_GLOBAL__N_124unique_dim_cuda_templateIfEESt5tupleIJNSA_6TensorESF_SF_EERKSF_lbbbEUlllE_EE10hipError_tT0_T1_T2_T3_mRjT4_P12ihipStream_tbNS1_7vsmem_tEEUlT_E_NS1_11comp_targetILNS1_3genE5ELNS1_11target_archE942ELNS1_3gpuE9ELNS1_3repE0EEENS1_30default_config_static_selectorELNS0_4arch9wavefront6targetE0EEEvSM_
; %bb.0:
	.section	.rodata,"a",@progbits
	.p2align	6, 0x0
	.amdhsa_kernel _ZN7rocprim17ROCPRIM_400000_NS6detail17trampoline_kernelINS0_14default_configENS1_37merge_sort_block_sort_config_selectorIlNS0_10empty_typeEEEZNS1_21merge_sort_block_sortIS3_PlS8_PS5_S9_ZN2at6native12_GLOBAL__N_124unique_dim_cuda_templateIfEESt5tupleIJNSA_6TensorESF_SF_EERKSF_lbbbEUlllE_EE10hipError_tT0_T1_T2_T3_mRjT4_P12ihipStream_tbNS1_7vsmem_tEEUlT_E_NS1_11comp_targetILNS1_3genE5ELNS1_11target_archE942ELNS1_3gpuE9ELNS1_3repE0EEENS1_30default_config_static_selectorELNS0_4arch9wavefront6targetE0EEEvSM_
		.amdhsa_group_segment_fixed_size 0
		.amdhsa_private_segment_fixed_size 0
		.amdhsa_kernarg_size 72
		.amdhsa_user_sgpr_count 2
		.amdhsa_user_sgpr_dispatch_ptr 0
		.amdhsa_user_sgpr_queue_ptr 0
		.amdhsa_user_sgpr_kernarg_segment_ptr 1
		.amdhsa_user_sgpr_dispatch_id 0
		.amdhsa_user_sgpr_kernarg_preload_length 0
		.amdhsa_user_sgpr_kernarg_preload_offset 0
		.amdhsa_user_sgpr_private_segment_size 0
		.amdhsa_wavefront_size32 1
		.amdhsa_uses_dynamic_stack 0
		.amdhsa_enable_private_segment 0
		.amdhsa_system_sgpr_workgroup_id_x 1
		.amdhsa_system_sgpr_workgroup_id_y 0
		.amdhsa_system_sgpr_workgroup_id_z 0
		.amdhsa_system_sgpr_workgroup_info 0
		.amdhsa_system_vgpr_workitem_id 0
		.amdhsa_next_free_vgpr 1
		.amdhsa_next_free_sgpr 1
		.amdhsa_named_barrier_count 0
		.amdhsa_reserve_vcc 0
		.amdhsa_float_round_mode_32 0
		.amdhsa_float_round_mode_16_64 0
		.amdhsa_float_denorm_mode_32 3
		.amdhsa_float_denorm_mode_16_64 3
		.amdhsa_fp16_overflow 0
		.amdhsa_memory_ordered 1
		.amdhsa_forward_progress 1
		.amdhsa_inst_pref_size 0
		.amdhsa_round_robin_scheduling 0
		.amdhsa_exception_fp_ieee_invalid_op 0
		.amdhsa_exception_fp_denorm_src 0
		.amdhsa_exception_fp_ieee_div_zero 0
		.amdhsa_exception_fp_ieee_overflow 0
		.amdhsa_exception_fp_ieee_underflow 0
		.amdhsa_exception_fp_ieee_inexact 0
		.amdhsa_exception_int_div_zero 0
	.end_amdhsa_kernel
	.section	.text._ZN7rocprim17ROCPRIM_400000_NS6detail17trampoline_kernelINS0_14default_configENS1_37merge_sort_block_sort_config_selectorIlNS0_10empty_typeEEEZNS1_21merge_sort_block_sortIS3_PlS8_PS5_S9_ZN2at6native12_GLOBAL__N_124unique_dim_cuda_templateIfEESt5tupleIJNSA_6TensorESF_SF_EERKSF_lbbbEUlllE_EE10hipError_tT0_T1_T2_T3_mRjT4_P12ihipStream_tbNS1_7vsmem_tEEUlT_E_NS1_11comp_targetILNS1_3genE5ELNS1_11target_archE942ELNS1_3gpuE9ELNS1_3repE0EEENS1_30default_config_static_selectorELNS0_4arch9wavefront6targetE0EEEvSM_,"axG",@progbits,_ZN7rocprim17ROCPRIM_400000_NS6detail17trampoline_kernelINS0_14default_configENS1_37merge_sort_block_sort_config_selectorIlNS0_10empty_typeEEEZNS1_21merge_sort_block_sortIS3_PlS8_PS5_S9_ZN2at6native12_GLOBAL__N_124unique_dim_cuda_templateIfEESt5tupleIJNSA_6TensorESF_SF_EERKSF_lbbbEUlllE_EE10hipError_tT0_T1_T2_T3_mRjT4_P12ihipStream_tbNS1_7vsmem_tEEUlT_E_NS1_11comp_targetILNS1_3genE5ELNS1_11target_archE942ELNS1_3gpuE9ELNS1_3repE0EEENS1_30default_config_static_selectorELNS0_4arch9wavefront6targetE0EEEvSM_,comdat
.Lfunc_end872:
	.size	_ZN7rocprim17ROCPRIM_400000_NS6detail17trampoline_kernelINS0_14default_configENS1_37merge_sort_block_sort_config_selectorIlNS0_10empty_typeEEEZNS1_21merge_sort_block_sortIS3_PlS8_PS5_S9_ZN2at6native12_GLOBAL__N_124unique_dim_cuda_templateIfEESt5tupleIJNSA_6TensorESF_SF_EERKSF_lbbbEUlllE_EE10hipError_tT0_T1_T2_T3_mRjT4_P12ihipStream_tbNS1_7vsmem_tEEUlT_E_NS1_11comp_targetILNS1_3genE5ELNS1_11target_archE942ELNS1_3gpuE9ELNS1_3repE0EEENS1_30default_config_static_selectorELNS0_4arch9wavefront6targetE0EEEvSM_, .Lfunc_end872-_ZN7rocprim17ROCPRIM_400000_NS6detail17trampoline_kernelINS0_14default_configENS1_37merge_sort_block_sort_config_selectorIlNS0_10empty_typeEEEZNS1_21merge_sort_block_sortIS3_PlS8_PS5_S9_ZN2at6native12_GLOBAL__N_124unique_dim_cuda_templateIfEESt5tupleIJNSA_6TensorESF_SF_EERKSF_lbbbEUlllE_EE10hipError_tT0_T1_T2_T3_mRjT4_P12ihipStream_tbNS1_7vsmem_tEEUlT_E_NS1_11comp_targetILNS1_3genE5ELNS1_11target_archE942ELNS1_3gpuE9ELNS1_3repE0EEENS1_30default_config_static_selectorELNS0_4arch9wavefront6targetE0EEEvSM_
                                        ; -- End function
	.set _ZN7rocprim17ROCPRIM_400000_NS6detail17trampoline_kernelINS0_14default_configENS1_37merge_sort_block_sort_config_selectorIlNS0_10empty_typeEEEZNS1_21merge_sort_block_sortIS3_PlS8_PS5_S9_ZN2at6native12_GLOBAL__N_124unique_dim_cuda_templateIfEESt5tupleIJNSA_6TensorESF_SF_EERKSF_lbbbEUlllE_EE10hipError_tT0_T1_T2_T3_mRjT4_P12ihipStream_tbNS1_7vsmem_tEEUlT_E_NS1_11comp_targetILNS1_3genE5ELNS1_11target_archE942ELNS1_3gpuE9ELNS1_3repE0EEENS1_30default_config_static_selectorELNS0_4arch9wavefront6targetE0EEEvSM_.num_vgpr, 0
	.set _ZN7rocprim17ROCPRIM_400000_NS6detail17trampoline_kernelINS0_14default_configENS1_37merge_sort_block_sort_config_selectorIlNS0_10empty_typeEEEZNS1_21merge_sort_block_sortIS3_PlS8_PS5_S9_ZN2at6native12_GLOBAL__N_124unique_dim_cuda_templateIfEESt5tupleIJNSA_6TensorESF_SF_EERKSF_lbbbEUlllE_EE10hipError_tT0_T1_T2_T3_mRjT4_P12ihipStream_tbNS1_7vsmem_tEEUlT_E_NS1_11comp_targetILNS1_3genE5ELNS1_11target_archE942ELNS1_3gpuE9ELNS1_3repE0EEENS1_30default_config_static_selectorELNS0_4arch9wavefront6targetE0EEEvSM_.num_agpr, 0
	.set _ZN7rocprim17ROCPRIM_400000_NS6detail17trampoline_kernelINS0_14default_configENS1_37merge_sort_block_sort_config_selectorIlNS0_10empty_typeEEEZNS1_21merge_sort_block_sortIS3_PlS8_PS5_S9_ZN2at6native12_GLOBAL__N_124unique_dim_cuda_templateIfEESt5tupleIJNSA_6TensorESF_SF_EERKSF_lbbbEUlllE_EE10hipError_tT0_T1_T2_T3_mRjT4_P12ihipStream_tbNS1_7vsmem_tEEUlT_E_NS1_11comp_targetILNS1_3genE5ELNS1_11target_archE942ELNS1_3gpuE9ELNS1_3repE0EEENS1_30default_config_static_selectorELNS0_4arch9wavefront6targetE0EEEvSM_.numbered_sgpr, 0
	.set _ZN7rocprim17ROCPRIM_400000_NS6detail17trampoline_kernelINS0_14default_configENS1_37merge_sort_block_sort_config_selectorIlNS0_10empty_typeEEEZNS1_21merge_sort_block_sortIS3_PlS8_PS5_S9_ZN2at6native12_GLOBAL__N_124unique_dim_cuda_templateIfEESt5tupleIJNSA_6TensorESF_SF_EERKSF_lbbbEUlllE_EE10hipError_tT0_T1_T2_T3_mRjT4_P12ihipStream_tbNS1_7vsmem_tEEUlT_E_NS1_11comp_targetILNS1_3genE5ELNS1_11target_archE942ELNS1_3gpuE9ELNS1_3repE0EEENS1_30default_config_static_selectorELNS0_4arch9wavefront6targetE0EEEvSM_.num_named_barrier, 0
	.set _ZN7rocprim17ROCPRIM_400000_NS6detail17trampoline_kernelINS0_14default_configENS1_37merge_sort_block_sort_config_selectorIlNS0_10empty_typeEEEZNS1_21merge_sort_block_sortIS3_PlS8_PS5_S9_ZN2at6native12_GLOBAL__N_124unique_dim_cuda_templateIfEESt5tupleIJNSA_6TensorESF_SF_EERKSF_lbbbEUlllE_EE10hipError_tT0_T1_T2_T3_mRjT4_P12ihipStream_tbNS1_7vsmem_tEEUlT_E_NS1_11comp_targetILNS1_3genE5ELNS1_11target_archE942ELNS1_3gpuE9ELNS1_3repE0EEENS1_30default_config_static_selectorELNS0_4arch9wavefront6targetE0EEEvSM_.private_seg_size, 0
	.set _ZN7rocprim17ROCPRIM_400000_NS6detail17trampoline_kernelINS0_14default_configENS1_37merge_sort_block_sort_config_selectorIlNS0_10empty_typeEEEZNS1_21merge_sort_block_sortIS3_PlS8_PS5_S9_ZN2at6native12_GLOBAL__N_124unique_dim_cuda_templateIfEESt5tupleIJNSA_6TensorESF_SF_EERKSF_lbbbEUlllE_EE10hipError_tT0_T1_T2_T3_mRjT4_P12ihipStream_tbNS1_7vsmem_tEEUlT_E_NS1_11comp_targetILNS1_3genE5ELNS1_11target_archE942ELNS1_3gpuE9ELNS1_3repE0EEENS1_30default_config_static_selectorELNS0_4arch9wavefront6targetE0EEEvSM_.uses_vcc, 0
	.set _ZN7rocprim17ROCPRIM_400000_NS6detail17trampoline_kernelINS0_14default_configENS1_37merge_sort_block_sort_config_selectorIlNS0_10empty_typeEEEZNS1_21merge_sort_block_sortIS3_PlS8_PS5_S9_ZN2at6native12_GLOBAL__N_124unique_dim_cuda_templateIfEESt5tupleIJNSA_6TensorESF_SF_EERKSF_lbbbEUlllE_EE10hipError_tT0_T1_T2_T3_mRjT4_P12ihipStream_tbNS1_7vsmem_tEEUlT_E_NS1_11comp_targetILNS1_3genE5ELNS1_11target_archE942ELNS1_3gpuE9ELNS1_3repE0EEENS1_30default_config_static_selectorELNS0_4arch9wavefront6targetE0EEEvSM_.uses_flat_scratch, 0
	.set _ZN7rocprim17ROCPRIM_400000_NS6detail17trampoline_kernelINS0_14default_configENS1_37merge_sort_block_sort_config_selectorIlNS0_10empty_typeEEEZNS1_21merge_sort_block_sortIS3_PlS8_PS5_S9_ZN2at6native12_GLOBAL__N_124unique_dim_cuda_templateIfEESt5tupleIJNSA_6TensorESF_SF_EERKSF_lbbbEUlllE_EE10hipError_tT0_T1_T2_T3_mRjT4_P12ihipStream_tbNS1_7vsmem_tEEUlT_E_NS1_11comp_targetILNS1_3genE5ELNS1_11target_archE942ELNS1_3gpuE9ELNS1_3repE0EEENS1_30default_config_static_selectorELNS0_4arch9wavefront6targetE0EEEvSM_.has_dyn_sized_stack, 0
	.set _ZN7rocprim17ROCPRIM_400000_NS6detail17trampoline_kernelINS0_14default_configENS1_37merge_sort_block_sort_config_selectorIlNS0_10empty_typeEEEZNS1_21merge_sort_block_sortIS3_PlS8_PS5_S9_ZN2at6native12_GLOBAL__N_124unique_dim_cuda_templateIfEESt5tupleIJNSA_6TensorESF_SF_EERKSF_lbbbEUlllE_EE10hipError_tT0_T1_T2_T3_mRjT4_P12ihipStream_tbNS1_7vsmem_tEEUlT_E_NS1_11comp_targetILNS1_3genE5ELNS1_11target_archE942ELNS1_3gpuE9ELNS1_3repE0EEENS1_30default_config_static_selectorELNS0_4arch9wavefront6targetE0EEEvSM_.has_recursion, 0
	.set _ZN7rocprim17ROCPRIM_400000_NS6detail17trampoline_kernelINS0_14default_configENS1_37merge_sort_block_sort_config_selectorIlNS0_10empty_typeEEEZNS1_21merge_sort_block_sortIS3_PlS8_PS5_S9_ZN2at6native12_GLOBAL__N_124unique_dim_cuda_templateIfEESt5tupleIJNSA_6TensorESF_SF_EERKSF_lbbbEUlllE_EE10hipError_tT0_T1_T2_T3_mRjT4_P12ihipStream_tbNS1_7vsmem_tEEUlT_E_NS1_11comp_targetILNS1_3genE5ELNS1_11target_archE942ELNS1_3gpuE9ELNS1_3repE0EEENS1_30default_config_static_selectorELNS0_4arch9wavefront6targetE0EEEvSM_.has_indirect_call, 0
	.section	.AMDGPU.csdata,"",@progbits
; Kernel info:
; codeLenInByte = 0
; TotalNumSgprs: 0
; NumVgprs: 0
; ScratchSize: 0
; MemoryBound: 0
; FloatMode: 240
; IeeeMode: 1
; LDSByteSize: 0 bytes/workgroup (compile time only)
; SGPRBlocks: 0
; VGPRBlocks: 0
; NumSGPRsForWavesPerEU: 1
; NumVGPRsForWavesPerEU: 1
; NamedBarCnt: 0
; Occupancy: 16
; WaveLimiterHint : 0
; COMPUTE_PGM_RSRC2:SCRATCH_EN: 0
; COMPUTE_PGM_RSRC2:USER_SGPR: 2
; COMPUTE_PGM_RSRC2:TRAP_HANDLER: 0
; COMPUTE_PGM_RSRC2:TGID_X_EN: 1
; COMPUTE_PGM_RSRC2:TGID_Y_EN: 0
; COMPUTE_PGM_RSRC2:TGID_Z_EN: 0
; COMPUTE_PGM_RSRC2:TIDIG_COMP_CNT: 0
	.section	.text._ZN7rocprim17ROCPRIM_400000_NS6detail17trampoline_kernelINS0_14default_configENS1_37merge_sort_block_sort_config_selectorIlNS0_10empty_typeEEEZNS1_21merge_sort_block_sortIS3_PlS8_PS5_S9_ZN2at6native12_GLOBAL__N_124unique_dim_cuda_templateIfEESt5tupleIJNSA_6TensorESF_SF_EERKSF_lbbbEUlllE_EE10hipError_tT0_T1_T2_T3_mRjT4_P12ihipStream_tbNS1_7vsmem_tEEUlT_E_NS1_11comp_targetILNS1_3genE4ELNS1_11target_archE910ELNS1_3gpuE8ELNS1_3repE0EEENS1_30default_config_static_selectorELNS0_4arch9wavefront6targetE0EEEvSM_,"axG",@progbits,_ZN7rocprim17ROCPRIM_400000_NS6detail17trampoline_kernelINS0_14default_configENS1_37merge_sort_block_sort_config_selectorIlNS0_10empty_typeEEEZNS1_21merge_sort_block_sortIS3_PlS8_PS5_S9_ZN2at6native12_GLOBAL__N_124unique_dim_cuda_templateIfEESt5tupleIJNSA_6TensorESF_SF_EERKSF_lbbbEUlllE_EE10hipError_tT0_T1_T2_T3_mRjT4_P12ihipStream_tbNS1_7vsmem_tEEUlT_E_NS1_11comp_targetILNS1_3genE4ELNS1_11target_archE910ELNS1_3gpuE8ELNS1_3repE0EEENS1_30default_config_static_selectorELNS0_4arch9wavefront6targetE0EEEvSM_,comdat
	.globl	_ZN7rocprim17ROCPRIM_400000_NS6detail17trampoline_kernelINS0_14default_configENS1_37merge_sort_block_sort_config_selectorIlNS0_10empty_typeEEEZNS1_21merge_sort_block_sortIS3_PlS8_PS5_S9_ZN2at6native12_GLOBAL__N_124unique_dim_cuda_templateIfEESt5tupleIJNSA_6TensorESF_SF_EERKSF_lbbbEUlllE_EE10hipError_tT0_T1_T2_T3_mRjT4_P12ihipStream_tbNS1_7vsmem_tEEUlT_E_NS1_11comp_targetILNS1_3genE4ELNS1_11target_archE910ELNS1_3gpuE8ELNS1_3repE0EEENS1_30default_config_static_selectorELNS0_4arch9wavefront6targetE0EEEvSM_ ; -- Begin function _ZN7rocprim17ROCPRIM_400000_NS6detail17trampoline_kernelINS0_14default_configENS1_37merge_sort_block_sort_config_selectorIlNS0_10empty_typeEEEZNS1_21merge_sort_block_sortIS3_PlS8_PS5_S9_ZN2at6native12_GLOBAL__N_124unique_dim_cuda_templateIfEESt5tupleIJNSA_6TensorESF_SF_EERKSF_lbbbEUlllE_EE10hipError_tT0_T1_T2_T3_mRjT4_P12ihipStream_tbNS1_7vsmem_tEEUlT_E_NS1_11comp_targetILNS1_3genE4ELNS1_11target_archE910ELNS1_3gpuE8ELNS1_3repE0EEENS1_30default_config_static_selectorELNS0_4arch9wavefront6targetE0EEEvSM_
	.p2align	8
	.type	_ZN7rocprim17ROCPRIM_400000_NS6detail17trampoline_kernelINS0_14default_configENS1_37merge_sort_block_sort_config_selectorIlNS0_10empty_typeEEEZNS1_21merge_sort_block_sortIS3_PlS8_PS5_S9_ZN2at6native12_GLOBAL__N_124unique_dim_cuda_templateIfEESt5tupleIJNSA_6TensorESF_SF_EERKSF_lbbbEUlllE_EE10hipError_tT0_T1_T2_T3_mRjT4_P12ihipStream_tbNS1_7vsmem_tEEUlT_E_NS1_11comp_targetILNS1_3genE4ELNS1_11target_archE910ELNS1_3gpuE8ELNS1_3repE0EEENS1_30default_config_static_selectorELNS0_4arch9wavefront6targetE0EEEvSM_,@function
_ZN7rocprim17ROCPRIM_400000_NS6detail17trampoline_kernelINS0_14default_configENS1_37merge_sort_block_sort_config_selectorIlNS0_10empty_typeEEEZNS1_21merge_sort_block_sortIS3_PlS8_PS5_S9_ZN2at6native12_GLOBAL__N_124unique_dim_cuda_templateIfEESt5tupleIJNSA_6TensorESF_SF_EERKSF_lbbbEUlllE_EE10hipError_tT0_T1_T2_T3_mRjT4_P12ihipStream_tbNS1_7vsmem_tEEUlT_E_NS1_11comp_targetILNS1_3genE4ELNS1_11target_archE910ELNS1_3gpuE8ELNS1_3repE0EEENS1_30default_config_static_selectorELNS0_4arch9wavefront6targetE0EEEvSM_: ; @_ZN7rocprim17ROCPRIM_400000_NS6detail17trampoline_kernelINS0_14default_configENS1_37merge_sort_block_sort_config_selectorIlNS0_10empty_typeEEEZNS1_21merge_sort_block_sortIS3_PlS8_PS5_S9_ZN2at6native12_GLOBAL__N_124unique_dim_cuda_templateIfEESt5tupleIJNSA_6TensorESF_SF_EERKSF_lbbbEUlllE_EE10hipError_tT0_T1_T2_T3_mRjT4_P12ihipStream_tbNS1_7vsmem_tEEUlT_E_NS1_11comp_targetILNS1_3genE4ELNS1_11target_archE910ELNS1_3gpuE8ELNS1_3repE0EEENS1_30default_config_static_selectorELNS0_4arch9wavefront6targetE0EEEvSM_
; %bb.0:
	.section	.rodata,"a",@progbits
	.p2align	6, 0x0
	.amdhsa_kernel _ZN7rocprim17ROCPRIM_400000_NS6detail17trampoline_kernelINS0_14default_configENS1_37merge_sort_block_sort_config_selectorIlNS0_10empty_typeEEEZNS1_21merge_sort_block_sortIS3_PlS8_PS5_S9_ZN2at6native12_GLOBAL__N_124unique_dim_cuda_templateIfEESt5tupleIJNSA_6TensorESF_SF_EERKSF_lbbbEUlllE_EE10hipError_tT0_T1_T2_T3_mRjT4_P12ihipStream_tbNS1_7vsmem_tEEUlT_E_NS1_11comp_targetILNS1_3genE4ELNS1_11target_archE910ELNS1_3gpuE8ELNS1_3repE0EEENS1_30default_config_static_selectorELNS0_4arch9wavefront6targetE0EEEvSM_
		.amdhsa_group_segment_fixed_size 0
		.amdhsa_private_segment_fixed_size 0
		.amdhsa_kernarg_size 72
		.amdhsa_user_sgpr_count 2
		.amdhsa_user_sgpr_dispatch_ptr 0
		.amdhsa_user_sgpr_queue_ptr 0
		.amdhsa_user_sgpr_kernarg_segment_ptr 1
		.amdhsa_user_sgpr_dispatch_id 0
		.amdhsa_user_sgpr_kernarg_preload_length 0
		.amdhsa_user_sgpr_kernarg_preload_offset 0
		.amdhsa_user_sgpr_private_segment_size 0
		.amdhsa_wavefront_size32 1
		.amdhsa_uses_dynamic_stack 0
		.amdhsa_enable_private_segment 0
		.amdhsa_system_sgpr_workgroup_id_x 1
		.amdhsa_system_sgpr_workgroup_id_y 0
		.amdhsa_system_sgpr_workgroup_id_z 0
		.amdhsa_system_sgpr_workgroup_info 0
		.amdhsa_system_vgpr_workitem_id 0
		.amdhsa_next_free_vgpr 1
		.amdhsa_next_free_sgpr 1
		.amdhsa_named_barrier_count 0
		.amdhsa_reserve_vcc 0
		.amdhsa_float_round_mode_32 0
		.amdhsa_float_round_mode_16_64 0
		.amdhsa_float_denorm_mode_32 3
		.amdhsa_float_denorm_mode_16_64 3
		.amdhsa_fp16_overflow 0
		.amdhsa_memory_ordered 1
		.amdhsa_forward_progress 1
		.amdhsa_inst_pref_size 0
		.amdhsa_round_robin_scheduling 0
		.amdhsa_exception_fp_ieee_invalid_op 0
		.amdhsa_exception_fp_denorm_src 0
		.amdhsa_exception_fp_ieee_div_zero 0
		.amdhsa_exception_fp_ieee_overflow 0
		.amdhsa_exception_fp_ieee_underflow 0
		.amdhsa_exception_fp_ieee_inexact 0
		.amdhsa_exception_int_div_zero 0
	.end_amdhsa_kernel
	.section	.text._ZN7rocprim17ROCPRIM_400000_NS6detail17trampoline_kernelINS0_14default_configENS1_37merge_sort_block_sort_config_selectorIlNS0_10empty_typeEEEZNS1_21merge_sort_block_sortIS3_PlS8_PS5_S9_ZN2at6native12_GLOBAL__N_124unique_dim_cuda_templateIfEESt5tupleIJNSA_6TensorESF_SF_EERKSF_lbbbEUlllE_EE10hipError_tT0_T1_T2_T3_mRjT4_P12ihipStream_tbNS1_7vsmem_tEEUlT_E_NS1_11comp_targetILNS1_3genE4ELNS1_11target_archE910ELNS1_3gpuE8ELNS1_3repE0EEENS1_30default_config_static_selectorELNS0_4arch9wavefront6targetE0EEEvSM_,"axG",@progbits,_ZN7rocprim17ROCPRIM_400000_NS6detail17trampoline_kernelINS0_14default_configENS1_37merge_sort_block_sort_config_selectorIlNS0_10empty_typeEEEZNS1_21merge_sort_block_sortIS3_PlS8_PS5_S9_ZN2at6native12_GLOBAL__N_124unique_dim_cuda_templateIfEESt5tupleIJNSA_6TensorESF_SF_EERKSF_lbbbEUlllE_EE10hipError_tT0_T1_T2_T3_mRjT4_P12ihipStream_tbNS1_7vsmem_tEEUlT_E_NS1_11comp_targetILNS1_3genE4ELNS1_11target_archE910ELNS1_3gpuE8ELNS1_3repE0EEENS1_30default_config_static_selectorELNS0_4arch9wavefront6targetE0EEEvSM_,comdat
.Lfunc_end873:
	.size	_ZN7rocprim17ROCPRIM_400000_NS6detail17trampoline_kernelINS0_14default_configENS1_37merge_sort_block_sort_config_selectorIlNS0_10empty_typeEEEZNS1_21merge_sort_block_sortIS3_PlS8_PS5_S9_ZN2at6native12_GLOBAL__N_124unique_dim_cuda_templateIfEESt5tupleIJNSA_6TensorESF_SF_EERKSF_lbbbEUlllE_EE10hipError_tT0_T1_T2_T3_mRjT4_P12ihipStream_tbNS1_7vsmem_tEEUlT_E_NS1_11comp_targetILNS1_3genE4ELNS1_11target_archE910ELNS1_3gpuE8ELNS1_3repE0EEENS1_30default_config_static_selectorELNS0_4arch9wavefront6targetE0EEEvSM_, .Lfunc_end873-_ZN7rocprim17ROCPRIM_400000_NS6detail17trampoline_kernelINS0_14default_configENS1_37merge_sort_block_sort_config_selectorIlNS0_10empty_typeEEEZNS1_21merge_sort_block_sortIS3_PlS8_PS5_S9_ZN2at6native12_GLOBAL__N_124unique_dim_cuda_templateIfEESt5tupleIJNSA_6TensorESF_SF_EERKSF_lbbbEUlllE_EE10hipError_tT0_T1_T2_T3_mRjT4_P12ihipStream_tbNS1_7vsmem_tEEUlT_E_NS1_11comp_targetILNS1_3genE4ELNS1_11target_archE910ELNS1_3gpuE8ELNS1_3repE0EEENS1_30default_config_static_selectorELNS0_4arch9wavefront6targetE0EEEvSM_
                                        ; -- End function
	.set _ZN7rocprim17ROCPRIM_400000_NS6detail17trampoline_kernelINS0_14default_configENS1_37merge_sort_block_sort_config_selectorIlNS0_10empty_typeEEEZNS1_21merge_sort_block_sortIS3_PlS8_PS5_S9_ZN2at6native12_GLOBAL__N_124unique_dim_cuda_templateIfEESt5tupleIJNSA_6TensorESF_SF_EERKSF_lbbbEUlllE_EE10hipError_tT0_T1_T2_T3_mRjT4_P12ihipStream_tbNS1_7vsmem_tEEUlT_E_NS1_11comp_targetILNS1_3genE4ELNS1_11target_archE910ELNS1_3gpuE8ELNS1_3repE0EEENS1_30default_config_static_selectorELNS0_4arch9wavefront6targetE0EEEvSM_.num_vgpr, 0
	.set _ZN7rocprim17ROCPRIM_400000_NS6detail17trampoline_kernelINS0_14default_configENS1_37merge_sort_block_sort_config_selectorIlNS0_10empty_typeEEEZNS1_21merge_sort_block_sortIS3_PlS8_PS5_S9_ZN2at6native12_GLOBAL__N_124unique_dim_cuda_templateIfEESt5tupleIJNSA_6TensorESF_SF_EERKSF_lbbbEUlllE_EE10hipError_tT0_T1_T2_T3_mRjT4_P12ihipStream_tbNS1_7vsmem_tEEUlT_E_NS1_11comp_targetILNS1_3genE4ELNS1_11target_archE910ELNS1_3gpuE8ELNS1_3repE0EEENS1_30default_config_static_selectorELNS0_4arch9wavefront6targetE0EEEvSM_.num_agpr, 0
	.set _ZN7rocprim17ROCPRIM_400000_NS6detail17trampoline_kernelINS0_14default_configENS1_37merge_sort_block_sort_config_selectorIlNS0_10empty_typeEEEZNS1_21merge_sort_block_sortIS3_PlS8_PS5_S9_ZN2at6native12_GLOBAL__N_124unique_dim_cuda_templateIfEESt5tupleIJNSA_6TensorESF_SF_EERKSF_lbbbEUlllE_EE10hipError_tT0_T1_T2_T3_mRjT4_P12ihipStream_tbNS1_7vsmem_tEEUlT_E_NS1_11comp_targetILNS1_3genE4ELNS1_11target_archE910ELNS1_3gpuE8ELNS1_3repE0EEENS1_30default_config_static_selectorELNS0_4arch9wavefront6targetE0EEEvSM_.numbered_sgpr, 0
	.set _ZN7rocprim17ROCPRIM_400000_NS6detail17trampoline_kernelINS0_14default_configENS1_37merge_sort_block_sort_config_selectorIlNS0_10empty_typeEEEZNS1_21merge_sort_block_sortIS3_PlS8_PS5_S9_ZN2at6native12_GLOBAL__N_124unique_dim_cuda_templateIfEESt5tupleIJNSA_6TensorESF_SF_EERKSF_lbbbEUlllE_EE10hipError_tT0_T1_T2_T3_mRjT4_P12ihipStream_tbNS1_7vsmem_tEEUlT_E_NS1_11comp_targetILNS1_3genE4ELNS1_11target_archE910ELNS1_3gpuE8ELNS1_3repE0EEENS1_30default_config_static_selectorELNS0_4arch9wavefront6targetE0EEEvSM_.num_named_barrier, 0
	.set _ZN7rocprim17ROCPRIM_400000_NS6detail17trampoline_kernelINS0_14default_configENS1_37merge_sort_block_sort_config_selectorIlNS0_10empty_typeEEEZNS1_21merge_sort_block_sortIS3_PlS8_PS5_S9_ZN2at6native12_GLOBAL__N_124unique_dim_cuda_templateIfEESt5tupleIJNSA_6TensorESF_SF_EERKSF_lbbbEUlllE_EE10hipError_tT0_T1_T2_T3_mRjT4_P12ihipStream_tbNS1_7vsmem_tEEUlT_E_NS1_11comp_targetILNS1_3genE4ELNS1_11target_archE910ELNS1_3gpuE8ELNS1_3repE0EEENS1_30default_config_static_selectorELNS0_4arch9wavefront6targetE0EEEvSM_.private_seg_size, 0
	.set _ZN7rocprim17ROCPRIM_400000_NS6detail17trampoline_kernelINS0_14default_configENS1_37merge_sort_block_sort_config_selectorIlNS0_10empty_typeEEEZNS1_21merge_sort_block_sortIS3_PlS8_PS5_S9_ZN2at6native12_GLOBAL__N_124unique_dim_cuda_templateIfEESt5tupleIJNSA_6TensorESF_SF_EERKSF_lbbbEUlllE_EE10hipError_tT0_T1_T2_T3_mRjT4_P12ihipStream_tbNS1_7vsmem_tEEUlT_E_NS1_11comp_targetILNS1_3genE4ELNS1_11target_archE910ELNS1_3gpuE8ELNS1_3repE0EEENS1_30default_config_static_selectorELNS0_4arch9wavefront6targetE0EEEvSM_.uses_vcc, 0
	.set _ZN7rocprim17ROCPRIM_400000_NS6detail17trampoline_kernelINS0_14default_configENS1_37merge_sort_block_sort_config_selectorIlNS0_10empty_typeEEEZNS1_21merge_sort_block_sortIS3_PlS8_PS5_S9_ZN2at6native12_GLOBAL__N_124unique_dim_cuda_templateIfEESt5tupleIJNSA_6TensorESF_SF_EERKSF_lbbbEUlllE_EE10hipError_tT0_T1_T2_T3_mRjT4_P12ihipStream_tbNS1_7vsmem_tEEUlT_E_NS1_11comp_targetILNS1_3genE4ELNS1_11target_archE910ELNS1_3gpuE8ELNS1_3repE0EEENS1_30default_config_static_selectorELNS0_4arch9wavefront6targetE0EEEvSM_.uses_flat_scratch, 0
	.set _ZN7rocprim17ROCPRIM_400000_NS6detail17trampoline_kernelINS0_14default_configENS1_37merge_sort_block_sort_config_selectorIlNS0_10empty_typeEEEZNS1_21merge_sort_block_sortIS3_PlS8_PS5_S9_ZN2at6native12_GLOBAL__N_124unique_dim_cuda_templateIfEESt5tupleIJNSA_6TensorESF_SF_EERKSF_lbbbEUlllE_EE10hipError_tT0_T1_T2_T3_mRjT4_P12ihipStream_tbNS1_7vsmem_tEEUlT_E_NS1_11comp_targetILNS1_3genE4ELNS1_11target_archE910ELNS1_3gpuE8ELNS1_3repE0EEENS1_30default_config_static_selectorELNS0_4arch9wavefront6targetE0EEEvSM_.has_dyn_sized_stack, 0
	.set _ZN7rocprim17ROCPRIM_400000_NS6detail17trampoline_kernelINS0_14default_configENS1_37merge_sort_block_sort_config_selectorIlNS0_10empty_typeEEEZNS1_21merge_sort_block_sortIS3_PlS8_PS5_S9_ZN2at6native12_GLOBAL__N_124unique_dim_cuda_templateIfEESt5tupleIJNSA_6TensorESF_SF_EERKSF_lbbbEUlllE_EE10hipError_tT0_T1_T2_T3_mRjT4_P12ihipStream_tbNS1_7vsmem_tEEUlT_E_NS1_11comp_targetILNS1_3genE4ELNS1_11target_archE910ELNS1_3gpuE8ELNS1_3repE0EEENS1_30default_config_static_selectorELNS0_4arch9wavefront6targetE0EEEvSM_.has_recursion, 0
	.set _ZN7rocprim17ROCPRIM_400000_NS6detail17trampoline_kernelINS0_14default_configENS1_37merge_sort_block_sort_config_selectorIlNS0_10empty_typeEEEZNS1_21merge_sort_block_sortIS3_PlS8_PS5_S9_ZN2at6native12_GLOBAL__N_124unique_dim_cuda_templateIfEESt5tupleIJNSA_6TensorESF_SF_EERKSF_lbbbEUlllE_EE10hipError_tT0_T1_T2_T3_mRjT4_P12ihipStream_tbNS1_7vsmem_tEEUlT_E_NS1_11comp_targetILNS1_3genE4ELNS1_11target_archE910ELNS1_3gpuE8ELNS1_3repE0EEENS1_30default_config_static_selectorELNS0_4arch9wavefront6targetE0EEEvSM_.has_indirect_call, 0
	.section	.AMDGPU.csdata,"",@progbits
; Kernel info:
; codeLenInByte = 0
; TotalNumSgprs: 0
; NumVgprs: 0
; ScratchSize: 0
; MemoryBound: 0
; FloatMode: 240
; IeeeMode: 1
; LDSByteSize: 0 bytes/workgroup (compile time only)
; SGPRBlocks: 0
; VGPRBlocks: 0
; NumSGPRsForWavesPerEU: 1
; NumVGPRsForWavesPerEU: 1
; NamedBarCnt: 0
; Occupancy: 16
; WaveLimiterHint : 0
; COMPUTE_PGM_RSRC2:SCRATCH_EN: 0
; COMPUTE_PGM_RSRC2:USER_SGPR: 2
; COMPUTE_PGM_RSRC2:TRAP_HANDLER: 0
; COMPUTE_PGM_RSRC2:TGID_X_EN: 1
; COMPUTE_PGM_RSRC2:TGID_Y_EN: 0
; COMPUTE_PGM_RSRC2:TGID_Z_EN: 0
; COMPUTE_PGM_RSRC2:TIDIG_COMP_CNT: 0
	.section	.text._ZN7rocprim17ROCPRIM_400000_NS6detail17trampoline_kernelINS0_14default_configENS1_37merge_sort_block_sort_config_selectorIlNS0_10empty_typeEEEZNS1_21merge_sort_block_sortIS3_PlS8_PS5_S9_ZN2at6native12_GLOBAL__N_124unique_dim_cuda_templateIfEESt5tupleIJNSA_6TensorESF_SF_EERKSF_lbbbEUlllE_EE10hipError_tT0_T1_T2_T3_mRjT4_P12ihipStream_tbNS1_7vsmem_tEEUlT_E_NS1_11comp_targetILNS1_3genE3ELNS1_11target_archE908ELNS1_3gpuE7ELNS1_3repE0EEENS1_30default_config_static_selectorELNS0_4arch9wavefront6targetE0EEEvSM_,"axG",@progbits,_ZN7rocprim17ROCPRIM_400000_NS6detail17trampoline_kernelINS0_14default_configENS1_37merge_sort_block_sort_config_selectorIlNS0_10empty_typeEEEZNS1_21merge_sort_block_sortIS3_PlS8_PS5_S9_ZN2at6native12_GLOBAL__N_124unique_dim_cuda_templateIfEESt5tupleIJNSA_6TensorESF_SF_EERKSF_lbbbEUlllE_EE10hipError_tT0_T1_T2_T3_mRjT4_P12ihipStream_tbNS1_7vsmem_tEEUlT_E_NS1_11comp_targetILNS1_3genE3ELNS1_11target_archE908ELNS1_3gpuE7ELNS1_3repE0EEENS1_30default_config_static_selectorELNS0_4arch9wavefront6targetE0EEEvSM_,comdat
	.globl	_ZN7rocprim17ROCPRIM_400000_NS6detail17trampoline_kernelINS0_14default_configENS1_37merge_sort_block_sort_config_selectorIlNS0_10empty_typeEEEZNS1_21merge_sort_block_sortIS3_PlS8_PS5_S9_ZN2at6native12_GLOBAL__N_124unique_dim_cuda_templateIfEESt5tupleIJNSA_6TensorESF_SF_EERKSF_lbbbEUlllE_EE10hipError_tT0_T1_T2_T3_mRjT4_P12ihipStream_tbNS1_7vsmem_tEEUlT_E_NS1_11comp_targetILNS1_3genE3ELNS1_11target_archE908ELNS1_3gpuE7ELNS1_3repE0EEENS1_30default_config_static_selectorELNS0_4arch9wavefront6targetE0EEEvSM_ ; -- Begin function _ZN7rocprim17ROCPRIM_400000_NS6detail17trampoline_kernelINS0_14default_configENS1_37merge_sort_block_sort_config_selectorIlNS0_10empty_typeEEEZNS1_21merge_sort_block_sortIS3_PlS8_PS5_S9_ZN2at6native12_GLOBAL__N_124unique_dim_cuda_templateIfEESt5tupleIJNSA_6TensorESF_SF_EERKSF_lbbbEUlllE_EE10hipError_tT0_T1_T2_T3_mRjT4_P12ihipStream_tbNS1_7vsmem_tEEUlT_E_NS1_11comp_targetILNS1_3genE3ELNS1_11target_archE908ELNS1_3gpuE7ELNS1_3repE0EEENS1_30default_config_static_selectorELNS0_4arch9wavefront6targetE0EEEvSM_
	.p2align	8
	.type	_ZN7rocprim17ROCPRIM_400000_NS6detail17trampoline_kernelINS0_14default_configENS1_37merge_sort_block_sort_config_selectorIlNS0_10empty_typeEEEZNS1_21merge_sort_block_sortIS3_PlS8_PS5_S9_ZN2at6native12_GLOBAL__N_124unique_dim_cuda_templateIfEESt5tupleIJNSA_6TensorESF_SF_EERKSF_lbbbEUlllE_EE10hipError_tT0_T1_T2_T3_mRjT4_P12ihipStream_tbNS1_7vsmem_tEEUlT_E_NS1_11comp_targetILNS1_3genE3ELNS1_11target_archE908ELNS1_3gpuE7ELNS1_3repE0EEENS1_30default_config_static_selectorELNS0_4arch9wavefront6targetE0EEEvSM_,@function
_ZN7rocprim17ROCPRIM_400000_NS6detail17trampoline_kernelINS0_14default_configENS1_37merge_sort_block_sort_config_selectorIlNS0_10empty_typeEEEZNS1_21merge_sort_block_sortIS3_PlS8_PS5_S9_ZN2at6native12_GLOBAL__N_124unique_dim_cuda_templateIfEESt5tupleIJNSA_6TensorESF_SF_EERKSF_lbbbEUlllE_EE10hipError_tT0_T1_T2_T3_mRjT4_P12ihipStream_tbNS1_7vsmem_tEEUlT_E_NS1_11comp_targetILNS1_3genE3ELNS1_11target_archE908ELNS1_3gpuE7ELNS1_3repE0EEENS1_30default_config_static_selectorELNS0_4arch9wavefront6targetE0EEEvSM_: ; @_ZN7rocprim17ROCPRIM_400000_NS6detail17trampoline_kernelINS0_14default_configENS1_37merge_sort_block_sort_config_selectorIlNS0_10empty_typeEEEZNS1_21merge_sort_block_sortIS3_PlS8_PS5_S9_ZN2at6native12_GLOBAL__N_124unique_dim_cuda_templateIfEESt5tupleIJNSA_6TensorESF_SF_EERKSF_lbbbEUlllE_EE10hipError_tT0_T1_T2_T3_mRjT4_P12ihipStream_tbNS1_7vsmem_tEEUlT_E_NS1_11comp_targetILNS1_3genE3ELNS1_11target_archE908ELNS1_3gpuE7ELNS1_3repE0EEENS1_30default_config_static_selectorELNS0_4arch9wavefront6targetE0EEEvSM_
; %bb.0:
	.section	.rodata,"a",@progbits
	.p2align	6, 0x0
	.amdhsa_kernel _ZN7rocprim17ROCPRIM_400000_NS6detail17trampoline_kernelINS0_14default_configENS1_37merge_sort_block_sort_config_selectorIlNS0_10empty_typeEEEZNS1_21merge_sort_block_sortIS3_PlS8_PS5_S9_ZN2at6native12_GLOBAL__N_124unique_dim_cuda_templateIfEESt5tupleIJNSA_6TensorESF_SF_EERKSF_lbbbEUlllE_EE10hipError_tT0_T1_T2_T3_mRjT4_P12ihipStream_tbNS1_7vsmem_tEEUlT_E_NS1_11comp_targetILNS1_3genE3ELNS1_11target_archE908ELNS1_3gpuE7ELNS1_3repE0EEENS1_30default_config_static_selectorELNS0_4arch9wavefront6targetE0EEEvSM_
		.amdhsa_group_segment_fixed_size 0
		.amdhsa_private_segment_fixed_size 0
		.amdhsa_kernarg_size 72
		.amdhsa_user_sgpr_count 2
		.amdhsa_user_sgpr_dispatch_ptr 0
		.amdhsa_user_sgpr_queue_ptr 0
		.amdhsa_user_sgpr_kernarg_segment_ptr 1
		.amdhsa_user_sgpr_dispatch_id 0
		.amdhsa_user_sgpr_kernarg_preload_length 0
		.amdhsa_user_sgpr_kernarg_preload_offset 0
		.amdhsa_user_sgpr_private_segment_size 0
		.amdhsa_wavefront_size32 1
		.amdhsa_uses_dynamic_stack 0
		.amdhsa_enable_private_segment 0
		.amdhsa_system_sgpr_workgroup_id_x 1
		.amdhsa_system_sgpr_workgroup_id_y 0
		.amdhsa_system_sgpr_workgroup_id_z 0
		.amdhsa_system_sgpr_workgroup_info 0
		.amdhsa_system_vgpr_workitem_id 0
		.amdhsa_next_free_vgpr 1
		.amdhsa_next_free_sgpr 1
		.amdhsa_named_barrier_count 0
		.amdhsa_reserve_vcc 0
		.amdhsa_float_round_mode_32 0
		.amdhsa_float_round_mode_16_64 0
		.amdhsa_float_denorm_mode_32 3
		.amdhsa_float_denorm_mode_16_64 3
		.amdhsa_fp16_overflow 0
		.amdhsa_memory_ordered 1
		.amdhsa_forward_progress 1
		.amdhsa_inst_pref_size 0
		.amdhsa_round_robin_scheduling 0
		.amdhsa_exception_fp_ieee_invalid_op 0
		.amdhsa_exception_fp_denorm_src 0
		.amdhsa_exception_fp_ieee_div_zero 0
		.amdhsa_exception_fp_ieee_overflow 0
		.amdhsa_exception_fp_ieee_underflow 0
		.amdhsa_exception_fp_ieee_inexact 0
		.amdhsa_exception_int_div_zero 0
	.end_amdhsa_kernel
	.section	.text._ZN7rocprim17ROCPRIM_400000_NS6detail17trampoline_kernelINS0_14default_configENS1_37merge_sort_block_sort_config_selectorIlNS0_10empty_typeEEEZNS1_21merge_sort_block_sortIS3_PlS8_PS5_S9_ZN2at6native12_GLOBAL__N_124unique_dim_cuda_templateIfEESt5tupleIJNSA_6TensorESF_SF_EERKSF_lbbbEUlllE_EE10hipError_tT0_T1_T2_T3_mRjT4_P12ihipStream_tbNS1_7vsmem_tEEUlT_E_NS1_11comp_targetILNS1_3genE3ELNS1_11target_archE908ELNS1_3gpuE7ELNS1_3repE0EEENS1_30default_config_static_selectorELNS0_4arch9wavefront6targetE0EEEvSM_,"axG",@progbits,_ZN7rocprim17ROCPRIM_400000_NS6detail17trampoline_kernelINS0_14default_configENS1_37merge_sort_block_sort_config_selectorIlNS0_10empty_typeEEEZNS1_21merge_sort_block_sortIS3_PlS8_PS5_S9_ZN2at6native12_GLOBAL__N_124unique_dim_cuda_templateIfEESt5tupleIJNSA_6TensorESF_SF_EERKSF_lbbbEUlllE_EE10hipError_tT0_T1_T2_T3_mRjT4_P12ihipStream_tbNS1_7vsmem_tEEUlT_E_NS1_11comp_targetILNS1_3genE3ELNS1_11target_archE908ELNS1_3gpuE7ELNS1_3repE0EEENS1_30default_config_static_selectorELNS0_4arch9wavefront6targetE0EEEvSM_,comdat
.Lfunc_end874:
	.size	_ZN7rocprim17ROCPRIM_400000_NS6detail17trampoline_kernelINS0_14default_configENS1_37merge_sort_block_sort_config_selectorIlNS0_10empty_typeEEEZNS1_21merge_sort_block_sortIS3_PlS8_PS5_S9_ZN2at6native12_GLOBAL__N_124unique_dim_cuda_templateIfEESt5tupleIJNSA_6TensorESF_SF_EERKSF_lbbbEUlllE_EE10hipError_tT0_T1_T2_T3_mRjT4_P12ihipStream_tbNS1_7vsmem_tEEUlT_E_NS1_11comp_targetILNS1_3genE3ELNS1_11target_archE908ELNS1_3gpuE7ELNS1_3repE0EEENS1_30default_config_static_selectorELNS0_4arch9wavefront6targetE0EEEvSM_, .Lfunc_end874-_ZN7rocprim17ROCPRIM_400000_NS6detail17trampoline_kernelINS0_14default_configENS1_37merge_sort_block_sort_config_selectorIlNS0_10empty_typeEEEZNS1_21merge_sort_block_sortIS3_PlS8_PS5_S9_ZN2at6native12_GLOBAL__N_124unique_dim_cuda_templateIfEESt5tupleIJNSA_6TensorESF_SF_EERKSF_lbbbEUlllE_EE10hipError_tT0_T1_T2_T3_mRjT4_P12ihipStream_tbNS1_7vsmem_tEEUlT_E_NS1_11comp_targetILNS1_3genE3ELNS1_11target_archE908ELNS1_3gpuE7ELNS1_3repE0EEENS1_30default_config_static_selectorELNS0_4arch9wavefront6targetE0EEEvSM_
                                        ; -- End function
	.set _ZN7rocprim17ROCPRIM_400000_NS6detail17trampoline_kernelINS0_14default_configENS1_37merge_sort_block_sort_config_selectorIlNS0_10empty_typeEEEZNS1_21merge_sort_block_sortIS3_PlS8_PS5_S9_ZN2at6native12_GLOBAL__N_124unique_dim_cuda_templateIfEESt5tupleIJNSA_6TensorESF_SF_EERKSF_lbbbEUlllE_EE10hipError_tT0_T1_T2_T3_mRjT4_P12ihipStream_tbNS1_7vsmem_tEEUlT_E_NS1_11comp_targetILNS1_3genE3ELNS1_11target_archE908ELNS1_3gpuE7ELNS1_3repE0EEENS1_30default_config_static_selectorELNS0_4arch9wavefront6targetE0EEEvSM_.num_vgpr, 0
	.set _ZN7rocprim17ROCPRIM_400000_NS6detail17trampoline_kernelINS0_14default_configENS1_37merge_sort_block_sort_config_selectorIlNS0_10empty_typeEEEZNS1_21merge_sort_block_sortIS3_PlS8_PS5_S9_ZN2at6native12_GLOBAL__N_124unique_dim_cuda_templateIfEESt5tupleIJNSA_6TensorESF_SF_EERKSF_lbbbEUlllE_EE10hipError_tT0_T1_T2_T3_mRjT4_P12ihipStream_tbNS1_7vsmem_tEEUlT_E_NS1_11comp_targetILNS1_3genE3ELNS1_11target_archE908ELNS1_3gpuE7ELNS1_3repE0EEENS1_30default_config_static_selectorELNS0_4arch9wavefront6targetE0EEEvSM_.num_agpr, 0
	.set _ZN7rocprim17ROCPRIM_400000_NS6detail17trampoline_kernelINS0_14default_configENS1_37merge_sort_block_sort_config_selectorIlNS0_10empty_typeEEEZNS1_21merge_sort_block_sortIS3_PlS8_PS5_S9_ZN2at6native12_GLOBAL__N_124unique_dim_cuda_templateIfEESt5tupleIJNSA_6TensorESF_SF_EERKSF_lbbbEUlllE_EE10hipError_tT0_T1_T2_T3_mRjT4_P12ihipStream_tbNS1_7vsmem_tEEUlT_E_NS1_11comp_targetILNS1_3genE3ELNS1_11target_archE908ELNS1_3gpuE7ELNS1_3repE0EEENS1_30default_config_static_selectorELNS0_4arch9wavefront6targetE0EEEvSM_.numbered_sgpr, 0
	.set _ZN7rocprim17ROCPRIM_400000_NS6detail17trampoline_kernelINS0_14default_configENS1_37merge_sort_block_sort_config_selectorIlNS0_10empty_typeEEEZNS1_21merge_sort_block_sortIS3_PlS8_PS5_S9_ZN2at6native12_GLOBAL__N_124unique_dim_cuda_templateIfEESt5tupleIJNSA_6TensorESF_SF_EERKSF_lbbbEUlllE_EE10hipError_tT0_T1_T2_T3_mRjT4_P12ihipStream_tbNS1_7vsmem_tEEUlT_E_NS1_11comp_targetILNS1_3genE3ELNS1_11target_archE908ELNS1_3gpuE7ELNS1_3repE0EEENS1_30default_config_static_selectorELNS0_4arch9wavefront6targetE0EEEvSM_.num_named_barrier, 0
	.set _ZN7rocprim17ROCPRIM_400000_NS6detail17trampoline_kernelINS0_14default_configENS1_37merge_sort_block_sort_config_selectorIlNS0_10empty_typeEEEZNS1_21merge_sort_block_sortIS3_PlS8_PS5_S9_ZN2at6native12_GLOBAL__N_124unique_dim_cuda_templateIfEESt5tupleIJNSA_6TensorESF_SF_EERKSF_lbbbEUlllE_EE10hipError_tT0_T1_T2_T3_mRjT4_P12ihipStream_tbNS1_7vsmem_tEEUlT_E_NS1_11comp_targetILNS1_3genE3ELNS1_11target_archE908ELNS1_3gpuE7ELNS1_3repE0EEENS1_30default_config_static_selectorELNS0_4arch9wavefront6targetE0EEEvSM_.private_seg_size, 0
	.set _ZN7rocprim17ROCPRIM_400000_NS6detail17trampoline_kernelINS0_14default_configENS1_37merge_sort_block_sort_config_selectorIlNS0_10empty_typeEEEZNS1_21merge_sort_block_sortIS3_PlS8_PS5_S9_ZN2at6native12_GLOBAL__N_124unique_dim_cuda_templateIfEESt5tupleIJNSA_6TensorESF_SF_EERKSF_lbbbEUlllE_EE10hipError_tT0_T1_T2_T3_mRjT4_P12ihipStream_tbNS1_7vsmem_tEEUlT_E_NS1_11comp_targetILNS1_3genE3ELNS1_11target_archE908ELNS1_3gpuE7ELNS1_3repE0EEENS1_30default_config_static_selectorELNS0_4arch9wavefront6targetE0EEEvSM_.uses_vcc, 0
	.set _ZN7rocprim17ROCPRIM_400000_NS6detail17trampoline_kernelINS0_14default_configENS1_37merge_sort_block_sort_config_selectorIlNS0_10empty_typeEEEZNS1_21merge_sort_block_sortIS3_PlS8_PS5_S9_ZN2at6native12_GLOBAL__N_124unique_dim_cuda_templateIfEESt5tupleIJNSA_6TensorESF_SF_EERKSF_lbbbEUlllE_EE10hipError_tT0_T1_T2_T3_mRjT4_P12ihipStream_tbNS1_7vsmem_tEEUlT_E_NS1_11comp_targetILNS1_3genE3ELNS1_11target_archE908ELNS1_3gpuE7ELNS1_3repE0EEENS1_30default_config_static_selectorELNS0_4arch9wavefront6targetE0EEEvSM_.uses_flat_scratch, 0
	.set _ZN7rocprim17ROCPRIM_400000_NS6detail17trampoline_kernelINS0_14default_configENS1_37merge_sort_block_sort_config_selectorIlNS0_10empty_typeEEEZNS1_21merge_sort_block_sortIS3_PlS8_PS5_S9_ZN2at6native12_GLOBAL__N_124unique_dim_cuda_templateIfEESt5tupleIJNSA_6TensorESF_SF_EERKSF_lbbbEUlllE_EE10hipError_tT0_T1_T2_T3_mRjT4_P12ihipStream_tbNS1_7vsmem_tEEUlT_E_NS1_11comp_targetILNS1_3genE3ELNS1_11target_archE908ELNS1_3gpuE7ELNS1_3repE0EEENS1_30default_config_static_selectorELNS0_4arch9wavefront6targetE0EEEvSM_.has_dyn_sized_stack, 0
	.set _ZN7rocprim17ROCPRIM_400000_NS6detail17trampoline_kernelINS0_14default_configENS1_37merge_sort_block_sort_config_selectorIlNS0_10empty_typeEEEZNS1_21merge_sort_block_sortIS3_PlS8_PS5_S9_ZN2at6native12_GLOBAL__N_124unique_dim_cuda_templateIfEESt5tupleIJNSA_6TensorESF_SF_EERKSF_lbbbEUlllE_EE10hipError_tT0_T1_T2_T3_mRjT4_P12ihipStream_tbNS1_7vsmem_tEEUlT_E_NS1_11comp_targetILNS1_3genE3ELNS1_11target_archE908ELNS1_3gpuE7ELNS1_3repE0EEENS1_30default_config_static_selectorELNS0_4arch9wavefront6targetE0EEEvSM_.has_recursion, 0
	.set _ZN7rocprim17ROCPRIM_400000_NS6detail17trampoline_kernelINS0_14default_configENS1_37merge_sort_block_sort_config_selectorIlNS0_10empty_typeEEEZNS1_21merge_sort_block_sortIS3_PlS8_PS5_S9_ZN2at6native12_GLOBAL__N_124unique_dim_cuda_templateIfEESt5tupleIJNSA_6TensorESF_SF_EERKSF_lbbbEUlllE_EE10hipError_tT0_T1_T2_T3_mRjT4_P12ihipStream_tbNS1_7vsmem_tEEUlT_E_NS1_11comp_targetILNS1_3genE3ELNS1_11target_archE908ELNS1_3gpuE7ELNS1_3repE0EEENS1_30default_config_static_selectorELNS0_4arch9wavefront6targetE0EEEvSM_.has_indirect_call, 0
	.section	.AMDGPU.csdata,"",@progbits
; Kernel info:
; codeLenInByte = 0
; TotalNumSgprs: 0
; NumVgprs: 0
; ScratchSize: 0
; MemoryBound: 0
; FloatMode: 240
; IeeeMode: 1
; LDSByteSize: 0 bytes/workgroup (compile time only)
; SGPRBlocks: 0
; VGPRBlocks: 0
; NumSGPRsForWavesPerEU: 1
; NumVGPRsForWavesPerEU: 1
; NamedBarCnt: 0
; Occupancy: 16
; WaveLimiterHint : 0
; COMPUTE_PGM_RSRC2:SCRATCH_EN: 0
; COMPUTE_PGM_RSRC2:USER_SGPR: 2
; COMPUTE_PGM_RSRC2:TRAP_HANDLER: 0
; COMPUTE_PGM_RSRC2:TGID_X_EN: 1
; COMPUTE_PGM_RSRC2:TGID_Y_EN: 0
; COMPUTE_PGM_RSRC2:TGID_Z_EN: 0
; COMPUTE_PGM_RSRC2:TIDIG_COMP_CNT: 0
	.section	.text._ZN7rocprim17ROCPRIM_400000_NS6detail17trampoline_kernelINS0_14default_configENS1_37merge_sort_block_sort_config_selectorIlNS0_10empty_typeEEEZNS1_21merge_sort_block_sortIS3_PlS8_PS5_S9_ZN2at6native12_GLOBAL__N_124unique_dim_cuda_templateIfEESt5tupleIJNSA_6TensorESF_SF_EERKSF_lbbbEUlllE_EE10hipError_tT0_T1_T2_T3_mRjT4_P12ihipStream_tbNS1_7vsmem_tEEUlT_E_NS1_11comp_targetILNS1_3genE2ELNS1_11target_archE906ELNS1_3gpuE6ELNS1_3repE0EEENS1_30default_config_static_selectorELNS0_4arch9wavefront6targetE0EEEvSM_,"axG",@progbits,_ZN7rocprim17ROCPRIM_400000_NS6detail17trampoline_kernelINS0_14default_configENS1_37merge_sort_block_sort_config_selectorIlNS0_10empty_typeEEEZNS1_21merge_sort_block_sortIS3_PlS8_PS5_S9_ZN2at6native12_GLOBAL__N_124unique_dim_cuda_templateIfEESt5tupleIJNSA_6TensorESF_SF_EERKSF_lbbbEUlllE_EE10hipError_tT0_T1_T2_T3_mRjT4_P12ihipStream_tbNS1_7vsmem_tEEUlT_E_NS1_11comp_targetILNS1_3genE2ELNS1_11target_archE906ELNS1_3gpuE6ELNS1_3repE0EEENS1_30default_config_static_selectorELNS0_4arch9wavefront6targetE0EEEvSM_,comdat
	.globl	_ZN7rocprim17ROCPRIM_400000_NS6detail17trampoline_kernelINS0_14default_configENS1_37merge_sort_block_sort_config_selectorIlNS0_10empty_typeEEEZNS1_21merge_sort_block_sortIS3_PlS8_PS5_S9_ZN2at6native12_GLOBAL__N_124unique_dim_cuda_templateIfEESt5tupleIJNSA_6TensorESF_SF_EERKSF_lbbbEUlllE_EE10hipError_tT0_T1_T2_T3_mRjT4_P12ihipStream_tbNS1_7vsmem_tEEUlT_E_NS1_11comp_targetILNS1_3genE2ELNS1_11target_archE906ELNS1_3gpuE6ELNS1_3repE0EEENS1_30default_config_static_selectorELNS0_4arch9wavefront6targetE0EEEvSM_ ; -- Begin function _ZN7rocprim17ROCPRIM_400000_NS6detail17trampoline_kernelINS0_14default_configENS1_37merge_sort_block_sort_config_selectorIlNS0_10empty_typeEEEZNS1_21merge_sort_block_sortIS3_PlS8_PS5_S9_ZN2at6native12_GLOBAL__N_124unique_dim_cuda_templateIfEESt5tupleIJNSA_6TensorESF_SF_EERKSF_lbbbEUlllE_EE10hipError_tT0_T1_T2_T3_mRjT4_P12ihipStream_tbNS1_7vsmem_tEEUlT_E_NS1_11comp_targetILNS1_3genE2ELNS1_11target_archE906ELNS1_3gpuE6ELNS1_3repE0EEENS1_30default_config_static_selectorELNS0_4arch9wavefront6targetE0EEEvSM_
	.p2align	8
	.type	_ZN7rocprim17ROCPRIM_400000_NS6detail17trampoline_kernelINS0_14default_configENS1_37merge_sort_block_sort_config_selectorIlNS0_10empty_typeEEEZNS1_21merge_sort_block_sortIS3_PlS8_PS5_S9_ZN2at6native12_GLOBAL__N_124unique_dim_cuda_templateIfEESt5tupleIJNSA_6TensorESF_SF_EERKSF_lbbbEUlllE_EE10hipError_tT0_T1_T2_T3_mRjT4_P12ihipStream_tbNS1_7vsmem_tEEUlT_E_NS1_11comp_targetILNS1_3genE2ELNS1_11target_archE906ELNS1_3gpuE6ELNS1_3repE0EEENS1_30default_config_static_selectorELNS0_4arch9wavefront6targetE0EEEvSM_,@function
_ZN7rocprim17ROCPRIM_400000_NS6detail17trampoline_kernelINS0_14default_configENS1_37merge_sort_block_sort_config_selectorIlNS0_10empty_typeEEEZNS1_21merge_sort_block_sortIS3_PlS8_PS5_S9_ZN2at6native12_GLOBAL__N_124unique_dim_cuda_templateIfEESt5tupleIJNSA_6TensorESF_SF_EERKSF_lbbbEUlllE_EE10hipError_tT0_T1_T2_T3_mRjT4_P12ihipStream_tbNS1_7vsmem_tEEUlT_E_NS1_11comp_targetILNS1_3genE2ELNS1_11target_archE906ELNS1_3gpuE6ELNS1_3repE0EEENS1_30default_config_static_selectorELNS0_4arch9wavefront6targetE0EEEvSM_: ; @_ZN7rocprim17ROCPRIM_400000_NS6detail17trampoline_kernelINS0_14default_configENS1_37merge_sort_block_sort_config_selectorIlNS0_10empty_typeEEEZNS1_21merge_sort_block_sortIS3_PlS8_PS5_S9_ZN2at6native12_GLOBAL__N_124unique_dim_cuda_templateIfEESt5tupleIJNSA_6TensorESF_SF_EERKSF_lbbbEUlllE_EE10hipError_tT0_T1_T2_T3_mRjT4_P12ihipStream_tbNS1_7vsmem_tEEUlT_E_NS1_11comp_targetILNS1_3genE2ELNS1_11target_archE906ELNS1_3gpuE6ELNS1_3repE0EEENS1_30default_config_static_selectorELNS0_4arch9wavefront6targetE0EEEvSM_
; %bb.0:
	.section	.rodata,"a",@progbits
	.p2align	6, 0x0
	.amdhsa_kernel _ZN7rocprim17ROCPRIM_400000_NS6detail17trampoline_kernelINS0_14default_configENS1_37merge_sort_block_sort_config_selectorIlNS0_10empty_typeEEEZNS1_21merge_sort_block_sortIS3_PlS8_PS5_S9_ZN2at6native12_GLOBAL__N_124unique_dim_cuda_templateIfEESt5tupleIJNSA_6TensorESF_SF_EERKSF_lbbbEUlllE_EE10hipError_tT0_T1_T2_T3_mRjT4_P12ihipStream_tbNS1_7vsmem_tEEUlT_E_NS1_11comp_targetILNS1_3genE2ELNS1_11target_archE906ELNS1_3gpuE6ELNS1_3repE0EEENS1_30default_config_static_selectorELNS0_4arch9wavefront6targetE0EEEvSM_
		.amdhsa_group_segment_fixed_size 0
		.amdhsa_private_segment_fixed_size 0
		.amdhsa_kernarg_size 72
		.amdhsa_user_sgpr_count 2
		.amdhsa_user_sgpr_dispatch_ptr 0
		.amdhsa_user_sgpr_queue_ptr 0
		.amdhsa_user_sgpr_kernarg_segment_ptr 1
		.amdhsa_user_sgpr_dispatch_id 0
		.amdhsa_user_sgpr_kernarg_preload_length 0
		.amdhsa_user_sgpr_kernarg_preload_offset 0
		.amdhsa_user_sgpr_private_segment_size 0
		.amdhsa_wavefront_size32 1
		.amdhsa_uses_dynamic_stack 0
		.amdhsa_enable_private_segment 0
		.amdhsa_system_sgpr_workgroup_id_x 1
		.amdhsa_system_sgpr_workgroup_id_y 0
		.amdhsa_system_sgpr_workgroup_id_z 0
		.amdhsa_system_sgpr_workgroup_info 0
		.amdhsa_system_vgpr_workitem_id 0
		.amdhsa_next_free_vgpr 1
		.amdhsa_next_free_sgpr 1
		.amdhsa_named_barrier_count 0
		.amdhsa_reserve_vcc 0
		.amdhsa_float_round_mode_32 0
		.amdhsa_float_round_mode_16_64 0
		.amdhsa_float_denorm_mode_32 3
		.amdhsa_float_denorm_mode_16_64 3
		.amdhsa_fp16_overflow 0
		.amdhsa_memory_ordered 1
		.amdhsa_forward_progress 1
		.amdhsa_inst_pref_size 0
		.amdhsa_round_robin_scheduling 0
		.amdhsa_exception_fp_ieee_invalid_op 0
		.amdhsa_exception_fp_denorm_src 0
		.amdhsa_exception_fp_ieee_div_zero 0
		.amdhsa_exception_fp_ieee_overflow 0
		.amdhsa_exception_fp_ieee_underflow 0
		.amdhsa_exception_fp_ieee_inexact 0
		.amdhsa_exception_int_div_zero 0
	.end_amdhsa_kernel
	.section	.text._ZN7rocprim17ROCPRIM_400000_NS6detail17trampoline_kernelINS0_14default_configENS1_37merge_sort_block_sort_config_selectorIlNS0_10empty_typeEEEZNS1_21merge_sort_block_sortIS3_PlS8_PS5_S9_ZN2at6native12_GLOBAL__N_124unique_dim_cuda_templateIfEESt5tupleIJNSA_6TensorESF_SF_EERKSF_lbbbEUlllE_EE10hipError_tT0_T1_T2_T3_mRjT4_P12ihipStream_tbNS1_7vsmem_tEEUlT_E_NS1_11comp_targetILNS1_3genE2ELNS1_11target_archE906ELNS1_3gpuE6ELNS1_3repE0EEENS1_30default_config_static_selectorELNS0_4arch9wavefront6targetE0EEEvSM_,"axG",@progbits,_ZN7rocprim17ROCPRIM_400000_NS6detail17trampoline_kernelINS0_14default_configENS1_37merge_sort_block_sort_config_selectorIlNS0_10empty_typeEEEZNS1_21merge_sort_block_sortIS3_PlS8_PS5_S9_ZN2at6native12_GLOBAL__N_124unique_dim_cuda_templateIfEESt5tupleIJNSA_6TensorESF_SF_EERKSF_lbbbEUlllE_EE10hipError_tT0_T1_T2_T3_mRjT4_P12ihipStream_tbNS1_7vsmem_tEEUlT_E_NS1_11comp_targetILNS1_3genE2ELNS1_11target_archE906ELNS1_3gpuE6ELNS1_3repE0EEENS1_30default_config_static_selectorELNS0_4arch9wavefront6targetE0EEEvSM_,comdat
.Lfunc_end875:
	.size	_ZN7rocprim17ROCPRIM_400000_NS6detail17trampoline_kernelINS0_14default_configENS1_37merge_sort_block_sort_config_selectorIlNS0_10empty_typeEEEZNS1_21merge_sort_block_sortIS3_PlS8_PS5_S9_ZN2at6native12_GLOBAL__N_124unique_dim_cuda_templateIfEESt5tupleIJNSA_6TensorESF_SF_EERKSF_lbbbEUlllE_EE10hipError_tT0_T1_T2_T3_mRjT4_P12ihipStream_tbNS1_7vsmem_tEEUlT_E_NS1_11comp_targetILNS1_3genE2ELNS1_11target_archE906ELNS1_3gpuE6ELNS1_3repE0EEENS1_30default_config_static_selectorELNS0_4arch9wavefront6targetE0EEEvSM_, .Lfunc_end875-_ZN7rocprim17ROCPRIM_400000_NS6detail17trampoline_kernelINS0_14default_configENS1_37merge_sort_block_sort_config_selectorIlNS0_10empty_typeEEEZNS1_21merge_sort_block_sortIS3_PlS8_PS5_S9_ZN2at6native12_GLOBAL__N_124unique_dim_cuda_templateIfEESt5tupleIJNSA_6TensorESF_SF_EERKSF_lbbbEUlllE_EE10hipError_tT0_T1_T2_T3_mRjT4_P12ihipStream_tbNS1_7vsmem_tEEUlT_E_NS1_11comp_targetILNS1_3genE2ELNS1_11target_archE906ELNS1_3gpuE6ELNS1_3repE0EEENS1_30default_config_static_selectorELNS0_4arch9wavefront6targetE0EEEvSM_
                                        ; -- End function
	.set _ZN7rocprim17ROCPRIM_400000_NS6detail17trampoline_kernelINS0_14default_configENS1_37merge_sort_block_sort_config_selectorIlNS0_10empty_typeEEEZNS1_21merge_sort_block_sortIS3_PlS8_PS5_S9_ZN2at6native12_GLOBAL__N_124unique_dim_cuda_templateIfEESt5tupleIJNSA_6TensorESF_SF_EERKSF_lbbbEUlllE_EE10hipError_tT0_T1_T2_T3_mRjT4_P12ihipStream_tbNS1_7vsmem_tEEUlT_E_NS1_11comp_targetILNS1_3genE2ELNS1_11target_archE906ELNS1_3gpuE6ELNS1_3repE0EEENS1_30default_config_static_selectorELNS0_4arch9wavefront6targetE0EEEvSM_.num_vgpr, 0
	.set _ZN7rocprim17ROCPRIM_400000_NS6detail17trampoline_kernelINS0_14default_configENS1_37merge_sort_block_sort_config_selectorIlNS0_10empty_typeEEEZNS1_21merge_sort_block_sortIS3_PlS8_PS5_S9_ZN2at6native12_GLOBAL__N_124unique_dim_cuda_templateIfEESt5tupleIJNSA_6TensorESF_SF_EERKSF_lbbbEUlllE_EE10hipError_tT0_T1_T2_T3_mRjT4_P12ihipStream_tbNS1_7vsmem_tEEUlT_E_NS1_11comp_targetILNS1_3genE2ELNS1_11target_archE906ELNS1_3gpuE6ELNS1_3repE0EEENS1_30default_config_static_selectorELNS0_4arch9wavefront6targetE0EEEvSM_.num_agpr, 0
	.set _ZN7rocprim17ROCPRIM_400000_NS6detail17trampoline_kernelINS0_14default_configENS1_37merge_sort_block_sort_config_selectorIlNS0_10empty_typeEEEZNS1_21merge_sort_block_sortIS3_PlS8_PS5_S9_ZN2at6native12_GLOBAL__N_124unique_dim_cuda_templateIfEESt5tupleIJNSA_6TensorESF_SF_EERKSF_lbbbEUlllE_EE10hipError_tT0_T1_T2_T3_mRjT4_P12ihipStream_tbNS1_7vsmem_tEEUlT_E_NS1_11comp_targetILNS1_3genE2ELNS1_11target_archE906ELNS1_3gpuE6ELNS1_3repE0EEENS1_30default_config_static_selectorELNS0_4arch9wavefront6targetE0EEEvSM_.numbered_sgpr, 0
	.set _ZN7rocprim17ROCPRIM_400000_NS6detail17trampoline_kernelINS0_14default_configENS1_37merge_sort_block_sort_config_selectorIlNS0_10empty_typeEEEZNS1_21merge_sort_block_sortIS3_PlS8_PS5_S9_ZN2at6native12_GLOBAL__N_124unique_dim_cuda_templateIfEESt5tupleIJNSA_6TensorESF_SF_EERKSF_lbbbEUlllE_EE10hipError_tT0_T1_T2_T3_mRjT4_P12ihipStream_tbNS1_7vsmem_tEEUlT_E_NS1_11comp_targetILNS1_3genE2ELNS1_11target_archE906ELNS1_3gpuE6ELNS1_3repE0EEENS1_30default_config_static_selectorELNS0_4arch9wavefront6targetE0EEEvSM_.num_named_barrier, 0
	.set _ZN7rocprim17ROCPRIM_400000_NS6detail17trampoline_kernelINS0_14default_configENS1_37merge_sort_block_sort_config_selectorIlNS0_10empty_typeEEEZNS1_21merge_sort_block_sortIS3_PlS8_PS5_S9_ZN2at6native12_GLOBAL__N_124unique_dim_cuda_templateIfEESt5tupleIJNSA_6TensorESF_SF_EERKSF_lbbbEUlllE_EE10hipError_tT0_T1_T2_T3_mRjT4_P12ihipStream_tbNS1_7vsmem_tEEUlT_E_NS1_11comp_targetILNS1_3genE2ELNS1_11target_archE906ELNS1_3gpuE6ELNS1_3repE0EEENS1_30default_config_static_selectorELNS0_4arch9wavefront6targetE0EEEvSM_.private_seg_size, 0
	.set _ZN7rocprim17ROCPRIM_400000_NS6detail17trampoline_kernelINS0_14default_configENS1_37merge_sort_block_sort_config_selectorIlNS0_10empty_typeEEEZNS1_21merge_sort_block_sortIS3_PlS8_PS5_S9_ZN2at6native12_GLOBAL__N_124unique_dim_cuda_templateIfEESt5tupleIJNSA_6TensorESF_SF_EERKSF_lbbbEUlllE_EE10hipError_tT0_T1_T2_T3_mRjT4_P12ihipStream_tbNS1_7vsmem_tEEUlT_E_NS1_11comp_targetILNS1_3genE2ELNS1_11target_archE906ELNS1_3gpuE6ELNS1_3repE0EEENS1_30default_config_static_selectorELNS0_4arch9wavefront6targetE0EEEvSM_.uses_vcc, 0
	.set _ZN7rocprim17ROCPRIM_400000_NS6detail17trampoline_kernelINS0_14default_configENS1_37merge_sort_block_sort_config_selectorIlNS0_10empty_typeEEEZNS1_21merge_sort_block_sortIS3_PlS8_PS5_S9_ZN2at6native12_GLOBAL__N_124unique_dim_cuda_templateIfEESt5tupleIJNSA_6TensorESF_SF_EERKSF_lbbbEUlllE_EE10hipError_tT0_T1_T2_T3_mRjT4_P12ihipStream_tbNS1_7vsmem_tEEUlT_E_NS1_11comp_targetILNS1_3genE2ELNS1_11target_archE906ELNS1_3gpuE6ELNS1_3repE0EEENS1_30default_config_static_selectorELNS0_4arch9wavefront6targetE0EEEvSM_.uses_flat_scratch, 0
	.set _ZN7rocprim17ROCPRIM_400000_NS6detail17trampoline_kernelINS0_14default_configENS1_37merge_sort_block_sort_config_selectorIlNS0_10empty_typeEEEZNS1_21merge_sort_block_sortIS3_PlS8_PS5_S9_ZN2at6native12_GLOBAL__N_124unique_dim_cuda_templateIfEESt5tupleIJNSA_6TensorESF_SF_EERKSF_lbbbEUlllE_EE10hipError_tT0_T1_T2_T3_mRjT4_P12ihipStream_tbNS1_7vsmem_tEEUlT_E_NS1_11comp_targetILNS1_3genE2ELNS1_11target_archE906ELNS1_3gpuE6ELNS1_3repE0EEENS1_30default_config_static_selectorELNS0_4arch9wavefront6targetE0EEEvSM_.has_dyn_sized_stack, 0
	.set _ZN7rocprim17ROCPRIM_400000_NS6detail17trampoline_kernelINS0_14default_configENS1_37merge_sort_block_sort_config_selectorIlNS0_10empty_typeEEEZNS1_21merge_sort_block_sortIS3_PlS8_PS5_S9_ZN2at6native12_GLOBAL__N_124unique_dim_cuda_templateIfEESt5tupleIJNSA_6TensorESF_SF_EERKSF_lbbbEUlllE_EE10hipError_tT0_T1_T2_T3_mRjT4_P12ihipStream_tbNS1_7vsmem_tEEUlT_E_NS1_11comp_targetILNS1_3genE2ELNS1_11target_archE906ELNS1_3gpuE6ELNS1_3repE0EEENS1_30default_config_static_selectorELNS0_4arch9wavefront6targetE0EEEvSM_.has_recursion, 0
	.set _ZN7rocprim17ROCPRIM_400000_NS6detail17trampoline_kernelINS0_14default_configENS1_37merge_sort_block_sort_config_selectorIlNS0_10empty_typeEEEZNS1_21merge_sort_block_sortIS3_PlS8_PS5_S9_ZN2at6native12_GLOBAL__N_124unique_dim_cuda_templateIfEESt5tupleIJNSA_6TensorESF_SF_EERKSF_lbbbEUlllE_EE10hipError_tT0_T1_T2_T3_mRjT4_P12ihipStream_tbNS1_7vsmem_tEEUlT_E_NS1_11comp_targetILNS1_3genE2ELNS1_11target_archE906ELNS1_3gpuE6ELNS1_3repE0EEENS1_30default_config_static_selectorELNS0_4arch9wavefront6targetE0EEEvSM_.has_indirect_call, 0
	.section	.AMDGPU.csdata,"",@progbits
; Kernel info:
; codeLenInByte = 0
; TotalNumSgprs: 0
; NumVgprs: 0
; ScratchSize: 0
; MemoryBound: 0
; FloatMode: 240
; IeeeMode: 1
; LDSByteSize: 0 bytes/workgroup (compile time only)
; SGPRBlocks: 0
; VGPRBlocks: 0
; NumSGPRsForWavesPerEU: 1
; NumVGPRsForWavesPerEU: 1
; NamedBarCnt: 0
; Occupancy: 16
; WaveLimiterHint : 0
; COMPUTE_PGM_RSRC2:SCRATCH_EN: 0
; COMPUTE_PGM_RSRC2:USER_SGPR: 2
; COMPUTE_PGM_RSRC2:TRAP_HANDLER: 0
; COMPUTE_PGM_RSRC2:TGID_X_EN: 1
; COMPUTE_PGM_RSRC2:TGID_Y_EN: 0
; COMPUTE_PGM_RSRC2:TGID_Z_EN: 0
; COMPUTE_PGM_RSRC2:TIDIG_COMP_CNT: 0
	.section	.text._ZN7rocprim17ROCPRIM_400000_NS6detail17trampoline_kernelINS0_14default_configENS1_37merge_sort_block_sort_config_selectorIlNS0_10empty_typeEEEZNS1_21merge_sort_block_sortIS3_PlS8_PS5_S9_ZN2at6native12_GLOBAL__N_124unique_dim_cuda_templateIfEESt5tupleIJNSA_6TensorESF_SF_EERKSF_lbbbEUlllE_EE10hipError_tT0_T1_T2_T3_mRjT4_P12ihipStream_tbNS1_7vsmem_tEEUlT_E_NS1_11comp_targetILNS1_3genE10ELNS1_11target_archE1201ELNS1_3gpuE5ELNS1_3repE0EEENS1_30default_config_static_selectorELNS0_4arch9wavefront6targetE0EEEvSM_,"axG",@progbits,_ZN7rocprim17ROCPRIM_400000_NS6detail17trampoline_kernelINS0_14default_configENS1_37merge_sort_block_sort_config_selectorIlNS0_10empty_typeEEEZNS1_21merge_sort_block_sortIS3_PlS8_PS5_S9_ZN2at6native12_GLOBAL__N_124unique_dim_cuda_templateIfEESt5tupleIJNSA_6TensorESF_SF_EERKSF_lbbbEUlllE_EE10hipError_tT0_T1_T2_T3_mRjT4_P12ihipStream_tbNS1_7vsmem_tEEUlT_E_NS1_11comp_targetILNS1_3genE10ELNS1_11target_archE1201ELNS1_3gpuE5ELNS1_3repE0EEENS1_30default_config_static_selectorELNS0_4arch9wavefront6targetE0EEEvSM_,comdat
	.globl	_ZN7rocprim17ROCPRIM_400000_NS6detail17trampoline_kernelINS0_14default_configENS1_37merge_sort_block_sort_config_selectorIlNS0_10empty_typeEEEZNS1_21merge_sort_block_sortIS3_PlS8_PS5_S9_ZN2at6native12_GLOBAL__N_124unique_dim_cuda_templateIfEESt5tupleIJNSA_6TensorESF_SF_EERKSF_lbbbEUlllE_EE10hipError_tT0_T1_T2_T3_mRjT4_P12ihipStream_tbNS1_7vsmem_tEEUlT_E_NS1_11comp_targetILNS1_3genE10ELNS1_11target_archE1201ELNS1_3gpuE5ELNS1_3repE0EEENS1_30default_config_static_selectorELNS0_4arch9wavefront6targetE0EEEvSM_ ; -- Begin function _ZN7rocprim17ROCPRIM_400000_NS6detail17trampoline_kernelINS0_14default_configENS1_37merge_sort_block_sort_config_selectorIlNS0_10empty_typeEEEZNS1_21merge_sort_block_sortIS3_PlS8_PS5_S9_ZN2at6native12_GLOBAL__N_124unique_dim_cuda_templateIfEESt5tupleIJNSA_6TensorESF_SF_EERKSF_lbbbEUlllE_EE10hipError_tT0_T1_T2_T3_mRjT4_P12ihipStream_tbNS1_7vsmem_tEEUlT_E_NS1_11comp_targetILNS1_3genE10ELNS1_11target_archE1201ELNS1_3gpuE5ELNS1_3repE0EEENS1_30default_config_static_selectorELNS0_4arch9wavefront6targetE0EEEvSM_
	.p2align	8
	.type	_ZN7rocprim17ROCPRIM_400000_NS6detail17trampoline_kernelINS0_14default_configENS1_37merge_sort_block_sort_config_selectorIlNS0_10empty_typeEEEZNS1_21merge_sort_block_sortIS3_PlS8_PS5_S9_ZN2at6native12_GLOBAL__N_124unique_dim_cuda_templateIfEESt5tupleIJNSA_6TensorESF_SF_EERKSF_lbbbEUlllE_EE10hipError_tT0_T1_T2_T3_mRjT4_P12ihipStream_tbNS1_7vsmem_tEEUlT_E_NS1_11comp_targetILNS1_3genE10ELNS1_11target_archE1201ELNS1_3gpuE5ELNS1_3repE0EEENS1_30default_config_static_selectorELNS0_4arch9wavefront6targetE0EEEvSM_,@function
_ZN7rocprim17ROCPRIM_400000_NS6detail17trampoline_kernelINS0_14default_configENS1_37merge_sort_block_sort_config_selectorIlNS0_10empty_typeEEEZNS1_21merge_sort_block_sortIS3_PlS8_PS5_S9_ZN2at6native12_GLOBAL__N_124unique_dim_cuda_templateIfEESt5tupleIJNSA_6TensorESF_SF_EERKSF_lbbbEUlllE_EE10hipError_tT0_T1_T2_T3_mRjT4_P12ihipStream_tbNS1_7vsmem_tEEUlT_E_NS1_11comp_targetILNS1_3genE10ELNS1_11target_archE1201ELNS1_3gpuE5ELNS1_3repE0EEENS1_30default_config_static_selectorELNS0_4arch9wavefront6targetE0EEEvSM_: ; @_ZN7rocprim17ROCPRIM_400000_NS6detail17trampoline_kernelINS0_14default_configENS1_37merge_sort_block_sort_config_selectorIlNS0_10empty_typeEEEZNS1_21merge_sort_block_sortIS3_PlS8_PS5_S9_ZN2at6native12_GLOBAL__N_124unique_dim_cuda_templateIfEESt5tupleIJNSA_6TensorESF_SF_EERKSF_lbbbEUlllE_EE10hipError_tT0_T1_T2_T3_mRjT4_P12ihipStream_tbNS1_7vsmem_tEEUlT_E_NS1_11comp_targetILNS1_3genE10ELNS1_11target_archE1201ELNS1_3gpuE5ELNS1_3repE0EEENS1_30default_config_static_selectorELNS0_4arch9wavefront6targetE0EEEvSM_
; %bb.0:
	.section	.rodata,"a",@progbits
	.p2align	6, 0x0
	.amdhsa_kernel _ZN7rocprim17ROCPRIM_400000_NS6detail17trampoline_kernelINS0_14default_configENS1_37merge_sort_block_sort_config_selectorIlNS0_10empty_typeEEEZNS1_21merge_sort_block_sortIS3_PlS8_PS5_S9_ZN2at6native12_GLOBAL__N_124unique_dim_cuda_templateIfEESt5tupleIJNSA_6TensorESF_SF_EERKSF_lbbbEUlllE_EE10hipError_tT0_T1_T2_T3_mRjT4_P12ihipStream_tbNS1_7vsmem_tEEUlT_E_NS1_11comp_targetILNS1_3genE10ELNS1_11target_archE1201ELNS1_3gpuE5ELNS1_3repE0EEENS1_30default_config_static_selectorELNS0_4arch9wavefront6targetE0EEEvSM_
		.amdhsa_group_segment_fixed_size 0
		.amdhsa_private_segment_fixed_size 0
		.amdhsa_kernarg_size 72
		.amdhsa_user_sgpr_count 2
		.amdhsa_user_sgpr_dispatch_ptr 0
		.amdhsa_user_sgpr_queue_ptr 0
		.amdhsa_user_sgpr_kernarg_segment_ptr 1
		.amdhsa_user_sgpr_dispatch_id 0
		.amdhsa_user_sgpr_kernarg_preload_length 0
		.amdhsa_user_sgpr_kernarg_preload_offset 0
		.amdhsa_user_sgpr_private_segment_size 0
		.amdhsa_wavefront_size32 1
		.amdhsa_uses_dynamic_stack 0
		.amdhsa_enable_private_segment 0
		.amdhsa_system_sgpr_workgroup_id_x 1
		.amdhsa_system_sgpr_workgroup_id_y 0
		.amdhsa_system_sgpr_workgroup_id_z 0
		.amdhsa_system_sgpr_workgroup_info 0
		.amdhsa_system_vgpr_workitem_id 0
		.amdhsa_next_free_vgpr 1
		.amdhsa_next_free_sgpr 1
		.amdhsa_named_barrier_count 0
		.amdhsa_reserve_vcc 0
		.amdhsa_float_round_mode_32 0
		.amdhsa_float_round_mode_16_64 0
		.amdhsa_float_denorm_mode_32 3
		.amdhsa_float_denorm_mode_16_64 3
		.amdhsa_fp16_overflow 0
		.amdhsa_memory_ordered 1
		.amdhsa_forward_progress 1
		.amdhsa_inst_pref_size 0
		.amdhsa_round_robin_scheduling 0
		.amdhsa_exception_fp_ieee_invalid_op 0
		.amdhsa_exception_fp_denorm_src 0
		.amdhsa_exception_fp_ieee_div_zero 0
		.amdhsa_exception_fp_ieee_overflow 0
		.amdhsa_exception_fp_ieee_underflow 0
		.amdhsa_exception_fp_ieee_inexact 0
		.amdhsa_exception_int_div_zero 0
	.end_amdhsa_kernel
	.section	.text._ZN7rocprim17ROCPRIM_400000_NS6detail17trampoline_kernelINS0_14default_configENS1_37merge_sort_block_sort_config_selectorIlNS0_10empty_typeEEEZNS1_21merge_sort_block_sortIS3_PlS8_PS5_S9_ZN2at6native12_GLOBAL__N_124unique_dim_cuda_templateIfEESt5tupleIJNSA_6TensorESF_SF_EERKSF_lbbbEUlllE_EE10hipError_tT0_T1_T2_T3_mRjT4_P12ihipStream_tbNS1_7vsmem_tEEUlT_E_NS1_11comp_targetILNS1_3genE10ELNS1_11target_archE1201ELNS1_3gpuE5ELNS1_3repE0EEENS1_30default_config_static_selectorELNS0_4arch9wavefront6targetE0EEEvSM_,"axG",@progbits,_ZN7rocprim17ROCPRIM_400000_NS6detail17trampoline_kernelINS0_14default_configENS1_37merge_sort_block_sort_config_selectorIlNS0_10empty_typeEEEZNS1_21merge_sort_block_sortIS3_PlS8_PS5_S9_ZN2at6native12_GLOBAL__N_124unique_dim_cuda_templateIfEESt5tupleIJNSA_6TensorESF_SF_EERKSF_lbbbEUlllE_EE10hipError_tT0_T1_T2_T3_mRjT4_P12ihipStream_tbNS1_7vsmem_tEEUlT_E_NS1_11comp_targetILNS1_3genE10ELNS1_11target_archE1201ELNS1_3gpuE5ELNS1_3repE0EEENS1_30default_config_static_selectorELNS0_4arch9wavefront6targetE0EEEvSM_,comdat
.Lfunc_end876:
	.size	_ZN7rocprim17ROCPRIM_400000_NS6detail17trampoline_kernelINS0_14default_configENS1_37merge_sort_block_sort_config_selectorIlNS0_10empty_typeEEEZNS1_21merge_sort_block_sortIS3_PlS8_PS5_S9_ZN2at6native12_GLOBAL__N_124unique_dim_cuda_templateIfEESt5tupleIJNSA_6TensorESF_SF_EERKSF_lbbbEUlllE_EE10hipError_tT0_T1_T2_T3_mRjT4_P12ihipStream_tbNS1_7vsmem_tEEUlT_E_NS1_11comp_targetILNS1_3genE10ELNS1_11target_archE1201ELNS1_3gpuE5ELNS1_3repE0EEENS1_30default_config_static_selectorELNS0_4arch9wavefront6targetE0EEEvSM_, .Lfunc_end876-_ZN7rocprim17ROCPRIM_400000_NS6detail17trampoline_kernelINS0_14default_configENS1_37merge_sort_block_sort_config_selectorIlNS0_10empty_typeEEEZNS1_21merge_sort_block_sortIS3_PlS8_PS5_S9_ZN2at6native12_GLOBAL__N_124unique_dim_cuda_templateIfEESt5tupleIJNSA_6TensorESF_SF_EERKSF_lbbbEUlllE_EE10hipError_tT0_T1_T2_T3_mRjT4_P12ihipStream_tbNS1_7vsmem_tEEUlT_E_NS1_11comp_targetILNS1_3genE10ELNS1_11target_archE1201ELNS1_3gpuE5ELNS1_3repE0EEENS1_30default_config_static_selectorELNS0_4arch9wavefront6targetE0EEEvSM_
                                        ; -- End function
	.set _ZN7rocprim17ROCPRIM_400000_NS6detail17trampoline_kernelINS0_14default_configENS1_37merge_sort_block_sort_config_selectorIlNS0_10empty_typeEEEZNS1_21merge_sort_block_sortIS3_PlS8_PS5_S9_ZN2at6native12_GLOBAL__N_124unique_dim_cuda_templateIfEESt5tupleIJNSA_6TensorESF_SF_EERKSF_lbbbEUlllE_EE10hipError_tT0_T1_T2_T3_mRjT4_P12ihipStream_tbNS1_7vsmem_tEEUlT_E_NS1_11comp_targetILNS1_3genE10ELNS1_11target_archE1201ELNS1_3gpuE5ELNS1_3repE0EEENS1_30default_config_static_selectorELNS0_4arch9wavefront6targetE0EEEvSM_.num_vgpr, 0
	.set _ZN7rocprim17ROCPRIM_400000_NS6detail17trampoline_kernelINS0_14default_configENS1_37merge_sort_block_sort_config_selectorIlNS0_10empty_typeEEEZNS1_21merge_sort_block_sortIS3_PlS8_PS5_S9_ZN2at6native12_GLOBAL__N_124unique_dim_cuda_templateIfEESt5tupleIJNSA_6TensorESF_SF_EERKSF_lbbbEUlllE_EE10hipError_tT0_T1_T2_T3_mRjT4_P12ihipStream_tbNS1_7vsmem_tEEUlT_E_NS1_11comp_targetILNS1_3genE10ELNS1_11target_archE1201ELNS1_3gpuE5ELNS1_3repE0EEENS1_30default_config_static_selectorELNS0_4arch9wavefront6targetE0EEEvSM_.num_agpr, 0
	.set _ZN7rocprim17ROCPRIM_400000_NS6detail17trampoline_kernelINS0_14default_configENS1_37merge_sort_block_sort_config_selectorIlNS0_10empty_typeEEEZNS1_21merge_sort_block_sortIS3_PlS8_PS5_S9_ZN2at6native12_GLOBAL__N_124unique_dim_cuda_templateIfEESt5tupleIJNSA_6TensorESF_SF_EERKSF_lbbbEUlllE_EE10hipError_tT0_T1_T2_T3_mRjT4_P12ihipStream_tbNS1_7vsmem_tEEUlT_E_NS1_11comp_targetILNS1_3genE10ELNS1_11target_archE1201ELNS1_3gpuE5ELNS1_3repE0EEENS1_30default_config_static_selectorELNS0_4arch9wavefront6targetE0EEEvSM_.numbered_sgpr, 0
	.set _ZN7rocprim17ROCPRIM_400000_NS6detail17trampoline_kernelINS0_14default_configENS1_37merge_sort_block_sort_config_selectorIlNS0_10empty_typeEEEZNS1_21merge_sort_block_sortIS3_PlS8_PS5_S9_ZN2at6native12_GLOBAL__N_124unique_dim_cuda_templateIfEESt5tupleIJNSA_6TensorESF_SF_EERKSF_lbbbEUlllE_EE10hipError_tT0_T1_T2_T3_mRjT4_P12ihipStream_tbNS1_7vsmem_tEEUlT_E_NS1_11comp_targetILNS1_3genE10ELNS1_11target_archE1201ELNS1_3gpuE5ELNS1_3repE0EEENS1_30default_config_static_selectorELNS0_4arch9wavefront6targetE0EEEvSM_.num_named_barrier, 0
	.set _ZN7rocprim17ROCPRIM_400000_NS6detail17trampoline_kernelINS0_14default_configENS1_37merge_sort_block_sort_config_selectorIlNS0_10empty_typeEEEZNS1_21merge_sort_block_sortIS3_PlS8_PS5_S9_ZN2at6native12_GLOBAL__N_124unique_dim_cuda_templateIfEESt5tupleIJNSA_6TensorESF_SF_EERKSF_lbbbEUlllE_EE10hipError_tT0_T1_T2_T3_mRjT4_P12ihipStream_tbNS1_7vsmem_tEEUlT_E_NS1_11comp_targetILNS1_3genE10ELNS1_11target_archE1201ELNS1_3gpuE5ELNS1_3repE0EEENS1_30default_config_static_selectorELNS0_4arch9wavefront6targetE0EEEvSM_.private_seg_size, 0
	.set _ZN7rocprim17ROCPRIM_400000_NS6detail17trampoline_kernelINS0_14default_configENS1_37merge_sort_block_sort_config_selectorIlNS0_10empty_typeEEEZNS1_21merge_sort_block_sortIS3_PlS8_PS5_S9_ZN2at6native12_GLOBAL__N_124unique_dim_cuda_templateIfEESt5tupleIJNSA_6TensorESF_SF_EERKSF_lbbbEUlllE_EE10hipError_tT0_T1_T2_T3_mRjT4_P12ihipStream_tbNS1_7vsmem_tEEUlT_E_NS1_11comp_targetILNS1_3genE10ELNS1_11target_archE1201ELNS1_3gpuE5ELNS1_3repE0EEENS1_30default_config_static_selectorELNS0_4arch9wavefront6targetE0EEEvSM_.uses_vcc, 0
	.set _ZN7rocprim17ROCPRIM_400000_NS6detail17trampoline_kernelINS0_14default_configENS1_37merge_sort_block_sort_config_selectorIlNS0_10empty_typeEEEZNS1_21merge_sort_block_sortIS3_PlS8_PS5_S9_ZN2at6native12_GLOBAL__N_124unique_dim_cuda_templateIfEESt5tupleIJNSA_6TensorESF_SF_EERKSF_lbbbEUlllE_EE10hipError_tT0_T1_T2_T3_mRjT4_P12ihipStream_tbNS1_7vsmem_tEEUlT_E_NS1_11comp_targetILNS1_3genE10ELNS1_11target_archE1201ELNS1_3gpuE5ELNS1_3repE0EEENS1_30default_config_static_selectorELNS0_4arch9wavefront6targetE0EEEvSM_.uses_flat_scratch, 0
	.set _ZN7rocprim17ROCPRIM_400000_NS6detail17trampoline_kernelINS0_14default_configENS1_37merge_sort_block_sort_config_selectorIlNS0_10empty_typeEEEZNS1_21merge_sort_block_sortIS3_PlS8_PS5_S9_ZN2at6native12_GLOBAL__N_124unique_dim_cuda_templateIfEESt5tupleIJNSA_6TensorESF_SF_EERKSF_lbbbEUlllE_EE10hipError_tT0_T1_T2_T3_mRjT4_P12ihipStream_tbNS1_7vsmem_tEEUlT_E_NS1_11comp_targetILNS1_3genE10ELNS1_11target_archE1201ELNS1_3gpuE5ELNS1_3repE0EEENS1_30default_config_static_selectorELNS0_4arch9wavefront6targetE0EEEvSM_.has_dyn_sized_stack, 0
	.set _ZN7rocprim17ROCPRIM_400000_NS6detail17trampoline_kernelINS0_14default_configENS1_37merge_sort_block_sort_config_selectorIlNS0_10empty_typeEEEZNS1_21merge_sort_block_sortIS3_PlS8_PS5_S9_ZN2at6native12_GLOBAL__N_124unique_dim_cuda_templateIfEESt5tupleIJNSA_6TensorESF_SF_EERKSF_lbbbEUlllE_EE10hipError_tT0_T1_T2_T3_mRjT4_P12ihipStream_tbNS1_7vsmem_tEEUlT_E_NS1_11comp_targetILNS1_3genE10ELNS1_11target_archE1201ELNS1_3gpuE5ELNS1_3repE0EEENS1_30default_config_static_selectorELNS0_4arch9wavefront6targetE0EEEvSM_.has_recursion, 0
	.set _ZN7rocprim17ROCPRIM_400000_NS6detail17trampoline_kernelINS0_14default_configENS1_37merge_sort_block_sort_config_selectorIlNS0_10empty_typeEEEZNS1_21merge_sort_block_sortIS3_PlS8_PS5_S9_ZN2at6native12_GLOBAL__N_124unique_dim_cuda_templateIfEESt5tupleIJNSA_6TensorESF_SF_EERKSF_lbbbEUlllE_EE10hipError_tT0_T1_T2_T3_mRjT4_P12ihipStream_tbNS1_7vsmem_tEEUlT_E_NS1_11comp_targetILNS1_3genE10ELNS1_11target_archE1201ELNS1_3gpuE5ELNS1_3repE0EEENS1_30default_config_static_selectorELNS0_4arch9wavefront6targetE0EEEvSM_.has_indirect_call, 0
	.section	.AMDGPU.csdata,"",@progbits
; Kernel info:
; codeLenInByte = 0
; TotalNumSgprs: 0
; NumVgprs: 0
; ScratchSize: 0
; MemoryBound: 0
; FloatMode: 240
; IeeeMode: 1
; LDSByteSize: 0 bytes/workgroup (compile time only)
; SGPRBlocks: 0
; VGPRBlocks: 0
; NumSGPRsForWavesPerEU: 1
; NumVGPRsForWavesPerEU: 1
; NamedBarCnt: 0
; Occupancy: 16
; WaveLimiterHint : 0
; COMPUTE_PGM_RSRC2:SCRATCH_EN: 0
; COMPUTE_PGM_RSRC2:USER_SGPR: 2
; COMPUTE_PGM_RSRC2:TRAP_HANDLER: 0
; COMPUTE_PGM_RSRC2:TGID_X_EN: 1
; COMPUTE_PGM_RSRC2:TGID_Y_EN: 0
; COMPUTE_PGM_RSRC2:TGID_Z_EN: 0
; COMPUTE_PGM_RSRC2:TIDIG_COMP_CNT: 0
	.section	.text._ZN7rocprim17ROCPRIM_400000_NS6detail17trampoline_kernelINS0_14default_configENS1_37merge_sort_block_sort_config_selectorIlNS0_10empty_typeEEEZNS1_21merge_sort_block_sortIS3_PlS8_PS5_S9_ZN2at6native12_GLOBAL__N_124unique_dim_cuda_templateIfEESt5tupleIJNSA_6TensorESF_SF_EERKSF_lbbbEUlllE_EE10hipError_tT0_T1_T2_T3_mRjT4_P12ihipStream_tbNS1_7vsmem_tEEUlT_E_NS1_11comp_targetILNS1_3genE10ELNS1_11target_archE1200ELNS1_3gpuE4ELNS1_3repE0EEENS1_30default_config_static_selectorELNS0_4arch9wavefront6targetE0EEEvSM_,"axG",@progbits,_ZN7rocprim17ROCPRIM_400000_NS6detail17trampoline_kernelINS0_14default_configENS1_37merge_sort_block_sort_config_selectorIlNS0_10empty_typeEEEZNS1_21merge_sort_block_sortIS3_PlS8_PS5_S9_ZN2at6native12_GLOBAL__N_124unique_dim_cuda_templateIfEESt5tupleIJNSA_6TensorESF_SF_EERKSF_lbbbEUlllE_EE10hipError_tT0_T1_T2_T3_mRjT4_P12ihipStream_tbNS1_7vsmem_tEEUlT_E_NS1_11comp_targetILNS1_3genE10ELNS1_11target_archE1200ELNS1_3gpuE4ELNS1_3repE0EEENS1_30default_config_static_selectorELNS0_4arch9wavefront6targetE0EEEvSM_,comdat
	.globl	_ZN7rocprim17ROCPRIM_400000_NS6detail17trampoline_kernelINS0_14default_configENS1_37merge_sort_block_sort_config_selectorIlNS0_10empty_typeEEEZNS1_21merge_sort_block_sortIS3_PlS8_PS5_S9_ZN2at6native12_GLOBAL__N_124unique_dim_cuda_templateIfEESt5tupleIJNSA_6TensorESF_SF_EERKSF_lbbbEUlllE_EE10hipError_tT0_T1_T2_T3_mRjT4_P12ihipStream_tbNS1_7vsmem_tEEUlT_E_NS1_11comp_targetILNS1_3genE10ELNS1_11target_archE1200ELNS1_3gpuE4ELNS1_3repE0EEENS1_30default_config_static_selectorELNS0_4arch9wavefront6targetE0EEEvSM_ ; -- Begin function _ZN7rocprim17ROCPRIM_400000_NS6detail17trampoline_kernelINS0_14default_configENS1_37merge_sort_block_sort_config_selectorIlNS0_10empty_typeEEEZNS1_21merge_sort_block_sortIS3_PlS8_PS5_S9_ZN2at6native12_GLOBAL__N_124unique_dim_cuda_templateIfEESt5tupleIJNSA_6TensorESF_SF_EERKSF_lbbbEUlllE_EE10hipError_tT0_T1_T2_T3_mRjT4_P12ihipStream_tbNS1_7vsmem_tEEUlT_E_NS1_11comp_targetILNS1_3genE10ELNS1_11target_archE1200ELNS1_3gpuE4ELNS1_3repE0EEENS1_30default_config_static_selectorELNS0_4arch9wavefront6targetE0EEEvSM_
	.p2align	8
	.type	_ZN7rocprim17ROCPRIM_400000_NS6detail17trampoline_kernelINS0_14default_configENS1_37merge_sort_block_sort_config_selectorIlNS0_10empty_typeEEEZNS1_21merge_sort_block_sortIS3_PlS8_PS5_S9_ZN2at6native12_GLOBAL__N_124unique_dim_cuda_templateIfEESt5tupleIJNSA_6TensorESF_SF_EERKSF_lbbbEUlllE_EE10hipError_tT0_T1_T2_T3_mRjT4_P12ihipStream_tbNS1_7vsmem_tEEUlT_E_NS1_11comp_targetILNS1_3genE10ELNS1_11target_archE1200ELNS1_3gpuE4ELNS1_3repE0EEENS1_30default_config_static_selectorELNS0_4arch9wavefront6targetE0EEEvSM_,@function
_ZN7rocprim17ROCPRIM_400000_NS6detail17trampoline_kernelINS0_14default_configENS1_37merge_sort_block_sort_config_selectorIlNS0_10empty_typeEEEZNS1_21merge_sort_block_sortIS3_PlS8_PS5_S9_ZN2at6native12_GLOBAL__N_124unique_dim_cuda_templateIfEESt5tupleIJNSA_6TensorESF_SF_EERKSF_lbbbEUlllE_EE10hipError_tT0_T1_T2_T3_mRjT4_P12ihipStream_tbNS1_7vsmem_tEEUlT_E_NS1_11comp_targetILNS1_3genE10ELNS1_11target_archE1200ELNS1_3gpuE4ELNS1_3repE0EEENS1_30default_config_static_selectorELNS0_4arch9wavefront6targetE0EEEvSM_: ; @_ZN7rocprim17ROCPRIM_400000_NS6detail17trampoline_kernelINS0_14default_configENS1_37merge_sort_block_sort_config_selectorIlNS0_10empty_typeEEEZNS1_21merge_sort_block_sortIS3_PlS8_PS5_S9_ZN2at6native12_GLOBAL__N_124unique_dim_cuda_templateIfEESt5tupleIJNSA_6TensorESF_SF_EERKSF_lbbbEUlllE_EE10hipError_tT0_T1_T2_T3_mRjT4_P12ihipStream_tbNS1_7vsmem_tEEUlT_E_NS1_11comp_targetILNS1_3genE10ELNS1_11target_archE1200ELNS1_3gpuE4ELNS1_3repE0EEENS1_30default_config_static_selectorELNS0_4arch9wavefront6targetE0EEEvSM_
; %bb.0:
	.section	.rodata,"a",@progbits
	.p2align	6, 0x0
	.amdhsa_kernel _ZN7rocprim17ROCPRIM_400000_NS6detail17trampoline_kernelINS0_14default_configENS1_37merge_sort_block_sort_config_selectorIlNS0_10empty_typeEEEZNS1_21merge_sort_block_sortIS3_PlS8_PS5_S9_ZN2at6native12_GLOBAL__N_124unique_dim_cuda_templateIfEESt5tupleIJNSA_6TensorESF_SF_EERKSF_lbbbEUlllE_EE10hipError_tT0_T1_T2_T3_mRjT4_P12ihipStream_tbNS1_7vsmem_tEEUlT_E_NS1_11comp_targetILNS1_3genE10ELNS1_11target_archE1200ELNS1_3gpuE4ELNS1_3repE0EEENS1_30default_config_static_selectorELNS0_4arch9wavefront6targetE0EEEvSM_
		.amdhsa_group_segment_fixed_size 0
		.amdhsa_private_segment_fixed_size 0
		.amdhsa_kernarg_size 72
		.amdhsa_user_sgpr_count 2
		.amdhsa_user_sgpr_dispatch_ptr 0
		.amdhsa_user_sgpr_queue_ptr 0
		.amdhsa_user_sgpr_kernarg_segment_ptr 1
		.amdhsa_user_sgpr_dispatch_id 0
		.amdhsa_user_sgpr_kernarg_preload_length 0
		.amdhsa_user_sgpr_kernarg_preload_offset 0
		.amdhsa_user_sgpr_private_segment_size 0
		.amdhsa_wavefront_size32 1
		.amdhsa_uses_dynamic_stack 0
		.amdhsa_enable_private_segment 0
		.amdhsa_system_sgpr_workgroup_id_x 1
		.amdhsa_system_sgpr_workgroup_id_y 0
		.amdhsa_system_sgpr_workgroup_id_z 0
		.amdhsa_system_sgpr_workgroup_info 0
		.amdhsa_system_vgpr_workitem_id 0
		.amdhsa_next_free_vgpr 1
		.amdhsa_next_free_sgpr 1
		.amdhsa_named_barrier_count 0
		.amdhsa_reserve_vcc 0
		.amdhsa_float_round_mode_32 0
		.amdhsa_float_round_mode_16_64 0
		.amdhsa_float_denorm_mode_32 3
		.amdhsa_float_denorm_mode_16_64 3
		.amdhsa_fp16_overflow 0
		.amdhsa_memory_ordered 1
		.amdhsa_forward_progress 1
		.amdhsa_inst_pref_size 0
		.amdhsa_round_robin_scheduling 0
		.amdhsa_exception_fp_ieee_invalid_op 0
		.amdhsa_exception_fp_denorm_src 0
		.amdhsa_exception_fp_ieee_div_zero 0
		.amdhsa_exception_fp_ieee_overflow 0
		.amdhsa_exception_fp_ieee_underflow 0
		.amdhsa_exception_fp_ieee_inexact 0
		.amdhsa_exception_int_div_zero 0
	.end_amdhsa_kernel
	.section	.text._ZN7rocprim17ROCPRIM_400000_NS6detail17trampoline_kernelINS0_14default_configENS1_37merge_sort_block_sort_config_selectorIlNS0_10empty_typeEEEZNS1_21merge_sort_block_sortIS3_PlS8_PS5_S9_ZN2at6native12_GLOBAL__N_124unique_dim_cuda_templateIfEESt5tupleIJNSA_6TensorESF_SF_EERKSF_lbbbEUlllE_EE10hipError_tT0_T1_T2_T3_mRjT4_P12ihipStream_tbNS1_7vsmem_tEEUlT_E_NS1_11comp_targetILNS1_3genE10ELNS1_11target_archE1200ELNS1_3gpuE4ELNS1_3repE0EEENS1_30default_config_static_selectorELNS0_4arch9wavefront6targetE0EEEvSM_,"axG",@progbits,_ZN7rocprim17ROCPRIM_400000_NS6detail17trampoline_kernelINS0_14default_configENS1_37merge_sort_block_sort_config_selectorIlNS0_10empty_typeEEEZNS1_21merge_sort_block_sortIS3_PlS8_PS5_S9_ZN2at6native12_GLOBAL__N_124unique_dim_cuda_templateIfEESt5tupleIJNSA_6TensorESF_SF_EERKSF_lbbbEUlllE_EE10hipError_tT0_T1_T2_T3_mRjT4_P12ihipStream_tbNS1_7vsmem_tEEUlT_E_NS1_11comp_targetILNS1_3genE10ELNS1_11target_archE1200ELNS1_3gpuE4ELNS1_3repE0EEENS1_30default_config_static_selectorELNS0_4arch9wavefront6targetE0EEEvSM_,comdat
.Lfunc_end877:
	.size	_ZN7rocprim17ROCPRIM_400000_NS6detail17trampoline_kernelINS0_14default_configENS1_37merge_sort_block_sort_config_selectorIlNS0_10empty_typeEEEZNS1_21merge_sort_block_sortIS3_PlS8_PS5_S9_ZN2at6native12_GLOBAL__N_124unique_dim_cuda_templateIfEESt5tupleIJNSA_6TensorESF_SF_EERKSF_lbbbEUlllE_EE10hipError_tT0_T1_T2_T3_mRjT4_P12ihipStream_tbNS1_7vsmem_tEEUlT_E_NS1_11comp_targetILNS1_3genE10ELNS1_11target_archE1200ELNS1_3gpuE4ELNS1_3repE0EEENS1_30default_config_static_selectorELNS0_4arch9wavefront6targetE0EEEvSM_, .Lfunc_end877-_ZN7rocprim17ROCPRIM_400000_NS6detail17trampoline_kernelINS0_14default_configENS1_37merge_sort_block_sort_config_selectorIlNS0_10empty_typeEEEZNS1_21merge_sort_block_sortIS3_PlS8_PS5_S9_ZN2at6native12_GLOBAL__N_124unique_dim_cuda_templateIfEESt5tupleIJNSA_6TensorESF_SF_EERKSF_lbbbEUlllE_EE10hipError_tT0_T1_T2_T3_mRjT4_P12ihipStream_tbNS1_7vsmem_tEEUlT_E_NS1_11comp_targetILNS1_3genE10ELNS1_11target_archE1200ELNS1_3gpuE4ELNS1_3repE0EEENS1_30default_config_static_selectorELNS0_4arch9wavefront6targetE0EEEvSM_
                                        ; -- End function
	.set _ZN7rocprim17ROCPRIM_400000_NS6detail17trampoline_kernelINS0_14default_configENS1_37merge_sort_block_sort_config_selectorIlNS0_10empty_typeEEEZNS1_21merge_sort_block_sortIS3_PlS8_PS5_S9_ZN2at6native12_GLOBAL__N_124unique_dim_cuda_templateIfEESt5tupleIJNSA_6TensorESF_SF_EERKSF_lbbbEUlllE_EE10hipError_tT0_T1_T2_T3_mRjT4_P12ihipStream_tbNS1_7vsmem_tEEUlT_E_NS1_11comp_targetILNS1_3genE10ELNS1_11target_archE1200ELNS1_3gpuE4ELNS1_3repE0EEENS1_30default_config_static_selectorELNS0_4arch9wavefront6targetE0EEEvSM_.num_vgpr, 0
	.set _ZN7rocprim17ROCPRIM_400000_NS6detail17trampoline_kernelINS0_14default_configENS1_37merge_sort_block_sort_config_selectorIlNS0_10empty_typeEEEZNS1_21merge_sort_block_sortIS3_PlS8_PS5_S9_ZN2at6native12_GLOBAL__N_124unique_dim_cuda_templateIfEESt5tupleIJNSA_6TensorESF_SF_EERKSF_lbbbEUlllE_EE10hipError_tT0_T1_T2_T3_mRjT4_P12ihipStream_tbNS1_7vsmem_tEEUlT_E_NS1_11comp_targetILNS1_3genE10ELNS1_11target_archE1200ELNS1_3gpuE4ELNS1_3repE0EEENS1_30default_config_static_selectorELNS0_4arch9wavefront6targetE0EEEvSM_.num_agpr, 0
	.set _ZN7rocprim17ROCPRIM_400000_NS6detail17trampoline_kernelINS0_14default_configENS1_37merge_sort_block_sort_config_selectorIlNS0_10empty_typeEEEZNS1_21merge_sort_block_sortIS3_PlS8_PS5_S9_ZN2at6native12_GLOBAL__N_124unique_dim_cuda_templateIfEESt5tupleIJNSA_6TensorESF_SF_EERKSF_lbbbEUlllE_EE10hipError_tT0_T1_T2_T3_mRjT4_P12ihipStream_tbNS1_7vsmem_tEEUlT_E_NS1_11comp_targetILNS1_3genE10ELNS1_11target_archE1200ELNS1_3gpuE4ELNS1_3repE0EEENS1_30default_config_static_selectorELNS0_4arch9wavefront6targetE0EEEvSM_.numbered_sgpr, 0
	.set _ZN7rocprim17ROCPRIM_400000_NS6detail17trampoline_kernelINS0_14default_configENS1_37merge_sort_block_sort_config_selectorIlNS0_10empty_typeEEEZNS1_21merge_sort_block_sortIS3_PlS8_PS5_S9_ZN2at6native12_GLOBAL__N_124unique_dim_cuda_templateIfEESt5tupleIJNSA_6TensorESF_SF_EERKSF_lbbbEUlllE_EE10hipError_tT0_T1_T2_T3_mRjT4_P12ihipStream_tbNS1_7vsmem_tEEUlT_E_NS1_11comp_targetILNS1_3genE10ELNS1_11target_archE1200ELNS1_3gpuE4ELNS1_3repE0EEENS1_30default_config_static_selectorELNS0_4arch9wavefront6targetE0EEEvSM_.num_named_barrier, 0
	.set _ZN7rocprim17ROCPRIM_400000_NS6detail17trampoline_kernelINS0_14default_configENS1_37merge_sort_block_sort_config_selectorIlNS0_10empty_typeEEEZNS1_21merge_sort_block_sortIS3_PlS8_PS5_S9_ZN2at6native12_GLOBAL__N_124unique_dim_cuda_templateIfEESt5tupleIJNSA_6TensorESF_SF_EERKSF_lbbbEUlllE_EE10hipError_tT0_T1_T2_T3_mRjT4_P12ihipStream_tbNS1_7vsmem_tEEUlT_E_NS1_11comp_targetILNS1_3genE10ELNS1_11target_archE1200ELNS1_3gpuE4ELNS1_3repE0EEENS1_30default_config_static_selectorELNS0_4arch9wavefront6targetE0EEEvSM_.private_seg_size, 0
	.set _ZN7rocprim17ROCPRIM_400000_NS6detail17trampoline_kernelINS0_14default_configENS1_37merge_sort_block_sort_config_selectorIlNS0_10empty_typeEEEZNS1_21merge_sort_block_sortIS3_PlS8_PS5_S9_ZN2at6native12_GLOBAL__N_124unique_dim_cuda_templateIfEESt5tupleIJNSA_6TensorESF_SF_EERKSF_lbbbEUlllE_EE10hipError_tT0_T1_T2_T3_mRjT4_P12ihipStream_tbNS1_7vsmem_tEEUlT_E_NS1_11comp_targetILNS1_3genE10ELNS1_11target_archE1200ELNS1_3gpuE4ELNS1_3repE0EEENS1_30default_config_static_selectorELNS0_4arch9wavefront6targetE0EEEvSM_.uses_vcc, 0
	.set _ZN7rocprim17ROCPRIM_400000_NS6detail17trampoline_kernelINS0_14default_configENS1_37merge_sort_block_sort_config_selectorIlNS0_10empty_typeEEEZNS1_21merge_sort_block_sortIS3_PlS8_PS5_S9_ZN2at6native12_GLOBAL__N_124unique_dim_cuda_templateIfEESt5tupleIJNSA_6TensorESF_SF_EERKSF_lbbbEUlllE_EE10hipError_tT0_T1_T2_T3_mRjT4_P12ihipStream_tbNS1_7vsmem_tEEUlT_E_NS1_11comp_targetILNS1_3genE10ELNS1_11target_archE1200ELNS1_3gpuE4ELNS1_3repE0EEENS1_30default_config_static_selectorELNS0_4arch9wavefront6targetE0EEEvSM_.uses_flat_scratch, 0
	.set _ZN7rocprim17ROCPRIM_400000_NS6detail17trampoline_kernelINS0_14default_configENS1_37merge_sort_block_sort_config_selectorIlNS0_10empty_typeEEEZNS1_21merge_sort_block_sortIS3_PlS8_PS5_S9_ZN2at6native12_GLOBAL__N_124unique_dim_cuda_templateIfEESt5tupleIJNSA_6TensorESF_SF_EERKSF_lbbbEUlllE_EE10hipError_tT0_T1_T2_T3_mRjT4_P12ihipStream_tbNS1_7vsmem_tEEUlT_E_NS1_11comp_targetILNS1_3genE10ELNS1_11target_archE1200ELNS1_3gpuE4ELNS1_3repE0EEENS1_30default_config_static_selectorELNS0_4arch9wavefront6targetE0EEEvSM_.has_dyn_sized_stack, 0
	.set _ZN7rocprim17ROCPRIM_400000_NS6detail17trampoline_kernelINS0_14default_configENS1_37merge_sort_block_sort_config_selectorIlNS0_10empty_typeEEEZNS1_21merge_sort_block_sortIS3_PlS8_PS5_S9_ZN2at6native12_GLOBAL__N_124unique_dim_cuda_templateIfEESt5tupleIJNSA_6TensorESF_SF_EERKSF_lbbbEUlllE_EE10hipError_tT0_T1_T2_T3_mRjT4_P12ihipStream_tbNS1_7vsmem_tEEUlT_E_NS1_11comp_targetILNS1_3genE10ELNS1_11target_archE1200ELNS1_3gpuE4ELNS1_3repE0EEENS1_30default_config_static_selectorELNS0_4arch9wavefront6targetE0EEEvSM_.has_recursion, 0
	.set _ZN7rocprim17ROCPRIM_400000_NS6detail17trampoline_kernelINS0_14default_configENS1_37merge_sort_block_sort_config_selectorIlNS0_10empty_typeEEEZNS1_21merge_sort_block_sortIS3_PlS8_PS5_S9_ZN2at6native12_GLOBAL__N_124unique_dim_cuda_templateIfEESt5tupleIJNSA_6TensorESF_SF_EERKSF_lbbbEUlllE_EE10hipError_tT0_T1_T2_T3_mRjT4_P12ihipStream_tbNS1_7vsmem_tEEUlT_E_NS1_11comp_targetILNS1_3genE10ELNS1_11target_archE1200ELNS1_3gpuE4ELNS1_3repE0EEENS1_30default_config_static_selectorELNS0_4arch9wavefront6targetE0EEEvSM_.has_indirect_call, 0
	.section	.AMDGPU.csdata,"",@progbits
; Kernel info:
; codeLenInByte = 0
; TotalNumSgprs: 0
; NumVgprs: 0
; ScratchSize: 0
; MemoryBound: 0
; FloatMode: 240
; IeeeMode: 1
; LDSByteSize: 0 bytes/workgroup (compile time only)
; SGPRBlocks: 0
; VGPRBlocks: 0
; NumSGPRsForWavesPerEU: 1
; NumVGPRsForWavesPerEU: 1
; NamedBarCnt: 0
; Occupancy: 16
; WaveLimiterHint : 0
; COMPUTE_PGM_RSRC2:SCRATCH_EN: 0
; COMPUTE_PGM_RSRC2:USER_SGPR: 2
; COMPUTE_PGM_RSRC2:TRAP_HANDLER: 0
; COMPUTE_PGM_RSRC2:TGID_X_EN: 1
; COMPUTE_PGM_RSRC2:TGID_Y_EN: 0
; COMPUTE_PGM_RSRC2:TGID_Z_EN: 0
; COMPUTE_PGM_RSRC2:TIDIG_COMP_CNT: 0
	.section	.text._ZN7rocprim17ROCPRIM_400000_NS6detail17trampoline_kernelINS0_14default_configENS1_37merge_sort_block_sort_config_selectorIlNS0_10empty_typeEEEZNS1_21merge_sort_block_sortIS3_PlS8_PS5_S9_ZN2at6native12_GLOBAL__N_124unique_dim_cuda_templateIfEESt5tupleIJNSA_6TensorESF_SF_EERKSF_lbbbEUlllE_EE10hipError_tT0_T1_T2_T3_mRjT4_P12ihipStream_tbNS1_7vsmem_tEEUlT_E_NS1_11comp_targetILNS1_3genE9ELNS1_11target_archE1100ELNS1_3gpuE3ELNS1_3repE0EEENS1_30default_config_static_selectorELNS0_4arch9wavefront6targetE0EEEvSM_,"axG",@progbits,_ZN7rocprim17ROCPRIM_400000_NS6detail17trampoline_kernelINS0_14default_configENS1_37merge_sort_block_sort_config_selectorIlNS0_10empty_typeEEEZNS1_21merge_sort_block_sortIS3_PlS8_PS5_S9_ZN2at6native12_GLOBAL__N_124unique_dim_cuda_templateIfEESt5tupleIJNSA_6TensorESF_SF_EERKSF_lbbbEUlllE_EE10hipError_tT0_T1_T2_T3_mRjT4_P12ihipStream_tbNS1_7vsmem_tEEUlT_E_NS1_11comp_targetILNS1_3genE9ELNS1_11target_archE1100ELNS1_3gpuE3ELNS1_3repE0EEENS1_30default_config_static_selectorELNS0_4arch9wavefront6targetE0EEEvSM_,comdat
	.globl	_ZN7rocprim17ROCPRIM_400000_NS6detail17trampoline_kernelINS0_14default_configENS1_37merge_sort_block_sort_config_selectorIlNS0_10empty_typeEEEZNS1_21merge_sort_block_sortIS3_PlS8_PS5_S9_ZN2at6native12_GLOBAL__N_124unique_dim_cuda_templateIfEESt5tupleIJNSA_6TensorESF_SF_EERKSF_lbbbEUlllE_EE10hipError_tT0_T1_T2_T3_mRjT4_P12ihipStream_tbNS1_7vsmem_tEEUlT_E_NS1_11comp_targetILNS1_3genE9ELNS1_11target_archE1100ELNS1_3gpuE3ELNS1_3repE0EEENS1_30default_config_static_selectorELNS0_4arch9wavefront6targetE0EEEvSM_ ; -- Begin function _ZN7rocprim17ROCPRIM_400000_NS6detail17trampoline_kernelINS0_14default_configENS1_37merge_sort_block_sort_config_selectorIlNS0_10empty_typeEEEZNS1_21merge_sort_block_sortIS3_PlS8_PS5_S9_ZN2at6native12_GLOBAL__N_124unique_dim_cuda_templateIfEESt5tupleIJNSA_6TensorESF_SF_EERKSF_lbbbEUlllE_EE10hipError_tT0_T1_T2_T3_mRjT4_P12ihipStream_tbNS1_7vsmem_tEEUlT_E_NS1_11comp_targetILNS1_3genE9ELNS1_11target_archE1100ELNS1_3gpuE3ELNS1_3repE0EEENS1_30default_config_static_selectorELNS0_4arch9wavefront6targetE0EEEvSM_
	.p2align	8
	.type	_ZN7rocprim17ROCPRIM_400000_NS6detail17trampoline_kernelINS0_14default_configENS1_37merge_sort_block_sort_config_selectorIlNS0_10empty_typeEEEZNS1_21merge_sort_block_sortIS3_PlS8_PS5_S9_ZN2at6native12_GLOBAL__N_124unique_dim_cuda_templateIfEESt5tupleIJNSA_6TensorESF_SF_EERKSF_lbbbEUlllE_EE10hipError_tT0_T1_T2_T3_mRjT4_P12ihipStream_tbNS1_7vsmem_tEEUlT_E_NS1_11comp_targetILNS1_3genE9ELNS1_11target_archE1100ELNS1_3gpuE3ELNS1_3repE0EEENS1_30default_config_static_selectorELNS0_4arch9wavefront6targetE0EEEvSM_,@function
_ZN7rocprim17ROCPRIM_400000_NS6detail17trampoline_kernelINS0_14default_configENS1_37merge_sort_block_sort_config_selectorIlNS0_10empty_typeEEEZNS1_21merge_sort_block_sortIS3_PlS8_PS5_S9_ZN2at6native12_GLOBAL__N_124unique_dim_cuda_templateIfEESt5tupleIJNSA_6TensorESF_SF_EERKSF_lbbbEUlllE_EE10hipError_tT0_T1_T2_T3_mRjT4_P12ihipStream_tbNS1_7vsmem_tEEUlT_E_NS1_11comp_targetILNS1_3genE9ELNS1_11target_archE1100ELNS1_3gpuE3ELNS1_3repE0EEENS1_30default_config_static_selectorELNS0_4arch9wavefront6targetE0EEEvSM_: ; @_ZN7rocprim17ROCPRIM_400000_NS6detail17trampoline_kernelINS0_14default_configENS1_37merge_sort_block_sort_config_selectorIlNS0_10empty_typeEEEZNS1_21merge_sort_block_sortIS3_PlS8_PS5_S9_ZN2at6native12_GLOBAL__N_124unique_dim_cuda_templateIfEESt5tupleIJNSA_6TensorESF_SF_EERKSF_lbbbEUlllE_EE10hipError_tT0_T1_T2_T3_mRjT4_P12ihipStream_tbNS1_7vsmem_tEEUlT_E_NS1_11comp_targetILNS1_3genE9ELNS1_11target_archE1100ELNS1_3gpuE3ELNS1_3repE0EEENS1_30default_config_static_selectorELNS0_4arch9wavefront6targetE0EEEvSM_
; %bb.0:
	.section	.rodata,"a",@progbits
	.p2align	6, 0x0
	.amdhsa_kernel _ZN7rocprim17ROCPRIM_400000_NS6detail17trampoline_kernelINS0_14default_configENS1_37merge_sort_block_sort_config_selectorIlNS0_10empty_typeEEEZNS1_21merge_sort_block_sortIS3_PlS8_PS5_S9_ZN2at6native12_GLOBAL__N_124unique_dim_cuda_templateIfEESt5tupleIJNSA_6TensorESF_SF_EERKSF_lbbbEUlllE_EE10hipError_tT0_T1_T2_T3_mRjT4_P12ihipStream_tbNS1_7vsmem_tEEUlT_E_NS1_11comp_targetILNS1_3genE9ELNS1_11target_archE1100ELNS1_3gpuE3ELNS1_3repE0EEENS1_30default_config_static_selectorELNS0_4arch9wavefront6targetE0EEEvSM_
		.amdhsa_group_segment_fixed_size 0
		.amdhsa_private_segment_fixed_size 0
		.amdhsa_kernarg_size 72
		.amdhsa_user_sgpr_count 2
		.amdhsa_user_sgpr_dispatch_ptr 0
		.amdhsa_user_sgpr_queue_ptr 0
		.amdhsa_user_sgpr_kernarg_segment_ptr 1
		.amdhsa_user_sgpr_dispatch_id 0
		.amdhsa_user_sgpr_kernarg_preload_length 0
		.amdhsa_user_sgpr_kernarg_preload_offset 0
		.amdhsa_user_sgpr_private_segment_size 0
		.amdhsa_wavefront_size32 1
		.amdhsa_uses_dynamic_stack 0
		.amdhsa_enable_private_segment 0
		.amdhsa_system_sgpr_workgroup_id_x 1
		.amdhsa_system_sgpr_workgroup_id_y 0
		.amdhsa_system_sgpr_workgroup_id_z 0
		.amdhsa_system_sgpr_workgroup_info 0
		.amdhsa_system_vgpr_workitem_id 0
		.amdhsa_next_free_vgpr 1
		.amdhsa_next_free_sgpr 1
		.amdhsa_named_barrier_count 0
		.amdhsa_reserve_vcc 0
		.amdhsa_float_round_mode_32 0
		.amdhsa_float_round_mode_16_64 0
		.amdhsa_float_denorm_mode_32 3
		.amdhsa_float_denorm_mode_16_64 3
		.amdhsa_fp16_overflow 0
		.amdhsa_memory_ordered 1
		.amdhsa_forward_progress 1
		.amdhsa_inst_pref_size 0
		.amdhsa_round_robin_scheduling 0
		.amdhsa_exception_fp_ieee_invalid_op 0
		.amdhsa_exception_fp_denorm_src 0
		.amdhsa_exception_fp_ieee_div_zero 0
		.amdhsa_exception_fp_ieee_overflow 0
		.amdhsa_exception_fp_ieee_underflow 0
		.amdhsa_exception_fp_ieee_inexact 0
		.amdhsa_exception_int_div_zero 0
	.end_amdhsa_kernel
	.section	.text._ZN7rocprim17ROCPRIM_400000_NS6detail17trampoline_kernelINS0_14default_configENS1_37merge_sort_block_sort_config_selectorIlNS0_10empty_typeEEEZNS1_21merge_sort_block_sortIS3_PlS8_PS5_S9_ZN2at6native12_GLOBAL__N_124unique_dim_cuda_templateIfEESt5tupleIJNSA_6TensorESF_SF_EERKSF_lbbbEUlllE_EE10hipError_tT0_T1_T2_T3_mRjT4_P12ihipStream_tbNS1_7vsmem_tEEUlT_E_NS1_11comp_targetILNS1_3genE9ELNS1_11target_archE1100ELNS1_3gpuE3ELNS1_3repE0EEENS1_30default_config_static_selectorELNS0_4arch9wavefront6targetE0EEEvSM_,"axG",@progbits,_ZN7rocprim17ROCPRIM_400000_NS6detail17trampoline_kernelINS0_14default_configENS1_37merge_sort_block_sort_config_selectorIlNS0_10empty_typeEEEZNS1_21merge_sort_block_sortIS3_PlS8_PS5_S9_ZN2at6native12_GLOBAL__N_124unique_dim_cuda_templateIfEESt5tupleIJNSA_6TensorESF_SF_EERKSF_lbbbEUlllE_EE10hipError_tT0_T1_T2_T3_mRjT4_P12ihipStream_tbNS1_7vsmem_tEEUlT_E_NS1_11comp_targetILNS1_3genE9ELNS1_11target_archE1100ELNS1_3gpuE3ELNS1_3repE0EEENS1_30default_config_static_selectorELNS0_4arch9wavefront6targetE0EEEvSM_,comdat
.Lfunc_end878:
	.size	_ZN7rocprim17ROCPRIM_400000_NS6detail17trampoline_kernelINS0_14default_configENS1_37merge_sort_block_sort_config_selectorIlNS0_10empty_typeEEEZNS1_21merge_sort_block_sortIS3_PlS8_PS5_S9_ZN2at6native12_GLOBAL__N_124unique_dim_cuda_templateIfEESt5tupleIJNSA_6TensorESF_SF_EERKSF_lbbbEUlllE_EE10hipError_tT0_T1_T2_T3_mRjT4_P12ihipStream_tbNS1_7vsmem_tEEUlT_E_NS1_11comp_targetILNS1_3genE9ELNS1_11target_archE1100ELNS1_3gpuE3ELNS1_3repE0EEENS1_30default_config_static_selectorELNS0_4arch9wavefront6targetE0EEEvSM_, .Lfunc_end878-_ZN7rocprim17ROCPRIM_400000_NS6detail17trampoline_kernelINS0_14default_configENS1_37merge_sort_block_sort_config_selectorIlNS0_10empty_typeEEEZNS1_21merge_sort_block_sortIS3_PlS8_PS5_S9_ZN2at6native12_GLOBAL__N_124unique_dim_cuda_templateIfEESt5tupleIJNSA_6TensorESF_SF_EERKSF_lbbbEUlllE_EE10hipError_tT0_T1_T2_T3_mRjT4_P12ihipStream_tbNS1_7vsmem_tEEUlT_E_NS1_11comp_targetILNS1_3genE9ELNS1_11target_archE1100ELNS1_3gpuE3ELNS1_3repE0EEENS1_30default_config_static_selectorELNS0_4arch9wavefront6targetE0EEEvSM_
                                        ; -- End function
	.set _ZN7rocprim17ROCPRIM_400000_NS6detail17trampoline_kernelINS0_14default_configENS1_37merge_sort_block_sort_config_selectorIlNS0_10empty_typeEEEZNS1_21merge_sort_block_sortIS3_PlS8_PS5_S9_ZN2at6native12_GLOBAL__N_124unique_dim_cuda_templateIfEESt5tupleIJNSA_6TensorESF_SF_EERKSF_lbbbEUlllE_EE10hipError_tT0_T1_T2_T3_mRjT4_P12ihipStream_tbNS1_7vsmem_tEEUlT_E_NS1_11comp_targetILNS1_3genE9ELNS1_11target_archE1100ELNS1_3gpuE3ELNS1_3repE0EEENS1_30default_config_static_selectorELNS0_4arch9wavefront6targetE0EEEvSM_.num_vgpr, 0
	.set _ZN7rocprim17ROCPRIM_400000_NS6detail17trampoline_kernelINS0_14default_configENS1_37merge_sort_block_sort_config_selectorIlNS0_10empty_typeEEEZNS1_21merge_sort_block_sortIS3_PlS8_PS5_S9_ZN2at6native12_GLOBAL__N_124unique_dim_cuda_templateIfEESt5tupleIJNSA_6TensorESF_SF_EERKSF_lbbbEUlllE_EE10hipError_tT0_T1_T2_T3_mRjT4_P12ihipStream_tbNS1_7vsmem_tEEUlT_E_NS1_11comp_targetILNS1_3genE9ELNS1_11target_archE1100ELNS1_3gpuE3ELNS1_3repE0EEENS1_30default_config_static_selectorELNS0_4arch9wavefront6targetE0EEEvSM_.num_agpr, 0
	.set _ZN7rocprim17ROCPRIM_400000_NS6detail17trampoline_kernelINS0_14default_configENS1_37merge_sort_block_sort_config_selectorIlNS0_10empty_typeEEEZNS1_21merge_sort_block_sortIS3_PlS8_PS5_S9_ZN2at6native12_GLOBAL__N_124unique_dim_cuda_templateIfEESt5tupleIJNSA_6TensorESF_SF_EERKSF_lbbbEUlllE_EE10hipError_tT0_T1_T2_T3_mRjT4_P12ihipStream_tbNS1_7vsmem_tEEUlT_E_NS1_11comp_targetILNS1_3genE9ELNS1_11target_archE1100ELNS1_3gpuE3ELNS1_3repE0EEENS1_30default_config_static_selectorELNS0_4arch9wavefront6targetE0EEEvSM_.numbered_sgpr, 0
	.set _ZN7rocprim17ROCPRIM_400000_NS6detail17trampoline_kernelINS0_14default_configENS1_37merge_sort_block_sort_config_selectorIlNS0_10empty_typeEEEZNS1_21merge_sort_block_sortIS3_PlS8_PS5_S9_ZN2at6native12_GLOBAL__N_124unique_dim_cuda_templateIfEESt5tupleIJNSA_6TensorESF_SF_EERKSF_lbbbEUlllE_EE10hipError_tT0_T1_T2_T3_mRjT4_P12ihipStream_tbNS1_7vsmem_tEEUlT_E_NS1_11comp_targetILNS1_3genE9ELNS1_11target_archE1100ELNS1_3gpuE3ELNS1_3repE0EEENS1_30default_config_static_selectorELNS0_4arch9wavefront6targetE0EEEvSM_.num_named_barrier, 0
	.set _ZN7rocprim17ROCPRIM_400000_NS6detail17trampoline_kernelINS0_14default_configENS1_37merge_sort_block_sort_config_selectorIlNS0_10empty_typeEEEZNS1_21merge_sort_block_sortIS3_PlS8_PS5_S9_ZN2at6native12_GLOBAL__N_124unique_dim_cuda_templateIfEESt5tupleIJNSA_6TensorESF_SF_EERKSF_lbbbEUlllE_EE10hipError_tT0_T1_T2_T3_mRjT4_P12ihipStream_tbNS1_7vsmem_tEEUlT_E_NS1_11comp_targetILNS1_3genE9ELNS1_11target_archE1100ELNS1_3gpuE3ELNS1_3repE0EEENS1_30default_config_static_selectorELNS0_4arch9wavefront6targetE0EEEvSM_.private_seg_size, 0
	.set _ZN7rocprim17ROCPRIM_400000_NS6detail17trampoline_kernelINS0_14default_configENS1_37merge_sort_block_sort_config_selectorIlNS0_10empty_typeEEEZNS1_21merge_sort_block_sortIS3_PlS8_PS5_S9_ZN2at6native12_GLOBAL__N_124unique_dim_cuda_templateIfEESt5tupleIJNSA_6TensorESF_SF_EERKSF_lbbbEUlllE_EE10hipError_tT0_T1_T2_T3_mRjT4_P12ihipStream_tbNS1_7vsmem_tEEUlT_E_NS1_11comp_targetILNS1_3genE9ELNS1_11target_archE1100ELNS1_3gpuE3ELNS1_3repE0EEENS1_30default_config_static_selectorELNS0_4arch9wavefront6targetE0EEEvSM_.uses_vcc, 0
	.set _ZN7rocprim17ROCPRIM_400000_NS6detail17trampoline_kernelINS0_14default_configENS1_37merge_sort_block_sort_config_selectorIlNS0_10empty_typeEEEZNS1_21merge_sort_block_sortIS3_PlS8_PS5_S9_ZN2at6native12_GLOBAL__N_124unique_dim_cuda_templateIfEESt5tupleIJNSA_6TensorESF_SF_EERKSF_lbbbEUlllE_EE10hipError_tT0_T1_T2_T3_mRjT4_P12ihipStream_tbNS1_7vsmem_tEEUlT_E_NS1_11comp_targetILNS1_3genE9ELNS1_11target_archE1100ELNS1_3gpuE3ELNS1_3repE0EEENS1_30default_config_static_selectorELNS0_4arch9wavefront6targetE0EEEvSM_.uses_flat_scratch, 0
	.set _ZN7rocprim17ROCPRIM_400000_NS6detail17trampoline_kernelINS0_14default_configENS1_37merge_sort_block_sort_config_selectorIlNS0_10empty_typeEEEZNS1_21merge_sort_block_sortIS3_PlS8_PS5_S9_ZN2at6native12_GLOBAL__N_124unique_dim_cuda_templateIfEESt5tupleIJNSA_6TensorESF_SF_EERKSF_lbbbEUlllE_EE10hipError_tT0_T1_T2_T3_mRjT4_P12ihipStream_tbNS1_7vsmem_tEEUlT_E_NS1_11comp_targetILNS1_3genE9ELNS1_11target_archE1100ELNS1_3gpuE3ELNS1_3repE0EEENS1_30default_config_static_selectorELNS0_4arch9wavefront6targetE0EEEvSM_.has_dyn_sized_stack, 0
	.set _ZN7rocprim17ROCPRIM_400000_NS6detail17trampoline_kernelINS0_14default_configENS1_37merge_sort_block_sort_config_selectorIlNS0_10empty_typeEEEZNS1_21merge_sort_block_sortIS3_PlS8_PS5_S9_ZN2at6native12_GLOBAL__N_124unique_dim_cuda_templateIfEESt5tupleIJNSA_6TensorESF_SF_EERKSF_lbbbEUlllE_EE10hipError_tT0_T1_T2_T3_mRjT4_P12ihipStream_tbNS1_7vsmem_tEEUlT_E_NS1_11comp_targetILNS1_3genE9ELNS1_11target_archE1100ELNS1_3gpuE3ELNS1_3repE0EEENS1_30default_config_static_selectorELNS0_4arch9wavefront6targetE0EEEvSM_.has_recursion, 0
	.set _ZN7rocprim17ROCPRIM_400000_NS6detail17trampoline_kernelINS0_14default_configENS1_37merge_sort_block_sort_config_selectorIlNS0_10empty_typeEEEZNS1_21merge_sort_block_sortIS3_PlS8_PS5_S9_ZN2at6native12_GLOBAL__N_124unique_dim_cuda_templateIfEESt5tupleIJNSA_6TensorESF_SF_EERKSF_lbbbEUlllE_EE10hipError_tT0_T1_T2_T3_mRjT4_P12ihipStream_tbNS1_7vsmem_tEEUlT_E_NS1_11comp_targetILNS1_3genE9ELNS1_11target_archE1100ELNS1_3gpuE3ELNS1_3repE0EEENS1_30default_config_static_selectorELNS0_4arch9wavefront6targetE0EEEvSM_.has_indirect_call, 0
	.section	.AMDGPU.csdata,"",@progbits
; Kernel info:
; codeLenInByte = 0
; TotalNumSgprs: 0
; NumVgprs: 0
; ScratchSize: 0
; MemoryBound: 0
; FloatMode: 240
; IeeeMode: 1
; LDSByteSize: 0 bytes/workgroup (compile time only)
; SGPRBlocks: 0
; VGPRBlocks: 0
; NumSGPRsForWavesPerEU: 1
; NumVGPRsForWavesPerEU: 1
; NamedBarCnt: 0
; Occupancy: 16
; WaveLimiterHint : 0
; COMPUTE_PGM_RSRC2:SCRATCH_EN: 0
; COMPUTE_PGM_RSRC2:USER_SGPR: 2
; COMPUTE_PGM_RSRC2:TRAP_HANDLER: 0
; COMPUTE_PGM_RSRC2:TGID_X_EN: 1
; COMPUTE_PGM_RSRC2:TGID_Y_EN: 0
; COMPUTE_PGM_RSRC2:TGID_Z_EN: 0
; COMPUTE_PGM_RSRC2:TIDIG_COMP_CNT: 0
	.section	.text._ZN7rocprim17ROCPRIM_400000_NS6detail17trampoline_kernelINS0_14default_configENS1_37merge_sort_block_sort_config_selectorIlNS0_10empty_typeEEEZNS1_21merge_sort_block_sortIS3_PlS8_PS5_S9_ZN2at6native12_GLOBAL__N_124unique_dim_cuda_templateIfEESt5tupleIJNSA_6TensorESF_SF_EERKSF_lbbbEUlllE_EE10hipError_tT0_T1_T2_T3_mRjT4_P12ihipStream_tbNS1_7vsmem_tEEUlT_E_NS1_11comp_targetILNS1_3genE8ELNS1_11target_archE1030ELNS1_3gpuE2ELNS1_3repE0EEENS1_30default_config_static_selectorELNS0_4arch9wavefront6targetE0EEEvSM_,"axG",@progbits,_ZN7rocprim17ROCPRIM_400000_NS6detail17trampoline_kernelINS0_14default_configENS1_37merge_sort_block_sort_config_selectorIlNS0_10empty_typeEEEZNS1_21merge_sort_block_sortIS3_PlS8_PS5_S9_ZN2at6native12_GLOBAL__N_124unique_dim_cuda_templateIfEESt5tupleIJNSA_6TensorESF_SF_EERKSF_lbbbEUlllE_EE10hipError_tT0_T1_T2_T3_mRjT4_P12ihipStream_tbNS1_7vsmem_tEEUlT_E_NS1_11comp_targetILNS1_3genE8ELNS1_11target_archE1030ELNS1_3gpuE2ELNS1_3repE0EEENS1_30default_config_static_selectorELNS0_4arch9wavefront6targetE0EEEvSM_,comdat
	.globl	_ZN7rocprim17ROCPRIM_400000_NS6detail17trampoline_kernelINS0_14default_configENS1_37merge_sort_block_sort_config_selectorIlNS0_10empty_typeEEEZNS1_21merge_sort_block_sortIS3_PlS8_PS5_S9_ZN2at6native12_GLOBAL__N_124unique_dim_cuda_templateIfEESt5tupleIJNSA_6TensorESF_SF_EERKSF_lbbbEUlllE_EE10hipError_tT0_T1_T2_T3_mRjT4_P12ihipStream_tbNS1_7vsmem_tEEUlT_E_NS1_11comp_targetILNS1_3genE8ELNS1_11target_archE1030ELNS1_3gpuE2ELNS1_3repE0EEENS1_30default_config_static_selectorELNS0_4arch9wavefront6targetE0EEEvSM_ ; -- Begin function _ZN7rocprim17ROCPRIM_400000_NS6detail17trampoline_kernelINS0_14default_configENS1_37merge_sort_block_sort_config_selectorIlNS0_10empty_typeEEEZNS1_21merge_sort_block_sortIS3_PlS8_PS5_S9_ZN2at6native12_GLOBAL__N_124unique_dim_cuda_templateIfEESt5tupleIJNSA_6TensorESF_SF_EERKSF_lbbbEUlllE_EE10hipError_tT0_T1_T2_T3_mRjT4_P12ihipStream_tbNS1_7vsmem_tEEUlT_E_NS1_11comp_targetILNS1_3genE8ELNS1_11target_archE1030ELNS1_3gpuE2ELNS1_3repE0EEENS1_30default_config_static_selectorELNS0_4arch9wavefront6targetE0EEEvSM_
	.p2align	8
	.type	_ZN7rocprim17ROCPRIM_400000_NS6detail17trampoline_kernelINS0_14default_configENS1_37merge_sort_block_sort_config_selectorIlNS0_10empty_typeEEEZNS1_21merge_sort_block_sortIS3_PlS8_PS5_S9_ZN2at6native12_GLOBAL__N_124unique_dim_cuda_templateIfEESt5tupleIJNSA_6TensorESF_SF_EERKSF_lbbbEUlllE_EE10hipError_tT0_T1_T2_T3_mRjT4_P12ihipStream_tbNS1_7vsmem_tEEUlT_E_NS1_11comp_targetILNS1_3genE8ELNS1_11target_archE1030ELNS1_3gpuE2ELNS1_3repE0EEENS1_30default_config_static_selectorELNS0_4arch9wavefront6targetE0EEEvSM_,@function
_ZN7rocprim17ROCPRIM_400000_NS6detail17trampoline_kernelINS0_14default_configENS1_37merge_sort_block_sort_config_selectorIlNS0_10empty_typeEEEZNS1_21merge_sort_block_sortIS3_PlS8_PS5_S9_ZN2at6native12_GLOBAL__N_124unique_dim_cuda_templateIfEESt5tupleIJNSA_6TensorESF_SF_EERKSF_lbbbEUlllE_EE10hipError_tT0_T1_T2_T3_mRjT4_P12ihipStream_tbNS1_7vsmem_tEEUlT_E_NS1_11comp_targetILNS1_3genE8ELNS1_11target_archE1030ELNS1_3gpuE2ELNS1_3repE0EEENS1_30default_config_static_selectorELNS0_4arch9wavefront6targetE0EEEvSM_: ; @_ZN7rocprim17ROCPRIM_400000_NS6detail17trampoline_kernelINS0_14default_configENS1_37merge_sort_block_sort_config_selectorIlNS0_10empty_typeEEEZNS1_21merge_sort_block_sortIS3_PlS8_PS5_S9_ZN2at6native12_GLOBAL__N_124unique_dim_cuda_templateIfEESt5tupleIJNSA_6TensorESF_SF_EERKSF_lbbbEUlllE_EE10hipError_tT0_T1_T2_T3_mRjT4_P12ihipStream_tbNS1_7vsmem_tEEUlT_E_NS1_11comp_targetILNS1_3genE8ELNS1_11target_archE1030ELNS1_3gpuE2ELNS1_3repE0EEENS1_30default_config_static_selectorELNS0_4arch9wavefront6targetE0EEEvSM_
; %bb.0:
	.section	.rodata,"a",@progbits
	.p2align	6, 0x0
	.amdhsa_kernel _ZN7rocprim17ROCPRIM_400000_NS6detail17trampoline_kernelINS0_14default_configENS1_37merge_sort_block_sort_config_selectorIlNS0_10empty_typeEEEZNS1_21merge_sort_block_sortIS3_PlS8_PS5_S9_ZN2at6native12_GLOBAL__N_124unique_dim_cuda_templateIfEESt5tupleIJNSA_6TensorESF_SF_EERKSF_lbbbEUlllE_EE10hipError_tT0_T1_T2_T3_mRjT4_P12ihipStream_tbNS1_7vsmem_tEEUlT_E_NS1_11comp_targetILNS1_3genE8ELNS1_11target_archE1030ELNS1_3gpuE2ELNS1_3repE0EEENS1_30default_config_static_selectorELNS0_4arch9wavefront6targetE0EEEvSM_
		.amdhsa_group_segment_fixed_size 0
		.amdhsa_private_segment_fixed_size 0
		.amdhsa_kernarg_size 72
		.amdhsa_user_sgpr_count 2
		.amdhsa_user_sgpr_dispatch_ptr 0
		.amdhsa_user_sgpr_queue_ptr 0
		.amdhsa_user_sgpr_kernarg_segment_ptr 1
		.amdhsa_user_sgpr_dispatch_id 0
		.amdhsa_user_sgpr_kernarg_preload_length 0
		.amdhsa_user_sgpr_kernarg_preload_offset 0
		.amdhsa_user_sgpr_private_segment_size 0
		.amdhsa_wavefront_size32 1
		.amdhsa_uses_dynamic_stack 0
		.amdhsa_enable_private_segment 0
		.amdhsa_system_sgpr_workgroup_id_x 1
		.amdhsa_system_sgpr_workgroup_id_y 0
		.amdhsa_system_sgpr_workgroup_id_z 0
		.amdhsa_system_sgpr_workgroup_info 0
		.amdhsa_system_vgpr_workitem_id 0
		.amdhsa_next_free_vgpr 1
		.amdhsa_next_free_sgpr 1
		.amdhsa_named_barrier_count 0
		.amdhsa_reserve_vcc 0
		.amdhsa_float_round_mode_32 0
		.amdhsa_float_round_mode_16_64 0
		.amdhsa_float_denorm_mode_32 3
		.amdhsa_float_denorm_mode_16_64 3
		.amdhsa_fp16_overflow 0
		.amdhsa_memory_ordered 1
		.amdhsa_forward_progress 1
		.amdhsa_inst_pref_size 0
		.amdhsa_round_robin_scheduling 0
		.amdhsa_exception_fp_ieee_invalid_op 0
		.amdhsa_exception_fp_denorm_src 0
		.amdhsa_exception_fp_ieee_div_zero 0
		.amdhsa_exception_fp_ieee_overflow 0
		.amdhsa_exception_fp_ieee_underflow 0
		.amdhsa_exception_fp_ieee_inexact 0
		.amdhsa_exception_int_div_zero 0
	.end_amdhsa_kernel
	.section	.text._ZN7rocprim17ROCPRIM_400000_NS6detail17trampoline_kernelINS0_14default_configENS1_37merge_sort_block_sort_config_selectorIlNS0_10empty_typeEEEZNS1_21merge_sort_block_sortIS3_PlS8_PS5_S9_ZN2at6native12_GLOBAL__N_124unique_dim_cuda_templateIfEESt5tupleIJNSA_6TensorESF_SF_EERKSF_lbbbEUlllE_EE10hipError_tT0_T1_T2_T3_mRjT4_P12ihipStream_tbNS1_7vsmem_tEEUlT_E_NS1_11comp_targetILNS1_3genE8ELNS1_11target_archE1030ELNS1_3gpuE2ELNS1_3repE0EEENS1_30default_config_static_selectorELNS0_4arch9wavefront6targetE0EEEvSM_,"axG",@progbits,_ZN7rocprim17ROCPRIM_400000_NS6detail17trampoline_kernelINS0_14default_configENS1_37merge_sort_block_sort_config_selectorIlNS0_10empty_typeEEEZNS1_21merge_sort_block_sortIS3_PlS8_PS5_S9_ZN2at6native12_GLOBAL__N_124unique_dim_cuda_templateIfEESt5tupleIJNSA_6TensorESF_SF_EERKSF_lbbbEUlllE_EE10hipError_tT0_T1_T2_T3_mRjT4_P12ihipStream_tbNS1_7vsmem_tEEUlT_E_NS1_11comp_targetILNS1_3genE8ELNS1_11target_archE1030ELNS1_3gpuE2ELNS1_3repE0EEENS1_30default_config_static_selectorELNS0_4arch9wavefront6targetE0EEEvSM_,comdat
.Lfunc_end879:
	.size	_ZN7rocprim17ROCPRIM_400000_NS6detail17trampoline_kernelINS0_14default_configENS1_37merge_sort_block_sort_config_selectorIlNS0_10empty_typeEEEZNS1_21merge_sort_block_sortIS3_PlS8_PS5_S9_ZN2at6native12_GLOBAL__N_124unique_dim_cuda_templateIfEESt5tupleIJNSA_6TensorESF_SF_EERKSF_lbbbEUlllE_EE10hipError_tT0_T1_T2_T3_mRjT4_P12ihipStream_tbNS1_7vsmem_tEEUlT_E_NS1_11comp_targetILNS1_3genE8ELNS1_11target_archE1030ELNS1_3gpuE2ELNS1_3repE0EEENS1_30default_config_static_selectorELNS0_4arch9wavefront6targetE0EEEvSM_, .Lfunc_end879-_ZN7rocprim17ROCPRIM_400000_NS6detail17trampoline_kernelINS0_14default_configENS1_37merge_sort_block_sort_config_selectorIlNS0_10empty_typeEEEZNS1_21merge_sort_block_sortIS3_PlS8_PS5_S9_ZN2at6native12_GLOBAL__N_124unique_dim_cuda_templateIfEESt5tupleIJNSA_6TensorESF_SF_EERKSF_lbbbEUlllE_EE10hipError_tT0_T1_T2_T3_mRjT4_P12ihipStream_tbNS1_7vsmem_tEEUlT_E_NS1_11comp_targetILNS1_3genE8ELNS1_11target_archE1030ELNS1_3gpuE2ELNS1_3repE0EEENS1_30default_config_static_selectorELNS0_4arch9wavefront6targetE0EEEvSM_
                                        ; -- End function
	.set _ZN7rocprim17ROCPRIM_400000_NS6detail17trampoline_kernelINS0_14default_configENS1_37merge_sort_block_sort_config_selectorIlNS0_10empty_typeEEEZNS1_21merge_sort_block_sortIS3_PlS8_PS5_S9_ZN2at6native12_GLOBAL__N_124unique_dim_cuda_templateIfEESt5tupleIJNSA_6TensorESF_SF_EERKSF_lbbbEUlllE_EE10hipError_tT0_T1_T2_T3_mRjT4_P12ihipStream_tbNS1_7vsmem_tEEUlT_E_NS1_11comp_targetILNS1_3genE8ELNS1_11target_archE1030ELNS1_3gpuE2ELNS1_3repE0EEENS1_30default_config_static_selectorELNS0_4arch9wavefront6targetE0EEEvSM_.num_vgpr, 0
	.set _ZN7rocprim17ROCPRIM_400000_NS6detail17trampoline_kernelINS0_14default_configENS1_37merge_sort_block_sort_config_selectorIlNS0_10empty_typeEEEZNS1_21merge_sort_block_sortIS3_PlS8_PS5_S9_ZN2at6native12_GLOBAL__N_124unique_dim_cuda_templateIfEESt5tupleIJNSA_6TensorESF_SF_EERKSF_lbbbEUlllE_EE10hipError_tT0_T1_T2_T3_mRjT4_P12ihipStream_tbNS1_7vsmem_tEEUlT_E_NS1_11comp_targetILNS1_3genE8ELNS1_11target_archE1030ELNS1_3gpuE2ELNS1_3repE0EEENS1_30default_config_static_selectorELNS0_4arch9wavefront6targetE0EEEvSM_.num_agpr, 0
	.set _ZN7rocprim17ROCPRIM_400000_NS6detail17trampoline_kernelINS0_14default_configENS1_37merge_sort_block_sort_config_selectorIlNS0_10empty_typeEEEZNS1_21merge_sort_block_sortIS3_PlS8_PS5_S9_ZN2at6native12_GLOBAL__N_124unique_dim_cuda_templateIfEESt5tupleIJNSA_6TensorESF_SF_EERKSF_lbbbEUlllE_EE10hipError_tT0_T1_T2_T3_mRjT4_P12ihipStream_tbNS1_7vsmem_tEEUlT_E_NS1_11comp_targetILNS1_3genE8ELNS1_11target_archE1030ELNS1_3gpuE2ELNS1_3repE0EEENS1_30default_config_static_selectorELNS0_4arch9wavefront6targetE0EEEvSM_.numbered_sgpr, 0
	.set _ZN7rocprim17ROCPRIM_400000_NS6detail17trampoline_kernelINS0_14default_configENS1_37merge_sort_block_sort_config_selectorIlNS0_10empty_typeEEEZNS1_21merge_sort_block_sortIS3_PlS8_PS5_S9_ZN2at6native12_GLOBAL__N_124unique_dim_cuda_templateIfEESt5tupleIJNSA_6TensorESF_SF_EERKSF_lbbbEUlllE_EE10hipError_tT0_T1_T2_T3_mRjT4_P12ihipStream_tbNS1_7vsmem_tEEUlT_E_NS1_11comp_targetILNS1_3genE8ELNS1_11target_archE1030ELNS1_3gpuE2ELNS1_3repE0EEENS1_30default_config_static_selectorELNS0_4arch9wavefront6targetE0EEEvSM_.num_named_barrier, 0
	.set _ZN7rocprim17ROCPRIM_400000_NS6detail17trampoline_kernelINS0_14default_configENS1_37merge_sort_block_sort_config_selectorIlNS0_10empty_typeEEEZNS1_21merge_sort_block_sortIS3_PlS8_PS5_S9_ZN2at6native12_GLOBAL__N_124unique_dim_cuda_templateIfEESt5tupleIJNSA_6TensorESF_SF_EERKSF_lbbbEUlllE_EE10hipError_tT0_T1_T2_T3_mRjT4_P12ihipStream_tbNS1_7vsmem_tEEUlT_E_NS1_11comp_targetILNS1_3genE8ELNS1_11target_archE1030ELNS1_3gpuE2ELNS1_3repE0EEENS1_30default_config_static_selectorELNS0_4arch9wavefront6targetE0EEEvSM_.private_seg_size, 0
	.set _ZN7rocprim17ROCPRIM_400000_NS6detail17trampoline_kernelINS0_14default_configENS1_37merge_sort_block_sort_config_selectorIlNS0_10empty_typeEEEZNS1_21merge_sort_block_sortIS3_PlS8_PS5_S9_ZN2at6native12_GLOBAL__N_124unique_dim_cuda_templateIfEESt5tupleIJNSA_6TensorESF_SF_EERKSF_lbbbEUlllE_EE10hipError_tT0_T1_T2_T3_mRjT4_P12ihipStream_tbNS1_7vsmem_tEEUlT_E_NS1_11comp_targetILNS1_3genE8ELNS1_11target_archE1030ELNS1_3gpuE2ELNS1_3repE0EEENS1_30default_config_static_selectorELNS0_4arch9wavefront6targetE0EEEvSM_.uses_vcc, 0
	.set _ZN7rocprim17ROCPRIM_400000_NS6detail17trampoline_kernelINS0_14default_configENS1_37merge_sort_block_sort_config_selectorIlNS0_10empty_typeEEEZNS1_21merge_sort_block_sortIS3_PlS8_PS5_S9_ZN2at6native12_GLOBAL__N_124unique_dim_cuda_templateIfEESt5tupleIJNSA_6TensorESF_SF_EERKSF_lbbbEUlllE_EE10hipError_tT0_T1_T2_T3_mRjT4_P12ihipStream_tbNS1_7vsmem_tEEUlT_E_NS1_11comp_targetILNS1_3genE8ELNS1_11target_archE1030ELNS1_3gpuE2ELNS1_3repE0EEENS1_30default_config_static_selectorELNS0_4arch9wavefront6targetE0EEEvSM_.uses_flat_scratch, 0
	.set _ZN7rocprim17ROCPRIM_400000_NS6detail17trampoline_kernelINS0_14default_configENS1_37merge_sort_block_sort_config_selectorIlNS0_10empty_typeEEEZNS1_21merge_sort_block_sortIS3_PlS8_PS5_S9_ZN2at6native12_GLOBAL__N_124unique_dim_cuda_templateIfEESt5tupleIJNSA_6TensorESF_SF_EERKSF_lbbbEUlllE_EE10hipError_tT0_T1_T2_T3_mRjT4_P12ihipStream_tbNS1_7vsmem_tEEUlT_E_NS1_11comp_targetILNS1_3genE8ELNS1_11target_archE1030ELNS1_3gpuE2ELNS1_3repE0EEENS1_30default_config_static_selectorELNS0_4arch9wavefront6targetE0EEEvSM_.has_dyn_sized_stack, 0
	.set _ZN7rocprim17ROCPRIM_400000_NS6detail17trampoline_kernelINS0_14default_configENS1_37merge_sort_block_sort_config_selectorIlNS0_10empty_typeEEEZNS1_21merge_sort_block_sortIS3_PlS8_PS5_S9_ZN2at6native12_GLOBAL__N_124unique_dim_cuda_templateIfEESt5tupleIJNSA_6TensorESF_SF_EERKSF_lbbbEUlllE_EE10hipError_tT0_T1_T2_T3_mRjT4_P12ihipStream_tbNS1_7vsmem_tEEUlT_E_NS1_11comp_targetILNS1_3genE8ELNS1_11target_archE1030ELNS1_3gpuE2ELNS1_3repE0EEENS1_30default_config_static_selectorELNS0_4arch9wavefront6targetE0EEEvSM_.has_recursion, 0
	.set _ZN7rocprim17ROCPRIM_400000_NS6detail17trampoline_kernelINS0_14default_configENS1_37merge_sort_block_sort_config_selectorIlNS0_10empty_typeEEEZNS1_21merge_sort_block_sortIS3_PlS8_PS5_S9_ZN2at6native12_GLOBAL__N_124unique_dim_cuda_templateIfEESt5tupleIJNSA_6TensorESF_SF_EERKSF_lbbbEUlllE_EE10hipError_tT0_T1_T2_T3_mRjT4_P12ihipStream_tbNS1_7vsmem_tEEUlT_E_NS1_11comp_targetILNS1_3genE8ELNS1_11target_archE1030ELNS1_3gpuE2ELNS1_3repE0EEENS1_30default_config_static_selectorELNS0_4arch9wavefront6targetE0EEEvSM_.has_indirect_call, 0
	.section	.AMDGPU.csdata,"",@progbits
; Kernel info:
; codeLenInByte = 0
; TotalNumSgprs: 0
; NumVgprs: 0
; ScratchSize: 0
; MemoryBound: 0
; FloatMode: 240
; IeeeMode: 1
; LDSByteSize: 0 bytes/workgroup (compile time only)
; SGPRBlocks: 0
; VGPRBlocks: 0
; NumSGPRsForWavesPerEU: 1
; NumVGPRsForWavesPerEU: 1
; NamedBarCnt: 0
; Occupancy: 16
; WaveLimiterHint : 0
; COMPUTE_PGM_RSRC2:SCRATCH_EN: 0
; COMPUTE_PGM_RSRC2:USER_SGPR: 2
; COMPUTE_PGM_RSRC2:TRAP_HANDLER: 0
; COMPUTE_PGM_RSRC2:TGID_X_EN: 1
; COMPUTE_PGM_RSRC2:TGID_Y_EN: 0
; COMPUTE_PGM_RSRC2:TGID_Z_EN: 0
; COMPUTE_PGM_RSRC2:TIDIG_COMP_CNT: 0
	.section	.text._ZN7rocprim17ROCPRIM_400000_NS6detail17trampoline_kernelINS0_14default_configENS1_38merge_sort_block_merge_config_selectorIlNS0_10empty_typeEEEZZNS1_27merge_sort_block_merge_implIS3_PlPS5_mZN2at6native12_GLOBAL__N_124unique_dim_cuda_templateIfEESt5tupleIJNSA_6TensorESF_SF_EERKSF_lbbbEUlllE_EE10hipError_tT0_T1_T2_jT3_P12ihipStream_tbPNSt15iterator_traitsISL_E10value_typeEPNSR_ISM_E10value_typeEPSN_NS1_7vsmem_tEENKUlT_SL_SM_SN_E_clIS8_S8_S9_S9_EESK_S10_SL_SM_SN_EUlS10_E_NS1_11comp_targetILNS1_3genE0ELNS1_11target_archE4294967295ELNS1_3gpuE0ELNS1_3repE0EEENS1_48merge_mergepath_partition_config_static_selectorELNS0_4arch9wavefront6targetE0EEEvSM_,"axG",@progbits,_ZN7rocprim17ROCPRIM_400000_NS6detail17trampoline_kernelINS0_14default_configENS1_38merge_sort_block_merge_config_selectorIlNS0_10empty_typeEEEZZNS1_27merge_sort_block_merge_implIS3_PlPS5_mZN2at6native12_GLOBAL__N_124unique_dim_cuda_templateIfEESt5tupleIJNSA_6TensorESF_SF_EERKSF_lbbbEUlllE_EE10hipError_tT0_T1_T2_jT3_P12ihipStream_tbPNSt15iterator_traitsISL_E10value_typeEPNSR_ISM_E10value_typeEPSN_NS1_7vsmem_tEENKUlT_SL_SM_SN_E_clIS8_S8_S9_S9_EESK_S10_SL_SM_SN_EUlS10_E_NS1_11comp_targetILNS1_3genE0ELNS1_11target_archE4294967295ELNS1_3gpuE0ELNS1_3repE0EEENS1_48merge_mergepath_partition_config_static_selectorELNS0_4arch9wavefront6targetE0EEEvSM_,comdat
	.globl	_ZN7rocprim17ROCPRIM_400000_NS6detail17trampoline_kernelINS0_14default_configENS1_38merge_sort_block_merge_config_selectorIlNS0_10empty_typeEEEZZNS1_27merge_sort_block_merge_implIS3_PlPS5_mZN2at6native12_GLOBAL__N_124unique_dim_cuda_templateIfEESt5tupleIJNSA_6TensorESF_SF_EERKSF_lbbbEUlllE_EE10hipError_tT0_T1_T2_jT3_P12ihipStream_tbPNSt15iterator_traitsISL_E10value_typeEPNSR_ISM_E10value_typeEPSN_NS1_7vsmem_tEENKUlT_SL_SM_SN_E_clIS8_S8_S9_S9_EESK_S10_SL_SM_SN_EUlS10_E_NS1_11comp_targetILNS1_3genE0ELNS1_11target_archE4294967295ELNS1_3gpuE0ELNS1_3repE0EEENS1_48merge_mergepath_partition_config_static_selectorELNS0_4arch9wavefront6targetE0EEEvSM_ ; -- Begin function _ZN7rocprim17ROCPRIM_400000_NS6detail17trampoline_kernelINS0_14default_configENS1_38merge_sort_block_merge_config_selectorIlNS0_10empty_typeEEEZZNS1_27merge_sort_block_merge_implIS3_PlPS5_mZN2at6native12_GLOBAL__N_124unique_dim_cuda_templateIfEESt5tupleIJNSA_6TensorESF_SF_EERKSF_lbbbEUlllE_EE10hipError_tT0_T1_T2_jT3_P12ihipStream_tbPNSt15iterator_traitsISL_E10value_typeEPNSR_ISM_E10value_typeEPSN_NS1_7vsmem_tEENKUlT_SL_SM_SN_E_clIS8_S8_S9_S9_EESK_S10_SL_SM_SN_EUlS10_E_NS1_11comp_targetILNS1_3genE0ELNS1_11target_archE4294967295ELNS1_3gpuE0ELNS1_3repE0EEENS1_48merge_mergepath_partition_config_static_selectorELNS0_4arch9wavefront6targetE0EEEvSM_
	.p2align	8
	.type	_ZN7rocprim17ROCPRIM_400000_NS6detail17trampoline_kernelINS0_14default_configENS1_38merge_sort_block_merge_config_selectorIlNS0_10empty_typeEEEZZNS1_27merge_sort_block_merge_implIS3_PlPS5_mZN2at6native12_GLOBAL__N_124unique_dim_cuda_templateIfEESt5tupleIJNSA_6TensorESF_SF_EERKSF_lbbbEUlllE_EE10hipError_tT0_T1_T2_jT3_P12ihipStream_tbPNSt15iterator_traitsISL_E10value_typeEPNSR_ISM_E10value_typeEPSN_NS1_7vsmem_tEENKUlT_SL_SM_SN_E_clIS8_S8_S9_S9_EESK_S10_SL_SM_SN_EUlS10_E_NS1_11comp_targetILNS1_3genE0ELNS1_11target_archE4294967295ELNS1_3gpuE0ELNS1_3repE0EEENS1_48merge_mergepath_partition_config_static_selectorELNS0_4arch9wavefront6targetE0EEEvSM_,@function
_ZN7rocprim17ROCPRIM_400000_NS6detail17trampoline_kernelINS0_14default_configENS1_38merge_sort_block_merge_config_selectorIlNS0_10empty_typeEEEZZNS1_27merge_sort_block_merge_implIS3_PlPS5_mZN2at6native12_GLOBAL__N_124unique_dim_cuda_templateIfEESt5tupleIJNSA_6TensorESF_SF_EERKSF_lbbbEUlllE_EE10hipError_tT0_T1_T2_jT3_P12ihipStream_tbPNSt15iterator_traitsISL_E10value_typeEPNSR_ISM_E10value_typeEPSN_NS1_7vsmem_tEENKUlT_SL_SM_SN_E_clIS8_S8_S9_S9_EESK_S10_SL_SM_SN_EUlS10_E_NS1_11comp_targetILNS1_3genE0ELNS1_11target_archE4294967295ELNS1_3gpuE0ELNS1_3repE0EEENS1_48merge_mergepath_partition_config_static_selectorELNS0_4arch9wavefront6targetE0EEEvSM_: ; @_ZN7rocprim17ROCPRIM_400000_NS6detail17trampoline_kernelINS0_14default_configENS1_38merge_sort_block_merge_config_selectorIlNS0_10empty_typeEEEZZNS1_27merge_sort_block_merge_implIS3_PlPS5_mZN2at6native12_GLOBAL__N_124unique_dim_cuda_templateIfEESt5tupleIJNSA_6TensorESF_SF_EERKSF_lbbbEUlllE_EE10hipError_tT0_T1_T2_jT3_P12ihipStream_tbPNSt15iterator_traitsISL_E10value_typeEPNSR_ISM_E10value_typeEPSN_NS1_7vsmem_tEENKUlT_SL_SM_SN_E_clIS8_S8_S9_S9_EESK_S10_SL_SM_SN_EUlS10_E_NS1_11comp_targetILNS1_3genE0ELNS1_11target_archE4294967295ELNS1_3gpuE0ELNS1_3repE0EEENS1_48merge_mergepath_partition_config_static_selectorELNS0_4arch9wavefront6targetE0EEEvSM_
; %bb.0:
	s_load_b32 s2, s[0:1], 0x0
	s_bfe_u32 s3, ttmp6, 0x4000c
	s_and_b32 s4, ttmp6, 15
	s_add_co_i32 s3, s3, 1
	s_getreg_b32 s5, hwreg(HW_REG_IB_STS2, 6, 4)
	s_mul_i32 s3, ttmp9, s3
	s_delay_alu instid0(SALU_CYCLE_1) | instskip(SKIP_2) | instid1(SALU_CYCLE_1)
	s_add_co_i32 s4, s4, s3
	s_cmp_eq_u32 s5, 0
	s_cselect_b32 s3, ttmp9, s4
	v_lshl_or_b32 v16, s3, 7, v0
	s_wait_kmcnt 0x0
	s_delay_alu instid0(VALU_DEP_1)
	v_cmp_gt_u32_e32 vcc_lo, s2, v16
	s_and_saveexec_b32 s2, vcc_lo
	s_cbranch_execz .LBB880_12
; %bb.1:
	s_load_b128 s[4:7], s[0:1], 0x8
	s_wait_kmcnt 0x0
	s_lshr_b64 s[2:3], s[4:5], 9
	s_delay_alu instid0(SALU_CYCLE_1) | instskip(NEXT) | instid1(SALU_CYCLE_1)
	s_and_b32 s2, s2, -2
	s_sub_co_i32 s3, 0, s2
	s_delay_alu instid0(SALU_CYCLE_1) | instskip(SKIP_1) | instid1(VALU_DEP_1)
	v_dual_mov_b32 v3, 0 :: v_dual_bitop2_b32 v2, s3, v16 bitop3:0x40
	s_add_co_i32 s2, s2, -1
	v_lshlrev_b64_e32 v[0:1], 10, v[2:3]
	v_and_b32_e32 v2, s2, v16
	s_delay_alu instid0(VALU_DEP_1) | instskip(NEXT) | instid1(VALU_DEP_3)
	v_lshlrev_b64_e32 v[2:3], 10, v[2:3]
	v_add_nc_u64_e32 v[4:5], s[4:5], v[0:1]
	v_min_u64 v[0:1], s[6:7], v[0:1]
	s_delay_alu instid0(VALU_DEP_2) | instskip(NEXT) | instid1(VALU_DEP_1)
	v_min_u64 v[6:7], s[6:7], v[4:5]
	v_add_nc_u64_e32 v[4:5], s[4:5], v[6:7]
	s_delay_alu instid0(VALU_DEP_1) | instskip(SKIP_3) | instid1(VALU_DEP_1)
	v_min_u64 v[4:5], s[6:7], v[4:5]
	s_load_b256 s[4:11], s[0:1], 0x18
	s_wait_xcnt 0x0
	s_mov_b32 s1, exec_lo
	v_sub_nc_u64_e32 v[8:9], v[4:5], v[0:1]
	s_delay_alu instid0(VALU_DEP_1) | instskip(SKIP_2) | instid1(VALU_DEP_2)
	v_min_u64 v[8:9], v[8:9], v[2:3]
	v_sub_nc_u64_e32 v[2:3], v[4:5], v[6:7]
	v_sub_nc_u64_e32 v[4:5], v[6:7], v[0:1]
	v_max_u64 v[10:11], v[8:9], v[2:3]
	s_delay_alu instid0(VALU_DEP_2) | instskip(NEXT) | instid1(VALU_DEP_2)
	v_min_u64 v[4:5], v[8:9], v[4:5]
	v_sub_nc_u64_e32 v[2:3], v[10:11], v[2:3]
	s_delay_alu instid0(VALU_DEP_1)
	v_cmpx_lt_u64_e64 v[2:3], v[4:5]
	s_cbranch_execz .LBB880_11
; %bb.2:
	s_wait_kmcnt 0x0
	v_lshl_add_u64 v[10:11], v[6:7], 3, s[4:5]
	v_cmp_gt_i64_e64 s12, s[6:7], 0
	v_lshl_add_u64 v[6:7], v[0:1], 3, s[4:5]
	s_lshl_b64 s[2:3], s[6:7], 2
	s_mov_b32 s13, 0
	v_lshl_add_u64 v[8:9], v[8:9], 3, v[10:11]
	s_branch .LBB880_5
.LBB880_3:                              ;   in Loop: Header=BB880_5 Depth=1
	s_or_b32 exec_lo, exec_lo, s15
.LBB880_4:                              ;   in Loop: Header=BB880_5 Depth=1
	s_delay_alu instid0(VALU_DEP_1) | instskip(SKIP_1) | instid1(VALU_DEP_2)
	v_add_nc_u64_e32 v[12:13], 1, v[10:11]
	v_dual_cndmask_b32 v5, v5, v11, s14 :: v_dual_cndmask_b32 v4, v4, v10, s14
	v_dual_cndmask_b32 v3, v13, v3, s14 :: v_dual_cndmask_b32 v2, v12, v2, s14
	s_delay_alu instid0(VALU_DEP_1) | instskip(SKIP_1) | instid1(SALU_CYCLE_1)
	v_cmp_ge_u64_e32 vcc_lo, v[2:3], v[4:5]
	s_or_b32 s13, vcc_lo, s13
	s_and_not1_b32 exec_lo, exec_lo, s13
	s_cbranch_execz .LBB880_10
.LBB880_5:                              ; =>This Loop Header: Depth=1
                                        ;     Child Loop BB880_8 Depth 2
	v_add_nc_u64_e32 v[10:11], v[4:5], v[2:3]
	s_and_not1_b32 vcc_lo, exec_lo, s12
	s_mov_b32 s14, 0
	s_delay_alu instid0(VALU_DEP_1)
	v_lshrrev_b64 v[10:11], 1, v[10:11]
	s_cbranch_vccnz .LBB880_4
; %bb.6:                                ;   in Loop: Header=BB880_5 Depth=1
	s_delay_alu instid0(VALU_DEP_1) | instskip(NEXT) | instid1(VALU_DEP_2)
	v_not_b32_e32 v13, v11
	v_not_b32_e32 v12, v10
	v_lshl_add_u64 v[14:15], v[10:11], 3, v[6:7]
	s_mov_b32 s15, 0
	s_mov_b64 s[4:5], s[6:7]
                                        ; implicit-def: $sgpr14
                                        ; implicit-def: $sgpr16
                                        ; implicit-def: $sgpr17
                                        ; implicit-def: $sgpr18
	s_delay_alu instid0(VALU_DEP_2)
	v_lshl_add_u64 v[12:13], v[12:13], 3, v[8:9]
	s_clause 0x1
	global_load_b64 v[18:19], v[12:13], off
	global_load_b64 v[20:21], v[14:15], off
	s_wait_loadcnt 0x1
	s_wait_xcnt 0x1
	v_mad_nc_u64_u32 v[12:13], s2, v18, s[8:9]
	s_wait_loadcnt 0x0
	v_mad_nc_u64_u32 v[14:15], s2, v20, s[8:9]
	s_delay_alu instid0(VALU_DEP_2) | instskip(NEXT) | instid1(VALU_DEP_2)
	v_mad_u32 v13, s3, v18, v13
	v_mad_u32 v15, s3, v20, v15
	s_delay_alu instid0(VALU_DEP_2) | instskip(NEXT) | instid1(VALU_DEP_2)
	v_mad_u32 v13, s2, v19, v13
	v_mad_u32 v15, s2, v21, v15
	s_branch .LBB880_8
.LBB880_7:                              ;   in Loop: Header=BB880_8 Depth=2
	s_or_b32 exec_lo, exec_lo, s0
	s_delay_alu instid0(SALU_CYCLE_1) | instskip(NEXT) | instid1(SALU_CYCLE_1)
	s_and_b32 s0, exec_lo, s16
	s_or_b32 s15, s0, s15
	s_and_not1_b32 s0, s18, exec_lo
	s_and_b32 s18, s19, exec_lo
	s_and_not1_b32 s14, s14, exec_lo
	s_and_b32 s19, s17, exec_lo
	s_or_b32 s18, s0, s18
	s_or_b32 s14, s14, s19
	s_and_not1_b32 exec_lo, exec_lo, s15
	s_cbranch_execz .LBB880_3
.LBB880_8:                              ;   Parent Loop BB880_5 Depth=1
                                        ; =>  This Inner Loop Header: Depth=2
	global_load_b32 v17, v[12:13], off
	global_load_b32 v18, v[14:15], off
	s_and_not1_b32 s17, s17, exec_lo
	s_or_b32 s16, s16, exec_lo
	s_wait_loadcnt 0x0
	v_cmp_ngt_f32_e32 vcc_lo, v17, v18
	v_cmp_lt_f32_e64 s0, v17, v18
	s_and_b32 s19, vcc_lo, s18
	s_xor_b32 s21, s0, vcc_lo
	s_or_b32 s19, s0, s19
	s_delay_alu instid0(SALU_CYCLE_1) | instskip(NEXT) | instid1(SALU_CYCLE_1)
	s_and_b32 s20, s19, exec_lo
	s_or_b32 s17, s17, s20
	s_and_saveexec_b32 s0, s21
	s_cbranch_execz .LBB880_7
; %bb.9:                                ;   in Loop: Header=BB880_8 Depth=2
	s_add_nc_u64 s[4:5], s[4:5], -1
	v_add_nc_u64_e32 v[12:13], 4, v[12:13]
	s_cmp_eq_u64 s[4:5], 0
	v_add_nc_u64_e32 v[14:15], 4, v[14:15]
	s_cselect_b32 s18, -1, 0
	s_and_not1_b32 s16, s16, exec_lo
	s_and_b32 s18, s18, exec_lo
	s_and_not1_b32 s17, s17, exec_lo
	s_or_b32 s16, s16, s18
                                        ; implicit-def: $sgpr18
	s_branch .LBB880_7
.LBB880_10:
	s_or_b32 exec_lo, exec_lo, s13
.LBB880_11:
	s_delay_alu instid0(SALU_CYCLE_1)
	s_or_b32 exec_lo, exec_lo, s1
	v_add_nc_u64_e32 v[0:1], v[2:3], v[0:1]
	s_wait_kmcnt 0x0
	global_store_b64 v16, v[0:1], s[10:11] scale_offset
.LBB880_12:
	s_endpgm
	.section	.rodata,"a",@progbits
	.p2align	6, 0x0
	.amdhsa_kernel _ZN7rocprim17ROCPRIM_400000_NS6detail17trampoline_kernelINS0_14default_configENS1_38merge_sort_block_merge_config_selectorIlNS0_10empty_typeEEEZZNS1_27merge_sort_block_merge_implIS3_PlPS5_mZN2at6native12_GLOBAL__N_124unique_dim_cuda_templateIfEESt5tupleIJNSA_6TensorESF_SF_EERKSF_lbbbEUlllE_EE10hipError_tT0_T1_T2_jT3_P12ihipStream_tbPNSt15iterator_traitsISL_E10value_typeEPNSR_ISM_E10value_typeEPSN_NS1_7vsmem_tEENKUlT_SL_SM_SN_E_clIS8_S8_S9_S9_EESK_S10_SL_SM_SN_EUlS10_E_NS1_11comp_targetILNS1_3genE0ELNS1_11target_archE4294967295ELNS1_3gpuE0ELNS1_3repE0EEENS1_48merge_mergepath_partition_config_static_selectorELNS0_4arch9wavefront6targetE0EEEvSM_
		.amdhsa_group_segment_fixed_size 0
		.amdhsa_private_segment_fixed_size 0
		.amdhsa_kernarg_size 56
		.amdhsa_user_sgpr_count 2
		.amdhsa_user_sgpr_dispatch_ptr 0
		.amdhsa_user_sgpr_queue_ptr 0
		.amdhsa_user_sgpr_kernarg_segment_ptr 1
		.amdhsa_user_sgpr_dispatch_id 0
		.amdhsa_user_sgpr_kernarg_preload_length 0
		.amdhsa_user_sgpr_kernarg_preload_offset 0
		.amdhsa_user_sgpr_private_segment_size 0
		.amdhsa_wavefront_size32 1
		.amdhsa_uses_dynamic_stack 0
		.amdhsa_enable_private_segment 0
		.amdhsa_system_sgpr_workgroup_id_x 1
		.amdhsa_system_sgpr_workgroup_id_y 0
		.amdhsa_system_sgpr_workgroup_id_z 0
		.amdhsa_system_sgpr_workgroup_info 0
		.amdhsa_system_vgpr_workitem_id 0
		.amdhsa_next_free_vgpr 22
		.amdhsa_next_free_sgpr 22
		.amdhsa_named_barrier_count 0
		.amdhsa_reserve_vcc 1
		.amdhsa_float_round_mode_32 0
		.amdhsa_float_round_mode_16_64 0
		.amdhsa_float_denorm_mode_32 3
		.amdhsa_float_denorm_mode_16_64 3
		.amdhsa_fp16_overflow 0
		.amdhsa_memory_ordered 1
		.amdhsa_forward_progress 1
		.amdhsa_inst_pref_size 6
		.amdhsa_round_robin_scheduling 0
		.amdhsa_exception_fp_ieee_invalid_op 0
		.amdhsa_exception_fp_denorm_src 0
		.amdhsa_exception_fp_ieee_div_zero 0
		.amdhsa_exception_fp_ieee_overflow 0
		.amdhsa_exception_fp_ieee_underflow 0
		.amdhsa_exception_fp_ieee_inexact 0
		.amdhsa_exception_int_div_zero 0
	.end_amdhsa_kernel
	.section	.text._ZN7rocprim17ROCPRIM_400000_NS6detail17trampoline_kernelINS0_14default_configENS1_38merge_sort_block_merge_config_selectorIlNS0_10empty_typeEEEZZNS1_27merge_sort_block_merge_implIS3_PlPS5_mZN2at6native12_GLOBAL__N_124unique_dim_cuda_templateIfEESt5tupleIJNSA_6TensorESF_SF_EERKSF_lbbbEUlllE_EE10hipError_tT0_T1_T2_jT3_P12ihipStream_tbPNSt15iterator_traitsISL_E10value_typeEPNSR_ISM_E10value_typeEPSN_NS1_7vsmem_tEENKUlT_SL_SM_SN_E_clIS8_S8_S9_S9_EESK_S10_SL_SM_SN_EUlS10_E_NS1_11comp_targetILNS1_3genE0ELNS1_11target_archE4294967295ELNS1_3gpuE0ELNS1_3repE0EEENS1_48merge_mergepath_partition_config_static_selectorELNS0_4arch9wavefront6targetE0EEEvSM_,"axG",@progbits,_ZN7rocprim17ROCPRIM_400000_NS6detail17trampoline_kernelINS0_14default_configENS1_38merge_sort_block_merge_config_selectorIlNS0_10empty_typeEEEZZNS1_27merge_sort_block_merge_implIS3_PlPS5_mZN2at6native12_GLOBAL__N_124unique_dim_cuda_templateIfEESt5tupleIJNSA_6TensorESF_SF_EERKSF_lbbbEUlllE_EE10hipError_tT0_T1_T2_jT3_P12ihipStream_tbPNSt15iterator_traitsISL_E10value_typeEPNSR_ISM_E10value_typeEPSN_NS1_7vsmem_tEENKUlT_SL_SM_SN_E_clIS8_S8_S9_S9_EESK_S10_SL_SM_SN_EUlS10_E_NS1_11comp_targetILNS1_3genE0ELNS1_11target_archE4294967295ELNS1_3gpuE0ELNS1_3repE0EEENS1_48merge_mergepath_partition_config_static_selectorELNS0_4arch9wavefront6targetE0EEEvSM_,comdat
.Lfunc_end880:
	.size	_ZN7rocprim17ROCPRIM_400000_NS6detail17trampoline_kernelINS0_14default_configENS1_38merge_sort_block_merge_config_selectorIlNS0_10empty_typeEEEZZNS1_27merge_sort_block_merge_implIS3_PlPS5_mZN2at6native12_GLOBAL__N_124unique_dim_cuda_templateIfEESt5tupleIJNSA_6TensorESF_SF_EERKSF_lbbbEUlllE_EE10hipError_tT0_T1_T2_jT3_P12ihipStream_tbPNSt15iterator_traitsISL_E10value_typeEPNSR_ISM_E10value_typeEPSN_NS1_7vsmem_tEENKUlT_SL_SM_SN_E_clIS8_S8_S9_S9_EESK_S10_SL_SM_SN_EUlS10_E_NS1_11comp_targetILNS1_3genE0ELNS1_11target_archE4294967295ELNS1_3gpuE0ELNS1_3repE0EEENS1_48merge_mergepath_partition_config_static_selectorELNS0_4arch9wavefront6targetE0EEEvSM_, .Lfunc_end880-_ZN7rocprim17ROCPRIM_400000_NS6detail17trampoline_kernelINS0_14default_configENS1_38merge_sort_block_merge_config_selectorIlNS0_10empty_typeEEEZZNS1_27merge_sort_block_merge_implIS3_PlPS5_mZN2at6native12_GLOBAL__N_124unique_dim_cuda_templateIfEESt5tupleIJNSA_6TensorESF_SF_EERKSF_lbbbEUlllE_EE10hipError_tT0_T1_T2_jT3_P12ihipStream_tbPNSt15iterator_traitsISL_E10value_typeEPNSR_ISM_E10value_typeEPSN_NS1_7vsmem_tEENKUlT_SL_SM_SN_E_clIS8_S8_S9_S9_EESK_S10_SL_SM_SN_EUlS10_E_NS1_11comp_targetILNS1_3genE0ELNS1_11target_archE4294967295ELNS1_3gpuE0ELNS1_3repE0EEENS1_48merge_mergepath_partition_config_static_selectorELNS0_4arch9wavefront6targetE0EEEvSM_
                                        ; -- End function
	.set _ZN7rocprim17ROCPRIM_400000_NS6detail17trampoline_kernelINS0_14default_configENS1_38merge_sort_block_merge_config_selectorIlNS0_10empty_typeEEEZZNS1_27merge_sort_block_merge_implIS3_PlPS5_mZN2at6native12_GLOBAL__N_124unique_dim_cuda_templateIfEESt5tupleIJNSA_6TensorESF_SF_EERKSF_lbbbEUlllE_EE10hipError_tT0_T1_T2_jT3_P12ihipStream_tbPNSt15iterator_traitsISL_E10value_typeEPNSR_ISM_E10value_typeEPSN_NS1_7vsmem_tEENKUlT_SL_SM_SN_E_clIS8_S8_S9_S9_EESK_S10_SL_SM_SN_EUlS10_E_NS1_11comp_targetILNS1_3genE0ELNS1_11target_archE4294967295ELNS1_3gpuE0ELNS1_3repE0EEENS1_48merge_mergepath_partition_config_static_selectorELNS0_4arch9wavefront6targetE0EEEvSM_.num_vgpr, 22
	.set _ZN7rocprim17ROCPRIM_400000_NS6detail17trampoline_kernelINS0_14default_configENS1_38merge_sort_block_merge_config_selectorIlNS0_10empty_typeEEEZZNS1_27merge_sort_block_merge_implIS3_PlPS5_mZN2at6native12_GLOBAL__N_124unique_dim_cuda_templateIfEESt5tupleIJNSA_6TensorESF_SF_EERKSF_lbbbEUlllE_EE10hipError_tT0_T1_T2_jT3_P12ihipStream_tbPNSt15iterator_traitsISL_E10value_typeEPNSR_ISM_E10value_typeEPSN_NS1_7vsmem_tEENKUlT_SL_SM_SN_E_clIS8_S8_S9_S9_EESK_S10_SL_SM_SN_EUlS10_E_NS1_11comp_targetILNS1_3genE0ELNS1_11target_archE4294967295ELNS1_3gpuE0ELNS1_3repE0EEENS1_48merge_mergepath_partition_config_static_selectorELNS0_4arch9wavefront6targetE0EEEvSM_.num_agpr, 0
	.set _ZN7rocprim17ROCPRIM_400000_NS6detail17trampoline_kernelINS0_14default_configENS1_38merge_sort_block_merge_config_selectorIlNS0_10empty_typeEEEZZNS1_27merge_sort_block_merge_implIS3_PlPS5_mZN2at6native12_GLOBAL__N_124unique_dim_cuda_templateIfEESt5tupleIJNSA_6TensorESF_SF_EERKSF_lbbbEUlllE_EE10hipError_tT0_T1_T2_jT3_P12ihipStream_tbPNSt15iterator_traitsISL_E10value_typeEPNSR_ISM_E10value_typeEPSN_NS1_7vsmem_tEENKUlT_SL_SM_SN_E_clIS8_S8_S9_S9_EESK_S10_SL_SM_SN_EUlS10_E_NS1_11comp_targetILNS1_3genE0ELNS1_11target_archE4294967295ELNS1_3gpuE0ELNS1_3repE0EEENS1_48merge_mergepath_partition_config_static_selectorELNS0_4arch9wavefront6targetE0EEEvSM_.numbered_sgpr, 22
	.set _ZN7rocprim17ROCPRIM_400000_NS6detail17trampoline_kernelINS0_14default_configENS1_38merge_sort_block_merge_config_selectorIlNS0_10empty_typeEEEZZNS1_27merge_sort_block_merge_implIS3_PlPS5_mZN2at6native12_GLOBAL__N_124unique_dim_cuda_templateIfEESt5tupleIJNSA_6TensorESF_SF_EERKSF_lbbbEUlllE_EE10hipError_tT0_T1_T2_jT3_P12ihipStream_tbPNSt15iterator_traitsISL_E10value_typeEPNSR_ISM_E10value_typeEPSN_NS1_7vsmem_tEENKUlT_SL_SM_SN_E_clIS8_S8_S9_S9_EESK_S10_SL_SM_SN_EUlS10_E_NS1_11comp_targetILNS1_3genE0ELNS1_11target_archE4294967295ELNS1_3gpuE0ELNS1_3repE0EEENS1_48merge_mergepath_partition_config_static_selectorELNS0_4arch9wavefront6targetE0EEEvSM_.num_named_barrier, 0
	.set _ZN7rocprim17ROCPRIM_400000_NS6detail17trampoline_kernelINS0_14default_configENS1_38merge_sort_block_merge_config_selectorIlNS0_10empty_typeEEEZZNS1_27merge_sort_block_merge_implIS3_PlPS5_mZN2at6native12_GLOBAL__N_124unique_dim_cuda_templateIfEESt5tupleIJNSA_6TensorESF_SF_EERKSF_lbbbEUlllE_EE10hipError_tT0_T1_T2_jT3_P12ihipStream_tbPNSt15iterator_traitsISL_E10value_typeEPNSR_ISM_E10value_typeEPSN_NS1_7vsmem_tEENKUlT_SL_SM_SN_E_clIS8_S8_S9_S9_EESK_S10_SL_SM_SN_EUlS10_E_NS1_11comp_targetILNS1_3genE0ELNS1_11target_archE4294967295ELNS1_3gpuE0ELNS1_3repE0EEENS1_48merge_mergepath_partition_config_static_selectorELNS0_4arch9wavefront6targetE0EEEvSM_.private_seg_size, 0
	.set _ZN7rocprim17ROCPRIM_400000_NS6detail17trampoline_kernelINS0_14default_configENS1_38merge_sort_block_merge_config_selectorIlNS0_10empty_typeEEEZZNS1_27merge_sort_block_merge_implIS3_PlPS5_mZN2at6native12_GLOBAL__N_124unique_dim_cuda_templateIfEESt5tupleIJNSA_6TensorESF_SF_EERKSF_lbbbEUlllE_EE10hipError_tT0_T1_T2_jT3_P12ihipStream_tbPNSt15iterator_traitsISL_E10value_typeEPNSR_ISM_E10value_typeEPSN_NS1_7vsmem_tEENKUlT_SL_SM_SN_E_clIS8_S8_S9_S9_EESK_S10_SL_SM_SN_EUlS10_E_NS1_11comp_targetILNS1_3genE0ELNS1_11target_archE4294967295ELNS1_3gpuE0ELNS1_3repE0EEENS1_48merge_mergepath_partition_config_static_selectorELNS0_4arch9wavefront6targetE0EEEvSM_.uses_vcc, 1
	.set _ZN7rocprim17ROCPRIM_400000_NS6detail17trampoline_kernelINS0_14default_configENS1_38merge_sort_block_merge_config_selectorIlNS0_10empty_typeEEEZZNS1_27merge_sort_block_merge_implIS3_PlPS5_mZN2at6native12_GLOBAL__N_124unique_dim_cuda_templateIfEESt5tupleIJNSA_6TensorESF_SF_EERKSF_lbbbEUlllE_EE10hipError_tT0_T1_T2_jT3_P12ihipStream_tbPNSt15iterator_traitsISL_E10value_typeEPNSR_ISM_E10value_typeEPSN_NS1_7vsmem_tEENKUlT_SL_SM_SN_E_clIS8_S8_S9_S9_EESK_S10_SL_SM_SN_EUlS10_E_NS1_11comp_targetILNS1_3genE0ELNS1_11target_archE4294967295ELNS1_3gpuE0ELNS1_3repE0EEENS1_48merge_mergepath_partition_config_static_selectorELNS0_4arch9wavefront6targetE0EEEvSM_.uses_flat_scratch, 0
	.set _ZN7rocprim17ROCPRIM_400000_NS6detail17trampoline_kernelINS0_14default_configENS1_38merge_sort_block_merge_config_selectorIlNS0_10empty_typeEEEZZNS1_27merge_sort_block_merge_implIS3_PlPS5_mZN2at6native12_GLOBAL__N_124unique_dim_cuda_templateIfEESt5tupleIJNSA_6TensorESF_SF_EERKSF_lbbbEUlllE_EE10hipError_tT0_T1_T2_jT3_P12ihipStream_tbPNSt15iterator_traitsISL_E10value_typeEPNSR_ISM_E10value_typeEPSN_NS1_7vsmem_tEENKUlT_SL_SM_SN_E_clIS8_S8_S9_S9_EESK_S10_SL_SM_SN_EUlS10_E_NS1_11comp_targetILNS1_3genE0ELNS1_11target_archE4294967295ELNS1_3gpuE0ELNS1_3repE0EEENS1_48merge_mergepath_partition_config_static_selectorELNS0_4arch9wavefront6targetE0EEEvSM_.has_dyn_sized_stack, 0
	.set _ZN7rocprim17ROCPRIM_400000_NS6detail17trampoline_kernelINS0_14default_configENS1_38merge_sort_block_merge_config_selectorIlNS0_10empty_typeEEEZZNS1_27merge_sort_block_merge_implIS3_PlPS5_mZN2at6native12_GLOBAL__N_124unique_dim_cuda_templateIfEESt5tupleIJNSA_6TensorESF_SF_EERKSF_lbbbEUlllE_EE10hipError_tT0_T1_T2_jT3_P12ihipStream_tbPNSt15iterator_traitsISL_E10value_typeEPNSR_ISM_E10value_typeEPSN_NS1_7vsmem_tEENKUlT_SL_SM_SN_E_clIS8_S8_S9_S9_EESK_S10_SL_SM_SN_EUlS10_E_NS1_11comp_targetILNS1_3genE0ELNS1_11target_archE4294967295ELNS1_3gpuE0ELNS1_3repE0EEENS1_48merge_mergepath_partition_config_static_selectorELNS0_4arch9wavefront6targetE0EEEvSM_.has_recursion, 0
	.set _ZN7rocprim17ROCPRIM_400000_NS6detail17trampoline_kernelINS0_14default_configENS1_38merge_sort_block_merge_config_selectorIlNS0_10empty_typeEEEZZNS1_27merge_sort_block_merge_implIS3_PlPS5_mZN2at6native12_GLOBAL__N_124unique_dim_cuda_templateIfEESt5tupleIJNSA_6TensorESF_SF_EERKSF_lbbbEUlllE_EE10hipError_tT0_T1_T2_jT3_P12ihipStream_tbPNSt15iterator_traitsISL_E10value_typeEPNSR_ISM_E10value_typeEPSN_NS1_7vsmem_tEENKUlT_SL_SM_SN_E_clIS8_S8_S9_S9_EESK_S10_SL_SM_SN_EUlS10_E_NS1_11comp_targetILNS1_3genE0ELNS1_11target_archE4294967295ELNS1_3gpuE0ELNS1_3repE0EEENS1_48merge_mergepath_partition_config_static_selectorELNS0_4arch9wavefront6targetE0EEEvSM_.has_indirect_call, 0
	.section	.AMDGPU.csdata,"",@progbits
; Kernel info:
; codeLenInByte = 736
; TotalNumSgprs: 24
; NumVgprs: 22
; ScratchSize: 0
; MemoryBound: 0
; FloatMode: 240
; IeeeMode: 1
; LDSByteSize: 0 bytes/workgroup (compile time only)
; SGPRBlocks: 0
; VGPRBlocks: 1
; NumSGPRsForWavesPerEU: 24
; NumVGPRsForWavesPerEU: 22
; NamedBarCnt: 0
; Occupancy: 16
; WaveLimiterHint : 0
; COMPUTE_PGM_RSRC2:SCRATCH_EN: 0
; COMPUTE_PGM_RSRC2:USER_SGPR: 2
; COMPUTE_PGM_RSRC2:TRAP_HANDLER: 0
; COMPUTE_PGM_RSRC2:TGID_X_EN: 1
; COMPUTE_PGM_RSRC2:TGID_Y_EN: 0
; COMPUTE_PGM_RSRC2:TGID_Z_EN: 0
; COMPUTE_PGM_RSRC2:TIDIG_COMP_CNT: 0
	.section	.text._ZN7rocprim17ROCPRIM_400000_NS6detail17trampoline_kernelINS0_14default_configENS1_38merge_sort_block_merge_config_selectorIlNS0_10empty_typeEEEZZNS1_27merge_sort_block_merge_implIS3_PlPS5_mZN2at6native12_GLOBAL__N_124unique_dim_cuda_templateIfEESt5tupleIJNSA_6TensorESF_SF_EERKSF_lbbbEUlllE_EE10hipError_tT0_T1_T2_jT3_P12ihipStream_tbPNSt15iterator_traitsISL_E10value_typeEPNSR_ISM_E10value_typeEPSN_NS1_7vsmem_tEENKUlT_SL_SM_SN_E_clIS8_S8_S9_S9_EESK_S10_SL_SM_SN_EUlS10_E_NS1_11comp_targetILNS1_3genE10ELNS1_11target_archE1201ELNS1_3gpuE5ELNS1_3repE0EEENS1_48merge_mergepath_partition_config_static_selectorELNS0_4arch9wavefront6targetE0EEEvSM_,"axG",@progbits,_ZN7rocprim17ROCPRIM_400000_NS6detail17trampoline_kernelINS0_14default_configENS1_38merge_sort_block_merge_config_selectorIlNS0_10empty_typeEEEZZNS1_27merge_sort_block_merge_implIS3_PlPS5_mZN2at6native12_GLOBAL__N_124unique_dim_cuda_templateIfEESt5tupleIJNSA_6TensorESF_SF_EERKSF_lbbbEUlllE_EE10hipError_tT0_T1_T2_jT3_P12ihipStream_tbPNSt15iterator_traitsISL_E10value_typeEPNSR_ISM_E10value_typeEPSN_NS1_7vsmem_tEENKUlT_SL_SM_SN_E_clIS8_S8_S9_S9_EESK_S10_SL_SM_SN_EUlS10_E_NS1_11comp_targetILNS1_3genE10ELNS1_11target_archE1201ELNS1_3gpuE5ELNS1_3repE0EEENS1_48merge_mergepath_partition_config_static_selectorELNS0_4arch9wavefront6targetE0EEEvSM_,comdat
	.globl	_ZN7rocprim17ROCPRIM_400000_NS6detail17trampoline_kernelINS0_14default_configENS1_38merge_sort_block_merge_config_selectorIlNS0_10empty_typeEEEZZNS1_27merge_sort_block_merge_implIS3_PlPS5_mZN2at6native12_GLOBAL__N_124unique_dim_cuda_templateIfEESt5tupleIJNSA_6TensorESF_SF_EERKSF_lbbbEUlllE_EE10hipError_tT0_T1_T2_jT3_P12ihipStream_tbPNSt15iterator_traitsISL_E10value_typeEPNSR_ISM_E10value_typeEPSN_NS1_7vsmem_tEENKUlT_SL_SM_SN_E_clIS8_S8_S9_S9_EESK_S10_SL_SM_SN_EUlS10_E_NS1_11comp_targetILNS1_3genE10ELNS1_11target_archE1201ELNS1_3gpuE5ELNS1_3repE0EEENS1_48merge_mergepath_partition_config_static_selectorELNS0_4arch9wavefront6targetE0EEEvSM_ ; -- Begin function _ZN7rocprim17ROCPRIM_400000_NS6detail17trampoline_kernelINS0_14default_configENS1_38merge_sort_block_merge_config_selectorIlNS0_10empty_typeEEEZZNS1_27merge_sort_block_merge_implIS3_PlPS5_mZN2at6native12_GLOBAL__N_124unique_dim_cuda_templateIfEESt5tupleIJNSA_6TensorESF_SF_EERKSF_lbbbEUlllE_EE10hipError_tT0_T1_T2_jT3_P12ihipStream_tbPNSt15iterator_traitsISL_E10value_typeEPNSR_ISM_E10value_typeEPSN_NS1_7vsmem_tEENKUlT_SL_SM_SN_E_clIS8_S8_S9_S9_EESK_S10_SL_SM_SN_EUlS10_E_NS1_11comp_targetILNS1_3genE10ELNS1_11target_archE1201ELNS1_3gpuE5ELNS1_3repE0EEENS1_48merge_mergepath_partition_config_static_selectorELNS0_4arch9wavefront6targetE0EEEvSM_
	.p2align	8
	.type	_ZN7rocprim17ROCPRIM_400000_NS6detail17trampoline_kernelINS0_14default_configENS1_38merge_sort_block_merge_config_selectorIlNS0_10empty_typeEEEZZNS1_27merge_sort_block_merge_implIS3_PlPS5_mZN2at6native12_GLOBAL__N_124unique_dim_cuda_templateIfEESt5tupleIJNSA_6TensorESF_SF_EERKSF_lbbbEUlllE_EE10hipError_tT0_T1_T2_jT3_P12ihipStream_tbPNSt15iterator_traitsISL_E10value_typeEPNSR_ISM_E10value_typeEPSN_NS1_7vsmem_tEENKUlT_SL_SM_SN_E_clIS8_S8_S9_S9_EESK_S10_SL_SM_SN_EUlS10_E_NS1_11comp_targetILNS1_3genE10ELNS1_11target_archE1201ELNS1_3gpuE5ELNS1_3repE0EEENS1_48merge_mergepath_partition_config_static_selectorELNS0_4arch9wavefront6targetE0EEEvSM_,@function
_ZN7rocprim17ROCPRIM_400000_NS6detail17trampoline_kernelINS0_14default_configENS1_38merge_sort_block_merge_config_selectorIlNS0_10empty_typeEEEZZNS1_27merge_sort_block_merge_implIS3_PlPS5_mZN2at6native12_GLOBAL__N_124unique_dim_cuda_templateIfEESt5tupleIJNSA_6TensorESF_SF_EERKSF_lbbbEUlllE_EE10hipError_tT0_T1_T2_jT3_P12ihipStream_tbPNSt15iterator_traitsISL_E10value_typeEPNSR_ISM_E10value_typeEPSN_NS1_7vsmem_tEENKUlT_SL_SM_SN_E_clIS8_S8_S9_S9_EESK_S10_SL_SM_SN_EUlS10_E_NS1_11comp_targetILNS1_3genE10ELNS1_11target_archE1201ELNS1_3gpuE5ELNS1_3repE0EEENS1_48merge_mergepath_partition_config_static_selectorELNS0_4arch9wavefront6targetE0EEEvSM_: ; @_ZN7rocprim17ROCPRIM_400000_NS6detail17trampoline_kernelINS0_14default_configENS1_38merge_sort_block_merge_config_selectorIlNS0_10empty_typeEEEZZNS1_27merge_sort_block_merge_implIS3_PlPS5_mZN2at6native12_GLOBAL__N_124unique_dim_cuda_templateIfEESt5tupleIJNSA_6TensorESF_SF_EERKSF_lbbbEUlllE_EE10hipError_tT0_T1_T2_jT3_P12ihipStream_tbPNSt15iterator_traitsISL_E10value_typeEPNSR_ISM_E10value_typeEPSN_NS1_7vsmem_tEENKUlT_SL_SM_SN_E_clIS8_S8_S9_S9_EESK_S10_SL_SM_SN_EUlS10_E_NS1_11comp_targetILNS1_3genE10ELNS1_11target_archE1201ELNS1_3gpuE5ELNS1_3repE0EEENS1_48merge_mergepath_partition_config_static_selectorELNS0_4arch9wavefront6targetE0EEEvSM_
; %bb.0:
	.section	.rodata,"a",@progbits
	.p2align	6, 0x0
	.amdhsa_kernel _ZN7rocprim17ROCPRIM_400000_NS6detail17trampoline_kernelINS0_14default_configENS1_38merge_sort_block_merge_config_selectorIlNS0_10empty_typeEEEZZNS1_27merge_sort_block_merge_implIS3_PlPS5_mZN2at6native12_GLOBAL__N_124unique_dim_cuda_templateIfEESt5tupleIJNSA_6TensorESF_SF_EERKSF_lbbbEUlllE_EE10hipError_tT0_T1_T2_jT3_P12ihipStream_tbPNSt15iterator_traitsISL_E10value_typeEPNSR_ISM_E10value_typeEPSN_NS1_7vsmem_tEENKUlT_SL_SM_SN_E_clIS8_S8_S9_S9_EESK_S10_SL_SM_SN_EUlS10_E_NS1_11comp_targetILNS1_3genE10ELNS1_11target_archE1201ELNS1_3gpuE5ELNS1_3repE0EEENS1_48merge_mergepath_partition_config_static_selectorELNS0_4arch9wavefront6targetE0EEEvSM_
		.amdhsa_group_segment_fixed_size 0
		.amdhsa_private_segment_fixed_size 0
		.amdhsa_kernarg_size 56
		.amdhsa_user_sgpr_count 2
		.amdhsa_user_sgpr_dispatch_ptr 0
		.amdhsa_user_sgpr_queue_ptr 0
		.amdhsa_user_sgpr_kernarg_segment_ptr 1
		.amdhsa_user_sgpr_dispatch_id 0
		.amdhsa_user_sgpr_kernarg_preload_length 0
		.amdhsa_user_sgpr_kernarg_preload_offset 0
		.amdhsa_user_sgpr_private_segment_size 0
		.amdhsa_wavefront_size32 1
		.amdhsa_uses_dynamic_stack 0
		.amdhsa_enable_private_segment 0
		.amdhsa_system_sgpr_workgroup_id_x 1
		.amdhsa_system_sgpr_workgroup_id_y 0
		.amdhsa_system_sgpr_workgroup_id_z 0
		.amdhsa_system_sgpr_workgroup_info 0
		.amdhsa_system_vgpr_workitem_id 0
		.amdhsa_next_free_vgpr 1
		.amdhsa_next_free_sgpr 1
		.amdhsa_named_barrier_count 0
		.amdhsa_reserve_vcc 0
		.amdhsa_float_round_mode_32 0
		.amdhsa_float_round_mode_16_64 0
		.amdhsa_float_denorm_mode_32 3
		.amdhsa_float_denorm_mode_16_64 3
		.amdhsa_fp16_overflow 0
		.amdhsa_memory_ordered 1
		.amdhsa_forward_progress 1
		.amdhsa_inst_pref_size 0
		.amdhsa_round_robin_scheduling 0
		.amdhsa_exception_fp_ieee_invalid_op 0
		.amdhsa_exception_fp_denorm_src 0
		.amdhsa_exception_fp_ieee_div_zero 0
		.amdhsa_exception_fp_ieee_overflow 0
		.amdhsa_exception_fp_ieee_underflow 0
		.amdhsa_exception_fp_ieee_inexact 0
		.amdhsa_exception_int_div_zero 0
	.end_amdhsa_kernel
	.section	.text._ZN7rocprim17ROCPRIM_400000_NS6detail17trampoline_kernelINS0_14default_configENS1_38merge_sort_block_merge_config_selectorIlNS0_10empty_typeEEEZZNS1_27merge_sort_block_merge_implIS3_PlPS5_mZN2at6native12_GLOBAL__N_124unique_dim_cuda_templateIfEESt5tupleIJNSA_6TensorESF_SF_EERKSF_lbbbEUlllE_EE10hipError_tT0_T1_T2_jT3_P12ihipStream_tbPNSt15iterator_traitsISL_E10value_typeEPNSR_ISM_E10value_typeEPSN_NS1_7vsmem_tEENKUlT_SL_SM_SN_E_clIS8_S8_S9_S9_EESK_S10_SL_SM_SN_EUlS10_E_NS1_11comp_targetILNS1_3genE10ELNS1_11target_archE1201ELNS1_3gpuE5ELNS1_3repE0EEENS1_48merge_mergepath_partition_config_static_selectorELNS0_4arch9wavefront6targetE0EEEvSM_,"axG",@progbits,_ZN7rocprim17ROCPRIM_400000_NS6detail17trampoline_kernelINS0_14default_configENS1_38merge_sort_block_merge_config_selectorIlNS0_10empty_typeEEEZZNS1_27merge_sort_block_merge_implIS3_PlPS5_mZN2at6native12_GLOBAL__N_124unique_dim_cuda_templateIfEESt5tupleIJNSA_6TensorESF_SF_EERKSF_lbbbEUlllE_EE10hipError_tT0_T1_T2_jT3_P12ihipStream_tbPNSt15iterator_traitsISL_E10value_typeEPNSR_ISM_E10value_typeEPSN_NS1_7vsmem_tEENKUlT_SL_SM_SN_E_clIS8_S8_S9_S9_EESK_S10_SL_SM_SN_EUlS10_E_NS1_11comp_targetILNS1_3genE10ELNS1_11target_archE1201ELNS1_3gpuE5ELNS1_3repE0EEENS1_48merge_mergepath_partition_config_static_selectorELNS0_4arch9wavefront6targetE0EEEvSM_,comdat
.Lfunc_end881:
	.size	_ZN7rocprim17ROCPRIM_400000_NS6detail17trampoline_kernelINS0_14default_configENS1_38merge_sort_block_merge_config_selectorIlNS0_10empty_typeEEEZZNS1_27merge_sort_block_merge_implIS3_PlPS5_mZN2at6native12_GLOBAL__N_124unique_dim_cuda_templateIfEESt5tupleIJNSA_6TensorESF_SF_EERKSF_lbbbEUlllE_EE10hipError_tT0_T1_T2_jT3_P12ihipStream_tbPNSt15iterator_traitsISL_E10value_typeEPNSR_ISM_E10value_typeEPSN_NS1_7vsmem_tEENKUlT_SL_SM_SN_E_clIS8_S8_S9_S9_EESK_S10_SL_SM_SN_EUlS10_E_NS1_11comp_targetILNS1_3genE10ELNS1_11target_archE1201ELNS1_3gpuE5ELNS1_3repE0EEENS1_48merge_mergepath_partition_config_static_selectorELNS0_4arch9wavefront6targetE0EEEvSM_, .Lfunc_end881-_ZN7rocprim17ROCPRIM_400000_NS6detail17trampoline_kernelINS0_14default_configENS1_38merge_sort_block_merge_config_selectorIlNS0_10empty_typeEEEZZNS1_27merge_sort_block_merge_implIS3_PlPS5_mZN2at6native12_GLOBAL__N_124unique_dim_cuda_templateIfEESt5tupleIJNSA_6TensorESF_SF_EERKSF_lbbbEUlllE_EE10hipError_tT0_T1_T2_jT3_P12ihipStream_tbPNSt15iterator_traitsISL_E10value_typeEPNSR_ISM_E10value_typeEPSN_NS1_7vsmem_tEENKUlT_SL_SM_SN_E_clIS8_S8_S9_S9_EESK_S10_SL_SM_SN_EUlS10_E_NS1_11comp_targetILNS1_3genE10ELNS1_11target_archE1201ELNS1_3gpuE5ELNS1_3repE0EEENS1_48merge_mergepath_partition_config_static_selectorELNS0_4arch9wavefront6targetE0EEEvSM_
                                        ; -- End function
	.set _ZN7rocprim17ROCPRIM_400000_NS6detail17trampoline_kernelINS0_14default_configENS1_38merge_sort_block_merge_config_selectorIlNS0_10empty_typeEEEZZNS1_27merge_sort_block_merge_implIS3_PlPS5_mZN2at6native12_GLOBAL__N_124unique_dim_cuda_templateIfEESt5tupleIJNSA_6TensorESF_SF_EERKSF_lbbbEUlllE_EE10hipError_tT0_T1_T2_jT3_P12ihipStream_tbPNSt15iterator_traitsISL_E10value_typeEPNSR_ISM_E10value_typeEPSN_NS1_7vsmem_tEENKUlT_SL_SM_SN_E_clIS8_S8_S9_S9_EESK_S10_SL_SM_SN_EUlS10_E_NS1_11comp_targetILNS1_3genE10ELNS1_11target_archE1201ELNS1_3gpuE5ELNS1_3repE0EEENS1_48merge_mergepath_partition_config_static_selectorELNS0_4arch9wavefront6targetE0EEEvSM_.num_vgpr, 0
	.set _ZN7rocprim17ROCPRIM_400000_NS6detail17trampoline_kernelINS0_14default_configENS1_38merge_sort_block_merge_config_selectorIlNS0_10empty_typeEEEZZNS1_27merge_sort_block_merge_implIS3_PlPS5_mZN2at6native12_GLOBAL__N_124unique_dim_cuda_templateIfEESt5tupleIJNSA_6TensorESF_SF_EERKSF_lbbbEUlllE_EE10hipError_tT0_T1_T2_jT3_P12ihipStream_tbPNSt15iterator_traitsISL_E10value_typeEPNSR_ISM_E10value_typeEPSN_NS1_7vsmem_tEENKUlT_SL_SM_SN_E_clIS8_S8_S9_S9_EESK_S10_SL_SM_SN_EUlS10_E_NS1_11comp_targetILNS1_3genE10ELNS1_11target_archE1201ELNS1_3gpuE5ELNS1_3repE0EEENS1_48merge_mergepath_partition_config_static_selectorELNS0_4arch9wavefront6targetE0EEEvSM_.num_agpr, 0
	.set _ZN7rocprim17ROCPRIM_400000_NS6detail17trampoline_kernelINS0_14default_configENS1_38merge_sort_block_merge_config_selectorIlNS0_10empty_typeEEEZZNS1_27merge_sort_block_merge_implIS3_PlPS5_mZN2at6native12_GLOBAL__N_124unique_dim_cuda_templateIfEESt5tupleIJNSA_6TensorESF_SF_EERKSF_lbbbEUlllE_EE10hipError_tT0_T1_T2_jT3_P12ihipStream_tbPNSt15iterator_traitsISL_E10value_typeEPNSR_ISM_E10value_typeEPSN_NS1_7vsmem_tEENKUlT_SL_SM_SN_E_clIS8_S8_S9_S9_EESK_S10_SL_SM_SN_EUlS10_E_NS1_11comp_targetILNS1_3genE10ELNS1_11target_archE1201ELNS1_3gpuE5ELNS1_3repE0EEENS1_48merge_mergepath_partition_config_static_selectorELNS0_4arch9wavefront6targetE0EEEvSM_.numbered_sgpr, 0
	.set _ZN7rocprim17ROCPRIM_400000_NS6detail17trampoline_kernelINS0_14default_configENS1_38merge_sort_block_merge_config_selectorIlNS0_10empty_typeEEEZZNS1_27merge_sort_block_merge_implIS3_PlPS5_mZN2at6native12_GLOBAL__N_124unique_dim_cuda_templateIfEESt5tupleIJNSA_6TensorESF_SF_EERKSF_lbbbEUlllE_EE10hipError_tT0_T1_T2_jT3_P12ihipStream_tbPNSt15iterator_traitsISL_E10value_typeEPNSR_ISM_E10value_typeEPSN_NS1_7vsmem_tEENKUlT_SL_SM_SN_E_clIS8_S8_S9_S9_EESK_S10_SL_SM_SN_EUlS10_E_NS1_11comp_targetILNS1_3genE10ELNS1_11target_archE1201ELNS1_3gpuE5ELNS1_3repE0EEENS1_48merge_mergepath_partition_config_static_selectorELNS0_4arch9wavefront6targetE0EEEvSM_.num_named_barrier, 0
	.set _ZN7rocprim17ROCPRIM_400000_NS6detail17trampoline_kernelINS0_14default_configENS1_38merge_sort_block_merge_config_selectorIlNS0_10empty_typeEEEZZNS1_27merge_sort_block_merge_implIS3_PlPS5_mZN2at6native12_GLOBAL__N_124unique_dim_cuda_templateIfEESt5tupleIJNSA_6TensorESF_SF_EERKSF_lbbbEUlllE_EE10hipError_tT0_T1_T2_jT3_P12ihipStream_tbPNSt15iterator_traitsISL_E10value_typeEPNSR_ISM_E10value_typeEPSN_NS1_7vsmem_tEENKUlT_SL_SM_SN_E_clIS8_S8_S9_S9_EESK_S10_SL_SM_SN_EUlS10_E_NS1_11comp_targetILNS1_3genE10ELNS1_11target_archE1201ELNS1_3gpuE5ELNS1_3repE0EEENS1_48merge_mergepath_partition_config_static_selectorELNS0_4arch9wavefront6targetE0EEEvSM_.private_seg_size, 0
	.set _ZN7rocprim17ROCPRIM_400000_NS6detail17trampoline_kernelINS0_14default_configENS1_38merge_sort_block_merge_config_selectorIlNS0_10empty_typeEEEZZNS1_27merge_sort_block_merge_implIS3_PlPS5_mZN2at6native12_GLOBAL__N_124unique_dim_cuda_templateIfEESt5tupleIJNSA_6TensorESF_SF_EERKSF_lbbbEUlllE_EE10hipError_tT0_T1_T2_jT3_P12ihipStream_tbPNSt15iterator_traitsISL_E10value_typeEPNSR_ISM_E10value_typeEPSN_NS1_7vsmem_tEENKUlT_SL_SM_SN_E_clIS8_S8_S9_S9_EESK_S10_SL_SM_SN_EUlS10_E_NS1_11comp_targetILNS1_3genE10ELNS1_11target_archE1201ELNS1_3gpuE5ELNS1_3repE0EEENS1_48merge_mergepath_partition_config_static_selectorELNS0_4arch9wavefront6targetE0EEEvSM_.uses_vcc, 0
	.set _ZN7rocprim17ROCPRIM_400000_NS6detail17trampoline_kernelINS0_14default_configENS1_38merge_sort_block_merge_config_selectorIlNS0_10empty_typeEEEZZNS1_27merge_sort_block_merge_implIS3_PlPS5_mZN2at6native12_GLOBAL__N_124unique_dim_cuda_templateIfEESt5tupleIJNSA_6TensorESF_SF_EERKSF_lbbbEUlllE_EE10hipError_tT0_T1_T2_jT3_P12ihipStream_tbPNSt15iterator_traitsISL_E10value_typeEPNSR_ISM_E10value_typeEPSN_NS1_7vsmem_tEENKUlT_SL_SM_SN_E_clIS8_S8_S9_S9_EESK_S10_SL_SM_SN_EUlS10_E_NS1_11comp_targetILNS1_3genE10ELNS1_11target_archE1201ELNS1_3gpuE5ELNS1_3repE0EEENS1_48merge_mergepath_partition_config_static_selectorELNS0_4arch9wavefront6targetE0EEEvSM_.uses_flat_scratch, 0
	.set _ZN7rocprim17ROCPRIM_400000_NS6detail17trampoline_kernelINS0_14default_configENS1_38merge_sort_block_merge_config_selectorIlNS0_10empty_typeEEEZZNS1_27merge_sort_block_merge_implIS3_PlPS5_mZN2at6native12_GLOBAL__N_124unique_dim_cuda_templateIfEESt5tupleIJNSA_6TensorESF_SF_EERKSF_lbbbEUlllE_EE10hipError_tT0_T1_T2_jT3_P12ihipStream_tbPNSt15iterator_traitsISL_E10value_typeEPNSR_ISM_E10value_typeEPSN_NS1_7vsmem_tEENKUlT_SL_SM_SN_E_clIS8_S8_S9_S9_EESK_S10_SL_SM_SN_EUlS10_E_NS1_11comp_targetILNS1_3genE10ELNS1_11target_archE1201ELNS1_3gpuE5ELNS1_3repE0EEENS1_48merge_mergepath_partition_config_static_selectorELNS0_4arch9wavefront6targetE0EEEvSM_.has_dyn_sized_stack, 0
	.set _ZN7rocprim17ROCPRIM_400000_NS6detail17trampoline_kernelINS0_14default_configENS1_38merge_sort_block_merge_config_selectorIlNS0_10empty_typeEEEZZNS1_27merge_sort_block_merge_implIS3_PlPS5_mZN2at6native12_GLOBAL__N_124unique_dim_cuda_templateIfEESt5tupleIJNSA_6TensorESF_SF_EERKSF_lbbbEUlllE_EE10hipError_tT0_T1_T2_jT3_P12ihipStream_tbPNSt15iterator_traitsISL_E10value_typeEPNSR_ISM_E10value_typeEPSN_NS1_7vsmem_tEENKUlT_SL_SM_SN_E_clIS8_S8_S9_S9_EESK_S10_SL_SM_SN_EUlS10_E_NS1_11comp_targetILNS1_3genE10ELNS1_11target_archE1201ELNS1_3gpuE5ELNS1_3repE0EEENS1_48merge_mergepath_partition_config_static_selectorELNS0_4arch9wavefront6targetE0EEEvSM_.has_recursion, 0
	.set _ZN7rocprim17ROCPRIM_400000_NS6detail17trampoline_kernelINS0_14default_configENS1_38merge_sort_block_merge_config_selectorIlNS0_10empty_typeEEEZZNS1_27merge_sort_block_merge_implIS3_PlPS5_mZN2at6native12_GLOBAL__N_124unique_dim_cuda_templateIfEESt5tupleIJNSA_6TensorESF_SF_EERKSF_lbbbEUlllE_EE10hipError_tT0_T1_T2_jT3_P12ihipStream_tbPNSt15iterator_traitsISL_E10value_typeEPNSR_ISM_E10value_typeEPSN_NS1_7vsmem_tEENKUlT_SL_SM_SN_E_clIS8_S8_S9_S9_EESK_S10_SL_SM_SN_EUlS10_E_NS1_11comp_targetILNS1_3genE10ELNS1_11target_archE1201ELNS1_3gpuE5ELNS1_3repE0EEENS1_48merge_mergepath_partition_config_static_selectorELNS0_4arch9wavefront6targetE0EEEvSM_.has_indirect_call, 0
	.section	.AMDGPU.csdata,"",@progbits
; Kernel info:
; codeLenInByte = 0
; TotalNumSgprs: 0
; NumVgprs: 0
; ScratchSize: 0
; MemoryBound: 0
; FloatMode: 240
; IeeeMode: 1
; LDSByteSize: 0 bytes/workgroup (compile time only)
; SGPRBlocks: 0
; VGPRBlocks: 0
; NumSGPRsForWavesPerEU: 1
; NumVGPRsForWavesPerEU: 1
; NamedBarCnt: 0
; Occupancy: 16
; WaveLimiterHint : 0
; COMPUTE_PGM_RSRC2:SCRATCH_EN: 0
; COMPUTE_PGM_RSRC2:USER_SGPR: 2
; COMPUTE_PGM_RSRC2:TRAP_HANDLER: 0
; COMPUTE_PGM_RSRC2:TGID_X_EN: 1
; COMPUTE_PGM_RSRC2:TGID_Y_EN: 0
; COMPUTE_PGM_RSRC2:TGID_Z_EN: 0
; COMPUTE_PGM_RSRC2:TIDIG_COMP_CNT: 0
	.section	.text._ZN7rocprim17ROCPRIM_400000_NS6detail17trampoline_kernelINS0_14default_configENS1_38merge_sort_block_merge_config_selectorIlNS0_10empty_typeEEEZZNS1_27merge_sort_block_merge_implIS3_PlPS5_mZN2at6native12_GLOBAL__N_124unique_dim_cuda_templateIfEESt5tupleIJNSA_6TensorESF_SF_EERKSF_lbbbEUlllE_EE10hipError_tT0_T1_T2_jT3_P12ihipStream_tbPNSt15iterator_traitsISL_E10value_typeEPNSR_ISM_E10value_typeEPSN_NS1_7vsmem_tEENKUlT_SL_SM_SN_E_clIS8_S8_S9_S9_EESK_S10_SL_SM_SN_EUlS10_E_NS1_11comp_targetILNS1_3genE5ELNS1_11target_archE942ELNS1_3gpuE9ELNS1_3repE0EEENS1_48merge_mergepath_partition_config_static_selectorELNS0_4arch9wavefront6targetE0EEEvSM_,"axG",@progbits,_ZN7rocprim17ROCPRIM_400000_NS6detail17trampoline_kernelINS0_14default_configENS1_38merge_sort_block_merge_config_selectorIlNS0_10empty_typeEEEZZNS1_27merge_sort_block_merge_implIS3_PlPS5_mZN2at6native12_GLOBAL__N_124unique_dim_cuda_templateIfEESt5tupleIJNSA_6TensorESF_SF_EERKSF_lbbbEUlllE_EE10hipError_tT0_T1_T2_jT3_P12ihipStream_tbPNSt15iterator_traitsISL_E10value_typeEPNSR_ISM_E10value_typeEPSN_NS1_7vsmem_tEENKUlT_SL_SM_SN_E_clIS8_S8_S9_S9_EESK_S10_SL_SM_SN_EUlS10_E_NS1_11comp_targetILNS1_3genE5ELNS1_11target_archE942ELNS1_3gpuE9ELNS1_3repE0EEENS1_48merge_mergepath_partition_config_static_selectorELNS0_4arch9wavefront6targetE0EEEvSM_,comdat
	.globl	_ZN7rocprim17ROCPRIM_400000_NS6detail17trampoline_kernelINS0_14default_configENS1_38merge_sort_block_merge_config_selectorIlNS0_10empty_typeEEEZZNS1_27merge_sort_block_merge_implIS3_PlPS5_mZN2at6native12_GLOBAL__N_124unique_dim_cuda_templateIfEESt5tupleIJNSA_6TensorESF_SF_EERKSF_lbbbEUlllE_EE10hipError_tT0_T1_T2_jT3_P12ihipStream_tbPNSt15iterator_traitsISL_E10value_typeEPNSR_ISM_E10value_typeEPSN_NS1_7vsmem_tEENKUlT_SL_SM_SN_E_clIS8_S8_S9_S9_EESK_S10_SL_SM_SN_EUlS10_E_NS1_11comp_targetILNS1_3genE5ELNS1_11target_archE942ELNS1_3gpuE9ELNS1_3repE0EEENS1_48merge_mergepath_partition_config_static_selectorELNS0_4arch9wavefront6targetE0EEEvSM_ ; -- Begin function _ZN7rocprim17ROCPRIM_400000_NS6detail17trampoline_kernelINS0_14default_configENS1_38merge_sort_block_merge_config_selectorIlNS0_10empty_typeEEEZZNS1_27merge_sort_block_merge_implIS3_PlPS5_mZN2at6native12_GLOBAL__N_124unique_dim_cuda_templateIfEESt5tupleIJNSA_6TensorESF_SF_EERKSF_lbbbEUlllE_EE10hipError_tT0_T1_T2_jT3_P12ihipStream_tbPNSt15iterator_traitsISL_E10value_typeEPNSR_ISM_E10value_typeEPSN_NS1_7vsmem_tEENKUlT_SL_SM_SN_E_clIS8_S8_S9_S9_EESK_S10_SL_SM_SN_EUlS10_E_NS1_11comp_targetILNS1_3genE5ELNS1_11target_archE942ELNS1_3gpuE9ELNS1_3repE0EEENS1_48merge_mergepath_partition_config_static_selectorELNS0_4arch9wavefront6targetE0EEEvSM_
	.p2align	8
	.type	_ZN7rocprim17ROCPRIM_400000_NS6detail17trampoline_kernelINS0_14default_configENS1_38merge_sort_block_merge_config_selectorIlNS0_10empty_typeEEEZZNS1_27merge_sort_block_merge_implIS3_PlPS5_mZN2at6native12_GLOBAL__N_124unique_dim_cuda_templateIfEESt5tupleIJNSA_6TensorESF_SF_EERKSF_lbbbEUlllE_EE10hipError_tT0_T1_T2_jT3_P12ihipStream_tbPNSt15iterator_traitsISL_E10value_typeEPNSR_ISM_E10value_typeEPSN_NS1_7vsmem_tEENKUlT_SL_SM_SN_E_clIS8_S8_S9_S9_EESK_S10_SL_SM_SN_EUlS10_E_NS1_11comp_targetILNS1_3genE5ELNS1_11target_archE942ELNS1_3gpuE9ELNS1_3repE0EEENS1_48merge_mergepath_partition_config_static_selectorELNS0_4arch9wavefront6targetE0EEEvSM_,@function
_ZN7rocprim17ROCPRIM_400000_NS6detail17trampoline_kernelINS0_14default_configENS1_38merge_sort_block_merge_config_selectorIlNS0_10empty_typeEEEZZNS1_27merge_sort_block_merge_implIS3_PlPS5_mZN2at6native12_GLOBAL__N_124unique_dim_cuda_templateIfEESt5tupleIJNSA_6TensorESF_SF_EERKSF_lbbbEUlllE_EE10hipError_tT0_T1_T2_jT3_P12ihipStream_tbPNSt15iterator_traitsISL_E10value_typeEPNSR_ISM_E10value_typeEPSN_NS1_7vsmem_tEENKUlT_SL_SM_SN_E_clIS8_S8_S9_S9_EESK_S10_SL_SM_SN_EUlS10_E_NS1_11comp_targetILNS1_3genE5ELNS1_11target_archE942ELNS1_3gpuE9ELNS1_3repE0EEENS1_48merge_mergepath_partition_config_static_selectorELNS0_4arch9wavefront6targetE0EEEvSM_: ; @_ZN7rocprim17ROCPRIM_400000_NS6detail17trampoline_kernelINS0_14default_configENS1_38merge_sort_block_merge_config_selectorIlNS0_10empty_typeEEEZZNS1_27merge_sort_block_merge_implIS3_PlPS5_mZN2at6native12_GLOBAL__N_124unique_dim_cuda_templateIfEESt5tupleIJNSA_6TensorESF_SF_EERKSF_lbbbEUlllE_EE10hipError_tT0_T1_T2_jT3_P12ihipStream_tbPNSt15iterator_traitsISL_E10value_typeEPNSR_ISM_E10value_typeEPSN_NS1_7vsmem_tEENKUlT_SL_SM_SN_E_clIS8_S8_S9_S9_EESK_S10_SL_SM_SN_EUlS10_E_NS1_11comp_targetILNS1_3genE5ELNS1_11target_archE942ELNS1_3gpuE9ELNS1_3repE0EEENS1_48merge_mergepath_partition_config_static_selectorELNS0_4arch9wavefront6targetE0EEEvSM_
; %bb.0:
	.section	.rodata,"a",@progbits
	.p2align	6, 0x0
	.amdhsa_kernel _ZN7rocprim17ROCPRIM_400000_NS6detail17trampoline_kernelINS0_14default_configENS1_38merge_sort_block_merge_config_selectorIlNS0_10empty_typeEEEZZNS1_27merge_sort_block_merge_implIS3_PlPS5_mZN2at6native12_GLOBAL__N_124unique_dim_cuda_templateIfEESt5tupleIJNSA_6TensorESF_SF_EERKSF_lbbbEUlllE_EE10hipError_tT0_T1_T2_jT3_P12ihipStream_tbPNSt15iterator_traitsISL_E10value_typeEPNSR_ISM_E10value_typeEPSN_NS1_7vsmem_tEENKUlT_SL_SM_SN_E_clIS8_S8_S9_S9_EESK_S10_SL_SM_SN_EUlS10_E_NS1_11comp_targetILNS1_3genE5ELNS1_11target_archE942ELNS1_3gpuE9ELNS1_3repE0EEENS1_48merge_mergepath_partition_config_static_selectorELNS0_4arch9wavefront6targetE0EEEvSM_
		.amdhsa_group_segment_fixed_size 0
		.amdhsa_private_segment_fixed_size 0
		.amdhsa_kernarg_size 56
		.amdhsa_user_sgpr_count 2
		.amdhsa_user_sgpr_dispatch_ptr 0
		.amdhsa_user_sgpr_queue_ptr 0
		.amdhsa_user_sgpr_kernarg_segment_ptr 1
		.amdhsa_user_sgpr_dispatch_id 0
		.amdhsa_user_sgpr_kernarg_preload_length 0
		.amdhsa_user_sgpr_kernarg_preload_offset 0
		.amdhsa_user_sgpr_private_segment_size 0
		.amdhsa_wavefront_size32 1
		.amdhsa_uses_dynamic_stack 0
		.amdhsa_enable_private_segment 0
		.amdhsa_system_sgpr_workgroup_id_x 1
		.amdhsa_system_sgpr_workgroup_id_y 0
		.amdhsa_system_sgpr_workgroup_id_z 0
		.amdhsa_system_sgpr_workgroup_info 0
		.amdhsa_system_vgpr_workitem_id 0
		.amdhsa_next_free_vgpr 1
		.amdhsa_next_free_sgpr 1
		.amdhsa_named_barrier_count 0
		.amdhsa_reserve_vcc 0
		.amdhsa_float_round_mode_32 0
		.amdhsa_float_round_mode_16_64 0
		.amdhsa_float_denorm_mode_32 3
		.amdhsa_float_denorm_mode_16_64 3
		.amdhsa_fp16_overflow 0
		.amdhsa_memory_ordered 1
		.amdhsa_forward_progress 1
		.amdhsa_inst_pref_size 0
		.amdhsa_round_robin_scheduling 0
		.amdhsa_exception_fp_ieee_invalid_op 0
		.amdhsa_exception_fp_denorm_src 0
		.amdhsa_exception_fp_ieee_div_zero 0
		.amdhsa_exception_fp_ieee_overflow 0
		.amdhsa_exception_fp_ieee_underflow 0
		.amdhsa_exception_fp_ieee_inexact 0
		.amdhsa_exception_int_div_zero 0
	.end_amdhsa_kernel
	.section	.text._ZN7rocprim17ROCPRIM_400000_NS6detail17trampoline_kernelINS0_14default_configENS1_38merge_sort_block_merge_config_selectorIlNS0_10empty_typeEEEZZNS1_27merge_sort_block_merge_implIS3_PlPS5_mZN2at6native12_GLOBAL__N_124unique_dim_cuda_templateIfEESt5tupleIJNSA_6TensorESF_SF_EERKSF_lbbbEUlllE_EE10hipError_tT0_T1_T2_jT3_P12ihipStream_tbPNSt15iterator_traitsISL_E10value_typeEPNSR_ISM_E10value_typeEPSN_NS1_7vsmem_tEENKUlT_SL_SM_SN_E_clIS8_S8_S9_S9_EESK_S10_SL_SM_SN_EUlS10_E_NS1_11comp_targetILNS1_3genE5ELNS1_11target_archE942ELNS1_3gpuE9ELNS1_3repE0EEENS1_48merge_mergepath_partition_config_static_selectorELNS0_4arch9wavefront6targetE0EEEvSM_,"axG",@progbits,_ZN7rocprim17ROCPRIM_400000_NS6detail17trampoline_kernelINS0_14default_configENS1_38merge_sort_block_merge_config_selectorIlNS0_10empty_typeEEEZZNS1_27merge_sort_block_merge_implIS3_PlPS5_mZN2at6native12_GLOBAL__N_124unique_dim_cuda_templateIfEESt5tupleIJNSA_6TensorESF_SF_EERKSF_lbbbEUlllE_EE10hipError_tT0_T1_T2_jT3_P12ihipStream_tbPNSt15iterator_traitsISL_E10value_typeEPNSR_ISM_E10value_typeEPSN_NS1_7vsmem_tEENKUlT_SL_SM_SN_E_clIS8_S8_S9_S9_EESK_S10_SL_SM_SN_EUlS10_E_NS1_11comp_targetILNS1_3genE5ELNS1_11target_archE942ELNS1_3gpuE9ELNS1_3repE0EEENS1_48merge_mergepath_partition_config_static_selectorELNS0_4arch9wavefront6targetE0EEEvSM_,comdat
.Lfunc_end882:
	.size	_ZN7rocprim17ROCPRIM_400000_NS6detail17trampoline_kernelINS0_14default_configENS1_38merge_sort_block_merge_config_selectorIlNS0_10empty_typeEEEZZNS1_27merge_sort_block_merge_implIS3_PlPS5_mZN2at6native12_GLOBAL__N_124unique_dim_cuda_templateIfEESt5tupleIJNSA_6TensorESF_SF_EERKSF_lbbbEUlllE_EE10hipError_tT0_T1_T2_jT3_P12ihipStream_tbPNSt15iterator_traitsISL_E10value_typeEPNSR_ISM_E10value_typeEPSN_NS1_7vsmem_tEENKUlT_SL_SM_SN_E_clIS8_S8_S9_S9_EESK_S10_SL_SM_SN_EUlS10_E_NS1_11comp_targetILNS1_3genE5ELNS1_11target_archE942ELNS1_3gpuE9ELNS1_3repE0EEENS1_48merge_mergepath_partition_config_static_selectorELNS0_4arch9wavefront6targetE0EEEvSM_, .Lfunc_end882-_ZN7rocprim17ROCPRIM_400000_NS6detail17trampoline_kernelINS0_14default_configENS1_38merge_sort_block_merge_config_selectorIlNS0_10empty_typeEEEZZNS1_27merge_sort_block_merge_implIS3_PlPS5_mZN2at6native12_GLOBAL__N_124unique_dim_cuda_templateIfEESt5tupleIJNSA_6TensorESF_SF_EERKSF_lbbbEUlllE_EE10hipError_tT0_T1_T2_jT3_P12ihipStream_tbPNSt15iterator_traitsISL_E10value_typeEPNSR_ISM_E10value_typeEPSN_NS1_7vsmem_tEENKUlT_SL_SM_SN_E_clIS8_S8_S9_S9_EESK_S10_SL_SM_SN_EUlS10_E_NS1_11comp_targetILNS1_3genE5ELNS1_11target_archE942ELNS1_3gpuE9ELNS1_3repE0EEENS1_48merge_mergepath_partition_config_static_selectorELNS0_4arch9wavefront6targetE0EEEvSM_
                                        ; -- End function
	.set _ZN7rocprim17ROCPRIM_400000_NS6detail17trampoline_kernelINS0_14default_configENS1_38merge_sort_block_merge_config_selectorIlNS0_10empty_typeEEEZZNS1_27merge_sort_block_merge_implIS3_PlPS5_mZN2at6native12_GLOBAL__N_124unique_dim_cuda_templateIfEESt5tupleIJNSA_6TensorESF_SF_EERKSF_lbbbEUlllE_EE10hipError_tT0_T1_T2_jT3_P12ihipStream_tbPNSt15iterator_traitsISL_E10value_typeEPNSR_ISM_E10value_typeEPSN_NS1_7vsmem_tEENKUlT_SL_SM_SN_E_clIS8_S8_S9_S9_EESK_S10_SL_SM_SN_EUlS10_E_NS1_11comp_targetILNS1_3genE5ELNS1_11target_archE942ELNS1_3gpuE9ELNS1_3repE0EEENS1_48merge_mergepath_partition_config_static_selectorELNS0_4arch9wavefront6targetE0EEEvSM_.num_vgpr, 0
	.set _ZN7rocprim17ROCPRIM_400000_NS6detail17trampoline_kernelINS0_14default_configENS1_38merge_sort_block_merge_config_selectorIlNS0_10empty_typeEEEZZNS1_27merge_sort_block_merge_implIS3_PlPS5_mZN2at6native12_GLOBAL__N_124unique_dim_cuda_templateIfEESt5tupleIJNSA_6TensorESF_SF_EERKSF_lbbbEUlllE_EE10hipError_tT0_T1_T2_jT3_P12ihipStream_tbPNSt15iterator_traitsISL_E10value_typeEPNSR_ISM_E10value_typeEPSN_NS1_7vsmem_tEENKUlT_SL_SM_SN_E_clIS8_S8_S9_S9_EESK_S10_SL_SM_SN_EUlS10_E_NS1_11comp_targetILNS1_3genE5ELNS1_11target_archE942ELNS1_3gpuE9ELNS1_3repE0EEENS1_48merge_mergepath_partition_config_static_selectorELNS0_4arch9wavefront6targetE0EEEvSM_.num_agpr, 0
	.set _ZN7rocprim17ROCPRIM_400000_NS6detail17trampoline_kernelINS0_14default_configENS1_38merge_sort_block_merge_config_selectorIlNS0_10empty_typeEEEZZNS1_27merge_sort_block_merge_implIS3_PlPS5_mZN2at6native12_GLOBAL__N_124unique_dim_cuda_templateIfEESt5tupleIJNSA_6TensorESF_SF_EERKSF_lbbbEUlllE_EE10hipError_tT0_T1_T2_jT3_P12ihipStream_tbPNSt15iterator_traitsISL_E10value_typeEPNSR_ISM_E10value_typeEPSN_NS1_7vsmem_tEENKUlT_SL_SM_SN_E_clIS8_S8_S9_S9_EESK_S10_SL_SM_SN_EUlS10_E_NS1_11comp_targetILNS1_3genE5ELNS1_11target_archE942ELNS1_3gpuE9ELNS1_3repE0EEENS1_48merge_mergepath_partition_config_static_selectorELNS0_4arch9wavefront6targetE0EEEvSM_.numbered_sgpr, 0
	.set _ZN7rocprim17ROCPRIM_400000_NS6detail17trampoline_kernelINS0_14default_configENS1_38merge_sort_block_merge_config_selectorIlNS0_10empty_typeEEEZZNS1_27merge_sort_block_merge_implIS3_PlPS5_mZN2at6native12_GLOBAL__N_124unique_dim_cuda_templateIfEESt5tupleIJNSA_6TensorESF_SF_EERKSF_lbbbEUlllE_EE10hipError_tT0_T1_T2_jT3_P12ihipStream_tbPNSt15iterator_traitsISL_E10value_typeEPNSR_ISM_E10value_typeEPSN_NS1_7vsmem_tEENKUlT_SL_SM_SN_E_clIS8_S8_S9_S9_EESK_S10_SL_SM_SN_EUlS10_E_NS1_11comp_targetILNS1_3genE5ELNS1_11target_archE942ELNS1_3gpuE9ELNS1_3repE0EEENS1_48merge_mergepath_partition_config_static_selectorELNS0_4arch9wavefront6targetE0EEEvSM_.num_named_barrier, 0
	.set _ZN7rocprim17ROCPRIM_400000_NS6detail17trampoline_kernelINS0_14default_configENS1_38merge_sort_block_merge_config_selectorIlNS0_10empty_typeEEEZZNS1_27merge_sort_block_merge_implIS3_PlPS5_mZN2at6native12_GLOBAL__N_124unique_dim_cuda_templateIfEESt5tupleIJNSA_6TensorESF_SF_EERKSF_lbbbEUlllE_EE10hipError_tT0_T1_T2_jT3_P12ihipStream_tbPNSt15iterator_traitsISL_E10value_typeEPNSR_ISM_E10value_typeEPSN_NS1_7vsmem_tEENKUlT_SL_SM_SN_E_clIS8_S8_S9_S9_EESK_S10_SL_SM_SN_EUlS10_E_NS1_11comp_targetILNS1_3genE5ELNS1_11target_archE942ELNS1_3gpuE9ELNS1_3repE0EEENS1_48merge_mergepath_partition_config_static_selectorELNS0_4arch9wavefront6targetE0EEEvSM_.private_seg_size, 0
	.set _ZN7rocprim17ROCPRIM_400000_NS6detail17trampoline_kernelINS0_14default_configENS1_38merge_sort_block_merge_config_selectorIlNS0_10empty_typeEEEZZNS1_27merge_sort_block_merge_implIS3_PlPS5_mZN2at6native12_GLOBAL__N_124unique_dim_cuda_templateIfEESt5tupleIJNSA_6TensorESF_SF_EERKSF_lbbbEUlllE_EE10hipError_tT0_T1_T2_jT3_P12ihipStream_tbPNSt15iterator_traitsISL_E10value_typeEPNSR_ISM_E10value_typeEPSN_NS1_7vsmem_tEENKUlT_SL_SM_SN_E_clIS8_S8_S9_S9_EESK_S10_SL_SM_SN_EUlS10_E_NS1_11comp_targetILNS1_3genE5ELNS1_11target_archE942ELNS1_3gpuE9ELNS1_3repE0EEENS1_48merge_mergepath_partition_config_static_selectorELNS0_4arch9wavefront6targetE0EEEvSM_.uses_vcc, 0
	.set _ZN7rocprim17ROCPRIM_400000_NS6detail17trampoline_kernelINS0_14default_configENS1_38merge_sort_block_merge_config_selectorIlNS0_10empty_typeEEEZZNS1_27merge_sort_block_merge_implIS3_PlPS5_mZN2at6native12_GLOBAL__N_124unique_dim_cuda_templateIfEESt5tupleIJNSA_6TensorESF_SF_EERKSF_lbbbEUlllE_EE10hipError_tT0_T1_T2_jT3_P12ihipStream_tbPNSt15iterator_traitsISL_E10value_typeEPNSR_ISM_E10value_typeEPSN_NS1_7vsmem_tEENKUlT_SL_SM_SN_E_clIS8_S8_S9_S9_EESK_S10_SL_SM_SN_EUlS10_E_NS1_11comp_targetILNS1_3genE5ELNS1_11target_archE942ELNS1_3gpuE9ELNS1_3repE0EEENS1_48merge_mergepath_partition_config_static_selectorELNS0_4arch9wavefront6targetE0EEEvSM_.uses_flat_scratch, 0
	.set _ZN7rocprim17ROCPRIM_400000_NS6detail17trampoline_kernelINS0_14default_configENS1_38merge_sort_block_merge_config_selectorIlNS0_10empty_typeEEEZZNS1_27merge_sort_block_merge_implIS3_PlPS5_mZN2at6native12_GLOBAL__N_124unique_dim_cuda_templateIfEESt5tupleIJNSA_6TensorESF_SF_EERKSF_lbbbEUlllE_EE10hipError_tT0_T1_T2_jT3_P12ihipStream_tbPNSt15iterator_traitsISL_E10value_typeEPNSR_ISM_E10value_typeEPSN_NS1_7vsmem_tEENKUlT_SL_SM_SN_E_clIS8_S8_S9_S9_EESK_S10_SL_SM_SN_EUlS10_E_NS1_11comp_targetILNS1_3genE5ELNS1_11target_archE942ELNS1_3gpuE9ELNS1_3repE0EEENS1_48merge_mergepath_partition_config_static_selectorELNS0_4arch9wavefront6targetE0EEEvSM_.has_dyn_sized_stack, 0
	.set _ZN7rocprim17ROCPRIM_400000_NS6detail17trampoline_kernelINS0_14default_configENS1_38merge_sort_block_merge_config_selectorIlNS0_10empty_typeEEEZZNS1_27merge_sort_block_merge_implIS3_PlPS5_mZN2at6native12_GLOBAL__N_124unique_dim_cuda_templateIfEESt5tupleIJNSA_6TensorESF_SF_EERKSF_lbbbEUlllE_EE10hipError_tT0_T1_T2_jT3_P12ihipStream_tbPNSt15iterator_traitsISL_E10value_typeEPNSR_ISM_E10value_typeEPSN_NS1_7vsmem_tEENKUlT_SL_SM_SN_E_clIS8_S8_S9_S9_EESK_S10_SL_SM_SN_EUlS10_E_NS1_11comp_targetILNS1_3genE5ELNS1_11target_archE942ELNS1_3gpuE9ELNS1_3repE0EEENS1_48merge_mergepath_partition_config_static_selectorELNS0_4arch9wavefront6targetE0EEEvSM_.has_recursion, 0
	.set _ZN7rocprim17ROCPRIM_400000_NS6detail17trampoline_kernelINS0_14default_configENS1_38merge_sort_block_merge_config_selectorIlNS0_10empty_typeEEEZZNS1_27merge_sort_block_merge_implIS3_PlPS5_mZN2at6native12_GLOBAL__N_124unique_dim_cuda_templateIfEESt5tupleIJNSA_6TensorESF_SF_EERKSF_lbbbEUlllE_EE10hipError_tT0_T1_T2_jT3_P12ihipStream_tbPNSt15iterator_traitsISL_E10value_typeEPNSR_ISM_E10value_typeEPSN_NS1_7vsmem_tEENKUlT_SL_SM_SN_E_clIS8_S8_S9_S9_EESK_S10_SL_SM_SN_EUlS10_E_NS1_11comp_targetILNS1_3genE5ELNS1_11target_archE942ELNS1_3gpuE9ELNS1_3repE0EEENS1_48merge_mergepath_partition_config_static_selectorELNS0_4arch9wavefront6targetE0EEEvSM_.has_indirect_call, 0
	.section	.AMDGPU.csdata,"",@progbits
; Kernel info:
; codeLenInByte = 0
; TotalNumSgprs: 0
; NumVgprs: 0
; ScratchSize: 0
; MemoryBound: 0
; FloatMode: 240
; IeeeMode: 1
; LDSByteSize: 0 bytes/workgroup (compile time only)
; SGPRBlocks: 0
; VGPRBlocks: 0
; NumSGPRsForWavesPerEU: 1
; NumVGPRsForWavesPerEU: 1
; NamedBarCnt: 0
; Occupancy: 16
; WaveLimiterHint : 0
; COMPUTE_PGM_RSRC2:SCRATCH_EN: 0
; COMPUTE_PGM_RSRC2:USER_SGPR: 2
; COMPUTE_PGM_RSRC2:TRAP_HANDLER: 0
; COMPUTE_PGM_RSRC2:TGID_X_EN: 1
; COMPUTE_PGM_RSRC2:TGID_Y_EN: 0
; COMPUTE_PGM_RSRC2:TGID_Z_EN: 0
; COMPUTE_PGM_RSRC2:TIDIG_COMP_CNT: 0
	.section	.text._ZN7rocprim17ROCPRIM_400000_NS6detail17trampoline_kernelINS0_14default_configENS1_38merge_sort_block_merge_config_selectorIlNS0_10empty_typeEEEZZNS1_27merge_sort_block_merge_implIS3_PlPS5_mZN2at6native12_GLOBAL__N_124unique_dim_cuda_templateIfEESt5tupleIJNSA_6TensorESF_SF_EERKSF_lbbbEUlllE_EE10hipError_tT0_T1_T2_jT3_P12ihipStream_tbPNSt15iterator_traitsISL_E10value_typeEPNSR_ISM_E10value_typeEPSN_NS1_7vsmem_tEENKUlT_SL_SM_SN_E_clIS8_S8_S9_S9_EESK_S10_SL_SM_SN_EUlS10_E_NS1_11comp_targetILNS1_3genE4ELNS1_11target_archE910ELNS1_3gpuE8ELNS1_3repE0EEENS1_48merge_mergepath_partition_config_static_selectorELNS0_4arch9wavefront6targetE0EEEvSM_,"axG",@progbits,_ZN7rocprim17ROCPRIM_400000_NS6detail17trampoline_kernelINS0_14default_configENS1_38merge_sort_block_merge_config_selectorIlNS0_10empty_typeEEEZZNS1_27merge_sort_block_merge_implIS3_PlPS5_mZN2at6native12_GLOBAL__N_124unique_dim_cuda_templateIfEESt5tupleIJNSA_6TensorESF_SF_EERKSF_lbbbEUlllE_EE10hipError_tT0_T1_T2_jT3_P12ihipStream_tbPNSt15iterator_traitsISL_E10value_typeEPNSR_ISM_E10value_typeEPSN_NS1_7vsmem_tEENKUlT_SL_SM_SN_E_clIS8_S8_S9_S9_EESK_S10_SL_SM_SN_EUlS10_E_NS1_11comp_targetILNS1_3genE4ELNS1_11target_archE910ELNS1_3gpuE8ELNS1_3repE0EEENS1_48merge_mergepath_partition_config_static_selectorELNS0_4arch9wavefront6targetE0EEEvSM_,comdat
	.globl	_ZN7rocprim17ROCPRIM_400000_NS6detail17trampoline_kernelINS0_14default_configENS1_38merge_sort_block_merge_config_selectorIlNS0_10empty_typeEEEZZNS1_27merge_sort_block_merge_implIS3_PlPS5_mZN2at6native12_GLOBAL__N_124unique_dim_cuda_templateIfEESt5tupleIJNSA_6TensorESF_SF_EERKSF_lbbbEUlllE_EE10hipError_tT0_T1_T2_jT3_P12ihipStream_tbPNSt15iterator_traitsISL_E10value_typeEPNSR_ISM_E10value_typeEPSN_NS1_7vsmem_tEENKUlT_SL_SM_SN_E_clIS8_S8_S9_S9_EESK_S10_SL_SM_SN_EUlS10_E_NS1_11comp_targetILNS1_3genE4ELNS1_11target_archE910ELNS1_3gpuE8ELNS1_3repE0EEENS1_48merge_mergepath_partition_config_static_selectorELNS0_4arch9wavefront6targetE0EEEvSM_ ; -- Begin function _ZN7rocprim17ROCPRIM_400000_NS6detail17trampoline_kernelINS0_14default_configENS1_38merge_sort_block_merge_config_selectorIlNS0_10empty_typeEEEZZNS1_27merge_sort_block_merge_implIS3_PlPS5_mZN2at6native12_GLOBAL__N_124unique_dim_cuda_templateIfEESt5tupleIJNSA_6TensorESF_SF_EERKSF_lbbbEUlllE_EE10hipError_tT0_T1_T2_jT3_P12ihipStream_tbPNSt15iterator_traitsISL_E10value_typeEPNSR_ISM_E10value_typeEPSN_NS1_7vsmem_tEENKUlT_SL_SM_SN_E_clIS8_S8_S9_S9_EESK_S10_SL_SM_SN_EUlS10_E_NS1_11comp_targetILNS1_3genE4ELNS1_11target_archE910ELNS1_3gpuE8ELNS1_3repE0EEENS1_48merge_mergepath_partition_config_static_selectorELNS0_4arch9wavefront6targetE0EEEvSM_
	.p2align	8
	.type	_ZN7rocprim17ROCPRIM_400000_NS6detail17trampoline_kernelINS0_14default_configENS1_38merge_sort_block_merge_config_selectorIlNS0_10empty_typeEEEZZNS1_27merge_sort_block_merge_implIS3_PlPS5_mZN2at6native12_GLOBAL__N_124unique_dim_cuda_templateIfEESt5tupleIJNSA_6TensorESF_SF_EERKSF_lbbbEUlllE_EE10hipError_tT0_T1_T2_jT3_P12ihipStream_tbPNSt15iterator_traitsISL_E10value_typeEPNSR_ISM_E10value_typeEPSN_NS1_7vsmem_tEENKUlT_SL_SM_SN_E_clIS8_S8_S9_S9_EESK_S10_SL_SM_SN_EUlS10_E_NS1_11comp_targetILNS1_3genE4ELNS1_11target_archE910ELNS1_3gpuE8ELNS1_3repE0EEENS1_48merge_mergepath_partition_config_static_selectorELNS0_4arch9wavefront6targetE0EEEvSM_,@function
_ZN7rocprim17ROCPRIM_400000_NS6detail17trampoline_kernelINS0_14default_configENS1_38merge_sort_block_merge_config_selectorIlNS0_10empty_typeEEEZZNS1_27merge_sort_block_merge_implIS3_PlPS5_mZN2at6native12_GLOBAL__N_124unique_dim_cuda_templateIfEESt5tupleIJNSA_6TensorESF_SF_EERKSF_lbbbEUlllE_EE10hipError_tT0_T1_T2_jT3_P12ihipStream_tbPNSt15iterator_traitsISL_E10value_typeEPNSR_ISM_E10value_typeEPSN_NS1_7vsmem_tEENKUlT_SL_SM_SN_E_clIS8_S8_S9_S9_EESK_S10_SL_SM_SN_EUlS10_E_NS1_11comp_targetILNS1_3genE4ELNS1_11target_archE910ELNS1_3gpuE8ELNS1_3repE0EEENS1_48merge_mergepath_partition_config_static_selectorELNS0_4arch9wavefront6targetE0EEEvSM_: ; @_ZN7rocprim17ROCPRIM_400000_NS6detail17trampoline_kernelINS0_14default_configENS1_38merge_sort_block_merge_config_selectorIlNS0_10empty_typeEEEZZNS1_27merge_sort_block_merge_implIS3_PlPS5_mZN2at6native12_GLOBAL__N_124unique_dim_cuda_templateIfEESt5tupleIJNSA_6TensorESF_SF_EERKSF_lbbbEUlllE_EE10hipError_tT0_T1_T2_jT3_P12ihipStream_tbPNSt15iterator_traitsISL_E10value_typeEPNSR_ISM_E10value_typeEPSN_NS1_7vsmem_tEENKUlT_SL_SM_SN_E_clIS8_S8_S9_S9_EESK_S10_SL_SM_SN_EUlS10_E_NS1_11comp_targetILNS1_3genE4ELNS1_11target_archE910ELNS1_3gpuE8ELNS1_3repE0EEENS1_48merge_mergepath_partition_config_static_selectorELNS0_4arch9wavefront6targetE0EEEvSM_
; %bb.0:
	.section	.rodata,"a",@progbits
	.p2align	6, 0x0
	.amdhsa_kernel _ZN7rocprim17ROCPRIM_400000_NS6detail17trampoline_kernelINS0_14default_configENS1_38merge_sort_block_merge_config_selectorIlNS0_10empty_typeEEEZZNS1_27merge_sort_block_merge_implIS3_PlPS5_mZN2at6native12_GLOBAL__N_124unique_dim_cuda_templateIfEESt5tupleIJNSA_6TensorESF_SF_EERKSF_lbbbEUlllE_EE10hipError_tT0_T1_T2_jT3_P12ihipStream_tbPNSt15iterator_traitsISL_E10value_typeEPNSR_ISM_E10value_typeEPSN_NS1_7vsmem_tEENKUlT_SL_SM_SN_E_clIS8_S8_S9_S9_EESK_S10_SL_SM_SN_EUlS10_E_NS1_11comp_targetILNS1_3genE4ELNS1_11target_archE910ELNS1_3gpuE8ELNS1_3repE0EEENS1_48merge_mergepath_partition_config_static_selectorELNS0_4arch9wavefront6targetE0EEEvSM_
		.amdhsa_group_segment_fixed_size 0
		.amdhsa_private_segment_fixed_size 0
		.amdhsa_kernarg_size 56
		.amdhsa_user_sgpr_count 2
		.amdhsa_user_sgpr_dispatch_ptr 0
		.amdhsa_user_sgpr_queue_ptr 0
		.amdhsa_user_sgpr_kernarg_segment_ptr 1
		.amdhsa_user_sgpr_dispatch_id 0
		.amdhsa_user_sgpr_kernarg_preload_length 0
		.amdhsa_user_sgpr_kernarg_preload_offset 0
		.amdhsa_user_sgpr_private_segment_size 0
		.amdhsa_wavefront_size32 1
		.amdhsa_uses_dynamic_stack 0
		.amdhsa_enable_private_segment 0
		.amdhsa_system_sgpr_workgroup_id_x 1
		.amdhsa_system_sgpr_workgroup_id_y 0
		.amdhsa_system_sgpr_workgroup_id_z 0
		.amdhsa_system_sgpr_workgroup_info 0
		.amdhsa_system_vgpr_workitem_id 0
		.amdhsa_next_free_vgpr 1
		.amdhsa_next_free_sgpr 1
		.amdhsa_named_barrier_count 0
		.amdhsa_reserve_vcc 0
		.amdhsa_float_round_mode_32 0
		.amdhsa_float_round_mode_16_64 0
		.amdhsa_float_denorm_mode_32 3
		.amdhsa_float_denorm_mode_16_64 3
		.amdhsa_fp16_overflow 0
		.amdhsa_memory_ordered 1
		.amdhsa_forward_progress 1
		.amdhsa_inst_pref_size 0
		.amdhsa_round_robin_scheduling 0
		.amdhsa_exception_fp_ieee_invalid_op 0
		.amdhsa_exception_fp_denorm_src 0
		.amdhsa_exception_fp_ieee_div_zero 0
		.amdhsa_exception_fp_ieee_overflow 0
		.amdhsa_exception_fp_ieee_underflow 0
		.amdhsa_exception_fp_ieee_inexact 0
		.amdhsa_exception_int_div_zero 0
	.end_amdhsa_kernel
	.section	.text._ZN7rocprim17ROCPRIM_400000_NS6detail17trampoline_kernelINS0_14default_configENS1_38merge_sort_block_merge_config_selectorIlNS0_10empty_typeEEEZZNS1_27merge_sort_block_merge_implIS3_PlPS5_mZN2at6native12_GLOBAL__N_124unique_dim_cuda_templateIfEESt5tupleIJNSA_6TensorESF_SF_EERKSF_lbbbEUlllE_EE10hipError_tT0_T1_T2_jT3_P12ihipStream_tbPNSt15iterator_traitsISL_E10value_typeEPNSR_ISM_E10value_typeEPSN_NS1_7vsmem_tEENKUlT_SL_SM_SN_E_clIS8_S8_S9_S9_EESK_S10_SL_SM_SN_EUlS10_E_NS1_11comp_targetILNS1_3genE4ELNS1_11target_archE910ELNS1_3gpuE8ELNS1_3repE0EEENS1_48merge_mergepath_partition_config_static_selectorELNS0_4arch9wavefront6targetE0EEEvSM_,"axG",@progbits,_ZN7rocprim17ROCPRIM_400000_NS6detail17trampoline_kernelINS0_14default_configENS1_38merge_sort_block_merge_config_selectorIlNS0_10empty_typeEEEZZNS1_27merge_sort_block_merge_implIS3_PlPS5_mZN2at6native12_GLOBAL__N_124unique_dim_cuda_templateIfEESt5tupleIJNSA_6TensorESF_SF_EERKSF_lbbbEUlllE_EE10hipError_tT0_T1_T2_jT3_P12ihipStream_tbPNSt15iterator_traitsISL_E10value_typeEPNSR_ISM_E10value_typeEPSN_NS1_7vsmem_tEENKUlT_SL_SM_SN_E_clIS8_S8_S9_S9_EESK_S10_SL_SM_SN_EUlS10_E_NS1_11comp_targetILNS1_3genE4ELNS1_11target_archE910ELNS1_3gpuE8ELNS1_3repE0EEENS1_48merge_mergepath_partition_config_static_selectorELNS0_4arch9wavefront6targetE0EEEvSM_,comdat
.Lfunc_end883:
	.size	_ZN7rocprim17ROCPRIM_400000_NS6detail17trampoline_kernelINS0_14default_configENS1_38merge_sort_block_merge_config_selectorIlNS0_10empty_typeEEEZZNS1_27merge_sort_block_merge_implIS3_PlPS5_mZN2at6native12_GLOBAL__N_124unique_dim_cuda_templateIfEESt5tupleIJNSA_6TensorESF_SF_EERKSF_lbbbEUlllE_EE10hipError_tT0_T1_T2_jT3_P12ihipStream_tbPNSt15iterator_traitsISL_E10value_typeEPNSR_ISM_E10value_typeEPSN_NS1_7vsmem_tEENKUlT_SL_SM_SN_E_clIS8_S8_S9_S9_EESK_S10_SL_SM_SN_EUlS10_E_NS1_11comp_targetILNS1_3genE4ELNS1_11target_archE910ELNS1_3gpuE8ELNS1_3repE0EEENS1_48merge_mergepath_partition_config_static_selectorELNS0_4arch9wavefront6targetE0EEEvSM_, .Lfunc_end883-_ZN7rocprim17ROCPRIM_400000_NS6detail17trampoline_kernelINS0_14default_configENS1_38merge_sort_block_merge_config_selectorIlNS0_10empty_typeEEEZZNS1_27merge_sort_block_merge_implIS3_PlPS5_mZN2at6native12_GLOBAL__N_124unique_dim_cuda_templateIfEESt5tupleIJNSA_6TensorESF_SF_EERKSF_lbbbEUlllE_EE10hipError_tT0_T1_T2_jT3_P12ihipStream_tbPNSt15iterator_traitsISL_E10value_typeEPNSR_ISM_E10value_typeEPSN_NS1_7vsmem_tEENKUlT_SL_SM_SN_E_clIS8_S8_S9_S9_EESK_S10_SL_SM_SN_EUlS10_E_NS1_11comp_targetILNS1_3genE4ELNS1_11target_archE910ELNS1_3gpuE8ELNS1_3repE0EEENS1_48merge_mergepath_partition_config_static_selectorELNS0_4arch9wavefront6targetE0EEEvSM_
                                        ; -- End function
	.set _ZN7rocprim17ROCPRIM_400000_NS6detail17trampoline_kernelINS0_14default_configENS1_38merge_sort_block_merge_config_selectorIlNS0_10empty_typeEEEZZNS1_27merge_sort_block_merge_implIS3_PlPS5_mZN2at6native12_GLOBAL__N_124unique_dim_cuda_templateIfEESt5tupleIJNSA_6TensorESF_SF_EERKSF_lbbbEUlllE_EE10hipError_tT0_T1_T2_jT3_P12ihipStream_tbPNSt15iterator_traitsISL_E10value_typeEPNSR_ISM_E10value_typeEPSN_NS1_7vsmem_tEENKUlT_SL_SM_SN_E_clIS8_S8_S9_S9_EESK_S10_SL_SM_SN_EUlS10_E_NS1_11comp_targetILNS1_3genE4ELNS1_11target_archE910ELNS1_3gpuE8ELNS1_3repE0EEENS1_48merge_mergepath_partition_config_static_selectorELNS0_4arch9wavefront6targetE0EEEvSM_.num_vgpr, 0
	.set _ZN7rocprim17ROCPRIM_400000_NS6detail17trampoline_kernelINS0_14default_configENS1_38merge_sort_block_merge_config_selectorIlNS0_10empty_typeEEEZZNS1_27merge_sort_block_merge_implIS3_PlPS5_mZN2at6native12_GLOBAL__N_124unique_dim_cuda_templateIfEESt5tupleIJNSA_6TensorESF_SF_EERKSF_lbbbEUlllE_EE10hipError_tT0_T1_T2_jT3_P12ihipStream_tbPNSt15iterator_traitsISL_E10value_typeEPNSR_ISM_E10value_typeEPSN_NS1_7vsmem_tEENKUlT_SL_SM_SN_E_clIS8_S8_S9_S9_EESK_S10_SL_SM_SN_EUlS10_E_NS1_11comp_targetILNS1_3genE4ELNS1_11target_archE910ELNS1_3gpuE8ELNS1_3repE0EEENS1_48merge_mergepath_partition_config_static_selectorELNS0_4arch9wavefront6targetE0EEEvSM_.num_agpr, 0
	.set _ZN7rocprim17ROCPRIM_400000_NS6detail17trampoline_kernelINS0_14default_configENS1_38merge_sort_block_merge_config_selectorIlNS0_10empty_typeEEEZZNS1_27merge_sort_block_merge_implIS3_PlPS5_mZN2at6native12_GLOBAL__N_124unique_dim_cuda_templateIfEESt5tupleIJNSA_6TensorESF_SF_EERKSF_lbbbEUlllE_EE10hipError_tT0_T1_T2_jT3_P12ihipStream_tbPNSt15iterator_traitsISL_E10value_typeEPNSR_ISM_E10value_typeEPSN_NS1_7vsmem_tEENKUlT_SL_SM_SN_E_clIS8_S8_S9_S9_EESK_S10_SL_SM_SN_EUlS10_E_NS1_11comp_targetILNS1_3genE4ELNS1_11target_archE910ELNS1_3gpuE8ELNS1_3repE0EEENS1_48merge_mergepath_partition_config_static_selectorELNS0_4arch9wavefront6targetE0EEEvSM_.numbered_sgpr, 0
	.set _ZN7rocprim17ROCPRIM_400000_NS6detail17trampoline_kernelINS0_14default_configENS1_38merge_sort_block_merge_config_selectorIlNS0_10empty_typeEEEZZNS1_27merge_sort_block_merge_implIS3_PlPS5_mZN2at6native12_GLOBAL__N_124unique_dim_cuda_templateIfEESt5tupleIJNSA_6TensorESF_SF_EERKSF_lbbbEUlllE_EE10hipError_tT0_T1_T2_jT3_P12ihipStream_tbPNSt15iterator_traitsISL_E10value_typeEPNSR_ISM_E10value_typeEPSN_NS1_7vsmem_tEENKUlT_SL_SM_SN_E_clIS8_S8_S9_S9_EESK_S10_SL_SM_SN_EUlS10_E_NS1_11comp_targetILNS1_3genE4ELNS1_11target_archE910ELNS1_3gpuE8ELNS1_3repE0EEENS1_48merge_mergepath_partition_config_static_selectorELNS0_4arch9wavefront6targetE0EEEvSM_.num_named_barrier, 0
	.set _ZN7rocprim17ROCPRIM_400000_NS6detail17trampoline_kernelINS0_14default_configENS1_38merge_sort_block_merge_config_selectorIlNS0_10empty_typeEEEZZNS1_27merge_sort_block_merge_implIS3_PlPS5_mZN2at6native12_GLOBAL__N_124unique_dim_cuda_templateIfEESt5tupleIJNSA_6TensorESF_SF_EERKSF_lbbbEUlllE_EE10hipError_tT0_T1_T2_jT3_P12ihipStream_tbPNSt15iterator_traitsISL_E10value_typeEPNSR_ISM_E10value_typeEPSN_NS1_7vsmem_tEENKUlT_SL_SM_SN_E_clIS8_S8_S9_S9_EESK_S10_SL_SM_SN_EUlS10_E_NS1_11comp_targetILNS1_3genE4ELNS1_11target_archE910ELNS1_3gpuE8ELNS1_3repE0EEENS1_48merge_mergepath_partition_config_static_selectorELNS0_4arch9wavefront6targetE0EEEvSM_.private_seg_size, 0
	.set _ZN7rocprim17ROCPRIM_400000_NS6detail17trampoline_kernelINS0_14default_configENS1_38merge_sort_block_merge_config_selectorIlNS0_10empty_typeEEEZZNS1_27merge_sort_block_merge_implIS3_PlPS5_mZN2at6native12_GLOBAL__N_124unique_dim_cuda_templateIfEESt5tupleIJNSA_6TensorESF_SF_EERKSF_lbbbEUlllE_EE10hipError_tT0_T1_T2_jT3_P12ihipStream_tbPNSt15iterator_traitsISL_E10value_typeEPNSR_ISM_E10value_typeEPSN_NS1_7vsmem_tEENKUlT_SL_SM_SN_E_clIS8_S8_S9_S9_EESK_S10_SL_SM_SN_EUlS10_E_NS1_11comp_targetILNS1_3genE4ELNS1_11target_archE910ELNS1_3gpuE8ELNS1_3repE0EEENS1_48merge_mergepath_partition_config_static_selectorELNS0_4arch9wavefront6targetE0EEEvSM_.uses_vcc, 0
	.set _ZN7rocprim17ROCPRIM_400000_NS6detail17trampoline_kernelINS0_14default_configENS1_38merge_sort_block_merge_config_selectorIlNS0_10empty_typeEEEZZNS1_27merge_sort_block_merge_implIS3_PlPS5_mZN2at6native12_GLOBAL__N_124unique_dim_cuda_templateIfEESt5tupleIJNSA_6TensorESF_SF_EERKSF_lbbbEUlllE_EE10hipError_tT0_T1_T2_jT3_P12ihipStream_tbPNSt15iterator_traitsISL_E10value_typeEPNSR_ISM_E10value_typeEPSN_NS1_7vsmem_tEENKUlT_SL_SM_SN_E_clIS8_S8_S9_S9_EESK_S10_SL_SM_SN_EUlS10_E_NS1_11comp_targetILNS1_3genE4ELNS1_11target_archE910ELNS1_3gpuE8ELNS1_3repE0EEENS1_48merge_mergepath_partition_config_static_selectorELNS0_4arch9wavefront6targetE0EEEvSM_.uses_flat_scratch, 0
	.set _ZN7rocprim17ROCPRIM_400000_NS6detail17trampoline_kernelINS0_14default_configENS1_38merge_sort_block_merge_config_selectorIlNS0_10empty_typeEEEZZNS1_27merge_sort_block_merge_implIS3_PlPS5_mZN2at6native12_GLOBAL__N_124unique_dim_cuda_templateIfEESt5tupleIJNSA_6TensorESF_SF_EERKSF_lbbbEUlllE_EE10hipError_tT0_T1_T2_jT3_P12ihipStream_tbPNSt15iterator_traitsISL_E10value_typeEPNSR_ISM_E10value_typeEPSN_NS1_7vsmem_tEENKUlT_SL_SM_SN_E_clIS8_S8_S9_S9_EESK_S10_SL_SM_SN_EUlS10_E_NS1_11comp_targetILNS1_3genE4ELNS1_11target_archE910ELNS1_3gpuE8ELNS1_3repE0EEENS1_48merge_mergepath_partition_config_static_selectorELNS0_4arch9wavefront6targetE0EEEvSM_.has_dyn_sized_stack, 0
	.set _ZN7rocprim17ROCPRIM_400000_NS6detail17trampoline_kernelINS0_14default_configENS1_38merge_sort_block_merge_config_selectorIlNS0_10empty_typeEEEZZNS1_27merge_sort_block_merge_implIS3_PlPS5_mZN2at6native12_GLOBAL__N_124unique_dim_cuda_templateIfEESt5tupleIJNSA_6TensorESF_SF_EERKSF_lbbbEUlllE_EE10hipError_tT0_T1_T2_jT3_P12ihipStream_tbPNSt15iterator_traitsISL_E10value_typeEPNSR_ISM_E10value_typeEPSN_NS1_7vsmem_tEENKUlT_SL_SM_SN_E_clIS8_S8_S9_S9_EESK_S10_SL_SM_SN_EUlS10_E_NS1_11comp_targetILNS1_3genE4ELNS1_11target_archE910ELNS1_3gpuE8ELNS1_3repE0EEENS1_48merge_mergepath_partition_config_static_selectorELNS0_4arch9wavefront6targetE0EEEvSM_.has_recursion, 0
	.set _ZN7rocprim17ROCPRIM_400000_NS6detail17trampoline_kernelINS0_14default_configENS1_38merge_sort_block_merge_config_selectorIlNS0_10empty_typeEEEZZNS1_27merge_sort_block_merge_implIS3_PlPS5_mZN2at6native12_GLOBAL__N_124unique_dim_cuda_templateIfEESt5tupleIJNSA_6TensorESF_SF_EERKSF_lbbbEUlllE_EE10hipError_tT0_T1_T2_jT3_P12ihipStream_tbPNSt15iterator_traitsISL_E10value_typeEPNSR_ISM_E10value_typeEPSN_NS1_7vsmem_tEENKUlT_SL_SM_SN_E_clIS8_S8_S9_S9_EESK_S10_SL_SM_SN_EUlS10_E_NS1_11comp_targetILNS1_3genE4ELNS1_11target_archE910ELNS1_3gpuE8ELNS1_3repE0EEENS1_48merge_mergepath_partition_config_static_selectorELNS0_4arch9wavefront6targetE0EEEvSM_.has_indirect_call, 0
	.section	.AMDGPU.csdata,"",@progbits
; Kernel info:
; codeLenInByte = 0
; TotalNumSgprs: 0
; NumVgprs: 0
; ScratchSize: 0
; MemoryBound: 0
; FloatMode: 240
; IeeeMode: 1
; LDSByteSize: 0 bytes/workgroup (compile time only)
; SGPRBlocks: 0
; VGPRBlocks: 0
; NumSGPRsForWavesPerEU: 1
; NumVGPRsForWavesPerEU: 1
; NamedBarCnt: 0
; Occupancy: 16
; WaveLimiterHint : 0
; COMPUTE_PGM_RSRC2:SCRATCH_EN: 0
; COMPUTE_PGM_RSRC2:USER_SGPR: 2
; COMPUTE_PGM_RSRC2:TRAP_HANDLER: 0
; COMPUTE_PGM_RSRC2:TGID_X_EN: 1
; COMPUTE_PGM_RSRC2:TGID_Y_EN: 0
; COMPUTE_PGM_RSRC2:TGID_Z_EN: 0
; COMPUTE_PGM_RSRC2:TIDIG_COMP_CNT: 0
	.section	.text._ZN7rocprim17ROCPRIM_400000_NS6detail17trampoline_kernelINS0_14default_configENS1_38merge_sort_block_merge_config_selectorIlNS0_10empty_typeEEEZZNS1_27merge_sort_block_merge_implIS3_PlPS5_mZN2at6native12_GLOBAL__N_124unique_dim_cuda_templateIfEESt5tupleIJNSA_6TensorESF_SF_EERKSF_lbbbEUlllE_EE10hipError_tT0_T1_T2_jT3_P12ihipStream_tbPNSt15iterator_traitsISL_E10value_typeEPNSR_ISM_E10value_typeEPSN_NS1_7vsmem_tEENKUlT_SL_SM_SN_E_clIS8_S8_S9_S9_EESK_S10_SL_SM_SN_EUlS10_E_NS1_11comp_targetILNS1_3genE3ELNS1_11target_archE908ELNS1_3gpuE7ELNS1_3repE0EEENS1_48merge_mergepath_partition_config_static_selectorELNS0_4arch9wavefront6targetE0EEEvSM_,"axG",@progbits,_ZN7rocprim17ROCPRIM_400000_NS6detail17trampoline_kernelINS0_14default_configENS1_38merge_sort_block_merge_config_selectorIlNS0_10empty_typeEEEZZNS1_27merge_sort_block_merge_implIS3_PlPS5_mZN2at6native12_GLOBAL__N_124unique_dim_cuda_templateIfEESt5tupleIJNSA_6TensorESF_SF_EERKSF_lbbbEUlllE_EE10hipError_tT0_T1_T2_jT3_P12ihipStream_tbPNSt15iterator_traitsISL_E10value_typeEPNSR_ISM_E10value_typeEPSN_NS1_7vsmem_tEENKUlT_SL_SM_SN_E_clIS8_S8_S9_S9_EESK_S10_SL_SM_SN_EUlS10_E_NS1_11comp_targetILNS1_3genE3ELNS1_11target_archE908ELNS1_3gpuE7ELNS1_3repE0EEENS1_48merge_mergepath_partition_config_static_selectorELNS0_4arch9wavefront6targetE0EEEvSM_,comdat
	.globl	_ZN7rocprim17ROCPRIM_400000_NS6detail17trampoline_kernelINS0_14default_configENS1_38merge_sort_block_merge_config_selectorIlNS0_10empty_typeEEEZZNS1_27merge_sort_block_merge_implIS3_PlPS5_mZN2at6native12_GLOBAL__N_124unique_dim_cuda_templateIfEESt5tupleIJNSA_6TensorESF_SF_EERKSF_lbbbEUlllE_EE10hipError_tT0_T1_T2_jT3_P12ihipStream_tbPNSt15iterator_traitsISL_E10value_typeEPNSR_ISM_E10value_typeEPSN_NS1_7vsmem_tEENKUlT_SL_SM_SN_E_clIS8_S8_S9_S9_EESK_S10_SL_SM_SN_EUlS10_E_NS1_11comp_targetILNS1_3genE3ELNS1_11target_archE908ELNS1_3gpuE7ELNS1_3repE0EEENS1_48merge_mergepath_partition_config_static_selectorELNS0_4arch9wavefront6targetE0EEEvSM_ ; -- Begin function _ZN7rocprim17ROCPRIM_400000_NS6detail17trampoline_kernelINS0_14default_configENS1_38merge_sort_block_merge_config_selectorIlNS0_10empty_typeEEEZZNS1_27merge_sort_block_merge_implIS3_PlPS5_mZN2at6native12_GLOBAL__N_124unique_dim_cuda_templateIfEESt5tupleIJNSA_6TensorESF_SF_EERKSF_lbbbEUlllE_EE10hipError_tT0_T1_T2_jT3_P12ihipStream_tbPNSt15iterator_traitsISL_E10value_typeEPNSR_ISM_E10value_typeEPSN_NS1_7vsmem_tEENKUlT_SL_SM_SN_E_clIS8_S8_S9_S9_EESK_S10_SL_SM_SN_EUlS10_E_NS1_11comp_targetILNS1_3genE3ELNS1_11target_archE908ELNS1_3gpuE7ELNS1_3repE0EEENS1_48merge_mergepath_partition_config_static_selectorELNS0_4arch9wavefront6targetE0EEEvSM_
	.p2align	8
	.type	_ZN7rocprim17ROCPRIM_400000_NS6detail17trampoline_kernelINS0_14default_configENS1_38merge_sort_block_merge_config_selectorIlNS0_10empty_typeEEEZZNS1_27merge_sort_block_merge_implIS3_PlPS5_mZN2at6native12_GLOBAL__N_124unique_dim_cuda_templateIfEESt5tupleIJNSA_6TensorESF_SF_EERKSF_lbbbEUlllE_EE10hipError_tT0_T1_T2_jT3_P12ihipStream_tbPNSt15iterator_traitsISL_E10value_typeEPNSR_ISM_E10value_typeEPSN_NS1_7vsmem_tEENKUlT_SL_SM_SN_E_clIS8_S8_S9_S9_EESK_S10_SL_SM_SN_EUlS10_E_NS1_11comp_targetILNS1_3genE3ELNS1_11target_archE908ELNS1_3gpuE7ELNS1_3repE0EEENS1_48merge_mergepath_partition_config_static_selectorELNS0_4arch9wavefront6targetE0EEEvSM_,@function
_ZN7rocprim17ROCPRIM_400000_NS6detail17trampoline_kernelINS0_14default_configENS1_38merge_sort_block_merge_config_selectorIlNS0_10empty_typeEEEZZNS1_27merge_sort_block_merge_implIS3_PlPS5_mZN2at6native12_GLOBAL__N_124unique_dim_cuda_templateIfEESt5tupleIJNSA_6TensorESF_SF_EERKSF_lbbbEUlllE_EE10hipError_tT0_T1_T2_jT3_P12ihipStream_tbPNSt15iterator_traitsISL_E10value_typeEPNSR_ISM_E10value_typeEPSN_NS1_7vsmem_tEENKUlT_SL_SM_SN_E_clIS8_S8_S9_S9_EESK_S10_SL_SM_SN_EUlS10_E_NS1_11comp_targetILNS1_3genE3ELNS1_11target_archE908ELNS1_3gpuE7ELNS1_3repE0EEENS1_48merge_mergepath_partition_config_static_selectorELNS0_4arch9wavefront6targetE0EEEvSM_: ; @_ZN7rocprim17ROCPRIM_400000_NS6detail17trampoline_kernelINS0_14default_configENS1_38merge_sort_block_merge_config_selectorIlNS0_10empty_typeEEEZZNS1_27merge_sort_block_merge_implIS3_PlPS5_mZN2at6native12_GLOBAL__N_124unique_dim_cuda_templateIfEESt5tupleIJNSA_6TensorESF_SF_EERKSF_lbbbEUlllE_EE10hipError_tT0_T1_T2_jT3_P12ihipStream_tbPNSt15iterator_traitsISL_E10value_typeEPNSR_ISM_E10value_typeEPSN_NS1_7vsmem_tEENKUlT_SL_SM_SN_E_clIS8_S8_S9_S9_EESK_S10_SL_SM_SN_EUlS10_E_NS1_11comp_targetILNS1_3genE3ELNS1_11target_archE908ELNS1_3gpuE7ELNS1_3repE0EEENS1_48merge_mergepath_partition_config_static_selectorELNS0_4arch9wavefront6targetE0EEEvSM_
; %bb.0:
	.section	.rodata,"a",@progbits
	.p2align	6, 0x0
	.amdhsa_kernel _ZN7rocprim17ROCPRIM_400000_NS6detail17trampoline_kernelINS0_14default_configENS1_38merge_sort_block_merge_config_selectorIlNS0_10empty_typeEEEZZNS1_27merge_sort_block_merge_implIS3_PlPS5_mZN2at6native12_GLOBAL__N_124unique_dim_cuda_templateIfEESt5tupleIJNSA_6TensorESF_SF_EERKSF_lbbbEUlllE_EE10hipError_tT0_T1_T2_jT3_P12ihipStream_tbPNSt15iterator_traitsISL_E10value_typeEPNSR_ISM_E10value_typeEPSN_NS1_7vsmem_tEENKUlT_SL_SM_SN_E_clIS8_S8_S9_S9_EESK_S10_SL_SM_SN_EUlS10_E_NS1_11comp_targetILNS1_3genE3ELNS1_11target_archE908ELNS1_3gpuE7ELNS1_3repE0EEENS1_48merge_mergepath_partition_config_static_selectorELNS0_4arch9wavefront6targetE0EEEvSM_
		.amdhsa_group_segment_fixed_size 0
		.amdhsa_private_segment_fixed_size 0
		.amdhsa_kernarg_size 56
		.amdhsa_user_sgpr_count 2
		.amdhsa_user_sgpr_dispatch_ptr 0
		.amdhsa_user_sgpr_queue_ptr 0
		.amdhsa_user_sgpr_kernarg_segment_ptr 1
		.amdhsa_user_sgpr_dispatch_id 0
		.amdhsa_user_sgpr_kernarg_preload_length 0
		.amdhsa_user_sgpr_kernarg_preload_offset 0
		.amdhsa_user_sgpr_private_segment_size 0
		.amdhsa_wavefront_size32 1
		.amdhsa_uses_dynamic_stack 0
		.amdhsa_enable_private_segment 0
		.amdhsa_system_sgpr_workgroup_id_x 1
		.amdhsa_system_sgpr_workgroup_id_y 0
		.amdhsa_system_sgpr_workgroup_id_z 0
		.amdhsa_system_sgpr_workgroup_info 0
		.amdhsa_system_vgpr_workitem_id 0
		.amdhsa_next_free_vgpr 1
		.amdhsa_next_free_sgpr 1
		.amdhsa_named_barrier_count 0
		.amdhsa_reserve_vcc 0
		.amdhsa_float_round_mode_32 0
		.amdhsa_float_round_mode_16_64 0
		.amdhsa_float_denorm_mode_32 3
		.amdhsa_float_denorm_mode_16_64 3
		.amdhsa_fp16_overflow 0
		.amdhsa_memory_ordered 1
		.amdhsa_forward_progress 1
		.amdhsa_inst_pref_size 0
		.amdhsa_round_robin_scheduling 0
		.amdhsa_exception_fp_ieee_invalid_op 0
		.amdhsa_exception_fp_denorm_src 0
		.amdhsa_exception_fp_ieee_div_zero 0
		.amdhsa_exception_fp_ieee_overflow 0
		.amdhsa_exception_fp_ieee_underflow 0
		.amdhsa_exception_fp_ieee_inexact 0
		.amdhsa_exception_int_div_zero 0
	.end_amdhsa_kernel
	.section	.text._ZN7rocprim17ROCPRIM_400000_NS6detail17trampoline_kernelINS0_14default_configENS1_38merge_sort_block_merge_config_selectorIlNS0_10empty_typeEEEZZNS1_27merge_sort_block_merge_implIS3_PlPS5_mZN2at6native12_GLOBAL__N_124unique_dim_cuda_templateIfEESt5tupleIJNSA_6TensorESF_SF_EERKSF_lbbbEUlllE_EE10hipError_tT0_T1_T2_jT3_P12ihipStream_tbPNSt15iterator_traitsISL_E10value_typeEPNSR_ISM_E10value_typeEPSN_NS1_7vsmem_tEENKUlT_SL_SM_SN_E_clIS8_S8_S9_S9_EESK_S10_SL_SM_SN_EUlS10_E_NS1_11comp_targetILNS1_3genE3ELNS1_11target_archE908ELNS1_3gpuE7ELNS1_3repE0EEENS1_48merge_mergepath_partition_config_static_selectorELNS0_4arch9wavefront6targetE0EEEvSM_,"axG",@progbits,_ZN7rocprim17ROCPRIM_400000_NS6detail17trampoline_kernelINS0_14default_configENS1_38merge_sort_block_merge_config_selectorIlNS0_10empty_typeEEEZZNS1_27merge_sort_block_merge_implIS3_PlPS5_mZN2at6native12_GLOBAL__N_124unique_dim_cuda_templateIfEESt5tupleIJNSA_6TensorESF_SF_EERKSF_lbbbEUlllE_EE10hipError_tT0_T1_T2_jT3_P12ihipStream_tbPNSt15iterator_traitsISL_E10value_typeEPNSR_ISM_E10value_typeEPSN_NS1_7vsmem_tEENKUlT_SL_SM_SN_E_clIS8_S8_S9_S9_EESK_S10_SL_SM_SN_EUlS10_E_NS1_11comp_targetILNS1_3genE3ELNS1_11target_archE908ELNS1_3gpuE7ELNS1_3repE0EEENS1_48merge_mergepath_partition_config_static_selectorELNS0_4arch9wavefront6targetE0EEEvSM_,comdat
.Lfunc_end884:
	.size	_ZN7rocprim17ROCPRIM_400000_NS6detail17trampoline_kernelINS0_14default_configENS1_38merge_sort_block_merge_config_selectorIlNS0_10empty_typeEEEZZNS1_27merge_sort_block_merge_implIS3_PlPS5_mZN2at6native12_GLOBAL__N_124unique_dim_cuda_templateIfEESt5tupleIJNSA_6TensorESF_SF_EERKSF_lbbbEUlllE_EE10hipError_tT0_T1_T2_jT3_P12ihipStream_tbPNSt15iterator_traitsISL_E10value_typeEPNSR_ISM_E10value_typeEPSN_NS1_7vsmem_tEENKUlT_SL_SM_SN_E_clIS8_S8_S9_S9_EESK_S10_SL_SM_SN_EUlS10_E_NS1_11comp_targetILNS1_3genE3ELNS1_11target_archE908ELNS1_3gpuE7ELNS1_3repE0EEENS1_48merge_mergepath_partition_config_static_selectorELNS0_4arch9wavefront6targetE0EEEvSM_, .Lfunc_end884-_ZN7rocprim17ROCPRIM_400000_NS6detail17trampoline_kernelINS0_14default_configENS1_38merge_sort_block_merge_config_selectorIlNS0_10empty_typeEEEZZNS1_27merge_sort_block_merge_implIS3_PlPS5_mZN2at6native12_GLOBAL__N_124unique_dim_cuda_templateIfEESt5tupleIJNSA_6TensorESF_SF_EERKSF_lbbbEUlllE_EE10hipError_tT0_T1_T2_jT3_P12ihipStream_tbPNSt15iterator_traitsISL_E10value_typeEPNSR_ISM_E10value_typeEPSN_NS1_7vsmem_tEENKUlT_SL_SM_SN_E_clIS8_S8_S9_S9_EESK_S10_SL_SM_SN_EUlS10_E_NS1_11comp_targetILNS1_3genE3ELNS1_11target_archE908ELNS1_3gpuE7ELNS1_3repE0EEENS1_48merge_mergepath_partition_config_static_selectorELNS0_4arch9wavefront6targetE0EEEvSM_
                                        ; -- End function
	.set _ZN7rocprim17ROCPRIM_400000_NS6detail17trampoline_kernelINS0_14default_configENS1_38merge_sort_block_merge_config_selectorIlNS0_10empty_typeEEEZZNS1_27merge_sort_block_merge_implIS3_PlPS5_mZN2at6native12_GLOBAL__N_124unique_dim_cuda_templateIfEESt5tupleIJNSA_6TensorESF_SF_EERKSF_lbbbEUlllE_EE10hipError_tT0_T1_T2_jT3_P12ihipStream_tbPNSt15iterator_traitsISL_E10value_typeEPNSR_ISM_E10value_typeEPSN_NS1_7vsmem_tEENKUlT_SL_SM_SN_E_clIS8_S8_S9_S9_EESK_S10_SL_SM_SN_EUlS10_E_NS1_11comp_targetILNS1_3genE3ELNS1_11target_archE908ELNS1_3gpuE7ELNS1_3repE0EEENS1_48merge_mergepath_partition_config_static_selectorELNS0_4arch9wavefront6targetE0EEEvSM_.num_vgpr, 0
	.set _ZN7rocprim17ROCPRIM_400000_NS6detail17trampoline_kernelINS0_14default_configENS1_38merge_sort_block_merge_config_selectorIlNS0_10empty_typeEEEZZNS1_27merge_sort_block_merge_implIS3_PlPS5_mZN2at6native12_GLOBAL__N_124unique_dim_cuda_templateIfEESt5tupleIJNSA_6TensorESF_SF_EERKSF_lbbbEUlllE_EE10hipError_tT0_T1_T2_jT3_P12ihipStream_tbPNSt15iterator_traitsISL_E10value_typeEPNSR_ISM_E10value_typeEPSN_NS1_7vsmem_tEENKUlT_SL_SM_SN_E_clIS8_S8_S9_S9_EESK_S10_SL_SM_SN_EUlS10_E_NS1_11comp_targetILNS1_3genE3ELNS1_11target_archE908ELNS1_3gpuE7ELNS1_3repE0EEENS1_48merge_mergepath_partition_config_static_selectorELNS0_4arch9wavefront6targetE0EEEvSM_.num_agpr, 0
	.set _ZN7rocprim17ROCPRIM_400000_NS6detail17trampoline_kernelINS0_14default_configENS1_38merge_sort_block_merge_config_selectorIlNS0_10empty_typeEEEZZNS1_27merge_sort_block_merge_implIS3_PlPS5_mZN2at6native12_GLOBAL__N_124unique_dim_cuda_templateIfEESt5tupleIJNSA_6TensorESF_SF_EERKSF_lbbbEUlllE_EE10hipError_tT0_T1_T2_jT3_P12ihipStream_tbPNSt15iterator_traitsISL_E10value_typeEPNSR_ISM_E10value_typeEPSN_NS1_7vsmem_tEENKUlT_SL_SM_SN_E_clIS8_S8_S9_S9_EESK_S10_SL_SM_SN_EUlS10_E_NS1_11comp_targetILNS1_3genE3ELNS1_11target_archE908ELNS1_3gpuE7ELNS1_3repE0EEENS1_48merge_mergepath_partition_config_static_selectorELNS0_4arch9wavefront6targetE0EEEvSM_.numbered_sgpr, 0
	.set _ZN7rocprim17ROCPRIM_400000_NS6detail17trampoline_kernelINS0_14default_configENS1_38merge_sort_block_merge_config_selectorIlNS0_10empty_typeEEEZZNS1_27merge_sort_block_merge_implIS3_PlPS5_mZN2at6native12_GLOBAL__N_124unique_dim_cuda_templateIfEESt5tupleIJNSA_6TensorESF_SF_EERKSF_lbbbEUlllE_EE10hipError_tT0_T1_T2_jT3_P12ihipStream_tbPNSt15iterator_traitsISL_E10value_typeEPNSR_ISM_E10value_typeEPSN_NS1_7vsmem_tEENKUlT_SL_SM_SN_E_clIS8_S8_S9_S9_EESK_S10_SL_SM_SN_EUlS10_E_NS1_11comp_targetILNS1_3genE3ELNS1_11target_archE908ELNS1_3gpuE7ELNS1_3repE0EEENS1_48merge_mergepath_partition_config_static_selectorELNS0_4arch9wavefront6targetE0EEEvSM_.num_named_barrier, 0
	.set _ZN7rocprim17ROCPRIM_400000_NS6detail17trampoline_kernelINS0_14default_configENS1_38merge_sort_block_merge_config_selectorIlNS0_10empty_typeEEEZZNS1_27merge_sort_block_merge_implIS3_PlPS5_mZN2at6native12_GLOBAL__N_124unique_dim_cuda_templateIfEESt5tupleIJNSA_6TensorESF_SF_EERKSF_lbbbEUlllE_EE10hipError_tT0_T1_T2_jT3_P12ihipStream_tbPNSt15iterator_traitsISL_E10value_typeEPNSR_ISM_E10value_typeEPSN_NS1_7vsmem_tEENKUlT_SL_SM_SN_E_clIS8_S8_S9_S9_EESK_S10_SL_SM_SN_EUlS10_E_NS1_11comp_targetILNS1_3genE3ELNS1_11target_archE908ELNS1_3gpuE7ELNS1_3repE0EEENS1_48merge_mergepath_partition_config_static_selectorELNS0_4arch9wavefront6targetE0EEEvSM_.private_seg_size, 0
	.set _ZN7rocprim17ROCPRIM_400000_NS6detail17trampoline_kernelINS0_14default_configENS1_38merge_sort_block_merge_config_selectorIlNS0_10empty_typeEEEZZNS1_27merge_sort_block_merge_implIS3_PlPS5_mZN2at6native12_GLOBAL__N_124unique_dim_cuda_templateIfEESt5tupleIJNSA_6TensorESF_SF_EERKSF_lbbbEUlllE_EE10hipError_tT0_T1_T2_jT3_P12ihipStream_tbPNSt15iterator_traitsISL_E10value_typeEPNSR_ISM_E10value_typeEPSN_NS1_7vsmem_tEENKUlT_SL_SM_SN_E_clIS8_S8_S9_S9_EESK_S10_SL_SM_SN_EUlS10_E_NS1_11comp_targetILNS1_3genE3ELNS1_11target_archE908ELNS1_3gpuE7ELNS1_3repE0EEENS1_48merge_mergepath_partition_config_static_selectorELNS0_4arch9wavefront6targetE0EEEvSM_.uses_vcc, 0
	.set _ZN7rocprim17ROCPRIM_400000_NS6detail17trampoline_kernelINS0_14default_configENS1_38merge_sort_block_merge_config_selectorIlNS0_10empty_typeEEEZZNS1_27merge_sort_block_merge_implIS3_PlPS5_mZN2at6native12_GLOBAL__N_124unique_dim_cuda_templateIfEESt5tupleIJNSA_6TensorESF_SF_EERKSF_lbbbEUlllE_EE10hipError_tT0_T1_T2_jT3_P12ihipStream_tbPNSt15iterator_traitsISL_E10value_typeEPNSR_ISM_E10value_typeEPSN_NS1_7vsmem_tEENKUlT_SL_SM_SN_E_clIS8_S8_S9_S9_EESK_S10_SL_SM_SN_EUlS10_E_NS1_11comp_targetILNS1_3genE3ELNS1_11target_archE908ELNS1_3gpuE7ELNS1_3repE0EEENS1_48merge_mergepath_partition_config_static_selectorELNS0_4arch9wavefront6targetE0EEEvSM_.uses_flat_scratch, 0
	.set _ZN7rocprim17ROCPRIM_400000_NS6detail17trampoline_kernelINS0_14default_configENS1_38merge_sort_block_merge_config_selectorIlNS0_10empty_typeEEEZZNS1_27merge_sort_block_merge_implIS3_PlPS5_mZN2at6native12_GLOBAL__N_124unique_dim_cuda_templateIfEESt5tupleIJNSA_6TensorESF_SF_EERKSF_lbbbEUlllE_EE10hipError_tT0_T1_T2_jT3_P12ihipStream_tbPNSt15iterator_traitsISL_E10value_typeEPNSR_ISM_E10value_typeEPSN_NS1_7vsmem_tEENKUlT_SL_SM_SN_E_clIS8_S8_S9_S9_EESK_S10_SL_SM_SN_EUlS10_E_NS1_11comp_targetILNS1_3genE3ELNS1_11target_archE908ELNS1_3gpuE7ELNS1_3repE0EEENS1_48merge_mergepath_partition_config_static_selectorELNS0_4arch9wavefront6targetE0EEEvSM_.has_dyn_sized_stack, 0
	.set _ZN7rocprim17ROCPRIM_400000_NS6detail17trampoline_kernelINS0_14default_configENS1_38merge_sort_block_merge_config_selectorIlNS0_10empty_typeEEEZZNS1_27merge_sort_block_merge_implIS3_PlPS5_mZN2at6native12_GLOBAL__N_124unique_dim_cuda_templateIfEESt5tupleIJNSA_6TensorESF_SF_EERKSF_lbbbEUlllE_EE10hipError_tT0_T1_T2_jT3_P12ihipStream_tbPNSt15iterator_traitsISL_E10value_typeEPNSR_ISM_E10value_typeEPSN_NS1_7vsmem_tEENKUlT_SL_SM_SN_E_clIS8_S8_S9_S9_EESK_S10_SL_SM_SN_EUlS10_E_NS1_11comp_targetILNS1_3genE3ELNS1_11target_archE908ELNS1_3gpuE7ELNS1_3repE0EEENS1_48merge_mergepath_partition_config_static_selectorELNS0_4arch9wavefront6targetE0EEEvSM_.has_recursion, 0
	.set _ZN7rocprim17ROCPRIM_400000_NS6detail17trampoline_kernelINS0_14default_configENS1_38merge_sort_block_merge_config_selectorIlNS0_10empty_typeEEEZZNS1_27merge_sort_block_merge_implIS3_PlPS5_mZN2at6native12_GLOBAL__N_124unique_dim_cuda_templateIfEESt5tupleIJNSA_6TensorESF_SF_EERKSF_lbbbEUlllE_EE10hipError_tT0_T1_T2_jT3_P12ihipStream_tbPNSt15iterator_traitsISL_E10value_typeEPNSR_ISM_E10value_typeEPSN_NS1_7vsmem_tEENKUlT_SL_SM_SN_E_clIS8_S8_S9_S9_EESK_S10_SL_SM_SN_EUlS10_E_NS1_11comp_targetILNS1_3genE3ELNS1_11target_archE908ELNS1_3gpuE7ELNS1_3repE0EEENS1_48merge_mergepath_partition_config_static_selectorELNS0_4arch9wavefront6targetE0EEEvSM_.has_indirect_call, 0
	.section	.AMDGPU.csdata,"",@progbits
; Kernel info:
; codeLenInByte = 0
; TotalNumSgprs: 0
; NumVgprs: 0
; ScratchSize: 0
; MemoryBound: 0
; FloatMode: 240
; IeeeMode: 1
; LDSByteSize: 0 bytes/workgroup (compile time only)
; SGPRBlocks: 0
; VGPRBlocks: 0
; NumSGPRsForWavesPerEU: 1
; NumVGPRsForWavesPerEU: 1
; NamedBarCnt: 0
; Occupancy: 16
; WaveLimiterHint : 0
; COMPUTE_PGM_RSRC2:SCRATCH_EN: 0
; COMPUTE_PGM_RSRC2:USER_SGPR: 2
; COMPUTE_PGM_RSRC2:TRAP_HANDLER: 0
; COMPUTE_PGM_RSRC2:TGID_X_EN: 1
; COMPUTE_PGM_RSRC2:TGID_Y_EN: 0
; COMPUTE_PGM_RSRC2:TGID_Z_EN: 0
; COMPUTE_PGM_RSRC2:TIDIG_COMP_CNT: 0
	.section	.text._ZN7rocprim17ROCPRIM_400000_NS6detail17trampoline_kernelINS0_14default_configENS1_38merge_sort_block_merge_config_selectorIlNS0_10empty_typeEEEZZNS1_27merge_sort_block_merge_implIS3_PlPS5_mZN2at6native12_GLOBAL__N_124unique_dim_cuda_templateIfEESt5tupleIJNSA_6TensorESF_SF_EERKSF_lbbbEUlllE_EE10hipError_tT0_T1_T2_jT3_P12ihipStream_tbPNSt15iterator_traitsISL_E10value_typeEPNSR_ISM_E10value_typeEPSN_NS1_7vsmem_tEENKUlT_SL_SM_SN_E_clIS8_S8_S9_S9_EESK_S10_SL_SM_SN_EUlS10_E_NS1_11comp_targetILNS1_3genE2ELNS1_11target_archE906ELNS1_3gpuE6ELNS1_3repE0EEENS1_48merge_mergepath_partition_config_static_selectorELNS0_4arch9wavefront6targetE0EEEvSM_,"axG",@progbits,_ZN7rocprim17ROCPRIM_400000_NS6detail17trampoline_kernelINS0_14default_configENS1_38merge_sort_block_merge_config_selectorIlNS0_10empty_typeEEEZZNS1_27merge_sort_block_merge_implIS3_PlPS5_mZN2at6native12_GLOBAL__N_124unique_dim_cuda_templateIfEESt5tupleIJNSA_6TensorESF_SF_EERKSF_lbbbEUlllE_EE10hipError_tT0_T1_T2_jT3_P12ihipStream_tbPNSt15iterator_traitsISL_E10value_typeEPNSR_ISM_E10value_typeEPSN_NS1_7vsmem_tEENKUlT_SL_SM_SN_E_clIS8_S8_S9_S9_EESK_S10_SL_SM_SN_EUlS10_E_NS1_11comp_targetILNS1_3genE2ELNS1_11target_archE906ELNS1_3gpuE6ELNS1_3repE0EEENS1_48merge_mergepath_partition_config_static_selectorELNS0_4arch9wavefront6targetE0EEEvSM_,comdat
	.globl	_ZN7rocprim17ROCPRIM_400000_NS6detail17trampoline_kernelINS0_14default_configENS1_38merge_sort_block_merge_config_selectorIlNS0_10empty_typeEEEZZNS1_27merge_sort_block_merge_implIS3_PlPS5_mZN2at6native12_GLOBAL__N_124unique_dim_cuda_templateIfEESt5tupleIJNSA_6TensorESF_SF_EERKSF_lbbbEUlllE_EE10hipError_tT0_T1_T2_jT3_P12ihipStream_tbPNSt15iterator_traitsISL_E10value_typeEPNSR_ISM_E10value_typeEPSN_NS1_7vsmem_tEENKUlT_SL_SM_SN_E_clIS8_S8_S9_S9_EESK_S10_SL_SM_SN_EUlS10_E_NS1_11comp_targetILNS1_3genE2ELNS1_11target_archE906ELNS1_3gpuE6ELNS1_3repE0EEENS1_48merge_mergepath_partition_config_static_selectorELNS0_4arch9wavefront6targetE0EEEvSM_ ; -- Begin function _ZN7rocprim17ROCPRIM_400000_NS6detail17trampoline_kernelINS0_14default_configENS1_38merge_sort_block_merge_config_selectorIlNS0_10empty_typeEEEZZNS1_27merge_sort_block_merge_implIS3_PlPS5_mZN2at6native12_GLOBAL__N_124unique_dim_cuda_templateIfEESt5tupleIJNSA_6TensorESF_SF_EERKSF_lbbbEUlllE_EE10hipError_tT0_T1_T2_jT3_P12ihipStream_tbPNSt15iterator_traitsISL_E10value_typeEPNSR_ISM_E10value_typeEPSN_NS1_7vsmem_tEENKUlT_SL_SM_SN_E_clIS8_S8_S9_S9_EESK_S10_SL_SM_SN_EUlS10_E_NS1_11comp_targetILNS1_3genE2ELNS1_11target_archE906ELNS1_3gpuE6ELNS1_3repE0EEENS1_48merge_mergepath_partition_config_static_selectorELNS0_4arch9wavefront6targetE0EEEvSM_
	.p2align	8
	.type	_ZN7rocprim17ROCPRIM_400000_NS6detail17trampoline_kernelINS0_14default_configENS1_38merge_sort_block_merge_config_selectorIlNS0_10empty_typeEEEZZNS1_27merge_sort_block_merge_implIS3_PlPS5_mZN2at6native12_GLOBAL__N_124unique_dim_cuda_templateIfEESt5tupleIJNSA_6TensorESF_SF_EERKSF_lbbbEUlllE_EE10hipError_tT0_T1_T2_jT3_P12ihipStream_tbPNSt15iterator_traitsISL_E10value_typeEPNSR_ISM_E10value_typeEPSN_NS1_7vsmem_tEENKUlT_SL_SM_SN_E_clIS8_S8_S9_S9_EESK_S10_SL_SM_SN_EUlS10_E_NS1_11comp_targetILNS1_3genE2ELNS1_11target_archE906ELNS1_3gpuE6ELNS1_3repE0EEENS1_48merge_mergepath_partition_config_static_selectorELNS0_4arch9wavefront6targetE0EEEvSM_,@function
_ZN7rocprim17ROCPRIM_400000_NS6detail17trampoline_kernelINS0_14default_configENS1_38merge_sort_block_merge_config_selectorIlNS0_10empty_typeEEEZZNS1_27merge_sort_block_merge_implIS3_PlPS5_mZN2at6native12_GLOBAL__N_124unique_dim_cuda_templateIfEESt5tupleIJNSA_6TensorESF_SF_EERKSF_lbbbEUlllE_EE10hipError_tT0_T1_T2_jT3_P12ihipStream_tbPNSt15iterator_traitsISL_E10value_typeEPNSR_ISM_E10value_typeEPSN_NS1_7vsmem_tEENKUlT_SL_SM_SN_E_clIS8_S8_S9_S9_EESK_S10_SL_SM_SN_EUlS10_E_NS1_11comp_targetILNS1_3genE2ELNS1_11target_archE906ELNS1_3gpuE6ELNS1_3repE0EEENS1_48merge_mergepath_partition_config_static_selectorELNS0_4arch9wavefront6targetE0EEEvSM_: ; @_ZN7rocprim17ROCPRIM_400000_NS6detail17trampoline_kernelINS0_14default_configENS1_38merge_sort_block_merge_config_selectorIlNS0_10empty_typeEEEZZNS1_27merge_sort_block_merge_implIS3_PlPS5_mZN2at6native12_GLOBAL__N_124unique_dim_cuda_templateIfEESt5tupleIJNSA_6TensorESF_SF_EERKSF_lbbbEUlllE_EE10hipError_tT0_T1_T2_jT3_P12ihipStream_tbPNSt15iterator_traitsISL_E10value_typeEPNSR_ISM_E10value_typeEPSN_NS1_7vsmem_tEENKUlT_SL_SM_SN_E_clIS8_S8_S9_S9_EESK_S10_SL_SM_SN_EUlS10_E_NS1_11comp_targetILNS1_3genE2ELNS1_11target_archE906ELNS1_3gpuE6ELNS1_3repE0EEENS1_48merge_mergepath_partition_config_static_selectorELNS0_4arch9wavefront6targetE0EEEvSM_
; %bb.0:
	.section	.rodata,"a",@progbits
	.p2align	6, 0x0
	.amdhsa_kernel _ZN7rocprim17ROCPRIM_400000_NS6detail17trampoline_kernelINS0_14default_configENS1_38merge_sort_block_merge_config_selectorIlNS0_10empty_typeEEEZZNS1_27merge_sort_block_merge_implIS3_PlPS5_mZN2at6native12_GLOBAL__N_124unique_dim_cuda_templateIfEESt5tupleIJNSA_6TensorESF_SF_EERKSF_lbbbEUlllE_EE10hipError_tT0_T1_T2_jT3_P12ihipStream_tbPNSt15iterator_traitsISL_E10value_typeEPNSR_ISM_E10value_typeEPSN_NS1_7vsmem_tEENKUlT_SL_SM_SN_E_clIS8_S8_S9_S9_EESK_S10_SL_SM_SN_EUlS10_E_NS1_11comp_targetILNS1_3genE2ELNS1_11target_archE906ELNS1_3gpuE6ELNS1_3repE0EEENS1_48merge_mergepath_partition_config_static_selectorELNS0_4arch9wavefront6targetE0EEEvSM_
		.amdhsa_group_segment_fixed_size 0
		.amdhsa_private_segment_fixed_size 0
		.amdhsa_kernarg_size 56
		.amdhsa_user_sgpr_count 2
		.amdhsa_user_sgpr_dispatch_ptr 0
		.amdhsa_user_sgpr_queue_ptr 0
		.amdhsa_user_sgpr_kernarg_segment_ptr 1
		.amdhsa_user_sgpr_dispatch_id 0
		.amdhsa_user_sgpr_kernarg_preload_length 0
		.amdhsa_user_sgpr_kernarg_preload_offset 0
		.amdhsa_user_sgpr_private_segment_size 0
		.amdhsa_wavefront_size32 1
		.amdhsa_uses_dynamic_stack 0
		.amdhsa_enable_private_segment 0
		.amdhsa_system_sgpr_workgroup_id_x 1
		.amdhsa_system_sgpr_workgroup_id_y 0
		.amdhsa_system_sgpr_workgroup_id_z 0
		.amdhsa_system_sgpr_workgroup_info 0
		.amdhsa_system_vgpr_workitem_id 0
		.amdhsa_next_free_vgpr 1
		.amdhsa_next_free_sgpr 1
		.amdhsa_named_barrier_count 0
		.amdhsa_reserve_vcc 0
		.amdhsa_float_round_mode_32 0
		.amdhsa_float_round_mode_16_64 0
		.amdhsa_float_denorm_mode_32 3
		.amdhsa_float_denorm_mode_16_64 3
		.amdhsa_fp16_overflow 0
		.amdhsa_memory_ordered 1
		.amdhsa_forward_progress 1
		.amdhsa_inst_pref_size 0
		.amdhsa_round_robin_scheduling 0
		.amdhsa_exception_fp_ieee_invalid_op 0
		.amdhsa_exception_fp_denorm_src 0
		.amdhsa_exception_fp_ieee_div_zero 0
		.amdhsa_exception_fp_ieee_overflow 0
		.amdhsa_exception_fp_ieee_underflow 0
		.amdhsa_exception_fp_ieee_inexact 0
		.amdhsa_exception_int_div_zero 0
	.end_amdhsa_kernel
	.section	.text._ZN7rocprim17ROCPRIM_400000_NS6detail17trampoline_kernelINS0_14default_configENS1_38merge_sort_block_merge_config_selectorIlNS0_10empty_typeEEEZZNS1_27merge_sort_block_merge_implIS3_PlPS5_mZN2at6native12_GLOBAL__N_124unique_dim_cuda_templateIfEESt5tupleIJNSA_6TensorESF_SF_EERKSF_lbbbEUlllE_EE10hipError_tT0_T1_T2_jT3_P12ihipStream_tbPNSt15iterator_traitsISL_E10value_typeEPNSR_ISM_E10value_typeEPSN_NS1_7vsmem_tEENKUlT_SL_SM_SN_E_clIS8_S8_S9_S9_EESK_S10_SL_SM_SN_EUlS10_E_NS1_11comp_targetILNS1_3genE2ELNS1_11target_archE906ELNS1_3gpuE6ELNS1_3repE0EEENS1_48merge_mergepath_partition_config_static_selectorELNS0_4arch9wavefront6targetE0EEEvSM_,"axG",@progbits,_ZN7rocprim17ROCPRIM_400000_NS6detail17trampoline_kernelINS0_14default_configENS1_38merge_sort_block_merge_config_selectorIlNS0_10empty_typeEEEZZNS1_27merge_sort_block_merge_implIS3_PlPS5_mZN2at6native12_GLOBAL__N_124unique_dim_cuda_templateIfEESt5tupleIJNSA_6TensorESF_SF_EERKSF_lbbbEUlllE_EE10hipError_tT0_T1_T2_jT3_P12ihipStream_tbPNSt15iterator_traitsISL_E10value_typeEPNSR_ISM_E10value_typeEPSN_NS1_7vsmem_tEENKUlT_SL_SM_SN_E_clIS8_S8_S9_S9_EESK_S10_SL_SM_SN_EUlS10_E_NS1_11comp_targetILNS1_3genE2ELNS1_11target_archE906ELNS1_3gpuE6ELNS1_3repE0EEENS1_48merge_mergepath_partition_config_static_selectorELNS0_4arch9wavefront6targetE0EEEvSM_,comdat
.Lfunc_end885:
	.size	_ZN7rocprim17ROCPRIM_400000_NS6detail17trampoline_kernelINS0_14default_configENS1_38merge_sort_block_merge_config_selectorIlNS0_10empty_typeEEEZZNS1_27merge_sort_block_merge_implIS3_PlPS5_mZN2at6native12_GLOBAL__N_124unique_dim_cuda_templateIfEESt5tupleIJNSA_6TensorESF_SF_EERKSF_lbbbEUlllE_EE10hipError_tT0_T1_T2_jT3_P12ihipStream_tbPNSt15iterator_traitsISL_E10value_typeEPNSR_ISM_E10value_typeEPSN_NS1_7vsmem_tEENKUlT_SL_SM_SN_E_clIS8_S8_S9_S9_EESK_S10_SL_SM_SN_EUlS10_E_NS1_11comp_targetILNS1_3genE2ELNS1_11target_archE906ELNS1_3gpuE6ELNS1_3repE0EEENS1_48merge_mergepath_partition_config_static_selectorELNS0_4arch9wavefront6targetE0EEEvSM_, .Lfunc_end885-_ZN7rocprim17ROCPRIM_400000_NS6detail17trampoline_kernelINS0_14default_configENS1_38merge_sort_block_merge_config_selectorIlNS0_10empty_typeEEEZZNS1_27merge_sort_block_merge_implIS3_PlPS5_mZN2at6native12_GLOBAL__N_124unique_dim_cuda_templateIfEESt5tupleIJNSA_6TensorESF_SF_EERKSF_lbbbEUlllE_EE10hipError_tT0_T1_T2_jT3_P12ihipStream_tbPNSt15iterator_traitsISL_E10value_typeEPNSR_ISM_E10value_typeEPSN_NS1_7vsmem_tEENKUlT_SL_SM_SN_E_clIS8_S8_S9_S9_EESK_S10_SL_SM_SN_EUlS10_E_NS1_11comp_targetILNS1_3genE2ELNS1_11target_archE906ELNS1_3gpuE6ELNS1_3repE0EEENS1_48merge_mergepath_partition_config_static_selectorELNS0_4arch9wavefront6targetE0EEEvSM_
                                        ; -- End function
	.set _ZN7rocprim17ROCPRIM_400000_NS6detail17trampoline_kernelINS0_14default_configENS1_38merge_sort_block_merge_config_selectorIlNS0_10empty_typeEEEZZNS1_27merge_sort_block_merge_implIS3_PlPS5_mZN2at6native12_GLOBAL__N_124unique_dim_cuda_templateIfEESt5tupleIJNSA_6TensorESF_SF_EERKSF_lbbbEUlllE_EE10hipError_tT0_T1_T2_jT3_P12ihipStream_tbPNSt15iterator_traitsISL_E10value_typeEPNSR_ISM_E10value_typeEPSN_NS1_7vsmem_tEENKUlT_SL_SM_SN_E_clIS8_S8_S9_S9_EESK_S10_SL_SM_SN_EUlS10_E_NS1_11comp_targetILNS1_3genE2ELNS1_11target_archE906ELNS1_3gpuE6ELNS1_3repE0EEENS1_48merge_mergepath_partition_config_static_selectorELNS0_4arch9wavefront6targetE0EEEvSM_.num_vgpr, 0
	.set _ZN7rocprim17ROCPRIM_400000_NS6detail17trampoline_kernelINS0_14default_configENS1_38merge_sort_block_merge_config_selectorIlNS0_10empty_typeEEEZZNS1_27merge_sort_block_merge_implIS3_PlPS5_mZN2at6native12_GLOBAL__N_124unique_dim_cuda_templateIfEESt5tupleIJNSA_6TensorESF_SF_EERKSF_lbbbEUlllE_EE10hipError_tT0_T1_T2_jT3_P12ihipStream_tbPNSt15iterator_traitsISL_E10value_typeEPNSR_ISM_E10value_typeEPSN_NS1_7vsmem_tEENKUlT_SL_SM_SN_E_clIS8_S8_S9_S9_EESK_S10_SL_SM_SN_EUlS10_E_NS1_11comp_targetILNS1_3genE2ELNS1_11target_archE906ELNS1_3gpuE6ELNS1_3repE0EEENS1_48merge_mergepath_partition_config_static_selectorELNS0_4arch9wavefront6targetE0EEEvSM_.num_agpr, 0
	.set _ZN7rocprim17ROCPRIM_400000_NS6detail17trampoline_kernelINS0_14default_configENS1_38merge_sort_block_merge_config_selectorIlNS0_10empty_typeEEEZZNS1_27merge_sort_block_merge_implIS3_PlPS5_mZN2at6native12_GLOBAL__N_124unique_dim_cuda_templateIfEESt5tupleIJNSA_6TensorESF_SF_EERKSF_lbbbEUlllE_EE10hipError_tT0_T1_T2_jT3_P12ihipStream_tbPNSt15iterator_traitsISL_E10value_typeEPNSR_ISM_E10value_typeEPSN_NS1_7vsmem_tEENKUlT_SL_SM_SN_E_clIS8_S8_S9_S9_EESK_S10_SL_SM_SN_EUlS10_E_NS1_11comp_targetILNS1_3genE2ELNS1_11target_archE906ELNS1_3gpuE6ELNS1_3repE0EEENS1_48merge_mergepath_partition_config_static_selectorELNS0_4arch9wavefront6targetE0EEEvSM_.numbered_sgpr, 0
	.set _ZN7rocprim17ROCPRIM_400000_NS6detail17trampoline_kernelINS0_14default_configENS1_38merge_sort_block_merge_config_selectorIlNS0_10empty_typeEEEZZNS1_27merge_sort_block_merge_implIS3_PlPS5_mZN2at6native12_GLOBAL__N_124unique_dim_cuda_templateIfEESt5tupleIJNSA_6TensorESF_SF_EERKSF_lbbbEUlllE_EE10hipError_tT0_T1_T2_jT3_P12ihipStream_tbPNSt15iterator_traitsISL_E10value_typeEPNSR_ISM_E10value_typeEPSN_NS1_7vsmem_tEENKUlT_SL_SM_SN_E_clIS8_S8_S9_S9_EESK_S10_SL_SM_SN_EUlS10_E_NS1_11comp_targetILNS1_3genE2ELNS1_11target_archE906ELNS1_3gpuE6ELNS1_3repE0EEENS1_48merge_mergepath_partition_config_static_selectorELNS0_4arch9wavefront6targetE0EEEvSM_.num_named_barrier, 0
	.set _ZN7rocprim17ROCPRIM_400000_NS6detail17trampoline_kernelINS0_14default_configENS1_38merge_sort_block_merge_config_selectorIlNS0_10empty_typeEEEZZNS1_27merge_sort_block_merge_implIS3_PlPS5_mZN2at6native12_GLOBAL__N_124unique_dim_cuda_templateIfEESt5tupleIJNSA_6TensorESF_SF_EERKSF_lbbbEUlllE_EE10hipError_tT0_T1_T2_jT3_P12ihipStream_tbPNSt15iterator_traitsISL_E10value_typeEPNSR_ISM_E10value_typeEPSN_NS1_7vsmem_tEENKUlT_SL_SM_SN_E_clIS8_S8_S9_S9_EESK_S10_SL_SM_SN_EUlS10_E_NS1_11comp_targetILNS1_3genE2ELNS1_11target_archE906ELNS1_3gpuE6ELNS1_3repE0EEENS1_48merge_mergepath_partition_config_static_selectorELNS0_4arch9wavefront6targetE0EEEvSM_.private_seg_size, 0
	.set _ZN7rocprim17ROCPRIM_400000_NS6detail17trampoline_kernelINS0_14default_configENS1_38merge_sort_block_merge_config_selectorIlNS0_10empty_typeEEEZZNS1_27merge_sort_block_merge_implIS3_PlPS5_mZN2at6native12_GLOBAL__N_124unique_dim_cuda_templateIfEESt5tupleIJNSA_6TensorESF_SF_EERKSF_lbbbEUlllE_EE10hipError_tT0_T1_T2_jT3_P12ihipStream_tbPNSt15iterator_traitsISL_E10value_typeEPNSR_ISM_E10value_typeEPSN_NS1_7vsmem_tEENKUlT_SL_SM_SN_E_clIS8_S8_S9_S9_EESK_S10_SL_SM_SN_EUlS10_E_NS1_11comp_targetILNS1_3genE2ELNS1_11target_archE906ELNS1_3gpuE6ELNS1_3repE0EEENS1_48merge_mergepath_partition_config_static_selectorELNS0_4arch9wavefront6targetE0EEEvSM_.uses_vcc, 0
	.set _ZN7rocprim17ROCPRIM_400000_NS6detail17trampoline_kernelINS0_14default_configENS1_38merge_sort_block_merge_config_selectorIlNS0_10empty_typeEEEZZNS1_27merge_sort_block_merge_implIS3_PlPS5_mZN2at6native12_GLOBAL__N_124unique_dim_cuda_templateIfEESt5tupleIJNSA_6TensorESF_SF_EERKSF_lbbbEUlllE_EE10hipError_tT0_T1_T2_jT3_P12ihipStream_tbPNSt15iterator_traitsISL_E10value_typeEPNSR_ISM_E10value_typeEPSN_NS1_7vsmem_tEENKUlT_SL_SM_SN_E_clIS8_S8_S9_S9_EESK_S10_SL_SM_SN_EUlS10_E_NS1_11comp_targetILNS1_3genE2ELNS1_11target_archE906ELNS1_3gpuE6ELNS1_3repE0EEENS1_48merge_mergepath_partition_config_static_selectorELNS0_4arch9wavefront6targetE0EEEvSM_.uses_flat_scratch, 0
	.set _ZN7rocprim17ROCPRIM_400000_NS6detail17trampoline_kernelINS0_14default_configENS1_38merge_sort_block_merge_config_selectorIlNS0_10empty_typeEEEZZNS1_27merge_sort_block_merge_implIS3_PlPS5_mZN2at6native12_GLOBAL__N_124unique_dim_cuda_templateIfEESt5tupleIJNSA_6TensorESF_SF_EERKSF_lbbbEUlllE_EE10hipError_tT0_T1_T2_jT3_P12ihipStream_tbPNSt15iterator_traitsISL_E10value_typeEPNSR_ISM_E10value_typeEPSN_NS1_7vsmem_tEENKUlT_SL_SM_SN_E_clIS8_S8_S9_S9_EESK_S10_SL_SM_SN_EUlS10_E_NS1_11comp_targetILNS1_3genE2ELNS1_11target_archE906ELNS1_3gpuE6ELNS1_3repE0EEENS1_48merge_mergepath_partition_config_static_selectorELNS0_4arch9wavefront6targetE0EEEvSM_.has_dyn_sized_stack, 0
	.set _ZN7rocprim17ROCPRIM_400000_NS6detail17trampoline_kernelINS0_14default_configENS1_38merge_sort_block_merge_config_selectorIlNS0_10empty_typeEEEZZNS1_27merge_sort_block_merge_implIS3_PlPS5_mZN2at6native12_GLOBAL__N_124unique_dim_cuda_templateIfEESt5tupleIJNSA_6TensorESF_SF_EERKSF_lbbbEUlllE_EE10hipError_tT0_T1_T2_jT3_P12ihipStream_tbPNSt15iterator_traitsISL_E10value_typeEPNSR_ISM_E10value_typeEPSN_NS1_7vsmem_tEENKUlT_SL_SM_SN_E_clIS8_S8_S9_S9_EESK_S10_SL_SM_SN_EUlS10_E_NS1_11comp_targetILNS1_3genE2ELNS1_11target_archE906ELNS1_3gpuE6ELNS1_3repE0EEENS1_48merge_mergepath_partition_config_static_selectorELNS0_4arch9wavefront6targetE0EEEvSM_.has_recursion, 0
	.set _ZN7rocprim17ROCPRIM_400000_NS6detail17trampoline_kernelINS0_14default_configENS1_38merge_sort_block_merge_config_selectorIlNS0_10empty_typeEEEZZNS1_27merge_sort_block_merge_implIS3_PlPS5_mZN2at6native12_GLOBAL__N_124unique_dim_cuda_templateIfEESt5tupleIJNSA_6TensorESF_SF_EERKSF_lbbbEUlllE_EE10hipError_tT0_T1_T2_jT3_P12ihipStream_tbPNSt15iterator_traitsISL_E10value_typeEPNSR_ISM_E10value_typeEPSN_NS1_7vsmem_tEENKUlT_SL_SM_SN_E_clIS8_S8_S9_S9_EESK_S10_SL_SM_SN_EUlS10_E_NS1_11comp_targetILNS1_3genE2ELNS1_11target_archE906ELNS1_3gpuE6ELNS1_3repE0EEENS1_48merge_mergepath_partition_config_static_selectorELNS0_4arch9wavefront6targetE0EEEvSM_.has_indirect_call, 0
	.section	.AMDGPU.csdata,"",@progbits
; Kernel info:
; codeLenInByte = 0
; TotalNumSgprs: 0
; NumVgprs: 0
; ScratchSize: 0
; MemoryBound: 0
; FloatMode: 240
; IeeeMode: 1
; LDSByteSize: 0 bytes/workgroup (compile time only)
; SGPRBlocks: 0
; VGPRBlocks: 0
; NumSGPRsForWavesPerEU: 1
; NumVGPRsForWavesPerEU: 1
; NamedBarCnt: 0
; Occupancy: 16
; WaveLimiterHint : 0
; COMPUTE_PGM_RSRC2:SCRATCH_EN: 0
; COMPUTE_PGM_RSRC2:USER_SGPR: 2
; COMPUTE_PGM_RSRC2:TRAP_HANDLER: 0
; COMPUTE_PGM_RSRC2:TGID_X_EN: 1
; COMPUTE_PGM_RSRC2:TGID_Y_EN: 0
; COMPUTE_PGM_RSRC2:TGID_Z_EN: 0
; COMPUTE_PGM_RSRC2:TIDIG_COMP_CNT: 0
	.section	.text._ZN7rocprim17ROCPRIM_400000_NS6detail17trampoline_kernelINS0_14default_configENS1_38merge_sort_block_merge_config_selectorIlNS0_10empty_typeEEEZZNS1_27merge_sort_block_merge_implIS3_PlPS5_mZN2at6native12_GLOBAL__N_124unique_dim_cuda_templateIfEESt5tupleIJNSA_6TensorESF_SF_EERKSF_lbbbEUlllE_EE10hipError_tT0_T1_T2_jT3_P12ihipStream_tbPNSt15iterator_traitsISL_E10value_typeEPNSR_ISM_E10value_typeEPSN_NS1_7vsmem_tEENKUlT_SL_SM_SN_E_clIS8_S8_S9_S9_EESK_S10_SL_SM_SN_EUlS10_E_NS1_11comp_targetILNS1_3genE9ELNS1_11target_archE1100ELNS1_3gpuE3ELNS1_3repE0EEENS1_48merge_mergepath_partition_config_static_selectorELNS0_4arch9wavefront6targetE0EEEvSM_,"axG",@progbits,_ZN7rocprim17ROCPRIM_400000_NS6detail17trampoline_kernelINS0_14default_configENS1_38merge_sort_block_merge_config_selectorIlNS0_10empty_typeEEEZZNS1_27merge_sort_block_merge_implIS3_PlPS5_mZN2at6native12_GLOBAL__N_124unique_dim_cuda_templateIfEESt5tupleIJNSA_6TensorESF_SF_EERKSF_lbbbEUlllE_EE10hipError_tT0_T1_T2_jT3_P12ihipStream_tbPNSt15iterator_traitsISL_E10value_typeEPNSR_ISM_E10value_typeEPSN_NS1_7vsmem_tEENKUlT_SL_SM_SN_E_clIS8_S8_S9_S9_EESK_S10_SL_SM_SN_EUlS10_E_NS1_11comp_targetILNS1_3genE9ELNS1_11target_archE1100ELNS1_3gpuE3ELNS1_3repE0EEENS1_48merge_mergepath_partition_config_static_selectorELNS0_4arch9wavefront6targetE0EEEvSM_,comdat
	.globl	_ZN7rocprim17ROCPRIM_400000_NS6detail17trampoline_kernelINS0_14default_configENS1_38merge_sort_block_merge_config_selectorIlNS0_10empty_typeEEEZZNS1_27merge_sort_block_merge_implIS3_PlPS5_mZN2at6native12_GLOBAL__N_124unique_dim_cuda_templateIfEESt5tupleIJNSA_6TensorESF_SF_EERKSF_lbbbEUlllE_EE10hipError_tT0_T1_T2_jT3_P12ihipStream_tbPNSt15iterator_traitsISL_E10value_typeEPNSR_ISM_E10value_typeEPSN_NS1_7vsmem_tEENKUlT_SL_SM_SN_E_clIS8_S8_S9_S9_EESK_S10_SL_SM_SN_EUlS10_E_NS1_11comp_targetILNS1_3genE9ELNS1_11target_archE1100ELNS1_3gpuE3ELNS1_3repE0EEENS1_48merge_mergepath_partition_config_static_selectorELNS0_4arch9wavefront6targetE0EEEvSM_ ; -- Begin function _ZN7rocprim17ROCPRIM_400000_NS6detail17trampoline_kernelINS0_14default_configENS1_38merge_sort_block_merge_config_selectorIlNS0_10empty_typeEEEZZNS1_27merge_sort_block_merge_implIS3_PlPS5_mZN2at6native12_GLOBAL__N_124unique_dim_cuda_templateIfEESt5tupleIJNSA_6TensorESF_SF_EERKSF_lbbbEUlllE_EE10hipError_tT0_T1_T2_jT3_P12ihipStream_tbPNSt15iterator_traitsISL_E10value_typeEPNSR_ISM_E10value_typeEPSN_NS1_7vsmem_tEENKUlT_SL_SM_SN_E_clIS8_S8_S9_S9_EESK_S10_SL_SM_SN_EUlS10_E_NS1_11comp_targetILNS1_3genE9ELNS1_11target_archE1100ELNS1_3gpuE3ELNS1_3repE0EEENS1_48merge_mergepath_partition_config_static_selectorELNS0_4arch9wavefront6targetE0EEEvSM_
	.p2align	8
	.type	_ZN7rocprim17ROCPRIM_400000_NS6detail17trampoline_kernelINS0_14default_configENS1_38merge_sort_block_merge_config_selectorIlNS0_10empty_typeEEEZZNS1_27merge_sort_block_merge_implIS3_PlPS5_mZN2at6native12_GLOBAL__N_124unique_dim_cuda_templateIfEESt5tupleIJNSA_6TensorESF_SF_EERKSF_lbbbEUlllE_EE10hipError_tT0_T1_T2_jT3_P12ihipStream_tbPNSt15iterator_traitsISL_E10value_typeEPNSR_ISM_E10value_typeEPSN_NS1_7vsmem_tEENKUlT_SL_SM_SN_E_clIS8_S8_S9_S9_EESK_S10_SL_SM_SN_EUlS10_E_NS1_11comp_targetILNS1_3genE9ELNS1_11target_archE1100ELNS1_3gpuE3ELNS1_3repE0EEENS1_48merge_mergepath_partition_config_static_selectorELNS0_4arch9wavefront6targetE0EEEvSM_,@function
_ZN7rocprim17ROCPRIM_400000_NS6detail17trampoline_kernelINS0_14default_configENS1_38merge_sort_block_merge_config_selectorIlNS0_10empty_typeEEEZZNS1_27merge_sort_block_merge_implIS3_PlPS5_mZN2at6native12_GLOBAL__N_124unique_dim_cuda_templateIfEESt5tupleIJNSA_6TensorESF_SF_EERKSF_lbbbEUlllE_EE10hipError_tT0_T1_T2_jT3_P12ihipStream_tbPNSt15iterator_traitsISL_E10value_typeEPNSR_ISM_E10value_typeEPSN_NS1_7vsmem_tEENKUlT_SL_SM_SN_E_clIS8_S8_S9_S9_EESK_S10_SL_SM_SN_EUlS10_E_NS1_11comp_targetILNS1_3genE9ELNS1_11target_archE1100ELNS1_3gpuE3ELNS1_3repE0EEENS1_48merge_mergepath_partition_config_static_selectorELNS0_4arch9wavefront6targetE0EEEvSM_: ; @_ZN7rocprim17ROCPRIM_400000_NS6detail17trampoline_kernelINS0_14default_configENS1_38merge_sort_block_merge_config_selectorIlNS0_10empty_typeEEEZZNS1_27merge_sort_block_merge_implIS3_PlPS5_mZN2at6native12_GLOBAL__N_124unique_dim_cuda_templateIfEESt5tupleIJNSA_6TensorESF_SF_EERKSF_lbbbEUlllE_EE10hipError_tT0_T1_T2_jT3_P12ihipStream_tbPNSt15iterator_traitsISL_E10value_typeEPNSR_ISM_E10value_typeEPSN_NS1_7vsmem_tEENKUlT_SL_SM_SN_E_clIS8_S8_S9_S9_EESK_S10_SL_SM_SN_EUlS10_E_NS1_11comp_targetILNS1_3genE9ELNS1_11target_archE1100ELNS1_3gpuE3ELNS1_3repE0EEENS1_48merge_mergepath_partition_config_static_selectorELNS0_4arch9wavefront6targetE0EEEvSM_
; %bb.0:
	.section	.rodata,"a",@progbits
	.p2align	6, 0x0
	.amdhsa_kernel _ZN7rocprim17ROCPRIM_400000_NS6detail17trampoline_kernelINS0_14default_configENS1_38merge_sort_block_merge_config_selectorIlNS0_10empty_typeEEEZZNS1_27merge_sort_block_merge_implIS3_PlPS5_mZN2at6native12_GLOBAL__N_124unique_dim_cuda_templateIfEESt5tupleIJNSA_6TensorESF_SF_EERKSF_lbbbEUlllE_EE10hipError_tT0_T1_T2_jT3_P12ihipStream_tbPNSt15iterator_traitsISL_E10value_typeEPNSR_ISM_E10value_typeEPSN_NS1_7vsmem_tEENKUlT_SL_SM_SN_E_clIS8_S8_S9_S9_EESK_S10_SL_SM_SN_EUlS10_E_NS1_11comp_targetILNS1_3genE9ELNS1_11target_archE1100ELNS1_3gpuE3ELNS1_3repE0EEENS1_48merge_mergepath_partition_config_static_selectorELNS0_4arch9wavefront6targetE0EEEvSM_
		.amdhsa_group_segment_fixed_size 0
		.amdhsa_private_segment_fixed_size 0
		.amdhsa_kernarg_size 56
		.amdhsa_user_sgpr_count 2
		.amdhsa_user_sgpr_dispatch_ptr 0
		.amdhsa_user_sgpr_queue_ptr 0
		.amdhsa_user_sgpr_kernarg_segment_ptr 1
		.amdhsa_user_sgpr_dispatch_id 0
		.amdhsa_user_sgpr_kernarg_preload_length 0
		.amdhsa_user_sgpr_kernarg_preload_offset 0
		.amdhsa_user_sgpr_private_segment_size 0
		.amdhsa_wavefront_size32 1
		.amdhsa_uses_dynamic_stack 0
		.amdhsa_enable_private_segment 0
		.amdhsa_system_sgpr_workgroup_id_x 1
		.amdhsa_system_sgpr_workgroup_id_y 0
		.amdhsa_system_sgpr_workgroup_id_z 0
		.amdhsa_system_sgpr_workgroup_info 0
		.amdhsa_system_vgpr_workitem_id 0
		.amdhsa_next_free_vgpr 1
		.amdhsa_next_free_sgpr 1
		.amdhsa_named_barrier_count 0
		.amdhsa_reserve_vcc 0
		.amdhsa_float_round_mode_32 0
		.amdhsa_float_round_mode_16_64 0
		.amdhsa_float_denorm_mode_32 3
		.amdhsa_float_denorm_mode_16_64 3
		.amdhsa_fp16_overflow 0
		.amdhsa_memory_ordered 1
		.amdhsa_forward_progress 1
		.amdhsa_inst_pref_size 0
		.amdhsa_round_robin_scheduling 0
		.amdhsa_exception_fp_ieee_invalid_op 0
		.amdhsa_exception_fp_denorm_src 0
		.amdhsa_exception_fp_ieee_div_zero 0
		.amdhsa_exception_fp_ieee_overflow 0
		.amdhsa_exception_fp_ieee_underflow 0
		.amdhsa_exception_fp_ieee_inexact 0
		.amdhsa_exception_int_div_zero 0
	.end_amdhsa_kernel
	.section	.text._ZN7rocprim17ROCPRIM_400000_NS6detail17trampoline_kernelINS0_14default_configENS1_38merge_sort_block_merge_config_selectorIlNS0_10empty_typeEEEZZNS1_27merge_sort_block_merge_implIS3_PlPS5_mZN2at6native12_GLOBAL__N_124unique_dim_cuda_templateIfEESt5tupleIJNSA_6TensorESF_SF_EERKSF_lbbbEUlllE_EE10hipError_tT0_T1_T2_jT3_P12ihipStream_tbPNSt15iterator_traitsISL_E10value_typeEPNSR_ISM_E10value_typeEPSN_NS1_7vsmem_tEENKUlT_SL_SM_SN_E_clIS8_S8_S9_S9_EESK_S10_SL_SM_SN_EUlS10_E_NS1_11comp_targetILNS1_3genE9ELNS1_11target_archE1100ELNS1_3gpuE3ELNS1_3repE0EEENS1_48merge_mergepath_partition_config_static_selectorELNS0_4arch9wavefront6targetE0EEEvSM_,"axG",@progbits,_ZN7rocprim17ROCPRIM_400000_NS6detail17trampoline_kernelINS0_14default_configENS1_38merge_sort_block_merge_config_selectorIlNS0_10empty_typeEEEZZNS1_27merge_sort_block_merge_implIS3_PlPS5_mZN2at6native12_GLOBAL__N_124unique_dim_cuda_templateIfEESt5tupleIJNSA_6TensorESF_SF_EERKSF_lbbbEUlllE_EE10hipError_tT0_T1_T2_jT3_P12ihipStream_tbPNSt15iterator_traitsISL_E10value_typeEPNSR_ISM_E10value_typeEPSN_NS1_7vsmem_tEENKUlT_SL_SM_SN_E_clIS8_S8_S9_S9_EESK_S10_SL_SM_SN_EUlS10_E_NS1_11comp_targetILNS1_3genE9ELNS1_11target_archE1100ELNS1_3gpuE3ELNS1_3repE0EEENS1_48merge_mergepath_partition_config_static_selectorELNS0_4arch9wavefront6targetE0EEEvSM_,comdat
.Lfunc_end886:
	.size	_ZN7rocprim17ROCPRIM_400000_NS6detail17trampoline_kernelINS0_14default_configENS1_38merge_sort_block_merge_config_selectorIlNS0_10empty_typeEEEZZNS1_27merge_sort_block_merge_implIS3_PlPS5_mZN2at6native12_GLOBAL__N_124unique_dim_cuda_templateIfEESt5tupleIJNSA_6TensorESF_SF_EERKSF_lbbbEUlllE_EE10hipError_tT0_T1_T2_jT3_P12ihipStream_tbPNSt15iterator_traitsISL_E10value_typeEPNSR_ISM_E10value_typeEPSN_NS1_7vsmem_tEENKUlT_SL_SM_SN_E_clIS8_S8_S9_S9_EESK_S10_SL_SM_SN_EUlS10_E_NS1_11comp_targetILNS1_3genE9ELNS1_11target_archE1100ELNS1_3gpuE3ELNS1_3repE0EEENS1_48merge_mergepath_partition_config_static_selectorELNS0_4arch9wavefront6targetE0EEEvSM_, .Lfunc_end886-_ZN7rocprim17ROCPRIM_400000_NS6detail17trampoline_kernelINS0_14default_configENS1_38merge_sort_block_merge_config_selectorIlNS0_10empty_typeEEEZZNS1_27merge_sort_block_merge_implIS3_PlPS5_mZN2at6native12_GLOBAL__N_124unique_dim_cuda_templateIfEESt5tupleIJNSA_6TensorESF_SF_EERKSF_lbbbEUlllE_EE10hipError_tT0_T1_T2_jT3_P12ihipStream_tbPNSt15iterator_traitsISL_E10value_typeEPNSR_ISM_E10value_typeEPSN_NS1_7vsmem_tEENKUlT_SL_SM_SN_E_clIS8_S8_S9_S9_EESK_S10_SL_SM_SN_EUlS10_E_NS1_11comp_targetILNS1_3genE9ELNS1_11target_archE1100ELNS1_3gpuE3ELNS1_3repE0EEENS1_48merge_mergepath_partition_config_static_selectorELNS0_4arch9wavefront6targetE0EEEvSM_
                                        ; -- End function
	.set _ZN7rocprim17ROCPRIM_400000_NS6detail17trampoline_kernelINS0_14default_configENS1_38merge_sort_block_merge_config_selectorIlNS0_10empty_typeEEEZZNS1_27merge_sort_block_merge_implIS3_PlPS5_mZN2at6native12_GLOBAL__N_124unique_dim_cuda_templateIfEESt5tupleIJNSA_6TensorESF_SF_EERKSF_lbbbEUlllE_EE10hipError_tT0_T1_T2_jT3_P12ihipStream_tbPNSt15iterator_traitsISL_E10value_typeEPNSR_ISM_E10value_typeEPSN_NS1_7vsmem_tEENKUlT_SL_SM_SN_E_clIS8_S8_S9_S9_EESK_S10_SL_SM_SN_EUlS10_E_NS1_11comp_targetILNS1_3genE9ELNS1_11target_archE1100ELNS1_3gpuE3ELNS1_3repE0EEENS1_48merge_mergepath_partition_config_static_selectorELNS0_4arch9wavefront6targetE0EEEvSM_.num_vgpr, 0
	.set _ZN7rocprim17ROCPRIM_400000_NS6detail17trampoline_kernelINS0_14default_configENS1_38merge_sort_block_merge_config_selectorIlNS0_10empty_typeEEEZZNS1_27merge_sort_block_merge_implIS3_PlPS5_mZN2at6native12_GLOBAL__N_124unique_dim_cuda_templateIfEESt5tupleIJNSA_6TensorESF_SF_EERKSF_lbbbEUlllE_EE10hipError_tT0_T1_T2_jT3_P12ihipStream_tbPNSt15iterator_traitsISL_E10value_typeEPNSR_ISM_E10value_typeEPSN_NS1_7vsmem_tEENKUlT_SL_SM_SN_E_clIS8_S8_S9_S9_EESK_S10_SL_SM_SN_EUlS10_E_NS1_11comp_targetILNS1_3genE9ELNS1_11target_archE1100ELNS1_3gpuE3ELNS1_3repE0EEENS1_48merge_mergepath_partition_config_static_selectorELNS0_4arch9wavefront6targetE0EEEvSM_.num_agpr, 0
	.set _ZN7rocprim17ROCPRIM_400000_NS6detail17trampoline_kernelINS0_14default_configENS1_38merge_sort_block_merge_config_selectorIlNS0_10empty_typeEEEZZNS1_27merge_sort_block_merge_implIS3_PlPS5_mZN2at6native12_GLOBAL__N_124unique_dim_cuda_templateIfEESt5tupleIJNSA_6TensorESF_SF_EERKSF_lbbbEUlllE_EE10hipError_tT0_T1_T2_jT3_P12ihipStream_tbPNSt15iterator_traitsISL_E10value_typeEPNSR_ISM_E10value_typeEPSN_NS1_7vsmem_tEENKUlT_SL_SM_SN_E_clIS8_S8_S9_S9_EESK_S10_SL_SM_SN_EUlS10_E_NS1_11comp_targetILNS1_3genE9ELNS1_11target_archE1100ELNS1_3gpuE3ELNS1_3repE0EEENS1_48merge_mergepath_partition_config_static_selectorELNS0_4arch9wavefront6targetE0EEEvSM_.numbered_sgpr, 0
	.set _ZN7rocprim17ROCPRIM_400000_NS6detail17trampoline_kernelINS0_14default_configENS1_38merge_sort_block_merge_config_selectorIlNS0_10empty_typeEEEZZNS1_27merge_sort_block_merge_implIS3_PlPS5_mZN2at6native12_GLOBAL__N_124unique_dim_cuda_templateIfEESt5tupleIJNSA_6TensorESF_SF_EERKSF_lbbbEUlllE_EE10hipError_tT0_T1_T2_jT3_P12ihipStream_tbPNSt15iterator_traitsISL_E10value_typeEPNSR_ISM_E10value_typeEPSN_NS1_7vsmem_tEENKUlT_SL_SM_SN_E_clIS8_S8_S9_S9_EESK_S10_SL_SM_SN_EUlS10_E_NS1_11comp_targetILNS1_3genE9ELNS1_11target_archE1100ELNS1_3gpuE3ELNS1_3repE0EEENS1_48merge_mergepath_partition_config_static_selectorELNS0_4arch9wavefront6targetE0EEEvSM_.num_named_barrier, 0
	.set _ZN7rocprim17ROCPRIM_400000_NS6detail17trampoline_kernelINS0_14default_configENS1_38merge_sort_block_merge_config_selectorIlNS0_10empty_typeEEEZZNS1_27merge_sort_block_merge_implIS3_PlPS5_mZN2at6native12_GLOBAL__N_124unique_dim_cuda_templateIfEESt5tupleIJNSA_6TensorESF_SF_EERKSF_lbbbEUlllE_EE10hipError_tT0_T1_T2_jT3_P12ihipStream_tbPNSt15iterator_traitsISL_E10value_typeEPNSR_ISM_E10value_typeEPSN_NS1_7vsmem_tEENKUlT_SL_SM_SN_E_clIS8_S8_S9_S9_EESK_S10_SL_SM_SN_EUlS10_E_NS1_11comp_targetILNS1_3genE9ELNS1_11target_archE1100ELNS1_3gpuE3ELNS1_3repE0EEENS1_48merge_mergepath_partition_config_static_selectorELNS0_4arch9wavefront6targetE0EEEvSM_.private_seg_size, 0
	.set _ZN7rocprim17ROCPRIM_400000_NS6detail17trampoline_kernelINS0_14default_configENS1_38merge_sort_block_merge_config_selectorIlNS0_10empty_typeEEEZZNS1_27merge_sort_block_merge_implIS3_PlPS5_mZN2at6native12_GLOBAL__N_124unique_dim_cuda_templateIfEESt5tupleIJNSA_6TensorESF_SF_EERKSF_lbbbEUlllE_EE10hipError_tT0_T1_T2_jT3_P12ihipStream_tbPNSt15iterator_traitsISL_E10value_typeEPNSR_ISM_E10value_typeEPSN_NS1_7vsmem_tEENKUlT_SL_SM_SN_E_clIS8_S8_S9_S9_EESK_S10_SL_SM_SN_EUlS10_E_NS1_11comp_targetILNS1_3genE9ELNS1_11target_archE1100ELNS1_3gpuE3ELNS1_3repE0EEENS1_48merge_mergepath_partition_config_static_selectorELNS0_4arch9wavefront6targetE0EEEvSM_.uses_vcc, 0
	.set _ZN7rocprim17ROCPRIM_400000_NS6detail17trampoline_kernelINS0_14default_configENS1_38merge_sort_block_merge_config_selectorIlNS0_10empty_typeEEEZZNS1_27merge_sort_block_merge_implIS3_PlPS5_mZN2at6native12_GLOBAL__N_124unique_dim_cuda_templateIfEESt5tupleIJNSA_6TensorESF_SF_EERKSF_lbbbEUlllE_EE10hipError_tT0_T1_T2_jT3_P12ihipStream_tbPNSt15iterator_traitsISL_E10value_typeEPNSR_ISM_E10value_typeEPSN_NS1_7vsmem_tEENKUlT_SL_SM_SN_E_clIS8_S8_S9_S9_EESK_S10_SL_SM_SN_EUlS10_E_NS1_11comp_targetILNS1_3genE9ELNS1_11target_archE1100ELNS1_3gpuE3ELNS1_3repE0EEENS1_48merge_mergepath_partition_config_static_selectorELNS0_4arch9wavefront6targetE0EEEvSM_.uses_flat_scratch, 0
	.set _ZN7rocprim17ROCPRIM_400000_NS6detail17trampoline_kernelINS0_14default_configENS1_38merge_sort_block_merge_config_selectorIlNS0_10empty_typeEEEZZNS1_27merge_sort_block_merge_implIS3_PlPS5_mZN2at6native12_GLOBAL__N_124unique_dim_cuda_templateIfEESt5tupleIJNSA_6TensorESF_SF_EERKSF_lbbbEUlllE_EE10hipError_tT0_T1_T2_jT3_P12ihipStream_tbPNSt15iterator_traitsISL_E10value_typeEPNSR_ISM_E10value_typeEPSN_NS1_7vsmem_tEENKUlT_SL_SM_SN_E_clIS8_S8_S9_S9_EESK_S10_SL_SM_SN_EUlS10_E_NS1_11comp_targetILNS1_3genE9ELNS1_11target_archE1100ELNS1_3gpuE3ELNS1_3repE0EEENS1_48merge_mergepath_partition_config_static_selectorELNS0_4arch9wavefront6targetE0EEEvSM_.has_dyn_sized_stack, 0
	.set _ZN7rocprim17ROCPRIM_400000_NS6detail17trampoline_kernelINS0_14default_configENS1_38merge_sort_block_merge_config_selectorIlNS0_10empty_typeEEEZZNS1_27merge_sort_block_merge_implIS3_PlPS5_mZN2at6native12_GLOBAL__N_124unique_dim_cuda_templateIfEESt5tupleIJNSA_6TensorESF_SF_EERKSF_lbbbEUlllE_EE10hipError_tT0_T1_T2_jT3_P12ihipStream_tbPNSt15iterator_traitsISL_E10value_typeEPNSR_ISM_E10value_typeEPSN_NS1_7vsmem_tEENKUlT_SL_SM_SN_E_clIS8_S8_S9_S9_EESK_S10_SL_SM_SN_EUlS10_E_NS1_11comp_targetILNS1_3genE9ELNS1_11target_archE1100ELNS1_3gpuE3ELNS1_3repE0EEENS1_48merge_mergepath_partition_config_static_selectorELNS0_4arch9wavefront6targetE0EEEvSM_.has_recursion, 0
	.set _ZN7rocprim17ROCPRIM_400000_NS6detail17trampoline_kernelINS0_14default_configENS1_38merge_sort_block_merge_config_selectorIlNS0_10empty_typeEEEZZNS1_27merge_sort_block_merge_implIS3_PlPS5_mZN2at6native12_GLOBAL__N_124unique_dim_cuda_templateIfEESt5tupleIJNSA_6TensorESF_SF_EERKSF_lbbbEUlllE_EE10hipError_tT0_T1_T2_jT3_P12ihipStream_tbPNSt15iterator_traitsISL_E10value_typeEPNSR_ISM_E10value_typeEPSN_NS1_7vsmem_tEENKUlT_SL_SM_SN_E_clIS8_S8_S9_S9_EESK_S10_SL_SM_SN_EUlS10_E_NS1_11comp_targetILNS1_3genE9ELNS1_11target_archE1100ELNS1_3gpuE3ELNS1_3repE0EEENS1_48merge_mergepath_partition_config_static_selectorELNS0_4arch9wavefront6targetE0EEEvSM_.has_indirect_call, 0
	.section	.AMDGPU.csdata,"",@progbits
; Kernel info:
; codeLenInByte = 0
; TotalNumSgprs: 0
; NumVgprs: 0
; ScratchSize: 0
; MemoryBound: 0
; FloatMode: 240
; IeeeMode: 1
; LDSByteSize: 0 bytes/workgroup (compile time only)
; SGPRBlocks: 0
; VGPRBlocks: 0
; NumSGPRsForWavesPerEU: 1
; NumVGPRsForWavesPerEU: 1
; NamedBarCnt: 0
; Occupancy: 16
; WaveLimiterHint : 0
; COMPUTE_PGM_RSRC2:SCRATCH_EN: 0
; COMPUTE_PGM_RSRC2:USER_SGPR: 2
; COMPUTE_PGM_RSRC2:TRAP_HANDLER: 0
; COMPUTE_PGM_RSRC2:TGID_X_EN: 1
; COMPUTE_PGM_RSRC2:TGID_Y_EN: 0
; COMPUTE_PGM_RSRC2:TGID_Z_EN: 0
; COMPUTE_PGM_RSRC2:TIDIG_COMP_CNT: 0
	.section	.text._ZN7rocprim17ROCPRIM_400000_NS6detail17trampoline_kernelINS0_14default_configENS1_38merge_sort_block_merge_config_selectorIlNS0_10empty_typeEEEZZNS1_27merge_sort_block_merge_implIS3_PlPS5_mZN2at6native12_GLOBAL__N_124unique_dim_cuda_templateIfEESt5tupleIJNSA_6TensorESF_SF_EERKSF_lbbbEUlllE_EE10hipError_tT0_T1_T2_jT3_P12ihipStream_tbPNSt15iterator_traitsISL_E10value_typeEPNSR_ISM_E10value_typeEPSN_NS1_7vsmem_tEENKUlT_SL_SM_SN_E_clIS8_S8_S9_S9_EESK_S10_SL_SM_SN_EUlS10_E_NS1_11comp_targetILNS1_3genE8ELNS1_11target_archE1030ELNS1_3gpuE2ELNS1_3repE0EEENS1_48merge_mergepath_partition_config_static_selectorELNS0_4arch9wavefront6targetE0EEEvSM_,"axG",@progbits,_ZN7rocprim17ROCPRIM_400000_NS6detail17trampoline_kernelINS0_14default_configENS1_38merge_sort_block_merge_config_selectorIlNS0_10empty_typeEEEZZNS1_27merge_sort_block_merge_implIS3_PlPS5_mZN2at6native12_GLOBAL__N_124unique_dim_cuda_templateIfEESt5tupleIJNSA_6TensorESF_SF_EERKSF_lbbbEUlllE_EE10hipError_tT0_T1_T2_jT3_P12ihipStream_tbPNSt15iterator_traitsISL_E10value_typeEPNSR_ISM_E10value_typeEPSN_NS1_7vsmem_tEENKUlT_SL_SM_SN_E_clIS8_S8_S9_S9_EESK_S10_SL_SM_SN_EUlS10_E_NS1_11comp_targetILNS1_3genE8ELNS1_11target_archE1030ELNS1_3gpuE2ELNS1_3repE0EEENS1_48merge_mergepath_partition_config_static_selectorELNS0_4arch9wavefront6targetE0EEEvSM_,comdat
	.globl	_ZN7rocprim17ROCPRIM_400000_NS6detail17trampoline_kernelINS0_14default_configENS1_38merge_sort_block_merge_config_selectorIlNS0_10empty_typeEEEZZNS1_27merge_sort_block_merge_implIS3_PlPS5_mZN2at6native12_GLOBAL__N_124unique_dim_cuda_templateIfEESt5tupleIJNSA_6TensorESF_SF_EERKSF_lbbbEUlllE_EE10hipError_tT0_T1_T2_jT3_P12ihipStream_tbPNSt15iterator_traitsISL_E10value_typeEPNSR_ISM_E10value_typeEPSN_NS1_7vsmem_tEENKUlT_SL_SM_SN_E_clIS8_S8_S9_S9_EESK_S10_SL_SM_SN_EUlS10_E_NS1_11comp_targetILNS1_3genE8ELNS1_11target_archE1030ELNS1_3gpuE2ELNS1_3repE0EEENS1_48merge_mergepath_partition_config_static_selectorELNS0_4arch9wavefront6targetE0EEEvSM_ ; -- Begin function _ZN7rocprim17ROCPRIM_400000_NS6detail17trampoline_kernelINS0_14default_configENS1_38merge_sort_block_merge_config_selectorIlNS0_10empty_typeEEEZZNS1_27merge_sort_block_merge_implIS3_PlPS5_mZN2at6native12_GLOBAL__N_124unique_dim_cuda_templateIfEESt5tupleIJNSA_6TensorESF_SF_EERKSF_lbbbEUlllE_EE10hipError_tT0_T1_T2_jT3_P12ihipStream_tbPNSt15iterator_traitsISL_E10value_typeEPNSR_ISM_E10value_typeEPSN_NS1_7vsmem_tEENKUlT_SL_SM_SN_E_clIS8_S8_S9_S9_EESK_S10_SL_SM_SN_EUlS10_E_NS1_11comp_targetILNS1_3genE8ELNS1_11target_archE1030ELNS1_3gpuE2ELNS1_3repE0EEENS1_48merge_mergepath_partition_config_static_selectorELNS0_4arch9wavefront6targetE0EEEvSM_
	.p2align	8
	.type	_ZN7rocprim17ROCPRIM_400000_NS6detail17trampoline_kernelINS0_14default_configENS1_38merge_sort_block_merge_config_selectorIlNS0_10empty_typeEEEZZNS1_27merge_sort_block_merge_implIS3_PlPS5_mZN2at6native12_GLOBAL__N_124unique_dim_cuda_templateIfEESt5tupleIJNSA_6TensorESF_SF_EERKSF_lbbbEUlllE_EE10hipError_tT0_T1_T2_jT3_P12ihipStream_tbPNSt15iterator_traitsISL_E10value_typeEPNSR_ISM_E10value_typeEPSN_NS1_7vsmem_tEENKUlT_SL_SM_SN_E_clIS8_S8_S9_S9_EESK_S10_SL_SM_SN_EUlS10_E_NS1_11comp_targetILNS1_3genE8ELNS1_11target_archE1030ELNS1_3gpuE2ELNS1_3repE0EEENS1_48merge_mergepath_partition_config_static_selectorELNS0_4arch9wavefront6targetE0EEEvSM_,@function
_ZN7rocprim17ROCPRIM_400000_NS6detail17trampoline_kernelINS0_14default_configENS1_38merge_sort_block_merge_config_selectorIlNS0_10empty_typeEEEZZNS1_27merge_sort_block_merge_implIS3_PlPS5_mZN2at6native12_GLOBAL__N_124unique_dim_cuda_templateIfEESt5tupleIJNSA_6TensorESF_SF_EERKSF_lbbbEUlllE_EE10hipError_tT0_T1_T2_jT3_P12ihipStream_tbPNSt15iterator_traitsISL_E10value_typeEPNSR_ISM_E10value_typeEPSN_NS1_7vsmem_tEENKUlT_SL_SM_SN_E_clIS8_S8_S9_S9_EESK_S10_SL_SM_SN_EUlS10_E_NS1_11comp_targetILNS1_3genE8ELNS1_11target_archE1030ELNS1_3gpuE2ELNS1_3repE0EEENS1_48merge_mergepath_partition_config_static_selectorELNS0_4arch9wavefront6targetE0EEEvSM_: ; @_ZN7rocprim17ROCPRIM_400000_NS6detail17trampoline_kernelINS0_14default_configENS1_38merge_sort_block_merge_config_selectorIlNS0_10empty_typeEEEZZNS1_27merge_sort_block_merge_implIS3_PlPS5_mZN2at6native12_GLOBAL__N_124unique_dim_cuda_templateIfEESt5tupleIJNSA_6TensorESF_SF_EERKSF_lbbbEUlllE_EE10hipError_tT0_T1_T2_jT3_P12ihipStream_tbPNSt15iterator_traitsISL_E10value_typeEPNSR_ISM_E10value_typeEPSN_NS1_7vsmem_tEENKUlT_SL_SM_SN_E_clIS8_S8_S9_S9_EESK_S10_SL_SM_SN_EUlS10_E_NS1_11comp_targetILNS1_3genE8ELNS1_11target_archE1030ELNS1_3gpuE2ELNS1_3repE0EEENS1_48merge_mergepath_partition_config_static_selectorELNS0_4arch9wavefront6targetE0EEEvSM_
; %bb.0:
	.section	.rodata,"a",@progbits
	.p2align	6, 0x0
	.amdhsa_kernel _ZN7rocprim17ROCPRIM_400000_NS6detail17trampoline_kernelINS0_14default_configENS1_38merge_sort_block_merge_config_selectorIlNS0_10empty_typeEEEZZNS1_27merge_sort_block_merge_implIS3_PlPS5_mZN2at6native12_GLOBAL__N_124unique_dim_cuda_templateIfEESt5tupleIJNSA_6TensorESF_SF_EERKSF_lbbbEUlllE_EE10hipError_tT0_T1_T2_jT3_P12ihipStream_tbPNSt15iterator_traitsISL_E10value_typeEPNSR_ISM_E10value_typeEPSN_NS1_7vsmem_tEENKUlT_SL_SM_SN_E_clIS8_S8_S9_S9_EESK_S10_SL_SM_SN_EUlS10_E_NS1_11comp_targetILNS1_3genE8ELNS1_11target_archE1030ELNS1_3gpuE2ELNS1_3repE0EEENS1_48merge_mergepath_partition_config_static_selectorELNS0_4arch9wavefront6targetE0EEEvSM_
		.amdhsa_group_segment_fixed_size 0
		.amdhsa_private_segment_fixed_size 0
		.amdhsa_kernarg_size 56
		.amdhsa_user_sgpr_count 2
		.amdhsa_user_sgpr_dispatch_ptr 0
		.amdhsa_user_sgpr_queue_ptr 0
		.amdhsa_user_sgpr_kernarg_segment_ptr 1
		.amdhsa_user_sgpr_dispatch_id 0
		.amdhsa_user_sgpr_kernarg_preload_length 0
		.amdhsa_user_sgpr_kernarg_preload_offset 0
		.amdhsa_user_sgpr_private_segment_size 0
		.amdhsa_wavefront_size32 1
		.amdhsa_uses_dynamic_stack 0
		.amdhsa_enable_private_segment 0
		.amdhsa_system_sgpr_workgroup_id_x 1
		.amdhsa_system_sgpr_workgroup_id_y 0
		.amdhsa_system_sgpr_workgroup_id_z 0
		.amdhsa_system_sgpr_workgroup_info 0
		.amdhsa_system_vgpr_workitem_id 0
		.amdhsa_next_free_vgpr 1
		.amdhsa_next_free_sgpr 1
		.amdhsa_named_barrier_count 0
		.amdhsa_reserve_vcc 0
		.amdhsa_float_round_mode_32 0
		.amdhsa_float_round_mode_16_64 0
		.amdhsa_float_denorm_mode_32 3
		.amdhsa_float_denorm_mode_16_64 3
		.amdhsa_fp16_overflow 0
		.amdhsa_memory_ordered 1
		.amdhsa_forward_progress 1
		.amdhsa_inst_pref_size 0
		.amdhsa_round_robin_scheduling 0
		.amdhsa_exception_fp_ieee_invalid_op 0
		.amdhsa_exception_fp_denorm_src 0
		.amdhsa_exception_fp_ieee_div_zero 0
		.amdhsa_exception_fp_ieee_overflow 0
		.amdhsa_exception_fp_ieee_underflow 0
		.amdhsa_exception_fp_ieee_inexact 0
		.amdhsa_exception_int_div_zero 0
	.end_amdhsa_kernel
	.section	.text._ZN7rocprim17ROCPRIM_400000_NS6detail17trampoline_kernelINS0_14default_configENS1_38merge_sort_block_merge_config_selectorIlNS0_10empty_typeEEEZZNS1_27merge_sort_block_merge_implIS3_PlPS5_mZN2at6native12_GLOBAL__N_124unique_dim_cuda_templateIfEESt5tupleIJNSA_6TensorESF_SF_EERKSF_lbbbEUlllE_EE10hipError_tT0_T1_T2_jT3_P12ihipStream_tbPNSt15iterator_traitsISL_E10value_typeEPNSR_ISM_E10value_typeEPSN_NS1_7vsmem_tEENKUlT_SL_SM_SN_E_clIS8_S8_S9_S9_EESK_S10_SL_SM_SN_EUlS10_E_NS1_11comp_targetILNS1_3genE8ELNS1_11target_archE1030ELNS1_3gpuE2ELNS1_3repE0EEENS1_48merge_mergepath_partition_config_static_selectorELNS0_4arch9wavefront6targetE0EEEvSM_,"axG",@progbits,_ZN7rocprim17ROCPRIM_400000_NS6detail17trampoline_kernelINS0_14default_configENS1_38merge_sort_block_merge_config_selectorIlNS0_10empty_typeEEEZZNS1_27merge_sort_block_merge_implIS3_PlPS5_mZN2at6native12_GLOBAL__N_124unique_dim_cuda_templateIfEESt5tupleIJNSA_6TensorESF_SF_EERKSF_lbbbEUlllE_EE10hipError_tT0_T1_T2_jT3_P12ihipStream_tbPNSt15iterator_traitsISL_E10value_typeEPNSR_ISM_E10value_typeEPSN_NS1_7vsmem_tEENKUlT_SL_SM_SN_E_clIS8_S8_S9_S9_EESK_S10_SL_SM_SN_EUlS10_E_NS1_11comp_targetILNS1_3genE8ELNS1_11target_archE1030ELNS1_3gpuE2ELNS1_3repE0EEENS1_48merge_mergepath_partition_config_static_selectorELNS0_4arch9wavefront6targetE0EEEvSM_,comdat
.Lfunc_end887:
	.size	_ZN7rocprim17ROCPRIM_400000_NS6detail17trampoline_kernelINS0_14default_configENS1_38merge_sort_block_merge_config_selectorIlNS0_10empty_typeEEEZZNS1_27merge_sort_block_merge_implIS3_PlPS5_mZN2at6native12_GLOBAL__N_124unique_dim_cuda_templateIfEESt5tupleIJNSA_6TensorESF_SF_EERKSF_lbbbEUlllE_EE10hipError_tT0_T1_T2_jT3_P12ihipStream_tbPNSt15iterator_traitsISL_E10value_typeEPNSR_ISM_E10value_typeEPSN_NS1_7vsmem_tEENKUlT_SL_SM_SN_E_clIS8_S8_S9_S9_EESK_S10_SL_SM_SN_EUlS10_E_NS1_11comp_targetILNS1_3genE8ELNS1_11target_archE1030ELNS1_3gpuE2ELNS1_3repE0EEENS1_48merge_mergepath_partition_config_static_selectorELNS0_4arch9wavefront6targetE0EEEvSM_, .Lfunc_end887-_ZN7rocprim17ROCPRIM_400000_NS6detail17trampoline_kernelINS0_14default_configENS1_38merge_sort_block_merge_config_selectorIlNS0_10empty_typeEEEZZNS1_27merge_sort_block_merge_implIS3_PlPS5_mZN2at6native12_GLOBAL__N_124unique_dim_cuda_templateIfEESt5tupleIJNSA_6TensorESF_SF_EERKSF_lbbbEUlllE_EE10hipError_tT0_T1_T2_jT3_P12ihipStream_tbPNSt15iterator_traitsISL_E10value_typeEPNSR_ISM_E10value_typeEPSN_NS1_7vsmem_tEENKUlT_SL_SM_SN_E_clIS8_S8_S9_S9_EESK_S10_SL_SM_SN_EUlS10_E_NS1_11comp_targetILNS1_3genE8ELNS1_11target_archE1030ELNS1_3gpuE2ELNS1_3repE0EEENS1_48merge_mergepath_partition_config_static_selectorELNS0_4arch9wavefront6targetE0EEEvSM_
                                        ; -- End function
	.set _ZN7rocprim17ROCPRIM_400000_NS6detail17trampoline_kernelINS0_14default_configENS1_38merge_sort_block_merge_config_selectorIlNS0_10empty_typeEEEZZNS1_27merge_sort_block_merge_implIS3_PlPS5_mZN2at6native12_GLOBAL__N_124unique_dim_cuda_templateIfEESt5tupleIJNSA_6TensorESF_SF_EERKSF_lbbbEUlllE_EE10hipError_tT0_T1_T2_jT3_P12ihipStream_tbPNSt15iterator_traitsISL_E10value_typeEPNSR_ISM_E10value_typeEPSN_NS1_7vsmem_tEENKUlT_SL_SM_SN_E_clIS8_S8_S9_S9_EESK_S10_SL_SM_SN_EUlS10_E_NS1_11comp_targetILNS1_3genE8ELNS1_11target_archE1030ELNS1_3gpuE2ELNS1_3repE0EEENS1_48merge_mergepath_partition_config_static_selectorELNS0_4arch9wavefront6targetE0EEEvSM_.num_vgpr, 0
	.set _ZN7rocprim17ROCPRIM_400000_NS6detail17trampoline_kernelINS0_14default_configENS1_38merge_sort_block_merge_config_selectorIlNS0_10empty_typeEEEZZNS1_27merge_sort_block_merge_implIS3_PlPS5_mZN2at6native12_GLOBAL__N_124unique_dim_cuda_templateIfEESt5tupleIJNSA_6TensorESF_SF_EERKSF_lbbbEUlllE_EE10hipError_tT0_T1_T2_jT3_P12ihipStream_tbPNSt15iterator_traitsISL_E10value_typeEPNSR_ISM_E10value_typeEPSN_NS1_7vsmem_tEENKUlT_SL_SM_SN_E_clIS8_S8_S9_S9_EESK_S10_SL_SM_SN_EUlS10_E_NS1_11comp_targetILNS1_3genE8ELNS1_11target_archE1030ELNS1_3gpuE2ELNS1_3repE0EEENS1_48merge_mergepath_partition_config_static_selectorELNS0_4arch9wavefront6targetE0EEEvSM_.num_agpr, 0
	.set _ZN7rocprim17ROCPRIM_400000_NS6detail17trampoline_kernelINS0_14default_configENS1_38merge_sort_block_merge_config_selectorIlNS0_10empty_typeEEEZZNS1_27merge_sort_block_merge_implIS3_PlPS5_mZN2at6native12_GLOBAL__N_124unique_dim_cuda_templateIfEESt5tupleIJNSA_6TensorESF_SF_EERKSF_lbbbEUlllE_EE10hipError_tT0_T1_T2_jT3_P12ihipStream_tbPNSt15iterator_traitsISL_E10value_typeEPNSR_ISM_E10value_typeEPSN_NS1_7vsmem_tEENKUlT_SL_SM_SN_E_clIS8_S8_S9_S9_EESK_S10_SL_SM_SN_EUlS10_E_NS1_11comp_targetILNS1_3genE8ELNS1_11target_archE1030ELNS1_3gpuE2ELNS1_3repE0EEENS1_48merge_mergepath_partition_config_static_selectorELNS0_4arch9wavefront6targetE0EEEvSM_.numbered_sgpr, 0
	.set _ZN7rocprim17ROCPRIM_400000_NS6detail17trampoline_kernelINS0_14default_configENS1_38merge_sort_block_merge_config_selectorIlNS0_10empty_typeEEEZZNS1_27merge_sort_block_merge_implIS3_PlPS5_mZN2at6native12_GLOBAL__N_124unique_dim_cuda_templateIfEESt5tupleIJNSA_6TensorESF_SF_EERKSF_lbbbEUlllE_EE10hipError_tT0_T1_T2_jT3_P12ihipStream_tbPNSt15iterator_traitsISL_E10value_typeEPNSR_ISM_E10value_typeEPSN_NS1_7vsmem_tEENKUlT_SL_SM_SN_E_clIS8_S8_S9_S9_EESK_S10_SL_SM_SN_EUlS10_E_NS1_11comp_targetILNS1_3genE8ELNS1_11target_archE1030ELNS1_3gpuE2ELNS1_3repE0EEENS1_48merge_mergepath_partition_config_static_selectorELNS0_4arch9wavefront6targetE0EEEvSM_.num_named_barrier, 0
	.set _ZN7rocprim17ROCPRIM_400000_NS6detail17trampoline_kernelINS0_14default_configENS1_38merge_sort_block_merge_config_selectorIlNS0_10empty_typeEEEZZNS1_27merge_sort_block_merge_implIS3_PlPS5_mZN2at6native12_GLOBAL__N_124unique_dim_cuda_templateIfEESt5tupleIJNSA_6TensorESF_SF_EERKSF_lbbbEUlllE_EE10hipError_tT0_T1_T2_jT3_P12ihipStream_tbPNSt15iterator_traitsISL_E10value_typeEPNSR_ISM_E10value_typeEPSN_NS1_7vsmem_tEENKUlT_SL_SM_SN_E_clIS8_S8_S9_S9_EESK_S10_SL_SM_SN_EUlS10_E_NS1_11comp_targetILNS1_3genE8ELNS1_11target_archE1030ELNS1_3gpuE2ELNS1_3repE0EEENS1_48merge_mergepath_partition_config_static_selectorELNS0_4arch9wavefront6targetE0EEEvSM_.private_seg_size, 0
	.set _ZN7rocprim17ROCPRIM_400000_NS6detail17trampoline_kernelINS0_14default_configENS1_38merge_sort_block_merge_config_selectorIlNS0_10empty_typeEEEZZNS1_27merge_sort_block_merge_implIS3_PlPS5_mZN2at6native12_GLOBAL__N_124unique_dim_cuda_templateIfEESt5tupleIJNSA_6TensorESF_SF_EERKSF_lbbbEUlllE_EE10hipError_tT0_T1_T2_jT3_P12ihipStream_tbPNSt15iterator_traitsISL_E10value_typeEPNSR_ISM_E10value_typeEPSN_NS1_7vsmem_tEENKUlT_SL_SM_SN_E_clIS8_S8_S9_S9_EESK_S10_SL_SM_SN_EUlS10_E_NS1_11comp_targetILNS1_3genE8ELNS1_11target_archE1030ELNS1_3gpuE2ELNS1_3repE0EEENS1_48merge_mergepath_partition_config_static_selectorELNS0_4arch9wavefront6targetE0EEEvSM_.uses_vcc, 0
	.set _ZN7rocprim17ROCPRIM_400000_NS6detail17trampoline_kernelINS0_14default_configENS1_38merge_sort_block_merge_config_selectorIlNS0_10empty_typeEEEZZNS1_27merge_sort_block_merge_implIS3_PlPS5_mZN2at6native12_GLOBAL__N_124unique_dim_cuda_templateIfEESt5tupleIJNSA_6TensorESF_SF_EERKSF_lbbbEUlllE_EE10hipError_tT0_T1_T2_jT3_P12ihipStream_tbPNSt15iterator_traitsISL_E10value_typeEPNSR_ISM_E10value_typeEPSN_NS1_7vsmem_tEENKUlT_SL_SM_SN_E_clIS8_S8_S9_S9_EESK_S10_SL_SM_SN_EUlS10_E_NS1_11comp_targetILNS1_3genE8ELNS1_11target_archE1030ELNS1_3gpuE2ELNS1_3repE0EEENS1_48merge_mergepath_partition_config_static_selectorELNS0_4arch9wavefront6targetE0EEEvSM_.uses_flat_scratch, 0
	.set _ZN7rocprim17ROCPRIM_400000_NS6detail17trampoline_kernelINS0_14default_configENS1_38merge_sort_block_merge_config_selectorIlNS0_10empty_typeEEEZZNS1_27merge_sort_block_merge_implIS3_PlPS5_mZN2at6native12_GLOBAL__N_124unique_dim_cuda_templateIfEESt5tupleIJNSA_6TensorESF_SF_EERKSF_lbbbEUlllE_EE10hipError_tT0_T1_T2_jT3_P12ihipStream_tbPNSt15iterator_traitsISL_E10value_typeEPNSR_ISM_E10value_typeEPSN_NS1_7vsmem_tEENKUlT_SL_SM_SN_E_clIS8_S8_S9_S9_EESK_S10_SL_SM_SN_EUlS10_E_NS1_11comp_targetILNS1_3genE8ELNS1_11target_archE1030ELNS1_3gpuE2ELNS1_3repE0EEENS1_48merge_mergepath_partition_config_static_selectorELNS0_4arch9wavefront6targetE0EEEvSM_.has_dyn_sized_stack, 0
	.set _ZN7rocprim17ROCPRIM_400000_NS6detail17trampoline_kernelINS0_14default_configENS1_38merge_sort_block_merge_config_selectorIlNS0_10empty_typeEEEZZNS1_27merge_sort_block_merge_implIS3_PlPS5_mZN2at6native12_GLOBAL__N_124unique_dim_cuda_templateIfEESt5tupleIJNSA_6TensorESF_SF_EERKSF_lbbbEUlllE_EE10hipError_tT0_T1_T2_jT3_P12ihipStream_tbPNSt15iterator_traitsISL_E10value_typeEPNSR_ISM_E10value_typeEPSN_NS1_7vsmem_tEENKUlT_SL_SM_SN_E_clIS8_S8_S9_S9_EESK_S10_SL_SM_SN_EUlS10_E_NS1_11comp_targetILNS1_3genE8ELNS1_11target_archE1030ELNS1_3gpuE2ELNS1_3repE0EEENS1_48merge_mergepath_partition_config_static_selectorELNS0_4arch9wavefront6targetE0EEEvSM_.has_recursion, 0
	.set _ZN7rocprim17ROCPRIM_400000_NS6detail17trampoline_kernelINS0_14default_configENS1_38merge_sort_block_merge_config_selectorIlNS0_10empty_typeEEEZZNS1_27merge_sort_block_merge_implIS3_PlPS5_mZN2at6native12_GLOBAL__N_124unique_dim_cuda_templateIfEESt5tupleIJNSA_6TensorESF_SF_EERKSF_lbbbEUlllE_EE10hipError_tT0_T1_T2_jT3_P12ihipStream_tbPNSt15iterator_traitsISL_E10value_typeEPNSR_ISM_E10value_typeEPSN_NS1_7vsmem_tEENKUlT_SL_SM_SN_E_clIS8_S8_S9_S9_EESK_S10_SL_SM_SN_EUlS10_E_NS1_11comp_targetILNS1_3genE8ELNS1_11target_archE1030ELNS1_3gpuE2ELNS1_3repE0EEENS1_48merge_mergepath_partition_config_static_selectorELNS0_4arch9wavefront6targetE0EEEvSM_.has_indirect_call, 0
	.section	.AMDGPU.csdata,"",@progbits
; Kernel info:
; codeLenInByte = 0
; TotalNumSgprs: 0
; NumVgprs: 0
; ScratchSize: 0
; MemoryBound: 0
; FloatMode: 240
; IeeeMode: 1
; LDSByteSize: 0 bytes/workgroup (compile time only)
; SGPRBlocks: 0
; VGPRBlocks: 0
; NumSGPRsForWavesPerEU: 1
; NumVGPRsForWavesPerEU: 1
; NamedBarCnt: 0
; Occupancy: 16
; WaveLimiterHint : 0
; COMPUTE_PGM_RSRC2:SCRATCH_EN: 0
; COMPUTE_PGM_RSRC2:USER_SGPR: 2
; COMPUTE_PGM_RSRC2:TRAP_HANDLER: 0
; COMPUTE_PGM_RSRC2:TGID_X_EN: 1
; COMPUTE_PGM_RSRC2:TGID_Y_EN: 0
; COMPUTE_PGM_RSRC2:TGID_Z_EN: 0
; COMPUTE_PGM_RSRC2:TIDIG_COMP_CNT: 0
	.section	.text._ZN7rocprim17ROCPRIM_400000_NS6detail17trampoline_kernelINS0_14default_configENS1_38merge_sort_block_merge_config_selectorIlNS0_10empty_typeEEEZZNS1_27merge_sort_block_merge_implIS3_PlPS5_mZN2at6native12_GLOBAL__N_124unique_dim_cuda_templateIfEESt5tupleIJNSA_6TensorESF_SF_EERKSF_lbbbEUlllE_EE10hipError_tT0_T1_T2_jT3_P12ihipStream_tbPNSt15iterator_traitsISL_E10value_typeEPNSR_ISM_E10value_typeEPSN_NS1_7vsmem_tEENKUlT_SL_SM_SN_E_clIS8_S8_S9_S9_EESK_S10_SL_SM_SN_EUlS10_E0_NS1_11comp_targetILNS1_3genE0ELNS1_11target_archE4294967295ELNS1_3gpuE0ELNS1_3repE0EEENS1_38merge_mergepath_config_static_selectorELNS0_4arch9wavefront6targetE0EEEvSM_,"axG",@progbits,_ZN7rocprim17ROCPRIM_400000_NS6detail17trampoline_kernelINS0_14default_configENS1_38merge_sort_block_merge_config_selectorIlNS0_10empty_typeEEEZZNS1_27merge_sort_block_merge_implIS3_PlPS5_mZN2at6native12_GLOBAL__N_124unique_dim_cuda_templateIfEESt5tupleIJNSA_6TensorESF_SF_EERKSF_lbbbEUlllE_EE10hipError_tT0_T1_T2_jT3_P12ihipStream_tbPNSt15iterator_traitsISL_E10value_typeEPNSR_ISM_E10value_typeEPSN_NS1_7vsmem_tEENKUlT_SL_SM_SN_E_clIS8_S8_S9_S9_EESK_S10_SL_SM_SN_EUlS10_E0_NS1_11comp_targetILNS1_3genE0ELNS1_11target_archE4294967295ELNS1_3gpuE0ELNS1_3repE0EEENS1_38merge_mergepath_config_static_selectorELNS0_4arch9wavefront6targetE0EEEvSM_,comdat
	.globl	_ZN7rocprim17ROCPRIM_400000_NS6detail17trampoline_kernelINS0_14default_configENS1_38merge_sort_block_merge_config_selectorIlNS0_10empty_typeEEEZZNS1_27merge_sort_block_merge_implIS3_PlPS5_mZN2at6native12_GLOBAL__N_124unique_dim_cuda_templateIfEESt5tupleIJNSA_6TensorESF_SF_EERKSF_lbbbEUlllE_EE10hipError_tT0_T1_T2_jT3_P12ihipStream_tbPNSt15iterator_traitsISL_E10value_typeEPNSR_ISM_E10value_typeEPSN_NS1_7vsmem_tEENKUlT_SL_SM_SN_E_clIS8_S8_S9_S9_EESK_S10_SL_SM_SN_EUlS10_E0_NS1_11comp_targetILNS1_3genE0ELNS1_11target_archE4294967295ELNS1_3gpuE0ELNS1_3repE0EEENS1_38merge_mergepath_config_static_selectorELNS0_4arch9wavefront6targetE0EEEvSM_ ; -- Begin function _ZN7rocprim17ROCPRIM_400000_NS6detail17trampoline_kernelINS0_14default_configENS1_38merge_sort_block_merge_config_selectorIlNS0_10empty_typeEEEZZNS1_27merge_sort_block_merge_implIS3_PlPS5_mZN2at6native12_GLOBAL__N_124unique_dim_cuda_templateIfEESt5tupleIJNSA_6TensorESF_SF_EERKSF_lbbbEUlllE_EE10hipError_tT0_T1_T2_jT3_P12ihipStream_tbPNSt15iterator_traitsISL_E10value_typeEPNSR_ISM_E10value_typeEPSN_NS1_7vsmem_tEENKUlT_SL_SM_SN_E_clIS8_S8_S9_S9_EESK_S10_SL_SM_SN_EUlS10_E0_NS1_11comp_targetILNS1_3genE0ELNS1_11target_archE4294967295ELNS1_3gpuE0ELNS1_3repE0EEENS1_38merge_mergepath_config_static_selectorELNS0_4arch9wavefront6targetE0EEEvSM_
	.p2align	8
	.type	_ZN7rocprim17ROCPRIM_400000_NS6detail17trampoline_kernelINS0_14default_configENS1_38merge_sort_block_merge_config_selectorIlNS0_10empty_typeEEEZZNS1_27merge_sort_block_merge_implIS3_PlPS5_mZN2at6native12_GLOBAL__N_124unique_dim_cuda_templateIfEESt5tupleIJNSA_6TensorESF_SF_EERKSF_lbbbEUlllE_EE10hipError_tT0_T1_T2_jT3_P12ihipStream_tbPNSt15iterator_traitsISL_E10value_typeEPNSR_ISM_E10value_typeEPSN_NS1_7vsmem_tEENKUlT_SL_SM_SN_E_clIS8_S8_S9_S9_EESK_S10_SL_SM_SN_EUlS10_E0_NS1_11comp_targetILNS1_3genE0ELNS1_11target_archE4294967295ELNS1_3gpuE0ELNS1_3repE0EEENS1_38merge_mergepath_config_static_selectorELNS0_4arch9wavefront6targetE0EEEvSM_,@function
_ZN7rocprim17ROCPRIM_400000_NS6detail17trampoline_kernelINS0_14default_configENS1_38merge_sort_block_merge_config_selectorIlNS0_10empty_typeEEEZZNS1_27merge_sort_block_merge_implIS3_PlPS5_mZN2at6native12_GLOBAL__N_124unique_dim_cuda_templateIfEESt5tupleIJNSA_6TensorESF_SF_EERKSF_lbbbEUlllE_EE10hipError_tT0_T1_T2_jT3_P12ihipStream_tbPNSt15iterator_traitsISL_E10value_typeEPNSR_ISM_E10value_typeEPSN_NS1_7vsmem_tEENKUlT_SL_SM_SN_E_clIS8_S8_S9_S9_EESK_S10_SL_SM_SN_EUlS10_E0_NS1_11comp_targetILNS1_3genE0ELNS1_11target_archE4294967295ELNS1_3gpuE0ELNS1_3repE0EEENS1_38merge_mergepath_config_static_selectorELNS0_4arch9wavefront6targetE0EEEvSM_: ; @_ZN7rocprim17ROCPRIM_400000_NS6detail17trampoline_kernelINS0_14default_configENS1_38merge_sort_block_merge_config_selectorIlNS0_10empty_typeEEEZZNS1_27merge_sort_block_merge_implIS3_PlPS5_mZN2at6native12_GLOBAL__N_124unique_dim_cuda_templateIfEESt5tupleIJNSA_6TensorESF_SF_EERKSF_lbbbEUlllE_EE10hipError_tT0_T1_T2_jT3_P12ihipStream_tbPNSt15iterator_traitsISL_E10value_typeEPNSR_ISM_E10value_typeEPSN_NS1_7vsmem_tEENKUlT_SL_SM_SN_E_clIS8_S8_S9_S9_EESK_S10_SL_SM_SN_EUlS10_E0_NS1_11comp_targetILNS1_3genE0ELNS1_11target_archE4294967295ELNS1_3gpuE0ELNS1_3repE0EEENS1_38merge_mergepath_config_static_selectorELNS0_4arch9wavefront6targetE0EEEvSM_
; %bb.0:
	s_bfe_u32 s2, ttmp6, 0x40010
	s_and_b32 s4, ttmp7, 0xffff
	s_add_co_i32 s5, s2, 1
	s_clause 0x1
	s_load_b32 s6, s[0:1], 0x38
	s_load_b64 s[2:3], s[0:1], 0x58
	s_bfe_u32 s8, ttmp6, 0x4000c
	s_mul_i32 s5, s4, s5
	s_bfe_u32 s7, ttmp6, 0x40004
	s_add_co_i32 s8, s8, 1
	s_bfe_u32 s9, ttmp6, 0x40014
	s_add_co_i32 s7, s7, s5
	s_and_b32 s5, ttmp6, 15
	s_mul_i32 s8, ttmp9, s8
	s_lshr_b32 s10, ttmp7, 16
	s_add_co_i32 s9, s9, 1
	s_add_co_i32 s5, s5, s8
	s_mul_i32 s8, s10, s9
	s_bfe_u32 s9, ttmp6, 0x40008
	s_getreg_b32 s11, hwreg(HW_REG_IB_STS2, 6, 4)
	s_add_co_i32 s9, s9, s8
	s_cmp_eq_u32 s11, 0
	s_mov_b32 s19, 0
	s_cselect_b32 s8, s10, s9
	s_cselect_b32 s4, s4, s7
	s_wait_kmcnt 0x0
	s_mul_i32 s8, s3, s8
	s_cselect_b32 s3, ttmp9, s5
	s_add_co_i32 s4, s8, s4
	s_delay_alu instid0(SALU_CYCLE_1) | instskip(NEXT) | instid1(SALU_CYCLE_1)
	s_mul_i32 s4, s4, s2
	s_add_co_i32 s18, s4, s3
	s_delay_alu instid0(SALU_CYCLE_1)
	s_cmp_ge_u32 s18, s6
	s_cbranch_scc1 .LBB888_116
; %bb.1:
	s_clause 0x1
	s_load_b64 s[4:5], s[0:1], 0x50
	s_load_b128 s[8:11], s[0:1], 0x28
	s_lshl_b64 s[6:7], s[18:19], 3
	s_mov_b32 s23, s19
	s_add_nc_u64 s[20:21], s[0:1], 0x58
	s_wait_kmcnt 0x0
	s_add_nc_u64 s[16:17], s[4:5], s[6:7]
	s_load_b128 s[12:15], s[16:17], 0x0
	s_load_b128 s[4:7], s[0:1], 0x8
	s_wait_xcnt 0x0
	s_lshr_b64 s[16:17], s[10:11], 9
	s_delay_alu instid0(SALU_CYCLE_1) | instskip(NEXT) | instid1(SALU_CYCLE_1)
	s_and_b32 s16, s16, -2
	s_sub_co_i32 s30, 0, s16
	s_lshl_b64 s[16:17], s[18:19], 10
	s_and_b32 s22, s18, s30
	s_or_b32 s30, s18, s30
	s_lshl_b64 s[24:25], s[22:23], 10
	s_lshl_b64 s[22:23], s[22:23], 11
	s_sub_nc_u64 s[28:29], s[16:17], s[24:25]
	s_add_nc_u64 s[26:27], s[22:23], s[10:11]
	s_cmp_lg_u32 s30, -1
	s_add_nc_u64 s[22:23], s[26:27], s[28:29]
	s_mov_b32 s28, -1
	s_cbranch_scc0 .LBB888_3
; %bb.2:
	s_wait_kmcnt 0x0
	s_sub_nc_u64 s[10:11], s[22:23], s[14:15]
	v_mov_b64_e32 v[2:3], s[14:15]
	s_add_nc_u64 s[10:11], s[10:11], 0x400
	s_branch .LBB888_4
.LBB888_3:
	s_wait_kmcnt 0x0
	s_sub_nc_u64 s[14:15], s[26:27], s[24:25]
	s_delay_alu instid0(SALU_CYCLE_1)
	v_min_u64 v[2:3], s[8:9], s[14:15]
	s_add_nc_u64 s[10:11], s[14:15], s[10:11]
.LBB888_4:
	v_mov_b32_e32 v21, 0
	v_min_u64 v[4:5], s[8:9], s[10:11]
	s_sub_nc_u64 s[10:11], s[22:23], s[12:13]
	v_lshlrev_b32_e32 v20, 3, v0
	v_min_u64 v[6:7], s[8:9], s[10:11]
	global_load_b32 v1, v21, s[20:21] offset:14
	s_lshr_b64 s[10:11], s[8:9], 10
	s_delay_alu instid0(SALU_CYCLE_1)
	s_cmp_lg_u64 s[10:11], s[18:19]
	s_cselect_b32 s9, -1, 0
	s_lshl_b64 s[14:15], s[12:13], 3
	s_cmp_lt_u32 s3, s2
	s_mov_b32 s3, 0
	s_cselect_b32 s2, 12, 18
	s_cmp_eq_u64 s[10:11], s[18:19]
	s_add_nc_u64 s[2:3], s[20:21], s[2:3]
	s_add_nc_u64 s[10:11], s[4:5], s[14:15]
	s_load_u16 s2, s[2:3], 0x0
	v_lshlrev_b64_e32 v[8:9], 3, v[6:7]
	v_sub_nc_u32_e32 v24, v4, v6
	s_delay_alu instid0(VALU_DEP_2) | instskip(SKIP_3) | instid1(VALU_DEP_1)
	v_add_nc_u64_e32 v[22:23], s[4:5], v[8:9]
	s_wait_loadcnt 0x0
	v_lshrrev_b32_e32 v3, 16, v1
	v_and_b32_e32 v1, 0xffff, v1
	v_mul_lo_u32 v1, v1, v3
	s_wait_kmcnt 0x0
	s_delay_alu instid0(VALU_DEP_1)
	v_mul_lo_u32 v25, v1, s2
	v_subrev_nc_u32_e32 v1, s12, v2
	s_cbranch_scc1 .LBB888_6
; %bb.5:
	s_delay_alu instid0(VALU_DEP_1) | instskip(SKIP_3) | instid1(VALU_DEP_3)
	v_sub_co_u32 v4, vcc_lo, v0, v1
	v_dual_mov_b32 v5, v21 :: v_dual_mov_b32 v7, v21
	v_add_nc_u64_e32 v[2:3], s[10:11], v[20:21]
	v_dual_mov_b32 v17, v21 :: v_dual_mov_b32 v19, v21
	v_lshl_add_u64 v[4:5], v[4:5], 3, v[22:23]
	v_add_nc_u32_e32 v6, v25, v0
	s_delay_alu instid0(VALU_DEP_2) | instskip(NEXT) | instid1(VALU_DEP_2)
	v_dual_add_nc_u32 v36, v1, v24 :: v_dual_cndmask_b32 v2, v4, v2, vcc_lo
	v_lshl_add_u64 v[8:9], v[6:7], 3, s[10:11]
	v_sub_co_u32 v10, s2, v6, v1
	v_dual_mov_b32 v11, v21 :: v_dual_add_nc_u32 v6, v6, v25
	v_cndmask_b32_e32 v3, v5, v3, vcc_lo
	s_delay_alu instid0(VALU_DEP_2) | instskip(NEXT) | instid1(VALU_DEP_3)
	v_lshl_add_u64 v[4:5], v[10:11], 3, v[22:23]
	v_lshl_add_u64 v[10:11], v[6:7], 3, s[10:11]
	v_sub_co_u32 v12, vcc_lo, v6, v1
	s_delay_alu instid0(VALU_DEP_3) | instskip(SKIP_3) | instid1(VALU_DEP_4)
	v_dual_mov_b32 v13, v21 :: v_dual_cndmask_b32 v4, v4, v8, s2
	v_add_nc_u32_e32 v6, v6, v25
	v_cndmask_b32_e64 v5, v5, v9, s2
	v_mov_b32_e32 v15, v21
	v_lshl_add_u64 v[8:9], v[12:13], 3, v[22:23]
	global_load_b64 v[2:3], v[2:3], off
	v_lshl_add_u64 v[12:13], v[6:7], 3, s[10:11]
	v_sub_co_u32 v14, s2, v6, v1
	v_dual_cndmask_b32 v9, v9, v11 :: v_dual_add_nc_u32 v6, v6, v25
	v_cndmask_b32_e32 v8, v8, v10, vcc_lo
	s_delay_alu instid0(VALU_DEP_3) | instskip(SKIP_4) | instid1(VALU_DEP_3)
	v_lshl_add_u64 v[10:11], v[14:15], 3, v[22:23]
	global_load_b64 v[4:5], v[4:5], off
	v_add_nc_u32_e32 v18, v6, v25
	v_sub_co_u32 v16, vcc_lo, v6, v1
	v_dual_cndmask_b32 v27, v11, v13, s2 :: v_dual_cndmask_b32 v26, v10, v12, s2
	v_dual_mov_b32 v13, v21 :: v_dual_add_nc_u32 v12, v18, v25
	v_lshl_add_u64 v[14:15], v[6:7], 3, s[10:11]
	global_load_b64 v[6:7], v[8:9], off
	s_wait_xcnt 0x0
	v_lshl_add_u64 v[8:9], v[16:17], 3, v[22:23]
	v_lshl_add_u64 v[10:11], v[18:19], 3, s[10:11]
	v_sub_co_u32 v16, s2, v18, v1
	s_delay_alu instid0(VALU_DEP_3) | instskip(SKIP_2) | instid1(VALU_DEP_3)
	v_dual_cndmask_b32 v33, v9, v15 :: v_dual_add_nc_u32 v18, v12, v25
	v_lshl_add_u64 v[28:29], v[12:13], 3, s[10:11]
	v_sub_co_u32 v12, s3, v12, v1
	v_lshl_add_u64 v[30:31], v[18:19], 3, s[10:11]
	v_sub_co_u32 v18, s4, v18, v1
	v_lshl_add_u64 v[16:17], v[16:17], 3, v[22:23]
	s_delay_alu instid0(VALU_DEP_4) | instskip(SKIP_1) | instid1(VALU_DEP_4)
	v_lshl_add_u64 v[12:13], v[12:13], 3, v[22:23]
	v_cndmask_b32_e32 v32, v8, v14, vcc_lo
	v_lshl_add_u64 v[8:9], v[18:19], 3, v[22:23]
	s_delay_alu instid0(VALU_DEP_4) | instskip(NEXT) | instid1(VALU_DEP_4)
	v_dual_cndmask_b32 v19, v17, v11, s2 :: v_dual_cndmask_b32 v18, v16, v10, s2
	v_dual_cndmask_b32 v29, v13, v29, s3 :: v_dual_cndmask_b32 v28, v12, v28, s3
	s_delay_alu instid0(VALU_DEP_3)
	v_dual_cndmask_b32 v31, v9, v31, s4 :: v_dual_cndmask_b32 v30, v8, v30, s4
	global_load_b64 v[8:9], v[26:27], off
	global_load_b64 v[10:11], v[32:33], off
	;; [unrolled: 1-line block ×5, first 2 shown]
	s_cbranch_execz .LBB888_7
	s_branch .LBB888_24
.LBB888_6:
                                        ; implicit-def: $vgpr2_vgpr3_vgpr4_vgpr5_vgpr6_vgpr7_vgpr8_vgpr9_vgpr10_vgpr11_vgpr12_vgpr13_vgpr14_vgpr15_vgpr16_vgpr17
                                        ; implicit-def: $vgpr36
	s_and_not1_b32 vcc_lo, exec_lo, s28
	s_cbranch_vccnz .LBB888_24
.LBB888_7:
	s_wait_loadcnt 0x7
	v_dual_add_nc_u32 v36, v1, v24 :: v_dual_mov_b32 v2, 0
	s_mov_b32 s2, exec_lo
	s_wait_loadcnt 0x6
	s_delay_alu instid0(VALU_DEP_1)
	v_dual_mov_b32 v3, v2 :: v_dual_mov_b32 v4, v2
	s_wait_loadcnt 0x5
	v_dual_mov_b32 v5, v2 :: v_dual_mov_b32 v6, v2
	s_wait_loadcnt 0x4
	;; [unrolled: 2-line block ×6, first 2 shown]
	v_dual_mov_b32 v15, v2 :: v_dual_mov_b32 v16, v2
	v_mov_b32_e32 v17, v2
	v_cmpx_lt_u32_e64 v0, v36
	s_cbranch_execz .LBB888_9
; %bb.8:
	v_dual_mov_b32 v21, v2 :: v_dual_mov_b32 v5, v2
	v_sub_co_u32 v4, vcc_lo, v0, v1
	v_dual_mov_b32 v18, v2 :: v_dual_mov_b32 v19, v2
	s_delay_alu instid0(VALU_DEP_3) | instskip(NEXT) | instid1(VALU_DEP_3)
	v_add_nc_u64_e32 v[6:7], s[10:11], v[20:21]
	v_lshl_add_u64 v[4:5], v[4:5], 3, v[22:23]
	v_dual_mov_b32 v8, v2 :: v_dual_mov_b32 v9, v2
	v_dual_mov_b32 v10, v2 :: v_dual_mov_b32 v11, v2
	;; [unrolled: 1-line block ×3, first 2 shown]
	s_delay_alu instid0(VALU_DEP_4)
	v_dual_cndmask_b32 v5, v5, v7 :: v_dual_cndmask_b32 v4, v4, v6
	v_dual_mov_b32 v6, v2 :: v_dual_mov_b32 v7, v2
	v_dual_mov_b32 v14, v2 :: v_dual_mov_b32 v15, v2
	global_load_b64 v[4:5], v[4:5], off
	v_dual_mov_b32 v16, v2 :: v_dual_mov_b32 v17, v2
	s_wait_loadcnt 0x0
	v_mov_b64_e32 v[2:3], v[4:5]
	v_mov_b64_e32 v[4:5], v[6:7]
	;; [unrolled: 1-line block ×8, first 2 shown]
.LBB888_9:
	s_or_b32 exec_lo, exec_lo, s2
	v_add_nc_u32_e32 v18, v25, v0
	s_mov_b32 s2, exec_lo
	s_delay_alu instid0(VALU_DEP_1)
	v_cmpx_lt_u32_e64 v18, v36
	s_cbranch_execz .LBB888_11
; %bb.10:
	v_sub_co_u32 v26, vcc_lo, v18, v1
	v_mov_b32_e32 v19, 0
	s_delay_alu instid0(VALU_DEP_1) | instskip(SKIP_1) | instid1(VALU_DEP_1)
	v_lshl_add_u64 v[4:5], v[18:19], 3, s[10:11]
	v_mov_b32_e32 v27, v19
	v_lshl_add_u64 v[26:27], v[26:27], 3, v[22:23]
	s_delay_alu instid0(VALU_DEP_1)
	v_dual_cndmask_b32 v5, v27, v5 :: v_dual_cndmask_b32 v4, v26, v4
	global_load_b64 v[4:5], v[4:5], off
.LBB888_11:
	s_wait_xcnt 0x0
	s_or_b32 exec_lo, exec_lo, s2
	v_add_nc_u32_e32 v18, v18, v25
	s_mov_b32 s2, exec_lo
	s_delay_alu instid0(VALU_DEP_1)
	v_cmpx_lt_u32_e64 v18, v36
	s_cbranch_execz .LBB888_13
; %bb.12:
	v_sub_co_u32 v26, vcc_lo, v18, v1
	v_mov_b32_e32 v19, 0
	s_delay_alu instid0(VALU_DEP_1) | instskip(SKIP_1) | instid1(VALU_DEP_1)
	v_lshl_add_u64 v[6:7], v[18:19], 3, s[10:11]
	v_mov_b32_e32 v27, v19
	v_lshl_add_u64 v[26:27], v[26:27], 3, v[22:23]
	s_delay_alu instid0(VALU_DEP_1)
	v_dual_cndmask_b32 v7, v27, v7 :: v_dual_cndmask_b32 v6, v26, v6
	global_load_b64 v[6:7], v[6:7], off
.LBB888_13:
	s_wait_xcnt 0x0
	;; [unrolled: 18-line block ×6, first 2 shown]
	s_or_b32 exec_lo, exec_lo, s2
	v_add_nc_u32_e32 v18, v18, v25
	s_mov_b32 s2, exec_lo
	s_delay_alu instid0(VALU_DEP_1)
	v_cmpx_lt_u32_e64 v18, v36
	s_cbranch_execz .LBB888_23
; %bb.22:
	v_mov_b32_e32 v19, 0
	s_delay_alu instid0(VALU_DEP_1) | instskip(SKIP_1) | instid1(VALU_DEP_1)
	v_lshl_add_u64 v[16:17], v[18:19], 3, s[10:11]
	v_sub_co_u32 v18, vcc_lo, v18, v1
	v_lshl_add_u64 v[18:19], v[18:19], 3, v[22:23]
	s_delay_alu instid0(VALU_DEP_1)
	v_dual_cndmask_b32 v17, v19, v17 :: v_dual_cndmask_b32 v16, v18, v16
	global_load_b64 v[16:17], v[16:17], off
.LBB888_23:
	s_wait_xcnt 0x0
	s_or_b32 exec_lo, exec_lo, s2
.LBB888_24:
	s_load_b128 s[12:15], s[0:1], 0x40
	v_min_u32_e32 v25, v36, v20
	s_wait_xcnt 0x0
	s_mov_b32 s1, exec_lo
	s_wait_loadcnt 0x0
	ds_store_2addr_stride64_b64 v20, v[2:3], v[4:5] offset1:2
	ds_store_2addr_stride64_b64 v20, v[6:7], v[8:9] offset0:4 offset1:6
	ds_store_2addr_stride64_b64 v20, v[10:11], v[12:13] offset0:8 offset1:10
	;; [unrolled: 1-line block ×3, first 2 shown]
	s_wait_dscnt 0x0
	s_barrier_signal -1
	v_sub_nc_u32_e64 v21, v25, v24 clamp
	v_min_u32_e32 v24, v25, v1
	s_barrier_wait -1
	s_delay_alu instid0(VALU_DEP_1)
	v_cmpx_lt_u32_e64 v21, v24
	s_cbranch_execz .LBB888_34
; %bb.25:
	v_lshlrev_b32_e32 v18, 3, v25
	s_wait_kmcnt 0x0
	v_cmp_gt_i64_e64 s10, s[12:13], 0
	s_lshl_b64 s[2:3], s[12:13], 2
	s_mov_b32 s11, 0
	v_lshl_add_u32 v26, v1, 3, v18
	s_branch .LBB888_28
.LBB888_26:                             ;   in Loop: Header=BB888_28 Depth=1
	s_or_b32 exec_lo, exec_lo, s19
.LBB888_27:                             ;   in Loop: Header=BB888_28 Depth=1
	s_delay_alu instid0(VALU_DEP_1) | instskip(NEXT) | instid1(VALU_DEP_1)
	v_dual_add_nc_u32 v18, 1, v27 :: v_dual_cndmask_b32 v24, v24, v27, s18
	v_cndmask_b32_e64 v21, v18, v21, s18
	s_delay_alu instid0(VALU_DEP_1) | instskip(SKIP_1) | instid1(SALU_CYCLE_1)
	v_cmp_ge_u32_e32 vcc_lo, v21, v24
	s_or_b32 s11, vcc_lo, s11
	s_and_not1_b32 exec_lo, exec_lo, s11
	s_cbranch_execz .LBB888_33
.LBB888_28:                             ; =>This Loop Header: Depth=1
                                        ;     Child Loop BB888_31 Depth 2
	v_add_nc_u32_e32 v18, v24, v21
	s_and_not1_b32 vcc_lo, exec_lo, s10
	s_mov_b32 s18, 0
	s_delay_alu instid0(VALU_DEP_1)
	v_lshrrev_b32_e32 v27, 1, v18
	s_cbranch_vccnz .LBB888_27
; %bb.29:                               ;   in Loop: Header=BB888_28 Depth=1
	s_delay_alu instid0(VALU_DEP_1) | instskip(SKIP_3) | instid1(VALU_DEP_2)
	v_not_b32_e32 v18, v27
	v_lshlrev_b32_e32 v19, 3, v27
	s_mov_b32 s19, 0
	s_mov_b64 s[4:5], s[12:13]
                                        ; implicit-def: $sgpr18
                                        ; implicit-def: $sgpr20
                                        ; implicit-def: $sgpr21
                                        ; implicit-def: $sgpr22
	v_lshl_add_u32 v18, v18, 3, v26
	ds_load_b64 v[28:29], v18
	ds_load_b64 v[30:31], v19
	s_wait_dscnt 0x1
	v_mad_nc_u64_u32 v[18:19], s2, v28, s[14:15]
	s_wait_dscnt 0x0
	v_mad_nc_u64_u32 v[22:23], s2, v30, s[14:15]
	s_delay_alu instid0(VALU_DEP_2) | instskip(NEXT) | instid1(VALU_DEP_2)
	v_mad_u32 v19, s3, v28, v19
	v_mad_u32 v23, s3, v30, v23
	s_delay_alu instid0(VALU_DEP_2) | instskip(NEXT) | instid1(VALU_DEP_2)
	v_mad_u32 v19, s2, v29, v19
	v_mad_u32 v23, s2, v31, v23
	s_branch .LBB888_31
.LBB888_30:                             ;   in Loop: Header=BB888_31 Depth=2
	s_or_b32 exec_lo, exec_lo, s0
	s_delay_alu instid0(SALU_CYCLE_1) | instskip(NEXT) | instid1(SALU_CYCLE_1)
	s_and_b32 s0, exec_lo, s20
	s_or_b32 s19, s0, s19
	s_and_not1_b32 s0, s22, exec_lo
	s_and_b32 s22, s23, exec_lo
	s_and_not1_b32 s18, s18, exec_lo
	s_and_b32 s23, s21, exec_lo
	s_or_b32 s22, s0, s22
	s_or_b32 s18, s18, s23
	s_and_not1_b32 exec_lo, exec_lo, s19
	s_cbranch_execz .LBB888_26
.LBB888_31:                             ;   Parent Loop BB888_28 Depth=1
                                        ; =>  This Inner Loop Header: Depth=2
	global_load_b32 v28, v[18:19], off
	global_load_b32 v29, v[22:23], off
	s_and_not1_b32 s21, s21, exec_lo
	s_or_b32 s20, s20, exec_lo
	s_wait_loadcnt 0x0
	v_cmp_ngt_f32_e32 vcc_lo, v28, v29
	v_cmp_lt_f32_e64 s0, v28, v29
	s_and_b32 s23, vcc_lo, s22
	s_xor_b32 s25, s0, vcc_lo
	s_or_b32 s23, s0, s23
	s_delay_alu instid0(SALU_CYCLE_1) | instskip(NEXT) | instid1(SALU_CYCLE_1)
	s_and_b32 s24, s23, exec_lo
	s_or_b32 s21, s21, s24
	s_and_saveexec_b32 s0, s25
	s_cbranch_execz .LBB888_30
; %bb.32:                               ;   in Loop: Header=BB888_31 Depth=2
	s_add_nc_u64 s[4:5], s[4:5], -1
	v_add_nc_u64_e32 v[18:19], 4, v[18:19]
	s_cmp_eq_u64 s[4:5], 0
	v_add_nc_u64_e32 v[22:23], 4, v[22:23]
	s_cselect_b32 s22, -1, 0
	s_and_not1_b32 s20, s20, exec_lo
	s_and_b32 s22, s22, exec_lo
	s_and_not1_b32 s21, s21, exec_lo
	s_or_b32 s20, s20, s22
                                        ; implicit-def: $sgpr22
	s_branch .LBB888_30
.LBB888_33:
	s_or_b32 exec_lo, exec_lo, s11
.LBB888_34:
	s_delay_alu instid0(SALU_CYCLE_1) | instskip(SKIP_2) | instid1(VALU_DEP_2)
	s_or_b32 exec_lo, exec_lo, s1
	v_sub_nc_u32_e32 v18, v25, v21
	v_cmp_le_u32_e32 vcc_lo, v21, v1
	v_add_nc_u32_e32 v18, v18, v1
	s_delay_alu instid0(VALU_DEP_1) | instskip(SKIP_1) | instid1(SALU_CYCLE_1)
	v_cmp_le_u32_e64 s0, v18, v36
	s_or_b32 s0, vcc_lo, s0
	s_and_saveexec_b32 s4, s0
	s_cbranch_execz .LBB888_102
; %bb.35:
	s_mov_b32 s1, exec_lo
	v_cmp_ge_u32_e32 vcc_lo, v21, v1
                                        ; implicit-def: $vgpr2_vgpr3
	v_cmpx_lt_u32_e64 v21, v1
; %bb.36:
	v_lshlrev_b32_e32 v2, 3, v21
	ds_load_b64 v[2:3], v2
; %bb.37:
	s_or_b32 exec_lo, exec_lo, s1
	v_cmp_ge_u32_e64 s0, v18, v36
	s_mov_b32 s2, exec_lo
                                        ; implicit-def: $vgpr16_vgpr17
	v_cmpx_lt_u32_e64 v18, v36
; %bb.38:
	v_lshlrev_b32_e32 v4, 3, v18
	ds_load_b64 v[16:17], v4
; %bb.39:
	s_or_b32 exec_lo, exec_lo, s2
	s_wait_kmcnt 0x0
	v_cmp_lt_i64_e64 s5, s[12:13], 1
	s_or_b32 s1, vcc_lo, s0
	s_xor_b32 s2, vcc_lo, -1
	s_nor_b32 s3, s1, s5
	s_or_b32 s1, s0, s2
	s_and_saveexec_b32 s10, s3
	s_cbranch_execz .LBB888_45
; %bb.40:
	s_wait_dscnt 0x0
	v_mul_u64_e32 v[4:5], s[12:13], v[16:17]
	v_mul_u64_e32 v[6:7], s[12:13], v[2:3]
	s_mov_b32 s11, 0
	s_mov_b64 s[2:3], s[12:13]
                                        ; implicit-def: $sgpr18
                                        ; implicit-def: $sgpr19
                                        ; implicit-def: $sgpr20
                                        ; implicit-def: $sgpr21
	s_delay_alu instid0(VALU_DEP_2) | instskip(NEXT) | instid1(VALU_DEP_2)
	v_lshl_add_u64 v[4:5], v[4:5], 2, s[14:15]
	v_lshl_add_u64 v[6:7], v[6:7], 2, s[14:15]
	s_branch .LBB888_42
.LBB888_41:                             ;   in Loop: Header=BB888_42 Depth=1
	s_or_b32 exec_lo, exec_lo, s0
	s_delay_alu instid0(SALU_CYCLE_1) | instskip(NEXT) | instid1(SALU_CYCLE_1)
	s_and_b32 s0, exec_lo, s19
	s_or_b32 s11, s0, s11
	s_and_not1_b32 s0, s21, exec_lo
	s_and_b32 s21, s22, exec_lo
	s_and_not1_b32 s18, s18, exec_lo
	s_and_b32 s22, s20, exec_lo
	s_or_b32 s21, s0, s21
	s_or_b32 s18, s18, s22
	s_and_not1_b32 exec_lo, exec_lo, s11
	s_cbranch_execz .LBB888_44
.LBB888_42:                             ; =>This Inner Loop Header: Depth=1
	global_load_b32 v8, v[4:5], off
	global_load_b32 v9, v[6:7], off
	s_and_not1_b32 s20, s20, exec_lo
	s_or_b32 s19, s19, exec_lo
	s_wait_loadcnt 0x0
	v_cmp_ngt_f32_e32 vcc_lo, v8, v9
	v_cmp_lt_f32_e64 s0, v8, v9
	s_and_b32 s22, vcc_lo, s21
	s_xor_b32 s24, s0, vcc_lo
	s_or_b32 s22, s0, s22
	s_delay_alu instid0(SALU_CYCLE_1) | instskip(NEXT) | instid1(SALU_CYCLE_1)
	s_and_b32 s23, s22, exec_lo
	s_or_b32 s20, s20, s23
	s_and_saveexec_b32 s0, s24
	s_cbranch_execz .LBB888_41
; %bb.43:                               ;   in Loop: Header=BB888_42 Depth=1
	s_add_nc_u64 s[2:3], s[2:3], -1
	v_add_nc_u64_e32 v[4:5], 4, v[4:5]
	s_cmp_eq_u64 s[2:3], 0
	v_add_nc_u64_e32 v[6:7], 4, v[6:7]
	s_cselect_b32 s21, -1, 0
	s_and_not1_b32 s19, s19, exec_lo
	s_and_b32 s21, s21, exec_lo
	s_and_not1_b32 s20, s20, exec_lo
	s_or_b32 s19, s19, s21
                                        ; implicit-def: $sgpr21
	s_branch .LBB888_41
.LBB888_44:
	s_or_b32 exec_lo, exec_lo, s11
	s_xor_b32 s0, s18, -1
	s_and_not1_b32 s1, s1, exec_lo
	s_and_b32 s0, s0, exec_lo
	s_delay_alu instid0(SALU_CYCLE_1)
	s_or_b32 s1, s1, s0
.LBB888_45:
	s_or_b32 exec_lo, exec_lo, s10
	v_cndmask_b32_e64 v4, v18, v21, s1
	v_cndmask_b32_e64 v5, v36, v1, s1
	s_mov_b32 s11, -1
	s_mov_b32 s10, -1
	s_mov_b32 s18, exec_lo
	v_add_nc_u32_e32 v4, 1, v4
	s_delay_alu instid0(VALU_DEP_1) | instskip(NEXT) | instid1(VALU_DEP_1)
	v_add_min_u32_e64 v5, v5, -1, v4
	v_dual_cndmask_b32 v10, v4, v18, s1 :: v_dual_lshlrev_b32 v5, 3, v5
	ds_load_b64 v[6:7], v5
	s_wait_dscnt 0x0
	v_dual_cndmask_b32 v11, v21, v4, s1 :: v_dual_cndmask_b32 v5, v7, v17, s1
	v_dual_cndmask_b32 v4, v6, v16, s1 :: v_dual_cndmask_b32 v19, v3, v7, s1
	v_cndmask_b32_e64 v18, v2, v6, s1
	v_cmpx_lt_u32_e64 v10, v36
	s_cbranch_execz .LBB888_53
; %bb.46:
	v_cmp_lt_u32_e64 s10, v11, v1
	s_xor_b32 s0, s5, -1
	s_delay_alu instid0(SALU_CYCLE_1) | instskip(NEXT) | instid1(SALU_CYCLE_1)
	s_and_b32 s0, s10, s0
	s_and_saveexec_b32 s19, s0
	s_cbranch_execz .LBB888_52
; %bb.47:
	v_mul_u64_e32 v[6:7], s[12:13], v[4:5]
	v_mul_u64_e32 v[8:9], s[12:13], v[18:19]
	s_mov_b32 s20, 0
	s_mov_b64 s[2:3], s[12:13]
                                        ; implicit-def: $sgpr21
                                        ; implicit-def: $sgpr22
                                        ; implicit-def: $sgpr23
                                        ; implicit-def: $sgpr24
	s_delay_alu instid0(VALU_DEP_2) | instskip(NEXT) | instid1(VALU_DEP_2)
	v_lshl_add_u64 v[6:7], v[6:7], 2, s[14:15]
	v_lshl_add_u64 v[8:9], v[8:9], 2, s[14:15]
	s_branch .LBB888_49
.LBB888_48:                             ;   in Loop: Header=BB888_49 Depth=1
	s_or_b32 exec_lo, exec_lo, s0
	s_delay_alu instid0(SALU_CYCLE_1) | instskip(NEXT) | instid1(SALU_CYCLE_1)
	s_and_b32 s0, exec_lo, s22
	s_or_b32 s20, s0, s20
	s_and_not1_b32 s0, s24, exec_lo
	s_and_b32 s24, s25, exec_lo
	s_and_not1_b32 s21, s21, exec_lo
	s_and_b32 s25, s23, exec_lo
	s_or_b32 s24, s0, s24
	s_or_b32 s21, s21, s25
	s_and_not1_b32 exec_lo, exec_lo, s20
	s_cbranch_execz .LBB888_51
.LBB888_49:                             ; =>This Inner Loop Header: Depth=1
	global_load_b32 v12, v[6:7], off
	global_load_b32 v13, v[8:9], off
	s_and_not1_b32 s23, s23, exec_lo
	s_or_b32 s22, s22, exec_lo
	s_wait_loadcnt 0x0
	v_cmp_ngt_f32_e32 vcc_lo, v12, v13
	v_cmp_lt_f32_e64 s0, v12, v13
	s_and_b32 s25, vcc_lo, s24
	s_xor_b32 s27, s0, vcc_lo
	s_or_b32 s25, s0, s25
	s_delay_alu instid0(SALU_CYCLE_1) | instskip(NEXT) | instid1(SALU_CYCLE_1)
	s_and_b32 s26, s25, exec_lo
	s_or_b32 s23, s23, s26
	s_and_saveexec_b32 s0, s27
	s_cbranch_execz .LBB888_48
; %bb.50:                               ;   in Loop: Header=BB888_49 Depth=1
	s_add_nc_u64 s[2:3], s[2:3], -1
	v_add_nc_u64_e32 v[6:7], 4, v[6:7]
	s_cmp_eq_u64 s[2:3], 0
	v_add_nc_u64_e32 v[8:9], 4, v[8:9]
	s_cselect_b32 s24, -1, 0
	s_and_not1_b32 s22, s22, exec_lo
	s_and_b32 s24, s24, exec_lo
	s_and_not1_b32 s23, s23, exec_lo
	s_or_b32 s22, s22, s24
                                        ; implicit-def: $sgpr24
	s_branch .LBB888_48
.LBB888_51:
	s_or_b32 exec_lo, exec_lo, s20
	s_xor_b32 s0, s21, -1
	s_and_not1_b32 s2, s10, exec_lo
	s_and_b32 s0, s0, exec_lo
	s_delay_alu instid0(SALU_CYCLE_1)
	s_or_b32 s10, s2, s0
.LBB888_52:
	s_or_b32 exec_lo, exec_lo, s19
	s_delay_alu instid0(SALU_CYCLE_1)
	s_or_not1_b32 s10, s10, exec_lo
.LBB888_53:
	s_or_b32 exec_lo, exec_lo, s18
	v_dual_cndmask_b32 v6, v10, v11, s10 :: v_dual_cndmask_b32 v7, v36, v1, s10
	s_mov_b32 s18, exec_lo
	s_delay_alu instid0(VALU_DEP_1) | instskip(NEXT) | instid1(VALU_DEP_1)
	v_add_nc_u32_e32 v6, 1, v6
	v_add_min_u32_e64 v7, v7, -1, v6
	s_delay_alu instid0(VALU_DEP_1)
	v_lshlrev_b32_e32 v7, 3, v7
	ds_load_b64 v[8:9], v7
	v_cndmask_b32_e64 v12, v6, v10, s10
	s_wait_dscnt 0x0
	v_dual_cndmask_b32 v13, v11, v6, s10 :: v_dual_cndmask_b32 v6, v8, v4, s10
	v_cndmask_b32_e64 v7, v9, v5, s10
	v_dual_cndmask_b32 v23, v19, v9, s10 :: v_dual_cndmask_b32 v22, v18, v8, s10
	v_cmpx_lt_u32_e64 v12, v36
	s_cbranch_execz .LBB888_61
; %bb.54:
	v_cmp_lt_u32_e64 s11, v13, v1
	s_xor_b32 s0, s5, -1
	s_delay_alu instid0(SALU_CYCLE_1) | instskip(NEXT) | instid1(SALU_CYCLE_1)
	s_and_b32 s0, s11, s0
	s_and_saveexec_b32 s19, s0
	s_cbranch_execz .LBB888_60
; %bb.55:
	v_mul_u64_e32 v[8:9], s[12:13], v[6:7]
	v_mul_u64_e32 v[10:11], s[12:13], v[22:23]
	s_mov_b32 s20, 0
	s_mov_b64 s[2:3], s[12:13]
                                        ; implicit-def: $sgpr21
                                        ; implicit-def: $sgpr22
                                        ; implicit-def: $sgpr23
                                        ; implicit-def: $sgpr24
	s_delay_alu instid0(VALU_DEP_2) | instskip(NEXT) | instid1(VALU_DEP_2)
	v_lshl_add_u64 v[8:9], v[8:9], 2, s[14:15]
	v_lshl_add_u64 v[10:11], v[10:11], 2, s[14:15]
	s_branch .LBB888_57
.LBB888_56:                             ;   in Loop: Header=BB888_57 Depth=1
	s_or_b32 exec_lo, exec_lo, s0
	s_delay_alu instid0(SALU_CYCLE_1) | instskip(NEXT) | instid1(SALU_CYCLE_1)
	s_and_b32 s0, exec_lo, s22
	s_or_b32 s20, s0, s20
	s_and_not1_b32 s0, s24, exec_lo
	s_and_b32 s24, s25, exec_lo
	s_and_not1_b32 s21, s21, exec_lo
	s_and_b32 s25, s23, exec_lo
	s_or_b32 s24, s0, s24
	s_or_b32 s21, s21, s25
	s_and_not1_b32 exec_lo, exec_lo, s20
	s_cbranch_execz .LBB888_59
.LBB888_57:                             ; =>This Inner Loop Header: Depth=1
	global_load_b32 v14, v[8:9], off
	global_load_b32 v15, v[10:11], off
	s_and_not1_b32 s23, s23, exec_lo
	s_or_b32 s22, s22, exec_lo
	s_wait_loadcnt 0x0
	v_cmp_ngt_f32_e32 vcc_lo, v14, v15
	v_cmp_lt_f32_e64 s0, v14, v15
	s_and_b32 s25, vcc_lo, s24
	s_xor_b32 s27, s0, vcc_lo
	s_or_b32 s25, s0, s25
	s_delay_alu instid0(SALU_CYCLE_1) | instskip(NEXT) | instid1(SALU_CYCLE_1)
	s_and_b32 s26, s25, exec_lo
	s_or_b32 s23, s23, s26
	s_and_saveexec_b32 s0, s27
	s_cbranch_execz .LBB888_56
; %bb.58:                               ;   in Loop: Header=BB888_57 Depth=1
	s_add_nc_u64 s[2:3], s[2:3], -1
	v_add_nc_u64_e32 v[8:9], 4, v[8:9]
	s_cmp_eq_u64 s[2:3], 0
	v_add_nc_u64_e32 v[10:11], 4, v[10:11]
	s_cselect_b32 s24, -1, 0
	s_and_not1_b32 s22, s22, exec_lo
	s_and_b32 s24, s24, exec_lo
	s_and_not1_b32 s23, s23, exec_lo
	s_or_b32 s22, s22, s24
                                        ; implicit-def: $sgpr24
	s_branch .LBB888_56
.LBB888_59:
	s_or_b32 exec_lo, exec_lo, s20
	s_xor_b32 s0, s21, -1
	s_and_not1_b32 s2, s11, exec_lo
	s_and_b32 s0, s0, exec_lo
	s_delay_alu instid0(SALU_CYCLE_1)
	s_or_b32 s11, s2, s0
.LBB888_60:
	s_or_b32 exec_lo, exec_lo, s19
	s_delay_alu instid0(SALU_CYCLE_1)
	s_or_not1_b32 s11, s11, exec_lo
.LBB888_61:
	s_or_b32 exec_lo, exec_lo, s18
	v_cndmask_b32_e64 v8, v12, v13, s11
	v_cndmask_b32_e64 v9, v36, v1, s11
	s_mov_b32 s19, -1
	s_mov_b32 s18, -1
	s_mov_b32 s20, exec_lo
	v_add_nc_u32_e32 v8, 1, v8
	s_delay_alu instid0(VALU_DEP_1) | instskip(NEXT) | instid1(VALU_DEP_1)
	v_add_min_u32_e64 v9, v9, -1, v8
	v_dual_cndmask_b32 v14, v8, v12, s11 :: v_dual_lshlrev_b32 v9, 3, v9
	ds_load_b64 v[10:11], v9
	s_wait_dscnt 0x0
	v_dual_cndmask_b32 v15, v13, v8, s11 :: v_dual_cndmask_b32 v8, v10, v6, s11
	v_cndmask_b32_e64 v9, v11, v7, s11
	v_dual_cndmask_b32 v25, v23, v11, s11 :: v_dual_cndmask_b32 v24, v22, v10, s11
	v_cmpx_lt_u32_e64 v14, v36
	s_cbranch_execz .LBB888_69
; %bb.62:
	v_cmp_lt_u32_e64 s18, v15, v1
	s_xor_b32 s0, s5, -1
	s_delay_alu instid0(SALU_CYCLE_1) | instskip(NEXT) | instid1(SALU_CYCLE_1)
	s_and_b32 s0, s18, s0
	s_and_saveexec_b32 s21, s0
	s_cbranch_execz .LBB888_68
; %bb.63:
	v_mul_u64_e32 v[10:11], s[12:13], v[8:9]
	v_mul_u64_e32 v[12:13], s[12:13], v[24:25]
	s_mov_b32 s22, 0
	s_mov_b64 s[2:3], s[12:13]
                                        ; implicit-def: $sgpr23
                                        ; implicit-def: $sgpr24
                                        ; implicit-def: $sgpr25
                                        ; implicit-def: $sgpr26
	s_delay_alu instid0(VALU_DEP_2) | instskip(NEXT) | instid1(VALU_DEP_2)
	v_lshl_add_u64 v[10:11], v[10:11], 2, s[14:15]
	v_lshl_add_u64 v[12:13], v[12:13], 2, s[14:15]
	s_branch .LBB888_65
.LBB888_64:                             ;   in Loop: Header=BB888_65 Depth=1
	s_or_b32 exec_lo, exec_lo, s0
	s_delay_alu instid0(SALU_CYCLE_1) | instskip(NEXT) | instid1(SALU_CYCLE_1)
	s_and_b32 s0, exec_lo, s24
	s_or_b32 s22, s0, s22
	s_and_not1_b32 s0, s26, exec_lo
	s_and_b32 s26, s27, exec_lo
	s_and_not1_b32 s23, s23, exec_lo
	s_and_b32 s27, s25, exec_lo
	s_or_b32 s26, s0, s26
	s_or_b32 s23, s23, s27
	s_and_not1_b32 exec_lo, exec_lo, s22
	s_cbranch_execz .LBB888_67
.LBB888_65:                             ; =>This Inner Loop Header: Depth=1
	global_load_b32 v21, v[10:11], off
	global_load_b32 v26, v[12:13], off
	s_and_not1_b32 s25, s25, exec_lo
	s_or_b32 s24, s24, exec_lo
	s_wait_loadcnt 0x0
	v_cmp_ngt_f32_e32 vcc_lo, v21, v26
	v_cmp_lt_f32_e64 s0, v21, v26
	s_and_b32 s27, vcc_lo, s26
	s_xor_b32 s29, s0, vcc_lo
	s_or_b32 s27, s0, s27
	s_delay_alu instid0(SALU_CYCLE_1) | instskip(NEXT) | instid1(SALU_CYCLE_1)
	s_and_b32 s28, s27, exec_lo
	s_or_b32 s25, s25, s28
	s_and_saveexec_b32 s0, s29
	s_cbranch_execz .LBB888_64
; %bb.66:                               ;   in Loop: Header=BB888_65 Depth=1
	s_add_nc_u64 s[2:3], s[2:3], -1
	v_add_nc_u64_e32 v[10:11], 4, v[10:11]
	s_cmp_eq_u64 s[2:3], 0
	v_add_nc_u64_e32 v[12:13], 4, v[12:13]
	s_cselect_b32 s26, -1, 0
	s_and_not1_b32 s24, s24, exec_lo
	s_and_b32 s26, s26, exec_lo
	s_and_not1_b32 s25, s25, exec_lo
	s_or_b32 s24, s24, s26
                                        ; implicit-def: $sgpr26
	s_branch .LBB888_64
.LBB888_67:
	s_or_b32 exec_lo, exec_lo, s22
	s_xor_b32 s0, s23, -1
	s_and_not1_b32 s2, s18, exec_lo
	s_and_b32 s0, s0, exec_lo
	s_delay_alu instid0(SALU_CYCLE_1)
	s_or_b32 s18, s2, s0
.LBB888_68:
	s_or_b32 exec_lo, exec_lo, s21
	s_delay_alu instid0(SALU_CYCLE_1)
	s_or_not1_b32 s18, s18, exec_lo
.LBB888_69:
	s_or_b32 exec_lo, exec_lo, s20
	v_dual_cndmask_b32 v10, v14, v15, s18 :: v_dual_cndmask_b32 v11, v36, v1, s18
	s_mov_b32 s20, exec_lo
	s_delay_alu instid0(VALU_DEP_1) | instskip(NEXT) | instid1(VALU_DEP_1)
	v_add_nc_u32_e32 v10, 1, v10
	v_add_min_u32_e64 v11, v11, -1, v10
	s_delay_alu instid0(VALU_DEP_1)
	v_lshlrev_b32_e32 v11, 3, v11
	ds_load_b64 v[12:13], v11
	v_cndmask_b32_e64 v21, v10, v14, s18
	s_wait_dscnt 0x0
	v_dual_cndmask_b32 v28, v15, v10, s18 :: v_dual_cndmask_b32 v10, v12, v8, s18
	v_cndmask_b32_e64 v11, v13, v9, s18
	v_dual_cndmask_b32 v27, v25, v13, s18 :: v_dual_cndmask_b32 v26, v24, v12, s18
	v_cmpx_lt_u32_e64 v21, v36
	s_cbranch_execz .LBB888_77
; %bb.70:
	v_cmp_lt_u32_e64 s19, v28, v1
	s_xor_b32 s0, s5, -1
	s_delay_alu instid0(SALU_CYCLE_1) | instskip(NEXT) | instid1(SALU_CYCLE_1)
	s_and_b32 s0, s19, s0
	s_and_saveexec_b32 s21, s0
	s_cbranch_execz .LBB888_76
; %bb.71:
	v_mul_u64_e32 v[12:13], s[12:13], v[10:11]
	v_mul_u64_e32 v[14:15], s[12:13], v[26:27]
	s_mov_b32 s22, 0
	s_mov_b64 s[2:3], s[12:13]
                                        ; implicit-def: $sgpr23
                                        ; implicit-def: $sgpr24
                                        ; implicit-def: $sgpr25
                                        ; implicit-def: $sgpr26
	s_delay_alu instid0(VALU_DEP_2) | instskip(NEXT) | instid1(VALU_DEP_2)
	v_lshl_add_u64 v[12:13], v[12:13], 2, s[14:15]
	v_lshl_add_u64 v[14:15], v[14:15], 2, s[14:15]
	s_branch .LBB888_73
.LBB888_72:                             ;   in Loop: Header=BB888_73 Depth=1
	s_or_b32 exec_lo, exec_lo, s0
	s_delay_alu instid0(SALU_CYCLE_1) | instskip(NEXT) | instid1(SALU_CYCLE_1)
	s_and_b32 s0, exec_lo, s24
	s_or_b32 s22, s0, s22
	s_and_not1_b32 s0, s26, exec_lo
	s_and_b32 s26, s27, exec_lo
	s_and_not1_b32 s23, s23, exec_lo
	s_and_b32 s27, s25, exec_lo
	s_or_b32 s26, s0, s26
	s_or_b32 s23, s23, s27
	s_and_not1_b32 exec_lo, exec_lo, s22
	s_cbranch_execz .LBB888_75
.LBB888_73:                             ; =>This Inner Loop Header: Depth=1
	global_load_b32 v29, v[12:13], off
	global_load_b32 v30, v[14:15], off
	s_and_not1_b32 s25, s25, exec_lo
	s_or_b32 s24, s24, exec_lo
	s_wait_loadcnt 0x0
	v_cmp_ngt_f32_e32 vcc_lo, v29, v30
	v_cmp_lt_f32_e64 s0, v29, v30
	s_and_b32 s27, vcc_lo, s26
	s_xor_b32 s29, s0, vcc_lo
	s_or_b32 s27, s0, s27
	s_delay_alu instid0(SALU_CYCLE_1) | instskip(NEXT) | instid1(SALU_CYCLE_1)
	s_and_b32 s28, s27, exec_lo
	s_or_b32 s25, s25, s28
	s_and_saveexec_b32 s0, s29
	s_cbranch_execz .LBB888_72
; %bb.74:                               ;   in Loop: Header=BB888_73 Depth=1
	s_add_nc_u64 s[2:3], s[2:3], -1
	v_add_nc_u64_e32 v[12:13], 4, v[12:13]
	s_cmp_eq_u64 s[2:3], 0
	v_add_nc_u64_e32 v[14:15], 4, v[14:15]
	s_cselect_b32 s26, -1, 0
	s_and_not1_b32 s24, s24, exec_lo
	s_and_b32 s26, s26, exec_lo
	s_and_not1_b32 s25, s25, exec_lo
	s_or_b32 s24, s24, s26
                                        ; implicit-def: $sgpr26
	s_branch .LBB888_72
.LBB888_75:
	s_or_b32 exec_lo, exec_lo, s22
	s_xor_b32 s0, s23, -1
	s_and_not1_b32 s2, s19, exec_lo
	s_and_b32 s0, s0, exec_lo
	s_delay_alu instid0(SALU_CYCLE_1)
	s_or_b32 s19, s2, s0
.LBB888_76:
	s_or_b32 exec_lo, exec_lo, s21
	s_delay_alu instid0(SALU_CYCLE_1)
	s_or_not1_b32 s19, s19, exec_lo
.LBB888_77:
	s_or_b32 exec_lo, exec_lo, s20
	v_dual_cndmask_b32 v12, v21, v28, s19 :: v_dual_cndmask_b32 v13, v36, v1, s19
	s_mov_b32 s21, -1
	s_mov_b32 s20, -1
	s_mov_b32 s22, exec_lo
	s_delay_alu instid0(VALU_DEP_1) | instskip(NEXT) | instid1(VALU_DEP_1)
	v_add_nc_u32_e32 v12, 1, v12
	v_add_min_u32_e64 v13, v13, -1, v12
	s_delay_alu instid0(VALU_DEP_1)
	v_lshlrev_b32_e32 v13, 3, v13
	ds_load_b64 v[14:15], v13
	v_cndmask_b32_e64 v21, v12, v21, s19
	s_wait_dscnt 0x0
	v_dual_cndmask_b32 v32, v28, v12, s19 :: v_dual_cndmask_b32 v12, v14, v10, s19
	v_cndmask_b32_e64 v13, v15, v11, s19
	v_dual_cndmask_b32 v29, v27, v15, s19 :: v_dual_cndmask_b32 v28, v26, v14, s19
	v_cmpx_lt_u32_e64 v21, v36
	s_cbranch_execz .LBB888_85
; %bb.78:
	v_cmp_lt_u32_e64 s20, v32, v1
	s_xor_b32 s0, s5, -1
	s_delay_alu instid0(SALU_CYCLE_1) | instskip(NEXT) | instid1(SALU_CYCLE_1)
	s_and_b32 s0, s20, s0
	s_and_saveexec_b32 s23, s0
	s_cbranch_execz .LBB888_84
; %bb.79:
	v_mul_u64_e32 v[14:15], s[12:13], v[12:13]
	v_mul_u64_e32 v[30:31], s[12:13], v[28:29]
	s_mov_b32 s24, 0
	s_mov_b64 s[2:3], s[12:13]
                                        ; implicit-def: $sgpr25
                                        ; implicit-def: $sgpr26
                                        ; implicit-def: $sgpr27
                                        ; implicit-def: $sgpr28
	s_delay_alu instid0(VALU_DEP_2) | instskip(NEXT) | instid1(VALU_DEP_2)
	v_lshl_add_u64 v[14:15], v[14:15], 2, s[14:15]
	v_lshl_add_u64 v[30:31], v[30:31], 2, s[14:15]
	s_branch .LBB888_81
.LBB888_80:                             ;   in Loop: Header=BB888_81 Depth=1
	s_or_b32 exec_lo, exec_lo, s0
	s_delay_alu instid0(SALU_CYCLE_1) | instskip(NEXT) | instid1(SALU_CYCLE_1)
	s_and_b32 s0, exec_lo, s26
	s_or_b32 s24, s0, s24
	s_and_not1_b32 s0, s28, exec_lo
	s_and_b32 s28, s29, exec_lo
	s_and_not1_b32 s25, s25, exec_lo
	s_and_b32 s29, s27, exec_lo
	s_or_b32 s28, s0, s28
	s_or_b32 s25, s25, s29
	s_and_not1_b32 exec_lo, exec_lo, s24
	s_cbranch_execz .LBB888_83
.LBB888_81:                             ; =>This Inner Loop Header: Depth=1
	global_load_b32 v33, v[14:15], off
	global_load_b32 v34, v[30:31], off
	s_and_not1_b32 s27, s27, exec_lo
	s_or_b32 s26, s26, exec_lo
	s_wait_loadcnt 0x0
	v_cmp_ngt_f32_e32 vcc_lo, v33, v34
	v_cmp_lt_f32_e64 s0, v33, v34
	s_and_b32 s29, vcc_lo, s28
	s_xor_b32 s31, s0, vcc_lo
	s_or_b32 s29, s0, s29
	s_delay_alu instid0(SALU_CYCLE_1) | instskip(NEXT) | instid1(SALU_CYCLE_1)
	s_and_b32 s30, s29, exec_lo
	s_or_b32 s27, s27, s30
	s_and_saveexec_b32 s0, s31
	s_cbranch_execz .LBB888_80
; %bb.82:                               ;   in Loop: Header=BB888_81 Depth=1
	s_add_nc_u64 s[2:3], s[2:3], -1
	v_add_nc_u64_e32 v[14:15], 4, v[14:15]
	s_cmp_eq_u64 s[2:3], 0
	v_add_nc_u64_e32 v[30:31], 4, v[30:31]
	s_cselect_b32 s28, -1, 0
	s_and_not1_b32 s26, s26, exec_lo
	s_and_b32 s28, s28, exec_lo
	s_and_not1_b32 s27, s27, exec_lo
	s_or_b32 s26, s26, s28
                                        ; implicit-def: $sgpr28
	s_branch .LBB888_80
.LBB888_83:
	s_or_b32 exec_lo, exec_lo, s24
	s_xor_b32 s0, s25, -1
	s_and_not1_b32 s2, s20, exec_lo
	s_and_b32 s0, s0, exec_lo
	s_delay_alu instid0(SALU_CYCLE_1)
	s_or_b32 s20, s2, s0
.LBB888_84:
	s_or_b32 exec_lo, exec_lo, s23
	s_delay_alu instid0(SALU_CYCLE_1)
	s_or_not1_b32 s20, s20, exec_lo
.LBB888_85:
	s_or_b32 exec_lo, exec_lo, s22
	v_dual_cndmask_b32 v14, v21, v32, s20 :: v_dual_cndmask_b32 v15, v36, v1, s20
	s_mov_b32 s22, exec_lo
	s_delay_alu instid0(VALU_DEP_1) | instskip(NEXT) | instid1(VALU_DEP_1)
	v_add_nc_u32_e32 v14, 1, v14
	v_add_min_u32_e64 v15, v15, -1, v14
	s_delay_alu instid0(VALU_DEP_1)
	v_dual_lshlrev_b32 v15, 3, v15 :: v_dual_cndmask_b32 v37, v14, v21, s20
	v_cndmask_b32_e64 v21, v32, v14, s20
	ds_load_b64 v[30:31], v15
	s_wait_dscnt 0x0
	v_dual_cndmask_b32 v15, v31, v13, s20 :: v_dual_cndmask_b32 v14, v30, v12, s20
	v_dual_cndmask_b32 v31, v29, v31, s20 :: v_dual_cndmask_b32 v30, v28, v30, s20
	v_cmpx_lt_u32_e64 v37, v36
	s_cbranch_execz .LBB888_93
; %bb.86:
	v_cmp_lt_u32_e64 s21, v21, v1
	s_xor_b32 s0, s5, -1
	s_delay_alu instid0(SALU_CYCLE_1) | instskip(NEXT) | instid1(SALU_CYCLE_1)
	s_and_b32 s0, s21, s0
	s_and_saveexec_b32 s23, s0
	s_cbranch_execz .LBB888_92
; %bb.87:
	v_mul_u64_e32 v[32:33], s[12:13], v[14:15]
	v_mul_u64_e32 v[34:35], s[12:13], v[30:31]
	s_mov_b32 s24, 0
	s_mov_b64 s[2:3], s[12:13]
                                        ; implicit-def: $sgpr25
                                        ; implicit-def: $sgpr26
                                        ; implicit-def: $sgpr27
                                        ; implicit-def: $sgpr28
	s_delay_alu instid0(VALU_DEP_2) | instskip(NEXT) | instid1(VALU_DEP_2)
	v_lshl_add_u64 v[32:33], v[32:33], 2, s[14:15]
	v_lshl_add_u64 v[34:35], v[34:35], 2, s[14:15]
	s_branch .LBB888_89
.LBB888_88:                             ;   in Loop: Header=BB888_89 Depth=1
	s_or_b32 exec_lo, exec_lo, s0
	s_delay_alu instid0(SALU_CYCLE_1) | instskip(NEXT) | instid1(SALU_CYCLE_1)
	s_and_b32 s0, exec_lo, s26
	s_or_b32 s24, s0, s24
	s_and_not1_b32 s0, s28, exec_lo
	s_and_b32 s28, s29, exec_lo
	s_and_not1_b32 s25, s25, exec_lo
	s_and_b32 s29, s27, exec_lo
	s_or_b32 s28, s0, s28
	s_or_b32 s25, s25, s29
	s_and_not1_b32 exec_lo, exec_lo, s24
	s_cbranch_execz .LBB888_91
.LBB888_89:                             ; =>This Inner Loop Header: Depth=1
	global_load_b32 v38, v[32:33], off
	global_load_b32 v39, v[34:35], off
	s_and_not1_b32 s27, s27, exec_lo
	s_or_b32 s26, s26, exec_lo
	s_wait_loadcnt 0x0
	v_cmp_ngt_f32_e32 vcc_lo, v38, v39
	v_cmp_lt_f32_e64 s0, v38, v39
	s_and_b32 s29, vcc_lo, s28
	s_xor_b32 s31, s0, vcc_lo
	s_or_b32 s29, s0, s29
	s_delay_alu instid0(SALU_CYCLE_1) | instskip(NEXT) | instid1(SALU_CYCLE_1)
	s_and_b32 s30, s29, exec_lo
	s_or_b32 s27, s27, s30
	s_and_saveexec_b32 s0, s31
	s_cbranch_execz .LBB888_88
; %bb.90:                               ;   in Loop: Header=BB888_89 Depth=1
	s_add_nc_u64 s[2:3], s[2:3], -1
	v_add_nc_u64_e32 v[32:33], 4, v[32:33]
	s_cmp_eq_u64 s[2:3], 0
	v_add_nc_u64_e32 v[34:35], 4, v[34:35]
	s_cselect_b32 s28, -1, 0
	s_and_not1_b32 s26, s26, exec_lo
	s_and_b32 s28, s28, exec_lo
	s_and_not1_b32 s27, s27, exec_lo
	s_or_b32 s26, s26, s28
                                        ; implicit-def: $sgpr28
	s_branch .LBB888_88
.LBB888_91:
	s_or_b32 exec_lo, exec_lo, s24
	s_xor_b32 s0, s25, -1
	s_and_not1_b32 s2, s21, exec_lo
	s_and_b32 s0, s0, exec_lo
	s_delay_alu instid0(SALU_CYCLE_1)
	s_or_b32 s21, s2, s0
.LBB888_92:
	s_or_b32 exec_lo, exec_lo, s23
	s_delay_alu instid0(SALU_CYCLE_1)
	s_or_not1_b32 s21, s21, exec_lo
.LBB888_93:
	s_or_b32 exec_lo, exec_lo, s22
	v_cndmask_b32_e64 v32, v37, v21, s21
	v_cndmask_b32_e64 v33, v36, v1, s21
	s_mov_b32 s0, -1
	s_mov_b32 s2, exec_lo
	s_delay_alu instid0(VALU_DEP_2) | instskip(NEXT) | instid1(VALU_DEP_1)
	v_add_nc_u32_e32 v38, 1, v32
	v_add_min_u32_e64 v32, v33, -1, v38
	s_delay_alu instid0(VALU_DEP_1)
	v_dual_cndmask_b32 v37, v38, v37, s21 :: v_dual_lshlrev_b32 v32, 3, v32
	ds_load_b64 v[34:35], v32
	s_wait_dscnt 0x0
	v_dual_cndmask_b32 v33, v35, v15, s21 :: v_dual_cndmask_b32 v32, v34, v14, s21
	v_dual_cndmask_b32 v35, v31, v35, s21 :: v_dual_cndmask_b32 v34, v30, v34, s21
	v_cmpx_lt_u32_e64 v37, v36
	s_cbranch_execz .LBB888_101
; %bb.94:
	v_cndmask_b32_e64 v21, v21, v38, s21
	s_xor_b32 s0, s5, -1
	s_delay_alu instid0(VALU_DEP_1) | instskip(SKIP_1) | instid1(SALU_CYCLE_1)
	v_cmp_lt_u32_e64 s3, v21, v1
	s_and_b32 s0, s3, s0
	s_and_saveexec_b32 s5, s0
	s_cbranch_execz .LBB888_100
; %bb.95:
	v_mul_u64_e32 v[36:37], s[12:13], v[32:33]
	v_mul_u64_e32 v[38:39], s[12:13], v[34:35]
                                        ; implicit-def: $sgpr22
                                        ; implicit-def: $sgpr23
                                        ; implicit-def: $sgpr24
	s_delay_alu instid0(VALU_DEP_2) | instskip(NEXT) | instid1(VALU_DEP_2)
	v_lshl_add_u64 v[36:37], v[36:37], 2, s[14:15]
	v_lshl_add_u64 v[38:39], v[38:39], 2, s[14:15]
	s_mov_b32 s14, 0
                                        ; implicit-def: $sgpr15
	s_branch .LBB888_97
.LBB888_96:                             ;   in Loop: Header=BB888_97 Depth=1
	s_or_b32 exec_lo, exec_lo, s0
	s_delay_alu instid0(SALU_CYCLE_1) | instskip(NEXT) | instid1(SALU_CYCLE_1)
	s_and_b32 s0, exec_lo, s22
	s_or_b32 s14, s0, s14
	s_and_not1_b32 s0, s24, exec_lo
	s_and_b32 s24, s25, exec_lo
	s_and_not1_b32 s15, s15, exec_lo
	s_and_b32 s25, s23, exec_lo
	s_or_b32 s24, s0, s24
	s_or_b32 s15, s15, s25
	s_and_not1_b32 exec_lo, exec_lo, s14
	s_cbranch_execz .LBB888_99
.LBB888_97:                             ; =>This Inner Loop Header: Depth=1
	global_load_b32 v1, v[36:37], off
	global_load_b32 v21, v[38:39], off
	s_and_not1_b32 s23, s23, exec_lo
	s_or_b32 s22, s22, exec_lo
	s_wait_loadcnt 0x0
	v_cmp_ngt_f32_e32 vcc_lo, v1, v21
	v_cmp_lt_f32_e64 s0, v1, v21
	s_and_b32 s25, vcc_lo, s24
	s_xor_b32 s27, s0, vcc_lo
	s_or_b32 s25, s0, s25
	s_delay_alu instid0(SALU_CYCLE_1) | instskip(NEXT) | instid1(SALU_CYCLE_1)
	s_and_b32 s26, s25, exec_lo
	s_or_b32 s23, s23, s26
	s_and_saveexec_b32 s0, s27
	s_cbranch_execz .LBB888_96
; %bb.98:                               ;   in Loop: Header=BB888_97 Depth=1
	s_add_nc_u64 s[12:13], s[12:13], -1
	v_add_nc_u64_e32 v[36:37], 4, v[36:37]
	s_cmp_eq_u64 s[12:13], 0
	v_add_nc_u64_e32 v[38:39], 4, v[38:39]
	s_cselect_b32 s24, -1, 0
	s_and_not1_b32 s22, s22, exec_lo
	s_and_b32 s24, s24, exec_lo
	s_and_not1_b32 s23, s23, exec_lo
	s_or_b32 s22, s22, s24
                                        ; implicit-def: $sgpr24
	s_branch .LBB888_96
.LBB888_99:
	s_or_b32 exec_lo, exec_lo, s14
	s_xor_b32 s0, s15, -1
	s_and_not1_b32 s3, s3, exec_lo
	s_and_b32 s0, s0, exec_lo
	s_delay_alu instid0(SALU_CYCLE_1)
	s_or_b32 s3, s3, s0
.LBB888_100:
	s_or_b32 exec_lo, exec_lo, s5
	s_delay_alu instid0(SALU_CYCLE_1)
	s_or_not1_b32 s0, s3, exec_lo
.LBB888_101:
	s_or_b32 exec_lo, exec_lo, s2
	v_dual_cndmask_b32 v15, v15, v31, s21 :: v_dual_cndmask_b32 v14, v14, v30, s21
	v_dual_cndmask_b32 v13, v13, v29, s20 :: v_dual_cndmask_b32 v12, v12, v28, s20
	;; [unrolled: 1-line block ×8, first 2 shown]
.LBB888_102:
	s_or_b32 exec_lo, exec_lo, s4
	v_or_b32_e32 v25, 0x80, v0
	v_lshrrev_b32_e32 v1, 2, v0
	v_or_b32_e32 v22, 0x100, v0
	v_lshlrev_b32_e32 v18, 3, v20
	s_delay_alu instid0(VALU_DEP_4) | instskip(SKIP_1) | instid1(VALU_DEP_3)
	v_lshrrev_b32_e32 v19, 2, v25
	s_barrier_signal -1
	v_lshrrev_b32_e32 v21, 2, v22
	s_delay_alu instid0(VALU_DEP_3)
	v_lshl_add_u32 v18, v1, 3, v18
	s_barrier_wait -1
	s_barrier_signal -1
	s_barrier_wait -1
	ds_store_2addr_b64 v18, v[2:3], v[4:5] offset1:1
	ds_store_2addr_b64 v18, v[6:7], v[8:9] offset0:2 offset1:3
	v_and_b32_e32 v2, 56, v19
	v_and_b32_e32 v1, 24, v1
	v_or_b32_e32 v24, 0x180, v0
	v_and_b32_e32 v3, 0x58, v21
	v_or_b32_e32 v23, 0x200, v0
	s_delay_alu instid0(VALU_DEP_4) | instskip(NEXT) | instid1(VALU_DEP_4)
	v_dual_add_nc_u32 v6, v2, v20 :: v_dual_add_nc_u32 v26, v1, v20
	v_lshrrev_b32_e32 v1, 2, v24
	ds_store_2addr_b64 v18, v[10:11], v[12:13] offset0:4 offset1:5
	ds_store_2addr_b64 v18, v[14:15], v[16:17] offset0:6 offset1:7
	v_or_b32_e32 v19, 0x280, v0
	v_add_nc_u32_e32 v7, v3, v20
	v_or_b32_e32 v18, 0x300, v0
	v_lshrrev_b32_e32 v3, 2, v23
	v_and_b32_e32 v2, 0x78, v1
	v_or_b32_e32 v1, 0x380, v0
	s_delay_alu instid0(VALU_DEP_4) | instskip(NEXT) | instid1(VALU_DEP_4)
	v_dual_lshrrev_b32 v4, 2, v19 :: v_dual_lshrrev_b32 v5, 2, v18
	v_and_b32_e32 v3, 0x98, v3
	s_delay_alu instid0(VALU_DEP_3)
	v_dual_add_nc_u32 v8, v2, v20 :: v_dual_lshrrev_b32 v2, 2, v1
	v_mov_b32_e32 v21, 0
	s_lshl_b64 s[0:1], s[16:17], 3
	v_and_b32_e32 v4, 0xb8, v4
	v_and_b32_e32 v5, 0xd8, v5
	v_and_b32_e32 v10, 0xf8, v2
	s_add_nc_u64 s[0:1], s[6:7], s[0:1]
	s_delay_alu instid0(VALU_DEP_3) | instskip(SKIP_1) | instid1(VALU_DEP_3)
	v_dual_add_nc_u32 v9, v3, v20 :: v_dual_add_nc_u32 v27, v4, v20
	v_add_nc_u64_e32 v[2:3], s[0:1], v[20:21]
	v_dual_add_nc_u32 v28, v5, v20 :: v_dual_add_nc_u32 v20, v10, v20
	s_and_b32 vcc_lo, exec_lo, s9
	s_wait_dscnt 0x0
	s_cbranch_vccz .LBB888_104
; %bb.103:
	s_barrier_signal -1
	s_barrier_wait -1
	ds_load_b64 v[10:11], v26
	ds_load_b64 v[12:13], v6 offset:1024
	ds_load_b64 v[14:15], v7 offset:2048
	;; [unrolled: 1-line block ×7, first 2 shown]
	s_mov_b32 s0, -1
	s_wait_dscnt 0x7
	global_store_b64 v[2:3], v[10:11], off
	s_wait_dscnt 0x6
	global_store_b64 v[2:3], v[12:13], off offset:1024
	s_wait_dscnt 0x5
	global_store_b64 v[2:3], v[14:15], off offset:2048
	;; [unrolled: 2-line block ×6, first 2 shown]
	s_cbranch_execz .LBB888_105
	s_branch .LBB888_114
.LBB888_104:
	s_mov_b32 s0, 0
                                        ; implicit-def: $vgpr4_vgpr5
.LBB888_105:
	s_barrier_signal -1
	s_barrier_wait -1
	s_wait_storecnt_dscnt 0x0
	s_wait_xcnt 0x3
	ds_load_b64 v[16:17], v6 offset:1024
	ds_load_b64 v[14:15], v7 offset:2048
	;; [unrolled: 1-line block ×7, first 2 shown]
	s_sub_co_i32 s0, s8, s16
	s_mov_b32 s1, exec_lo
	s_wait_xcnt 0x0
	v_cmpx_gt_u32_e64 s0, v0
	s_cbranch_execnz .LBB888_117
; %bb.106:
	s_or_b32 exec_lo, exec_lo, s1
	s_delay_alu instid0(SALU_CYCLE_1)
	s_mov_b32 s1, exec_lo
	v_cmpx_gt_u32_e64 s0, v25
	s_cbranch_execnz .LBB888_118
.LBB888_107:
	s_or_b32 exec_lo, exec_lo, s1
	s_delay_alu instid0(SALU_CYCLE_1)
	s_mov_b32 s1, exec_lo
	v_cmpx_gt_u32_e64 s0, v22
	s_cbranch_execnz .LBB888_119
.LBB888_108:
	s_or_b32 exec_lo, exec_lo, s1
	s_delay_alu instid0(SALU_CYCLE_1)
	s_mov_b32 s1, exec_lo
	v_cmpx_gt_u32_e64 s0, v24
	s_cbranch_execnz .LBB888_120
.LBB888_109:
	s_or_b32 exec_lo, exec_lo, s1
	s_delay_alu instid0(SALU_CYCLE_1)
	s_mov_b32 s1, exec_lo
	v_cmpx_gt_u32_e64 s0, v23
	s_cbranch_execnz .LBB888_121
.LBB888_110:
	s_or_b32 exec_lo, exec_lo, s1
	s_delay_alu instid0(SALU_CYCLE_1)
	s_mov_b32 s1, exec_lo
	v_cmpx_gt_u32_e64 s0, v19
	s_cbranch_execnz .LBB888_122
.LBB888_111:
	s_or_b32 exec_lo, exec_lo, s1
	s_delay_alu instid0(SALU_CYCLE_1)
	s_mov_b32 s1, exec_lo
	v_cmpx_gt_u32_e64 s0, v18
	s_cbranch_execz .LBB888_113
.LBB888_112:
	s_wait_dscnt 0x1
	global_store_b64 v[2:3], v[6:7], off offset:6144
.LBB888_113:
	s_wait_xcnt 0x0
	s_or_b32 exec_lo, exec_lo, s1
	v_cmp_gt_u32_e64 s0, s0, v1
.LBB888_114:
	s_wait_xcnt 0x0
	s_delay_alu instid0(VALU_DEP_1)
	s_and_saveexec_b32 s1, s0
	s_cbranch_execz .LBB888_116
; %bb.115:
	s_wait_dscnt 0x0
	global_store_b64 v[2:3], v[4:5], off offset:7168
.LBB888_116:
	s_endpgm
.LBB888_117:
	ds_load_b64 v[20:21], v26
	s_wait_dscnt 0x0
	global_store_b64 v[2:3], v[20:21], off
	s_wait_xcnt 0x0
	s_or_b32 exec_lo, exec_lo, s1
	s_delay_alu instid0(SALU_CYCLE_1)
	s_mov_b32 s1, exec_lo
	v_cmpx_gt_u32_e64 s0, v25
	s_cbranch_execz .LBB888_107
.LBB888_118:
	s_wait_dscnt 0x6
	global_store_b64 v[2:3], v[16:17], off offset:1024
	s_wait_xcnt 0x0
	s_or_b32 exec_lo, exec_lo, s1
	s_delay_alu instid0(SALU_CYCLE_1)
	s_mov_b32 s1, exec_lo
	v_cmpx_gt_u32_e64 s0, v22
	s_cbranch_execz .LBB888_108
.LBB888_119:
	s_wait_dscnt 0x5
	global_store_b64 v[2:3], v[14:15], off offset:2048
	s_wait_xcnt 0x0
	s_or_b32 exec_lo, exec_lo, s1
	s_delay_alu instid0(SALU_CYCLE_1)
	s_mov_b32 s1, exec_lo
	v_cmpx_gt_u32_e64 s0, v24
	s_cbranch_execz .LBB888_109
.LBB888_120:
	s_wait_dscnt 0x4
	global_store_b64 v[2:3], v[12:13], off offset:3072
	s_wait_xcnt 0x0
	s_or_b32 exec_lo, exec_lo, s1
	s_delay_alu instid0(SALU_CYCLE_1)
	s_mov_b32 s1, exec_lo
	v_cmpx_gt_u32_e64 s0, v23
	s_cbranch_execz .LBB888_110
.LBB888_121:
	s_wait_dscnt 0x3
	global_store_b64 v[2:3], v[10:11], off offset:4096
	s_wait_xcnt 0x0
	s_or_b32 exec_lo, exec_lo, s1
	s_delay_alu instid0(SALU_CYCLE_1)
	s_mov_b32 s1, exec_lo
	v_cmpx_gt_u32_e64 s0, v19
	s_cbranch_execz .LBB888_111
.LBB888_122:
	s_wait_dscnt 0x2
	global_store_b64 v[2:3], v[8:9], off offset:5120
	s_wait_xcnt 0x0
	s_or_b32 exec_lo, exec_lo, s1
	s_delay_alu instid0(SALU_CYCLE_1)
	s_mov_b32 s1, exec_lo
	v_cmpx_gt_u32_e64 s0, v18
	s_cbranch_execnz .LBB888_112
	s_branch .LBB888_113
	.section	.rodata,"a",@progbits
	.p2align	6, 0x0
	.amdhsa_kernel _ZN7rocprim17ROCPRIM_400000_NS6detail17trampoline_kernelINS0_14default_configENS1_38merge_sort_block_merge_config_selectorIlNS0_10empty_typeEEEZZNS1_27merge_sort_block_merge_implIS3_PlPS5_mZN2at6native12_GLOBAL__N_124unique_dim_cuda_templateIfEESt5tupleIJNSA_6TensorESF_SF_EERKSF_lbbbEUlllE_EE10hipError_tT0_T1_T2_jT3_P12ihipStream_tbPNSt15iterator_traitsISL_E10value_typeEPNSR_ISM_E10value_typeEPSN_NS1_7vsmem_tEENKUlT_SL_SM_SN_E_clIS8_S8_S9_S9_EESK_S10_SL_SM_SN_EUlS10_E0_NS1_11comp_targetILNS1_3genE0ELNS1_11target_archE4294967295ELNS1_3gpuE0ELNS1_3repE0EEENS1_38merge_mergepath_config_static_selectorELNS0_4arch9wavefront6targetE0EEEvSM_
		.amdhsa_group_segment_fixed_size 8448
		.amdhsa_private_segment_fixed_size 0
		.amdhsa_kernarg_size 344
		.amdhsa_user_sgpr_count 2
		.amdhsa_user_sgpr_dispatch_ptr 0
		.amdhsa_user_sgpr_queue_ptr 0
		.amdhsa_user_sgpr_kernarg_segment_ptr 1
		.amdhsa_user_sgpr_dispatch_id 0
		.amdhsa_user_sgpr_kernarg_preload_length 0
		.amdhsa_user_sgpr_kernarg_preload_offset 0
		.amdhsa_user_sgpr_private_segment_size 0
		.amdhsa_wavefront_size32 1
		.amdhsa_uses_dynamic_stack 0
		.amdhsa_enable_private_segment 0
		.amdhsa_system_sgpr_workgroup_id_x 1
		.amdhsa_system_sgpr_workgroup_id_y 1
		.amdhsa_system_sgpr_workgroup_id_z 1
		.amdhsa_system_sgpr_workgroup_info 0
		.amdhsa_system_vgpr_workitem_id 0
		.amdhsa_next_free_vgpr 40
		.amdhsa_next_free_sgpr 32
		.amdhsa_named_barrier_count 0
		.amdhsa_reserve_vcc 1
		.amdhsa_float_round_mode_32 0
		.amdhsa_float_round_mode_16_64 0
		.amdhsa_float_denorm_mode_32 3
		.amdhsa_float_denorm_mode_16_64 3
		.amdhsa_fp16_overflow 0
		.amdhsa_memory_ordered 1
		.amdhsa_forward_progress 1
		.amdhsa_inst_pref_size 53
		.amdhsa_round_robin_scheduling 0
		.amdhsa_exception_fp_ieee_invalid_op 0
		.amdhsa_exception_fp_denorm_src 0
		.amdhsa_exception_fp_ieee_div_zero 0
		.amdhsa_exception_fp_ieee_overflow 0
		.amdhsa_exception_fp_ieee_underflow 0
		.amdhsa_exception_fp_ieee_inexact 0
		.amdhsa_exception_int_div_zero 0
	.end_amdhsa_kernel
	.section	.text._ZN7rocprim17ROCPRIM_400000_NS6detail17trampoline_kernelINS0_14default_configENS1_38merge_sort_block_merge_config_selectorIlNS0_10empty_typeEEEZZNS1_27merge_sort_block_merge_implIS3_PlPS5_mZN2at6native12_GLOBAL__N_124unique_dim_cuda_templateIfEESt5tupleIJNSA_6TensorESF_SF_EERKSF_lbbbEUlllE_EE10hipError_tT0_T1_T2_jT3_P12ihipStream_tbPNSt15iterator_traitsISL_E10value_typeEPNSR_ISM_E10value_typeEPSN_NS1_7vsmem_tEENKUlT_SL_SM_SN_E_clIS8_S8_S9_S9_EESK_S10_SL_SM_SN_EUlS10_E0_NS1_11comp_targetILNS1_3genE0ELNS1_11target_archE4294967295ELNS1_3gpuE0ELNS1_3repE0EEENS1_38merge_mergepath_config_static_selectorELNS0_4arch9wavefront6targetE0EEEvSM_,"axG",@progbits,_ZN7rocprim17ROCPRIM_400000_NS6detail17trampoline_kernelINS0_14default_configENS1_38merge_sort_block_merge_config_selectorIlNS0_10empty_typeEEEZZNS1_27merge_sort_block_merge_implIS3_PlPS5_mZN2at6native12_GLOBAL__N_124unique_dim_cuda_templateIfEESt5tupleIJNSA_6TensorESF_SF_EERKSF_lbbbEUlllE_EE10hipError_tT0_T1_T2_jT3_P12ihipStream_tbPNSt15iterator_traitsISL_E10value_typeEPNSR_ISM_E10value_typeEPSN_NS1_7vsmem_tEENKUlT_SL_SM_SN_E_clIS8_S8_S9_S9_EESK_S10_SL_SM_SN_EUlS10_E0_NS1_11comp_targetILNS1_3genE0ELNS1_11target_archE4294967295ELNS1_3gpuE0ELNS1_3repE0EEENS1_38merge_mergepath_config_static_selectorELNS0_4arch9wavefront6targetE0EEEvSM_,comdat
.Lfunc_end888:
	.size	_ZN7rocprim17ROCPRIM_400000_NS6detail17trampoline_kernelINS0_14default_configENS1_38merge_sort_block_merge_config_selectorIlNS0_10empty_typeEEEZZNS1_27merge_sort_block_merge_implIS3_PlPS5_mZN2at6native12_GLOBAL__N_124unique_dim_cuda_templateIfEESt5tupleIJNSA_6TensorESF_SF_EERKSF_lbbbEUlllE_EE10hipError_tT0_T1_T2_jT3_P12ihipStream_tbPNSt15iterator_traitsISL_E10value_typeEPNSR_ISM_E10value_typeEPSN_NS1_7vsmem_tEENKUlT_SL_SM_SN_E_clIS8_S8_S9_S9_EESK_S10_SL_SM_SN_EUlS10_E0_NS1_11comp_targetILNS1_3genE0ELNS1_11target_archE4294967295ELNS1_3gpuE0ELNS1_3repE0EEENS1_38merge_mergepath_config_static_selectorELNS0_4arch9wavefront6targetE0EEEvSM_, .Lfunc_end888-_ZN7rocprim17ROCPRIM_400000_NS6detail17trampoline_kernelINS0_14default_configENS1_38merge_sort_block_merge_config_selectorIlNS0_10empty_typeEEEZZNS1_27merge_sort_block_merge_implIS3_PlPS5_mZN2at6native12_GLOBAL__N_124unique_dim_cuda_templateIfEESt5tupleIJNSA_6TensorESF_SF_EERKSF_lbbbEUlllE_EE10hipError_tT0_T1_T2_jT3_P12ihipStream_tbPNSt15iterator_traitsISL_E10value_typeEPNSR_ISM_E10value_typeEPSN_NS1_7vsmem_tEENKUlT_SL_SM_SN_E_clIS8_S8_S9_S9_EESK_S10_SL_SM_SN_EUlS10_E0_NS1_11comp_targetILNS1_3genE0ELNS1_11target_archE4294967295ELNS1_3gpuE0ELNS1_3repE0EEENS1_38merge_mergepath_config_static_selectorELNS0_4arch9wavefront6targetE0EEEvSM_
                                        ; -- End function
	.set _ZN7rocprim17ROCPRIM_400000_NS6detail17trampoline_kernelINS0_14default_configENS1_38merge_sort_block_merge_config_selectorIlNS0_10empty_typeEEEZZNS1_27merge_sort_block_merge_implIS3_PlPS5_mZN2at6native12_GLOBAL__N_124unique_dim_cuda_templateIfEESt5tupleIJNSA_6TensorESF_SF_EERKSF_lbbbEUlllE_EE10hipError_tT0_T1_T2_jT3_P12ihipStream_tbPNSt15iterator_traitsISL_E10value_typeEPNSR_ISM_E10value_typeEPSN_NS1_7vsmem_tEENKUlT_SL_SM_SN_E_clIS8_S8_S9_S9_EESK_S10_SL_SM_SN_EUlS10_E0_NS1_11comp_targetILNS1_3genE0ELNS1_11target_archE4294967295ELNS1_3gpuE0ELNS1_3repE0EEENS1_38merge_mergepath_config_static_selectorELNS0_4arch9wavefront6targetE0EEEvSM_.num_vgpr, 40
	.set _ZN7rocprim17ROCPRIM_400000_NS6detail17trampoline_kernelINS0_14default_configENS1_38merge_sort_block_merge_config_selectorIlNS0_10empty_typeEEEZZNS1_27merge_sort_block_merge_implIS3_PlPS5_mZN2at6native12_GLOBAL__N_124unique_dim_cuda_templateIfEESt5tupleIJNSA_6TensorESF_SF_EERKSF_lbbbEUlllE_EE10hipError_tT0_T1_T2_jT3_P12ihipStream_tbPNSt15iterator_traitsISL_E10value_typeEPNSR_ISM_E10value_typeEPSN_NS1_7vsmem_tEENKUlT_SL_SM_SN_E_clIS8_S8_S9_S9_EESK_S10_SL_SM_SN_EUlS10_E0_NS1_11comp_targetILNS1_3genE0ELNS1_11target_archE4294967295ELNS1_3gpuE0ELNS1_3repE0EEENS1_38merge_mergepath_config_static_selectorELNS0_4arch9wavefront6targetE0EEEvSM_.num_agpr, 0
	.set _ZN7rocprim17ROCPRIM_400000_NS6detail17trampoline_kernelINS0_14default_configENS1_38merge_sort_block_merge_config_selectorIlNS0_10empty_typeEEEZZNS1_27merge_sort_block_merge_implIS3_PlPS5_mZN2at6native12_GLOBAL__N_124unique_dim_cuda_templateIfEESt5tupleIJNSA_6TensorESF_SF_EERKSF_lbbbEUlllE_EE10hipError_tT0_T1_T2_jT3_P12ihipStream_tbPNSt15iterator_traitsISL_E10value_typeEPNSR_ISM_E10value_typeEPSN_NS1_7vsmem_tEENKUlT_SL_SM_SN_E_clIS8_S8_S9_S9_EESK_S10_SL_SM_SN_EUlS10_E0_NS1_11comp_targetILNS1_3genE0ELNS1_11target_archE4294967295ELNS1_3gpuE0ELNS1_3repE0EEENS1_38merge_mergepath_config_static_selectorELNS0_4arch9wavefront6targetE0EEEvSM_.numbered_sgpr, 32
	.set _ZN7rocprim17ROCPRIM_400000_NS6detail17trampoline_kernelINS0_14default_configENS1_38merge_sort_block_merge_config_selectorIlNS0_10empty_typeEEEZZNS1_27merge_sort_block_merge_implIS3_PlPS5_mZN2at6native12_GLOBAL__N_124unique_dim_cuda_templateIfEESt5tupleIJNSA_6TensorESF_SF_EERKSF_lbbbEUlllE_EE10hipError_tT0_T1_T2_jT3_P12ihipStream_tbPNSt15iterator_traitsISL_E10value_typeEPNSR_ISM_E10value_typeEPSN_NS1_7vsmem_tEENKUlT_SL_SM_SN_E_clIS8_S8_S9_S9_EESK_S10_SL_SM_SN_EUlS10_E0_NS1_11comp_targetILNS1_3genE0ELNS1_11target_archE4294967295ELNS1_3gpuE0ELNS1_3repE0EEENS1_38merge_mergepath_config_static_selectorELNS0_4arch9wavefront6targetE0EEEvSM_.num_named_barrier, 0
	.set _ZN7rocprim17ROCPRIM_400000_NS6detail17trampoline_kernelINS0_14default_configENS1_38merge_sort_block_merge_config_selectorIlNS0_10empty_typeEEEZZNS1_27merge_sort_block_merge_implIS3_PlPS5_mZN2at6native12_GLOBAL__N_124unique_dim_cuda_templateIfEESt5tupleIJNSA_6TensorESF_SF_EERKSF_lbbbEUlllE_EE10hipError_tT0_T1_T2_jT3_P12ihipStream_tbPNSt15iterator_traitsISL_E10value_typeEPNSR_ISM_E10value_typeEPSN_NS1_7vsmem_tEENKUlT_SL_SM_SN_E_clIS8_S8_S9_S9_EESK_S10_SL_SM_SN_EUlS10_E0_NS1_11comp_targetILNS1_3genE0ELNS1_11target_archE4294967295ELNS1_3gpuE0ELNS1_3repE0EEENS1_38merge_mergepath_config_static_selectorELNS0_4arch9wavefront6targetE0EEEvSM_.private_seg_size, 0
	.set _ZN7rocprim17ROCPRIM_400000_NS6detail17trampoline_kernelINS0_14default_configENS1_38merge_sort_block_merge_config_selectorIlNS0_10empty_typeEEEZZNS1_27merge_sort_block_merge_implIS3_PlPS5_mZN2at6native12_GLOBAL__N_124unique_dim_cuda_templateIfEESt5tupleIJNSA_6TensorESF_SF_EERKSF_lbbbEUlllE_EE10hipError_tT0_T1_T2_jT3_P12ihipStream_tbPNSt15iterator_traitsISL_E10value_typeEPNSR_ISM_E10value_typeEPSN_NS1_7vsmem_tEENKUlT_SL_SM_SN_E_clIS8_S8_S9_S9_EESK_S10_SL_SM_SN_EUlS10_E0_NS1_11comp_targetILNS1_3genE0ELNS1_11target_archE4294967295ELNS1_3gpuE0ELNS1_3repE0EEENS1_38merge_mergepath_config_static_selectorELNS0_4arch9wavefront6targetE0EEEvSM_.uses_vcc, 1
	.set _ZN7rocprim17ROCPRIM_400000_NS6detail17trampoline_kernelINS0_14default_configENS1_38merge_sort_block_merge_config_selectorIlNS0_10empty_typeEEEZZNS1_27merge_sort_block_merge_implIS3_PlPS5_mZN2at6native12_GLOBAL__N_124unique_dim_cuda_templateIfEESt5tupleIJNSA_6TensorESF_SF_EERKSF_lbbbEUlllE_EE10hipError_tT0_T1_T2_jT3_P12ihipStream_tbPNSt15iterator_traitsISL_E10value_typeEPNSR_ISM_E10value_typeEPSN_NS1_7vsmem_tEENKUlT_SL_SM_SN_E_clIS8_S8_S9_S9_EESK_S10_SL_SM_SN_EUlS10_E0_NS1_11comp_targetILNS1_3genE0ELNS1_11target_archE4294967295ELNS1_3gpuE0ELNS1_3repE0EEENS1_38merge_mergepath_config_static_selectorELNS0_4arch9wavefront6targetE0EEEvSM_.uses_flat_scratch, 0
	.set _ZN7rocprim17ROCPRIM_400000_NS6detail17trampoline_kernelINS0_14default_configENS1_38merge_sort_block_merge_config_selectorIlNS0_10empty_typeEEEZZNS1_27merge_sort_block_merge_implIS3_PlPS5_mZN2at6native12_GLOBAL__N_124unique_dim_cuda_templateIfEESt5tupleIJNSA_6TensorESF_SF_EERKSF_lbbbEUlllE_EE10hipError_tT0_T1_T2_jT3_P12ihipStream_tbPNSt15iterator_traitsISL_E10value_typeEPNSR_ISM_E10value_typeEPSN_NS1_7vsmem_tEENKUlT_SL_SM_SN_E_clIS8_S8_S9_S9_EESK_S10_SL_SM_SN_EUlS10_E0_NS1_11comp_targetILNS1_3genE0ELNS1_11target_archE4294967295ELNS1_3gpuE0ELNS1_3repE0EEENS1_38merge_mergepath_config_static_selectorELNS0_4arch9wavefront6targetE0EEEvSM_.has_dyn_sized_stack, 0
	.set _ZN7rocprim17ROCPRIM_400000_NS6detail17trampoline_kernelINS0_14default_configENS1_38merge_sort_block_merge_config_selectorIlNS0_10empty_typeEEEZZNS1_27merge_sort_block_merge_implIS3_PlPS5_mZN2at6native12_GLOBAL__N_124unique_dim_cuda_templateIfEESt5tupleIJNSA_6TensorESF_SF_EERKSF_lbbbEUlllE_EE10hipError_tT0_T1_T2_jT3_P12ihipStream_tbPNSt15iterator_traitsISL_E10value_typeEPNSR_ISM_E10value_typeEPSN_NS1_7vsmem_tEENKUlT_SL_SM_SN_E_clIS8_S8_S9_S9_EESK_S10_SL_SM_SN_EUlS10_E0_NS1_11comp_targetILNS1_3genE0ELNS1_11target_archE4294967295ELNS1_3gpuE0ELNS1_3repE0EEENS1_38merge_mergepath_config_static_selectorELNS0_4arch9wavefront6targetE0EEEvSM_.has_recursion, 0
	.set _ZN7rocprim17ROCPRIM_400000_NS6detail17trampoline_kernelINS0_14default_configENS1_38merge_sort_block_merge_config_selectorIlNS0_10empty_typeEEEZZNS1_27merge_sort_block_merge_implIS3_PlPS5_mZN2at6native12_GLOBAL__N_124unique_dim_cuda_templateIfEESt5tupleIJNSA_6TensorESF_SF_EERKSF_lbbbEUlllE_EE10hipError_tT0_T1_T2_jT3_P12ihipStream_tbPNSt15iterator_traitsISL_E10value_typeEPNSR_ISM_E10value_typeEPSN_NS1_7vsmem_tEENKUlT_SL_SM_SN_E_clIS8_S8_S9_S9_EESK_S10_SL_SM_SN_EUlS10_E0_NS1_11comp_targetILNS1_3genE0ELNS1_11target_archE4294967295ELNS1_3gpuE0ELNS1_3repE0EEENS1_38merge_mergepath_config_static_selectorELNS0_4arch9wavefront6targetE0EEEvSM_.has_indirect_call, 0
	.section	.AMDGPU.csdata,"",@progbits
; Kernel info:
; codeLenInByte = 6680
; TotalNumSgprs: 34
; NumVgprs: 40
; ScratchSize: 0
; MemoryBound: 0
; FloatMode: 240
; IeeeMode: 1
; LDSByteSize: 8448 bytes/workgroup (compile time only)
; SGPRBlocks: 0
; VGPRBlocks: 2
; NumSGPRsForWavesPerEU: 34
; NumVGPRsForWavesPerEU: 40
; NamedBarCnt: 0
; Occupancy: 16
; WaveLimiterHint : 1
; COMPUTE_PGM_RSRC2:SCRATCH_EN: 0
; COMPUTE_PGM_RSRC2:USER_SGPR: 2
; COMPUTE_PGM_RSRC2:TRAP_HANDLER: 0
; COMPUTE_PGM_RSRC2:TGID_X_EN: 1
; COMPUTE_PGM_RSRC2:TGID_Y_EN: 1
; COMPUTE_PGM_RSRC2:TGID_Z_EN: 1
; COMPUTE_PGM_RSRC2:TIDIG_COMP_CNT: 0
	.section	.text._ZN7rocprim17ROCPRIM_400000_NS6detail17trampoline_kernelINS0_14default_configENS1_38merge_sort_block_merge_config_selectorIlNS0_10empty_typeEEEZZNS1_27merge_sort_block_merge_implIS3_PlPS5_mZN2at6native12_GLOBAL__N_124unique_dim_cuda_templateIfEESt5tupleIJNSA_6TensorESF_SF_EERKSF_lbbbEUlllE_EE10hipError_tT0_T1_T2_jT3_P12ihipStream_tbPNSt15iterator_traitsISL_E10value_typeEPNSR_ISM_E10value_typeEPSN_NS1_7vsmem_tEENKUlT_SL_SM_SN_E_clIS8_S8_S9_S9_EESK_S10_SL_SM_SN_EUlS10_E0_NS1_11comp_targetILNS1_3genE10ELNS1_11target_archE1201ELNS1_3gpuE5ELNS1_3repE0EEENS1_38merge_mergepath_config_static_selectorELNS0_4arch9wavefront6targetE0EEEvSM_,"axG",@progbits,_ZN7rocprim17ROCPRIM_400000_NS6detail17trampoline_kernelINS0_14default_configENS1_38merge_sort_block_merge_config_selectorIlNS0_10empty_typeEEEZZNS1_27merge_sort_block_merge_implIS3_PlPS5_mZN2at6native12_GLOBAL__N_124unique_dim_cuda_templateIfEESt5tupleIJNSA_6TensorESF_SF_EERKSF_lbbbEUlllE_EE10hipError_tT0_T1_T2_jT3_P12ihipStream_tbPNSt15iterator_traitsISL_E10value_typeEPNSR_ISM_E10value_typeEPSN_NS1_7vsmem_tEENKUlT_SL_SM_SN_E_clIS8_S8_S9_S9_EESK_S10_SL_SM_SN_EUlS10_E0_NS1_11comp_targetILNS1_3genE10ELNS1_11target_archE1201ELNS1_3gpuE5ELNS1_3repE0EEENS1_38merge_mergepath_config_static_selectorELNS0_4arch9wavefront6targetE0EEEvSM_,comdat
	.globl	_ZN7rocprim17ROCPRIM_400000_NS6detail17trampoline_kernelINS0_14default_configENS1_38merge_sort_block_merge_config_selectorIlNS0_10empty_typeEEEZZNS1_27merge_sort_block_merge_implIS3_PlPS5_mZN2at6native12_GLOBAL__N_124unique_dim_cuda_templateIfEESt5tupleIJNSA_6TensorESF_SF_EERKSF_lbbbEUlllE_EE10hipError_tT0_T1_T2_jT3_P12ihipStream_tbPNSt15iterator_traitsISL_E10value_typeEPNSR_ISM_E10value_typeEPSN_NS1_7vsmem_tEENKUlT_SL_SM_SN_E_clIS8_S8_S9_S9_EESK_S10_SL_SM_SN_EUlS10_E0_NS1_11comp_targetILNS1_3genE10ELNS1_11target_archE1201ELNS1_3gpuE5ELNS1_3repE0EEENS1_38merge_mergepath_config_static_selectorELNS0_4arch9wavefront6targetE0EEEvSM_ ; -- Begin function _ZN7rocprim17ROCPRIM_400000_NS6detail17trampoline_kernelINS0_14default_configENS1_38merge_sort_block_merge_config_selectorIlNS0_10empty_typeEEEZZNS1_27merge_sort_block_merge_implIS3_PlPS5_mZN2at6native12_GLOBAL__N_124unique_dim_cuda_templateIfEESt5tupleIJNSA_6TensorESF_SF_EERKSF_lbbbEUlllE_EE10hipError_tT0_T1_T2_jT3_P12ihipStream_tbPNSt15iterator_traitsISL_E10value_typeEPNSR_ISM_E10value_typeEPSN_NS1_7vsmem_tEENKUlT_SL_SM_SN_E_clIS8_S8_S9_S9_EESK_S10_SL_SM_SN_EUlS10_E0_NS1_11comp_targetILNS1_3genE10ELNS1_11target_archE1201ELNS1_3gpuE5ELNS1_3repE0EEENS1_38merge_mergepath_config_static_selectorELNS0_4arch9wavefront6targetE0EEEvSM_
	.p2align	8
	.type	_ZN7rocprim17ROCPRIM_400000_NS6detail17trampoline_kernelINS0_14default_configENS1_38merge_sort_block_merge_config_selectorIlNS0_10empty_typeEEEZZNS1_27merge_sort_block_merge_implIS3_PlPS5_mZN2at6native12_GLOBAL__N_124unique_dim_cuda_templateIfEESt5tupleIJNSA_6TensorESF_SF_EERKSF_lbbbEUlllE_EE10hipError_tT0_T1_T2_jT3_P12ihipStream_tbPNSt15iterator_traitsISL_E10value_typeEPNSR_ISM_E10value_typeEPSN_NS1_7vsmem_tEENKUlT_SL_SM_SN_E_clIS8_S8_S9_S9_EESK_S10_SL_SM_SN_EUlS10_E0_NS1_11comp_targetILNS1_3genE10ELNS1_11target_archE1201ELNS1_3gpuE5ELNS1_3repE0EEENS1_38merge_mergepath_config_static_selectorELNS0_4arch9wavefront6targetE0EEEvSM_,@function
_ZN7rocprim17ROCPRIM_400000_NS6detail17trampoline_kernelINS0_14default_configENS1_38merge_sort_block_merge_config_selectorIlNS0_10empty_typeEEEZZNS1_27merge_sort_block_merge_implIS3_PlPS5_mZN2at6native12_GLOBAL__N_124unique_dim_cuda_templateIfEESt5tupleIJNSA_6TensorESF_SF_EERKSF_lbbbEUlllE_EE10hipError_tT0_T1_T2_jT3_P12ihipStream_tbPNSt15iterator_traitsISL_E10value_typeEPNSR_ISM_E10value_typeEPSN_NS1_7vsmem_tEENKUlT_SL_SM_SN_E_clIS8_S8_S9_S9_EESK_S10_SL_SM_SN_EUlS10_E0_NS1_11comp_targetILNS1_3genE10ELNS1_11target_archE1201ELNS1_3gpuE5ELNS1_3repE0EEENS1_38merge_mergepath_config_static_selectorELNS0_4arch9wavefront6targetE0EEEvSM_: ; @_ZN7rocprim17ROCPRIM_400000_NS6detail17trampoline_kernelINS0_14default_configENS1_38merge_sort_block_merge_config_selectorIlNS0_10empty_typeEEEZZNS1_27merge_sort_block_merge_implIS3_PlPS5_mZN2at6native12_GLOBAL__N_124unique_dim_cuda_templateIfEESt5tupleIJNSA_6TensorESF_SF_EERKSF_lbbbEUlllE_EE10hipError_tT0_T1_T2_jT3_P12ihipStream_tbPNSt15iterator_traitsISL_E10value_typeEPNSR_ISM_E10value_typeEPSN_NS1_7vsmem_tEENKUlT_SL_SM_SN_E_clIS8_S8_S9_S9_EESK_S10_SL_SM_SN_EUlS10_E0_NS1_11comp_targetILNS1_3genE10ELNS1_11target_archE1201ELNS1_3gpuE5ELNS1_3repE0EEENS1_38merge_mergepath_config_static_selectorELNS0_4arch9wavefront6targetE0EEEvSM_
; %bb.0:
	.section	.rodata,"a",@progbits
	.p2align	6, 0x0
	.amdhsa_kernel _ZN7rocprim17ROCPRIM_400000_NS6detail17trampoline_kernelINS0_14default_configENS1_38merge_sort_block_merge_config_selectorIlNS0_10empty_typeEEEZZNS1_27merge_sort_block_merge_implIS3_PlPS5_mZN2at6native12_GLOBAL__N_124unique_dim_cuda_templateIfEESt5tupleIJNSA_6TensorESF_SF_EERKSF_lbbbEUlllE_EE10hipError_tT0_T1_T2_jT3_P12ihipStream_tbPNSt15iterator_traitsISL_E10value_typeEPNSR_ISM_E10value_typeEPSN_NS1_7vsmem_tEENKUlT_SL_SM_SN_E_clIS8_S8_S9_S9_EESK_S10_SL_SM_SN_EUlS10_E0_NS1_11comp_targetILNS1_3genE10ELNS1_11target_archE1201ELNS1_3gpuE5ELNS1_3repE0EEENS1_38merge_mergepath_config_static_selectorELNS0_4arch9wavefront6targetE0EEEvSM_
		.amdhsa_group_segment_fixed_size 0
		.amdhsa_private_segment_fixed_size 0
		.amdhsa_kernarg_size 88
		.amdhsa_user_sgpr_count 2
		.amdhsa_user_sgpr_dispatch_ptr 0
		.amdhsa_user_sgpr_queue_ptr 0
		.amdhsa_user_sgpr_kernarg_segment_ptr 1
		.amdhsa_user_sgpr_dispatch_id 0
		.amdhsa_user_sgpr_kernarg_preload_length 0
		.amdhsa_user_sgpr_kernarg_preload_offset 0
		.amdhsa_user_sgpr_private_segment_size 0
		.amdhsa_wavefront_size32 1
		.amdhsa_uses_dynamic_stack 0
		.amdhsa_enable_private_segment 0
		.amdhsa_system_sgpr_workgroup_id_x 1
		.amdhsa_system_sgpr_workgroup_id_y 0
		.amdhsa_system_sgpr_workgroup_id_z 0
		.amdhsa_system_sgpr_workgroup_info 0
		.amdhsa_system_vgpr_workitem_id 0
		.amdhsa_next_free_vgpr 1
		.amdhsa_next_free_sgpr 1
		.amdhsa_named_barrier_count 0
		.amdhsa_reserve_vcc 0
		.amdhsa_float_round_mode_32 0
		.amdhsa_float_round_mode_16_64 0
		.amdhsa_float_denorm_mode_32 3
		.amdhsa_float_denorm_mode_16_64 3
		.amdhsa_fp16_overflow 0
		.amdhsa_memory_ordered 1
		.amdhsa_forward_progress 1
		.amdhsa_inst_pref_size 0
		.amdhsa_round_robin_scheduling 0
		.amdhsa_exception_fp_ieee_invalid_op 0
		.amdhsa_exception_fp_denorm_src 0
		.amdhsa_exception_fp_ieee_div_zero 0
		.amdhsa_exception_fp_ieee_overflow 0
		.amdhsa_exception_fp_ieee_underflow 0
		.amdhsa_exception_fp_ieee_inexact 0
		.amdhsa_exception_int_div_zero 0
	.end_amdhsa_kernel
	.section	.text._ZN7rocprim17ROCPRIM_400000_NS6detail17trampoline_kernelINS0_14default_configENS1_38merge_sort_block_merge_config_selectorIlNS0_10empty_typeEEEZZNS1_27merge_sort_block_merge_implIS3_PlPS5_mZN2at6native12_GLOBAL__N_124unique_dim_cuda_templateIfEESt5tupleIJNSA_6TensorESF_SF_EERKSF_lbbbEUlllE_EE10hipError_tT0_T1_T2_jT3_P12ihipStream_tbPNSt15iterator_traitsISL_E10value_typeEPNSR_ISM_E10value_typeEPSN_NS1_7vsmem_tEENKUlT_SL_SM_SN_E_clIS8_S8_S9_S9_EESK_S10_SL_SM_SN_EUlS10_E0_NS1_11comp_targetILNS1_3genE10ELNS1_11target_archE1201ELNS1_3gpuE5ELNS1_3repE0EEENS1_38merge_mergepath_config_static_selectorELNS0_4arch9wavefront6targetE0EEEvSM_,"axG",@progbits,_ZN7rocprim17ROCPRIM_400000_NS6detail17trampoline_kernelINS0_14default_configENS1_38merge_sort_block_merge_config_selectorIlNS0_10empty_typeEEEZZNS1_27merge_sort_block_merge_implIS3_PlPS5_mZN2at6native12_GLOBAL__N_124unique_dim_cuda_templateIfEESt5tupleIJNSA_6TensorESF_SF_EERKSF_lbbbEUlllE_EE10hipError_tT0_T1_T2_jT3_P12ihipStream_tbPNSt15iterator_traitsISL_E10value_typeEPNSR_ISM_E10value_typeEPSN_NS1_7vsmem_tEENKUlT_SL_SM_SN_E_clIS8_S8_S9_S9_EESK_S10_SL_SM_SN_EUlS10_E0_NS1_11comp_targetILNS1_3genE10ELNS1_11target_archE1201ELNS1_3gpuE5ELNS1_3repE0EEENS1_38merge_mergepath_config_static_selectorELNS0_4arch9wavefront6targetE0EEEvSM_,comdat
.Lfunc_end889:
	.size	_ZN7rocprim17ROCPRIM_400000_NS6detail17trampoline_kernelINS0_14default_configENS1_38merge_sort_block_merge_config_selectorIlNS0_10empty_typeEEEZZNS1_27merge_sort_block_merge_implIS3_PlPS5_mZN2at6native12_GLOBAL__N_124unique_dim_cuda_templateIfEESt5tupleIJNSA_6TensorESF_SF_EERKSF_lbbbEUlllE_EE10hipError_tT0_T1_T2_jT3_P12ihipStream_tbPNSt15iterator_traitsISL_E10value_typeEPNSR_ISM_E10value_typeEPSN_NS1_7vsmem_tEENKUlT_SL_SM_SN_E_clIS8_S8_S9_S9_EESK_S10_SL_SM_SN_EUlS10_E0_NS1_11comp_targetILNS1_3genE10ELNS1_11target_archE1201ELNS1_3gpuE5ELNS1_3repE0EEENS1_38merge_mergepath_config_static_selectorELNS0_4arch9wavefront6targetE0EEEvSM_, .Lfunc_end889-_ZN7rocprim17ROCPRIM_400000_NS6detail17trampoline_kernelINS0_14default_configENS1_38merge_sort_block_merge_config_selectorIlNS0_10empty_typeEEEZZNS1_27merge_sort_block_merge_implIS3_PlPS5_mZN2at6native12_GLOBAL__N_124unique_dim_cuda_templateIfEESt5tupleIJNSA_6TensorESF_SF_EERKSF_lbbbEUlllE_EE10hipError_tT0_T1_T2_jT3_P12ihipStream_tbPNSt15iterator_traitsISL_E10value_typeEPNSR_ISM_E10value_typeEPSN_NS1_7vsmem_tEENKUlT_SL_SM_SN_E_clIS8_S8_S9_S9_EESK_S10_SL_SM_SN_EUlS10_E0_NS1_11comp_targetILNS1_3genE10ELNS1_11target_archE1201ELNS1_3gpuE5ELNS1_3repE0EEENS1_38merge_mergepath_config_static_selectorELNS0_4arch9wavefront6targetE0EEEvSM_
                                        ; -- End function
	.set _ZN7rocprim17ROCPRIM_400000_NS6detail17trampoline_kernelINS0_14default_configENS1_38merge_sort_block_merge_config_selectorIlNS0_10empty_typeEEEZZNS1_27merge_sort_block_merge_implIS3_PlPS5_mZN2at6native12_GLOBAL__N_124unique_dim_cuda_templateIfEESt5tupleIJNSA_6TensorESF_SF_EERKSF_lbbbEUlllE_EE10hipError_tT0_T1_T2_jT3_P12ihipStream_tbPNSt15iterator_traitsISL_E10value_typeEPNSR_ISM_E10value_typeEPSN_NS1_7vsmem_tEENKUlT_SL_SM_SN_E_clIS8_S8_S9_S9_EESK_S10_SL_SM_SN_EUlS10_E0_NS1_11comp_targetILNS1_3genE10ELNS1_11target_archE1201ELNS1_3gpuE5ELNS1_3repE0EEENS1_38merge_mergepath_config_static_selectorELNS0_4arch9wavefront6targetE0EEEvSM_.num_vgpr, 0
	.set _ZN7rocprim17ROCPRIM_400000_NS6detail17trampoline_kernelINS0_14default_configENS1_38merge_sort_block_merge_config_selectorIlNS0_10empty_typeEEEZZNS1_27merge_sort_block_merge_implIS3_PlPS5_mZN2at6native12_GLOBAL__N_124unique_dim_cuda_templateIfEESt5tupleIJNSA_6TensorESF_SF_EERKSF_lbbbEUlllE_EE10hipError_tT0_T1_T2_jT3_P12ihipStream_tbPNSt15iterator_traitsISL_E10value_typeEPNSR_ISM_E10value_typeEPSN_NS1_7vsmem_tEENKUlT_SL_SM_SN_E_clIS8_S8_S9_S9_EESK_S10_SL_SM_SN_EUlS10_E0_NS1_11comp_targetILNS1_3genE10ELNS1_11target_archE1201ELNS1_3gpuE5ELNS1_3repE0EEENS1_38merge_mergepath_config_static_selectorELNS0_4arch9wavefront6targetE0EEEvSM_.num_agpr, 0
	.set _ZN7rocprim17ROCPRIM_400000_NS6detail17trampoline_kernelINS0_14default_configENS1_38merge_sort_block_merge_config_selectorIlNS0_10empty_typeEEEZZNS1_27merge_sort_block_merge_implIS3_PlPS5_mZN2at6native12_GLOBAL__N_124unique_dim_cuda_templateIfEESt5tupleIJNSA_6TensorESF_SF_EERKSF_lbbbEUlllE_EE10hipError_tT0_T1_T2_jT3_P12ihipStream_tbPNSt15iterator_traitsISL_E10value_typeEPNSR_ISM_E10value_typeEPSN_NS1_7vsmem_tEENKUlT_SL_SM_SN_E_clIS8_S8_S9_S9_EESK_S10_SL_SM_SN_EUlS10_E0_NS1_11comp_targetILNS1_3genE10ELNS1_11target_archE1201ELNS1_3gpuE5ELNS1_3repE0EEENS1_38merge_mergepath_config_static_selectorELNS0_4arch9wavefront6targetE0EEEvSM_.numbered_sgpr, 0
	.set _ZN7rocprim17ROCPRIM_400000_NS6detail17trampoline_kernelINS0_14default_configENS1_38merge_sort_block_merge_config_selectorIlNS0_10empty_typeEEEZZNS1_27merge_sort_block_merge_implIS3_PlPS5_mZN2at6native12_GLOBAL__N_124unique_dim_cuda_templateIfEESt5tupleIJNSA_6TensorESF_SF_EERKSF_lbbbEUlllE_EE10hipError_tT0_T1_T2_jT3_P12ihipStream_tbPNSt15iterator_traitsISL_E10value_typeEPNSR_ISM_E10value_typeEPSN_NS1_7vsmem_tEENKUlT_SL_SM_SN_E_clIS8_S8_S9_S9_EESK_S10_SL_SM_SN_EUlS10_E0_NS1_11comp_targetILNS1_3genE10ELNS1_11target_archE1201ELNS1_3gpuE5ELNS1_3repE0EEENS1_38merge_mergepath_config_static_selectorELNS0_4arch9wavefront6targetE0EEEvSM_.num_named_barrier, 0
	.set _ZN7rocprim17ROCPRIM_400000_NS6detail17trampoline_kernelINS0_14default_configENS1_38merge_sort_block_merge_config_selectorIlNS0_10empty_typeEEEZZNS1_27merge_sort_block_merge_implIS3_PlPS5_mZN2at6native12_GLOBAL__N_124unique_dim_cuda_templateIfEESt5tupleIJNSA_6TensorESF_SF_EERKSF_lbbbEUlllE_EE10hipError_tT0_T1_T2_jT3_P12ihipStream_tbPNSt15iterator_traitsISL_E10value_typeEPNSR_ISM_E10value_typeEPSN_NS1_7vsmem_tEENKUlT_SL_SM_SN_E_clIS8_S8_S9_S9_EESK_S10_SL_SM_SN_EUlS10_E0_NS1_11comp_targetILNS1_3genE10ELNS1_11target_archE1201ELNS1_3gpuE5ELNS1_3repE0EEENS1_38merge_mergepath_config_static_selectorELNS0_4arch9wavefront6targetE0EEEvSM_.private_seg_size, 0
	.set _ZN7rocprim17ROCPRIM_400000_NS6detail17trampoline_kernelINS0_14default_configENS1_38merge_sort_block_merge_config_selectorIlNS0_10empty_typeEEEZZNS1_27merge_sort_block_merge_implIS3_PlPS5_mZN2at6native12_GLOBAL__N_124unique_dim_cuda_templateIfEESt5tupleIJNSA_6TensorESF_SF_EERKSF_lbbbEUlllE_EE10hipError_tT0_T1_T2_jT3_P12ihipStream_tbPNSt15iterator_traitsISL_E10value_typeEPNSR_ISM_E10value_typeEPSN_NS1_7vsmem_tEENKUlT_SL_SM_SN_E_clIS8_S8_S9_S9_EESK_S10_SL_SM_SN_EUlS10_E0_NS1_11comp_targetILNS1_3genE10ELNS1_11target_archE1201ELNS1_3gpuE5ELNS1_3repE0EEENS1_38merge_mergepath_config_static_selectorELNS0_4arch9wavefront6targetE0EEEvSM_.uses_vcc, 0
	.set _ZN7rocprim17ROCPRIM_400000_NS6detail17trampoline_kernelINS0_14default_configENS1_38merge_sort_block_merge_config_selectorIlNS0_10empty_typeEEEZZNS1_27merge_sort_block_merge_implIS3_PlPS5_mZN2at6native12_GLOBAL__N_124unique_dim_cuda_templateIfEESt5tupleIJNSA_6TensorESF_SF_EERKSF_lbbbEUlllE_EE10hipError_tT0_T1_T2_jT3_P12ihipStream_tbPNSt15iterator_traitsISL_E10value_typeEPNSR_ISM_E10value_typeEPSN_NS1_7vsmem_tEENKUlT_SL_SM_SN_E_clIS8_S8_S9_S9_EESK_S10_SL_SM_SN_EUlS10_E0_NS1_11comp_targetILNS1_3genE10ELNS1_11target_archE1201ELNS1_3gpuE5ELNS1_3repE0EEENS1_38merge_mergepath_config_static_selectorELNS0_4arch9wavefront6targetE0EEEvSM_.uses_flat_scratch, 0
	.set _ZN7rocprim17ROCPRIM_400000_NS6detail17trampoline_kernelINS0_14default_configENS1_38merge_sort_block_merge_config_selectorIlNS0_10empty_typeEEEZZNS1_27merge_sort_block_merge_implIS3_PlPS5_mZN2at6native12_GLOBAL__N_124unique_dim_cuda_templateIfEESt5tupleIJNSA_6TensorESF_SF_EERKSF_lbbbEUlllE_EE10hipError_tT0_T1_T2_jT3_P12ihipStream_tbPNSt15iterator_traitsISL_E10value_typeEPNSR_ISM_E10value_typeEPSN_NS1_7vsmem_tEENKUlT_SL_SM_SN_E_clIS8_S8_S9_S9_EESK_S10_SL_SM_SN_EUlS10_E0_NS1_11comp_targetILNS1_3genE10ELNS1_11target_archE1201ELNS1_3gpuE5ELNS1_3repE0EEENS1_38merge_mergepath_config_static_selectorELNS0_4arch9wavefront6targetE0EEEvSM_.has_dyn_sized_stack, 0
	.set _ZN7rocprim17ROCPRIM_400000_NS6detail17trampoline_kernelINS0_14default_configENS1_38merge_sort_block_merge_config_selectorIlNS0_10empty_typeEEEZZNS1_27merge_sort_block_merge_implIS3_PlPS5_mZN2at6native12_GLOBAL__N_124unique_dim_cuda_templateIfEESt5tupleIJNSA_6TensorESF_SF_EERKSF_lbbbEUlllE_EE10hipError_tT0_T1_T2_jT3_P12ihipStream_tbPNSt15iterator_traitsISL_E10value_typeEPNSR_ISM_E10value_typeEPSN_NS1_7vsmem_tEENKUlT_SL_SM_SN_E_clIS8_S8_S9_S9_EESK_S10_SL_SM_SN_EUlS10_E0_NS1_11comp_targetILNS1_3genE10ELNS1_11target_archE1201ELNS1_3gpuE5ELNS1_3repE0EEENS1_38merge_mergepath_config_static_selectorELNS0_4arch9wavefront6targetE0EEEvSM_.has_recursion, 0
	.set _ZN7rocprim17ROCPRIM_400000_NS6detail17trampoline_kernelINS0_14default_configENS1_38merge_sort_block_merge_config_selectorIlNS0_10empty_typeEEEZZNS1_27merge_sort_block_merge_implIS3_PlPS5_mZN2at6native12_GLOBAL__N_124unique_dim_cuda_templateIfEESt5tupleIJNSA_6TensorESF_SF_EERKSF_lbbbEUlllE_EE10hipError_tT0_T1_T2_jT3_P12ihipStream_tbPNSt15iterator_traitsISL_E10value_typeEPNSR_ISM_E10value_typeEPSN_NS1_7vsmem_tEENKUlT_SL_SM_SN_E_clIS8_S8_S9_S9_EESK_S10_SL_SM_SN_EUlS10_E0_NS1_11comp_targetILNS1_3genE10ELNS1_11target_archE1201ELNS1_3gpuE5ELNS1_3repE0EEENS1_38merge_mergepath_config_static_selectorELNS0_4arch9wavefront6targetE0EEEvSM_.has_indirect_call, 0
	.section	.AMDGPU.csdata,"",@progbits
; Kernel info:
; codeLenInByte = 0
; TotalNumSgprs: 0
; NumVgprs: 0
; ScratchSize: 0
; MemoryBound: 0
; FloatMode: 240
; IeeeMode: 1
; LDSByteSize: 0 bytes/workgroup (compile time only)
; SGPRBlocks: 0
; VGPRBlocks: 0
; NumSGPRsForWavesPerEU: 1
; NumVGPRsForWavesPerEU: 1
; NamedBarCnt: 0
; Occupancy: 16
; WaveLimiterHint : 0
; COMPUTE_PGM_RSRC2:SCRATCH_EN: 0
; COMPUTE_PGM_RSRC2:USER_SGPR: 2
; COMPUTE_PGM_RSRC2:TRAP_HANDLER: 0
; COMPUTE_PGM_RSRC2:TGID_X_EN: 1
; COMPUTE_PGM_RSRC2:TGID_Y_EN: 0
; COMPUTE_PGM_RSRC2:TGID_Z_EN: 0
; COMPUTE_PGM_RSRC2:TIDIG_COMP_CNT: 0
	.section	.text._ZN7rocprim17ROCPRIM_400000_NS6detail17trampoline_kernelINS0_14default_configENS1_38merge_sort_block_merge_config_selectorIlNS0_10empty_typeEEEZZNS1_27merge_sort_block_merge_implIS3_PlPS5_mZN2at6native12_GLOBAL__N_124unique_dim_cuda_templateIfEESt5tupleIJNSA_6TensorESF_SF_EERKSF_lbbbEUlllE_EE10hipError_tT0_T1_T2_jT3_P12ihipStream_tbPNSt15iterator_traitsISL_E10value_typeEPNSR_ISM_E10value_typeEPSN_NS1_7vsmem_tEENKUlT_SL_SM_SN_E_clIS8_S8_S9_S9_EESK_S10_SL_SM_SN_EUlS10_E0_NS1_11comp_targetILNS1_3genE5ELNS1_11target_archE942ELNS1_3gpuE9ELNS1_3repE0EEENS1_38merge_mergepath_config_static_selectorELNS0_4arch9wavefront6targetE0EEEvSM_,"axG",@progbits,_ZN7rocprim17ROCPRIM_400000_NS6detail17trampoline_kernelINS0_14default_configENS1_38merge_sort_block_merge_config_selectorIlNS0_10empty_typeEEEZZNS1_27merge_sort_block_merge_implIS3_PlPS5_mZN2at6native12_GLOBAL__N_124unique_dim_cuda_templateIfEESt5tupleIJNSA_6TensorESF_SF_EERKSF_lbbbEUlllE_EE10hipError_tT0_T1_T2_jT3_P12ihipStream_tbPNSt15iterator_traitsISL_E10value_typeEPNSR_ISM_E10value_typeEPSN_NS1_7vsmem_tEENKUlT_SL_SM_SN_E_clIS8_S8_S9_S9_EESK_S10_SL_SM_SN_EUlS10_E0_NS1_11comp_targetILNS1_3genE5ELNS1_11target_archE942ELNS1_3gpuE9ELNS1_3repE0EEENS1_38merge_mergepath_config_static_selectorELNS0_4arch9wavefront6targetE0EEEvSM_,comdat
	.globl	_ZN7rocprim17ROCPRIM_400000_NS6detail17trampoline_kernelINS0_14default_configENS1_38merge_sort_block_merge_config_selectorIlNS0_10empty_typeEEEZZNS1_27merge_sort_block_merge_implIS3_PlPS5_mZN2at6native12_GLOBAL__N_124unique_dim_cuda_templateIfEESt5tupleIJNSA_6TensorESF_SF_EERKSF_lbbbEUlllE_EE10hipError_tT0_T1_T2_jT3_P12ihipStream_tbPNSt15iterator_traitsISL_E10value_typeEPNSR_ISM_E10value_typeEPSN_NS1_7vsmem_tEENKUlT_SL_SM_SN_E_clIS8_S8_S9_S9_EESK_S10_SL_SM_SN_EUlS10_E0_NS1_11comp_targetILNS1_3genE5ELNS1_11target_archE942ELNS1_3gpuE9ELNS1_3repE0EEENS1_38merge_mergepath_config_static_selectorELNS0_4arch9wavefront6targetE0EEEvSM_ ; -- Begin function _ZN7rocprim17ROCPRIM_400000_NS6detail17trampoline_kernelINS0_14default_configENS1_38merge_sort_block_merge_config_selectorIlNS0_10empty_typeEEEZZNS1_27merge_sort_block_merge_implIS3_PlPS5_mZN2at6native12_GLOBAL__N_124unique_dim_cuda_templateIfEESt5tupleIJNSA_6TensorESF_SF_EERKSF_lbbbEUlllE_EE10hipError_tT0_T1_T2_jT3_P12ihipStream_tbPNSt15iterator_traitsISL_E10value_typeEPNSR_ISM_E10value_typeEPSN_NS1_7vsmem_tEENKUlT_SL_SM_SN_E_clIS8_S8_S9_S9_EESK_S10_SL_SM_SN_EUlS10_E0_NS1_11comp_targetILNS1_3genE5ELNS1_11target_archE942ELNS1_3gpuE9ELNS1_3repE0EEENS1_38merge_mergepath_config_static_selectorELNS0_4arch9wavefront6targetE0EEEvSM_
	.p2align	8
	.type	_ZN7rocprim17ROCPRIM_400000_NS6detail17trampoline_kernelINS0_14default_configENS1_38merge_sort_block_merge_config_selectorIlNS0_10empty_typeEEEZZNS1_27merge_sort_block_merge_implIS3_PlPS5_mZN2at6native12_GLOBAL__N_124unique_dim_cuda_templateIfEESt5tupleIJNSA_6TensorESF_SF_EERKSF_lbbbEUlllE_EE10hipError_tT0_T1_T2_jT3_P12ihipStream_tbPNSt15iterator_traitsISL_E10value_typeEPNSR_ISM_E10value_typeEPSN_NS1_7vsmem_tEENKUlT_SL_SM_SN_E_clIS8_S8_S9_S9_EESK_S10_SL_SM_SN_EUlS10_E0_NS1_11comp_targetILNS1_3genE5ELNS1_11target_archE942ELNS1_3gpuE9ELNS1_3repE0EEENS1_38merge_mergepath_config_static_selectorELNS0_4arch9wavefront6targetE0EEEvSM_,@function
_ZN7rocprim17ROCPRIM_400000_NS6detail17trampoline_kernelINS0_14default_configENS1_38merge_sort_block_merge_config_selectorIlNS0_10empty_typeEEEZZNS1_27merge_sort_block_merge_implIS3_PlPS5_mZN2at6native12_GLOBAL__N_124unique_dim_cuda_templateIfEESt5tupleIJNSA_6TensorESF_SF_EERKSF_lbbbEUlllE_EE10hipError_tT0_T1_T2_jT3_P12ihipStream_tbPNSt15iterator_traitsISL_E10value_typeEPNSR_ISM_E10value_typeEPSN_NS1_7vsmem_tEENKUlT_SL_SM_SN_E_clIS8_S8_S9_S9_EESK_S10_SL_SM_SN_EUlS10_E0_NS1_11comp_targetILNS1_3genE5ELNS1_11target_archE942ELNS1_3gpuE9ELNS1_3repE0EEENS1_38merge_mergepath_config_static_selectorELNS0_4arch9wavefront6targetE0EEEvSM_: ; @_ZN7rocprim17ROCPRIM_400000_NS6detail17trampoline_kernelINS0_14default_configENS1_38merge_sort_block_merge_config_selectorIlNS0_10empty_typeEEEZZNS1_27merge_sort_block_merge_implIS3_PlPS5_mZN2at6native12_GLOBAL__N_124unique_dim_cuda_templateIfEESt5tupleIJNSA_6TensorESF_SF_EERKSF_lbbbEUlllE_EE10hipError_tT0_T1_T2_jT3_P12ihipStream_tbPNSt15iterator_traitsISL_E10value_typeEPNSR_ISM_E10value_typeEPSN_NS1_7vsmem_tEENKUlT_SL_SM_SN_E_clIS8_S8_S9_S9_EESK_S10_SL_SM_SN_EUlS10_E0_NS1_11comp_targetILNS1_3genE5ELNS1_11target_archE942ELNS1_3gpuE9ELNS1_3repE0EEENS1_38merge_mergepath_config_static_selectorELNS0_4arch9wavefront6targetE0EEEvSM_
; %bb.0:
	.section	.rodata,"a",@progbits
	.p2align	6, 0x0
	.amdhsa_kernel _ZN7rocprim17ROCPRIM_400000_NS6detail17trampoline_kernelINS0_14default_configENS1_38merge_sort_block_merge_config_selectorIlNS0_10empty_typeEEEZZNS1_27merge_sort_block_merge_implIS3_PlPS5_mZN2at6native12_GLOBAL__N_124unique_dim_cuda_templateIfEESt5tupleIJNSA_6TensorESF_SF_EERKSF_lbbbEUlllE_EE10hipError_tT0_T1_T2_jT3_P12ihipStream_tbPNSt15iterator_traitsISL_E10value_typeEPNSR_ISM_E10value_typeEPSN_NS1_7vsmem_tEENKUlT_SL_SM_SN_E_clIS8_S8_S9_S9_EESK_S10_SL_SM_SN_EUlS10_E0_NS1_11comp_targetILNS1_3genE5ELNS1_11target_archE942ELNS1_3gpuE9ELNS1_3repE0EEENS1_38merge_mergepath_config_static_selectorELNS0_4arch9wavefront6targetE0EEEvSM_
		.amdhsa_group_segment_fixed_size 0
		.amdhsa_private_segment_fixed_size 0
		.amdhsa_kernarg_size 88
		.amdhsa_user_sgpr_count 2
		.amdhsa_user_sgpr_dispatch_ptr 0
		.amdhsa_user_sgpr_queue_ptr 0
		.amdhsa_user_sgpr_kernarg_segment_ptr 1
		.amdhsa_user_sgpr_dispatch_id 0
		.amdhsa_user_sgpr_kernarg_preload_length 0
		.amdhsa_user_sgpr_kernarg_preload_offset 0
		.amdhsa_user_sgpr_private_segment_size 0
		.amdhsa_wavefront_size32 1
		.amdhsa_uses_dynamic_stack 0
		.amdhsa_enable_private_segment 0
		.amdhsa_system_sgpr_workgroup_id_x 1
		.amdhsa_system_sgpr_workgroup_id_y 0
		.amdhsa_system_sgpr_workgroup_id_z 0
		.amdhsa_system_sgpr_workgroup_info 0
		.amdhsa_system_vgpr_workitem_id 0
		.amdhsa_next_free_vgpr 1
		.amdhsa_next_free_sgpr 1
		.amdhsa_named_barrier_count 0
		.amdhsa_reserve_vcc 0
		.amdhsa_float_round_mode_32 0
		.amdhsa_float_round_mode_16_64 0
		.amdhsa_float_denorm_mode_32 3
		.amdhsa_float_denorm_mode_16_64 3
		.amdhsa_fp16_overflow 0
		.amdhsa_memory_ordered 1
		.amdhsa_forward_progress 1
		.amdhsa_inst_pref_size 0
		.amdhsa_round_robin_scheduling 0
		.amdhsa_exception_fp_ieee_invalid_op 0
		.amdhsa_exception_fp_denorm_src 0
		.amdhsa_exception_fp_ieee_div_zero 0
		.amdhsa_exception_fp_ieee_overflow 0
		.amdhsa_exception_fp_ieee_underflow 0
		.amdhsa_exception_fp_ieee_inexact 0
		.amdhsa_exception_int_div_zero 0
	.end_amdhsa_kernel
	.section	.text._ZN7rocprim17ROCPRIM_400000_NS6detail17trampoline_kernelINS0_14default_configENS1_38merge_sort_block_merge_config_selectorIlNS0_10empty_typeEEEZZNS1_27merge_sort_block_merge_implIS3_PlPS5_mZN2at6native12_GLOBAL__N_124unique_dim_cuda_templateIfEESt5tupleIJNSA_6TensorESF_SF_EERKSF_lbbbEUlllE_EE10hipError_tT0_T1_T2_jT3_P12ihipStream_tbPNSt15iterator_traitsISL_E10value_typeEPNSR_ISM_E10value_typeEPSN_NS1_7vsmem_tEENKUlT_SL_SM_SN_E_clIS8_S8_S9_S9_EESK_S10_SL_SM_SN_EUlS10_E0_NS1_11comp_targetILNS1_3genE5ELNS1_11target_archE942ELNS1_3gpuE9ELNS1_3repE0EEENS1_38merge_mergepath_config_static_selectorELNS0_4arch9wavefront6targetE0EEEvSM_,"axG",@progbits,_ZN7rocprim17ROCPRIM_400000_NS6detail17trampoline_kernelINS0_14default_configENS1_38merge_sort_block_merge_config_selectorIlNS0_10empty_typeEEEZZNS1_27merge_sort_block_merge_implIS3_PlPS5_mZN2at6native12_GLOBAL__N_124unique_dim_cuda_templateIfEESt5tupleIJNSA_6TensorESF_SF_EERKSF_lbbbEUlllE_EE10hipError_tT0_T1_T2_jT3_P12ihipStream_tbPNSt15iterator_traitsISL_E10value_typeEPNSR_ISM_E10value_typeEPSN_NS1_7vsmem_tEENKUlT_SL_SM_SN_E_clIS8_S8_S9_S9_EESK_S10_SL_SM_SN_EUlS10_E0_NS1_11comp_targetILNS1_3genE5ELNS1_11target_archE942ELNS1_3gpuE9ELNS1_3repE0EEENS1_38merge_mergepath_config_static_selectorELNS0_4arch9wavefront6targetE0EEEvSM_,comdat
.Lfunc_end890:
	.size	_ZN7rocprim17ROCPRIM_400000_NS6detail17trampoline_kernelINS0_14default_configENS1_38merge_sort_block_merge_config_selectorIlNS0_10empty_typeEEEZZNS1_27merge_sort_block_merge_implIS3_PlPS5_mZN2at6native12_GLOBAL__N_124unique_dim_cuda_templateIfEESt5tupleIJNSA_6TensorESF_SF_EERKSF_lbbbEUlllE_EE10hipError_tT0_T1_T2_jT3_P12ihipStream_tbPNSt15iterator_traitsISL_E10value_typeEPNSR_ISM_E10value_typeEPSN_NS1_7vsmem_tEENKUlT_SL_SM_SN_E_clIS8_S8_S9_S9_EESK_S10_SL_SM_SN_EUlS10_E0_NS1_11comp_targetILNS1_3genE5ELNS1_11target_archE942ELNS1_3gpuE9ELNS1_3repE0EEENS1_38merge_mergepath_config_static_selectorELNS0_4arch9wavefront6targetE0EEEvSM_, .Lfunc_end890-_ZN7rocprim17ROCPRIM_400000_NS6detail17trampoline_kernelINS0_14default_configENS1_38merge_sort_block_merge_config_selectorIlNS0_10empty_typeEEEZZNS1_27merge_sort_block_merge_implIS3_PlPS5_mZN2at6native12_GLOBAL__N_124unique_dim_cuda_templateIfEESt5tupleIJNSA_6TensorESF_SF_EERKSF_lbbbEUlllE_EE10hipError_tT0_T1_T2_jT3_P12ihipStream_tbPNSt15iterator_traitsISL_E10value_typeEPNSR_ISM_E10value_typeEPSN_NS1_7vsmem_tEENKUlT_SL_SM_SN_E_clIS8_S8_S9_S9_EESK_S10_SL_SM_SN_EUlS10_E0_NS1_11comp_targetILNS1_3genE5ELNS1_11target_archE942ELNS1_3gpuE9ELNS1_3repE0EEENS1_38merge_mergepath_config_static_selectorELNS0_4arch9wavefront6targetE0EEEvSM_
                                        ; -- End function
	.set _ZN7rocprim17ROCPRIM_400000_NS6detail17trampoline_kernelINS0_14default_configENS1_38merge_sort_block_merge_config_selectorIlNS0_10empty_typeEEEZZNS1_27merge_sort_block_merge_implIS3_PlPS5_mZN2at6native12_GLOBAL__N_124unique_dim_cuda_templateIfEESt5tupleIJNSA_6TensorESF_SF_EERKSF_lbbbEUlllE_EE10hipError_tT0_T1_T2_jT3_P12ihipStream_tbPNSt15iterator_traitsISL_E10value_typeEPNSR_ISM_E10value_typeEPSN_NS1_7vsmem_tEENKUlT_SL_SM_SN_E_clIS8_S8_S9_S9_EESK_S10_SL_SM_SN_EUlS10_E0_NS1_11comp_targetILNS1_3genE5ELNS1_11target_archE942ELNS1_3gpuE9ELNS1_3repE0EEENS1_38merge_mergepath_config_static_selectorELNS0_4arch9wavefront6targetE0EEEvSM_.num_vgpr, 0
	.set _ZN7rocprim17ROCPRIM_400000_NS6detail17trampoline_kernelINS0_14default_configENS1_38merge_sort_block_merge_config_selectorIlNS0_10empty_typeEEEZZNS1_27merge_sort_block_merge_implIS3_PlPS5_mZN2at6native12_GLOBAL__N_124unique_dim_cuda_templateIfEESt5tupleIJNSA_6TensorESF_SF_EERKSF_lbbbEUlllE_EE10hipError_tT0_T1_T2_jT3_P12ihipStream_tbPNSt15iterator_traitsISL_E10value_typeEPNSR_ISM_E10value_typeEPSN_NS1_7vsmem_tEENKUlT_SL_SM_SN_E_clIS8_S8_S9_S9_EESK_S10_SL_SM_SN_EUlS10_E0_NS1_11comp_targetILNS1_3genE5ELNS1_11target_archE942ELNS1_3gpuE9ELNS1_3repE0EEENS1_38merge_mergepath_config_static_selectorELNS0_4arch9wavefront6targetE0EEEvSM_.num_agpr, 0
	.set _ZN7rocprim17ROCPRIM_400000_NS6detail17trampoline_kernelINS0_14default_configENS1_38merge_sort_block_merge_config_selectorIlNS0_10empty_typeEEEZZNS1_27merge_sort_block_merge_implIS3_PlPS5_mZN2at6native12_GLOBAL__N_124unique_dim_cuda_templateIfEESt5tupleIJNSA_6TensorESF_SF_EERKSF_lbbbEUlllE_EE10hipError_tT0_T1_T2_jT3_P12ihipStream_tbPNSt15iterator_traitsISL_E10value_typeEPNSR_ISM_E10value_typeEPSN_NS1_7vsmem_tEENKUlT_SL_SM_SN_E_clIS8_S8_S9_S9_EESK_S10_SL_SM_SN_EUlS10_E0_NS1_11comp_targetILNS1_3genE5ELNS1_11target_archE942ELNS1_3gpuE9ELNS1_3repE0EEENS1_38merge_mergepath_config_static_selectorELNS0_4arch9wavefront6targetE0EEEvSM_.numbered_sgpr, 0
	.set _ZN7rocprim17ROCPRIM_400000_NS6detail17trampoline_kernelINS0_14default_configENS1_38merge_sort_block_merge_config_selectorIlNS0_10empty_typeEEEZZNS1_27merge_sort_block_merge_implIS3_PlPS5_mZN2at6native12_GLOBAL__N_124unique_dim_cuda_templateIfEESt5tupleIJNSA_6TensorESF_SF_EERKSF_lbbbEUlllE_EE10hipError_tT0_T1_T2_jT3_P12ihipStream_tbPNSt15iterator_traitsISL_E10value_typeEPNSR_ISM_E10value_typeEPSN_NS1_7vsmem_tEENKUlT_SL_SM_SN_E_clIS8_S8_S9_S9_EESK_S10_SL_SM_SN_EUlS10_E0_NS1_11comp_targetILNS1_3genE5ELNS1_11target_archE942ELNS1_3gpuE9ELNS1_3repE0EEENS1_38merge_mergepath_config_static_selectorELNS0_4arch9wavefront6targetE0EEEvSM_.num_named_barrier, 0
	.set _ZN7rocprim17ROCPRIM_400000_NS6detail17trampoline_kernelINS0_14default_configENS1_38merge_sort_block_merge_config_selectorIlNS0_10empty_typeEEEZZNS1_27merge_sort_block_merge_implIS3_PlPS5_mZN2at6native12_GLOBAL__N_124unique_dim_cuda_templateIfEESt5tupleIJNSA_6TensorESF_SF_EERKSF_lbbbEUlllE_EE10hipError_tT0_T1_T2_jT3_P12ihipStream_tbPNSt15iterator_traitsISL_E10value_typeEPNSR_ISM_E10value_typeEPSN_NS1_7vsmem_tEENKUlT_SL_SM_SN_E_clIS8_S8_S9_S9_EESK_S10_SL_SM_SN_EUlS10_E0_NS1_11comp_targetILNS1_3genE5ELNS1_11target_archE942ELNS1_3gpuE9ELNS1_3repE0EEENS1_38merge_mergepath_config_static_selectorELNS0_4arch9wavefront6targetE0EEEvSM_.private_seg_size, 0
	.set _ZN7rocprim17ROCPRIM_400000_NS6detail17trampoline_kernelINS0_14default_configENS1_38merge_sort_block_merge_config_selectorIlNS0_10empty_typeEEEZZNS1_27merge_sort_block_merge_implIS3_PlPS5_mZN2at6native12_GLOBAL__N_124unique_dim_cuda_templateIfEESt5tupleIJNSA_6TensorESF_SF_EERKSF_lbbbEUlllE_EE10hipError_tT0_T1_T2_jT3_P12ihipStream_tbPNSt15iterator_traitsISL_E10value_typeEPNSR_ISM_E10value_typeEPSN_NS1_7vsmem_tEENKUlT_SL_SM_SN_E_clIS8_S8_S9_S9_EESK_S10_SL_SM_SN_EUlS10_E0_NS1_11comp_targetILNS1_3genE5ELNS1_11target_archE942ELNS1_3gpuE9ELNS1_3repE0EEENS1_38merge_mergepath_config_static_selectorELNS0_4arch9wavefront6targetE0EEEvSM_.uses_vcc, 0
	.set _ZN7rocprim17ROCPRIM_400000_NS6detail17trampoline_kernelINS0_14default_configENS1_38merge_sort_block_merge_config_selectorIlNS0_10empty_typeEEEZZNS1_27merge_sort_block_merge_implIS3_PlPS5_mZN2at6native12_GLOBAL__N_124unique_dim_cuda_templateIfEESt5tupleIJNSA_6TensorESF_SF_EERKSF_lbbbEUlllE_EE10hipError_tT0_T1_T2_jT3_P12ihipStream_tbPNSt15iterator_traitsISL_E10value_typeEPNSR_ISM_E10value_typeEPSN_NS1_7vsmem_tEENKUlT_SL_SM_SN_E_clIS8_S8_S9_S9_EESK_S10_SL_SM_SN_EUlS10_E0_NS1_11comp_targetILNS1_3genE5ELNS1_11target_archE942ELNS1_3gpuE9ELNS1_3repE0EEENS1_38merge_mergepath_config_static_selectorELNS0_4arch9wavefront6targetE0EEEvSM_.uses_flat_scratch, 0
	.set _ZN7rocprim17ROCPRIM_400000_NS6detail17trampoline_kernelINS0_14default_configENS1_38merge_sort_block_merge_config_selectorIlNS0_10empty_typeEEEZZNS1_27merge_sort_block_merge_implIS3_PlPS5_mZN2at6native12_GLOBAL__N_124unique_dim_cuda_templateIfEESt5tupleIJNSA_6TensorESF_SF_EERKSF_lbbbEUlllE_EE10hipError_tT0_T1_T2_jT3_P12ihipStream_tbPNSt15iterator_traitsISL_E10value_typeEPNSR_ISM_E10value_typeEPSN_NS1_7vsmem_tEENKUlT_SL_SM_SN_E_clIS8_S8_S9_S9_EESK_S10_SL_SM_SN_EUlS10_E0_NS1_11comp_targetILNS1_3genE5ELNS1_11target_archE942ELNS1_3gpuE9ELNS1_3repE0EEENS1_38merge_mergepath_config_static_selectorELNS0_4arch9wavefront6targetE0EEEvSM_.has_dyn_sized_stack, 0
	.set _ZN7rocprim17ROCPRIM_400000_NS6detail17trampoline_kernelINS0_14default_configENS1_38merge_sort_block_merge_config_selectorIlNS0_10empty_typeEEEZZNS1_27merge_sort_block_merge_implIS3_PlPS5_mZN2at6native12_GLOBAL__N_124unique_dim_cuda_templateIfEESt5tupleIJNSA_6TensorESF_SF_EERKSF_lbbbEUlllE_EE10hipError_tT0_T1_T2_jT3_P12ihipStream_tbPNSt15iterator_traitsISL_E10value_typeEPNSR_ISM_E10value_typeEPSN_NS1_7vsmem_tEENKUlT_SL_SM_SN_E_clIS8_S8_S9_S9_EESK_S10_SL_SM_SN_EUlS10_E0_NS1_11comp_targetILNS1_3genE5ELNS1_11target_archE942ELNS1_3gpuE9ELNS1_3repE0EEENS1_38merge_mergepath_config_static_selectorELNS0_4arch9wavefront6targetE0EEEvSM_.has_recursion, 0
	.set _ZN7rocprim17ROCPRIM_400000_NS6detail17trampoline_kernelINS0_14default_configENS1_38merge_sort_block_merge_config_selectorIlNS0_10empty_typeEEEZZNS1_27merge_sort_block_merge_implIS3_PlPS5_mZN2at6native12_GLOBAL__N_124unique_dim_cuda_templateIfEESt5tupleIJNSA_6TensorESF_SF_EERKSF_lbbbEUlllE_EE10hipError_tT0_T1_T2_jT3_P12ihipStream_tbPNSt15iterator_traitsISL_E10value_typeEPNSR_ISM_E10value_typeEPSN_NS1_7vsmem_tEENKUlT_SL_SM_SN_E_clIS8_S8_S9_S9_EESK_S10_SL_SM_SN_EUlS10_E0_NS1_11comp_targetILNS1_3genE5ELNS1_11target_archE942ELNS1_3gpuE9ELNS1_3repE0EEENS1_38merge_mergepath_config_static_selectorELNS0_4arch9wavefront6targetE0EEEvSM_.has_indirect_call, 0
	.section	.AMDGPU.csdata,"",@progbits
; Kernel info:
; codeLenInByte = 0
; TotalNumSgprs: 0
; NumVgprs: 0
; ScratchSize: 0
; MemoryBound: 0
; FloatMode: 240
; IeeeMode: 1
; LDSByteSize: 0 bytes/workgroup (compile time only)
; SGPRBlocks: 0
; VGPRBlocks: 0
; NumSGPRsForWavesPerEU: 1
; NumVGPRsForWavesPerEU: 1
; NamedBarCnt: 0
; Occupancy: 16
; WaveLimiterHint : 0
; COMPUTE_PGM_RSRC2:SCRATCH_EN: 0
; COMPUTE_PGM_RSRC2:USER_SGPR: 2
; COMPUTE_PGM_RSRC2:TRAP_HANDLER: 0
; COMPUTE_PGM_RSRC2:TGID_X_EN: 1
; COMPUTE_PGM_RSRC2:TGID_Y_EN: 0
; COMPUTE_PGM_RSRC2:TGID_Z_EN: 0
; COMPUTE_PGM_RSRC2:TIDIG_COMP_CNT: 0
	.section	.text._ZN7rocprim17ROCPRIM_400000_NS6detail17trampoline_kernelINS0_14default_configENS1_38merge_sort_block_merge_config_selectorIlNS0_10empty_typeEEEZZNS1_27merge_sort_block_merge_implIS3_PlPS5_mZN2at6native12_GLOBAL__N_124unique_dim_cuda_templateIfEESt5tupleIJNSA_6TensorESF_SF_EERKSF_lbbbEUlllE_EE10hipError_tT0_T1_T2_jT3_P12ihipStream_tbPNSt15iterator_traitsISL_E10value_typeEPNSR_ISM_E10value_typeEPSN_NS1_7vsmem_tEENKUlT_SL_SM_SN_E_clIS8_S8_S9_S9_EESK_S10_SL_SM_SN_EUlS10_E0_NS1_11comp_targetILNS1_3genE4ELNS1_11target_archE910ELNS1_3gpuE8ELNS1_3repE0EEENS1_38merge_mergepath_config_static_selectorELNS0_4arch9wavefront6targetE0EEEvSM_,"axG",@progbits,_ZN7rocprim17ROCPRIM_400000_NS6detail17trampoline_kernelINS0_14default_configENS1_38merge_sort_block_merge_config_selectorIlNS0_10empty_typeEEEZZNS1_27merge_sort_block_merge_implIS3_PlPS5_mZN2at6native12_GLOBAL__N_124unique_dim_cuda_templateIfEESt5tupleIJNSA_6TensorESF_SF_EERKSF_lbbbEUlllE_EE10hipError_tT0_T1_T2_jT3_P12ihipStream_tbPNSt15iterator_traitsISL_E10value_typeEPNSR_ISM_E10value_typeEPSN_NS1_7vsmem_tEENKUlT_SL_SM_SN_E_clIS8_S8_S9_S9_EESK_S10_SL_SM_SN_EUlS10_E0_NS1_11comp_targetILNS1_3genE4ELNS1_11target_archE910ELNS1_3gpuE8ELNS1_3repE0EEENS1_38merge_mergepath_config_static_selectorELNS0_4arch9wavefront6targetE0EEEvSM_,comdat
	.globl	_ZN7rocprim17ROCPRIM_400000_NS6detail17trampoline_kernelINS0_14default_configENS1_38merge_sort_block_merge_config_selectorIlNS0_10empty_typeEEEZZNS1_27merge_sort_block_merge_implIS3_PlPS5_mZN2at6native12_GLOBAL__N_124unique_dim_cuda_templateIfEESt5tupleIJNSA_6TensorESF_SF_EERKSF_lbbbEUlllE_EE10hipError_tT0_T1_T2_jT3_P12ihipStream_tbPNSt15iterator_traitsISL_E10value_typeEPNSR_ISM_E10value_typeEPSN_NS1_7vsmem_tEENKUlT_SL_SM_SN_E_clIS8_S8_S9_S9_EESK_S10_SL_SM_SN_EUlS10_E0_NS1_11comp_targetILNS1_3genE4ELNS1_11target_archE910ELNS1_3gpuE8ELNS1_3repE0EEENS1_38merge_mergepath_config_static_selectorELNS0_4arch9wavefront6targetE0EEEvSM_ ; -- Begin function _ZN7rocprim17ROCPRIM_400000_NS6detail17trampoline_kernelINS0_14default_configENS1_38merge_sort_block_merge_config_selectorIlNS0_10empty_typeEEEZZNS1_27merge_sort_block_merge_implIS3_PlPS5_mZN2at6native12_GLOBAL__N_124unique_dim_cuda_templateIfEESt5tupleIJNSA_6TensorESF_SF_EERKSF_lbbbEUlllE_EE10hipError_tT0_T1_T2_jT3_P12ihipStream_tbPNSt15iterator_traitsISL_E10value_typeEPNSR_ISM_E10value_typeEPSN_NS1_7vsmem_tEENKUlT_SL_SM_SN_E_clIS8_S8_S9_S9_EESK_S10_SL_SM_SN_EUlS10_E0_NS1_11comp_targetILNS1_3genE4ELNS1_11target_archE910ELNS1_3gpuE8ELNS1_3repE0EEENS1_38merge_mergepath_config_static_selectorELNS0_4arch9wavefront6targetE0EEEvSM_
	.p2align	8
	.type	_ZN7rocprim17ROCPRIM_400000_NS6detail17trampoline_kernelINS0_14default_configENS1_38merge_sort_block_merge_config_selectorIlNS0_10empty_typeEEEZZNS1_27merge_sort_block_merge_implIS3_PlPS5_mZN2at6native12_GLOBAL__N_124unique_dim_cuda_templateIfEESt5tupleIJNSA_6TensorESF_SF_EERKSF_lbbbEUlllE_EE10hipError_tT0_T1_T2_jT3_P12ihipStream_tbPNSt15iterator_traitsISL_E10value_typeEPNSR_ISM_E10value_typeEPSN_NS1_7vsmem_tEENKUlT_SL_SM_SN_E_clIS8_S8_S9_S9_EESK_S10_SL_SM_SN_EUlS10_E0_NS1_11comp_targetILNS1_3genE4ELNS1_11target_archE910ELNS1_3gpuE8ELNS1_3repE0EEENS1_38merge_mergepath_config_static_selectorELNS0_4arch9wavefront6targetE0EEEvSM_,@function
_ZN7rocprim17ROCPRIM_400000_NS6detail17trampoline_kernelINS0_14default_configENS1_38merge_sort_block_merge_config_selectorIlNS0_10empty_typeEEEZZNS1_27merge_sort_block_merge_implIS3_PlPS5_mZN2at6native12_GLOBAL__N_124unique_dim_cuda_templateIfEESt5tupleIJNSA_6TensorESF_SF_EERKSF_lbbbEUlllE_EE10hipError_tT0_T1_T2_jT3_P12ihipStream_tbPNSt15iterator_traitsISL_E10value_typeEPNSR_ISM_E10value_typeEPSN_NS1_7vsmem_tEENKUlT_SL_SM_SN_E_clIS8_S8_S9_S9_EESK_S10_SL_SM_SN_EUlS10_E0_NS1_11comp_targetILNS1_3genE4ELNS1_11target_archE910ELNS1_3gpuE8ELNS1_3repE0EEENS1_38merge_mergepath_config_static_selectorELNS0_4arch9wavefront6targetE0EEEvSM_: ; @_ZN7rocprim17ROCPRIM_400000_NS6detail17trampoline_kernelINS0_14default_configENS1_38merge_sort_block_merge_config_selectorIlNS0_10empty_typeEEEZZNS1_27merge_sort_block_merge_implIS3_PlPS5_mZN2at6native12_GLOBAL__N_124unique_dim_cuda_templateIfEESt5tupleIJNSA_6TensorESF_SF_EERKSF_lbbbEUlllE_EE10hipError_tT0_T1_T2_jT3_P12ihipStream_tbPNSt15iterator_traitsISL_E10value_typeEPNSR_ISM_E10value_typeEPSN_NS1_7vsmem_tEENKUlT_SL_SM_SN_E_clIS8_S8_S9_S9_EESK_S10_SL_SM_SN_EUlS10_E0_NS1_11comp_targetILNS1_3genE4ELNS1_11target_archE910ELNS1_3gpuE8ELNS1_3repE0EEENS1_38merge_mergepath_config_static_selectorELNS0_4arch9wavefront6targetE0EEEvSM_
; %bb.0:
	.section	.rodata,"a",@progbits
	.p2align	6, 0x0
	.amdhsa_kernel _ZN7rocprim17ROCPRIM_400000_NS6detail17trampoline_kernelINS0_14default_configENS1_38merge_sort_block_merge_config_selectorIlNS0_10empty_typeEEEZZNS1_27merge_sort_block_merge_implIS3_PlPS5_mZN2at6native12_GLOBAL__N_124unique_dim_cuda_templateIfEESt5tupleIJNSA_6TensorESF_SF_EERKSF_lbbbEUlllE_EE10hipError_tT0_T1_T2_jT3_P12ihipStream_tbPNSt15iterator_traitsISL_E10value_typeEPNSR_ISM_E10value_typeEPSN_NS1_7vsmem_tEENKUlT_SL_SM_SN_E_clIS8_S8_S9_S9_EESK_S10_SL_SM_SN_EUlS10_E0_NS1_11comp_targetILNS1_3genE4ELNS1_11target_archE910ELNS1_3gpuE8ELNS1_3repE0EEENS1_38merge_mergepath_config_static_selectorELNS0_4arch9wavefront6targetE0EEEvSM_
		.amdhsa_group_segment_fixed_size 0
		.amdhsa_private_segment_fixed_size 0
		.amdhsa_kernarg_size 88
		.amdhsa_user_sgpr_count 2
		.amdhsa_user_sgpr_dispatch_ptr 0
		.amdhsa_user_sgpr_queue_ptr 0
		.amdhsa_user_sgpr_kernarg_segment_ptr 1
		.amdhsa_user_sgpr_dispatch_id 0
		.amdhsa_user_sgpr_kernarg_preload_length 0
		.amdhsa_user_sgpr_kernarg_preload_offset 0
		.amdhsa_user_sgpr_private_segment_size 0
		.amdhsa_wavefront_size32 1
		.amdhsa_uses_dynamic_stack 0
		.amdhsa_enable_private_segment 0
		.amdhsa_system_sgpr_workgroup_id_x 1
		.amdhsa_system_sgpr_workgroup_id_y 0
		.amdhsa_system_sgpr_workgroup_id_z 0
		.amdhsa_system_sgpr_workgroup_info 0
		.amdhsa_system_vgpr_workitem_id 0
		.amdhsa_next_free_vgpr 1
		.amdhsa_next_free_sgpr 1
		.amdhsa_named_barrier_count 0
		.amdhsa_reserve_vcc 0
		.amdhsa_float_round_mode_32 0
		.amdhsa_float_round_mode_16_64 0
		.amdhsa_float_denorm_mode_32 3
		.amdhsa_float_denorm_mode_16_64 3
		.amdhsa_fp16_overflow 0
		.amdhsa_memory_ordered 1
		.amdhsa_forward_progress 1
		.amdhsa_inst_pref_size 0
		.amdhsa_round_robin_scheduling 0
		.amdhsa_exception_fp_ieee_invalid_op 0
		.amdhsa_exception_fp_denorm_src 0
		.amdhsa_exception_fp_ieee_div_zero 0
		.amdhsa_exception_fp_ieee_overflow 0
		.amdhsa_exception_fp_ieee_underflow 0
		.amdhsa_exception_fp_ieee_inexact 0
		.amdhsa_exception_int_div_zero 0
	.end_amdhsa_kernel
	.section	.text._ZN7rocprim17ROCPRIM_400000_NS6detail17trampoline_kernelINS0_14default_configENS1_38merge_sort_block_merge_config_selectorIlNS0_10empty_typeEEEZZNS1_27merge_sort_block_merge_implIS3_PlPS5_mZN2at6native12_GLOBAL__N_124unique_dim_cuda_templateIfEESt5tupleIJNSA_6TensorESF_SF_EERKSF_lbbbEUlllE_EE10hipError_tT0_T1_T2_jT3_P12ihipStream_tbPNSt15iterator_traitsISL_E10value_typeEPNSR_ISM_E10value_typeEPSN_NS1_7vsmem_tEENKUlT_SL_SM_SN_E_clIS8_S8_S9_S9_EESK_S10_SL_SM_SN_EUlS10_E0_NS1_11comp_targetILNS1_3genE4ELNS1_11target_archE910ELNS1_3gpuE8ELNS1_3repE0EEENS1_38merge_mergepath_config_static_selectorELNS0_4arch9wavefront6targetE0EEEvSM_,"axG",@progbits,_ZN7rocprim17ROCPRIM_400000_NS6detail17trampoline_kernelINS0_14default_configENS1_38merge_sort_block_merge_config_selectorIlNS0_10empty_typeEEEZZNS1_27merge_sort_block_merge_implIS3_PlPS5_mZN2at6native12_GLOBAL__N_124unique_dim_cuda_templateIfEESt5tupleIJNSA_6TensorESF_SF_EERKSF_lbbbEUlllE_EE10hipError_tT0_T1_T2_jT3_P12ihipStream_tbPNSt15iterator_traitsISL_E10value_typeEPNSR_ISM_E10value_typeEPSN_NS1_7vsmem_tEENKUlT_SL_SM_SN_E_clIS8_S8_S9_S9_EESK_S10_SL_SM_SN_EUlS10_E0_NS1_11comp_targetILNS1_3genE4ELNS1_11target_archE910ELNS1_3gpuE8ELNS1_3repE0EEENS1_38merge_mergepath_config_static_selectorELNS0_4arch9wavefront6targetE0EEEvSM_,comdat
.Lfunc_end891:
	.size	_ZN7rocprim17ROCPRIM_400000_NS6detail17trampoline_kernelINS0_14default_configENS1_38merge_sort_block_merge_config_selectorIlNS0_10empty_typeEEEZZNS1_27merge_sort_block_merge_implIS3_PlPS5_mZN2at6native12_GLOBAL__N_124unique_dim_cuda_templateIfEESt5tupleIJNSA_6TensorESF_SF_EERKSF_lbbbEUlllE_EE10hipError_tT0_T1_T2_jT3_P12ihipStream_tbPNSt15iterator_traitsISL_E10value_typeEPNSR_ISM_E10value_typeEPSN_NS1_7vsmem_tEENKUlT_SL_SM_SN_E_clIS8_S8_S9_S9_EESK_S10_SL_SM_SN_EUlS10_E0_NS1_11comp_targetILNS1_3genE4ELNS1_11target_archE910ELNS1_3gpuE8ELNS1_3repE0EEENS1_38merge_mergepath_config_static_selectorELNS0_4arch9wavefront6targetE0EEEvSM_, .Lfunc_end891-_ZN7rocprim17ROCPRIM_400000_NS6detail17trampoline_kernelINS0_14default_configENS1_38merge_sort_block_merge_config_selectorIlNS0_10empty_typeEEEZZNS1_27merge_sort_block_merge_implIS3_PlPS5_mZN2at6native12_GLOBAL__N_124unique_dim_cuda_templateIfEESt5tupleIJNSA_6TensorESF_SF_EERKSF_lbbbEUlllE_EE10hipError_tT0_T1_T2_jT3_P12ihipStream_tbPNSt15iterator_traitsISL_E10value_typeEPNSR_ISM_E10value_typeEPSN_NS1_7vsmem_tEENKUlT_SL_SM_SN_E_clIS8_S8_S9_S9_EESK_S10_SL_SM_SN_EUlS10_E0_NS1_11comp_targetILNS1_3genE4ELNS1_11target_archE910ELNS1_3gpuE8ELNS1_3repE0EEENS1_38merge_mergepath_config_static_selectorELNS0_4arch9wavefront6targetE0EEEvSM_
                                        ; -- End function
	.set _ZN7rocprim17ROCPRIM_400000_NS6detail17trampoline_kernelINS0_14default_configENS1_38merge_sort_block_merge_config_selectorIlNS0_10empty_typeEEEZZNS1_27merge_sort_block_merge_implIS3_PlPS5_mZN2at6native12_GLOBAL__N_124unique_dim_cuda_templateIfEESt5tupleIJNSA_6TensorESF_SF_EERKSF_lbbbEUlllE_EE10hipError_tT0_T1_T2_jT3_P12ihipStream_tbPNSt15iterator_traitsISL_E10value_typeEPNSR_ISM_E10value_typeEPSN_NS1_7vsmem_tEENKUlT_SL_SM_SN_E_clIS8_S8_S9_S9_EESK_S10_SL_SM_SN_EUlS10_E0_NS1_11comp_targetILNS1_3genE4ELNS1_11target_archE910ELNS1_3gpuE8ELNS1_3repE0EEENS1_38merge_mergepath_config_static_selectorELNS0_4arch9wavefront6targetE0EEEvSM_.num_vgpr, 0
	.set _ZN7rocprim17ROCPRIM_400000_NS6detail17trampoline_kernelINS0_14default_configENS1_38merge_sort_block_merge_config_selectorIlNS0_10empty_typeEEEZZNS1_27merge_sort_block_merge_implIS3_PlPS5_mZN2at6native12_GLOBAL__N_124unique_dim_cuda_templateIfEESt5tupleIJNSA_6TensorESF_SF_EERKSF_lbbbEUlllE_EE10hipError_tT0_T1_T2_jT3_P12ihipStream_tbPNSt15iterator_traitsISL_E10value_typeEPNSR_ISM_E10value_typeEPSN_NS1_7vsmem_tEENKUlT_SL_SM_SN_E_clIS8_S8_S9_S9_EESK_S10_SL_SM_SN_EUlS10_E0_NS1_11comp_targetILNS1_3genE4ELNS1_11target_archE910ELNS1_3gpuE8ELNS1_3repE0EEENS1_38merge_mergepath_config_static_selectorELNS0_4arch9wavefront6targetE0EEEvSM_.num_agpr, 0
	.set _ZN7rocprim17ROCPRIM_400000_NS6detail17trampoline_kernelINS0_14default_configENS1_38merge_sort_block_merge_config_selectorIlNS0_10empty_typeEEEZZNS1_27merge_sort_block_merge_implIS3_PlPS5_mZN2at6native12_GLOBAL__N_124unique_dim_cuda_templateIfEESt5tupleIJNSA_6TensorESF_SF_EERKSF_lbbbEUlllE_EE10hipError_tT0_T1_T2_jT3_P12ihipStream_tbPNSt15iterator_traitsISL_E10value_typeEPNSR_ISM_E10value_typeEPSN_NS1_7vsmem_tEENKUlT_SL_SM_SN_E_clIS8_S8_S9_S9_EESK_S10_SL_SM_SN_EUlS10_E0_NS1_11comp_targetILNS1_3genE4ELNS1_11target_archE910ELNS1_3gpuE8ELNS1_3repE0EEENS1_38merge_mergepath_config_static_selectorELNS0_4arch9wavefront6targetE0EEEvSM_.numbered_sgpr, 0
	.set _ZN7rocprim17ROCPRIM_400000_NS6detail17trampoline_kernelINS0_14default_configENS1_38merge_sort_block_merge_config_selectorIlNS0_10empty_typeEEEZZNS1_27merge_sort_block_merge_implIS3_PlPS5_mZN2at6native12_GLOBAL__N_124unique_dim_cuda_templateIfEESt5tupleIJNSA_6TensorESF_SF_EERKSF_lbbbEUlllE_EE10hipError_tT0_T1_T2_jT3_P12ihipStream_tbPNSt15iterator_traitsISL_E10value_typeEPNSR_ISM_E10value_typeEPSN_NS1_7vsmem_tEENKUlT_SL_SM_SN_E_clIS8_S8_S9_S9_EESK_S10_SL_SM_SN_EUlS10_E0_NS1_11comp_targetILNS1_3genE4ELNS1_11target_archE910ELNS1_3gpuE8ELNS1_3repE0EEENS1_38merge_mergepath_config_static_selectorELNS0_4arch9wavefront6targetE0EEEvSM_.num_named_barrier, 0
	.set _ZN7rocprim17ROCPRIM_400000_NS6detail17trampoline_kernelINS0_14default_configENS1_38merge_sort_block_merge_config_selectorIlNS0_10empty_typeEEEZZNS1_27merge_sort_block_merge_implIS3_PlPS5_mZN2at6native12_GLOBAL__N_124unique_dim_cuda_templateIfEESt5tupleIJNSA_6TensorESF_SF_EERKSF_lbbbEUlllE_EE10hipError_tT0_T1_T2_jT3_P12ihipStream_tbPNSt15iterator_traitsISL_E10value_typeEPNSR_ISM_E10value_typeEPSN_NS1_7vsmem_tEENKUlT_SL_SM_SN_E_clIS8_S8_S9_S9_EESK_S10_SL_SM_SN_EUlS10_E0_NS1_11comp_targetILNS1_3genE4ELNS1_11target_archE910ELNS1_3gpuE8ELNS1_3repE0EEENS1_38merge_mergepath_config_static_selectorELNS0_4arch9wavefront6targetE0EEEvSM_.private_seg_size, 0
	.set _ZN7rocprim17ROCPRIM_400000_NS6detail17trampoline_kernelINS0_14default_configENS1_38merge_sort_block_merge_config_selectorIlNS0_10empty_typeEEEZZNS1_27merge_sort_block_merge_implIS3_PlPS5_mZN2at6native12_GLOBAL__N_124unique_dim_cuda_templateIfEESt5tupleIJNSA_6TensorESF_SF_EERKSF_lbbbEUlllE_EE10hipError_tT0_T1_T2_jT3_P12ihipStream_tbPNSt15iterator_traitsISL_E10value_typeEPNSR_ISM_E10value_typeEPSN_NS1_7vsmem_tEENKUlT_SL_SM_SN_E_clIS8_S8_S9_S9_EESK_S10_SL_SM_SN_EUlS10_E0_NS1_11comp_targetILNS1_3genE4ELNS1_11target_archE910ELNS1_3gpuE8ELNS1_3repE0EEENS1_38merge_mergepath_config_static_selectorELNS0_4arch9wavefront6targetE0EEEvSM_.uses_vcc, 0
	.set _ZN7rocprim17ROCPRIM_400000_NS6detail17trampoline_kernelINS0_14default_configENS1_38merge_sort_block_merge_config_selectorIlNS0_10empty_typeEEEZZNS1_27merge_sort_block_merge_implIS3_PlPS5_mZN2at6native12_GLOBAL__N_124unique_dim_cuda_templateIfEESt5tupleIJNSA_6TensorESF_SF_EERKSF_lbbbEUlllE_EE10hipError_tT0_T1_T2_jT3_P12ihipStream_tbPNSt15iterator_traitsISL_E10value_typeEPNSR_ISM_E10value_typeEPSN_NS1_7vsmem_tEENKUlT_SL_SM_SN_E_clIS8_S8_S9_S9_EESK_S10_SL_SM_SN_EUlS10_E0_NS1_11comp_targetILNS1_3genE4ELNS1_11target_archE910ELNS1_3gpuE8ELNS1_3repE0EEENS1_38merge_mergepath_config_static_selectorELNS0_4arch9wavefront6targetE0EEEvSM_.uses_flat_scratch, 0
	.set _ZN7rocprim17ROCPRIM_400000_NS6detail17trampoline_kernelINS0_14default_configENS1_38merge_sort_block_merge_config_selectorIlNS0_10empty_typeEEEZZNS1_27merge_sort_block_merge_implIS3_PlPS5_mZN2at6native12_GLOBAL__N_124unique_dim_cuda_templateIfEESt5tupleIJNSA_6TensorESF_SF_EERKSF_lbbbEUlllE_EE10hipError_tT0_T1_T2_jT3_P12ihipStream_tbPNSt15iterator_traitsISL_E10value_typeEPNSR_ISM_E10value_typeEPSN_NS1_7vsmem_tEENKUlT_SL_SM_SN_E_clIS8_S8_S9_S9_EESK_S10_SL_SM_SN_EUlS10_E0_NS1_11comp_targetILNS1_3genE4ELNS1_11target_archE910ELNS1_3gpuE8ELNS1_3repE0EEENS1_38merge_mergepath_config_static_selectorELNS0_4arch9wavefront6targetE0EEEvSM_.has_dyn_sized_stack, 0
	.set _ZN7rocprim17ROCPRIM_400000_NS6detail17trampoline_kernelINS0_14default_configENS1_38merge_sort_block_merge_config_selectorIlNS0_10empty_typeEEEZZNS1_27merge_sort_block_merge_implIS3_PlPS5_mZN2at6native12_GLOBAL__N_124unique_dim_cuda_templateIfEESt5tupleIJNSA_6TensorESF_SF_EERKSF_lbbbEUlllE_EE10hipError_tT0_T1_T2_jT3_P12ihipStream_tbPNSt15iterator_traitsISL_E10value_typeEPNSR_ISM_E10value_typeEPSN_NS1_7vsmem_tEENKUlT_SL_SM_SN_E_clIS8_S8_S9_S9_EESK_S10_SL_SM_SN_EUlS10_E0_NS1_11comp_targetILNS1_3genE4ELNS1_11target_archE910ELNS1_3gpuE8ELNS1_3repE0EEENS1_38merge_mergepath_config_static_selectorELNS0_4arch9wavefront6targetE0EEEvSM_.has_recursion, 0
	.set _ZN7rocprim17ROCPRIM_400000_NS6detail17trampoline_kernelINS0_14default_configENS1_38merge_sort_block_merge_config_selectorIlNS0_10empty_typeEEEZZNS1_27merge_sort_block_merge_implIS3_PlPS5_mZN2at6native12_GLOBAL__N_124unique_dim_cuda_templateIfEESt5tupleIJNSA_6TensorESF_SF_EERKSF_lbbbEUlllE_EE10hipError_tT0_T1_T2_jT3_P12ihipStream_tbPNSt15iterator_traitsISL_E10value_typeEPNSR_ISM_E10value_typeEPSN_NS1_7vsmem_tEENKUlT_SL_SM_SN_E_clIS8_S8_S9_S9_EESK_S10_SL_SM_SN_EUlS10_E0_NS1_11comp_targetILNS1_3genE4ELNS1_11target_archE910ELNS1_3gpuE8ELNS1_3repE0EEENS1_38merge_mergepath_config_static_selectorELNS0_4arch9wavefront6targetE0EEEvSM_.has_indirect_call, 0
	.section	.AMDGPU.csdata,"",@progbits
; Kernel info:
; codeLenInByte = 0
; TotalNumSgprs: 0
; NumVgprs: 0
; ScratchSize: 0
; MemoryBound: 0
; FloatMode: 240
; IeeeMode: 1
; LDSByteSize: 0 bytes/workgroup (compile time only)
; SGPRBlocks: 0
; VGPRBlocks: 0
; NumSGPRsForWavesPerEU: 1
; NumVGPRsForWavesPerEU: 1
; NamedBarCnt: 0
; Occupancy: 16
; WaveLimiterHint : 0
; COMPUTE_PGM_RSRC2:SCRATCH_EN: 0
; COMPUTE_PGM_RSRC2:USER_SGPR: 2
; COMPUTE_PGM_RSRC2:TRAP_HANDLER: 0
; COMPUTE_PGM_RSRC2:TGID_X_EN: 1
; COMPUTE_PGM_RSRC2:TGID_Y_EN: 0
; COMPUTE_PGM_RSRC2:TGID_Z_EN: 0
; COMPUTE_PGM_RSRC2:TIDIG_COMP_CNT: 0
	.section	.text._ZN7rocprim17ROCPRIM_400000_NS6detail17trampoline_kernelINS0_14default_configENS1_38merge_sort_block_merge_config_selectorIlNS0_10empty_typeEEEZZNS1_27merge_sort_block_merge_implIS3_PlPS5_mZN2at6native12_GLOBAL__N_124unique_dim_cuda_templateIfEESt5tupleIJNSA_6TensorESF_SF_EERKSF_lbbbEUlllE_EE10hipError_tT0_T1_T2_jT3_P12ihipStream_tbPNSt15iterator_traitsISL_E10value_typeEPNSR_ISM_E10value_typeEPSN_NS1_7vsmem_tEENKUlT_SL_SM_SN_E_clIS8_S8_S9_S9_EESK_S10_SL_SM_SN_EUlS10_E0_NS1_11comp_targetILNS1_3genE3ELNS1_11target_archE908ELNS1_3gpuE7ELNS1_3repE0EEENS1_38merge_mergepath_config_static_selectorELNS0_4arch9wavefront6targetE0EEEvSM_,"axG",@progbits,_ZN7rocprim17ROCPRIM_400000_NS6detail17trampoline_kernelINS0_14default_configENS1_38merge_sort_block_merge_config_selectorIlNS0_10empty_typeEEEZZNS1_27merge_sort_block_merge_implIS3_PlPS5_mZN2at6native12_GLOBAL__N_124unique_dim_cuda_templateIfEESt5tupleIJNSA_6TensorESF_SF_EERKSF_lbbbEUlllE_EE10hipError_tT0_T1_T2_jT3_P12ihipStream_tbPNSt15iterator_traitsISL_E10value_typeEPNSR_ISM_E10value_typeEPSN_NS1_7vsmem_tEENKUlT_SL_SM_SN_E_clIS8_S8_S9_S9_EESK_S10_SL_SM_SN_EUlS10_E0_NS1_11comp_targetILNS1_3genE3ELNS1_11target_archE908ELNS1_3gpuE7ELNS1_3repE0EEENS1_38merge_mergepath_config_static_selectorELNS0_4arch9wavefront6targetE0EEEvSM_,comdat
	.globl	_ZN7rocprim17ROCPRIM_400000_NS6detail17trampoline_kernelINS0_14default_configENS1_38merge_sort_block_merge_config_selectorIlNS0_10empty_typeEEEZZNS1_27merge_sort_block_merge_implIS3_PlPS5_mZN2at6native12_GLOBAL__N_124unique_dim_cuda_templateIfEESt5tupleIJNSA_6TensorESF_SF_EERKSF_lbbbEUlllE_EE10hipError_tT0_T1_T2_jT3_P12ihipStream_tbPNSt15iterator_traitsISL_E10value_typeEPNSR_ISM_E10value_typeEPSN_NS1_7vsmem_tEENKUlT_SL_SM_SN_E_clIS8_S8_S9_S9_EESK_S10_SL_SM_SN_EUlS10_E0_NS1_11comp_targetILNS1_3genE3ELNS1_11target_archE908ELNS1_3gpuE7ELNS1_3repE0EEENS1_38merge_mergepath_config_static_selectorELNS0_4arch9wavefront6targetE0EEEvSM_ ; -- Begin function _ZN7rocprim17ROCPRIM_400000_NS6detail17trampoline_kernelINS0_14default_configENS1_38merge_sort_block_merge_config_selectorIlNS0_10empty_typeEEEZZNS1_27merge_sort_block_merge_implIS3_PlPS5_mZN2at6native12_GLOBAL__N_124unique_dim_cuda_templateIfEESt5tupleIJNSA_6TensorESF_SF_EERKSF_lbbbEUlllE_EE10hipError_tT0_T1_T2_jT3_P12ihipStream_tbPNSt15iterator_traitsISL_E10value_typeEPNSR_ISM_E10value_typeEPSN_NS1_7vsmem_tEENKUlT_SL_SM_SN_E_clIS8_S8_S9_S9_EESK_S10_SL_SM_SN_EUlS10_E0_NS1_11comp_targetILNS1_3genE3ELNS1_11target_archE908ELNS1_3gpuE7ELNS1_3repE0EEENS1_38merge_mergepath_config_static_selectorELNS0_4arch9wavefront6targetE0EEEvSM_
	.p2align	8
	.type	_ZN7rocprim17ROCPRIM_400000_NS6detail17trampoline_kernelINS0_14default_configENS1_38merge_sort_block_merge_config_selectorIlNS0_10empty_typeEEEZZNS1_27merge_sort_block_merge_implIS3_PlPS5_mZN2at6native12_GLOBAL__N_124unique_dim_cuda_templateIfEESt5tupleIJNSA_6TensorESF_SF_EERKSF_lbbbEUlllE_EE10hipError_tT0_T1_T2_jT3_P12ihipStream_tbPNSt15iterator_traitsISL_E10value_typeEPNSR_ISM_E10value_typeEPSN_NS1_7vsmem_tEENKUlT_SL_SM_SN_E_clIS8_S8_S9_S9_EESK_S10_SL_SM_SN_EUlS10_E0_NS1_11comp_targetILNS1_3genE3ELNS1_11target_archE908ELNS1_3gpuE7ELNS1_3repE0EEENS1_38merge_mergepath_config_static_selectorELNS0_4arch9wavefront6targetE0EEEvSM_,@function
_ZN7rocprim17ROCPRIM_400000_NS6detail17trampoline_kernelINS0_14default_configENS1_38merge_sort_block_merge_config_selectorIlNS0_10empty_typeEEEZZNS1_27merge_sort_block_merge_implIS3_PlPS5_mZN2at6native12_GLOBAL__N_124unique_dim_cuda_templateIfEESt5tupleIJNSA_6TensorESF_SF_EERKSF_lbbbEUlllE_EE10hipError_tT0_T1_T2_jT3_P12ihipStream_tbPNSt15iterator_traitsISL_E10value_typeEPNSR_ISM_E10value_typeEPSN_NS1_7vsmem_tEENKUlT_SL_SM_SN_E_clIS8_S8_S9_S9_EESK_S10_SL_SM_SN_EUlS10_E0_NS1_11comp_targetILNS1_3genE3ELNS1_11target_archE908ELNS1_3gpuE7ELNS1_3repE0EEENS1_38merge_mergepath_config_static_selectorELNS0_4arch9wavefront6targetE0EEEvSM_: ; @_ZN7rocprim17ROCPRIM_400000_NS6detail17trampoline_kernelINS0_14default_configENS1_38merge_sort_block_merge_config_selectorIlNS0_10empty_typeEEEZZNS1_27merge_sort_block_merge_implIS3_PlPS5_mZN2at6native12_GLOBAL__N_124unique_dim_cuda_templateIfEESt5tupleIJNSA_6TensorESF_SF_EERKSF_lbbbEUlllE_EE10hipError_tT0_T1_T2_jT3_P12ihipStream_tbPNSt15iterator_traitsISL_E10value_typeEPNSR_ISM_E10value_typeEPSN_NS1_7vsmem_tEENKUlT_SL_SM_SN_E_clIS8_S8_S9_S9_EESK_S10_SL_SM_SN_EUlS10_E0_NS1_11comp_targetILNS1_3genE3ELNS1_11target_archE908ELNS1_3gpuE7ELNS1_3repE0EEENS1_38merge_mergepath_config_static_selectorELNS0_4arch9wavefront6targetE0EEEvSM_
; %bb.0:
	.section	.rodata,"a",@progbits
	.p2align	6, 0x0
	.amdhsa_kernel _ZN7rocprim17ROCPRIM_400000_NS6detail17trampoline_kernelINS0_14default_configENS1_38merge_sort_block_merge_config_selectorIlNS0_10empty_typeEEEZZNS1_27merge_sort_block_merge_implIS3_PlPS5_mZN2at6native12_GLOBAL__N_124unique_dim_cuda_templateIfEESt5tupleIJNSA_6TensorESF_SF_EERKSF_lbbbEUlllE_EE10hipError_tT0_T1_T2_jT3_P12ihipStream_tbPNSt15iterator_traitsISL_E10value_typeEPNSR_ISM_E10value_typeEPSN_NS1_7vsmem_tEENKUlT_SL_SM_SN_E_clIS8_S8_S9_S9_EESK_S10_SL_SM_SN_EUlS10_E0_NS1_11comp_targetILNS1_3genE3ELNS1_11target_archE908ELNS1_3gpuE7ELNS1_3repE0EEENS1_38merge_mergepath_config_static_selectorELNS0_4arch9wavefront6targetE0EEEvSM_
		.amdhsa_group_segment_fixed_size 0
		.amdhsa_private_segment_fixed_size 0
		.amdhsa_kernarg_size 88
		.amdhsa_user_sgpr_count 2
		.amdhsa_user_sgpr_dispatch_ptr 0
		.amdhsa_user_sgpr_queue_ptr 0
		.amdhsa_user_sgpr_kernarg_segment_ptr 1
		.amdhsa_user_sgpr_dispatch_id 0
		.amdhsa_user_sgpr_kernarg_preload_length 0
		.amdhsa_user_sgpr_kernarg_preload_offset 0
		.amdhsa_user_sgpr_private_segment_size 0
		.amdhsa_wavefront_size32 1
		.amdhsa_uses_dynamic_stack 0
		.amdhsa_enable_private_segment 0
		.amdhsa_system_sgpr_workgroup_id_x 1
		.amdhsa_system_sgpr_workgroup_id_y 0
		.amdhsa_system_sgpr_workgroup_id_z 0
		.amdhsa_system_sgpr_workgroup_info 0
		.amdhsa_system_vgpr_workitem_id 0
		.amdhsa_next_free_vgpr 1
		.amdhsa_next_free_sgpr 1
		.amdhsa_named_barrier_count 0
		.amdhsa_reserve_vcc 0
		.amdhsa_float_round_mode_32 0
		.amdhsa_float_round_mode_16_64 0
		.amdhsa_float_denorm_mode_32 3
		.amdhsa_float_denorm_mode_16_64 3
		.amdhsa_fp16_overflow 0
		.amdhsa_memory_ordered 1
		.amdhsa_forward_progress 1
		.amdhsa_inst_pref_size 0
		.amdhsa_round_robin_scheduling 0
		.amdhsa_exception_fp_ieee_invalid_op 0
		.amdhsa_exception_fp_denorm_src 0
		.amdhsa_exception_fp_ieee_div_zero 0
		.amdhsa_exception_fp_ieee_overflow 0
		.amdhsa_exception_fp_ieee_underflow 0
		.amdhsa_exception_fp_ieee_inexact 0
		.amdhsa_exception_int_div_zero 0
	.end_amdhsa_kernel
	.section	.text._ZN7rocprim17ROCPRIM_400000_NS6detail17trampoline_kernelINS0_14default_configENS1_38merge_sort_block_merge_config_selectorIlNS0_10empty_typeEEEZZNS1_27merge_sort_block_merge_implIS3_PlPS5_mZN2at6native12_GLOBAL__N_124unique_dim_cuda_templateIfEESt5tupleIJNSA_6TensorESF_SF_EERKSF_lbbbEUlllE_EE10hipError_tT0_T1_T2_jT3_P12ihipStream_tbPNSt15iterator_traitsISL_E10value_typeEPNSR_ISM_E10value_typeEPSN_NS1_7vsmem_tEENKUlT_SL_SM_SN_E_clIS8_S8_S9_S9_EESK_S10_SL_SM_SN_EUlS10_E0_NS1_11comp_targetILNS1_3genE3ELNS1_11target_archE908ELNS1_3gpuE7ELNS1_3repE0EEENS1_38merge_mergepath_config_static_selectorELNS0_4arch9wavefront6targetE0EEEvSM_,"axG",@progbits,_ZN7rocprim17ROCPRIM_400000_NS6detail17trampoline_kernelINS0_14default_configENS1_38merge_sort_block_merge_config_selectorIlNS0_10empty_typeEEEZZNS1_27merge_sort_block_merge_implIS3_PlPS5_mZN2at6native12_GLOBAL__N_124unique_dim_cuda_templateIfEESt5tupleIJNSA_6TensorESF_SF_EERKSF_lbbbEUlllE_EE10hipError_tT0_T1_T2_jT3_P12ihipStream_tbPNSt15iterator_traitsISL_E10value_typeEPNSR_ISM_E10value_typeEPSN_NS1_7vsmem_tEENKUlT_SL_SM_SN_E_clIS8_S8_S9_S9_EESK_S10_SL_SM_SN_EUlS10_E0_NS1_11comp_targetILNS1_3genE3ELNS1_11target_archE908ELNS1_3gpuE7ELNS1_3repE0EEENS1_38merge_mergepath_config_static_selectorELNS0_4arch9wavefront6targetE0EEEvSM_,comdat
.Lfunc_end892:
	.size	_ZN7rocprim17ROCPRIM_400000_NS6detail17trampoline_kernelINS0_14default_configENS1_38merge_sort_block_merge_config_selectorIlNS0_10empty_typeEEEZZNS1_27merge_sort_block_merge_implIS3_PlPS5_mZN2at6native12_GLOBAL__N_124unique_dim_cuda_templateIfEESt5tupleIJNSA_6TensorESF_SF_EERKSF_lbbbEUlllE_EE10hipError_tT0_T1_T2_jT3_P12ihipStream_tbPNSt15iterator_traitsISL_E10value_typeEPNSR_ISM_E10value_typeEPSN_NS1_7vsmem_tEENKUlT_SL_SM_SN_E_clIS8_S8_S9_S9_EESK_S10_SL_SM_SN_EUlS10_E0_NS1_11comp_targetILNS1_3genE3ELNS1_11target_archE908ELNS1_3gpuE7ELNS1_3repE0EEENS1_38merge_mergepath_config_static_selectorELNS0_4arch9wavefront6targetE0EEEvSM_, .Lfunc_end892-_ZN7rocprim17ROCPRIM_400000_NS6detail17trampoline_kernelINS0_14default_configENS1_38merge_sort_block_merge_config_selectorIlNS0_10empty_typeEEEZZNS1_27merge_sort_block_merge_implIS3_PlPS5_mZN2at6native12_GLOBAL__N_124unique_dim_cuda_templateIfEESt5tupleIJNSA_6TensorESF_SF_EERKSF_lbbbEUlllE_EE10hipError_tT0_T1_T2_jT3_P12ihipStream_tbPNSt15iterator_traitsISL_E10value_typeEPNSR_ISM_E10value_typeEPSN_NS1_7vsmem_tEENKUlT_SL_SM_SN_E_clIS8_S8_S9_S9_EESK_S10_SL_SM_SN_EUlS10_E0_NS1_11comp_targetILNS1_3genE3ELNS1_11target_archE908ELNS1_3gpuE7ELNS1_3repE0EEENS1_38merge_mergepath_config_static_selectorELNS0_4arch9wavefront6targetE0EEEvSM_
                                        ; -- End function
	.set _ZN7rocprim17ROCPRIM_400000_NS6detail17trampoline_kernelINS0_14default_configENS1_38merge_sort_block_merge_config_selectorIlNS0_10empty_typeEEEZZNS1_27merge_sort_block_merge_implIS3_PlPS5_mZN2at6native12_GLOBAL__N_124unique_dim_cuda_templateIfEESt5tupleIJNSA_6TensorESF_SF_EERKSF_lbbbEUlllE_EE10hipError_tT0_T1_T2_jT3_P12ihipStream_tbPNSt15iterator_traitsISL_E10value_typeEPNSR_ISM_E10value_typeEPSN_NS1_7vsmem_tEENKUlT_SL_SM_SN_E_clIS8_S8_S9_S9_EESK_S10_SL_SM_SN_EUlS10_E0_NS1_11comp_targetILNS1_3genE3ELNS1_11target_archE908ELNS1_3gpuE7ELNS1_3repE0EEENS1_38merge_mergepath_config_static_selectorELNS0_4arch9wavefront6targetE0EEEvSM_.num_vgpr, 0
	.set _ZN7rocprim17ROCPRIM_400000_NS6detail17trampoline_kernelINS0_14default_configENS1_38merge_sort_block_merge_config_selectorIlNS0_10empty_typeEEEZZNS1_27merge_sort_block_merge_implIS3_PlPS5_mZN2at6native12_GLOBAL__N_124unique_dim_cuda_templateIfEESt5tupleIJNSA_6TensorESF_SF_EERKSF_lbbbEUlllE_EE10hipError_tT0_T1_T2_jT3_P12ihipStream_tbPNSt15iterator_traitsISL_E10value_typeEPNSR_ISM_E10value_typeEPSN_NS1_7vsmem_tEENKUlT_SL_SM_SN_E_clIS8_S8_S9_S9_EESK_S10_SL_SM_SN_EUlS10_E0_NS1_11comp_targetILNS1_3genE3ELNS1_11target_archE908ELNS1_3gpuE7ELNS1_3repE0EEENS1_38merge_mergepath_config_static_selectorELNS0_4arch9wavefront6targetE0EEEvSM_.num_agpr, 0
	.set _ZN7rocprim17ROCPRIM_400000_NS6detail17trampoline_kernelINS0_14default_configENS1_38merge_sort_block_merge_config_selectorIlNS0_10empty_typeEEEZZNS1_27merge_sort_block_merge_implIS3_PlPS5_mZN2at6native12_GLOBAL__N_124unique_dim_cuda_templateIfEESt5tupleIJNSA_6TensorESF_SF_EERKSF_lbbbEUlllE_EE10hipError_tT0_T1_T2_jT3_P12ihipStream_tbPNSt15iterator_traitsISL_E10value_typeEPNSR_ISM_E10value_typeEPSN_NS1_7vsmem_tEENKUlT_SL_SM_SN_E_clIS8_S8_S9_S9_EESK_S10_SL_SM_SN_EUlS10_E0_NS1_11comp_targetILNS1_3genE3ELNS1_11target_archE908ELNS1_3gpuE7ELNS1_3repE0EEENS1_38merge_mergepath_config_static_selectorELNS0_4arch9wavefront6targetE0EEEvSM_.numbered_sgpr, 0
	.set _ZN7rocprim17ROCPRIM_400000_NS6detail17trampoline_kernelINS0_14default_configENS1_38merge_sort_block_merge_config_selectorIlNS0_10empty_typeEEEZZNS1_27merge_sort_block_merge_implIS3_PlPS5_mZN2at6native12_GLOBAL__N_124unique_dim_cuda_templateIfEESt5tupleIJNSA_6TensorESF_SF_EERKSF_lbbbEUlllE_EE10hipError_tT0_T1_T2_jT3_P12ihipStream_tbPNSt15iterator_traitsISL_E10value_typeEPNSR_ISM_E10value_typeEPSN_NS1_7vsmem_tEENKUlT_SL_SM_SN_E_clIS8_S8_S9_S9_EESK_S10_SL_SM_SN_EUlS10_E0_NS1_11comp_targetILNS1_3genE3ELNS1_11target_archE908ELNS1_3gpuE7ELNS1_3repE0EEENS1_38merge_mergepath_config_static_selectorELNS0_4arch9wavefront6targetE0EEEvSM_.num_named_barrier, 0
	.set _ZN7rocprim17ROCPRIM_400000_NS6detail17trampoline_kernelINS0_14default_configENS1_38merge_sort_block_merge_config_selectorIlNS0_10empty_typeEEEZZNS1_27merge_sort_block_merge_implIS3_PlPS5_mZN2at6native12_GLOBAL__N_124unique_dim_cuda_templateIfEESt5tupleIJNSA_6TensorESF_SF_EERKSF_lbbbEUlllE_EE10hipError_tT0_T1_T2_jT3_P12ihipStream_tbPNSt15iterator_traitsISL_E10value_typeEPNSR_ISM_E10value_typeEPSN_NS1_7vsmem_tEENKUlT_SL_SM_SN_E_clIS8_S8_S9_S9_EESK_S10_SL_SM_SN_EUlS10_E0_NS1_11comp_targetILNS1_3genE3ELNS1_11target_archE908ELNS1_3gpuE7ELNS1_3repE0EEENS1_38merge_mergepath_config_static_selectorELNS0_4arch9wavefront6targetE0EEEvSM_.private_seg_size, 0
	.set _ZN7rocprim17ROCPRIM_400000_NS6detail17trampoline_kernelINS0_14default_configENS1_38merge_sort_block_merge_config_selectorIlNS0_10empty_typeEEEZZNS1_27merge_sort_block_merge_implIS3_PlPS5_mZN2at6native12_GLOBAL__N_124unique_dim_cuda_templateIfEESt5tupleIJNSA_6TensorESF_SF_EERKSF_lbbbEUlllE_EE10hipError_tT0_T1_T2_jT3_P12ihipStream_tbPNSt15iterator_traitsISL_E10value_typeEPNSR_ISM_E10value_typeEPSN_NS1_7vsmem_tEENKUlT_SL_SM_SN_E_clIS8_S8_S9_S9_EESK_S10_SL_SM_SN_EUlS10_E0_NS1_11comp_targetILNS1_3genE3ELNS1_11target_archE908ELNS1_3gpuE7ELNS1_3repE0EEENS1_38merge_mergepath_config_static_selectorELNS0_4arch9wavefront6targetE0EEEvSM_.uses_vcc, 0
	.set _ZN7rocprim17ROCPRIM_400000_NS6detail17trampoline_kernelINS0_14default_configENS1_38merge_sort_block_merge_config_selectorIlNS0_10empty_typeEEEZZNS1_27merge_sort_block_merge_implIS3_PlPS5_mZN2at6native12_GLOBAL__N_124unique_dim_cuda_templateIfEESt5tupleIJNSA_6TensorESF_SF_EERKSF_lbbbEUlllE_EE10hipError_tT0_T1_T2_jT3_P12ihipStream_tbPNSt15iterator_traitsISL_E10value_typeEPNSR_ISM_E10value_typeEPSN_NS1_7vsmem_tEENKUlT_SL_SM_SN_E_clIS8_S8_S9_S9_EESK_S10_SL_SM_SN_EUlS10_E0_NS1_11comp_targetILNS1_3genE3ELNS1_11target_archE908ELNS1_3gpuE7ELNS1_3repE0EEENS1_38merge_mergepath_config_static_selectorELNS0_4arch9wavefront6targetE0EEEvSM_.uses_flat_scratch, 0
	.set _ZN7rocprim17ROCPRIM_400000_NS6detail17trampoline_kernelINS0_14default_configENS1_38merge_sort_block_merge_config_selectorIlNS0_10empty_typeEEEZZNS1_27merge_sort_block_merge_implIS3_PlPS5_mZN2at6native12_GLOBAL__N_124unique_dim_cuda_templateIfEESt5tupleIJNSA_6TensorESF_SF_EERKSF_lbbbEUlllE_EE10hipError_tT0_T1_T2_jT3_P12ihipStream_tbPNSt15iterator_traitsISL_E10value_typeEPNSR_ISM_E10value_typeEPSN_NS1_7vsmem_tEENKUlT_SL_SM_SN_E_clIS8_S8_S9_S9_EESK_S10_SL_SM_SN_EUlS10_E0_NS1_11comp_targetILNS1_3genE3ELNS1_11target_archE908ELNS1_3gpuE7ELNS1_3repE0EEENS1_38merge_mergepath_config_static_selectorELNS0_4arch9wavefront6targetE0EEEvSM_.has_dyn_sized_stack, 0
	.set _ZN7rocprim17ROCPRIM_400000_NS6detail17trampoline_kernelINS0_14default_configENS1_38merge_sort_block_merge_config_selectorIlNS0_10empty_typeEEEZZNS1_27merge_sort_block_merge_implIS3_PlPS5_mZN2at6native12_GLOBAL__N_124unique_dim_cuda_templateIfEESt5tupleIJNSA_6TensorESF_SF_EERKSF_lbbbEUlllE_EE10hipError_tT0_T1_T2_jT3_P12ihipStream_tbPNSt15iterator_traitsISL_E10value_typeEPNSR_ISM_E10value_typeEPSN_NS1_7vsmem_tEENKUlT_SL_SM_SN_E_clIS8_S8_S9_S9_EESK_S10_SL_SM_SN_EUlS10_E0_NS1_11comp_targetILNS1_3genE3ELNS1_11target_archE908ELNS1_3gpuE7ELNS1_3repE0EEENS1_38merge_mergepath_config_static_selectorELNS0_4arch9wavefront6targetE0EEEvSM_.has_recursion, 0
	.set _ZN7rocprim17ROCPRIM_400000_NS6detail17trampoline_kernelINS0_14default_configENS1_38merge_sort_block_merge_config_selectorIlNS0_10empty_typeEEEZZNS1_27merge_sort_block_merge_implIS3_PlPS5_mZN2at6native12_GLOBAL__N_124unique_dim_cuda_templateIfEESt5tupleIJNSA_6TensorESF_SF_EERKSF_lbbbEUlllE_EE10hipError_tT0_T1_T2_jT3_P12ihipStream_tbPNSt15iterator_traitsISL_E10value_typeEPNSR_ISM_E10value_typeEPSN_NS1_7vsmem_tEENKUlT_SL_SM_SN_E_clIS8_S8_S9_S9_EESK_S10_SL_SM_SN_EUlS10_E0_NS1_11comp_targetILNS1_3genE3ELNS1_11target_archE908ELNS1_3gpuE7ELNS1_3repE0EEENS1_38merge_mergepath_config_static_selectorELNS0_4arch9wavefront6targetE0EEEvSM_.has_indirect_call, 0
	.section	.AMDGPU.csdata,"",@progbits
; Kernel info:
; codeLenInByte = 0
; TotalNumSgprs: 0
; NumVgprs: 0
; ScratchSize: 0
; MemoryBound: 0
; FloatMode: 240
; IeeeMode: 1
; LDSByteSize: 0 bytes/workgroup (compile time only)
; SGPRBlocks: 0
; VGPRBlocks: 0
; NumSGPRsForWavesPerEU: 1
; NumVGPRsForWavesPerEU: 1
; NamedBarCnt: 0
; Occupancy: 16
; WaveLimiterHint : 0
; COMPUTE_PGM_RSRC2:SCRATCH_EN: 0
; COMPUTE_PGM_RSRC2:USER_SGPR: 2
; COMPUTE_PGM_RSRC2:TRAP_HANDLER: 0
; COMPUTE_PGM_RSRC2:TGID_X_EN: 1
; COMPUTE_PGM_RSRC2:TGID_Y_EN: 0
; COMPUTE_PGM_RSRC2:TGID_Z_EN: 0
; COMPUTE_PGM_RSRC2:TIDIG_COMP_CNT: 0
	.section	.text._ZN7rocprim17ROCPRIM_400000_NS6detail17trampoline_kernelINS0_14default_configENS1_38merge_sort_block_merge_config_selectorIlNS0_10empty_typeEEEZZNS1_27merge_sort_block_merge_implIS3_PlPS5_mZN2at6native12_GLOBAL__N_124unique_dim_cuda_templateIfEESt5tupleIJNSA_6TensorESF_SF_EERKSF_lbbbEUlllE_EE10hipError_tT0_T1_T2_jT3_P12ihipStream_tbPNSt15iterator_traitsISL_E10value_typeEPNSR_ISM_E10value_typeEPSN_NS1_7vsmem_tEENKUlT_SL_SM_SN_E_clIS8_S8_S9_S9_EESK_S10_SL_SM_SN_EUlS10_E0_NS1_11comp_targetILNS1_3genE2ELNS1_11target_archE906ELNS1_3gpuE6ELNS1_3repE0EEENS1_38merge_mergepath_config_static_selectorELNS0_4arch9wavefront6targetE0EEEvSM_,"axG",@progbits,_ZN7rocprim17ROCPRIM_400000_NS6detail17trampoline_kernelINS0_14default_configENS1_38merge_sort_block_merge_config_selectorIlNS0_10empty_typeEEEZZNS1_27merge_sort_block_merge_implIS3_PlPS5_mZN2at6native12_GLOBAL__N_124unique_dim_cuda_templateIfEESt5tupleIJNSA_6TensorESF_SF_EERKSF_lbbbEUlllE_EE10hipError_tT0_T1_T2_jT3_P12ihipStream_tbPNSt15iterator_traitsISL_E10value_typeEPNSR_ISM_E10value_typeEPSN_NS1_7vsmem_tEENKUlT_SL_SM_SN_E_clIS8_S8_S9_S9_EESK_S10_SL_SM_SN_EUlS10_E0_NS1_11comp_targetILNS1_3genE2ELNS1_11target_archE906ELNS1_3gpuE6ELNS1_3repE0EEENS1_38merge_mergepath_config_static_selectorELNS0_4arch9wavefront6targetE0EEEvSM_,comdat
	.globl	_ZN7rocprim17ROCPRIM_400000_NS6detail17trampoline_kernelINS0_14default_configENS1_38merge_sort_block_merge_config_selectorIlNS0_10empty_typeEEEZZNS1_27merge_sort_block_merge_implIS3_PlPS5_mZN2at6native12_GLOBAL__N_124unique_dim_cuda_templateIfEESt5tupleIJNSA_6TensorESF_SF_EERKSF_lbbbEUlllE_EE10hipError_tT0_T1_T2_jT3_P12ihipStream_tbPNSt15iterator_traitsISL_E10value_typeEPNSR_ISM_E10value_typeEPSN_NS1_7vsmem_tEENKUlT_SL_SM_SN_E_clIS8_S8_S9_S9_EESK_S10_SL_SM_SN_EUlS10_E0_NS1_11comp_targetILNS1_3genE2ELNS1_11target_archE906ELNS1_3gpuE6ELNS1_3repE0EEENS1_38merge_mergepath_config_static_selectorELNS0_4arch9wavefront6targetE0EEEvSM_ ; -- Begin function _ZN7rocprim17ROCPRIM_400000_NS6detail17trampoline_kernelINS0_14default_configENS1_38merge_sort_block_merge_config_selectorIlNS0_10empty_typeEEEZZNS1_27merge_sort_block_merge_implIS3_PlPS5_mZN2at6native12_GLOBAL__N_124unique_dim_cuda_templateIfEESt5tupleIJNSA_6TensorESF_SF_EERKSF_lbbbEUlllE_EE10hipError_tT0_T1_T2_jT3_P12ihipStream_tbPNSt15iterator_traitsISL_E10value_typeEPNSR_ISM_E10value_typeEPSN_NS1_7vsmem_tEENKUlT_SL_SM_SN_E_clIS8_S8_S9_S9_EESK_S10_SL_SM_SN_EUlS10_E0_NS1_11comp_targetILNS1_3genE2ELNS1_11target_archE906ELNS1_3gpuE6ELNS1_3repE0EEENS1_38merge_mergepath_config_static_selectorELNS0_4arch9wavefront6targetE0EEEvSM_
	.p2align	8
	.type	_ZN7rocprim17ROCPRIM_400000_NS6detail17trampoline_kernelINS0_14default_configENS1_38merge_sort_block_merge_config_selectorIlNS0_10empty_typeEEEZZNS1_27merge_sort_block_merge_implIS3_PlPS5_mZN2at6native12_GLOBAL__N_124unique_dim_cuda_templateIfEESt5tupleIJNSA_6TensorESF_SF_EERKSF_lbbbEUlllE_EE10hipError_tT0_T1_T2_jT3_P12ihipStream_tbPNSt15iterator_traitsISL_E10value_typeEPNSR_ISM_E10value_typeEPSN_NS1_7vsmem_tEENKUlT_SL_SM_SN_E_clIS8_S8_S9_S9_EESK_S10_SL_SM_SN_EUlS10_E0_NS1_11comp_targetILNS1_3genE2ELNS1_11target_archE906ELNS1_3gpuE6ELNS1_3repE0EEENS1_38merge_mergepath_config_static_selectorELNS0_4arch9wavefront6targetE0EEEvSM_,@function
_ZN7rocprim17ROCPRIM_400000_NS6detail17trampoline_kernelINS0_14default_configENS1_38merge_sort_block_merge_config_selectorIlNS0_10empty_typeEEEZZNS1_27merge_sort_block_merge_implIS3_PlPS5_mZN2at6native12_GLOBAL__N_124unique_dim_cuda_templateIfEESt5tupleIJNSA_6TensorESF_SF_EERKSF_lbbbEUlllE_EE10hipError_tT0_T1_T2_jT3_P12ihipStream_tbPNSt15iterator_traitsISL_E10value_typeEPNSR_ISM_E10value_typeEPSN_NS1_7vsmem_tEENKUlT_SL_SM_SN_E_clIS8_S8_S9_S9_EESK_S10_SL_SM_SN_EUlS10_E0_NS1_11comp_targetILNS1_3genE2ELNS1_11target_archE906ELNS1_3gpuE6ELNS1_3repE0EEENS1_38merge_mergepath_config_static_selectorELNS0_4arch9wavefront6targetE0EEEvSM_: ; @_ZN7rocprim17ROCPRIM_400000_NS6detail17trampoline_kernelINS0_14default_configENS1_38merge_sort_block_merge_config_selectorIlNS0_10empty_typeEEEZZNS1_27merge_sort_block_merge_implIS3_PlPS5_mZN2at6native12_GLOBAL__N_124unique_dim_cuda_templateIfEESt5tupleIJNSA_6TensorESF_SF_EERKSF_lbbbEUlllE_EE10hipError_tT0_T1_T2_jT3_P12ihipStream_tbPNSt15iterator_traitsISL_E10value_typeEPNSR_ISM_E10value_typeEPSN_NS1_7vsmem_tEENKUlT_SL_SM_SN_E_clIS8_S8_S9_S9_EESK_S10_SL_SM_SN_EUlS10_E0_NS1_11comp_targetILNS1_3genE2ELNS1_11target_archE906ELNS1_3gpuE6ELNS1_3repE0EEENS1_38merge_mergepath_config_static_selectorELNS0_4arch9wavefront6targetE0EEEvSM_
; %bb.0:
	.section	.rodata,"a",@progbits
	.p2align	6, 0x0
	.amdhsa_kernel _ZN7rocprim17ROCPRIM_400000_NS6detail17trampoline_kernelINS0_14default_configENS1_38merge_sort_block_merge_config_selectorIlNS0_10empty_typeEEEZZNS1_27merge_sort_block_merge_implIS3_PlPS5_mZN2at6native12_GLOBAL__N_124unique_dim_cuda_templateIfEESt5tupleIJNSA_6TensorESF_SF_EERKSF_lbbbEUlllE_EE10hipError_tT0_T1_T2_jT3_P12ihipStream_tbPNSt15iterator_traitsISL_E10value_typeEPNSR_ISM_E10value_typeEPSN_NS1_7vsmem_tEENKUlT_SL_SM_SN_E_clIS8_S8_S9_S9_EESK_S10_SL_SM_SN_EUlS10_E0_NS1_11comp_targetILNS1_3genE2ELNS1_11target_archE906ELNS1_3gpuE6ELNS1_3repE0EEENS1_38merge_mergepath_config_static_selectorELNS0_4arch9wavefront6targetE0EEEvSM_
		.amdhsa_group_segment_fixed_size 0
		.amdhsa_private_segment_fixed_size 0
		.amdhsa_kernarg_size 88
		.amdhsa_user_sgpr_count 2
		.amdhsa_user_sgpr_dispatch_ptr 0
		.amdhsa_user_sgpr_queue_ptr 0
		.amdhsa_user_sgpr_kernarg_segment_ptr 1
		.amdhsa_user_sgpr_dispatch_id 0
		.amdhsa_user_sgpr_kernarg_preload_length 0
		.amdhsa_user_sgpr_kernarg_preload_offset 0
		.amdhsa_user_sgpr_private_segment_size 0
		.amdhsa_wavefront_size32 1
		.amdhsa_uses_dynamic_stack 0
		.amdhsa_enable_private_segment 0
		.amdhsa_system_sgpr_workgroup_id_x 1
		.amdhsa_system_sgpr_workgroup_id_y 0
		.amdhsa_system_sgpr_workgroup_id_z 0
		.amdhsa_system_sgpr_workgroup_info 0
		.amdhsa_system_vgpr_workitem_id 0
		.amdhsa_next_free_vgpr 1
		.amdhsa_next_free_sgpr 1
		.amdhsa_named_barrier_count 0
		.amdhsa_reserve_vcc 0
		.amdhsa_float_round_mode_32 0
		.amdhsa_float_round_mode_16_64 0
		.amdhsa_float_denorm_mode_32 3
		.amdhsa_float_denorm_mode_16_64 3
		.amdhsa_fp16_overflow 0
		.amdhsa_memory_ordered 1
		.amdhsa_forward_progress 1
		.amdhsa_inst_pref_size 0
		.amdhsa_round_robin_scheduling 0
		.amdhsa_exception_fp_ieee_invalid_op 0
		.amdhsa_exception_fp_denorm_src 0
		.amdhsa_exception_fp_ieee_div_zero 0
		.amdhsa_exception_fp_ieee_overflow 0
		.amdhsa_exception_fp_ieee_underflow 0
		.amdhsa_exception_fp_ieee_inexact 0
		.amdhsa_exception_int_div_zero 0
	.end_amdhsa_kernel
	.section	.text._ZN7rocprim17ROCPRIM_400000_NS6detail17trampoline_kernelINS0_14default_configENS1_38merge_sort_block_merge_config_selectorIlNS0_10empty_typeEEEZZNS1_27merge_sort_block_merge_implIS3_PlPS5_mZN2at6native12_GLOBAL__N_124unique_dim_cuda_templateIfEESt5tupleIJNSA_6TensorESF_SF_EERKSF_lbbbEUlllE_EE10hipError_tT0_T1_T2_jT3_P12ihipStream_tbPNSt15iterator_traitsISL_E10value_typeEPNSR_ISM_E10value_typeEPSN_NS1_7vsmem_tEENKUlT_SL_SM_SN_E_clIS8_S8_S9_S9_EESK_S10_SL_SM_SN_EUlS10_E0_NS1_11comp_targetILNS1_3genE2ELNS1_11target_archE906ELNS1_3gpuE6ELNS1_3repE0EEENS1_38merge_mergepath_config_static_selectorELNS0_4arch9wavefront6targetE0EEEvSM_,"axG",@progbits,_ZN7rocprim17ROCPRIM_400000_NS6detail17trampoline_kernelINS0_14default_configENS1_38merge_sort_block_merge_config_selectorIlNS0_10empty_typeEEEZZNS1_27merge_sort_block_merge_implIS3_PlPS5_mZN2at6native12_GLOBAL__N_124unique_dim_cuda_templateIfEESt5tupleIJNSA_6TensorESF_SF_EERKSF_lbbbEUlllE_EE10hipError_tT0_T1_T2_jT3_P12ihipStream_tbPNSt15iterator_traitsISL_E10value_typeEPNSR_ISM_E10value_typeEPSN_NS1_7vsmem_tEENKUlT_SL_SM_SN_E_clIS8_S8_S9_S9_EESK_S10_SL_SM_SN_EUlS10_E0_NS1_11comp_targetILNS1_3genE2ELNS1_11target_archE906ELNS1_3gpuE6ELNS1_3repE0EEENS1_38merge_mergepath_config_static_selectorELNS0_4arch9wavefront6targetE0EEEvSM_,comdat
.Lfunc_end893:
	.size	_ZN7rocprim17ROCPRIM_400000_NS6detail17trampoline_kernelINS0_14default_configENS1_38merge_sort_block_merge_config_selectorIlNS0_10empty_typeEEEZZNS1_27merge_sort_block_merge_implIS3_PlPS5_mZN2at6native12_GLOBAL__N_124unique_dim_cuda_templateIfEESt5tupleIJNSA_6TensorESF_SF_EERKSF_lbbbEUlllE_EE10hipError_tT0_T1_T2_jT3_P12ihipStream_tbPNSt15iterator_traitsISL_E10value_typeEPNSR_ISM_E10value_typeEPSN_NS1_7vsmem_tEENKUlT_SL_SM_SN_E_clIS8_S8_S9_S9_EESK_S10_SL_SM_SN_EUlS10_E0_NS1_11comp_targetILNS1_3genE2ELNS1_11target_archE906ELNS1_3gpuE6ELNS1_3repE0EEENS1_38merge_mergepath_config_static_selectorELNS0_4arch9wavefront6targetE0EEEvSM_, .Lfunc_end893-_ZN7rocprim17ROCPRIM_400000_NS6detail17trampoline_kernelINS0_14default_configENS1_38merge_sort_block_merge_config_selectorIlNS0_10empty_typeEEEZZNS1_27merge_sort_block_merge_implIS3_PlPS5_mZN2at6native12_GLOBAL__N_124unique_dim_cuda_templateIfEESt5tupleIJNSA_6TensorESF_SF_EERKSF_lbbbEUlllE_EE10hipError_tT0_T1_T2_jT3_P12ihipStream_tbPNSt15iterator_traitsISL_E10value_typeEPNSR_ISM_E10value_typeEPSN_NS1_7vsmem_tEENKUlT_SL_SM_SN_E_clIS8_S8_S9_S9_EESK_S10_SL_SM_SN_EUlS10_E0_NS1_11comp_targetILNS1_3genE2ELNS1_11target_archE906ELNS1_3gpuE6ELNS1_3repE0EEENS1_38merge_mergepath_config_static_selectorELNS0_4arch9wavefront6targetE0EEEvSM_
                                        ; -- End function
	.set _ZN7rocprim17ROCPRIM_400000_NS6detail17trampoline_kernelINS0_14default_configENS1_38merge_sort_block_merge_config_selectorIlNS0_10empty_typeEEEZZNS1_27merge_sort_block_merge_implIS3_PlPS5_mZN2at6native12_GLOBAL__N_124unique_dim_cuda_templateIfEESt5tupleIJNSA_6TensorESF_SF_EERKSF_lbbbEUlllE_EE10hipError_tT0_T1_T2_jT3_P12ihipStream_tbPNSt15iterator_traitsISL_E10value_typeEPNSR_ISM_E10value_typeEPSN_NS1_7vsmem_tEENKUlT_SL_SM_SN_E_clIS8_S8_S9_S9_EESK_S10_SL_SM_SN_EUlS10_E0_NS1_11comp_targetILNS1_3genE2ELNS1_11target_archE906ELNS1_3gpuE6ELNS1_3repE0EEENS1_38merge_mergepath_config_static_selectorELNS0_4arch9wavefront6targetE0EEEvSM_.num_vgpr, 0
	.set _ZN7rocprim17ROCPRIM_400000_NS6detail17trampoline_kernelINS0_14default_configENS1_38merge_sort_block_merge_config_selectorIlNS0_10empty_typeEEEZZNS1_27merge_sort_block_merge_implIS3_PlPS5_mZN2at6native12_GLOBAL__N_124unique_dim_cuda_templateIfEESt5tupleIJNSA_6TensorESF_SF_EERKSF_lbbbEUlllE_EE10hipError_tT0_T1_T2_jT3_P12ihipStream_tbPNSt15iterator_traitsISL_E10value_typeEPNSR_ISM_E10value_typeEPSN_NS1_7vsmem_tEENKUlT_SL_SM_SN_E_clIS8_S8_S9_S9_EESK_S10_SL_SM_SN_EUlS10_E0_NS1_11comp_targetILNS1_3genE2ELNS1_11target_archE906ELNS1_3gpuE6ELNS1_3repE0EEENS1_38merge_mergepath_config_static_selectorELNS0_4arch9wavefront6targetE0EEEvSM_.num_agpr, 0
	.set _ZN7rocprim17ROCPRIM_400000_NS6detail17trampoline_kernelINS0_14default_configENS1_38merge_sort_block_merge_config_selectorIlNS0_10empty_typeEEEZZNS1_27merge_sort_block_merge_implIS3_PlPS5_mZN2at6native12_GLOBAL__N_124unique_dim_cuda_templateIfEESt5tupleIJNSA_6TensorESF_SF_EERKSF_lbbbEUlllE_EE10hipError_tT0_T1_T2_jT3_P12ihipStream_tbPNSt15iterator_traitsISL_E10value_typeEPNSR_ISM_E10value_typeEPSN_NS1_7vsmem_tEENKUlT_SL_SM_SN_E_clIS8_S8_S9_S9_EESK_S10_SL_SM_SN_EUlS10_E0_NS1_11comp_targetILNS1_3genE2ELNS1_11target_archE906ELNS1_3gpuE6ELNS1_3repE0EEENS1_38merge_mergepath_config_static_selectorELNS0_4arch9wavefront6targetE0EEEvSM_.numbered_sgpr, 0
	.set _ZN7rocprim17ROCPRIM_400000_NS6detail17trampoline_kernelINS0_14default_configENS1_38merge_sort_block_merge_config_selectorIlNS0_10empty_typeEEEZZNS1_27merge_sort_block_merge_implIS3_PlPS5_mZN2at6native12_GLOBAL__N_124unique_dim_cuda_templateIfEESt5tupleIJNSA_6TensorESF_SF_EERKSF_lbbbEUlllE_EE10hipError_tT0_T1_T2_jT3_P12ihipStream_tbPNSt15iterator_traitsISL_E10value_typeEPNSR_ISM_E10value_typeEPSN_NS1_7vsmem_tEENKUlT_SL_SM_SN_E_clIS8_S8_S9_S9_EESK_S10_SL_SM_SN_EUlS10_E0_NS1_11comp_targetILNS1_3genE2ELNS1_11target_archE906ELNS1_3gpuE6ELNS1_3repE0EEENS1_38merge_mergepath_config_static_selectorELNS0_4arch9wavefront6targetE0EEEvSM_.num_named_barrier, 0
	.set _ZN7rocprim17ROCPRIM_400000_NS6detail17trampoline_kernelINS0_14default_configENS1_38merge_sort_block_merge_config_selectorIlNS0_10empty_typeEEEZZNS1_27merge_sort_block_merge_implIS3_PlPS5_mZN2at6native12_GLOBAL__N_124unique_dim_cuda_templateIfEESt5tupleIJNSA_6TensorESF_SF_EERKSF_lbbbEUlllE_EE10hipError_tT0_T1_T2_jT3_P12ihipStream_tbPNSt15iterator_traitsISL_E10value_typeEPNSR_ISM_E10value_typeEPSN_NS1_7vsmem_tEENKUlT_SL_SM_SN_E_clIS8_S8_S9_S9_EESK_S10_SL_SM_SN_EUlS10_E0_NS1_11comp_targetILNS1_3genE2ELNS1_11target_archE906ELNS1_3gpuE6ELNS1_3repE0EEENS1_38merge_mergepath_config_static_selectorELNS0_4arch9wavefront6targetE0EEEvSM_.private_seg_size, 0
	.set _ZN7rocprim17ROCPRIM_400000_NS6detail17trampoline_kernelINS0_14default_configENS1_38merge_sort_block_merge_config_selectorIlNS0_10empty_typeEEEZZNS1_27merge_sort_block_merge_implIS3_PlPS5_mZN2at6native12_GLOBAL__N_124unique_dim_cuda_templateIfEESt5tupleIJNSA_6TensorESF_SF_EERKSF_lbbbEUlllE_EE10hipError_tT0_T1_T2_jT3_P12ihipStream_tbPNSt15iterator_traitsISL_E10value_typeEPNSR_ISM_E10value_typeEPSN_NS1_7vsmem_tEENKUlT_SL_SM_SN_E_clIS8_S8_S9_S9_EESK_S10_SL_SM_SN_EUlS10_E0_NS1_11comp_targetILNS1_3genE2ELNS1_11target_archE906ELNS1_3gpuE6ELNS1_3repE0EEENS1_38merge_mergepath_config_static_selectorELNS0_4arch9wavefront6targetE0EEEvSM_.uses_vcc, 0
	.set _ZN7rocprim17ROCPRIM_400000_NS6detail17trampoline_kernelINS0_14default_configENS1_38merge_sort_block_merge_config_selectorIlNS0_10empty_typeEEEZZNS1_27merge_sort_block_merge_implIS3_PlPS5_mZN2at6native12_GLOBAL__N_124unique_dim_cuda_templateIfEESt5tupleIJNSA_6TensorESF_SF_EERKSF_lbbbEUlllE_EE10hipError_tT0_T1_T2_jT3_P12ihipStream_tbPNSt15iterator_traitsISL_E10value_typeEPNSR_ISM_E10value_typeEPSN_NS1_7vsmem_tEENKUlT_SL_SM_SN_E_clIS8_S8_S9_S9_EESK_S10_SL_SM_SN_EUlS10_E0_NS1_11comp_targetILNS1_3genE2ELNS1_11target_archE906ELNS1_3gpuE6ELNS1_3repE0EEENS1_38merge_mergepath_config_static_selectorELNS0_4arch9wavefront6targetE0EEEvSM_.uses_flat_scratch, 0
	.set _ZN7rocprim17ROCPRIM_400000_NS6detail17trampoline_kernelINS0_14default_configENS1_38merge_sort_block_merge_config_selectorIlNS0_10empty_typeEEEZZNS1_27merge_sort_block_merge_implIS3_PlPS5_mZN2at6native12_GLOBAL__N_124unique_dim_cuda_templateIfEESt5tupleIJNSA_6TensorESF_SF_EERKSF_lbbbEUlllE_EE10hipError_tT0_T1_T2_jT3_P12ihipStream_tbPNSt15iterator_traitsISL_E10value_typeEPNSR_ISM_E10value_typeEPSN_NS1_7vsmem_tEENKUlT_SL_SM_SN_E_clIS8_S8_S9_S9_EESK_S10_SL_SM_SN_EUlS10_E0_NS1_11comp_targetILNS1_3genE2ELNS1_11target_archE906ELNS1_3gpuE6ELNS1_3repE0EEENS1_38merge_mergepath_config_static_selectorELNS0_4arch9wavefront6targetE0EEEvSM_.has_dyn_sized_stack, 0
	.set _ZN7rocprim17ROCPRIM_400000_NS6detail17trampoline_kernelINS0_14default_configENS1_38merge_sort_block_merge_config_selectorIlNS0_10empty_typeEEEZZNS1_27merge_sort_block_merge_implIS3_PlPS5_mZN2at6native12_GLOBAL__N_124unique_dim_cuda_templateIfEESt5tupleIJNSA_6TensorESF_SF_EERKSF_lbbbEUlllE_EE10hipError_tT0_T1_T2_jT3_P12ihipStream_tbPNSt15iterator_traitsISL_E10value_typeEPNSR_ISM_E10value_typeEPSN_NS1_7vsmem_tEENKUlT_SL_SM_SN_E_clIS8_S8_S9_S9_EESK_S10_SL_SM_SN_EUlS10_E0_NS1_11comp_targetILNS1_3genE2ELNS1_11target_archE906ELNS1_3gpuE6ELNS1_3repE0EEENS1_38merge_mergepath_config_static_selectorELNS0_4arch9wavefront6targetE0EEEvSM_.has_recursion, 0
	.set _ZN7rocprim17ROCPRIM_400000_NS6detail17trampoline_kernelINS0_14default_configENS1_38merge_sort_block_merge_config_selectorIlNS0_10empty_typeEEEZZNS1_27merge_sort_block_merge_implIS3_PlPS5_mZN2at6native12_GLOBAL__N_124unique_dim_cuda_templateIfEESt5tupleIJNSA_6TensorESF_SF_EERKSF_lbbbEUlllE_EE10hipError_tT0_T1_T2_jT3_P12ihipStream_tbPNSt15iterator_traitsISL_E10value_typeEPNSR_ISM_E10value_typeEPSN_NS1_7vsmem_tEENKUlT_SL_SM_SN_E_clIS8_S8_S9_S9_EESK_S10_SL_SM_SN_EUlS10_E0_NS1_11comp_targetILNS1_3genE2ELNS1_11target_archE906ELNS1_3gpuE6ELNS1_3repE0EEENS1_38merge_mergepath_config_static_selectorELNS0_4arch9wavefront6targetE0EEEvSM_.has_indirect_call, 0
	.section	.AMDGPU.csdata,"",@progbits
; Kernel info:
; codeLenInByte = 0
; TotalNumSgprs: 0
; NumVgprs: 0
; ScratchSize: 0
; MemoryBound: 0
; FloatMode: 240
; IeeeMode: 1
; LDSByteSize: 0 bytes/workgroup (compile time only)
; SGPRBlocks: 0
; VGPRBlocks: 0
; NumSGPRsForWavesPerEU: 1
; NumVGPRsForWavesPerEU: 1
; NamedBarCnt: 0
; Occupancy: 16
; WaveLimiterHint : 0
; COMPUTE_PGM_RSRC2:SCRATCH_EN: 0
; COMPUTE_PGM_RSRC2:USER_SGPR: 2
; COMPUTE_PGM_RSRC2:TRAP_HANDLER: 0
; COMPUTE_PGM_RSRC2:TGID_X_EN: 1
; COMPUTE_PGM_RSRC2:TGID_Y_EN: 0
; COMPUTE_PGM_RSRC2:TGID_Z_EN: 0
; COMPUTE_PGM_RSRC2:TIDIG_COMP_CNT: 0
	.section	.text._ZN7rocprim17ROCPRIM_400000_NS6detail17trampoline_kernelINS0_14default_configENS1_38merge_sort_block_merge_config_selectorIlNS0_10empty_typeEEEZZNS1_27merge_sort_block_merge_implIS3_PlPS5_mZN2at6native12_GLOBAL__N_124unique_dim_cuda_templateIfEESt5tupleIJNSA_6TensorESF_SF_EERKSF_lbbbEUlllE_EE10hipError_tT0_T1_T2_jT3_P12ihipStream_tbPNSt15iterator_traitsISL_E10value_typeEPNSR_ISM_E10value_typeEPSN_NS1_7vsmem_tEENKUlT_SL_SM_SN_E_clIS8_S8_S9_S9_EESK_S10_SL_SM_SN_EUlS10_E0_NS1_11comp_targetILNS1_3genE9ELNS1_11target_archE1100ELNS1_3gpuE3ELNS1_3repE0EEENS1_38merge_mergepath_config_static_selectorELNS0_4arch9wavefront6targetE0EEEvSM_,"axG",@progbits,_ZN7rocprim17ROCPRIM_400000_NS6detail17trampoline_kernelINS0_14default_configENS1_38merge_sort_block_merge_config_selectorIlNS0_10empty_typeEEEZZNS1_27merge_sort_block_merge_implIS3_PlPS5_mZN2at6native12_GLOBAL__N_124unique_dim_cuda_templateIfEESt5tupleIJNSA_6TensorESF_SF_EERKSF_lbbbEUlllE_EE10hipError_tT0_T1_T2_jT3_P12ihipStream_tbPNSt15iterator_traitsISL_E10value_typeEPNSR_ISM_E10value_typeEPSN_NS1_7vsmem_tEENKUlT_SL_SM_SN_E_clIS8_S8_S9_S9_EESK_S10_SL_SM_SN_EUlS10_E0_NS1_11comp_targetILNS1_3genE9ELNS1_11target_archE1100ELNS1_3gpuE3ELNS1_3repE0EEENS1_38merge_mergepath_config_static_selectorELNS0_4arch9wavefront6targetE0EEEvSM_,comdat
	.globl	_ZN7rocprim17ROCPRIM_400000_NS6detail17trampoline_kernelINS0_14default_configENS1_38merge_sort_block_merge_config_selectorIlNS0_10empty_typeEEEZZNS1_27merge_sort_block_merge_implIS3_PlPS5_mZN2at6native12_GLOBAL__N_124unique_dim_cuda_templateIfEESt5tupleIJNSA_6TensorESF_SF_EERKSF_lbbbEUlllE_EE10hipError_tT0_T1_T2_jT3_P12ihipStream_tbPNSt15iterator_traitsISL_E10value_typeEPNSR_ISM_E10value_typeEPSN_NS1_7vsmem_tEENKUlT_SL_SM_SN_E_clIS8_S8_S9_S9_EESK_S10_SL_SM_SN_EUlS10_E0_NS1_11comp_targetILNS1_3genE9ELNS1_11target_archE1100ELNS1_3gpuE3ELNS1_3repE0EEENS1_38merge_mergepath_config_static_selectorELNS0_4arch9wavefront6targetE0EEEvSM_ ; -- Begin function _ZN7rocprim17ROCPRIM_400000_NS6detail17trampoline_kernelINS0_14default_configENS1_38merge_sort_block_merge_config_selectorIlNS0_10empty_typeEEEZZNS1_27merge_sort_block_merge_implIS3_PlPS5_mZN2at6native12_GLOBAL__N_124unique_dim_cuda_templateIfEESt5tupleIJNSA_6TensorESF_SF_EERKSF_lbbbEUlllE_EE10hipError_tT0_T1_T2_jT3_P12ihipStream_tbPNSt15iterator_traitsISL_E10value_typeEPNSR_ISM_E10value_typeEPSN_NS1_7vsmem_tEENKUlT_SL_SM_SN_E_clIS8_S8_S9_S9_EESK_S10_SL_SM_SN_EUlS10_E0_NS1_11comp_targetILNS1_3genE9ELNS1_11target_archE1100ELNS1_3gpuE3ELNS1_3repE0EEENS1_38merge_mergepath_config_static_selectorELNS0_4arch9wavefront6targetE0EEEvSM_
	.p2align	8
	.type	_ZN7rocprim17ROCPRIM_400000_NS6detail17trampoline_kernelINS0_14default_configENS1_38merge_sort_block_merge_config_selectorIlNS0_10empty_typeEEEZZNS1_27merge_sort_block_merge_implIS3_PlPS5_mZN2at6native12_GLOBAL__N_124unique_dim_cuda_templateIfEESt5tupleIJNSA_6TensorESF_SF_EERKSF_lbbbEUlllE_EE10hipError_tT0_T1_T2_jT3_P12ihipStream_tbPNSt15iterator_traitsISL_E10value_typeEPNSR_ISM_E10value_typeEPSN_NS1_7vsmem_tEENKUlT_SL_SM_SN_E_clIS8_S8_S9_S9_EESK_S10_SL_SM_SN_EUlS10_E0_NS1_11comp_targetILNS1_3genE9ELNS1_11target_archE1100ELNS1_3gpuE3ELNS1_3repE0EEENS1_38merge_mergepath_config_static_selectorELNS0_4arch9wavefront6targetE0EEEvSM_,@function
_ZN7rocprim17ROCPRIM_400000_NS6detail17trampoline_kernelINS0_14default_configENS1_38merge_sort_block_merge_config_selectorIlNS0_10empty_typeEEEZZNS1_27merge_sort_block_merge_implIS3_PlPS5_mZN2at6native12_GLOBAL__N_124unique_dim_cuda_templateIfEESt5tupleIJNSA_6TensorESF_SF_EERKSF_lbbbEUlllE_EE10hipError_tT0_T1_T2_jT3_P12ihipStream_tbPNSt15iterator_traitsISL_E10value_typeEPNSR_ISM_E10value_typeEPSN_NS1_7vsmem_tEENKUlT_SL_SM_SN_E_clIS8_S8_S9_S9_EESK_S10_SL_SM_SN_EUlS10_E0_NS1_11comp_targetILNS1_3genE9ELNS1_11target_archE1100ELNS1_3gpuE3ELNS1_3repE0EEENS1_38merge_mergepath_config_static_selectorELNS0_4arch9wavefront6targetE0EEEvSM_: ; @_ZN7rocprim17ROCPRIM_400000_NS6detail17trampoline_kernelINS0_14default_configENS1_38merge_sort_block_merge_config_selectorIlNS0_10empty_typeEEEZZNS1_27merge_sort_block_merge_implIS3_PlPS5_mZN2at6native12_GLOBAL__N_124unique_dim_cuda_templateIfEESt5tupleIJNSA_6TensorESF_SF_EERKSF_lbbbEUlllE_EE10hipError_tT0_T1_T2_jT3_P12ihipStream_tbPNSt15iterator_traitsISL_E10value_typeEPNSR_ISM_E10value_typeEPSN_NS1_7vsmem_tEENKUlT_SL_SM_SN_E_clIS8_S8_S9_S9_EESK_S10_SL_SM_SN_EUlS10_E0_NS1_11comp_targetILNS1_3genE9ELNS1_11target_archE1100ELNS1_3gpuE3ELNS1_3repE0EEENS1_38merge_mergepath_config_static_selectorELNS0_4arch9wavefront6targetE0EEEvSM_
; %bb.0:
	.section	.rodata,"a",@progbits
	.p2align	6, 0x0
	.amdhsa_kernel _ZN7rocprim17ROCPRIM_400000_NS6detail17trampoline_kernelINS0_14default_configENS1_38merge_sort_block_merge_config_selectorIlNS0_10empty_typeEEEZZNS1_27merge_sort_block_merge_implIS3_PlPS5_mZN2at6native12_GLOBAL__N_124unique_dim_cuda_templateIfEESt5tupleIJNSA_6TensorESF_SF_EERKSF_lbbbEUlllE_EE10hipError_tT0_T1_T2_jT3_P12ihipStream_tbPNSt15iterator_traitsISL_E10value_typeEPNSR_ISM_E10value_typeEPSN_NS1_7vsmem_tEENKUlT_SL_SM_SN_E_clIS8_S8_S9_S9_EESK_S10_SL_SM_SN_EUlS10_E0_NS1_11comp_targetILNS1_3genE9ELNS1_11target_archE1100ELNS1_3gpuE3ELNS1_3repE0EEENS1_38merge_mergepath_config_static_selectorELNS0_4arch9wavefront6targetE0EEEvSM_
		.amdhsa_group_segment_fixed_size 0
		.amdhsa_private_segment_fixed_size 0
		.amdhsa_kernarg_size 88
		.amdhsa_user_sgpr_count 2
		.amdhsa_user_sgpr_dispatch_ptr 0
		.amdhsa_user_sgpr_queue_ptr 0
		.amdhsa_user_sgpr_kernarg_segment_ptr 1
		.amdhsa_user_sgpr_dispatch_id 0
		.amdhsa_user_sgpr_kernarg_preload_length 0
		.amdhsa_user_sgpr_kernarg_preload_offset 0
		.amdhsa_user_sgpr_private_segment_size 0
		.amdhsa_wavefront_size32 1
		.amdhsa_uses_dynamic_stack 0
		.amdhsa_enable_private_segment 0
		.amdhsa_system_sgpr_workgroup_id_x 1
		.amdhsa_system_sgpr_workgroup_id_y 0
		.amdhsa_system_sgpr_workgroup_id_z 0
		.amdhsa_system_sgpr_workgroup_info 0
		.amdhsa_system_vgpr_workitem_id 0
		.amdhsa_next_free_vgpr 1
		.amdhsa_next_free_sgpr 1
		.amdhsa_named_barrier_count 0
		.amdhsa_reserve_vcc 0
		.amdhsa_float_round_mode_32 0
		.amdhsa_float_round_mode_16_64 0
		.amdhsa_float_denorm_mode_32 3
		.amdhsa_float_denorm_mode_16_64 3
		.amdhsa_fp16_overflow 0
		.amdhsa_memory_ordered 1
		.amdhsa_forward_progress 1
		.amdhsa_inst_pref_size 0
		.amdhsa_round_robin_scheduling 0
		.amdhsa_exception_fp_ieee_invalid_op 0
		.amdhsa_exception_fp_denorm_src 0
		.amdhsa_exception_fp_ieee_div_zero 0
		.amdhsa_exception_fp_ieee_overflow 0
		.amdhsa_exception_fp_ieee_underflow 0
		.amdhsa_exception_fp_ieee_inexact 0
		.amdhsa_exception_int_div_zero 0
	.end_amdhsa_kernel
	.section	.text._ZN7rocprim17ROCPRIM_400000_NS6detail17trampoline_kernelINS0_14default_configENS1_38merge_sort_block_merge_config_selectorIlNS0_10empty_typeEEEZZNS1_27merge_sort_block_merge_implIS3_PlPS5_mZN2at6native12_GLOBAL__N_124unique_dim_cuda_templateIfEESt5tupleIJNSA_6TensorESF_SF_EERKSF_lbbbEUlllE_EE10hipError_tT0_T1_T2_jT3_P12ihipStream_tbPNSt15iterator_traitsISL_E10value_typeEPNSR_ISM_E10value_typeEPSN_NS1_7vsmem_tEENKUlT_SL_SM_SN_E_clIS8_S8_S9_S9_EESK_S10_SL_SM_SN_EUlS10_E0_NS1_11comp_targetILNS1_3genE9ELNS1_11target_archE1100ELNS1_3gpuE3ELNS1_3repE0EEENS1_38merge_mergepath_config_static_selectorELNS0_4arch9wavefront6targetE0EEEvSM_,"axG",@progbits,_ZN7rocprim17ROCPRIM_400000_NS6detail17trampoline_kernelINS0_14default_configENS1_38merge_sort_block_merge_config_selectorIlNS0_10empty_typeEEEZZNS1_27merge_sort_block_merge_implIS3_PlPS5_mZN2at6native12_GLOBAL__N_124unique_dim_cuda_templateIfEESt5tupleIJNSA_6TensorESF_SF_EERKSF_lbbbEUlllE_EE10hipError_tT0_T1_T2_jT3_P12ihipStream_tbPNSt15iterator_traitsISL_E10value_typeEPNSR_ISM_E10value_typeEPSN_NS1_7vsmem_tEENKUlT_SL_SM_SN_E_clIS8_S8_S9_S9_EESK_S10_SL_SM_SN_EUlS10_E0_NS1_11comp_targetILNS1_3genE9ELNS1_11target_archE1100ELNS1_3gpuE3ELNS1_3repE0EEENS1_38merge_mergepath_config_static_selectorELNS0_4arch9wavefront6targetE0EEEvSM_,comdat
.Lfunc_end894:
	.size	_ZN7rocprim17ROCPRIM_400000_NS6detail17trampoline_kernelINS0_14default_configENS1_38merge_sort_block_merge_config_selectorIlNS0_10empty_typeEEEZZNS1_27merge_sort_block_merge_implIS3_PlPS5_mZN2at6native12_GLOBAL__N_124unique_dim_cuda_templateIfEESt5tupleIJNSA_6TensorESF_SF_EERKSF_lbbbEUlllE_EE10hipError_tT0_T1_T2_jT3_P12ihipStream_tbPNSt15iterator_traitsISL_E10value_typeEPNSR_ISM_E10value_typeEPSN_NS1_7vsmem_tEENKUlT_SL_SM_SN_E_clIS8_S8_S9_S9_EESK_S10_SL_SM_SN_EUlS10_E0_NS1_11comp_targetILNS1_3genE9ELNS1_11target_archE1100ELNS1_3gpuE3ELNS1_3repE0EEENS1_38merge_mergepath_config_static_selectorELNS0_4arch9wavefront6targetE0EEEvSM_, .Lfunc_end894-_ZN7rocprim17ROCPRIM_400000_NS6detail17trampoline_kernelINS0_14default_configENS1_38merge_sort_block_merge_config_selectorIlNS0_10empty_typeEEEZZNS1_27merge_sort_block_merge_implIS3_PlPS5_mZN2at6native12_GLOBAL__N_124unique_dim_cuda_templateIfEESt5tupleIJNSA_6TensorESF_SF_EERKSF_lbbbEUlllE_EE10hipError_tT0_T1_T2_jT3_P12ihipStream_tbPNSt15iterator_traitsISL_E10value_typeEPNSR_ISM_E10value_typeEPSN_NS1_7vsmem_tEENKUlT_SL_SM_SN_E_clIS8_S8_S9_S9_EESK_S10_SL_SM_SN_EUlS10_E0_NS1_11comp_targetILNS1_3genE9ELNS1_11target_archE1100ELNS1_3gpuE3ELNS1_3repE0EEENS1_38merge_mergepath_config_static_selectorELNS0_4arch9wavefront6targetE0EEEvSM_
                                        ; -- End function
	.set _ZN7rocprim17ROCPRIM_400000_NS6detail17trampoline_kernelINS0_14default_configENS1_38merge_sort_block_merge_config_selectorIlNS0_10empty_typeEEEZZNS1_27merge_sort_block_merge_implIS3_PlPS5_mZN2at6native12_GLOBAL__N_124unique_dim_cuda_templateIfEESt5tupleIJNSA_6TensorESF_SF_EERKSF_lbbbEUlllE_EE10hipError_tT0_T1_T2_jT3_P12ihipStream_tbPNSt15iterator_traitsISL_E10value_typeEPNSR_ISM_E10value_typeEPSN_NS1_7vsmem_tEENKUlT_SL_SM_SN_E_clIS8_S8_S9_S9_EESK_S10_SL_SM_SN_EUlS10_E0_NS1_11comp_targetILNS1_3genE9ELNS1_11target_archE1100ELNS1_3gpuE3ELNS1_3repE0EEENS1_38merge_mergepath_config_static_selectorELNS0_4arch9wavefront6targetE0EEEvSM_.num_vgpr, 0
	.set _ZN7rocprim17ROCPRIM_400000_NS6detail17trampoline_kernelINS0_14default_configENS1_38merge_sort_block_merge_config_selectorIlNS0_10empty_typeEEEZZNS1_27merge_sort_block_merge_implIS3_PlPS5_mZN2at6native12_GLOBAL__N_124unique_dim_cuda_templateIfEESt5tupleIJNSA_6TensorESF_SF_EERKSF_lbbbEUlllE_EE10hipError_tT0_T1_T2_jT3_P12ihipStream_tbPNSt15iterator_traitsISL_E10value_typeEPNSR_ISM_E10value_typeEPSN_NS1_7vsmem_tEENKUlT_SL_SM_SN_E_clIS8_S8_S9_S9_EESK_S10_SL_SM_SN_EUlS10_E0_NS1_11comp_targetILNS1_3genE9ELNS1_11target_archE1100ELNS1_3gpuE3ELNS1_3repE0EEENS1_38merge_mergepath_config_static_selectorELNS0_4arch9wavefront6targetE0EEEvSM_.num_agpr, 0
	.set _ZN7rocprim17ROCPRIM_400000_NS6detail17trampoline_kernelINS0_14default_configENS1_38merge_sort_block_merge_config_selectorIlNS0_10empty_typeEEEZZNS1_27merge_sort_block_merge_implIS3_PlPS5_mZN2at6native12_GLOBAL__N_124unique_dim_cuda_templateIfEESt5tupleIJNSA_6TensorESF_SF_EERKSF_lbbbEUlllE_EE10hipError_tT0_T1_T2_jT3_P12ihipStream_tbPNSt15iterator_traitsISL_E10value_typeEPNSR_ISM_E10value_typeEPSN_NS1_7vsmem_tEENKUlT_SL_SM_SN_E_clIS8_S8_S9_S9_EESK_S10_SL_SM_SN_EUlS10_E0_NS1_11comp_targetILNS1_3genE9ELNS1_11target_archE1100ELNS1_3gpuE3ELNS1_3repE0EEENS1_38merge_mergepath_config_static_selectorELNS0_4arch9wavefront6targetE0EEEvSM_.numbered_sgpr, 0
	.set _ZN7rocprim17ROCPRIM_400000_NS6detail17trampoline_kernelINS0_14default_configENS1_38merge_sort_block_merge_config_selectorIlNS0_10empty_typeEEEZZNS1_27merge_sort_block_merge_implIS3_PlPS5_mZN2at6native12_GLOBAL__N_124unique_dim_cuda_templateIfEESt5tupleIJNSA_6TensorESF_SF_EERKSF_lbbbEUlllE_EE10hipError_tT0_T1_T2_jT3_P12ihipStream_tbPNSt15iterator_traitsISL_E10value_typeEPNSR_ISM_E10value_typeEPSN_NS1_7vsmem_tEENKUlT_SL_SM_SN_E_clIS8_S8_S9_S9_EESK_S10_SL_SM_SN_EUlS10_E0_NS1_11comp_targetILNS1_3genE9ELNS1_11target_archE1100ELNS1_3gpuE3ELNS1_3repE0EEENS1_38merge_mergepath_config_static_selectorELNS0_4arch9wavefront6targetE0EEEvSM_.num_named_barrier, 0
	.set _ZN7rocprim17ROCPRIM_400000_NS6detail17trampoline_kernelINS0_14default_configENS1_38merge_sort_block_merge_config_selectorIlNS0_10empty_typeEEEZZNS1_27merge_sort_block_merge_implIS3_PlPS5_mZN2at6native12_GLOBAL__N_124unique_dim_cuda_templateIfEESt5tupleIJNSA_6TensorESF_SF_EERKSF_lbbbEUlllE_EE10hipError_tT0_T1_T2_jT3_P12ihipStream_tbPNSt15iterator_traitsISL_E10value_typeEPNSR_ISM_E10value_typeEPSN_NS1_7vsmem_tEENKUlT_SL_SM_SN_E_clIS8_S8_S9_S9_EESK_S10_SL_SM_SN_EUlS10_E0_NS1_11comp_targetILNS1_3genE9ELNS1_11target_archE1100ELNS1_3gpuE3ELNS1_3repE0EEENS1_38merge_mergepath_config_static_selectorELNS0_4arch9wavefront6targetE0EEEvSM_.private_seg_size, 0
	.set _ZN7rocprim17ROCPRIM_400000_NS6detail17trampoline_kernelINS0_14default_configENS1_38merge_sort_block_merge_config_selectorIlNS0_10empty_typeEEEZZNS1_27merge_sort_block_merge_implIS3_PlPS5_mZN2at6native12_GLOBAL__N_124unique_dim_cuda_templateIfEESt5tupleIJNSA_6TensorESF_SF_EERKSF_lbbbEUlllE_EE10hipError_tT0_T1_T2_jT3_P12ihipStream_tbPNSt15iterator_traitsISL_E10value_typeEPNSR_ISM_E10value_typeEPSN_NS1_7vsmem_tEENKUlT_SL_SM_SN_E_clIS8_S8_S9_S9_EESK_S10_SL_SM_SN_EUlS10_E0_NS1_11comp_targetILNS1_3genE9ELNS1_11target_archE1100ELNS1_3gpuE3ELNS1_3repE0EEENS1_38merge_mergepath_config_static_selectorELNS0_4arch9wavefront6targetE0EEEvSM_.uses_vcc, 0
	.set _ZN7rocprim17ROCPRIM_400000_NS6detail17trampoline_kernelINS0_14default_configENS1_38merge_sort_block_merge_config_selectorIlNS0_10empty_typeEEEZZNS1_27merge_sort_block_merge_implIS3_PlPS5_mZN2at6native12_GLOBAL__N_124unique_dim_cuda_templateIfEESt5tupleIJNSA_6TensorESF_SF_EERKSF_lbbbEUlllE_EE10hipError_tT0_T1_T2_jT3_P12ihipStream_tbPNSt15iterator_traitsISL_E10value_typeEPNSR_ISM_E10value_typeEPSN_NS1_7vsmem_tEENKUlT_SL_SM_SN_E_clIS8_S8_S9_S9_EESK_S10_SL_SM_SN_EUlS10_E0_NS1_11comp_targetILNS1_3genE9ELNS1_11target_archE1100ELNS1_3gpuE3ELNS1_3repE0EEENS1_38merge_mergepath_config_static_selectorELNS0_4arch9wavefront6targetE0EEEvSM_.uses_flat_scratch, 0
	.set _ZN7rocprim17ROCPRIM_400000_NS6detail17trampoline_kernelINS0_14default_configENS1_38merge_sort_block_merge_config_selectorIlNS0_10empty_typeEEEZZNS1_27merge_sort_block_merge_implIS3_PlPS5_mZN2at6native12_GLOBAL__N_124unique_dim_cuda_templateIfEESt5tupleIJNSA_6TensorESF_SF_EERKSF_lbbbEUlllE_EE10hipError_tT0_T1_T2_jT3_P12ihipStream_tbPNSt15iterator_traitsISL_E10value_typeEPNSR_ISM_E10value_typeEPSN_NS1_7vsmem_tEENKUlT_SL_SM_SN_E_clIS8_S8_S9_S9_EESK_S10_SL_SM_SN_EUlS10_E0_NS1_11comp_targetILNS1_3genE9ELNS1_11target_archE1100ELNS1_3gpuE3ELNS1_3repE0EEENS1_38merge_mergepath_config_static_selectorELNS0_4arch9wavefront6targetE0EEEvSM_.has_dyn_sized_stack, 0
	.set _ZN7rocprim17ROCPRIM_400000_NS6detail17trampoline_kernelINS0_14default_configENS1_38merge_sort_block_merge_config_selectorIlNS0_10empty_typeEEEZZNS1_27merge_sort_block_merge_implIS3_PlPS5_mZN2at6native12_GLOBAL__N_124unique_dim_cuda_templateIfEESt5tupleIJNSA_6TensorESF_SF_EERKSF_lbbbEUlllE_EE10hipError_tT0_T1_T2_jT3_P12ihipStream_tbPNSt15iterator_traitsISL_E10value_typeEPNSR_ISM_E10value_typeEPSN_NS1_7vsmem_tEENKUlT_SL_SM_SN_E_clIS8_S8_S9_S9_EESK_S10_SL_SM_SN_EUlS10_E0_NS1_11comp_targetILNS1_3genE9ELNS1_11target_archE1100ELNS1_3gpuE3ELNS1_3repE0EEENS1_38merge_mergepath_config_static_selectorELNS0_4arch9wavefront6targetE0EEEvSM_.has_recursion, 0
	.set _ZN7rocprim17ROCPRIM_400000_NS6detail17trampoline_kernelINS0_14default_configENS1_38merge_sort_block_merge_config_selectorIlNS0_10empty_typeEEEZZNS1_27merge_sort_block_merge_implIS3_PlPS5_mZN2at6native12_GLOBAL__N_124unique_dim_cuda_templateIfEESt5tupleIJNSA_6TensorESF_SF_EERKSF_lbbbEUlllE_EE10hipError_tT0_T1_T2_jT3_P12ihipStream_tbPNSt15iterator_traitsISL_E10value_typeEPNSR_ISM_E10value_typeEPSN_NS1_7vsmem_tEENKUlT_SL_SM_SN_E_clIS8_S8_S9_S9_EESK_S10_SL_SM_SN_EUlS10_E0_NS1_11comp_targetILNS1_3genE9ELNS1_11target_archE1100ELNS1_3gpuE3ELNS1_3repE0EEENS1_38merge_mergepath_config_static_selectorELNS0_4arch9wavefront6targetE0EEEvSM_.has_indirect_call, 0
	.section	.AMDGPU.csdata,"",@progbits
; Kernel info:
; codeLenInByte = 0
; TotalNumSgprs: 0
; NumVgprs: 0
; ScratchSize: 0
; MemoryBound: 0
; FloatMode: 240
; IeeeMode: 1
; LDSByteSize: 0 bytes/workgroup (compile time only)
; SGPRBlocks: 0
; VGPRBlocks: 0
; NumSGPRsForWavesPerEU: 1
; NumVGPRsForWavesPerEU: 1
; NamedBarCnt: 0
; Occupancy: 16
; WaveLimiterHint : 0
; COMPUTE_PGM_RSRC2:SCRATCH_EN: 0
; COMPUTE_PGM_RSRC2:USER_SGPR: 2
; COMPUTE_PGM_RSRC2:TRAP_HANDLER: 0
; COMPUTE_PGM_RSRC2:TGID_X_EN: 1
; COMPUTE_PGM_RSRC2:TGID_Y_EN: 0
; COMPUTE_PGM_RSRC2:TGID_Z_EN: 0
; COMPUTE_PGM_RSRC2:TIDIG_COMP_CNT: 0
	.section	.text._ZN7rocprim17ROCPRIM_400000_NS6detail17trampoline_kernelINS0_14default_configENS1_38merge_sort_block_merge_config_selectorIlNS0_10empty_typeEEEZZNS1_27merge_sort_block_merge_implIS3_PlPS5_mZN2at6native12_GLOBAL__N_124unique_dim_cuda_templateIfEESt5tupleIJNSA_6TensorESF_SF_EERKSF_lbbbEUlllE_EE10hipError_tT0_T1_T2_jT3_P12ihipStream_tbPNSt15iterator_traitsISL_E10value_typeEPNSR_ISM_E10value_typeEPSN_NS1_7vsmem_tEENKUlT_SL_SM_SN_E_clIS8_S8_S9_S9_EESK_S10_SL_SM_SN_EUlS10_E0_NS1_11comp_targetILNS1_3genE8ELNS1_11target_archE1030ELNS1_3gpuE2ELNS1_3repE0EEENS1_38merge_mergepath_config_static_selectorELNS0_4arch9wavefront6targetE0EEEvSM_,"axG",@progbits,_ZN7rocprim17ROCPRIM_400000_NS6detail17trampoline_kernelINS0_14default_configENS1_38merge_sort_block_merge_config_selectorIlNS0_10empty_typeEEEZZNS1_27merge_sort_block_merge_implIS3_PlPS5_mZN2at6native12_GLOBAL__N_124unique_dim_cuda_templateIfEESt5tupleIJNSA_6TensorESF_SF_EERKSF_lbbbEUlllE_EE10hipError_tT0_T1_T2_jT3_P12ihipStream_tbPNSt15iterator_traitsISL_E10value_typeEPNSR_ISM_E10value_typeEPSN_NS1_7vsmem_tEENKUlT_SL_SM_SN_E_clIS8_S8_S9_S9_EESK_S10_SL_SM_SN_EUlS10_E0_NS1_11comp_targetILNS1_3genE8ELNS1_11target_archE1030ELNS1_3gpuE2ELNS1_3repE0EEENS1_38merge_mergepath_config_static_selectorELNS0_4arch9wavefront6targetE0EEEvSM_,comdat
	.globl	_ZN7rocprim17ROCPRIM_400000_NS6detail17trampoline_kernelINS0_14default_configENS1_38merge_sort_block_merge_config_selectorIlNS0_10empty_typeEEEZZNS1_27merge_sort_block_merge_implIS3_PlPS5_mZN2at6native12_GLOBAL__N_124unique_dim_cuda_templateIfEESt5tupleIJNSA_6TensorESF_SF_EERKSF_lbbbEUlllE_EE10hipError_tT0_T1_T2_jT3_P12ihipStream_tbPNSt15iterator_traitsISL_E10value_typeEPNSR_ISM_E10value_typeEPSN_NS1_7vsmem_tEENKUlT_SL_SM_SN_E_clIS8_S8_S9_S9_EESK_S10_SL_SM_SN_EUlS10_E0_NS1_11comp_targetILNS1_3genE8ELNS1_11target_archE1030ELNS1_3gpuE2ELNS1_3repE0EEENS1_38merge_mergepath_config_static_selectorELNS0_4arch9wavefront6targetE0EEEvSM_ ; -- Begin function _ZN7rocprim17ROCPRIM_400000_NS6detail17trampoline_kernelINS0_14default_configENS1_38merge_sort_block_merge_config_selectorIlNS0_10empty_typeEEEZZNS1_27merge_sort_block_merge_implIS3_PlPS5_mZN2at6native12_GLOBAL__N_124unique_dim_cuda_templateIfEESt5tupleIJNSA_6TensorESF_SF_EERKSF_lbbbEUlllE_EE10hipError_tT0_T1_T2_jT3_P12ihipStream_tbPNSt15iterator_traitsISL_E10value_typeEPNSR_ISM_E10value_typeEPSN_NS1_7vsmem_tEENKUlT_SL_SM_SN_E_clIS8_S8_S9_S9_EESK_S10_SL_SM_SN_EUlS10_E0_NS1_11comp_targetILNS1_3genE8ELNS1_11target_archE1030ELNS1_3gpuE2ELNS1_3repE0EEENS1_38merge_mergepath_config_static_selectorELNS0_4arch9wavefront6targetE0EEEvSM_
	.p2align	8
	.type	_ZN7rocprim17ROCPRIM_400000_NS6detail17trampoline_kernelINS0_14default_configENS1_38merge_sort_block_merge_config_selectorIlNS0_10empty_typeEEEZZNS1_27merge_sort_block_merge_implIS3_PlPS5_mZN2at6native12_GLOBAL__N_124unique_dim_cuda_templateIfEESt5tupleIJNSA_6TensorESF_SF_EERKSF_lbbbEUlllE_EE10hipError_tT0_T1_T2_jT3_P12ihipStream_tbPNSt15iterator_traitsISL_E10value_typeEPNSR_ISM_E10value_typeEPSN_NS1_7vsmem_tEENKUlT_SL_SM_SN_E_clIS8_S8_S9_S9_EESK_S10_SL_SM_SN_EUlS10_E0_NS1_11comp_targetILNS1_3genE8ELNS1_11target_archE1030ELNS1_3gpuE2ELNS1_3repE0EEENS1_38merge_mergepath_config_static_selectorELNS0_4arch9wavefront6targetE0EEEvSM_,@function
_ZN7rocprim17ROCPRIM_400000_NS6detail17trampoline_kernelINS0_14default_configENS1_38merge_sort_block_merge_config_selectorIlNS0_10empty_typeEEEZZNS1_27merge_sort_block_merge_implIS3_PlPS5_mZN2at6native12_GLOBAL__N_124unique_dim_cuda_templateIfEESt5tupleIJNSA_6TensorESF_SF_EERKSF_lbbbEUlllE_EE10hipError_tT0_T1_T2_jT3_P12ihipStream_tbPNSt15iterator_traitsISL_E10value_typeEPNSR_ISM_E10value_typeEPSN_NS1_7vsmem_tEENKUlT_SL_SM_SN_E_clIS8_S8_S9_S9_EESK_S10_SL_SM_SN_EUlS10_E0_NS1_11comp_targetILNS1_3genE8ELNS1_11target_archE1030ELNS1_3gpuE2ELNS1_3repE0EEENS1_38merge_mergepath_config_static_selectorELNS0_4arch9wavefront6targetE0EEEvSM_: ; @_ZN7rocprim17ROCPRIM_400000_NS6detail17trampoline_kernelINS0_14default_configENS1_38merge_sort_block_merge_config_selectorIlNS0_10empty_typeEEEZZNS1_27merge_sort_block_merge_implIS3_PlPS5_mZN2at6native12_GLOBAL__N_124unique_dim_cuda_templateIfEESt5tupleIJNSA_6TensorESF_SF_EERKSF_lbbbEUlllE_EE10hipError_tT0_T1_T2_jT3_P12ihipStream_tbPNSt15iterator_traitsISL_E10value_typeEPNSR_ISM_E10value_typeEPSN_NS1_7vsmem_tEENKUlT_SL_SM_SN_E_clIS8_S8_S9_S9_EESK_S10_SL_SM_SN_EUlS10_E0_NS1_11comp_targetILNS1_3genE8ELNS1_11target_archE1030ELNS1_3gpuE2ELNS1_3repE0EEENS1_38merge_mergepath_config_static_selectorELNS0_4arch9wavefront6targetE0EEEvSM_
; %bb.0:
	.section	.rodata,"a",@progbits
	.p2align	6, 0x0
	.amdhsa_kernel _ZN7rocprim17ROCPRIM_400000_NS6detail17trampoline_kernelINS0_14default_configENS1_38merge_sort_block_merge_config_selectorIlNS0_10empty_typeEEEZZNS1_27merge_sort_block_merge_implIS3_PlPS5_mZN2at6native12_GLOBAL__N_124unique_dim_cuda_templateIfEESt5tupleIJNSA_6TensorESF_SF_EERKSF_lbbbEUlllE_EE10hipError_tT0_T1_T2_jT3_P12ihipStream_tbPNSt15iterator_traitsISL_E10value_typeEPNSR_ISM_E10value_typeEPSN_NS1_7vsmem_tEENKUlT_SL_SM_SN_E_clIS8_S8_S9_S9_EESK_S10_SL_SM_SN_EUlS10_E0_NS1_11comp_targetILNS1_3genE8ELNS1_11target_archE1030ELNS1_3gpuE2ELNS1_3repE0EEENS1_38merge_mergepath_config_static_selectorELNS0_4arch9wavefront6targetE0EEEvSM_
		.amdhsa_group_segment_fixed_size 0
		.amdhsa_private_segment_fixed_size 0
		.amdhsa_kernarg_size 88
		.amdhsa_user_sgpr_count 2
		.amdhsa_user_sgpr_dispatch_ptr 0
		.amdhsa_user_sgpr_queue_ptr 0
		.amdhsa_user_sgpr_kernarg_segment_ptr 1
		.amdhsa_user_sgpr_dispatch_id 0
		.amdhsa_user_sgpr_kernarg_preload_length 0
		.amdhsa_user_sgpr_kernarg_preload_offset 0
		.amdhsa_user_sgpr_private_segment_size 0
		.amdhsa_wavefront_size32 1
		.amdhsa_uses_dynamic_stack 0
		.amdhsa_enable_private_segment 0
		.amdhsa_system_sgpr_workgroup_id_x 1
		.amdhsa_system_sgpr_workgroup_id_y 0
		.amdhsa_system_sgpr_workgroup_id_z 0
		.amdhsa_system_sgpr_workgroup_info 0
		.amdhsa_system_vgpr_workitem_id 0
		.amdhsa_next_free_vgpr 1
		.amdhsa_next_free_sgpr 1
		.amdhsa_named_barrier_count 0
		.amdhsa_reserve_vcc 0
		.amdhsa_float_round_mode_32 0
		.amdhsa_float_round_mode_16_64 0
		.amdhsa_float_denorm_mode_32 3
		.amdhsa_float_denorm_mode_16_64 3
		.amdhsa_fp16_overflow 0
		.amdhsa_memory_ordered 1
		.amdhsa_forward_progress 1
		.amdhsa_inst_pref_size 0
		.amdhsa_round_robin_scheduling 0
		.amdhsa_exception_fp_ieee_invalid_op 0
		.amdhsa_exception_fp_denorm_src 0
		.amdhsa_exception_fp_ieee_div_zero 0
		.amdhsa_exception_fp_ieee_overflow 0
		.amdhsa_exception_fp_ieee_underflow 0
		.amdhsa_exception_fp_ieee_inexact 0
		.amdhsa_exception_int_div_zero 0
	.end_amdhsa_kernel
	.section	.text._ZN7rocprim17ROCPRIM_400000_NS6detail17trampoline_kernelINS0_14default_configENS1_38merge_sort_block_merge_config_selectorIlNS0_10empty_typeEEEZZNS1_27merge_sort_block_merge_implIS3_PlPS5_mZN2at6native12_GLOBAL__N_124unique_dim_cuda_templateIfEESt5tupleIJNSA_6TensorESF_SF_EERKSF_lbbbEUlllE_EE10hipError_tT0_T1_T2_jT3_P12ihipStream_tbPNSt15iterator_traitsISL_E10value_typeEPNSR_ISM_E10value_typeEPSN_NS1_7vsmem_tEENKUlT_SL_SM_SN_E_clIS8_S8_S9_S9_EESK_S10_SL_SM_SN_EUlS10_E0_NS1_11comp_targetILNS1_3genE8ELNS1_11target_archE1030ELNS1_3gpuE2ELNS1_3repE0EEENS1_38merge_mergepath_config_static_selectorELNS0_4arch9wavefront6targetE0EEEvSM_,"axG",@progbits,_ZN7rocprim17ROCPRIM_400000_NS6detail17trampoline_kernelINS0_14default_configENS1_38merge_sort_block_merge_config_selectorIlNS0_10empty_typeEEEZZNS1_27merge_sort_block_merge_implIS3_PlPS5_mZN2at6native12_GLOBAL__N_124unique_dim_cuda_templateIfEESt5tupleIJNSA_6TensorESF_SF_EERKSF_lbbbEUlllE_EE10hipError_tT0_T1_T2_jT3_P12ihipStream_tbPNSt15iterator_traitsISL_E10value_typeEPNSR_ISM_E10value_typeEPSN_NS1_7vsmem_tEENKUlT_SL_SM_SN_E_clIS8_S8_S9_S9_EESK_S10_SL_SM_SN_EUlS10_E0_NS1_11comp_targetILNS1_3genE8ELNS1_11target_archE1030ELNS1_3gpuE2ELNS1_3repE0EEENS1_38merge_mergepath_config_static_selectorELNS0_4arch9wavefront6targetE0EEEvSM_,comdat
.Lfunc_end895:
	.size	_ZN7rocprim17ROCPRIM_400000_NS6detail17trampoline_kernelINS0_14default_configENS1_38merge_sort_block_merge_config_selectorIlNS0_10empty_typeEEEZZNS1_27merge_sort_block_merge_implIS3_PlPS5_mZN2at6native12_GLOBAL__N_124unique_dim_cuda_templateIfEESt5tupleIJNSA_6TensorESF_SF_EERKSF_lbbbEUlllE_EE10hipError_tT0_T1_T2_jT3_P12ihipStream_tbPNSt15iterator_traitsISL_E10value_typeEPNSR_ISM_E10value_typeEPSN_NS1_7vsmem_tEENKUlT_SL_SM_SN_E_clIS8_S8_S9_S9_EESK_S10_SL_SM_SN_EUlS10_E0_NS1_11comp_targetILNS1_3genE8ELNS1_11target_archE1030ELNS1_3gpuE2ELNS1_3repE0EEENS1_38merge_mergepath_config_static_selectorELNS0_4arch9wavefront6targetE0EEEvSM_, .Lfunc_end895-_ZN7rocprim17ROCPRIM_400000_NS6detail17trampoline_kernelINS0_14default_configENS1_38merge_sort_block_merge_config_selectorIlNS0_10empty_typeEEEZZNS1_27merge_sort_block_merge_implIS3_PlPS5_mZN2at6native12_GLOBAL__N_124unique_dim_cuda_templateIfEESt5tupleIJNSA_6TensorESF_SF_EERKSF_lbbbEUlllE_EE10hipError_tT0_T1_T2_jT3_P12ihipStream_tbPNSt15iterator_traitsISL_E10value_typeEPNSR_ISM_E10value_typeEPSN_NS1_7vsmem_tEENKUlT_SL_SM_SN_E_clIS8_S8_S9_S9_EESK_S10_SL_SM_SN_EUlS10_E0_NS1_11comp_targetILNS1_3genE8ELNS1_11target_archE1030ELNS1_3gpuE2ELNS1_3repE0EEENS1_38merge_mergepath_config_static_selectorELNS0_4arch9wavefront6targetE0EEEvSM_
                                        ; -- End function
	.set _ZN7rocprim17ROCPRIM_400000_NS6detail17trampoline_kernelINS0_14default_configENS1_38merge_sort_block_merge_config_selectorIlNS0_10empty_typeEEEZZNS1_27merge_sort_block_merge_implIS3_PlPS5_mZN2at6native12_GLOBAL__N_124unique_dim_cuda_templateIfEESt5tupleIJNSA_6TensorESF_SF_EERKSF_lbbbEUlllE_EE10hipError_tT0_T1_T2_jT3_P12ihipStream_tbPNSt15iterator_traitsISL_E10value_typeEPNSR_ISM_E10value_typeEPSN_NS1_7vsmem_tEENKUlT_SL_SM_SN_E_clIS8_S8_S9_S9_EESK_S10_SL_SM_SN_EUlS10_E0_NS1_11comp_targetILNS1_3genE8ELNS1_11target_archE1030ELNS1_3gpuE2ELNS1_3repE0EEENS1_38merge_mergepath_config_static_selectorELNS0_4arch9wavefront6targetE0EEEvSM_.num_vgpr, 0
	.set _ZN7rocprim17ROCPRIM_400000_NS6detail17trampoline_kernelINS0_14default_configENS1_38merge_sort_block_merge_config_selectorIlNS0_10empty_typeEEEZZNS1_27merge_sort_block_merge_implIS3_PlPS5_mZN2at6native12_GLOBAL__N_124unique_dim_cuda_templateIfEESt5tupleIJNSA_6TensorESF_SF_EERKSF_lbbbEUlllE_EE10hipError_tT0_T1_T2_jT3_P12ihipStream_tbPNSt15iterator_traitsISL_E10value_typeEPNSR_ISM_E10value_typeEPSN_NS1_7vsmem_tEENKUlT_SL_SM_SN_E_clIS8_S8_S9_S9_EESK_S10_SL_SM_SN_EUlS10_E0_NS1_11comp_targetILNS1_3genE8ELNS1_11target_archE1030ELNS1_3gpuE2ELNS1_3repE0EEENS1_38merge_mergepath_config_static_selectorELNS0_4arch9wavefront6targetE0EEEvSM_.num_agpr, 0
	.set _ZN7rocprim17ROCPRIM_400000_NS6detail17trampoline_kernelINS0_14default_configENS1_38merge_sort_block_merge_config_selectorIlNS0_10empty_typeEEEZZNS1_27merge_sort_block_merge_implIS3_PlPS5_mZN2at6native12_GLOBAL__N_124unique_dim_cuda_templateIfEESt5tupleIJNSA_6TensorESF_SF_EERKSF_lbbbEUlllE_EE10hipError_tT0_T1_T2_jT3_P12ihipStream_tbPNSt15iterator_traitsISL_E10value_typeEPNSR_ISM_E10value_typeEPSN_NS1_7vsmem_tEENKUlT_SL_SM_SN_E_clIS8_S8_S9_S9_EESK_S10_SL_SM_SN_EUlS10_E0_NS1_11comp_targetILNS1_3genE8ELNS1_11target_archE1030ELNS1_3gpuE2ELNS1_3repE0EEENS1_38merge_mergepath_config_static_selectorELNS0_4arch9wavefront6targetE0EEEvSM_.numbered_sgpr, 0
	.set _ZN7rocprim17ROCPRIM_400000_NS6detail17trampoline_kernelINS0_14default_configENS1_38merge_sort_block_merge_config_selectorIlNS0_10empty_typeEEEZZNS1_27merge_sort_block_merge_implIS3_PlPS5_mZN2at6native12_GLOBAL__N_124unique_dim_cuda_templateIfEESt5tupleIJNSA_6TensorESF_SF_EERKSF_lbbbEUlllE_EE10hipError_tT0_T1_T2_jT3_P12ihipStream_tbPNSt15iterator_traitsISL_E10value_typeEPNSR_ISM_E10value_typeEPSN_NS1_7vsmem_tEENKUlT_SL_SM_SN_E_clIS8_S8_S9_S9_EESK_S10_SL_SM_SN_EUlS10_E0_NS1_11comp_targetILNS1_3genE8ELNS1_11target_archE1030ELNS1_3gpuE2ELNS1_3repE0EEENS1_38merge_mergepath_config_static_selectorELNS0_4arch9wavefront6targetE0EEEvSM_.num_named_barrier, 0
	.set _ZN7rocprim17ROCPRIM_400000_NS6detail17trampoline_kernelINS0_14default_configENS1_38merge_sort_block_merge_config_selectorIlNS0_10empty_typeEEEZZNS1_27merge_sort_block_merge_implIS3_PlPS5_mZN2at6native12_GLOBAL__N_124unique_dim_cuda_templateIfEESt5tupleIJNSA_6TensorESF_SF_EERKSF_lbbbEUlllE_EE10hipError_tT0_T1_T2_jT3_P12ihipStream_tbPNSt15iterator_traitsISL_E10value_typeEPNSR_ISM_E10value_typeEPSN_NS1_7vsmem_tEENKUlT_SL_SM_SN_E_clIS8_S8_S9_S9_EESK_S10_SL_SM_SN_EUlS10_E0_NS1_11comp_targetILNS1_3genE8ELNS1_11target_archE1030ELNS1_3gpuE2ELNS1_3repE0EEENS1_38merge_mergepath_config_static_selectorELNS0_4arch9wavefront6targetE0EEEvSM_.private_seg_size, 0
	.set _ZN7rocprim17ROCPRIM_400000_NS6detail17trampoline_kernelINS0_14default_configENS1_38merge_sort_block_merge_config_selectorIlNS0_10empty_typeEEEZZNS1_27merge_sort_block_merge_implIS3_PlPS5_mZN2at6native12_GLOBAL__N_124unique_dim_cuda_templateIfEESt5tupleIJNSA_6TensorESF_SF_EERKSF_lbbbEUlllE_EE10hipError_tT0_T1_T2_jT3_P12ihipStream_tbPNSt15iterator_traitsISL_E10value_typeEPNSR_ISM_E10value_typeEPSN_NS1_7vsmem_tEENKUlT_SL_SM_SN_E_clIS8_S8_S9_S9_EESK_S10_SL_SM_SN_EUlS10_E0_NS1_11comp_targetILNS1_3genE8ELNS1_11target_archE1030ELNS1_3gpuE2ELNS1_3repE0EEENS1_38merge_mergepath_config_static_selectorELNS0_4arch9wavefront6targetE0EEEvSM_.uses_vcc, 0
	.set _ZN7rocprim17ROCPRIM_400000_NS6detail17trampoline_kernelINS0_14default_configENS1_38merge_sort_block_merge_config_selectorIlNS0_10empty_typeEEEZZNS1_27merge_sort_block_merge_implIS3_PlPS5_mZN2at6native12_GLOBAL__N_124unique_dim_cuda_templateIfEESt5tupleIJNSA_6TensorESF_SF_EERKSF_lbbbEUlllE_EE10hipError_tT0_T1_T2_jT3_P12ihipStream_tbPNSt15iterator_traitsISL_E10value_typeEPNSR_ISM_E10value_typeEPSN_NS1_7vsmem_tEENKUlT_SL_SM_SN_E_clIS8_S8_S9_S9_EESK_S10_SL_SM_SN_EUlS10_E0_NS1_11comp_targetILNS1_3genE8ELNS1_11target_archE1030ELNS1_3gpuE2ELNS1_3repE0EEENS1_38merge_mergepath_config_static_selectorELNS0_4arch9wavefront6targetE0EEEvSM_.uses_flat_scratch, 0
	.set _ZN7rocprim17ROCPRIM_400000_NS6detail17trampoline_kernelINS0_14default_configENS1_38merge_sort_block_merge_config_selectorIlNS0_10empty_typeEEEZZNS1_27merge_sort_block_merge_implIS3_PlPS5_mZN2at6native12_GLOBAL__N_124unique_dim_cuda_templateIfEESt5tupleIJNSA_6TensorESF_SF_EERKSF_lbbbEUlllE_EE10hipError_tT0_T1_T2_jT3_P12ihipStream_tbPNSt15iterator_traitsISL_E10value_typeEPNSR_ISM_E10value_typeEPSN_NS1_7vsmem_tEENKUlT_SL_SM_SN_E_clIS8_S8_S9_S9_EESK_S10_SL_SM_SN_EUlS10_E0_NS1_11comp_targetILNS1_3genE8ELNS1_11target_archE1030ELNS1_3gpuE2ELNS1_3repE0EEENS1_38merge_mergepath_config_static_selectorELNS0_4arch9wavefront6targetE0EEEvSM_.has_dyn_sized_stack, 0
	.set _ZN7rocprim17ROCPRIM_400000_NS6detail17trampoline_kernelINS0_14default_configENS1_38merge_sort_block_merge_config_selectorIlNS0_10empty_typeEEEZZNS1_27merge_sort_block_merge_implIS3_PlPS5_mZN2at6native12_GLOBAL__N_124unique_dim_cuda_templateIfEESt5tupleIJNSA_6TensorESF_SF_EERKSF_lbbbEUlllE_EE10hipError_tT0_T1_T2_jT3_P12ihipStream_tbPNSt15iterator_traitsISL_E10value_typeEPNSR_ISM_E10value_typeEPSN_NS1_7vsmem_tEENKUlT_SL_SM_SN_E_clIS8_S8_S9_S9_EESK_S10_SL_SM_SN_EUlS10_E0_NS1_11comp_targetILNS1_3genE8ELNS1_11target_archE1030ELNS1_3gpuE2ELNS1_3repE0EEENS1_38merge_mergepath_config_static_selectorELNS0_4arch9wavefront6targetE0EEEvSM_.has_recursion, 0
	.set _ZN7rocprim17ROCPRIM_400000_NS6detail17trampoline_kernelINS0_14default_configENS1_38merge_sort_block_merge_config_selectorIlNS0_10empty_typeEEEZZNS1_27merge_sort_block_merge_implIS3_PlPS5_mZN2at6native12_GLOBAL__N_124unique_dim_cuda_templateIfEESt5tupleIJNSA_6TensorESF_SF_EERKSF_lbbbEUlllE_EE10hipError_tT0_T1_T2_jT3_P12ihipStream_tbPNSt15iterator_traitsISL_E10value_typeEPNSR_ISM_E10value_typeEPSN_NS1_7vsmem_tEENKUlT_SL_SM_SN_E_clIS8_S8_S9_S9_EESK_S10_SL_SM_SN_EUlS10_E0_NS1_11comp_targetILNS1_3genE8ELNS1_11target_archE1030ELNS1_3gpuE2ELNS1_3repE0EEENS1_38merge_mergepath_config_static_selectorELNS0_4arch9wavefront6targetE0EEEvSM_.has_indirect_call, 0
	.section	.AMDGPU.csdata,"",@progbits
; Kernel info:
; codeLenInByte = 0
; TotalNumSgprs: 0
; NumVgprs: 0
; ScratchSize: 0
; MemoryBound: 0
; FloatMode: 240
; IeeeMode: 1
; LDSByteSize: 0 bytes/workgroup (compile time only)
; SGPRBlocks: 0
; VGPRBlocks: 0
; NumSGPRsForWavesPerEU: 1
; NumVGPRsForWavesPerEU: 1
; NamedBarCnt: 0
; Occupancy: 16
; WaveLimiterHint : 0
; COMPUTE_PGM_RSRC2:SCRATCH_EN: 0
; COMPUTE_PGM_RSRC2:USER_SGPR: 2
; COMPUTE_PGM_RSRC2:TRAP_HANDLER: 0
; COMPUTE_PGM_RSRC2:TGID_X_EN: 1
; COMPUTE_PGM_RSRC2:TGID_Y_EN: 0
; COMPUTE_PGM_RSRC2:TGID_Z_EN: 0
; COMPUTE_PGM_RSRC2:TIDIG_COMP_CNT: 0
	.section	.text._ZN7rocprim17ROCPRIM_400000_NS6detail17trampoline_kernelINS0_14default_configENS1_38merge_sort_block_merge_config_selectorIlNS0_10empty_typeEEEZZNS1_27merge_sort_block_merge_implIS3_PlPS5_mZN2at6native12_GLOBAL__N_124unique_dim_cuda_templateIfEESt5tupleIJNSA_6TensorESF_SF_EERKSF_lbbbEUlllE_EE10hipError_tT0_T1_T2_jT3_P12ihipStream_tbPNSt15iterator_traitsISL_E10value_typeEPNSR_ISM_E10value_typeEPSN_NS1_7vsmem_tEENKUlT_SL_SM_SN_E_clIS8_S8_S9_S9_EESK_S10_SL_SM_SN_EUlS10_E1_NS1_11comp_targetILNS1_3genE0ELNS1_11target_archE4294967295ELNS1_3gpuE0ELNS1_3repE0EEENS1_36merge_oddeven_config_static_selectorELNS0_4arch9wavefront6targetE0EEEvSM_,"axG",@progbits,_ZN7rocprim17ROCPRIM_400000_NS6detail17trampoline_kernelINS0_14default_configENS1_38merge_sort_block_merge_config_selectorIlNS0_10empty_typeEEEZZNS1_27merge_sort_block_merge_implIS3_PlPS5_mZN2at6native12_GLOBAL__N_124unique_dim_cuda_templateIfEESt5tupleIJNSA_6TensorESF_SF_EERKSF_lbbbEUlllE_EE10hipError_tT0_T1_T2_jT3_P12ihipStream_tbPNSt15iterator_traitsISL_E10value_typeEPNSR_ISM_E10value_typeEPSN_NS1_7vsmem_tEENKUlT_SL_SM_SN_E_clIS8_S8_S9_S9_EESK_S10_SL_SM_SN_EUlS10_E1_NS1_11comp_targetILNS1_3genE0ELNS1_11target_archE4294967295ELNS1_3gpuE0ELNS1_3repE0EEENS1_36merge_oddeven_config_static_selectorELNS0_4arch9wavefront6targetE0EEEvSM_,comdat
	.globl	_ZN7rocprim17ROCPRIM_400000_NS6detail17trampoline_kernelINS0_14default_configENS1_38merge_sort_block_merge_config_selectorIlNS0_10empty_typeEEEZZNS1_27merge_sort_block_merge_implIS3_PlPS5_mZN2at6native12_GLOBAL__N_124unique_dim_cuda_templateIfEESt5tupleIJNSA_6TensorESF_SF_EERKSF_lbbbEUlllE_EE10hipError_tT0_T1_T2_jT3_P12ihipStream_tbPNSt15iterator_traitsISL_E10value_typeEPNSR_ISM_E10value_typeEPSN_NS1_7vsmem_tEENKUlT_SL_SM_SN_E_clIS8_S8_S9_S9_EESK_S10_SL_SM_SN_EUlS10_E1_NS1_11comp_targetILNS1_3genE0ELNS1_11target_archE4294967295ELNS1_3gpuE0ELNS1_3repE0EEENS1_36merge_oddeven_config_static_selectorELNS0_4arch9wavefront6targetE0EEEvSM_ ; -- Begin function _ZN7rocprim17ROCPRIM_400000_NS6detail17trampoline_kernelINS0_14default_configENS1_38merge_sort_block_merge_config_selectorIlNS0_10empty_typeEEEZZNS1_27merge_sort_block_merge_implIS3_PlPS5_mZN2at6native12_GLOBAL__N_124unique_dim_cuda_templateIfEESt5tupleIJNSA_6TensorESF_SF_EERKSF_lbbbEUlllE_EE10hipError_tT0_T1_T2_jT3_P12ihipStream_tbPNSt15iterator_traitsISL_E10value_typeEPNSR_ISM_E10value_typeEPSN_NS1_7vsmem_tEENKUlT_SL_SM_SN_E_clIS8_S8_S9_S9_EESK_S10_SL_SM_SN_EUlS10_E1_NS1_11comp_targetILNS1_3genE0ELNS1_11target_archE4294967295ELNS1_3gpuE0ELNS1_3repE0EEENS1_36merge_oddeven_config_static_selectorELNS0_4arch9wavefront6targetE0EEEvSM_
	.p2align	8
	.type	_ZN7rocprim17ROCPRIM_400000_NS6detail17trampoline_kernelINS0_14default_configENS1_38merge_sort_block_merge_config_selectorIlNS0_10empty_typeEEEZZNS1_27merge_sort_block_merge_implIS3_PlPS5_mZN2at6native12_GLOBAL__N_124unique_dim_cuda_templateIfEESt5tupleIJNSA_6TensorESF_SF_EERKSF_lbbbEUlllE_EE10hipError_tT0_T1_T2_jT3_P12ihipStream_tbPNSt15iterator_traitsISL_E10value_typeEPNSR_ISM_E10value_typeEPSN_NS1_7vsmem_tEENKUlT_SL_SM_SN_E_clIS8_S8_S9_S9_EESK_S10_SL_SM_SN_EUlS10_E1_NS1_11comp_targetILNS1_3genE0ELNS1_11target_archE4294967295ELNS1_3gpuE0ELNS1_3repE0EEENS1_36merge_oddeven_config_static_selectorELNS0_4arch9wavefront6targetE0EEEvSM_,@function
_ZN7rocprim17ROCPRIM_400000_NS6detail17trampoline_kernelINS0_14default_configENS1_38merge_sort_block_merge_config_selectorIlNS0_10empty_typeEEEZZNS1_27merge_sort_block_merge_implIS3_PlPS5_mZN2at6native12_GLOBAL__N_124unique_dim_cuda_templateIfEESt5tupleIJNSA_6TensorESF_SF_EERKSF_lbbbEUlllE_EE10hipError_tT0_T1_T2_jT3_P12ihipStream_tbPNSt15iterator_traitsISL_E10value_typeEPNSR_ISM_E10value_typeEPSN_NS1_7vsmem_tEENKUlT_SL_SM_SN_E_clIS8_S8_S9_S9_EESK_S10_SL_SM_SN_EUlS10_E1_NS1_11comp_targetILNS1_3genE0ELNS1_11target_archE4294967295ELNS1_3gpuE0ELNS1_3repE0EEENS1_36merge_oddeven_config_static_selectorELNS0_4arch9wavefront6targetE0EEEvSM_: ; @_ZN7rocprim17ROCPRIM_400000_NS6detail17trampoline_kernelINS0_14default_configENS1_38merge_sort_block_merge_config_selectorIlNS0_10empty_typeEEEZZNS1_27merge_sort_block_merge_implIS3_PlPS5_mZN2at6native12_GLOBAL__N_124unique_dim_cuda_templateIfEESt5tupleIJNSA_6TensorESF_SF_EERKSF_lbbbEUlllE_EE10hipError_tT0_T1_T2_jT3_P12ihipStream_tbPNSt15iterator_traitsISL_E10value_typeEPNSR_ISM_E10value_typeEPSN_NS1_7vsmem_tEENKUlT_SL_SM_SN_E_clIS8_S8_S9_S9_EESK_S10_SL_SM_SN_EUlS10_E1_NS1_11comp_targetILNS1_3genE0ELNS1_11target_archE4294967295ELNS1_3gpuE0ELNS1_3repE0EEENS1_36merge_oddeven_config_static_selectorELNS0_4arch9wavefront6targetE0EEEvSM_
; %bb.0:
	s_load_b32 s3, s[0:1], 0x20
	s_bfe_u32 s2, ttmp6, 0x4000c
	s_and_b32 s4, ttmp6, 15
	s_add_co_i32 s2, s2, 1
	s_getreg_b32 s5, hwreg(HW_REG_IB_STS2, 6, 4)
	s_mul_i32 s2, ttmp9, s2
	s_mov_b32 s13, 0
	s_add_co_i32 s4, s4, s2
	s_cmp_eq_u32 s5, 0
	s_cselect_b32 s9, ttmp9, s4
	s_wait_kmcnt 0x0
	s_lshr_b32 s2, s3, 8
	s_delay_alu instid0(SALU_CYCLE_1) | instskip(SKIP_4) | instid1(SALU_CYCLE_1)
	s_cmp_lg_u32 s9, s2
	s_cselect_b32 s8, -1, 0
	s_cmp_eq_u32 s9, s2
	s_cselect_b32 s14, -1, 0
	s_lshl_b32 s12, s9, 8
	s_sub_co_i32 s2, s3, s12
	s_delay_alu instid0(SALU_CYCLE_1) | instskip(SKIP_1) | instid1(SALU_CYCLE_1)
	v_cmp_gt_u32_e64 s2, s2, v0
	s_or_b32 s4, s8, s2
	s_and_saveexec_b32 s5, s4
	s_cbranch_execz .LBB896_54
; %bb.1:
	s_clause 0x1
	s_load_b128 s[4:7], s[0:1], 0x0
	s_load_b32 s15, s[0:1], 0x28
	s_lshl_b64 s[10:11], s[12:13], 3
	s_wait_kmcnt 0x0
	s_add_nc_u64 s[10:11], s[4:5], s[10:11]
	global_load_b64 v[2:3], v0, s[10:11] scale_offset
	s_wait_xcnt 0x0
	s_lshr_b32 s10, s15, 8
	s_delay_alu instid0(SALU_CYCLE_1) | instskip(NEXT) | instid1(SALU_CYCLE_1)
	s_sub_co_i32 s11, 0, s10
	s_and_b32 s9, s9, s11
	s_delay_alu instid0(SALU_CYCLE_1) | instskip(NEXT) | instid1(SALU_CYCLE_1)
	s_and_b32 s10, s9, s10
	s_cmp_lg_u32 s10, 0
	s_cselect_b32 s16, -1, 0
	s_lshl_b32 s18, s9, 8
	s_sub_co_i32 s9, 0, s15
	s_cmp_eq_u32 s10, 0
	s_cselect_b32 s17, s15, s9
	s_delay_alu instid0(SALU_CYCLE_1) | instskip(NEXT) | instid1(SALU_CYCLE_1)
	s_add_co_i32 s17, s17, s18
	s_cmp_lt_u32 s17, s3
	s_cbranch_scc1 .LBB896_3
; %bb.2:
	v_add_nc_u32_e32 v1, s12, v0
	s_delay_alu instid0(VALU_DEP_1) | instskip(SKIP_1) | instid1(SALU_CYCLE_1)
	v_cmp_gt_u32_e32 vcc_lo, s3, v1
	s_or_b32 s9, vcc_lo, s8
	s_and_b32 s13, s9, exec_lo
	s_cbranch_execz .LBB896_4
	s_branch .LBB896_52
.LBB896_3:
                                        ; implicit-def: $vgpr1
.LBB896_4:
	s_load_b128 s[8:11], s[0:1], 0x30
	v_add_nc_u32_e32 v0, s12, v0
	s_min_u32 s12, s17, s3
	s_and_b32 vcc_lo, exec_lo, s14
	s_wait_xcnt 0x0
	s_add_co_i32 s0, s18, s12
	s_delay_alu instid0(SALU_CYCLE_1) | instskip(SKIP_3) | instid1(VALU_DEP_1)
	v_subrev_nc_u32_e32 v0, s0, v0
	s_add_co_i32 s0, s12, s15
	s_min_u32 s15, s18, s12
	s_min_u32 s18, s0, s3
	v_add_nc_u32_e32 v10, s15, v0
	s_wait_kmcnt 0x0
	v_cmp_gt_i64_e64 s1, s[8:9], 0
	s_cbranch_vccz .LBB896_26
; %bb.5:
                                        ; implicit-def: $vgpr1
	s_and_saveexec_b32 s19, s2
	s_cbranch_execz .LBB896_29
; %bb.6:
	v_mov_b32_e32 v11, s12
	s_cmp_ge_u32 s17, s18
	s_cbranch_scc1 .LBB896_28
; %bb.7:
	s_wait_loadcnt 0x0
	v_mul_u64_e32 v[0:1], s[8:9], v[2:3]
	v_dual_mov_b32 v12, s18 :: v_dual_mov_b32 v11, s12
	s_lshl_b64 s[2:3], s[8:9], 2
	s_mov_b32 s20, 0
	s_delay_alu instid0(VALU_DEP_2)
	v_lshl_add_u64 v[0:1], v[0:1], 2, s[10:11]
	s_branch .LBB896_10
.LBB896_8:                              ;   in Loop: Header=BB896_10 Depth=1
	s_or_b32 exec_lo, exec_lo, s22
.LBB896_9:                              ;   in Loop: Header=BB896_10 Depth=1
	s_wait_loadcnt 0x0
	v_dual_add_nc_u32 v4, 1, v13 :: v_dual_cndmask_b32 v12, v13, v12, s21
	s_delay_alu instid0(VALU_DEP_1) | instskip(NEXT) | instid1(VALU_DEP_1)
	v_cndmask_b32_e64 v11, v11, v4, s21
	v_cmp_ge_u32_e32 vcc_lo, v11, v12
	s_or_b32 s20, vcc_lo, s20
	s_delay_alu instid0(SALU_CYCLE_1)
	s_and_not1_b32 exec_lo, exec_lo, s20
	s_cbranch_execz .LBB896_27
.LBB896_10:                             ; =>This Loop Header: Depth=1
                                        ;     Child Loop BB896_14 Depth 2
                                        ;     Child Loop BB896_23 Depth 2
	v_add_nc_u32_e32 v4, v11, v12
	s_and_not1_b32 vcc_lo, exec_lo, s16
	s_mov_b32 s0, -1
                                        ; implicit-def: $sgpr21
	s_delay_alu instid0(VALU_DEP_1)
	v_lshrrev_b32_e32 v13, 1, v4
	global_load_b64 v[4:5], v13, s[4:5] scale_offset
	s_cbranch_vccnz .LBB896_19
; %bb.11:                               ;   in Loop: Header=BB896_10 Depth=1
	s_and_not1_b32 vcc_lo, exec_lo, s1
	s_cbranch_vccnz .LBB896_17
; %bb.12:                               ;   in Loop: Header=BB896_10 Depth=1
	s_wait_loadcnt 0x0
	v_mad_nc_u64_u32 v[6:7], s2, v4, s[10:11]
	v_mov_b64_e32 v[8:9], v[0:1]
	s_mov_b32 s21, 0
	s_mov_b64 s[14:15], s[8:9]
                                        ; implicit-def: $sgpr22
                                        ; implicit-def: $sgpr23
                                        ; implicit-def: $sgpr24
                                        ; implicit-def: $sgpr25
	s_delay_alu instid0(VALU_DEP_2) | instskip(NEXT) | instid1(VALU_DEP_1)
	v_mad_u32 v7, s3, v4, v7
	v_mad_u32 v7, s2, v5, v7
	s_branch .LBB896_14
.LBB896_13:                             ;   in Loop: Header=BB896_14 Depth=2
	s_or_b32 exec_lo, exec_lo, s0
	s_delay_alu instid0(SALU_CYCLE_1) | instskip(NEXT) | instid1(SALU_CYCLE_1)
	s_and_b32 s0, exec_lo, s23
	s_or_b32 s21, s0, s21
	s_and_not1_b32 s0, s25, exec_lo
	s_and_b32 s25, s26, exec_lo
	s_and_not1_b32 s22, s22, exec_lo
	s_and_b32 s26, s24, exec_lo
	s_or_b32 s25, s0, s25
	s_or_b32 s22, s22, s26
	s_and_not1_b32 exec_lo, exec_lo, s21
	s_cbranch_execz .LBB896_16
.LBB896_14:                             ;   Parent Loop BB896_10 Depth=1
                                        ; =>  This Inner Loop Header: Depth=2
	global_load_b32 v14, v[8:9], off
	global_load_b32 v15, v[6:7], off
	s_and_not1_b32 s24, s24, exec_lo
	s_or_b32 s23, s23, exec_lo
	s_wait_loadcnt 0x0
	v_cmp_ngt_f32_e32 vcc_lo, v14, v15
	v_cmp_lt_f32_e64 s0, v14, v15
	s_and_b32 s26, vcc_lo, s25
	s_xor_b32 s28, s0, vcc_lo
	s_or_b32 s26, s0, s26
	s_delay_alu instid0(SALU_CYCLE_1) | instskip(NEXT) | instid1(SALU_CYCLE_1)
	s_and_b32 s27, s26, exec_lo
	s_or_b32 s24, s24, s27
	s_and_saveexec_b32 s0, s28
	s_cbranch_execz .LBB896_13
; %bb.15:                               ;   in Loop: Header=BB896_14 Depth=2
	s_add_nc_u64 s[14:15], s[14:15], -1
	v_add_nc_u64_e32 v[8:9], 4, v[8:9]
	s_cmp_eq_u64 s[14:15], 0
	v_add_nc_u64_e32 v[6:7], 4, v[6:7]
	s_cselect_b32 s25, -1, 0
	s_and_not1_b32 s23, s23, exec_lo
	s_and_b32 s25, s25, exec_lo
	s_and_not1_b32 s24, s24, exec_lo
	s_or_b32 s23, s23, s25
                                        ; implicit-def: $sgpr25
	s_branch .LBB896_13
.LBB896_16:                             ;   in Loop: Header=BB896_10 Depth=1
	s_or_b32 exec_lo, exec_lo, s21
	s_xor_b32 s21, s22, -1
	s_branch .LBB896_18
.LBB896_17:                             ;   in Loop: Header=BB896_10 Depth=1
	s_mov_b32 s21, -1
.LBB896_18:                             ;   in Loop: Header=BB896_10 Depth=1
	s_mov_b32 s0, 0
.LBB896_19:                             ;   in Loop: Header=BB896_10 Depth=1
	s_delay_alu instid0(SALU_CYCLE_1)
	s_and_not1_b32 vcc_lo, exec_lo, s0
	s_cbranch_vccnz .LBB896_9
; %bb.20:                               ;   in Loop: Header=BB896_10 Depth=1
	s_and_not1_b32 vcc_lo, exec_lo, s1
	s_cbranch_vccnz .LBB896_25
; %bb.21:                               ;   in Loop: Header=BB896_10 Depth=1
	s_wait_loadcnt 0x0
	v_mad_nc_u64_u32 v[6:7], s2, v4, s[10:11]
	s_mov_b32 s22, 0
	s_mov_b64 s[14:15], s[8:9]
                                        ; implicit-def: $sgpr21
                                        ; implicit-def: $sgpr23
                                        ; implicit-def: $sgpr24
                                        ; implicit-def: $sgpr25
	s_delay_alu instid0(VALU_DEP_1) | instskip(NEXT) | instid1(VALU_DEP_1)
	v_mad_u32 v4, s3, v4, v7
	v_mad_u32 v7, s2, v5, v4
	v_mov_b64_e32 v[4:5], v[0:1]
	s_branch .LBB896_23
.LBB896_22:                             ;   in Loop: Header=BB896_23 Depth=2
	s_or_b32 exec_lo, exec_lo, s0
	s_delay_alu instid0(SALU_CYCLE_1) | instskip(NEXT) | instid1(SALU_CYCLE_1)
	s_and_b32 s0, exec_lo, s23
	s_or_b32 s22, s0, s22
	s_and_not1_b32 s0, s25, exec_lo
	s_and_b32 s25, s26, exec_lo
	s_and_not1_b32 s21, s21, exec_lo
	s_and_b32 s26, s24, exec_lo
	s_or_b32 s25, s0, s25
	s_or_b32 s21, s21, s26
	s_and_not1_b32 exec_lo, exec_lo, s22
	s_cbranch_execz .LBB896_8
.LBB896_23:                             ;   Parent Loop BB896_10 Depth=1
                                        ; =>  This Inner Loop Header: Depth=2
	global_load_b32 v8, v[6:7], off
	global_load_b32 v9, v[4:5], off
	s_and_not1_b32 s24, s24, exec_lo
	s_or_b32 s23, s23, exec_lo
	s_wait_loadcnt 0x0
	v_cmp_ngt_f32_e32 vcc_lo, v8, v9
	v_cmp_lt_f32_e64 s0, v8, v9
	s_and_b32 s26, vcc_lo, s25
	s_xor_b32 s28, s0, vcc_lo
	s_or_b32 s26, s0, s26
	s_delay_alu instid0(SALU_CYCLE_1) | instskip(NEXT) | instid1(SALU_CYCLE_1)
	s_and_b32 s27, s26, exec_lo
	s_or_b32 s24, s24, s27
	s_and_saveexec_b32 s0, s28
	s_cbranch_execz .LBB896_22
; %bb.24:                               ;   in Loop: Header=BB896_23 Depth=2
	s_add_nc_u64 s[14:15], s[14:15], -1
	v_add_nc_u64_e32 v[6:7], 4, v[6:7]
	s_cmp_eq_u64 s[14:15], 0
	v_add_nc_u64_e32 v[4:5], 4, v[4:5]
	s_cselect_b32 s25, -1, 0
	s_and_not1_b32 s23, s23, exec_lo
	s_and_b32 s25, s25, exec_lo
	s_and_not1_b32 s24, s24, exec_lo
	s_or_b32 s23, s23, s25
                                        ; implicit-def: $sgpr25
	s_branch .LBB896_22
.LBB896_25:                             ;   in Loop: Header=BB896_10 Depth=1
	s_mov_b32 s21, 0
	s_branch .LBB896_9
.LBB896_26:
                                        ; implicit-def: $vgpr1
	s_cbranch_execnz .LBB896_30
	s_branch .LBB896_52
.LBB896_27:
	s_or_b32 exec_lo, exec_lo, s20
.LBB896_28:
	s_delay_alu instid0(VALU_DEP_1)
	v_add_nc_u32_e32 v1, v11, v10
	s_or_b32 s13, s13, exec_lo
.LBB896_29:
	s_or_b32 exec_lo, exec_lo, s19
	s_branch .LBB896_52
.LBB896_30:
	v_mov_b32_e32 v11, s12
	s_cmp_ge_u32 s17, s18
	s_cbranch_scc1 .LBB896_51
; %bb.31:
	s_wait_loadcnt 0x0
	v_mul_u64_e32 v[0:1], s[8:9], v[2:3]
	v_dual_mov_b32 v12, s18 :: v_dual_mov_b32 v11, s12
	v_cndmask_b32_e64 v13, 0, 1, s1
	s_lshl_b64 s[2:3], s[8:9], 2
	s_mov_b32 s14, 0
	s_delay_alu instid0(VALU_DEP_3)
	v_lshl_add_u64 v[0:1], v[0:1], 2, s[10:11]
	s_branch .LBB896_34
.LBB896_32:                             ;   in Loop: Header=BB896_34 Depth=1
	s_or_b32 exec_lo, exec_lo, s17
.LBB896_33:                             ;   in Loop: Header=BB896_34 Depth=1
	s_wait_loadcnt 0x0
	v_dual_add_nc_u32 v4, 1, v14 :: v_dual_cndmask_b32 v12, v14, v12, s15
	s_delay_alu instid0(VALU_DEP_1) | instskip(NEXT) | instid1(VALU_DEP_1)
	v_cndmask_b32_e64 v11, v11, v4, s15
	v_cmp_ge_u32_e32 vcc_lo, v11, v12
	s_or_b32 s14, vcc_lo, s14
	s_delay_alu instid0(SALU_CYCLE_1)
	s_and_not1_b32 exec_lo, exec_lo, s14
	s_cbranch_execz .LBB896_50
.LBB896_34:                             ; =>This Loop Header: Depth=1
                                        ;     Child Loop BB896_38 Depth 2
                                        ;     Child Loop BB896_47 Depth 2
	v_add_nc_u32_e32 v4, v11, v12
	v_cmp_ne_u32_e64 s0, 1, v13
	s_and_not1_b32 vcc_lo, exec_lo, s16
	s_mov_b32 s12, -1
                                        ; implicit-def: $sgpr15
	v_lshrrev_b32_e32 v14, 1, v4
	global_load_b64 v[4:5], v14, s[4:5] scale_offset
	s_cbranch_vccnz .LBB896_43
; %bb.35:                               ;   in Loop: Header=BB896_34 Depth=1
	s_and_b32 vcc_lo, exec_lo, s0
	s_cbranch_vccnz .LBB896_41
; %bb.36:                               ;   in Loop: Header=BB896_34 Depth=1
	s_wait_loadcnt 0x0
	v_mad_nc_u64_u32 v[6:7], s2, v4, s[10:11]
	v_mov_b64_e32 v[8:9], v[0:1]
	s_mov_b32 s15, 0
	s_mov_b64 s[12:13], s[8:9]
                                        ; implicit-def: $sgpr17
                                        ; implicit-def: $sgpr18
                                        ; implicit-def: $sgpr19
                                        ; implicit-def: $sgpr20
	s_delay_alu instid0(VALU_DEP_2) | instskip(NEXT) | instid1(VALU_DEP_1)
	v_mad_u32 v7, s3, v4, v7
	v_mad_u32 v7, s2, v5, v7
	s_branch .LBB896_38
.LBB896_37:                             ;   in Loop: Header=BB896_38 Depth=2
	s_or_b32 exec_lo, exec_lo, s0
	s_delay_alu instid0(SALU_CYCLE_1) | instskip(NEXT) | instid1(SALU_CYCLE_1)
	s_and_b32 s0, exec_lo, s18
	s_or_b32 s15, s0, s15
	s_and_not1_b32 s0, s20, exec_lo
	s_and_b32 s20, s21, exec_lo
	s_and_not1_b32 s17, s17, exec_lo
	s_and_b32 s21, s19, exec_lo
	s_or_b32 s20, s0, s20
	s_or_b32 s17, s17, s21
	s_and_not1_b32 exec_lo, exec_lo, s15
	s_cbranch_execz .LBB896_40
.LBB896_38:                             ;   Parent Loop BB896_34 Depth=1
                                        ; =>  This Inner Loop Header: Depth=2
	global_load_b32 v15, v[8:9], off
	global_load_b32 v16, v[6:7], off
	s_and_not1_b32 s19, s19, exec_lo
	s_or_b32 s18, s18, exec_lo
	s_wait_loadcnt 0x0
	v_cmp_ngt_f32_e32 vcc_lo, v15, v16
	v_cmp_lt_f32_e64 s0, v15, v16
	s_and_b32 s21, vcc_lo, s20
	s_xor_b32 s23, s0, vcc_lo
	s_or_b32 s21, s0, s21
	s_delay_alu instid0(SALU_CYCLE_1) | instskip(NEXT) | instid1(SALU_CYCLE_1)
	s_and_b32 s22, s21, exec_lo
	s_or_b32 s19, s19, s22
	s_and_saveexec_b32 s0, s23
	s_cbranch_execz .LBB896_37
; %bb.39:                               ;   in Loop: Header=BB896_38 Depth=2
	s_add_nc_u64 s[12:13], s[12:13], -1
	v_add_nc_u64_e32 v[8:9], 4, v[8:9]
	s_cmp_eq_u64 s[12:13], 0
	v_add_nc_u64_e32 v[6:7], 4, v[6:7]
	s_cselect_b32 s20, -1, 0
	s_and_not1_b32 s18, s18, exec_lo
	s_and_b32 s20, s20, exec_lo
	s_and_not1_b32 s19, s19, exec_lo
	s_or_b32 s18, s18, s20
                                        ; implicit-def: $sgpr20
	s_branch .LBB896_37
.LBB896_40:                             ;   in Loop: Header=BB896_34 Depth=1
	s_or_b32 exec_lo, exec_lo, s15
	s_xor_b32 s15, s17, -1
	s_branch .LBB896_42
.LBB896_41:                             ;   in Loop: Header=BB896_34 Depth=1
	s_mov_b32 s15, -1
.LBB896_42:                             ;   in Loop: Header=BB896_34 Depth=1
	s_mov_b32 s12, 0
.LBB896_43:                             ;   in Loop: Header=BB896_34 Depth=1
	s_delay_alu instid0(SALU_CYCLE_1)
	s_and_not1_b32 vcc_lo, exec_lo, s12
	s_cbranch_vccnz .LBB896_33
; %bb.44:                               ;   in Loop: Header=BB896_34 Depth=1
	s_and_not1_b32 vcc_lo, exec_lo, s1
	s_cbranch_vccnz .LBB896_49
; %bb.45:                               ;   in Loop: Header=BB896_34 Depth=1
	s_wait_loadcnt 0x0
	v_mad_nc_u64_u32 v[6:7], s2, v4, s[10:11]
	s_mov_b32 s17, 0
	s_mov_b64 s[12:13], s[8:9]
                                        ; implicit-def: $sgpr15
                                        ; implicit-def: $sgpr18
                                        ; implicit-def: $sgpr19
                                        ; implicit-def: $sgpr20
	s_delay_alu instid0(VALU_DEP_1) | instskip(NEXT) | instid1(VALU_DEP_1)
	v_mad_u32 v4, s3, v4, v7
	v_mad_u32 v7, s2, v5, v4
	v_mov_b64_e32 v[4:5], v[0:1]
	s_branch .LBB896_47
.LBB896_46:                             ;   in Loop: Header=BB896_47 Depth=2
	s_or_b32 exec_lo, exec_lo, s0
	s_delay_alu instid0(SALU_CYCLE_1) | instskip(NEXT) | instid1(SALU_CYCLE_1)
	s_and_b32 s0, exec_lo, s18
	s_or_b32 s17, s0, s17
	s_and_not1_b32 s0, s20, exec_lo
	s_and_b32 s20, s21, exec_lo
	s_and_not1_b32 s15, s15, exec_lo
	s_and_b32 s21, s19, exec_lo
	s_or_b32 s20, s0, s20
	s_or_b32 s15, s15, s21
	s_and_not1_b32 exec_lo, exec_lo, s17
	s_cbranch_execz .LBB896_32
.LBB896_47:                             ;   Parent Loop BB896_34 Depth=1
                                        ; =>  This Inner Loop Header: Depth=2
	global_load_b32 v8, v[6:7], off
	global_load_b32 v9, v[4:5], off
	s_and_not1_b32 s19, s19, exec_lo
	s_or_b32 s18, s18, exec_lo
	s_wait_loadcnt 0x0
	v_cmp_ngt_f32_e32 vcc_lo, v8, v9
	v_cmp_lt_f32_e64 s0, v8, v9
	s_and_b32 s21, vcc_lo, s20
	s_xor_b32 s23, s0, vcc_lo
	s_or_b32 s21, s0, s21
	s_delay_alu instid0(SALU_CYCLE_1) | instskip(NEXT) | instid1(SALU_CYCLE_1)
	s_and_b32 s22, s21, exec_lo
	s_or_b32 s19, s19, s22
	s_and_saveexec_b32 s0, s23
	s_cbranch_execz .LBB896_46
; %bb.48:                               ;   in Loop: Header=BB896_47 Depth=2
	s_add_nc_u64 s[12:13], s[12:13], -1
	v_add_nc_u64_e32 v[6:7], 4, v[6:7]
	s_cmp_eq_u64 s[12:13], 0
	v_add_nc_u64_e32 v[4:5], 4, v[4:5]
	s_cselect_b32 s20, -1, 0
	s_and_not1_b32 s18, s18, exec_lo
	s_and_b32 s20, s20, exec_lo
	s_and_not1_b32 s19, s19, exec_lo
	s_or_b32 s18, s18, s20
                                        ; implicit-def: $sgpr20
	s_branch .LBB896_46
.LBB896_49:                             ;   in Loop: Header=BB896_34 Depth=1
	s_mov_b32 s15, 0
	s_branch .LBB896_33
.LBB896_50:
	s_or_b32 exec_lo, exec_lo, s14
.LBB896_51:
	s_delay_alu instid0(VALU_DEP_1)
	v_add_nc_u32_e32 v1, v11, v10
	s_mov_b32 s13, -1
.LBB896_52:
	s_delay_alu instid0(SALU_CYCLE_1)
	s_and_b32 exec_lo, exec_lo, s13
	s_cbranch_execz .LBB896_54
; %bb.53:
	s_wait_loadcnt 0x0
	global_store_b64 v1, v[2:3], s[6:7] scale_offset
.LBB896_54:
	s_endpgm
	.section	.rodata,"a",@progbits
	.p2align	6, 0x0
	.amdhsa_kernel _ZN7rocprim17ROCPRIM_400000_NS6detail17trampoline_kernelINS0_14default_configENS1_38merge_sort_block_merge_config_selectorIlNS0_10empty_typeEEEZZNS1_27merge_sort_block_merge_implIS3_PlPS5_mZN2at6native12_GLOBAL__N_124unique_dim_cuda_templateIfEESt5tupleIJNSA_6TensorESF_SF_EERKSF_lbbbEUlllE_EE10hipError_tT0_T1_T2_jT3_P12ihipStream_tbPNSt15iterator_traitsISL_E10value_typeEPNSR_ISM_E10value_typeEPSN_NS1_7vsmem_tEENKUlT_SL_SM_SN_E_clIS8_S8_S9_S9_EESK_S10_SL_SM_SN_EUlS10_E1_NS1_11comp_targetILNS1_3genE0ELNS1_11target_archE4294967295ELNS1_3gpuE0ELNS1_3repE0EEENS1_36merge_oddeven_config_static_selectorELNS0_4arch9wavefront6targetE0EEEvSM_
		.amdhsa_group_segment_fixed_size 0
		.amdhsa_private_segment_fixed_size 0
		.amdhsa_kernarg_size 64
		.amdhsa_user_sgpr_count 2
		.amdhsa_user_sgpr_dispatch_ptr 0
		.amdhsa_user_sgpr_queue_ptr 0
		.amdhsa_user_sgpr_kernarg_segment_ptr 1
		.amdhsa_user_sgpr_dispatch_id 0
		.amdhsa_user_sgpr_kernarg_preload_length 0
		.amdhsa_user_sgpr_kernarg_preload_offset 0
		.amdhsa_user_sgpr_private_segment_size 0
		.amdhsa_wavefront_size32 1
		.amdhsa_uses_dynamic_stack 0
		.amdhsa_enable_private_segment 0
		.amdhsa_system_sgpr_workgroup_id_x 1
		.amdhsa_system_sgpr_workgroup_id_y 0
		.amdhsa_system_sgpr_workgroup_id_z 0
		.amdhsa_system_sgpr_workgroup_info 0
		.amdhsa_system_vgpr_workitem_id 0
		.amdhsa_next_free_vgpr 17
		.amdhsa_next_free_sgpr 29
		.amdhsa_named_barrier_count 0
		.amdhsa_reserve_vcc 1
		.amdhsa_float_round_mode_32 0
		.amdhsa_float_round_mode_16_64 0
		.amdhsa_float_denorm_mode_32 3
		.amdhsa_float_denorm_mode_16_64 3
		.amdhsa_fp16_overflow 0
		.amdhsa_memory_ordered 1
		.amdhsa_forward_progress 1
		.amdhsa_inst_pref_size 14
		.amdhsa_round_robin_scheduling 0
		.amdhsa_exception_fp_ieee_invalid_op 0
		.amdhsa_exception_fp_denorm_src 0
		.amdhsa_exception_fp_ieee_div_zero 0
		.amdhsa_exception_fp_ieee_overflow 0
		.amdhsa_exception_fp_ieee_underflow 0
		.amdhsa_exception_fp_ieee_inexact 0
		.amdhsa_exception_int_div_zero 0
	.end_amdhsa_kernel
	.section	.text._ZN7rocprim17ROCPRIM_400000_NS6detail17trampoline_kernelINS0_14default_configENS1_38merge_sort_block_merge_config_selectorIlNS0_10empty_typeEEEZZNS1_27merge_sort_block_merge_implIS3_PlPS5_mZN2at6native12_GLOBAL__N_124unique_dim_cuda_templateIfEESt5tupleIJNSA_6TensorESF_SF_EERKSF_lbbbEUlllE_EE10hipError_tT0_T1_T2_jT3_P12ihipStream_tbPNSt15iterator_traitsISL_E10value_typeEPNSR_ISM_E10value_typeEPSN_NS1_7vsmem_tEENKUlT_SL_SM_SN_E_clIS8_S8_S9_S9_EESK_S10_SL_SM_SN_EUlS10_E1_NS1_11comp_targetILNS1_3genE0ELNS1_11target_archE4294967295ELNS1_3gpuE0ELNS1_3repE0EEENS1_36merge_oddeven_config_static_selectorELNS0_4arch9wavefront6targetE0EEEvSM_,"axG",@progbits,_ZN7rocprim17ROCPRIM_400000_NS6detail17trampoline_kernelINS0_14default_configENS1_38merge_sort_block_merge_config_selectorIlNS0_10empty_typeEEEZZNS1_27merge_sort_block_merge_implIS3_PlPS5_mZN2at6native12_GLOBAL__N_124unique_dim_cuda_templateIfEESt5tupleIJNSA_6TensorESF_SF_EERKSF_lbbbEUlllE_EE10hipError_tT0_T1_T2_jT3_P12ihipStream_tbPNSt15iterator_traitsISL_E10value_typeEPNSR_ISM_E10value_typeEPSN_NS1_7vsmem_tEENKUlT_SL_SM_SN_E_clIS8_S8_S9_S9_EESK_S10_SL_SM_SN_EUlS10_E1_NS1_11comp_targetILNS1_3genE0ELNS1_11target_archE4294967295ELNS1_3gpuE0ELNS1_3repE0EEENS1_36merge_oddeven_config_static_selectorELNS0_4arch9wavefront6targetE0EEEvSM_,comdat
.Lfunc_end896:
	.size	_ZN7rocprim17ROCPRIM_400000_NS6detail17trampoline_kernelINS0_14default_configENS1_38merge_sort_block_merge_config_selectorIlNS0_10empty_typeEEEZZNS1_27merge_sort_block_merge_implIS3_PlPS5_mZN2at6native12_GLOBAL__N_124unique_dim_cuda_templateIfEESt5tupleIJNSA_6TensorESF_SF_EERKSF_lbbbEUlllE_EE10hipError_tT0_T1_T2_jT3_P12ihipStream_tbPNSt15iterator_traitsISL_E10value_typeEPNSR_ISM_E10value_typeEPSN_NS1_7vsmem_tEENKUlT_SL_SM_SN_E_clIS8_S8_S9_S9_EESK_S10_SL_SM_SN_EUlS10_E1_NS1_11comp_targetILNS1_3genE0ELNS1_11target_archE4294967295ELNS1_3gpuE0ELNS1_3repE0EEENS1_36merge_oddeven_config_static_selectorELNS0_4arch9wavefront6targetE0EEEvSM_, .Lfunc_end896-_ZN7rocprim17ROCPRIM_400000_NS6detail17trampoline_kernelINS0_14default_configENS1_38merge_sort_block_merge_config_selectorIlNS0_10empty_typeEEEZZNS1_27merge_sort_block_merge_implIS3_PlPS5_mZN2at6native12_GLOBAL__N_124unique_dim_cuda_templateIfEESt5tupleIJNSA_6TensorESF_SF_EERKSF_lbbbEUlllE_EE10hipError_tT0_T1_T2_jT3_P12ihipStream_tbPNSt15iterator_traitsISL_E10value_typeEPNSR_ISM_E10value_typeEPSN_NS1_7vsmem_tEENKUlT_SL_SM_SN_E_clIS8_S8_S9_S9_EESK_S10_SL_SM_SN_EUlS10_E1_NS1_11comp_targetILNS1_3genE0ELNS1_11target_archE4294967295ELNS1_3gpuE0ELNS1_3repE0EEENS1_36merge_oddeven_config_static_selectorELNS0_4arch9wavefront6targetE0EEEvSM_
                                        ; -- End function
	.set _ZN7rocprim17ROCPRIM_400000_NS6detail17trampoline_kernelINS0_14default_configENS1_38merge_sort_block_merge_config_selectorIlNS0_10empty_typeEEEZZNS1_27merge_sort_block_merge_implIS3_PlPS5_mZN2at6native12_GLOBAL__N_124unique_dim_cuda_templateIfEESt5tupleIJNSA_6TensorESF_SF_EERKSF_lbbbEUlllE_EE10hipError_tT0_T1_T2_jT3_P12ihipStream_tbPNSt15iterator_traitsISL_E10value_typeEPNSR_ISM_E10value_typeEPSN_NS1_7vsmem_tEENKUlT_SL_SM_SN_E_clIS8_S8_S9_S9_EESK_S10_SL_SM_SN_EUlS10_E1_NS1_11comp_targetILNS1_3genE0ELNS1_11target_archE4294967295ELNS1_3gpuE0ELNS1_3repE0EEENS1_36merge_oddeven_config_static_selectorELNS0_4arch9wavefront6targetE0EEEvSM_.num_vgpr, 17
	.set _ZN7rocprim17ROCPRIM_400000_NS6detail17trampoline_kernelINS0_14default_configENS1_38merge_sort_block_merge_config_selectorIlNS0_10empty_typeEEEZZNS1_27merge_sort_block_merge_implIS3_PlPS5_mZN2at6native12_GLOBAL__N_124unique_dim_cuda_templateIfEESt5tupleIJNSA_6TensorESF_SF_EERKSF_lbbbEUlllE_EE10hipError_tT0_T1_T2_jT3_P12ihipStream_tbPNSt15iterator_traitsISL_E10value_typeEPNSR_ISM_E10value_typeEPSN_NS1_7vsmem_tEENKUlT_SL_SM_SN_E_clIS8_S8_S9_S9_EESK_S10_SL_SM_SN_EUlS10_E1_NS1_11comp_targetILNS1_3genE0ELNS1_11target_archE4294967295ELNS1_3gpuE0ELNS1_3repE0EEENS1_36merge_oddeven_config_static_selectorELNS0_4arch9wavefront6targetE0EEEvSM_.num_agpr, 0
	.set _ZN7rocprim17ROCPRIM_400000_NS6detail17trampoline_kernelINS0_14default_configENS1_38merge_sort_block_merge_config_selectorIlNS0_10empty_typeEEEZZNS1_27merge_sort_block_merge_implIS3_PlPS5_mZN2at6native12_GLOBAL__N_124unique_dim_cuda_templateIfEESt5tupleIJNSA_6TensorESF_SF_EERKSF_lbbbEUlllE_EE10hipError_tT0_T1_T2_jT3_P12ihipStream_tbPNSt15iterator_traitsISL_E10value_typeEPNSR_ISM_E10value_typeEPSN_NS1_7vsmem_tEENKUlT_SL_SM_SN_E_clIS8_S8_S9_S9_EESK_S10_SL_SM_SN_EUlS10_E1_NS1_11comp_targetILNS1_3genE0ELNS1_11target_archE4294967295ELNS1_3gpuE0ELNS1_3repE0EEENS1_36merge_oddeven_config_static_selectorELNS0_4arch9wavefront6targetE0EEEvSM_.numbered_sgpr, 29
	.set _ZN7rocprim17ROCPRIM_400000_NS6detail17trampoline_kernelINS0_14default_configENS1_38merge_sort_block_merge_config_selectorIlNS0_10empty_typeEEEZZNS1_27merge_sort_block_merge_implIS3_PlPS5_mZN2at6native12_GLOBAL__N_124unique_dim_cuda_templateIfEESt5tupleIJNSA_6TensorESF_SF_EERKSF_lbbbEUlllE_EE10hipError_tT0_T1_T2_jT3_P12ihipStream_tbPNSt15iterator_traitsISL_E10value_typeEPNSR_ISM_E10value_typeEPSN_NS1_7vsmem_tEENKUlT_SL_SM_SN_E_clIS8_S8_S9_S9_EESK_S10_SL_SM_SN_EUlS10_E1_NS1_11comp_targetILNS1_3genE0ELNS1_11target_archE4294967295ELNS1_3gpuE0ELNS1_3repE0EEENS1_36merge_oddeven_config_static_selectorELNS0_4arch9wavefront6targetE0EEEvSM_.num_named_barrier, 0
	.set _ZN7rocprim17ROCPRIM_400000_NS6detail17trampoline_kernelINS0_14default_configENS1_38merge_sort_block_merge_config_selectorIlNS0_10empty_typeEEEZZNS1_27merge_sort_block_merge_implIS3_PlPS5_mZN2at6native12_GLOBAL__N_124unique_dim_cuda_templateIfEESt5tupleIJNSA_6TensorESF_SF_EERKSF_lbbbEUlllE_EE10hipError_tT0_T1_T2_jT3_P12ihipStream_tbPNSt15iterator_traitsISL_E10value_typeEPNSR_ISM_E10value_typeEPSN_NS1_7vsmem_tEENKUlT_SL_SM_SN_E_clIS8_S8_S9_S9_EESK_S10_SL_SM_SN_EUlS10_E1_NS1_11comp_targetILNS1_3genE0ELNS1_11target_archE4294967295ELNS1_3gpuE0ELNS1_3repE0EEENS1_36merge_oddeven_config_static_selectorELNS0_4arch9wavefront6targetE0EEEvSM_.private_seg_size, 0
	.set _ZN7rocprim17ROCPRIM_400000_NS6detail17trampoline_kernelINS0_14default_configENS1_38merge_sort_block_merge_config_selectorIlNS0_10empty_typeEEEZZNS1_27merge_sort_block_merge_implIS3_PlPS5_mZN2at6native12_GLOBAL__N_124unique_dim_cuda_templateIfEESt5tupleIJNSA_6TensorESF_SF_EERKSF_lbbbEUlllE_EE10hipError_tT0_T1_T2_jT3_P12ihipStream_tbPNSt15iterator_traitsISL_E10value_typeEPNSR_ISM_E10value_typeEPSN_NS1_7vsmem_tEENKUlT_SL_SM_SN_E_clIS8_S8_S9_S9_EESK_S10_SL_SM_SN_EUlS10_E1_NS1_11comp_targetILNS1_3genE0ELNS1_11target_archE4294967295ELNS1_3gpuE0ELNS1_3repE0EEENS1_36merge_oddeven_config_static_selectorELNS0_4arch9wavefront6targetE0EEEvSM_.uses_vcc, 1
	.set _ZN7rocprim17ROCPRIM_400000_NS6detail17trampoline_kernelINS0_14default_configENS1_38merge_sort_block_merge_config_selectorIlNS0_10empty_typeEEEZZNS1_27merge_sort_block_merge_implIS3_PlPS5_mZN2at6native12_GLOBAL__N_124unique_dim_cuda_templateIfEESt5tupleIJNSA_6TensorESF_SF_EERKSF_lbbbEUlllE_EE10hipError_tT0_T1_T2_jT3_P12ihipStream_tbPNSt15iterator_traitsISL_E10value_typeEPNSR_ISM_E10value_typeEPSN_NS1_7vsmem_tEENKUlT_SL_SM_SN_E_clIS8_S8_S9_S9_EESK_S10_SL_SM_SN_EUlS10_E1_NS1_11comp_targetILNS1_3genE0ELNS1_11target_archE4294967295ELNS1_3gpuE0ELNS1_3repE0EEENS1_36merge_oddeven_config_static_selectorELNS0_4arch9wavefront6targetE0EEEvSM_.uses_flat_scratch, 0
	.set _ZN7rocprim17ROCPRIM_400000_NS6detail17trampoline_kernelINS0_14default_configENS1_38merge_sort_block_merge_config_selectorIlNS0_10empty_typeEEEZZNS1_27merge_sort_block_merge_implIS3_PlPS5_mZN2at6native12_GLOBAL__N_124unique_dim_cuda_templateIfEESt5tupleIJNSA_6TensorESF_SF_EERKSF_lbbbEUlllE_EE10hipError_tT0_T1_T2_jT3_P12ihipStream_tbPNSt15iterator_traitsISL_E10value_typeEPNSR_ISM_E10value_typeEPSN_NS1_7vsmem_tEENKUlT_SL_SM_SN_E_clIS8_S8_S9_S9_EESK_S10_SL_SM_SN_EUlS10_E1_NS1_11comp_targetILNS1_3genE0ELNS1_11target_archE4294967295ELNS1_3gpuE0ELNS1_3repE0EEENS1_36merge_oddeven_config_static_selectorELNS0_4arch9wavefront6targetE0EEEvSM_.has_dyn_sized_stack, 0
	.set _ZN7rocprim17ROCPRIM_400000_NS6detail17trampoline_kernelINS0_14default_configENS1_38merge_sort_block_merge_config_selectorIlNS0_10empty_typeEEEZZNS1_27merge_sort_block_merge_implIS3_PlPS5_mZN2at6native12_GLOBAL__N_124unique_dim_cuda_templateIfEESt5tupleIJNSA_6TensorESF_SF_EERKSF_lbbbEUlllE_EE10hipError_tT0_T1_T2_jT3_P12ihipStream_tbPNSt15iterator_traitsISL_E10value_typeEPNSR_ISM_E10value_typeEPSN_NS1_7vsmem_tEENKUlT_SL_SM_SN_E_clIS8_S8_S9_S9_EESK_S10_SL_SM_SN_EUlS10_E1_NS1_11comp_targetILNS1_3genE0ELNS1_11target_archE4294967295ELNS1_3gpuE0ELNS1_3repE0EEENS1_36merge_oddeven_config_static_selectorELNS0_4arch9wavefront6targetE0EEEvSM_.has_recursion, 0
	.set _ZN7rocprim17ROCPRIM_400000_NS6detail17trampoline_kernelINS0_14default_configENS1_38merge_sort_block_merge_config_selectorIlNS0_10empty_typeEEEZZNS1_27merge_sort_block_merge_implIS3_PlPS5_mZN2at6native12_GLOBAL__N_124unique_dim_cuda_templateIfEESt5tupleIJNSA_6TensorESF_SF_EERKSF_lbbbEUlllE_EE10hipError_tT0_T1_T2_jT3_P12ihipStream_tbPNSt15iterator_traitsISL_E10value_typeEPNSR_ISM_E10value_typeEPSN_NS1_7vsmem_tEENKUlT_SL_SM_SN_E_clIS8_S8_S9_S9_EESK_S10_SL_SM_SN_EUlS10_E1_NS1_11comp_targetILNS1_3genE0ELNS1_11target_archE4294967295ELNS1_3gpuE0ELNS1_3repE0EEENS1_36merge_oddeven_config_static_selectorELNS0_4arch9wavefront6targetE0EEEvSM_.has_indirect_call, 0
	.section	.AMDGPU.csdata,"",@progbits
; Kernel info:
; codeLenInByte = 1672
; TotalNumSgprs: 31
; NumVgprs: 17
; ScratchSize: 0
; MemoryBound: 0
; FloatMode: 240
; IeeeMode: 1
; LDSByteSize: 0 bytes/workgroup (compile time only)
; SGPRBlocks: 0
; VGPRBlocks: 1
; NumSGPRsForWavesPerEU: 31
; NumVGPRsForWavesPerEU: 17
; NamedBarCnt: 0
; Occupancy: 16
; WaveLimiterHint : 0
; COMPUTE_PGM_RSRC2:SCRATCH_EN: 0
; COMPUTE_PGM_RSRC2:USER_SGPR: 2
; COMPUTE_PGM_RSRC2:TRAP_HANDLER: 0
; COMPUTE_PGM_RSRC2:TGID_X_EN: 1
; COMPUTE_PGM_RSRC2:TGID_Y_EN: 0
; COMPUTE_PGM_RSRC2:TGID_Z_EN: 0
; COMPUTE_PGM_RSRC2:TIDIG_COMP_CNT: 0
	.section	.text._ZN7rocprim17ROCPRIM_400000_NS6detail17trampoline_kernelINS0_14default_configENS1_38merge_sort_block_merge_config_selectorIlNS0_10empty_typeEEEZZNS1_27merge_sort_block_merge_implIS3_PlPS5_mZN2at6native12_GLOBAL__N_124unique_dim_cuda_templateIfEESt5tupleIJNSA_6TensorESF_SF_EERKSF_lbbbEUlllE_EE10hipError_tT0_T1_T2_jT3_P12ihipStream_tbPNSt15iterator_traitsISL_E10value_typeEPNSR_ISM_E10value_typeEPSN_NS1_7vsmem_tEENKUlT_SL_SM_SN_E_clIS8_S8_S9_S9_EESK_S10_SL_SM_SN_EUlS10_E1_NS1_11comp_targetILNS1_3genE10ELNS1_11target_archE1201ELNS1_3gpuE5ELNS1_3repE0EEENS1_36merge_oddeven_config_static_selectorELNS0_4arch9wavefront6targetE0EEEvSM_,"axG",@progbits,_ZN7rocprim17ROCPRIM_400000_NS6detail17trampoline_kernelINS0_14default_configENS1_38merge_sort_block_merge_config_selectorIlNS0_10empty_typeEEEZZNS1_27merge_sort_block_merge_implIS3_PlPS5_mZN2at6native12_GLOBAL__N_124unique_dim_cuda_templateIfEESt5tupleIJNSA_6TensorESF_SF_EERKSF_lbbbEUlllE_EE10hipError_tT0_T1_T2_jT3_P12ihipStream_tbPNSt15iterator_traitsISL_E10value_typeEPNSR_ISM_E10value_typeEPSN_NS1_7vsmem_tEENKUlT_SL_SM_SN_E_clIS8_S8_S9_S9_EESK_S10_SL_SM_SN_EUlS10_E1_NS1_11comp_targetILNS1_3genE10ELNS1_11target_archE1201ELNS1_3gpuE5ELNS1_3repE0EEENS1_36merge_oddeven_config_static_selectorELNS0_4arch9wavefront6targetE0EEEvSM_,comdat
	.globl	_ZN7rocprim17ROCPRIM_400000_NS6detail17trampoline_kernelINS0_14default_configENS1_38merge_sort_block_merge_config_selectorIlNS0_10empty_typeEEEZZNS1_27merge_sort_block_merge_implIS3_PlPS5_mZN2at6native12_GLOBAL__N_124unique_dim_cuda_templateIfEESt5tupleIJNSA_6TensorESF_SF_EERKSF_lbbbEUlllE_EE10hipError_tT0_T1_T2_jT3_P12ihipStream_tbPNSt15iterator_traitsISL_E10value_typeEPNSR_ISM_E10value_typeEPSN_NS1_7vsmem_tEENKUlT_SL_SM_SN_E_clIS8_S8_S9_S9_EESK_S10_SL_SM_SN_EUlS10_E1_NS1_11comp_targetILNS1_3genE10ELNS1_11target_archE1201ELNS1_3gpuE5ELNS1_3repE0EEENS1_36merge_oddeven_config_static_selectorELNS0_4arch9wavefront6targetE0EEEvSM_ ; -- Begin function _ZN7rocprim17ROCPRIM_400000_NS6detail17trampoline_kernelINS0_14default_configENS1_38merge_sort_block_merge_config_selectorIlNS0_10empty_typeEEEZZNS1_27merge_sort_block_merge_implIS3_PlPS5_mZN2at6native12_GLOBAL__N_124unique_dim_cuda_templateIfEESt5tupleIJNSA_6TensorESF_SF_EERKSF_lbbbEUlllE_EE10hipError_tT0_T1_T2_jT3_P12ihipStream_tbPNSt15iterator_traitsISL_E10value_typeEPNSR_ISM_E10value_typeEPSN_NS1_7vsmem_tEENKUlT_SL_SM_SN_E_clIS8_S8_S9_S9_EESK_S10_SL_SM_SN_EUlS10_E1_NS1_11comp_targetILNS1_3genE10ELNS1_11target_archE1201ELNS1_3gpuE5ELNS1_3repE0EEENS1_36merge_oddeven_config_static_selectorELNS0_4arch9wavefront6targetE0EEEvSM_
	.p2align	8
	.type	_ZN7rocprim17ROCPRIM_400000_NS6detail17trampoline_kernelINS0_14default_configENS1_38merge_sort_block_merge_config_selectorIlNS0_10empty_typeEEEZZNS1_27merge_sort_block_merge_implIS3_PlPS5_mZN2at6native12_GLOBAL__N_124unique_dim_cuda_templateIfEESt5tupleIJNSA_6TensorESF_SF_EERKSF_lbbbEUlllE_EE10hipError_tT0_T1_T2_jT3_P12ihipStream_tbPNSt15iterator_traitsISL_E10value_typeEPNSR_ISM_E10value_typeEPSN_NS1_7vsmem_tEENKUlT_SL_SM_SN_E_clIS8_S8_S9_S9_EESK_S10_SL_SM_SN_EUlS10_E1_NS1_11comp_targetILNS1_3genE10ELNS1_11target_archE1201ELNS1_3gpuE5ELNS1_3repE0EEENS1_36merge_oddeven_config_static_selectorELNS0_4arch9wavefront6targetE0EEEvSM_,@function
_ZN7rocprim17ROCPRIM_400000_NS6detail17trampoline_kernelINS0_14default_configENS1_38merge_sort_block_merge_config_selectorIlNS0_10empty_typeEEEZZNS1_27merge_sort_block_merge_implIS3_PlPS5_mZN2at6native12_GLOBAL__N_124unique_dim_cuda_templateIfEESt5tupleIJNSA_6TensorESF_SF_EERKSF_lbbbEUlllE_EE10hipError_tT0_T1_T2_jT3_P12ihipStream_tbPNSt15iterator_traitsISL_E10value_typeEPNSR_ISM_E10value_typeEPSN_NS1_7vsmem_tEENKUlT_SL_SM_SN_E_clIS8_S8_S9_S9_EESK_S10_SL_SM_SN_EUlS10_E1_NS1_11comp_targetILNS1_3genE10ELNS1_11target_archE1201ELNS1_3gpuE5ELNS1_3repE0EEENS1_36merge_oddeven_config_static_selectorELNS0_4arch9wavefront6targetE0EEEvSM_: ; @_ZN7rocprim17ROCPRIM_400000_NS6detail17trampoline_kernelINS0_14default_configENS1_38merge_sort_block_merge_config_selectorIlNS0_10empty_typeEEEZZNS1_27merge_sort_block_merge_implIS3_PlPS5_mZN2at6native12_GLOBAL__N_124unique_dim_cuda_templateIfEESt5tupleIJNSA_6TensorESF_SF_EERKSF_lbbbEUlllE_EE10hipError_tT0_T1_T2_jT3_P12ihipStream_tbPNSt15iterator_traitsISL_E10value_typeEPNSR_ISM_E10value_typeEPSN_NS1_7vsmem_tEENKUlT_SL_SM_SN_E_clIS8_S8_S9_S9_EESK_S10_SL_SM_SN_EUlS10_E1_NS1_11comp_targetILNS1_3genE10ELNS1_11target_archE1201ELNS1_3gpuE5ELNS1_3repE0EEENS1_36merge_oddeven_config_static_selectorELNS0_4arch9wavefront6targetE0EEEvSM_
; %bb.0:
	.section	.rodata,"a",@progbits
	.p2align	6, 0x0
	.amdhsa_kernel _ZN7rocprim17ROCPRIM_400000_NS6detail17trampoline_kernelINS0_14default_configENS1_38merge_sort_block_merge_config_selectorIlNS0_10empty_typeEEEZZNS1_27merge_sort_block_merge_implIS3_PlPS5_mZN2at6native12_GLOBAL__N_124unique_dim_cuda_templateIfEESt5tupleIJNSA_6TensorESF_SF_EERKSF_lbbbEUlllE_EE10hipError_tT0_T1_T2_jT3_P12ihipStream_tbPNSt15iterator_traitsISL_E10value_typeEPNSR_ISM_E10value_typeEPSN_NS1_7vsmem_tEENKUlT_SL_SM_SN_E_clIS8_S8_S9_S9_EESK_S10_SL_SM_SN_EUlS10_E1_NS1_11comp_targetILNS1_3genE10ELNS1_11target_archE1201ELNS1_3gpuE5ELNS1_3repE0EEENS1_36merge_oddeven_config_static_selectorELNS0_4arch9wavefront6targetE0EEEvSM_
		.amdhsa_group_segment_fixed_size 0
		.amdhsa_private_segment_fixed_size 0
		.amdhsa_kernarg_size 64
		.amdhsa_user_sgpr_count 2
		.amdhsa_user_sgpr_dispatch_ptr 0
		.amdhsa_user_sgpr_queue_ptr 0
		.amdhsa_user_sgpr_kernarg_segment_ptr 1
		.amdhsa_user_sgpr_dispatch_id 0
		.amdhsa_user_sgpr_kernarg_preload_length 0
		.amdhsa_user_sgpr_kernarg_preload_offset 0
		.amdhsa_user_sgpr_private_segment_size 0
		.amdhsa_wavefront_size32 1
		.amdhsa_uses_dynamic_stack 0
		.amdhsa_enable_private_segment 0
		.amdhsa_system_sgpr_workgroup_id_x 1
		.amdhsa_system_sgpr_workgroup_id_y 0
		.amdhsa_system_sgpr_workgroup_id_z 0
		.amdhsa_system_sgpr_workgroup_info 0
		.amdhsa_system_vgpr_workitem_id 0
		.amdhsa_next_free_vgpr 1
		.amdhsa_next_free_sgpr 1
		.amdhsa_named_barrier_count 0
		.amdhsa_reserve_vcc 0
		.amdhsa_float_round_mode_32 0
		.amdhsa_float_round_mode_16_64 0
		.amdhsa_float_denorm_mode_32 3
		.amdhsa_float_denorm_mode_16_64 3
		.amdhsa_fp16_overflow 0
		.amdhsa_memory_ordered 1
		.amdhsa_forward_progress 1
		.amdhsa_inst_pref_size 0
		.amdhsa_round_robin_scheduling 0
		.amdhsa_exception_fp_ieee_invalid_op 0
		.amdhsa_exception_fp_denorm_src 0
		.amdhsa_exception_fp_ieee_div_zero 0
		.amdhsa_exception_fp_ieee_overflow 0
		.amdhsa_exception_fp_ieee_underflow 0
		.amdhsa_exception_fp_ieee_inexact 0
		.amdhsa_exception_int_div_zero 0
	.end_amdhsa_kernel
	.section	.text._ZN7rocprim17ROCPRIM_400000_NS6detail17trampoline_kernelINS0_14default_configENS1_38merge_sort_block_merge_config_selectorIlNS0_10empty_typeEEEZZNS1_27merge_sort_block_merge_implIS3_PlPS5_mZN2at6native12_GLOBAL__N_124unique_dim_cuda_templateIfEESt5tupleIJNSA_6TensorESF_SF_EERKSF_lbbbEUlllE_EE10hipError_tT0_T1_T2_jT3_P12ihipStream_tbPNSt15iterator_traitsISL_E10value_typeEPNSR_ISM_E10value_typeEPSN_NS1_7vsmem_tEENKUlT_SL_SM_SN_E_clIS8_S8_S9_S9_EESK_S10_SL_SM_SN_EUlS10_E1_NS1_11comp_targetILNS1_3genE10ELNS1_11target_archE1201ELNS1_3gpuE5ELNS1_3repE0EEENS1_36merge_oddeven_config_static_selectorELNS0_4arch9wavefront6targetE0EEEvSM_,"axG",@progbits,_ZN7rocprim17ROCPRIM_400000_NS6detail17trampoline_kernelINS0_14default_configENS1_38merge_sort_block_merge_config_selectorIlNS0_10empty_typeEEEZZNS1_27merge_sort_block_merge_implIS3_PlPS5_mZN2at6native12_GLOBAL__N_124unique_dim_cuda_templateIfEESt5tupleIJNSA_6TensorESF_SF_EERKSF_lbbbEUlllE_EE10hipError_tT0_T1_T2_jT3_P12ihipStream_tbPNSt15iterator_traitsISL_E10value_typeEPNSR_ISM_E10value_typeEPSN_NS1_7vsmem_tEENKUlT_SL_SM_SN_E_clIS8_S8_S9_S9_EESK_S10_SL_SM_SN_EUlS10_E1_NS1_11comp_targetILNS1_3genE10ELNS1_11target_archE1201ELNS1_3gpuE5ELNS1_3repE0EEENS1_36merge_oddeven_config_static_selectorELNS0_4arch9wavefront6targetE0EEEvSM_,comdat
.Lfunc_end897:
	.size	_ZN7rocprim17ROCPRIM_400000_NS6detail17trampoline_kernelINS0_14default_configENS1_38merge_sort_block_merge_config_selectorIlNS0_10empty_typeEEEZZNS1_27merge_sort_block_merge_implIS3_PlPS5_mZN2at6native12_GLOBAL__N_124unique_dim_cuda_templateIfEESt5tupleIJNSA_6TensorESF_SF_EERKSF_lbbbEUlllE_EE10hipError_tT0_T1_T2_jT3_P12ihipStream_tbPNSt15iterator_traitsISL_E10value_typeEPNSR_ISM_E10value_typeEPSN_NS1_7vsmem_tEENKUlT_SL_SM_SN_E_clIS8_S8_S9_S9_EESK_S10_SL_SM_SN_EUlS10_E1_NS1_11comp_targetILNS1_3genE10ELNS1_11target_archE1201ELNS1_3gpuE5ELNS1_3repE0EEENS1_36merge_oddeven_config_static_selectorELNS0_4arch9wavefront6targetE0EEEvSM_, .Lfunc_end897-_ZN7rocprim17ROCPRIM_400000_NS6detail17trampoline_kernelINS0_14default_configENS1_38merge_sort_block_merge_config_selectorIlNS0_10empty_typeEEEZZNS1_27merge_sort_block_merge_implIS3_PlPS5_mZN2at6native12_GLOBAL__N_124unique_dim_cuda_templateIfEESt5tupleIJNSA_6TensorESF_SF_EERKSF_lbbbEUlllE_EE10hipError_tT0_T1_T2_jT3_P12ihipStream_tbPNSt15iterator_traitsISL_E10value_typeEPNSR_ISM_E10value_typeEPSN_NS1_7vsmem_tEENKUlT_SL_SM_SN_E_clIS8_S8_S9_S9_EESK_S10_SL_SM_SN_EUlS10_E1_NS1_11comp_targetILNS1_3genE10ELNS1_11target_archE1201ELNS1_3gpuE5ELNS1_3repE0EEENS1_36merge_oddeven_config_static_selectorELNS0_4arch9wavefront6targetE0EEEvSM_
                                        ; -- End function
	.set _ZN7rocprim17ROCPRIM_400000_NS6detail17trampoline_kernelINS0_14default_configENS1_38merge_sort_block_merge_config_selectorIlNS0_10empty_typeEEEZZNS1_27merge_sort_block_merge_implIS3_PlPS5_mZN2at6native12_GLOBAL__N_124unique_dim_cuda_templateIfEESt5tupleIJNSA_6TensorESF_SF_EERKSF_lbbbEUlllE_EE10hipError_tT0_T1_T2_jT3_P12ihipStream_tbPNSt15iterator_traitsISL_E10value_typeEPNSR_ISM_E10value_typeEPSN_NS1_7vsmem_tEENKUlT_SL_SM_SN_E_clIS8_S8_S9_S9_EESK_S10_SL_SM_SN_EUlS10_E1_NS1_11comp_targetILNS1_3genE10ELNS1_11target_archE1201ELNS1_3gpuE5ELNS1_3repE0EEENS1_36merge_oddeven_config_static_selectorELNS0_4arch9wavefront6targetE0EEEvSM_.num_vgpr, 0
	.set _ZN7rocprim17ROCPRIM_400000_NS6detail17trampoline_kernelINS0_14default_configENS1_38merge_sort_block_merge_config_selectorIlNS0_10empty_typeEEEZZNS1_27merge_sort_block_merge_implIS3_PlPS5_mZN2at6native12_GLOBAL__N_124unique_dim_cuda_templateIfEESt5tupleIJNSA_6TensorESF_SF_EERKSF_lbbbEUlllE_EE10hipError_tT0_T1_T2_jT3_P12ihipStream_tbPNSt15iterator_traitsISL_E10value_typeEPNSR_ISM_E10value_typeEPSN_NS1_7vsmem_tEENKUlT_SL_SM_SN_E_clIS8_S8_S9_S9_EESK_S10_SL_SM_SN_EUlS10_E1_NS1_11comp_targetILNS1_3genE10ELNS1_11target_archE1201ELNS1_3gpuE5ELNS1_3repE0EEENS1_36merge_oddeven_config_static_selectorELNS0_4arch9wavefront6targetE0EEEvSM_.num_agpr, 0
	.set _ZN7rocprim17ROCPRIM_400000_NS6detail17trampoline_kernelINS0_14default_configENS1_38merge_sort_block_merge_config_selectorIlNS0_10empty_typeEEEZZNS1_27merge_sort_block_merge_implIS3_PlPS5_mZN2at6native12_GLOBAL__N_124unique_dim_cuda_templateIfEESt5tupleIJNSA_6TensorESF_SF_EERKSF_lbbbEUlllE_EE10hipError_tT0_T1_T2_jT3_P12ihipStream_tbPNSt15iterator_traitsISL_E10value_typeEPNSR_ISM_E10value_typeEPSN_NS1_7vsmem_tEENKUlT_SL_SM_SN_E_clIS8_S8_S9_S9_EESK_S10_SL_SM_SN_EUlS10_E1_NS1_11comp_targetILNS1_3genE10ELNS1_11target_archE1201ELNS1_3gpuE5ELNS1_3repE0EEENS1_36merge_oddeven_config_static_selectorELNS0_4arch9wavefront6targetE0EEEvSM_.numbered_sgpr, 0
	.set _ZN7rocprim17ROCPRIM_400000_NS6detail17trampoline_kernelINS0_14default_configENS1_38merge_sort_block_merge_config_selectorIlNS0_10empty_typeEEEZZNS1_27merge_sort_block_merge_implIS3_PlPS5_mZN2at6native12_GLOBAL__N_124unique_dim_cuda_templateIfEESt5tupleIJNSA_6TensorESF_SF_EERKSF_lbbbEUlllE_EE10hipError_tT0_T1_T2_jT3_P12ihipStream_tbPNSt15iterator_traitsISL_E10value_typeEPNSR_ISM_E10value_typeEPSN_NS1_7vsmem_tEENKUlT_SL_SM_SN_E_clIS8_S8_S9_S9_EESK_S10_SL_SM_SN_EUlS10_E1_NS1_11comp_targetILNS1_3genE10ELNS1_11target_archE1201ELNS1_3gpuE5ELNS1_3repE0EEENS1_36merge_oddeven_config_static_selectorELNS0_4arch9wavefront6targetE0EEEvSM_.num_named_barrier, 0
	.set _ZN7rocprim17ROCPRIM_400000_NS6detail17trampoline_kernelINS0_14default_configENS1_38merge_sort_block_merge_config_selectorIlNS0_10empty_typeEEEZZNS1_27merge_sort_block_merge_implIS3_PlPS5_mZN2at6native12_GLOBAL__N_124unique_dim_cuda_templateIfEESt5tupleIJNSA_6TensorESF_SF_EERKSF_lbbbEUlllE_EE10hipError_tT0_T1_T2_jT3_P12ihipStream_tbPNSt15iterator_traitsISL_E10value_typeEPNSR_ISM_E10value_typeEPSN_NS1_7vsmem_tEENKUlT_SL_SM_SN_E_clIS8_S8_S9_S9_EESK_S10_SL_SM_SN_EUlS10_E1_NS1_11comp_targetILNS1_3genE10ELNS1_11target_archE1201ELNS1_3gpuE5ELNS1_3repE0EEENS1_36merge_oddeven_config_static_selectorELNS0_4arch9wavefront6targetE0EEEvSM_.private_seg_size, 0
	.set _ZN7rocprim17ROCPRIM_400000_NS6detail17trampoline_kernelINS0_14default_configENS1_38merge_sort_block_merge_config_selectorIlNS0_10empty_typeEEEZZNS1_27merge_sort_block_merge_implIS3_PlPS5_mZN2at6native12_GLOBAL__N_124unique_dim_cuda_templateIfEESt5tupleIJNSA_6TensorESF_SF_EERKSF_lbbbEUlllE_EE10hipError_tT0_T1_T2_jT3_P12ihipStream_tbPNSt15iterator_traitsISL_E10value_typeEPNSR_ISM_E10value_typeEPSN_NS1_7vsmem_tEENKUlT_SL_SM_SN_E_clIS8_S8_S9_S9_EESK_S10_SL_SM_SN_EUlS10_E1_NS1_11comp_targetILNS1_3genE10ELNS1_11target_archE1201ELNS1_3gpuE5ELNS1_3repE0EEENS1_36merge_oddeven_config_static_selectorELNS0_4arch9wavefront6targetE0EEEvSM_.uses_vcc, 0
	.set _ZN7rocprim17ROCPRIM_400000_NS6detail17trampoline_kernelINS0_14default_configENS1_38merge_sort_block_merge_config_selectorIlNS0_10empty_typeEEEZZNS1_27merge_sort_block_merge_implIS3_PlPS5_mZN2at6native12_GLOBAL__N_124unique_dim_cuda_templateIfEESt5tupleIJNSA_6TensorESF_SF_EERKSF_lbbbEUlllE_EE10hipError_tT0_T1_T2_jT3_P12ihipStream_tbPNSt15iterator_traitsISL_E10value_typeEPNSR_ISM_E10value_typeEPSN_NS1_7vsmem_tEENKUlT_SL_SM_SN_E_clIS8_S8_S9_S9_EESK_S10_SL_SM_SN_EUlS10_E1_NS1_11comp_targetILNS1_3genE10ELNS1_11target_archE1201ELNS1_3gpuE5ELNS1_3repE0EEENS1_36merge_oddeven_config_static_selectorELNS0_4arch9wavefront6targetE0EEEvSM_.uses_flat_scratch, 0
	.set _ZN7rocprim17ROCPRIM_400000_NS6detail17trampoline_kernelINS0_14default_configENS1_38merge_sort_block_merge_config_selectorIlNS0_10empty_typeEEEZZNS1_27merge_sort_block_merge_implIS3_PlPS5_mZN2at6native12_GLOBAL__N_124unique_dim_cuda_templateIfEESt5tupleIJNSA_6TensorESF_SF_EERKSF_lbbbEUlllE_EE10hipError_tT0_T1_T2_jT3_P12ihipStream_tbPNSt15iterator_traitsISL_E10value_typeEPNSR_ISM_E10value_typeEPSN_NS1_7vsmem_tEENKUlT_SL_SM_SN_E_clIS8_S8_S9_S9_EESK_S10_SL_SM_SN_EUlS10_E1_NS1_11comp_targetILNS1_3genE10ELNS1_11target_archE1201ELNS1_3gpuE5ELNS1_3repE0EEENS1_36merge_oddeven_config_static_selectorELNS0_4arch9wavefront6targetE0EEEvSM_.has_dyn_sized_stack, 0
	.set _ZN7rocprim17ROCPRIM_400000_NS6detail17trampoline_kernelINS0_14default_configENS1_38merge_sort_block_merge_config_selectorIlNS0_10empty_typeEEEZZNS1_27merge_sort_block_merge_implIS3_PlPS5_mZN2at6native12_GLOBAL__N_124unique_dim_cuda_templateIfEESt5tupleIJNSA_6TensorESF_SF_EERKSF_lbbbEUlllE_EE10hipError_tT0_T1_T2_jT3_P12ihipStream_tbPNSt15iterator_traitsISL_E10value_typeEPNSR_ISM_E10value_typeEPSN_NS1_7vsmem_tEENKUlT_SL_SM_SN_E_clIS8_S8_S9_S9_EESK_S10_SL_SM_SN_EUlS10_E1_NS1_11comp_targetILNS1_3genE10ELNS1_11target_archE1201ELNS1_3gpuE5ELNS1_3repE0EEENS1_36merge_oddeven_config_static_selectorELNS0_4arch9wavefront6targetE0EEEvSM_.has_recursion, 0
	.set _ZN7rocprim17ROCPRIM_400000_NS6detail17trampoline_kernelINS0_14default_configENS1_38merge_sort_block_merge_config_selectorIlNS0_10empty_typeEEEZZNS1_27merge_sort_block_merge_implIS3_PlPS5_mZN2at6native12_GLOBAL__N_124unique_dim_cuda_templateIfEESt5tupleIJNSA_6TensorESF_SF_EERKSF_lbbbEUlllE_EE10hipError_tT0_T1_T2_jT3_P12ihipStream_tbPNSt15iterator_traitsISL_E10value_typeEPNSR_ISM_E10value_typeEPSN_NS1_7vsmem_tEENKUlT_SL_SM_SN_E_clIS8_S8_S9_S9_EESK_S10_SL_SM_SN_EUlS10_E1_NS1_11comp_targetILNS1_3genE10ELNS1_11target_archE1201ELNS1_3gpuE5ELNS1_3repE0EEENS1_36merge_oddeven_config_static_selectorELNS0_4arch9wavefront6targetE0EEEvSM_.has_indirect_call, 0
	.section	.AMDGPU.csdata,"",@progbits
; Kernel info:
; codeLenInByte = 0
; TotalNumSgprs: 0
; NumVgprs: 0
; ScratchSize: 0
; MemoryBound: 0
; FloatMode: 240
; IeeeMode: 1
; LDSByteSize: 0 bytes/workgroup (compile time only)
; SGPRBlocks: 0
; VGPRBlocks: 0
; NumSGPRsForWavesPerEU: 1
; NumVGPRsForWavesPerEU: 1
; NamedBarCnt: 0
; Occupancy: 16
; WaveLimiterHint : 0
; COMPUTE_PGM_RSRC2:SCRATCH_EN: 0
; COMPUTE_PGM_RSRC2:USER_SGPR: 2
; COMPUTE_PGM_RSRC2:TRAP_HANDLER: 0
; COMPUTE_PGM_RSRC2:TGID_X_EN: 1
; COMPUTE_PGM_RSRC2:TGID_Y_EN: 0
; COMPUTE_PGM_RSRC2:TGID_Z_EN: 0
; COMPUTE_PGM_RSRC2:TIDIG_COMP_CNT: 0
	.section	.text._ZN7rocprim17ROCPRIM_400000_NS6detail17trampoline_kernelINS0_14default_configENS1_38merge_sort_block_merge_config_selectorIlNS0_10empty_typeEEEZZNS1_27merge_sort_block_merge_implIS3_PlPS5_mZN2at6native12_GLOBAL__N_124unique_dim_cuda_templateIfEESt5tupleIJNSA_6TensorESF_SF_EERKSF_lbbbEUlllE_EE10hipError_tT0_T1_T2_jT3_P12ihipStream_tbPNSt15iterator_traitsISL_E10value_typeEPNSR_ISM_E10value_typeEPSN_NS1_7vsmem_tEENKUlT_SL_SM_SN_E_clIS8_S8_S9_S9_EESK_S10_SL_SM_SN_EUlS10_E1_NS1_11comp_targetILNS1_3genE5ELNS1_11target_archE942ELNS1_3gpuE9ELNS1_3repE0EEENS1_36merge_oddeven_config_static_selectorELNS0_4arch9wavefront6targetE0EEEvSM_,"axG",@progbits,_ZN7rocprim17ROCPRIM_400000_NS6detail17trampoline_kernelINS0_14default_configENS1_38merge_sort_block_merge_config_selectorIlNS0_10empty_typeEEEZZNS1_27merge_sort_block_merge_implIS3_PlPS5_mZN2at6native12_GLOBAL__N_124unique_dim_cuda_templateIfEESt5tupleIJNSA_6TensorESF_SF_EERKSF_lbbbEUlllE_EE10hipError_tT0_T1_T2_jT3_P12ihipStream_tbPNSt15iterator_traitsISL_E10value_typeEPNSR_ISM_E10value_typeEPSN_NS1_7vsmem_tEENKUlT_SL_SM_SN_E_clIS8_S8_S9_S9_EESK_S10_SL_SM_SN_EUlS10_E1_NS1_11comp_targetILNS1_3genE5ELNS1_11target_archE942ELNS1_3gpuE9ELNS1_3repE0EEENS1_36merge_oddeven_config_static_selectorELNS0_4arch9wavefront6targetE0EEEvSM_,comdat
	.globl	_ZN7rocprim17ROCPRIM_400000_NS6detail17trampoline_kernelINS0_14default_configENS1_38merge_sort_block_merge_config_selectorIlNS0_10empty_typeEEEZZNS1_27merge_sort_block_merge_implIS3_PlPS5_mZN2at6native12_GLOBAL__N_124unique_dim_cuda_templateIfEESt5tupleIJNSA_6TensorESF_SF_EERKSF_lbbbEUlllE_EE10hipError_tT0_T1_T2_jT3_P12ihipStream_tbPNSt15iterator_traitsISL_E10value_typeEPNSR_ISM_E10value_typeEPSN_NS1_7vsmem_tEENKUlT_SL_SM_SN_E_clIS8_S8_S9_S9_EESK_S10_SL_SM_SN_EUlS10_E1_NS1_11comp_targetILNS1_3genE5ELNS1_11target_archE942ELNS1_3gpuE9ELNS1_3repE0EEENS1_36merge_oddeven_config_static_selectorELNS0_4arch9wavefront6targetE0EEEvSM_ ; -- Begin function _ZN7rocprim17ROCPRIM_400000_NS6detail17trampoline_kernelINS0_14default_configENS1_38merge_sort_block_merge_config_selectorIlNS0_10empty_typeEEEZZNS1_27merge_sort_block_merge_implIS3_PlPS5_mZN2at6native12_GLOBAL__N_124unique_dim_cuda_templateIfEESt5tupleIJNSA_6TensorESF_SF_EERKSF_lbbbEUlllE_EE10hipError_tT0_T1_T2_jT3_P12ihipStream_tbPNSt15iterator_traitsISL_E10value_typeEPNSR_ISM_E10value_typeEPSN_NS1_7vsmem_tEENKUlT_SL_SM_SN_E_clIS8_S8_S9_S9_EESK_S10_SL_SM_SN_EUlS10_E1_NS1_11comp_targetILNS1_3genE5ELNS1_11target_archE942ELNS1_3gpuE9ELNS1_3repE0EEENS1_36merge_oddeven_config_static_selectorELNS0_4arch9wavefront6targetE0EEEvSM_
	.p2align	8
	.type	_ZN7rocprim17ROCPRIM_400000_NS6detail17trampoline_kernelINS0_14default_configENS1_38merge_sort_block_merge_config_selectorIlNS0_10empty_typeEEEZZNS1_27merge_sort_block_merge_implIS3_PlPS5_mZN2at6native12_GLOBAL__N_124unique_dim_cuda_templateIfEESt5tupleIJNSA_6TensorESF_SF_EERKSF_lbbbEUlllE_EE10hipError_tT0_T1_T2_jT3_P12ihipStream_tbPNSt15iterator_traitsISL_E10value_typeEPNSR_ISM_E10value_typeEPSN_NS1_7vsmem_tEENKUlT_SL_SM_SN_E_clIS8_S8_S9_S9_EESK_S10_SL_SM_SN_EUlS10_E1_NS1_11comp_targetILNS1_3genE5ELNS1_11target_archE942ELNS1_3gpuE9ELNS1_3repE0EEENS1_36merge_oddeven_config_static_selectorELNS0_4arch9wavefront6targetE0EEEvSM_,@function
_ZN7rocprim17ROCPRIM_400000_NS6detail17trampoline_kernelINS0_14default_configENS1_38merge_sort_block_merge_config_selectorIlNS0_10empty_typeEEEZZNS1_27merge_sort_block_merge_implIS3_PlPS5_mZN2at6native12_GLOBAL__N_124unique_dim_cuda_templateIfEESt5tupleIJNSA_6TensorESF_SF_EERKSF_lbbbEUlllE_EE10hipError_tT0_T1_T2_jT3_P12ihipStream_tbPNSt15iterator_traitsISL_E10value_typeEPNSR_ISM_E10value_typeEPSN_NS1_7vsmem_tEENKUlT_SL_SM_SN_E_clIS8_S8_S9_S9_EESK_S10_SL_SM_SN_EUlS10_E1_NS1_11comp_targetILNS1_3genE5ELNS1_11target_archE942ELNS1_3gpuE9ELNS1_3repE0EEENS1_36merge_oddeven_config_static_selectorELNS0_4arch9wavefront6targetE0EEEvSM_: ; @_ZN7rocprim17ROCPRIM_400000_NS6detail17trampoline_kernelINS0_14default_configENS1_38merge_sort_block_merge_config_selectorIlNS0_10empty_typeEEEZZNS1_27merge_sort_block_merge_implIS3_PlPS5_mZN2at6native12_GLOBAL__N_124unique_dim_cuda_templateIfEESt5tupleIJNSA_6TensorESF_SF_EERKSF_lbbbEUlllE_EE10hipError_tT0_T1_T2_jT3_P12ihipStream_tbPNSt15iterator_traitsISL_E10value_typeEPNSR_ISM_E10value_typeEPSN_NS1_7vsmem_tEENKUlT_SL_SM_SN_E_clIS8_S8_S9_S9_EESK_S10_SL_SM_SN_EUlS10_E1_NS1_11comp_targetILNS1_3genE5ELNS1_11target_archE942ELNS1_3gpuE9ELNS1_3repE0EEENS1_36merge_oddeven_config_static_selectorELNS0_4arch9wavefront6targetE0EEEvSM_
; %bb.0:
	.section	.rodata,"a",@progbits
	.p2align	6, 0x0
	.amdhsa_kernel _ZN7rocprim17ROCPRIM_400000_NS6detail17trampoline_kernelINS0_14default_configENS1_38merge_sort_block_merge_config_selectorIlNS0_10empty_typeEEEZZNS1_27merge_sort_block_merge_implIS3_PlPS5_mZN2at6native12_GLOBAL__N_124unique_dim_cuda_templateIfEESt5tupleIJNSA_6TensorESF_SF_EERKSF_lbbbEUlllE_EE10hipError_tT0_T1_T2_jT3_P12ihipStream_tbPNSt15iterator_traitsISL_E10value_typeEPNSR_ISM_E10value_typeEPSN_NS1_7vsmem_tEENKUlT_SL_SM_SN_E_clIS8_S8_S9_S9_EESK_S10_SL_SM_SN_EUlS10_E1_NS1_11comp_targetILNS1_3genE5ELNS1_11target_archE942ELNS1_3gpuE9ELNS1_3repE0EEENS1_36merge_oddeven_config_static_selectorELNS0_4arch9wavefront6targetE0EEEvSM_
		.amdhsa_group_segment_fixed_size 0
		.amdhsa_private_segment_fixed_size 0
		.amdhsa_kernarg_size 64
		.amdhsa_user_sgpr_count 2
		.amdhsa_user_sgpr_dispatch_ptr 0
		.amdhsa_user_sgpr_queue_ptr 0
		.amdhsa_user_sgpr_kernarg_segment_ptr 1
		.amdhsa_user_sgpr_dispatch_id 0
		.amdhsa_user_sgpr_kernarg_preload_length 0
		.amdhsa_user_sgpr_kernarg_preload_offset 0
		.amdhsa_user_sgpr_private_segment_size 0
		.amdhsa_wavefront_size32 1
		.amdhsa_uses_dynamic_stack 0
		.amdhsa_enable_private_segment 0
		.amdhsa_system_sgpr_workgroup_id_x 1
		.amdhsa_system_sgpr_workgroup_id_y 0
		.amdhsa_system_sgpr_workgroup_id_z 0
		.amdhsa_system_sgpr_workgroup_info 0
		.amdhsa_system_vgpr_workitem_id 0
		.amdhsa_next_free_vgpr 1
		.amdhsa_next_free_sgpr 1
		.amdhsa_named_barrier_count 0
		.amdhsa_reserve_vcc 0
		.amdhsa_float_round_mode_32 0
		.amdhsa_float_round_mode_16_64 0
		.amdhsa_float_denorm_mode_32 3
		.amdhsa_float_denorm_mode_16_64 3
		.amdhsa_fp16_overflow 0
		.amdhsa_memory_ordered 1
		.amdhsa_forward_progress 1
		.amdhsa_inst_pref_size 0
		.amdhsa_round_robin_scheduling 0
		.amdhsa_exception_fp_ieee_invalid_op 0
		.amdhsa_exception_fp_denorm_src 0
		.amdhsa_exception_fp_ieee_div_zero 0
		.amdhsa_exception_fp_ieee_overflow 0
		.amdhsa_exception_fp_ieee_underflow 0
		.amdhsa_exception_fp_ieee_inexact 0
		.amdhsa_exception_int_div_zero 0
	.end_amdhsa_kernel
	.section	.text._ZN7rocprim17ROCPRIM_400000_NS6detail17trampoline_kernelINS0_14default_configENS1_38merge_sort_block_merge_config_selectorIlNS0_10empty_typeEEEZZNS1_27merge_sort_block_merge_implIS3_PlPS5_mZN2at6native12_GLOBAL__N_124unique_dim_cuda_templateIfEESt5tupleIJNSA_6TensorESF_SF_EERKSF_lbbbEUlllE_EE10hipError_tT0_T1_T2_jT3_P12ihipStream_tbPNSt15iterator_traitsISL_E10value_typeEPNSR_ISM_E10value_typeEPSN_NS1_7vsmem_tEENKUlT_SL_SM_SN_E_clIS8_S8_S9_S9_EESK_S10_SL_SM_SN_EUlS10_E1_NS1_11comp_targetILNS1_3genE5ELNS1_11target_archE942ELNS1_3gpuE9ELNS1_3repE0EEENS1_36merge_oddeven_config_static_selectorELNS0_4arch9wavefront6targetE0EEEvSM_,"axG",@progbits,_ZN7rocprim17ROCPRIM_400000_NS6detail17trampoline_kernelINS0_14default_configENS1_38merge_sort_block_merge_config_selectorIlNS0_10empty_typeEEEZZNS1_27merge_sort_block_merge_implIS3_PlPS5_mZN2at6native12_GLOBAL__N_124unique_dim_cuda_templateIfEESt5tupleIJNSA_6TensorESF_SF_EERKSF_lbbbEUlllE_EE10hipError_tT0_T1_T2_jT3_P12ihipStream_tbPNSt15iterator_traitsISL_E10value_typeEPNSR_ISM_E10value_typeEPSN_NS1_7vsmem_tEENKUlT_SL_SM_SN_E_clIS8_S8_S9_S9_EESK_S10_SL_SM_SN_EUlS10_E1_NS1_11comp_targetILNS1_3genE5ELNS1_11target_archE942ELNS1_3gpuE9ELNS1_3repE0EEENS1_36merge_oddeven_config_static_selectorELNS0_4arch9wavefront6targetE0EEEvSM_,comdat
.Lfunc_end898:
	.size	_ZN7rocprim17ROCPRIM_400000_NS6detail17trampoline_kernelINS0_14default_configENS1_38merge_sort_block_merge_config_selectorIlNS0_10empty_typeEEEZZNS1_27merge_sort_block_merge_implIS3_PlPS5_mZN2at6native12_GLOBAL__N_124unique_dim_cuda_templateIfEESt5tupleIJNSA_6TensorESF_SF_EERKSF_lbbbEUlllE_EE10hipError_tT0_T1_T2_jT3_P12ihipStream_tbPNSt15iterator_traitsISL_E10value_typeEPNSR_ISM_E10value_typeEPSN_NS1_7vsmem_tEENKUlT_SL_SM_SN_E_clIS8_S8_S9_S9_EESK_S10_SL_SM_SN_EUlS10_E1_NS1_11comp_targetILNS1_3genE5ELNS1_11target_archE942ELNS1_3gpuE9ELNS1_3repE0EEENS1_36merge_oddeven_config_static_selectorELNS0_4arch9wavefront6targetE0EEEvSM_, .Lfunc_end898-_ZN7rocprim17ROCPRIM_400000_NS6detail17trampoline_kernelINS0_14default_configENS1_38merge_sort_block_merge_config_selectorIlNS0_10empty_typeEEEZZNS1_27merge_sort_block_merge_implIS3_PlPS5_mZN2at6native12_GLOBAL__N_124unique_dim_cuda_templateIfEESt5tupleIJNSA_6TensorESF_SF_EERKSF_lbbbEUlllE_EE10hipError_tT0_T1_T2_jT3_P12ihipStream_tbPNSt15iterator_traitsISL_E10value_typeEPNSR_ISM_E10value_typeEPSN_NS1_7vsmem_tEENKUlT_SL_SM_SN_E_clIS8_S8_S9_S9_EESK_S10_SL_SM_SN_EUlS10_E1_NS1_11comp_targetILNS1_3genE5ELNS1_11target_archE942ELNS1_3gpuE9ELNS1_3repE0EEENS1_36merge_oddeven_config_static_selectorELNS0_4arch9wavefront6targetE0EEEvSM_
                                        ; -- End function
	.set _ZN7rocprim17ROCPRIM_400000_NS6detail17trampoline_kernelINS0_14default_configENS1_38merge_sort_block_merge_config_selectorIlNS0_10empty_typeEEEZZNS1_27merge_sort_block_merge_implIS3_PlPS5_mZN2at6native12_GLOBAL__N_124unique_dim_cuda_templateIfEESt5tupleIJNSA_6TensorESF_SF_EERKSF_lbbbEUlllE_EE10hipError_tT0_T1_T2_jT3_P12ihipStream_tbPNSt15iterator_traitsISL_E10value_typeEPNSR_ISM_E10value_typeEPSN_NS1_7vsmem_tEENKUlT_SL_SM_SN_E_clIS8_S8_S9_S9_EESK_S10_SL_SM_SN_EUlS10_E1_NS1_11comp_targetILNS1_3genE5ELNS1_11target_archE942ELNS1_3gpuE9ELNS1_3repE0EEENS1_36merge_oddeven_config_static_selectorELNS0_4arch9wavefront6targetE0EEEvSM_.num_vgpr, 0
	.set _ZN7rocprim17ROCPRIM_400000_NS6detail17trampoline_kernelINS0_14default_configENS1_38merge_sort_block_merge_config_selectorIlNS0_10empty_typeEEEZZNS1_27merge_sort_block_merge_implIS3_PlPS5_mZN2at6native12_GLOBAL__N_124unique_dim_cuda_templateIfEESt5tupleIJNSA_6TensorESF_SF_EERKSF_lbbbEUlllE_EE10hipError_tT0_T1_T2_jT3_P12ihipStream_tbPNSt15iterator_traitsISL_E10value_typeEPNSR_ISM_E10value_typeEPSN_NS1_7vsmem_tEENKUlT_SL_SM_SN_E_clIS8_S8_S9_S9_EESK_S10_SL_SM_SN_EUlS10_E1_NS1_11comp_targetILNS1_3genE5ELNS1_11target_archE942ELNS1_3gpuE9ELNS1_3repE0EEENS1_36merge_oddeven_config_static_selectorELNS0_4arch9wavefront6targetE0EEEvSM_.num_agpr, 0
	.set _ZN7rocprim17ROCPRIM_400000_NS6detail17trampoline_kernelINS0_14default_configENS1_38merge_sort_block_merge_config_selectorIlNS0_10empty_typeEEEZZNS1_27merge_sort_block_merge_implIS3_PlPS5_mZN2at6native12_GLOBAL__N_124unique_dim_cuda_templateIfEESt5tupleIJNSA_6TensorESF_SF_EERKSF_lbbbEUlllE_EE10hipError_tT0_T1_T2_jT3_P12ihipStream_tbPNSt15iterator_traitsISL_E10value_typeEPNSR_ISM_E10value_typeEPSN_NS1_7vsmem_tEENKUlT_SL_SM_SN_E_clIS8_S8_S9_S9_EESK_S10_SL_SM_SN_EUlS10_E1_NS1_11comp_targetILNS1_3genE5ELNS1_11target_archE942ELNS1_3gpuE9ELNS1_3repE0EEENS1_36merge_oddeven_config_static_selectorELNS0_4arch9wavefront6targetE0EEEvSM_.numbered_sgpr, 0
	.set _ZN7rocprim17ROCPRIM_400000_NS6detail17trampoline_kernelINS0_14default_configENS1_38merge_sort_block_merge_config_selectorIlNS0_10empty_typeEEEZZNS1_27merge_sort_block_merge_implIS3_PlPS5_mZN2at6native12_GLOBAL__N_124unique_dim_cuda_templateIfEESt5tupleIJNSA_6TensorESF_SF_EERKSF_lbbbEUlllE_EE10hipError_tT0_T1_T2_jT3_P12ihipStream_tbPNSt15iterator_traitsISL_E10value_typeEPNSR_ISM_E10value_typeEPSN_NS1_7vsmem_tEENKUlT_SL_SM_SN_E_clIS8_S8_S9_S9_EESK_S10_SL_SM_SN_EUlS10_E1_NS1_11comp_targetILNS1_3genE5ELNS1_11target_archE942ELNS1_3gpuE9ELNS1_3repE0EEENS1_36merge_oddeven_config_static_selectorELNS0_4arch9wavefront6targetE0EEEvSM_.num_named_barrier, 0
	.set _ZN7rocprim17ROCPRIM_400000_NS6detail17trampoline_kernelINS0_14default_configENS1_38merge_sort_block_merge_config_selectorIlNS0_10empty_typeEEEZZNS1_27merge_sort_block_merge_implIS3_PlPS5_mZN2at6native12_GLOBAL__N_124unique_dim_cuda_templateIfEESt5tupleIJNSA_6TensorESF_SF_EERKSF_lbbbEUlllE_EE10hipError_tT0_T1_T2_jT3_P12ihipStream_tbPNSt15iterator_traitsISL_E10value_typeEPNSR_ISM_E10value_typeEPSN_NS1_7vsmem_tEENKUlT_SL_SM_SN_E_clIS8_S8_S9_S9_EESK_S10_SL_SM_SN_EUlS10_E1_NS1_11comp_targetILNS1_3genE5ELNS1_11target_archE942ELNS1_3gpuE9ELNS1_3repE0EEENS1_36merge_oddeven_config_static_selectorELNS0_4arch9wavefront6targetE0EEEvSM_.private_seg_size, 0
	.set _ZN7rocprim17ROCPRIM_400000_NS6detail17trampoline_kernelINS0_14default_configENS1_38merge_sort_block_merge_config_selectorIlNS0_10empty_typeEEEZZNS1_27merge_sort_block_merge_implIS3_PlPS5_mZN2at6native12_GLOBAL__N_124unique_dim_cuda_templateIfEESt5tupleIJNSA_6TensorESF_SF_EERKSF_lbbbEUlllE_EE10hipError_tT0_T1_T2_jT3_P12ihipStream_tbPNSt15iterator_traitsISL_E10value_typeEPNSR_ISM_E10value_typeEPSN_NS1_7vsmem_tEENKUlT_SL_SM_SN_E_clIS8_S8_S9_S9_EESK_S10_SL_SM_SN_EUlS10_E1_NS1_11comp_targetILNS1_3genE5ELNS1_11target_archE942ELNS1_3gpuE9ELNS1_3repE0EEENS1_36merge_oddeven_config_static_selectorELNS0_4arch9wavefront6targetE0EEEvSM_.uses_vcc, 0
	.set _ZN7rocprim17ROCPRIM_400000_NS6detail17trampoline_kernelINS0_14default_configENS1_38merge_sort_block_merge_config_selectorIlNS0_10empty_typeEEEZZNS1_27merge_sort_block_merge_implIS3_PlPS5_mZN2at6native12_GLOBAL__N_124unique_dim_cuda_templateIfEESt5tupleIJNSA_6TensorESF_SF_EERKSF_lbbbEUlllE_EE10hipError_tT0_T1_T2_jT3_P12ihipStream_tbPNSt15iterator_traitsISL_E10value_typeEPNSR_ISM_E10value_typeEPSN_NS1_7vsmem_tEENKUlT_SL_SM_SN_E_clIS8_S8_S9_S9_EESK_S10_SL_SM_SN_EUlS10_E1_NS1_11comp_targetILNS1_3genE5ELNS1_11target_archE942ELNS1_3gpuE9ELNS1_3repE0EEENS1_36merge_oddeven_config_static_selectorELNS0_4arch9wavefront6targetE0EEEvSM_.uses_flat_scratch, 0
	.set _ZN7rocprim17ROCPRIM_400000_NS6detail17trampoline_kernelINS0_14default_configENS1_38merge_sort_block_merge_config_selectorIlNS0_10empty_typeEEEZZNS1_27merge_sort_block_merge_implIS3_PlPS5_mZN2at6native12_GLOBAL__N_124unique_dim_cuda_templateIfEESt5tupleIJNSA_6TensorESF_SF_EERKSF_lbbbEUlllE_EE10hipError_tT0_T1_T2_jT3_P12ihipStream_tbPNSt15iterator_traitsISL_E10value_typeEPNSR_ISM_E10value_typeEPSN_NS1_7vsmem_tEENKUlT_SL_SM_SN_E_clIS8_S8_S9_S9_EESK_S10_SL_SM_SN_EUlS10_E1_NS1_11comp_targetILNS1_3genE5ELNS1_11target_archE942ELNS1_3gpuE9ELNS1_3repE0EEENS1_36merge_oddeven_config_static_selectorELNS0_4arch9wavefront6targetE0EEEvSM_.has_dyn_sized_stack, 0
	.set _ZN7rocprim17ROCPRIM_400000_NS6detail17trampoline_kernelINS0_14default_configENS1_38merge_sort_block_merge_config_selectorIlNS0_10empty_typeEEEZZNS1_27merge_sort_block_merge_implIS3_PlPS5_mZN2at6native12_GLOBAL__N_124unique_dim_cuda_templateIfEESt5tupleIJNSA_6TensorESF_SF_EERKSF_lbbbEUlllE_EE10hipError_tT0_T1_T2_jT3_P12ihipStream_tbPNSt15iterator_traitsISL_E10value_typeEPNSR_ISM_E10value_typeEPSN_NS1_7vsmem_tEENKUlT_SL_SM_SN_E_clIS8_S8_S9_S9_EESK_S10_SL_SM_SN_EUlS10_E1_NS1_11comp_targetILNS1_3genE5ELNS1_11target_archE942ELNS1_3gpuE9ELNS1_3repE0EEENS1_36merge_oddeven_config_static_selectorELNS0_4arch9wavefront6targetE0EEEvSM_.has_recursion, 0
	.set _ZN7rocprim17ROCPRIM_400000_NS6detail17trampoline_kernelINS0_14default_configENS1_38merge_sort_block_merge_config_selectorIlNS0_10empty_typeEEEZZNS1_27merge_sort_block_merge_implIS3_PlPS5_mZN2at6native12_GLOBAL__N_124unique_dim_cuda_templateIfEESt5tupleIJNSA_6TensorESF_SF_EERKSF_lbbbEUlllE_EE10hipError_tT0_T1_T2_jT3_P12ihipStream_tbPNSt15iterator_traitsISL_E10value_typeEPNSR_ISM_E10value_typeEPSN_NS1_7vsmem_tEENKUlT_SL_SM_SN_E_clIS8_S8_S9_S9_EESK_S10_SL_SM_SN_EUlS10_E1_NS1_11comp_targetILNS1_3genE5ELNS1_11target_archE942ELNS1_3gpuE9ELNS1_3repE0EEENS1_36merge_oddeven_config_static_selectorELNS0_4arch9wavefront6targetE0EEEvSM_.has_indirect_call, 0
	.section	.AMDGPU.csdata,"",@progbits
; Kernel info:
; codeLenInByte = 0
; TotalNumSgprs: 0
; NumVgprs: 0
; ScratchSize: 0
; MemoryBound: 0
; FloatMode: 240
; IeeeMode: 1
; LDSByteSize: 0 bytes/workgroup (compile time only)
; SGPRBlocks: 0
; VGPRBlocks: 0
; NumSGPRsForWavesPerEU: 1
; NumVGPRsForWavesPerEU: 1
; NamedBarCnt: 0
; Occupancy: 16
; WaveLimiterHint : 0
; COMPUTE_PGM_RSRC2:SCRATCH_EN: 0
; COMPUTE_PGM_RSRC2:USER_SGPR: 2
; COMPUTE_PGM_RSRC2:TRAP_HANDLER: 0
; COMPUTE_PGM_RSRC2:TGID_X_EN: 1
; COMPUTE_PGM_RSRC2:TGID_Y_EN: 0
; COMPUTE_PGM_RSRC2:TGID_Z_EN: 0
; COMPUTE_PGM_RSRC2:TIDIG_COMP_CNT: 0
	.section	.text._ZN7rocprim17ROCPRIM_400000_NS6detail17trampoline_kernelINS0_14default_configENS1_38merge_sort_block_merge_config_selectorIlNS0_10empty_typeEEEZZNS1_27merge_sort_block_merge_implIS3_PlPS5_mZN2at6native12_GLOBAL__N_124unique_dim_cuda_templateIfEESt5tupleIJNSA_6TensorESF_SF_EERKSF_lbbbEUlllE_EE10hipError_tT0_T1_T2_jT3_P12ihipStream_tbPNSt15iterator_traitsISL_E10value_typeEPNSR_ISM_E10value_typeEPSN_NS1_7vsmem_tEENKUlT_SL_SM_SN_E_clIS8_S8_S9_S9_EESK_S10_SL_SM_SN_EUlS10_E1_NS1_11comp_targetILNS1_3genE4ELNS1_11target_archE910ELNS1_3gpuE8ELNS1_3repE0EEENS1_36merge_oddeven_config_static_selectorELNS0_4arch9wavefront6targetE0EEEvSM_,"axG",@progbits,_ZN7rocprim17ROCPRIM_400000_NS6detail17trampoline_kernelINS0_14default_configENS1_38merge_sort_block_merge_config_selectorIlNS0_10empty_typeEEEZZNS1_27merge_sort_block_merge_implIS3_PlPS5_mZN2at6native12_GLOBAL__N_124unique_dim_cuda_templateIfEESt5tupleIJNSA_6TensorESF_SF_EERKSF_lbbbEUlllE_EE10hipError_tT0_T1_T2_jT3_P12ihipStream_tbPNSt15iterator_traitsISL_E10value_typeEPNSR_ISM_E10value_typeEPSN_NS1_7vsmem_tEENKUlT_SL_SM_SN_E_clIS8_S8_S9_S9_EESK_S10_SL_SM_SN_EUlS10_E1_NS1_11comp_targetILNS1_3genE4ELNS1_11target_archE910ELNS1_3gpuE8ELNS1_3repE0EEENS1_36merge_oddeven_config_static_selectorELNS0_4arch9wavefront6targetE0EEEvSM_,comdat
	.globl	_ZN7rocprim17ROCPRIM_400000_NS6detail17trampoline_kernelINS0_14default_configENS1_38merge_sort_block_merge_config_selectorIlNS0_10empty_typeEEEZZNS1_27merge_sort_block_merge_implIS3_PlPS5_mZN2at6native12_GLOBAL__N_124unique_dim_cuda_templateIfEESt5tupleIJNSA_6TensorESF_SF_EERKSF_lbbbEUlllE_EE10hipError_tT0_T1_T2_jT3_P12ihipStream_tbPNSt15iterator_traitsISL_E10value_typeEPNSR_ISM_E10value_typeEPSN_NS1_7vsmem_tEENKUlT_SL_SM_SN_E_clIS8_S8_S9_S9_EESK_S10_SL_SM_SN_EUlS10_E1_NS1_11comp_targetILNS1_3genE4ELNS1_11target_archE910ELNS1_3gpuE8ELNS1_3repE0EEENS1_36merge_oddeven_config_static_selectorELNS0_4arch9wavefront6targetE0EEEvSM_ ; -- Begin function _ZN7rocprim17ROCPRIM_400000_NS6detail17trampoline_kernelINS0_14default_configENS1_38merge_sort_block_merge_config_selectorIlNS0_10empty_typeEEEZZNS1_27merge_sort_block_merge_implIS3_PlPS5_mZN2at6native12_GLOBAL__N_124unique_dim_cuda_templateIfEESt5tupleIJNSA_6TensorESF_SF_EERKSF_lbbbEUlllE_EE10hipError_tT0_T1_T2_jT3_P12ihipStream_tbPNSt15iterator_traitsISL_E10value_typeEPNSR_ISM_E10value_typeEPSN_NS1_7vsmem_tEENKUlT_SL_SM_SN_E_clIS8_S8_S9_S9_EESK_S10_SL_SM_SN_EUlS10_E1_NS1_11comp_targetILNS1_3genE4ELNS1_11target_archE910ELNS1_3gpuE8ELNS1_3repE0EEENS1_36merge_oddeven_config_static_selectorELNS0_4arch9wavefront6targetE0EEEvSM_
	.p2align	8
	.type	_ZN7rocprim17ROCPRIM_400000_NS6detail17trampoline_kernelINS0_14default_configENS1_38merge_sort_block_merge_config_selectorIlNS0_10empty_typeEEEZZNS1_27merge_sort_block_merge_implIS3_PlPS5_mZN2at6native12_GLOBAL__N_124unique_dim_cuda_templateIfEESt5tupleIJNSA_6TensorESF_SF_EERKSF_lbbbEUlllE_EE10hipError_tT0_T1_T2_jT3_P12ihipStream_tbPNSt15iterator_traitsISL_E10value_typeEPNSR_ISM_E10value_typeEPSN_NS1_7vsmem_tEENKUlT_SL_SM_SN_E_clIS8_S8_S9_S9_EESK_S10_SL_SM_SN_EUlS10_E1_NS1_11comp_targetILNS1_3genE4ELNS1_11target_archE910ELNS1_3gpuE8ELNS1_3repE0EEENS1_36merge_oddeven_config_static_selectorELNS0_4arch9wavefront6targetE0EEEvSM_,@function
_ZN7rocprim17ROCPRIM_400000_NS6detail17trampoline_kernelINS0_14default_configENS1_38merge_sort_block_merge_config_selectorIlNS0_10empty_typeEEEZZNS1_27merge_sort_block_merge_implIS3_PlPS5_mZN2at6native12_GLOBAL__N_124unique_dim_cuda_templateIfEESt5tupleIJNSA_6TensorESF_SF_EERKSF_lbbbEUlllE_EE10hipError_tT0_T1_T2_jT3_P12ihipStream_tbPNSt15iterator_traitsISL_E10value_typeEPNSR_ISM_E10value_typeEPSN_NS1_7vsmem_tEENKUlT_SL_SM_SN_E_clIS8_S8_S9_S9_EESK_S10_SL_SM_SN_EUlS10_E1_NS1_11comp_targetILNS1_3genE4ELNS1_11target_archE910ELNS1_3gpuE8ELNS1_3repE0EEENS1_36merge_oddeven_config_static_selectorELNS0_4arch9wavefront6targetE0EEEvSM_: ; @_ZN7rocprim17ROCPRIM_400000_NS6detail17trampoline_kernelINS0_14default_configENS1_38merge_sort_block_merge_config_selectorIlNS0_10empty_typeEEEZZNS1_27merge_sort_block_merge_implIS3_PlPS5_mZN2at6native12_GLOBAL__N_124unique_dim_cuda_templateIfEESt5tupleIJNSA_6TensorESF_SF_EERKSF_lbbbEUlllE_EE10hipError_tT0_T1_T2_jT3_P12ihipStream_tbPNSt15iterator_traitsISL_E10value_typeEPNSR_ISM_E10value_typeEPSN_NS1_7vsmem_tEENKUlT_SL_SM_SN_E_clIS8_S8_S9_S9_EESK_S10_SL_SM_SN_EUlS10_E1_NS1_11comp_targetILNS1_3genE4ELNS1_11target_archE910ELNS1_3gpuE8ELNS1_3repE0EEENS1_36merge_oddeven_config_static_selectorELNS0_4arch9wavefront6targetE0EEEvSM_
; %bb.0:
	.section	.rodata,"a",@progbits
	.p2align	6, 0x0
	.amdhsa_kernel _ZN7rocprim17ROCPRIM_400000_NS6detail17trampoline_kernelINS0_14default_configENS1_38merge_sort_block_merge_config_selectorIlNS0_10empty_typeEEEZZNS1_27merge_sort_block_merge_implIS3_PlPS5_mZN2at6native12_GLOBAL__N_124unique_dim_cuda_templateIfEESt5tupleIJNSA_6TensorESF_SF_EERKSF_lbbbEUlllE_EE10hipError_tT0_T1_T2_jT3_P12ihipStream_tbPNSt15iterator_traitsISL_E10value_typeEPNSR_ISM_E10value_typeEPSN_NS1_7vsmem_tEENKUlT_SL_SM_SN_E_clIS8_S8_S9_S9_EESK_S10_SL_SM_SN_EUlS10_E1_NS1_11comp_targetILNS1_3genE4ELNS1_11target_archE910ELNS1_3gpuE8ELNS1_3repE0EEENS1_36merge_oddeven_config_static_selectorELNS0_4arch9wavefront6targetE0EEEvSM_
		.amdhsa_group_segment_fixed_size 0
		.amdhsa_private_segment_fixed_size 0
		.amdhsa_kernarg_size 64
		.amdhsa_user_sgpr_count 2
		.amdhsa_user_sgpr_dispatch_ptr 0
		.amdhsa_user_sgpr_queue_ptr 0
		.amdhsa_user_sgpr_kernarg_segment_ptr 1
		.amdhsa_user_sgpr_dispatch_id 0
		.amdhsa_user_sgpr_kernarg_preload_length 0
		.amdhsa_user_sgpr_kernarg_preload_offset 0
		.amdhsa_user_sgpr_private_segment_size 0
		.amdhsa_wavefront_size32 1
		.amdhsa_uses_dynamic_stack 0
		.amdhsa_enable_private_segment 0
		.amdhsa_system_sgpr_workgroup_id_x 1
		.amdhsa_system_sgpr_workgroup_id_y 0
		.amdhsa_system_sgpr_workgroup_id_z 0
		.amdhsa_system_sgpr_workgroup_info 0
		.amdhsa_system_vgpr_workitem_id 0
		.amdhsa_next_free_vgpr 1
		.amdhsa_next_free_sgpr 1
		.amdhsa_named_barrier_count 0
		.amdhsa_reserve_vcc 0
		.amdhsa_float_round_mode_32 0
		.amdhsa_float_round_mode_16_64 0
		.amdhsa_float_denorm_mode_32 3
		.amdhsa_float_denorm_mode_16_64 3
		.amdhsa_fp16_overflow 0
		.amdhsa_memory_ordered 1
		.amdhsa_forward_progress 1
		.amdhsa_inst_pref_size 0
		.amdhsa_round_robin_scheduling 0
		.amdhsa_exception_fp_ieee_invalid_op 0
		.amdhsa_exception_fp_denorm_src 0
		.amdhsa_exception_fp_ieee_div_zero 0
		.amdhsa_exception_fp_ieee_overflow 0
		.amdhsa_exception_fp_ieee_underflow 0
		.amdhsa_exception_fp_ieee_inexact 0
		.amdhsa_exception_int_div_zero 0
	.end_amdhsa_kernel
	.section	.text._ZN7rocprim17ROCPRIM_400000_NS6detail17trampoline_kernelINS0_14default_configENS1_38merge_sort_block_merge_config_selectorIlNS0_10empty_typeEEEZZNS1_27merge_sort_block_merge_implIS3_PlPS5_mZN2at6native12_GLOBAL__N_124unique_dim_cuda_templateIfEESt5tupleIJNSA_6TensorESF_SF_EERKSF_lbbbEUlllE_EE10hipError_tT0_T1_T2_jT3_P12ihipStream_tbPNSt15iterator_traitsISL_E10value_typeEPNSR_ISM_E10value_typeEPSN_NS1_7vsmem_tEENKUlT_SL_SM_SN_E_clIS8_S8_S9_S9_EESK_S10_SL_SM_SN_EUlS10_E1_NS1_11comp_targetILNS1_3genE4ELNS1_11target_archE910ELNS1_3gpuE8ELNS1_3repE0EEENS1_36merge_oddeven_config_static_selectorELNS0_4arch9wavefront6targetE0EEEvSM_,"axG",@progbits,_ZN7rocprim17ROCPRIM_400000_NS6detail17trampoline_kernelINS0_14default_configENS1_38merge_sort_block_merge_config_selectorIlNS0_10empty_typeEEEZZNS1_27merge_sort_block_merge_implIS3_PlPS5_mZN2at6native12_GLOBAL__N_124unique_dim_cuda_templateIfEESt5tupleIJNSA_6TensorESF_SF_EERKSF_lbbbEUlllE_EE10hipError_tT0_T1_T2_jT3_P12ihipStream_tbPNSt15iterator_traitsISL_E10value_typeEPNSR_ISM_E10value_typeEPSN_NS1_7vsmem_tEENKUlT_SL_SM_SN_E_clIS8_S8_S9_S9_EESK_S10_SL_SM_SN_EUlS10_E1_NS1_11comp_targetILNS1_3genE4ELNS1_11target_archE910ELNS1_3gpuE8ELNS1_3repE0EEENS1_36merge_oddeven_config_static_selectorELNS0_4arch9wavefront6targetE0EEEvSM_,comdat
.Lfunc_end899:
	.size	_ZN7rocprim17ROCPRIM_400000_NS6detail17trampoline_kernelINS0_14default_configENS1_38merge_sort_block_merge_config_selectorIlNS0_10empty_typeEEEZZNS1_27merge_sort_block_merge_implIS3_PlPS5_mZN2at6native12_GLOBAL__N_124unique_dim_cuda_templateIfEESt5tupleIJNSA_6TensorESF_SF_EERKSF_lbbbEUlllE_EE10hipError_tT0_T1_T2_jT3_P12ihipStream_tbPNSt15iterator_traitsISL_E10value_typeEPNSR_ISM_E10value_typeEPSN_NS1_7vsmem_tEENKUlT_SL_SM_SN_E_clIS8_S8_S9_S9_EESK_S10_SL_SM_SN_EUlS10_E1_NS1_11comp_targetILNS1_3genE4ELNS1_11target_archE910ELNS1_3gpuE8ELNS1_3repE0EEENS1_36merge_oddeven_config_static_selectorELNS0_4arch9wavefront6targetE0EEEvSM_, .Lfunc_end899-_ZN7rocprim17ROCPRIM_400000_NS6detail17trampoline_kernelINS0_14default_configENS1_38merge_sort_block_merge_config_selectorIlNS0_10empty_typeEEEZZNS1_27merge_sort_block_merge_implIS3_PlPS5_mZN2at6native12_GLOBAL__N_124unique_dim_cuda_templateIfEESt5tupleIJNSA_6TensorESF_SF_EERKSF_lbbbEUlllE_EE10hipError_tT0_T1_T2_jT3_P12ihipStream_tbPNSt15iterator_traitsISL_E10value_typeEPNSR_ISM_E10value_typeEPSN_NS1_7vsmem_tEENKUlT_SL_SM_SN_E_clIS8_S8_S9_S9_EESK_S10_SL_SM_SN_EUlS10_E1_NS1_11comp_targetILNS1_3genE4ELNS1_11target_archE910ELNS1_3gpuE8ELNS1_3repE0EEENS1_36merge_oddeven_config_static_selectorELNS0_4arch9wavefront6targetE0EEEvSM_
                                        ; -- End function
	.set _ZN7rocprim17ROCPRIM_400000_NS6detail17trampoline_kernelINS0_14default_configENS1_38merge_sort_block_merge_config_selectorIlNS0_10empty_typeEEEZZNS1_27merge_sort_block_merge_implIS3_PlPS5_mZN2at6native12_GLOBAL__N_124unique_dim_cuda_templateIfEESt5tupleIJNSA_6TensorESF_SF_EERKSF_lbbbEUlllE_EE10hipError_tT0_T1_T2_jT3_P12ihipStream_tbPNSt15iterator_traitsISL_E10value_typeEPNSR_ISM_E10value_typeEPSN_NS1_7vsmem_tEENKUlT_SL_SM_SN_E_clIS8_S8_S9_S9_EESK_S10_SL_SM_SN_EUlS10_E1_NS1_11comp_targetILNS1_3genE4ELNS1_11target_archE910ELNS1_3gpuE8ELNS1_3repE0EEENS1_36merge_oddeven_config_static_selectorELNS0_4arch9wavefront6targetE0EEEvSM_.num_vgpr, 0
	.set _ZN7rocprim17ROCPRIM_400000_NS6detail17trampoline_kernelINS0_14default_configENS1_38merge_sort_block_merge_config_selectorIlNS0_10empty_typeEEEZZNS1_27merge_sort_block_merge_implIS3_PlPS5_mZN2at6native12_GLOBAL__N_124unique_dim_cuda_templateIfEESt5tupleIJNSA_6TensorESF_SF_EERKSF_lbbbEUlllE_EE10hipError_tT0_T1_T2_jT3_P12ihipStream_tbPNSt15iterator_traitsISL_E10value_typeEPNSR_ISM_E10value_typeEPSN_NS1_7vsmem_tEENKUlT_SL_SM_SN_E_clIS8_S8_S9_S9_EESK_S10_SL_SM_SN_EUlS10_E1_NS1_11comp_targetILNS1_3genE4ELNS1_11target_archE910ELNS1_3gpuE8ELNS1_3repE0EEENS1_36merge_oddeven_config_static_selectorELNS0_4arch9wavefront6targetE0EEEvSM_.num_agpr, 0
	.set _ZN7rocprim17ROCPRIM_400000_NS6detail17trampoline_kernelINS0_14default_configENS1_38merge_sort_block_merge_config_selectorIlNS0_10empty_typeEEEZZNS1_27merge_sort_block_merge_implIS3_PlPS5_mZN2at6native12_GLOBAL__N_124unique_dim_cuda_templateIfEESt5tupleIJNSA_6TensorESF_SF_EERKSF_lbbbEUlllE_EE10hipError_tT0_T1_T2_jT3_P12ihipStream_tbPNSt15iterator_traitsISL_E10value_typeEPNSR_ISM_E10value_typeEPSN_NS1_7vsmem_tEENKUlT_SL_SM_SN_E_clIS8_S8_S9_S9_EESK_S10_SL_SM_SN_EUlS10_E1_NS1_11comp_targetILNS1_3genE4ELNS1_11target_archE910ELNS1_3gpuE8ELNS1_3repE0EEENS1_36merge_oddeven_config_static_selectorELNS0_4arch9wavefront6targetE0EEEvSM_.numbered_sgpr, 0
	.set _ZN7rocprim17ROCPRIM_400000_NS6detail17trampoline_kernelINS0_14default_configENS1_38merge_sort_block_merge_config_selectorIlNS0_10empty_typeEEEZZNS1_27merge_sort_block_merge_implIS3_PlPS5_mZN2at6native12_GLOBAL__N_124unique_dim_cuda_templateIfEESt5tupleIJNSA_6TensorESF_SF_EERKSF_lbbbEUlllE_EE10hipError_tT0_T1_T2_jT3_P12ihipStream_tbPNSt15iterator_traitsISL_E10value_typeEPNSR_ISM_E10value_typeEPSN_NS1_7vsmem_tEENKUlT_SL_SM_SN_E_clIS8_S8_S9_S9_EESK_S10_SL_SM_SN_EUlS10_E1_NS1_11comp_targetILNS1_3genE4ELNS1_11target_archE910ELNS1_3gpuE8ELNS1_3repE0EEENS1_36merge_oddeven_config_static_selectorELNS0_4arch9wavefront6targetE0EEEvSM_.num_named_barrier, 0
	.set _ZN7rocprim17ROCPRIM_400000_NS6detail17trampoline_kernelINS0_14default_configENS1_38merge_sort_block_merge_config_selectorIlNS0_10empty_typeEEEZZNS1_27merge_sort_block_merge_implIS3_PlPS5_mZN2at6native12_GLOBAL__N_124unique_dim_cuda_templateIfEESt5tupleIJNSA_6TensorESF_SF_EERKSF_lbbbEUlllE_EE10hipError_tT0_T1_T2_jT3_P12ihipStream_tbPNSt15iterator_traitsISL_E10value_typeEPNSR_ISM_E10value_typeEPSN_NS1_7vsmem_tEENKUlT_SL_SM_SN_E_clIS8_S8_S9_S9_EESK_S10_SL_SM_SN_EUlS10_E1_NS1_11comp_targetILNS1_3genE4ELNS1_11target_archE910ELNS1_3gpuE8ELNS1_3repE0EEENS1_36merge_oddeven_config_static_selectorELNS0_4arch9wavefront6targetE0EEEvSM_.private_seg_size, 0
	.set _ZN7rocprim17ROCPRIM_400000_NS6detail17trampoline_kernelINS0_14default_configENS1_38merge_sort_block_merge_config_selectorIlNS0_10empty_typeEEEZZNS1_27merge_sort_block_merge_implIS3_PlPS5_mZN2at6native12_GLOBAL__N_124unique_dim_cuda_templateIfEESt5tupleIJNSA_6TensorESF_SF_EERKSF_lbbbEUlllE_EE10hipError_tT0_T1_T2_jT3_P12ihipStream_tbPNSt15iterator_traitsISL_E10value_typeEPNSR_ISM_E10value_typeEPSN_NS1_7vsmem_tEENKUlT_SL_SM_SN_E_clIS8_S8_S9_S9_EESK_S10_SL_SM_SN_EUlS10_E1_NS1_11comp_targetILNS1_3genE4ELNS1_11target_archE910ELNS1_3gpuE8ELNS1_3repE0EEENS1_36merge_oddeven_config_static_selectorELNS0_4arch9wavefront6targetE0EEEvSM_.uses_vcc, 0
	.set _ZN7rocprim17ROCPRIM_400000_NS6detail17trampoline_kernelINS0_14default_configENS1_38merge_sort_block_merge_config_selectorIlNS0_10empty_typeEEEZZNS1_27merge_sort_block_merge_implIS3_PlPS5_mZN2at6native12_GLOBAL__N_124unique_dim_cuda_templateIfEESt5tupleIJNSA_6TensorESF_SF_EERKSF_lbbbEUlllE_EE10hipError_tT0_T1_T2_jT3_P12ihipStream_tbPNSt15iterator_traitsISL_E10value_typeEPNSR_ISM_E10value_typeEPSN_NS1_7vsmem_tEENKUlT_SL_SM_SN_E_clIS8_S8_S9_S9_EESK_S10_SL_SM_SN_EUlS10_E1_NS1_11comp_targetILNS1_3genE4ELNS1_11target_archE910ELNS1_3gpuE8ELNS1_3repE0EEENS1_36merge_oddeven_config_static_selectorELNS0_4arch9wavefront6targetE0EEEvSM_.uses_flat_scratch, 0
	.set _ZN7rocprim17ROCPRIM_400000_NS6detail17trampoline_kernelINS0_14default_configENS1_38merge_sort_block_merge_config_selectorIlNS0_10empty_typeEEEZZNS1_27merge_sort_block_merge_implIS3_PlPS5_mZN2at6native12_GLOBAL__N_124unique_dim_cuda_templateIfEESt5tupleIJNSA_6TensorESF_SF_EERKSF_lbbbEUlllE_EE10hipError_tT0_T1_T2_jT3_P12ihipStream_tbPNSt15iterator_traitsISL_E10value_typeEPNSR_ISM_E10value_typeEPSN_NS1_7vsmem_tEENKUlT_SL_SM_SN_E_clIS8_S8_S9_S9_EESK_S10_SL_SM_SN_EUlS10_E1_NS1_11comp_targetILNS1_3genE4ELNS1_11target_archE910ELNS1_3gpuE8ELNS1_3repE0EEENS1_36merge_oddeven_config_static_selectorELNS0_4arch9wavefront6targetE0EEEvSM_.has_dyn_sized_stack, 0
	.set _ZN7rocprim17ROCPRIM_400000_NS6detail17trampoline_kernelINS0_14default_configENS1_38merge_sort_block_merge_config_selectorIlNS0_10empty_typeEEEZZNS1_27merge_sort_block_merge_implIS3_PlPS5_mZN2at6native12_GLOBAL__N_124unique_dim_cuda_templateIfEESt5tupleIJNSA_6TensorESF_SF_EERKSF_lbbbEUlllE_EE10hipError_tT0_T1_T2_jT3_P12ihipStream_tbPNSt15iterator_traitsISL_E10value_typeEPNSR_ISM_E10value_typeEPSN_NS1_7vsmem_tEENKUlT_SL_SM_SN_E_clIS8_S8_S9_S9_EESK_S10_SL_SM_SN_EUlS10_E1_NS1_11comp_targetILNS1_3genE4ELNS1_11target_archE910ELNS1_3gpuE8ELNS1_3repE0EEENS1_36merge_oddeven_config_static_selectorELNS0_4arch9wavefront6targetE0EEEvSM_.has_recursion, 0
	.set _ZN7rocprim17ROCPRIM_400000_NS6detail17trampoline_kernelINS0_14default_configENS1_38merge_sort_block_merge_config_selectorIlNS0_10empty_typeEEEZZNS1_27merge_sort_block_merge_implIS3_PlPS5_mZN2at6native12_GLOBAL__N_124unique_dim_cuda_templateIfEESt5tupleIJNSA_6TensorESF_SF_EERKSF_lbbbEUlllE_EE10hipError_tT0_T1_T2_jT3_P12ihipStream_tbPNSt15iterator_traitsISL_E10value_typeEPNSR_ISM_E10value_typeEPSN_NS1_7vsmem_tEENKUlT_SL_SM_SN_E_clIS8_S8_S9_S9_EESK_S10_SL_SM_SN_EUlS10_E1_NS1_11comp_targetILNS1_3genE4ELNS1_11target_archE910ELNS1_3gpuE8ELNS1_3repE0EEENS1_36merge_oddeven_config_static_selectorELNS0_4arch9wavefront6targetE0EEEvSM_.has_indirect_call, 0
	.section	.AMDGPU.csdata,"",@progbits
; Kernel info:
; codeLenInByte = 0
; TotalNumSgprs: 0
; NumVgprs: 0
; ScratchSize: 0
; MemoryBound: 0
; FloatMode: 240
; IeeeMode: 1
; LDSByteSize: 0 bytes/workgroup (compile time only)
; SGPRBlocks: 0
; VGPRBlocks: 0
; NumSGPRsForWavesPerEU: 1
; NumVGPRsForWavesPerEU: 1
; NamedBarCnt: 0
; Occupancy: 16
; WaveLimiterHint : 0
; COMPUTE_PGM_RSRC2:SCRATCH_EN: 0
; COMPUTE_PGM_RSRC2:USER_SGPR: 2
; COMPUTE_PGM_RSRC2:TRAP_HANDLER: 0
; COMPUTE_PGM_RSRC2:TGID_X_EN: 1
; COMPUTE_PGM_RSRC2:TGID_Y_EN: 0
; COMPUTE_PGM_RSRC2:TGID_Z_EN: 0
; COMPUTE_PGM_RSRC2:TIDIG_COMP_CNT: 0
	.section	.text._ZN7rocprim17ROCPRIM_400000_NS6detail17trampoline_kernelINS0_14default_configENS1_38merge_sort_block_merge_config_selectorIlNS0_10empty_typeEEEZZNS1_27merge_sort_block_merge_implIS3_PlPS5_mZN2at6native12_GLOBAL__N_124unique_dim_cuda_templateIfEESt5tupleIJNSA_6TensorESF_SF_EERKSF_lbbbEUlllE_EE10hipError_tT0_T1_T2_jT3_P12ihipStream_tbPNSt15iterator_traitsISL_E10value_typeEPNSR_ISM_E10value_typeEPSN_NS1_7vsmem_tEENKUlT_SL_SM_SN_E_clIS8_S8_S9_S9_EESK_S10_SL_SM_SN_EUlS10_E1_NS1_11comp_targetILNS1_3genE3ELNS1_11target_archE908ELNS1_3gpuE7ELNS1_3repE0EEENS1_36merge_oddeven_config_static_selectorELNS0_4arch9wavefront6targetE0EEEvSM_,"axG",@progbits,_ZN7rocprim17ROCPRIM_400000_NS6detail17trampoline_kernelINS0_14default_configENS1_38merge_sort_block_merge_config_selectorIlNS0_10empty_typeEEEZZNS1_27merge_sort_block_merge_implIS3_PlPS5_mZN2at6native12_GLOBAL__N_124unique_dim_cuda_templateIfEESt5tupleIJNSA_6TensorESF_SF_EERKSF_lbbbEUlllE_EE10hipError_tT0_T1_T2_jT3_P12ihipStream_tbPNSt15iterator_traitsISL_E10value_typeEPNSR_ISM_E10value_typeEPSN_NS1_7vsmem_tEENKUlT_SL_SM_SN_E_clIS8_S8_S9_S9_EESK_S10_SL_SM_SN_EUlS10_E1_NS1_11comp_targetILNS1_3genE3ELNS1_11target_archE908ELNS1_3gpuE7ELNS1_3repE0EEENS1_36merge_oddeven_config_static_selectorELNS0_4arch9wavefront6targetE0EEEvSM_,comdat
	.globl	_ZN7rocprim17ROCPRIM_400000_NS6detail17trampoline_kernelINS0_14default_configENS1_38merge_sort_block_merge_config_selectorIlNS0_10empty_typeEEEZZNS1_27merge_sort_block_merge_implIS3_PlPS5_mZN2at6native12_GLOBAL__N_124unique_dim_cuda_templateIfEESt5tupleIJNSA_6TensorESF_SF_EERKSF_lbbbEUlllE_EE10hipError_tT0_T1_T2_jT3_P12ihipStream_tbPNSt15iterator_traitsISL_E10value_typeEPNSR_ISM_E10value_typeEPSN_NS1_7vsmem_tEENKUlT_SL_SM_SN_E_clIS8_S8_S9_S9_EESK_S10_SL_SM_SN_EUlS10_E1_NS1_11comp_targetILNS1_3genE3ELNS1_11target_archE908ELNS1_3gpuE7ELNS1_3repE0EEENS1_36merge_oddeven_config_static_selectorELNS0_4arch9wavefront6targetE0EEEvSM_ ; -- Begin function _ZN7rocprim17ROCPRIM_400000_NS6detail17trampoline_kernelINS0_14default_configENS1_38merge_sort_block_merge_config_selectorIlNS0_10empty_typeEEEZZNS1_27merge_sort_block_merge_implIS3_PlPS5_mZN2at6native12_GLOBAL__N_124unique_dim_cuda_templateIfEESt5tupleIJNSA_6TensorESF_SF_EERKSF_lbbbEUlllE_EE10hipError_tT0_T1_T2_jT3_P12ihipStream_tbPNSt15iterator_traitsISL_E10value_typeEPNSR_ISM_E10value_typeEPSN_NS1_7vsmem_tEENKUlT_SL_SM_SN_E_clIS8_S8_S9_S9_EESK_S10_SL_SM_SN_EUlS10_E1_NS1_11comp_targetILNS1_3genE3ELNS1_11target_archE908ELNS1_3gpuE7ELNS1_3repE0EEENS1_36merge_oddeven_config_static_selectorELNS0_4arch9wavefront6targetE0EEEvSM_
	.p2align	8
	.type	_ZN7rocprim17ROCPRIM_400000_NS6detail17trampoline_kernelINS0_14default_configENS1_38merge_sort_block_merge_config_selectorIlNS0_10empty_typeEEEZZNS1_27merge_sort_block_merge_implIS3_PlPS5_mZN2at6native12_GLOBAL__N_124unique_dim_cuda_templateIfEESt5tupleIJNSA_6TensorESF_SF_EERKSF_lbbbEUlllE_EE10hipError_tT0_T1_T2_jT3_P12ihipStream_tbPNSt15iterator_traitsISL_E10value_typeEPNSR_ISM_E10value_typeEPSN_NS1_7vsmem_tEENKUlT_SL_SM_SN_E_clIS8_S8_S9_S9_EESK_S10_SL_SM_SN_EUlS10_E1_NS1_11comp_targetILNS1_3genE3ELNS1_11target_archE908ELNS1_3gpuE7ELNS1_3repE0EEENS1_36merge_oddeven_config_static_selectorELNS0_4arch9wavefront6targetE0EEEvSM_,@function
_ZN7rocprim17ROCPRIM_400000_NS6detail17trampoline_kernelINS0_14default_configENS1_38merge_sort_block_merge_config_selectorIlNS0_10empty_typeEEEZZNS1_27merge_sort_block_merge_implIS3_PlPS5_mZN2at6native12_GLOBAL__N_124unique_dim_cuda_templateIfEESt5tupleIJNSA_6TensorESF_SF_EERKSF_lbbbEUlllE_EE10hipError_tT0_T1_T2_jT3_P12ihipStream_tbPNSt15iterator_traitsISL_E10value_typeEPNSR_ISM_E10value_typeEPSN_NS1_7vsmem_tEENKUlT_SL_SM_SN_E_clIS8_S8_S9_S9_EESK_S10_SL_SM_SN_EUlS10_E1_NS1_11comp_targetILNS1_3genE3ELNS1_11target_archE908ELNS1_3gpuE7ELNS1_3repE0EEENS1_36merge_oddeven_config_static_selectorELNS0_4arch9wavefront6targetE0EEEvSM_: ; @_ZN7rocprim17ROCPRIM_400000_NS6detail17trampoline_kernelINS0_14default_configENS1_38merge_sort_block_merge_config_selectorIlNS0_10empty_typeEEEZZNS1_27merge_sort_block_merge_implIS3_PlPS5_mZN2at6native12_GLOBAL__N_124unique_dim_cuda_templateIfEESt5tupleIJNSA_6TensorESF_SF_EERKSF_lbbbEUlllE_EE10hipError_tT0_T1_T2_jT3_P12ihipStream_tbPNSt15iterator_traitsISL_E10value_typeEPNSR_ISM_E10value_typeEPSN_NS1_7vsmem_tEENKUlT_SL_SM_SN_E_clIS8_S8_S9_S9_EESK_S10_SL_SM_SN_EUlS10_E1_NS1_11comp_targetILNS1_3genE3ELNS1_11target_archE908ELNS1_3gpuE7ELNS1_3repE0EEENS1_36merge_oddeven_config_static_selectorELNS0_4arch9wavefront6targetE0EEEvSM_
; %bb.0:
	.section	.rodata,"a",@progbits
	.p2align	6, 0x0
	.amdhsa_kernel _ZN7rocprim17ROCPRIM_400000_NS6detail17trampoline_kernelINS0_14default_configENS1_38merge_sort_block_merge_config_selectorIlNS0_10empty_typeEEEZZNS1_27merge_sort_block_merge_implIS3_PlPS5_mZN2at6native12_GLOBAL__N_124unique_dim_cuda_templateIfEESt5tupleIJNSA_6TensorESF_SF_EERKSF_lbbbEUlllE_EE10hipError_tT0_T1_T2_jT3_P12ihipStream_tbPNSt15iterator_traitsISL_E10value_typeEPNSR_ISM_E10value_typeEPSN_NS1_7vsmem_tEENKUlT_SL_SM_SN_E_clIS8_S8_S9_S9_EESK_S10_SL_SM_SN_EUlS10_E1_NS1_11comp_targetILNS1_3genE3ELNS1_11target_archE908ELNS1_3gpuE7ELNS1_3repE0EEENS1_36merge_oddeven_config_static_selectorELNS0_4arch9wavefront6targetE0EEEvSM_
		.amdhsa_group_segment_fixed_size 0
		.amdhsa_private_segment_fixed_size 0
		.amdhsa_kernarg_size 64
		.amdhsa_user_sgpr_count 2
		.amdhsa_user_sgpr_dispatch_ptr 0
		.amdhsa_user_sgpr_queue_ptr 0
		.amdhsa_user_sgpr_kernarg_segment_ptr 1
		.amdhsa_user_sgpr_dispatch_id 0
		.amdhsa_user_sgpr_kernarg_preload_length 0
		.amdhsa_user_sgpr_kernarg_preload_offset 0
		.amdhsa_user_sgpr_private_segment_size 0
		.amdhsa_wavefront_size32 1
		.amdhsa_uses_dynamic_stack 0
		.amdhsa_enable_private_segment 0
		.amdhsa_system_sgpr_workgroup_id_x 1
		.amdhsa_system_sgpr_workgroup_id_y 0
		.amdhsa_system_sgpr_workgroup_id_z 0
		.amdhsa_system_sgpr_workgroup_info 0
		.amdhsa_system_vgpr_workitem_id 0
		.amdhsa_next_free_vgpr 1
		.amdhsa_next_free_sgpr 1
		.amdhsa_named_barrier_count 0
		.amdhsa_reserve_vcc 0
		.amdhsa_float_round_mode_32 0
		.amdhsa_float_round_mode_16_64 0
		.amdhsa_float_denorm_mode_32 3
		.amdhsa_float_denorm_mode_16_64 3
		.amdhsa_fp16_overflow 0
		.amdhsa_memory_ordered 1
		.amdhsa_forward_progress 1
		.amdhsa_inst_pref_size 0
		.amdhsa_round_robin_scheduling 0
		.amdhsa_exception_fp_ieee_invalid_op 0
		.amdhsa_exception_fp_denorm_src 0
		.amdhsa_exception_fp_ieee_div_zero 0
		.amdhsa_exception_fp_ieee_overflow 0
		.amdhsa_exception_fp_ieee_underflow 0
		.amdhsa_exception_fp_ieee_inexact 0
		.amdhsa_exception_int_div_zero 0
	.end_amdhsa_kernel
	.section	.text._ZN7rocprim17ROCPRIM_400000_NS6detail17trampoline_kernelINS0_14default_configENS1_38merge_sort_block_merge_config_selectorIlNS0_10empty_typeEEEZZNS1_27merge_sort_block_merge_implIS3_PlPS5_mZN2at6native12_GLOBAL__N_124unique_dim_cuda_templateIfEESt5tupleIJNSA_6TensorESF_SF_EERKSF_lbbbEUlllE_EE10hipError_tT0_T1_T2_jT3_P12ihipStream_tbPNSt15iterator_traitsISL_E10value_typeEPNSR_ISM_E10value_typeEPSN_NS1_7vsmem_tEENKUlT_SL_SM_SN_E_clIS8_S8_S9_S9_EESK_S10_SL_SM_SN_EUlS10_E1_NS1_11comp_targetILNS1_3genE3ELNS1_11target_archE908ELNS1_3gpuE7ELNS1_3repE0EEENS1_36merge_oddeven_config_static_selectorELNS0_4arch9wavefront6targetE0EEEvSM_,"axG",@progbits,_ZN7rocprim17ROCPRIM_400000_NS6detail17trampoline_kernelINS0_14default_configENS1_38merge_sort_block_merge_config_selectorIlNS0_10empty_typeEEEZZNS1_27merge_sort_block_merge_implIS3_PlPS5_mZN2at6native12_GLOBAL__N_124unique_dim_cuda_templateIfEESt5tupleIJNSA_6TensorESF_SF_EERKSF_lbbbEUlllE_EE10hipError_tT0_T1_T2_jT3_P12ihipStream_tbPNSt15iterator_traitsISL_E10value_typeEPNSR_ISM_E10value_typeEPSN_NS1_7vsmem_tEENKUlT_SL_SM_SN_E_clIS8_S8_S9_S9_EESK_S10_SL_SM_SN_EUlS10_E1_NS1_11comp_targetILNS1_3genE3ELNS1_11target_archE908ELNS1_3gpuE7ELNS1_3repE0EEENS1_36merge_oddeven_config_static_selectorELNS0_4arch9wavefront6targetE0EEEvSM_,comdat
.Lfunc_end900:
	.size	_ZN7rocprim17ROCPRIM_400000_NS6detail17trampoline_kernelINS0_14default_configENS1_38merge_sort_block_merge_config_selectorIlNS0_10empty_typeEEEZZNS1_27merge_sort_block_merge_implIS3_PlPS5_mZN2at6native12_GLOBAL__N_124unique_dim_cuda_templateIfEESt5tupleIJNSA_6TensorESF_SF_EERKSF_lbbbEUlllE_EE10hipError_tT0_T1_T2_jT3_P12ihipStream_tbPNSt15iterator_traitsISL_E10value_typeEPNSR_ISM_E10value_typeEPSN_NS1_7vsmem_tEENKUlT_SL_SM_SN_E_clIS8_S8_S9_S9_EESK_S10_SL_SM_SN_EUlS10_E1_NS1_11comp_targetILNS1_3genE3ELNS1_11target_archE908ELNS1_3gpuE7ELNS1_3repE0EEENS1_36merge_oddeven_config_static_selectorELNS0_4arch9wavefront6targetE0EEEvSM_, .Lfunc_end900-_ZN7rocprim17ROCPRIM_400000_NS6detail17trampoline_kernelINS0_14default_configENS1_38merge_sort_block_merge_config_selectorIlNS0_10empty_typeEEEZZNS1_27merge_sort_block_merge_implIS3_PlPS5_mZN2at6native12_GLOBAL__N_124unique_dim_cuda_templateIfEESt5tupleIJNSA_6TensorESF_SF_EERKSF_lbbbEUlllE_EE10hipError_tT0_T1_T2_jT3_P12ihipStream_tbPNSt15iterator_traitsISL_E10value_typeEPNSR_ISM_E10value_typeEPSN_NS1_7vsmem_tEENKUlT_SL_SM_SN_E_clIS8_S8_S9_S9_EESK_S10_SL_SM_SN_EUlS10_E1_NS1_11comp_targetILNS1_3genE3ELNS1_11target_archE908ELNS1_3gpuE7ELNS1_3repE0EEENS1_36merge_oddeven_config_static_selectorELNS0_4arch9wavefront6targetE0EEEvSM_
                                        ; -- End function
	.set _ZN7rocprim17ROCPRIM_400000_NS6detail17trampoline_kernelINS0_14default_configENS1_38merge_sort_block_merge_config_selectorIlNS0_10empty_typeEEEZZNS1_27merge_sort_block_merge_implIS3_PlPS5_mZN2at6native12_GLOBAL__N_124unique_dim_cuda_templateIfEESt5tupleIJNSA_6TensorESF_SF_EERKSF_lbbbEUlllE_EE10hipError_tT0_T1_T2_jT3_P12ihipStream_tbPNSt15iterator_traitsISL_E10value_typeEPNSR_ISM_E10value_typeEPSN_NS1_7vsmem_tEENKUlT_SL_SM_SN_E_clIS8_S8_S9_S9_EESK_S10_SL_SM_SN_EUlS10_E1_NS1_11comp_targetILNS1_3genE3ELNS1_11target_archE908ELNS1_3gpuE7ELNS1_3repE0EEENS1_36merge_oddeven_config_static_selectorELNS0_4arch9wavefront6targetE0EEEvSM_.num_vgpr, 0
	.set _ZN7rocprim17ROCPRIM_400000_NS6detail17trampoline_kernelINS0_14default_configENS1_38merge_sort_block_merge_config_selectorIlNS0_10empty_typeEEEZZNS1_27merge_sort_block_merge_implIS3_PlPS5_mZN2at6native12_GLOBAL__N_124unique_dim_cuda_templateIfEESt5tupleIJNSA_6TensorESF_SF_EERKSF_lbbbEUlllE_EE10hipError_tT0_T1_T2_jT3_P12ihipStream_tbPNSt15iterator_traitsISL_E10value_typeEPNSR_ISM_E10value_typeEPSN_NS1_7vsmem_tEENKUlT_SL_SM_SN_E_clIS8_S8_S9_S9_EESK_S10_SL_SM_SN_EUlS10_E1_NS1_11comp_targetILNS1_3genE3ELNS1_11target_archE908ELNS1_3gpuE7ELNS1_3repE0EEENS1_36merge_oddeven_config_static_selectorELNS0_4arch9wavefront6targetE0EEEvSM_.num_agpr, 0
	.set _ZN7rocprim17ROCPRIM_400000_NS6detail17trampoline_kernelINS0_14default_configENS1_38merge_sort_block_merge_config_selectorIlNS0_10empty_typeEEEZZNS1_27merge_sort_block_merge_implIS3_PlPS5_mZN2at6native12_GLOBAL__N_124unique_dim_cuda_templateIfEESt5tupleIJNSA_6TensorESF_SF_EERKSF_lbbbEUlllE_EE10hipError_tT0_T1_T2_jT3_P12ihipStream_tbPNSt15iterator_traitsISL_E10value_typeEPNSR_ISM_E10value_typeEPSN_NS1_7vsmem_tEENKUlT_SL_SM_SN_E_clIS8_S8_S9_S9_EESK_S10_SL_SM_SN_EUlS10_E1_NS1_11comp_targetILNS1_3genE3ELNS1_11target_archE908ELNS1_3gpuE7ELNS1_3repE0EEENS1_36merge_oddeven_config_static_selectorELNS0_4arch9wavefront6targetE0EEEvSM_.numbered_sgpr, 0
	.set _ZN7rocprim17ROCPRIM_400000_NS6detail17trampoline_kernelINS0_14default_configENS1_38merge_sort_block_merge_config_selectorIlNS0_10empty_typeEEEZZNS1_27merge_sort_block_merge_implIS3_PlPS5_mZN2at6native12_GLOBAL__N_124unique_dim_cuda_templateIfEESt5tupleIJNSA_6TensorESF_SF_EERKSF_lbbbEUlllE_EE10hipError_tT0_T1_T2_jT3_P12ihipStream_tbPNSt15iterator_traitsISL_E10value_typeEPNSR_ISM_E10value_typeEPSN_NS1_7vsmem_tEENKUlT_SL_SM_SN_E_clIS8_S8_S9_S9_EESK_S10_SL_SM_SN_EUlS10_E1_NS1_11comp_targetILNS1_3genE3ELNS1_11target_archE908ELNS1_3gpuE7ELNS1_3repE0EEENS1_36merge_oddeven_config_static_selectorELNS0_4arch9wavefront6targetE0EEEvSM_.num_named_barrier, 0
	.set _ZN7rocprim17ROCPRIM_400000_NS6detail17trampoline_kernelINS0_14default_configENS1_38merge_sort_block_merge_config_selectorIlNS0_10empty_typeEEEZZNS1_27merge_sort_block_merge_implIS3_PlPS5_mZN2at6native12_GLOBAL__N_124unique_dim_cuda_templateIfEESt5tupleIJNSA_6TensorESF_SF_EERKSF_lbbbEUlllE_EE10hipError_tT0_T1_T2_jT3_P12ihipStream_tbPNSt15iterator_traitsISL_E10value_typeEPNSR_ISM_E10value_typeEPSN_NS1_7vsmem_tEENKUlT_SL_SM_SN_E_clIS8_S8_S9_S9_EESK_S10_SL_SM_SN_EUlS10_E1_NS1_11comp_targetILNS1_3genE3ELNS1_11target_archE908ELNS1_3gpuE7ELNS1_3repE0EEENS1_36merge_oddeven_config_static_selectorELNS0_4arch9wavefront6targetE0EEEvSM_.private_seg_size, 0
	.set _ZN7rocprim17ROCPRIM_400000_NS6detail17trampoline_kernelINS0_14default_configENS1_38merge_sort_block_merge_config_selectorIlNS0_10empty_typeEEEZZNS1_27merge_sort_block_merge_implIS3_PlPS5_mZN2at6native12_GLOBAL__N_124unique_dim_cuda_templateIfEESt5tupleIJNSA_6TensorESF_SF_EERKSF_lbbbEUlllE_EE10hipError_tT0_T1_T2_jT3_P12ihipStream_tbPNSt15iterator_traitsISL_E10value_typeEPNSR_ISM_E10value_typeEPSN_NS1_7vsmem_tEENKUlT_SL_SM_SN_E_clIS8_S8_S9_S9_EESK_S10_SL_SM_SN_EUlS10_E1_NS1_11comp_targetILNS1_3genE3ELNS1_11target_archE908ELNS1_3gpuE7ELNS1_3repE0EEENS1_36merge_oddeven_config_static_selectorELNS0_4arch9wavefront6targetE0EEEvSM_.uses_vcc, 0
	.set _ZN7rocprim17ROCPRIM_400000_NS6detail17trampoline_kernelINS0_14default_configENS1_38merge_sort_block_merge_config_selectorIlNS0_10empty_typeEEEZZNS1_27merge_sort_block_merge_implIS3_PlPS5_mZN2at6native12_GLOBAL__N_124unique_dim_cuda_templateIfEESt5tupleIJNSA_6TensorESF_SF_EERKSF_lbbbEUlllE_EE10hipError_tT0_T1_T2_jT3_P12ihipStream_tbPNSt15iterator_traitsISL_E10value_typeEPNSR_ISM_E10value_typeEPSN_NS1_7vsmem_tEENKUlT_SL_SM_SN_E_clIS8_S8_S9_S9_EESK_S10_SL_SM_SN_EUlS10_E1_NS1_11comp_targetILNS1_3genE3ELNS1_11target_archE908ELNS1_3gpuE7ELNS1_3repE0EEENS1_36merge_oddeven_config_static_selectorELNS0_4arch9wavefront6targetE0EEEvSM_.uses_flat_scratch, 0
	.set _ZN7rocprim17ROCPRIM_400000_NS6detail17trampoline_kernelINS0_14default_configENS1_38merge_sort_block_merge_config_selectorIlNS0_10empty_typeEEEZZNS1_27merge_sort_block_merge_implIS3_PlPS5_mZN2at6native12_GLOBAL__N_124unique_dim_cuda_templateIfEESt5tupleIJNSA_6TensorESF_SF_EERKSF_lbbbEUlllE_EE10hipError_tT0_T1_T2_jT3_P12ihipStream_tbPNSt15iterator_traitsISL_E10value_typeEPNSR_ISM_E10value_typeEPSN_NS1_7vsmem_tEENKUlT_SL_SM_SN_E_clIS8_S8_S9_S9_EESK_S10_SL_SM_SN_EUlS10_E1_NS1_11comp_targetILNS1_3genE3ELNS1_11target_archE908ELNS1_3gpuE7ELNS1_3repE0EEENS1_36merge_oddeven_config_static_selectorELNS0_4arch9wavefront6targetE0EEEvSM_.has_dyn_sized_stack, 0
	.set _ZN7rocprim17ROCPRIM_400000_NS6detail17trampoline_kernelINS0_14default_configENS1_38merge_sort_block_merge_config_selectorIlNS0_10empty_typeEEEZZNS1_27merge_sort_block_merge_implIS3_PlPS5_mZN2at6native12_GLOBAL__N_124unique_dim_cuda_templateIfEESt5tupleIJNSA_6TensorESF_SF_EERKSF_lbbbEUlllE_EE10hipError_tT0_T1_T2_jT3_P12ihipStream_tbPNSt15iterator_traitsISL_E10value_typeEPNSR_ISM_E10value_typeEPSN_NS1_7vsmem_tEENKUlT_SL_SM_SN_E_clIS8_S8_S9_S9_EESK_S10_SL_SM_SN_EUlS10_E1_NS1_11comp_targetILNS1_3genE3ELNS1_11target_archE908ELNS1_3gpuE7ELNS1_3repE0EEENS1_36merge_oddeven_config_static_selectorELNS0_4arch9wavefront6targetE0EEEvSM_.has_recursion, 0
	.set _ZN7rocprim17ROCPRIM_400000_NS6detail17trampoline_kernelINS0_14default_configENS1_38merge_sort_block_merge_config_selectorIlNS0_10empty_typeEEEZZNS1_27merge_sort_block_merge_implIS3_PlPS5_mZN2at6native12_GLOBAL__N_124unique_dim_cuda_templateIfEESt5tupleIJNSA_6TensorESF_SF_EERKSF_lbbbEUlllE_EE10hipError_tT0_T1_T2_jT3_P12ihipStream_tbPNSt15iterator_traitsISL_E10value_typeEPNSR_ISM_E10value_typeEPSN_NS1_7vsmem_tEENKUlT_SL_SM_SN_E_clIS8_S8_S9_S9_EESK_S10_SL_SM_SN_EUlS10_E1_NS1_11comp_targetILNS1_3genE3ELNS1_11target_archE908ELNS1_3gpuE7ELNS1_3repE0EEENS1_36merge_oddeven_config_static_selectorELNS0_4arch9wavefront6targetE0EEEvSM_.has_indirect_call, 0
	.section	.AMDGPU.csdata,"",@progbits
; Kernel info:
; codeLenInByte = 0
; TotalNumSgprs: 0
; NumVgprs: 0
; ScratchSize: 0
; MemoryBound: 0
; FloatMode: 240
; IeeeMode: 1
; LDSByteSize: 0 bytes/workgroup (compile time only)
; SGPRBlocks: 0
; VGPRBlocks: 0
; NumSGPRsForWavesPerEU: 1
; NumVGPRsForWavesPerEU: 1
; NamedBarCnt: 0
; Occupancy: 16
; WaveLimiterHint : 0
; COMPUTE_PGM_RSRC2:SCRATCH_EN: 0
; COMPUTE_PGM_RSRC2:USER_SGPR: 2
; COMPUTE_PGM_RSRC2:TRAP_HANDLER: 0
; COMPUTE_PGM_RSRC2:TGID_X_EN: 1
; COMPUTE_PGM_RSRC2:TGID_Y_EN: 0
; COMPUTE_PGM_RSRC2:TGID_Z_EN: 0
; COMPUTE_PGM_RSRC2:TIDIG_COMP_CNT: 0
	.section	.text._ZN7rocprim17ROCPRIM_400000_NS6detail17trampoline_kernelINS0_14default_configENS1_38merge_sort_block_merge_config_selectorIlNS0_10empty_typeEEEZZNS1_27merge_sort_block_merge_implIS3_PlPS5_mZN2at6native12_GLOBAL__N_124unique_dim_cuda_templateIfEESt5tupleIJNSA_6TensorESF_SF_EERKSF_lbbbEUlllE_EE10hipError_tT0_T1_T2_jT3_P12ihipStream_tbPNSt15iterator_traitsISL_E10value_typeEPNSR_ISM_E10value_typeEPSN_NS1_7vsmem_tEENKUlT_SL_SM_SN_E_clIS8_S8_S9_S9_EESK_S10_SL_SM_SN_EUlS10_E1_NS1_11comp_targetILNS1_3genE2ELNS1_11target_archE906ELNS1_3gpuE6ELNS1_3repE0EEENS1_36merge_oddeven_config_static_selectorELNS0_4arch9wavefront6targetE0EEEvSM_,"axG",@progbits,_ZN7rocprim17ROCPRIM_400000_NS6detail17trampoline_kernelINS0_14default_configENS1_38merge_sort_block_merge_config_selectorIlNS0_10empty_typeEEEZZNS1_27merge_sort_block_merge_implIS3_PlPS5_mZN2at6native12_GLOBAL__N_124unique_dim_cuda_templateIfEESt5tupleIJNSA_6TensorESF_SF_EERKSF_lbbbEUlllE_EE10hipError_tT0_T1_T2_jT3_P12ihipStream_tbPNSt15iterator_traitsISL_E10value_typeEPNSR_ISM_E10value_typeEPSN_NS1_7vsmem_tEENKUlT_SL_SM_SN_E_clIS8_S8_S9_S9_EESK_S10_SL_SM_SN_EUlS10_E1_NS1_11comp_targetILNS1_3genE2ELNS1_11target_archE906ELNS1_3gpuE6ELNS1_3repE0EEENS1_36merge_oddeven_config_static_selectorELNS0_4arch9wavefront6targetE0EEEvSM_,comdat
	.globl	_ZN7rocprim17ROCPRIM_400000_NS6detail17trampoline_kernelINS0_14default_configENS1_38merge_sort_block_merge_config_selectorIlNS0_10empty_typeEEEZZNS1_27merge_sort_block_merge_implIS3_PlPS5_mZN2at6native12_GLOBAL__N_124unique_dim_cuda_templateIfEESt5tupleIJNSA_6TensorESF_SF_EERKSF_lbbbEUlllE_EE10hipError_tT0_T1_T2_jT3_P12ihipStream_tbPNSt15iterator_traitsISL_E10value_typeEPNSR_ISM_E10value_typeEPSN_NS1_7vsmem_tEENKUlT_SL_SM_SN_E_clIS8_S8_S9_S9_EESK_S10_SL_SM_SN_EUlS10_E1_NS1_11comp_targetILNS1_3genE2ELNS1_11target_archE906ELNS1_3gpuE6ELNS1_3repE0EEENS1_36merge_oddeven_config_static_selectorELNS0_4arch9wavefront6targetE0EEEvSM_ ; -- Begin function _ZN7rocprim17ROCPRIM_400000_NS6detail17trampoline_kernelINS0_14default_configENS1_38merge_sort_block_merge_config_selectorIlNS0_10empty_typeEEEZZNS1_27merge_sort_block_merge_implIS3_PlPS5_mZN2at6native12_GLOBAL__N_124unique_dim_cuda_templateIfEESt5tupleIJNSA_6TensorESF_SF_EERKSF_lbbbEUlllE_EE10hipError_tT0_T1_T2_jT3_P12ihipStream_tbPNSt15iterator_traitsISL_E10value_typeEPNSR_ISM_E10value_typeEPSN_NS1_7vsmem_tEENKUlT_SL_SM_SN_E_clIS8_S8_S9_S9_EESK_S10_SL_SM_SN_EUlS10_E1_NS1_11comp_targetILNS1_3genE2ELNS1_11target_archE906ELNS1_3gpuE6ELNS1_3repE0EEENS1_36merge_oddeven_config_static_selectorELNS0_4arch9wavefront6targetE0EEEvSM_
	.p2align	8
	.type	_ZN7rocprim17ROCPRIM_400000_NS6detail17trampoline_kernelINS0_14default_configENS1_38merge_sort_block_merge_config_selectorIlNS0_10empty_typeEEEZZNS1_27merge_sort_block_merge_implIS3_PlPS5_mZN2at6native12_GLOBAL__N_124unique_dim_cuda_templateIfEESt5tupleIJNSA_6TensorESF_SF_EERKSF_lbbbEUlllE_EE10hipError_tT0_T1_T2_jT3_P12ihipStream_tbPNSt15iterator_traitsISL_E10value_typeEPNSR_ISM_E10value_typeEPSN_NS1_7vsmem_tEENKUlT_SL_SM_SN_E_clIS8_S8_S9_S9_EESK_S10_SL_SM_SN_EUlS10_E1_NS1_11comp_targetILNS1_3genE2ELNS1_11target_archE906ELNS1_3gpuE6ELNS1_3repE0EEENS1_36merge_oddeven_config_static_selectorELNS0_4arch9wavefront6targetE0EEEvSM_,@function
_ZN7rocprim17ROCPRIM_400000_NS6detail17trampoline_kernelINS0_14default_configENS1_38merge_sort_block_merge_config_selectorIlNS0_10empty_typeEEEZZNS1_27merge_sort_block_merge_implIS3_PlPS5_mZN2at6native12_GLOBAL__N_124unique_dim_cuda_templateIfEESt5tupleIJNSA_6TensorESF_SF_EERKSF_lbbbEUlllE_EE10hipError_tT0_T1_T2_jT3_P12ihipStream_tbPNSt15iterator_traitsISL_E10value_typeEPNSR_ISM_E10value_typeEPSN_NS1_7vsmem_tEENKUlT_SL_SM_SN_E_clIS8_S8_S9_S9_EESK_S10_SL_SM_SN_EUlS10_E1_NS1_11comp_targetILNS1_3genE2ELNS1_11target_archE906ELNS1_3gpuE6ELNS1_3repE0EEENS1_36merge_oddeven_config_static_selectorELNS0_4arch9wavefront6targetE0EEEvSM_: ; @_ZN7rocprim17ROCPRIM_400000_NS6detail17trampoline_kernelINS0_14default_configENS1_38merge_sort_block_merge_config_selectorIlNS0_10empty_typeEEEZZNS1_27merge_sort_block_merge_implIS3_PlPS5_mZN2at6native12_GLOBAL__N_124unique_dim_cuda_templateIfEESt5tupleIJNSA_6TensorESF_SF_EERKSF_lbbbEUlllE_EE10hipError_tT0_T1_T2_jT3_P12ihipStream_tbPNSt15iterator_traitsISL_E10value_typeEPNSR_ISM_E10value_typeEPSN_NS1_7vsmem_tEENKUlT_SL_SM_SN_E_clIS8_S8_S9_S9_EESK_S10_SL_SM_SN_EUlS10_E1_NS1_11comp_targetILNS1_3genE2ELNS1_11target_archE906ELNS1_3gpuE6ELNS1_3repE0EEENS1_36merge_oddeven_config_static_selectorELNS0_4arch9wavefront6targetE0EEEvSM_
; %bb.0:
	.section	.rodata,"a",@progbits
	.p2align	6, 0x0
	.amdhsa_kernel _ZN7rocprim17ROCPRIM_400000_NS6detail17trampoline_kernelINS0_14default_configENS1_38merge_sort_block_merge_config_selectorIlNS0_10empty_typeEEEZZNS1_27merge_sort_block_merge_implIS3_PlPS5_mZN2at6native12_GLOBAL__N_124unique_dim_cuda_templateIfEESt5tupleIJNSA_6TensorESF_SF_EERKSF_lbbbEUlllE_EE10hipError_tT0_T1_T2_jT3_P12ihipStream_tbPNSt15iterator_traitsISL_E10value_typeEPNSR_ISM_E10value_typeEPSN_NS1_7vsmem_tEENKUlT_SL_SM_SN_E_clIS8_S8_S9_S9_EESK_S10_SL_SM_SN_EUlS10_E1_NS1_11comp_targetILNS1_3genE2ELNS1_11target_archE906ELNS1_3gpuE6ELNS1_3repE0EEENS1_36merge_oddeven_config_static_selectorELNS0_4arch9wavefront6targetE0EEEvSM_
		.amdhsa_group_segment_fixed_size 0
		.amdhsa_private_segment_fixed_size 0
		.amdhsa_kernarg_size 64
		.amdhsa_user_sgpr_count 2
		.amdhsa_user_sgpr_dispatch_ptr 0
		.amdhsa_user_sgpr_queue_ptr 0
		.amdhsa_user_sgpr_kernarg_segment_ptr 1
		.amdhsa_user_sgpr_dispatch_id 0
		.amdhsa_user_sgpr_kernarg_preload_length 0
		.amdhsa_user_sgpr_kernarg_preload_offset 0
		.amdhsa_user_sgpr_private_segment_size 0
		.amdhsa_wavefront_size32 1
		.amdhsa_uses_dynamic_stack 0
		.amdhsa_enable_private_segment 0
		.amdhsa_system_sgpr_workgroup_id_x 1
		.amdhsa_system_sgpr_workgroup_id_y 0
		.amdhsa_system_sgpr_workgroup_id_z 0
		.amdhsa_system_sgpr_workgroup_info 0
		.amdhsa_system_vgpr_workitem_id 0
		.amdhsa_next_free_vgpr 1
		.amdhsa_next_free_sgpr 1
		.amdhsa_named_barrier_count 0
		.amdhsa_reserve_vcc 0
		.amdhsa_float_round_mode_32 0
		.amdhsa_float_round_mode_16_64 0
		.amdhsa_float_denorm_mode_32 3
		.amdhsa_float_denorm_mode_16_64 3
		.amdhsa_fp16_overflow 0
		.amdhsa_memory_ordered 1
		.amdhsa_forward_progress 1
		.amdhsa_inst_pref_size 0
		.amdhsa_round_robin_scheduling 0
		.amdhsa_exception_fp_ieee_invalid_op 0
		.amdhsa_exception_fp_denorm_src 0
		.amdhsa_exception_fp_ieee_div_zero 0
		.amdhsa_exception_fp_ieee_overflow 0
		.amdhsa_exception_fp_ieee_underflow 0
		.amdhsa_exception_fp_ieee_inexact 0
		.amdhsa_exception_int_div_zero 0
	.end_amdhsa_kernel
	.section	.text._ZN7rocprim17ROCPRIM_400000_NS6detail17trampoline_kernelINS0_14default_configENS1_38merge_sort_block_merge_config_selectorIlNS0_10empty_typeEEEZZNS1_27merge_sort_block_merge_implIS3_PlPS5_mZN2at6native12_GLOBAL__N_124unique_dim_cuda_templateIfEESt5tupleIJNSA_6TensorESF_SF_EERKSF_lbbbEUlllE_EE10hipError_tT0_T1_T2_jT3_P12ihipStream_tbPNSt15iterator_traitsISL_E10value_typeEPNSR_ISM_E10value_typeEPSN_NS1_7vsmem_tEENKUlT_SL_SM_SN_E_clIS8_S8_S9_S9_EESK_S10_SL_SM_SN_EUlS10_E1_NS1_11comp_targetILNS1_3genE2ELNS1_11target_archE906ELNS1_3gpuE6ELNS1_3repE0EEENS1_36merge_oddeven_config_static_selectorELNS0_4arch9wavefront6targetE0EEEvSM_,"axG",@progbits,_ZN7rocprim17ROCPRIM_400000_NS6detail17trampoline_kernelINS0_14default_configENS1_38merge_sort_block_merge_config_selectorIlNS0_10empty_typeEEEZZNS1_27merge_sort_block_merge_implIS3_PlPS5_mZN2at6native12_GLOBAL__N_124unique_dim_cuda_templateIfEESt5tupleIJNSA_6TensorESF_SF_EERKSF_lbbbEUlllE_EE10hipError_tT0_T1_T2_jT3_P12ihipStream_tbPNSt15iterator_traitsISL_E10value_typeEPNSR_ISM_E10value_typeEPSN_NS1_7vsmem_tEENKUlT_SL_SM_SN_E_clIS8_S8_S9_S9_EESK_S10_SL_SM_SN_EUlS10_E1_NS1_11comp_targetILNS1_3genE2ELNS1_11target_archE906ELNS1_3gpuE6ELNS1_3repE0EEENS1_36merge_oddeven_config_static_selectorELNS0_4arch9wavefront6targetE0EEEvSM_,comdat
.Lfunc_end901:
	.size	_ZN7rocprim17ROCPRIM_400000_NS6detail17trampoline_kernelINS0_14default_configENS1_38merge_sort_block_merge_config_selectorIlNS0_10empty_typeEEEZZNS1_27merge_sort_block_merge_implIS3_PlPS5_mZN2at6native12_GLOBAL__N_124unique_dim_cuda_templateIfEESt5tupleIJNSA_6TensorESF_SF_EERKSF_lbbbEUlllE_EE10hipError_tT0_T1_T2_jT3_P12ihipStream_tbPNSt15iterator_traitsISL_E10value_typeEPNSR_ISM_E10value_typeEPSN_NS1_7vsmem_tEENKUlT_SL_SM_SN_E_clIS8_S8_S9_S9_EESK_S10_SL_SM_SN_EUlS10_E1_NS1_11comp_targetILNS1_3genE2ELNS1_11target_archE906ELNS1_3gpuE6ELNS1_3repE0EEENS1_36merge_oddeven_config_static_selectorELNS0_4arch9wavefront6targetE0EEEvSM_, .Lfunc_end901-_ZN7rocprim17ROCPRIM_400000_NS6detail17trampoline_kernelINS0_14default_configENS1_38merge_sort_block_merge_config_selectorIlNS0_10empty_typeEEEZZNS1_27merge_sort_block_merge_implIS3_PlPS5_mZN2at6native12_GLOBAL__N_124unique_dim_cuda_templateIfEESt5tupleIJNSA_6TensorESF_SF_EERKSF_lbbbEUlllE_EE10hipError_tT0_T1_T2_jT3_P12ihipStream_tbPNSt15iterator_traitsISL_E10value_typeEPNSR_ISM_E10value_typeEPSN_NS1_7vsmem_tEENKUlT_SL_SM_SN_E_clIS8_S8_S9_S9_EESK_S10_SL_SM_SN_EUlS10_E1_NS1_11comp_targetILNS1_3genE2ELNS1_11target_archE906ELNS1_3gpuE6ELNS1_3repE0EEENS1_36merge_oddeven_config_static_selectorELNS0_4arch9wavefront6targetE0EEEvSM_
                                        ; -- End function
	.set _ZN7rocprim17ROCPRIM_400000_NS6detail17trampoline_kernelINS0_14default_configENS1_38merge_sort_block_merge_config_selectorIlNS0_10empty_typeEEEZZNS1_27merge_sort_block_merge_implIS3_PlPS5_mZN2at6native12_GLOBAL__N_124unique_dim_cuda_templateIfEESt5tupleIJNSA_6TensorESF_SF_EERKSF_lbbbEUlllE_EE10hipError_tT0_T1_T2_jT3_P12ihipStream_tbPNSt15iterator_traitsISL_E10value_typeEPNSR_ISM_E10value_typeEPSN_NS1_7vsmem_tEENKUlT_SL_SM_SN_E_clIS8_S8_S9_S9_EESK_S10_SL_SM_SN_EUlS10_E1_NS1_11comp_targetILNS1_3genE2ELNS1_11target_archE906ELNS1_3gpuE6ELNS1_3repE0EEENS1_36merge_oddeven_config_static_selectorELNS0_4arch9wavefront6targetE0EEEvSM_.num_vgpr, 0
	.set _ZN7rocprim17ROCPRIM_400000_NS6detail17trampoline_kernelINS0_14default_configENS1_38merge_sort_block_merge_config_selectorIlNS0_10empty_typeEEEZZNS1_27merge_sort_block_merge_implIS3_PlPS5_mZN2at6native12_GLOBAL__N_124unique_dim_cuda_templateIfEESt5tupleIJNSA_6TensorESF_SF_EERKSF_lbbbEUlllE_EE10hipError_tT0_T1_T2_jT3_P12ihipStream_tbPNSt15iterator_traitsISL_E10value_typeEPNSR_ISM_E10value_typeEPSN_NS1_7vsmem_tEENKUlT_SL_SM_SN_E_clIS8_S8_S9_S9_EESK_S10_SL_SM_SN_EUlS10_E1_NS1_11comp_targetILNS1_3genE2ELNS1_11target_archE906ELNS1_3gpuE6ELNS1_3repE0EEENS1_36merge_oddeven_config_static_selectorELNS0_4arch9wavefront6targetE0EEEvSM_.num_agpr, 0
	.set _ZN7rocprim17ROCPRIM_400000_NS6detail17trampoline_kernelINS0_14default_configENS1_38merge_sort_block_merge_config_selectorIlNS0_10empty_typeEEEZZNS1_27merge_sort_block_merge_implIS3_PlPS5_mZN2at6native12_GLOBAL__N_124unique_dim_cuda_templateIfEESt5tupleIJNSA_6TensorESF_SF_EERKSF_lbbbEUlllE_EE10hipError_tT0_T1_T2_jT3_P12ihipStream_tbPNSt15iterator_traitsISL_E10value_typeEPNSR_ISM_E10value_typeEPSN_NS1_7vsmem_tEENKUlT_SL_SM_SN_E_clIS8_S8_S9_S9_EESK_S10_SL_SM_SN_EUlS10_E1_NS1_11comp_targetILNS1_3genE2ELNS1_11target_archE906ELNS1_3gpuE6ELNS1_3repE0EEENS1_36merge_oddeven_config_static_selectorELNS0_4arch9wavefront6targetE0EEEvSM_.numbered_sgpr, 0
	.set _ZN7rocprim17ROCPRIM_400000_NS6detail17trampoline_kernelINS0_14default_configENS1_38merge_sort_block_merge_config_selectorIlNS0_10empty_typeEEEZZNS1_27merge_sort_block_merge_implIS3_PlPS5_mZN2at6native12_GLOBAL__N_124unique_dim_cuda_templateIfEESt5tupleIJNSA_6TensorESF_SF_EERKSF_lbbbEUlllE_EE10hipError_tT0_T1_T2_jT3_P12ihipStream_tbPNSt15iterator_traitsISL_E10value_typeEPNSR_ISM_E10value_typeEPSN_NS1_7vsmem_tEENKUlT_SL_SM_SN_E_clIS8_S8_S9_S9_EESK_S10_SL_SM_SN_EUlS10_E1_NS1_11comp_targetILNS1_3genE2ELNS1_11target_archE906ELNS1_3gpuE6ELNS1_3repE0EEENS1_36merge_oddeven_config_static_selectorELNS0_4arch9wavefront6targetE0EEEvSM_.num_named_barrier, 0
	.set _ZN7rocprim17ROCPRIM_400000_NS6detail17trampoline_kernelINS0_14default_configENS1_38merge_sort_block_merge_config_selectorIlNS0_10empty_typeEEEZZNS1_27merge_sort_block_merge_implIS3_PlPS5_mZN2at6native12_GLOBAL__N_124unique_dim_cuda_templateIfEESt5tupleIJNSA_6TensorESF_SF_EERKSF_lbbbEUlllE_EE10hipError_tT0_T1_T2_jT3_P12ihipStream_tbPNSt15iterator_traitsISL_E10value_typeEPNSR_ISM_E10value_typeEPSN_NS1_7vsmem_tEENKUlT_SL_SM_SN_E_clIS8_S8_S9_S9_EESK_S10_SL_SM_SN_EUlS10_E1_NS1_11comp_targetILNS1_3genE2ELNS1_11target_archE906ELNS1_3gpuE6ELNS1_3repE0EEENS1_36merge_oddeven_config_static_selectorELNS0_4arch9wavefront6targetE0EEEvSM_.private_seg_size, 0
	.set _ZN7rocprim17ROCPRIM_400000_NS6detail17trampoline_kernelINS0_14default_configENS1_38merge_sort_block_merge_config_selectorIlNS0_10empty_typeEEEZZNS1_27merge_sort_block_merge_implIS3_PlPS5_mZN2at6native12_GLOBAL__N_124unique_dim_cuda_templateIfEESt5tupleIJNSA_6TensorESF_SF_EERKSF_lbbbEUlllE_EE10hipError_tT0_T1_T2_jT3_P12ihipStream_tbPNSt15iterator_traitsISL_E10value_typeEPNSR_ISM_E10value_typeEPSN_NS1_7vsmem_tEENKUlT_SL_SM_SN_E_clIS8_S8_S9_S9_EESK_S10_SL_SM_SN_EUlS10_E1_NS1_11comp_targetILNS1_3genE2ELNS1_11target_archE906ELNS1_3gpuE6ELNS1_3repE0EEENS1_36merge_oddeven_config_static_selectorELNS0_4arch9wavefront6targetE0EEEvSM_.uses_vcc, 0
	.set _ZN7rocprim17ROCPRIM_400000_NS6detail17trampoline_kernelINS0_14default_configENS1_38merge_sort_block_merge_config_selectorIlNS0_10empty_typeEEEZZNS1_27merge_sort_block_merge_implIS3_PlPS5_mZN2at6native12_GLOBAL__N_124unique_dim_cuda_templateIfEESt5tupleIJNSA_6TensorESF_SF_EERKSF_lbbbEUlllE_EE10hipError_tT0_T1_T2_jT3_P12ihipStream_tbPNSt15iterator_traitsISL_E10value_typeEPNSR_ISM_E10value_typeEPSN_NS1_7vsmem_tEENKUlT_SL_SM_SN_E_clIS8_S8_S9_S9_EESK_S10_SL_SM_SN_EUlS10_E1_NS1_11comp_targetILNS1_3genE2ELNS1_11target_archE906ELNS1_3gpuE6ELNS1_3repE0EEENS1_36merge_oddeven_config_static_selectorELNS0_4arch9wavefront6targetE0EEEvSM_.uses_flat_scratch, 0
	.set _ZN7rocprim17ROCPRIM_400000_NS6detail17trampoline_kernelINS0_14default_configENS1_38merge_sort_block_merge_config_selectorIlNS0_10empty_typeEEEZZNS1_27merge_sort_block_merge_implIS3_PlPS5_mZN2at6native12_GLOBAL__N_124unique_dim_cuda_templateIfEESt5tupleIJNSA_6TensorESF_SF_EERKSF_lbbbEUlllE_EE10hipError_tT0_T1_T2_jT3_P12ihipStream_tbPNSt15iterator_traitsISL_E10value_typeEPNSR_ISM_E10value_typeEPSN_NS1_7vsmem_tEENKUlT_SL_SM_SN_E_clIS8_S8_S9_S9_EESK_S10_SL_SM_SN_EUlS10_E1_NS1_11comp_targetILNS1_3genE2ELNS1_11target_archE906ELNS1_3gpuE6ELNS1_3repE0EEENS1_36merge_oddeven_config_static_selectorELNS0_4arch9wavefront6targetE0EEEvSM_.has_dyn_sized_stack, 0
	.set _ZN7rocprim17ROCPRIM_400000_NS6detail17trampoline_kernelINS0_14default_configENS1_38merge_sort_block_merge_config_selectorIlNS0_10empty_typeEEEZZNS1_27merge_sort_block_merge_implIS3_PlPS5_mZN2at6native12_GLOBAL__N_124unique_dim_cuda_templateIfEESt5tupleIJNSA_6TensorESF_SF_EERKSF_lbbbEUlllE_EE10hipError_tT0_T1_T2_jT3_P12ihipStream_tbPNSt15iterator_traitsISL_E10value_typeEPNSR_ISM_E10value_typeEPSN_NS1_7vsmem_tEENKUlT_SL_SM_SN_E_clIS8_S8_S9_S9_EESK_S10_SL_SM_SN_EUlS10_E1_NS1_11comp_targetILNS1_3genE2ELNS1_11target_archE906ELNS1_3gpuE6ELNS1_3repE0EEENS1_36merge_oddeven_config_static_selectorELNS0_4arch9wavefront6targetE0EEEvSM_.has_recursion, 0
	.set _ZN7rocprim17ROCPRIM_400000_NS6detail17trampoline_kernelINS0_14default_configENS1_38merge_sort_block_merge_config_selectorIlNS0_10empty_typeEEEZZNS1_27merge_sort_block_merge_implIS3_PlPS5_mZN2at6native12_GLOBAL__N_124unique_dim_cuda_templateIfEESt5tupleIJNSA_6TensorESF_SF_EERKSF_lbbbEUlllE_EE10hipError_tT0_T1_T2_jT3_P12ihipStream_tbPNSt15iterator_traitsISL_E10value_typeEPNSR_ISM_E10value_typeEPSN_NS1_7vsmem_tEENKUlT_SL_SM_SN_E_clIS8_S8_S9_S9_EESK_S10_SL_SM_SN_EUlS10_E1_NS1_11comp_targetILNS1_3genE2ELNS1_11target_archE906ELNS1_3gpuE6ELNS1_3repE0EEENS1_36merge_oddeven_config_static_selectorELNS0_4arch9wavefront6targetE0EEEvSM_.has_indirect_call, 0
	.section	.AMDGPU.csdata,"",@progbits
; Kernel info:
; codeLenInByte = 0
; TotalNumSgprs: 0
; NumVgprs: 0
; ScratchSize: 0
; MemoryBound: 0
; FloatMode: 240
; IeeeMode: 1
; LDSByteSize: 0 bytes/workgroup (compile time only)
; SGPRBlocks: 0
; VGPRBlocks: 0
; NumSGPRsForWavesPerEU: 1
; NumVGPRsForWavesPerEU: 1
; NamedBarCnt: 0
; Occupancy: 16
; WaveLimiterHint : 0
; COMPUTE_PGM_RSRC2:SCRATCH_EN: 0
; COMPUTE_PGM_RSRC2:USER_SGPR: 2
; COMPUTE_PGM_RSRC2:TRAP_HANDLER: 0
; COMPUTE_PGM_RSRC2:TGID_X_EN: 1
; COMPUTE_PGM_RSRC2:TGID_Y_EN: 0
; COMPUTE_PGM_RSRC2:TGID_Z_EN: 0
; COMPUTE_PGM_RSRC2:TIDIG_COMP_CNT: 0
	.section	.text._ZN7rocprim17ROCPRIM_400000_NS6detail17trampoline_kernelINS0_14default_configENS1_38merge_sort_block_merge_config_selectorIlNS0_10empty_typeEEEZZNS1_27merge_sort_block_merge_implIS3_PlPS5_mZN2at6native12_GLOBAL__N_124unique_dim_cuda_templateIfEESt5tupleIJNSA_6TensorESF_SF_EERKSF_lbbbEUlllE_EE10hipError_tT0_T1_T2_jT3_P12ihipStream_tbPNSt15iterator_traitsISL_E10value_typeEPNSR_ISM_E10value_typeEPSN_NS1_7vsmem_tEENKUlT_SL_SM_SN_E_clIS8_S8_S9_S9_EESK_S10_SL_SM_SN_EUlS10_E1_NS1_11comp_targetILNS1_3genE9ELNS1_11target_archE1100ELNS1_3gpuE3ELNS1_3repE0EEENS1_36merge_oddeven_config_static_selectorELNS0_4arch9wavefront6targetE0EEEvSM_,"axG",@progbits,_ZN7rocprim17ROCPRIM_400000_NS6detail17trampoline_kernelINS0_14default_configENS1_38merge_sort_block_merge_config_selectorIlNS0_10empty_typeEEEZZNS1_27merge_sort_block_merge_implIS3_PlPS5_mZN2at6native12_GLOBAL__N_124unique_dim_cuda_templateIfEESt5tupleIJNSA_6TensorESF_SF_EERKSF_lbbbEUlllE_EE10hipError_tT0_T1_T2_jT3_P12ihipStream_tbPNSt15iterator_traitsISL_E10value_typeEPNSR_ISM_E10value_typeEPSN_NS1_7vsmem_tEENKUlT_SL_SM_SN_E_clIS8_S8_S9_S9_EESK_S10_SL_SM_SN_EUlS10_E1_NS1_11comp_targetILNS1_3genE9ELNS1_11target_archE1100ELNS1_3gpuE3ELNS1_3repE0EEENS1_36merge_oddeven_config_static_selectorELNS0_4arch9wavefront6targetE0EEEvSM_,comdat
	.globl	_ZN7rocprim17ROCPRIM_400000_NS6detail17trampoline_kernelINS0_14default_configENS1_38merge_sort_block_merge_config_selectorIlNS0_10empty_typeEEEZZNS1_27merge_sort_block_merge_implIS3_PlPS5_mZN2at6native12_GLOBAL__N_124unique_dim_cuda_templateIfEESt5tupleIJNSA_6TensorESF_SF_EERKSF_lbbbEUlllE_EE10hipError_tT0_T1_T2_jT3_P12ihipStream_tbPNSt15iterator_traitsISL_E10value_typeEPNSR_ISM_E10value_typeEPSN_NS1_7vsmem_tEENKUlT_SL_SM_SN_E_clIS8_S8_S9_S9_EESK_S10_SL_SM_SN_EUlS10_E1_NS1_11comp_targetILNS1_3genE9ELNS1_11target_archE1100ELNS1_3gpuE3ELNS1_3repE0EEENS1_36merge_oddeven_config_static_selectorELNS0_4arch9wavefront6targetE0EEEvSM_ ; -- Begin function _ZN7rocprim17ROCPRIM_400000_NS6detail17trampoline_kernelINS0_14default_configENS1_38merge_sort_block_merge_config_selectorIlNS0_10empty_typeEEEZZNS1_27merge_sort_block_merge_implIS3_PlPS5_mZN2at6native12_GLOBAL__N_124unique_dim_cuda_templateIfEESt5tupleIJNSA_6TensorESF_SF_EERKSF_lbbbEUlllE_EE10hipError_tT0_T1_T2_jT3_P12ihipStream_tbPNSt15iterator_traitsISL_E10value_typeEPNSR_ISM_E10value_typeEPSN_NS1_7vsmem_tEENKUlT_SL_SM_SN_E_clIS8_S8_S9_S9_EESK_S10_SL_SM_SN_EUlS10_E1_NS1_11comp_targetILNS1_3genE9ELNS1_11target_archE1100ELNS1_3gpuE3ELNS1_3repE0EEENS1_36merge_oddeven_config_static_selectorELNS0_4arch9wavefront6targetE0EEEvSM_
	.p2align	8
	.type	_ZN7rocprim17ROCPRIM_400000_NS6detail17trampoline_kernelINS0_14default_configENS1_38merge_sort_block_merge_config_selectorIlNS0_10empty_typeEEEZZNS1_27merge_sort_block_merge_implIS3_PlPS5_mZN2at6native12_GLOBAL__N_124unique_dim_cuda_templateIfEESt5tupleIJNSA_6TensorESF_SF_EERKSF_lbbbEUlllE_EE10hipError_tT0_T1_T2_jT3_P12ihipStream_tbPNSt15iterator_traitsISL_E10value_typeEPNSR_ISM_E10value_typeEPSN_NS1_7vsmem_tEENKUlT_SL_SM_SN_E_clIS8_S8_S9_S9_EESK_S10_SL_SM_SN_EUlS10_E1_NS1_11comp_targetILNS1_3genE9ELNS1_11target_archE1100ELNS1_3gpuE3ELNS1_3repE0EEENS1_36merge_oddeven_config_static_selectorELNS0_4arch9wavefront6targetE0EEEvSM_,@function
_ZN7rocprim17ROCPRIM_400000_NS6detail17trampoline_kernelINS0_14default_configENS1_38merge_sort_block_merge_config_selectorIlNS0_10empty_typeEEEZZNS1_27merge_sort_block_merge_implIS3_PlPS5_mZN2at6native12_GLOBAL__N_124unique_dim_cuda_templateIfEESt5tupleIJNSA_6TensorESF_SF_EERKSF_lbbbEUlllE_EE10hipError_tT0_T1_T2_jT3_P12ihipStream_tbPNSt15iterator_traitsISL_E10value_typeEPNSR_ISM_E10value_typeEPSN_NS1_7vsmem_tEENKUlT_SL_SM_SN_E_clIS8_S8_S9_S9_EESK_S10_SL_SM_SN_EUlS10_E1_NS1_11comp_targetILNS1_3genE9ELNS1_11target_archE1100ELNS1_3gpuE3ELNS1_3repE0EEENS1_36merge_oddeven_config_static_selectorELNS0_4arch9wavefront6targetE0EEEvSM_: ; @_ZN7rocprim17ROCPRIM_400000_NS6detail17trampoline_kernelINS0_14default_configENS1_38merge_sort_block_merge_config_selectorIlNS0_10empty_typeEEEZZNS1_27merge_sort_block_merge_implIS3_PlPS5_mZN2at6native12_GLOBAL__N_124unique_dim_cuda_templateIfEESt5tupleIJNSA_6TensorESF_SF_EERKSF_lbbbEUlllE_EE10hipError_tT0_T1_T2_jT3_P12ihipStream_tbPNSt15iterator_traitsISL_E10value_typeEPNSR_ISM_E10value_typeEPSN_NS1_7vsmem_tEENKUlT_SL_SM_SN_E_clIS8_S8_S9_S9_EESK_S10_SL_SM_SN_EUlS10_E1_NS1_11comp_targetILNS1_3genE9ELNS1_11target_archE1100ELNS1_3gpuE3ELNS1_3repE0EEENS1_36merge_oddeven_config_static_selectorELNS0_4arch9wavefront6targetE0EEEvSM_
; %bb.0:
	.section	.rodata,"a",@progbits
	.p2align	6, 0x0
	.amdhsa_kernel _ZN7rocprim17ROCPRIM_400000_NS6detail17trampoline_kernelINS0_14default_configENS1_38merge_sort_block_merge_config_selectorIlNS0_10empty_typeEEEZZNS1_27merge_sort_block_merge_implIS3_PlPS5_mZN2at6native12_GLOBAL__N_124unique_dim_cuda_templateIfEESt5tupleIJNSA_6TensorESF_SF_EERKSF_lbbbEUlllE_EE10hipError_tT0_T1_T2_jT3_P12ihipStream_tbPNSt15iterator_traitsISL_E10value_typeEPNSR_ISM_E10value_typeEPSN_NS1_7vsmem_tEENKUlT_SL_SM_SN_E_clIS8_S8_S9_S9_EESK_S10_SL_SM_SN_EUlS10_E1_NS1_11comp_targetILNS1_3genE9ELNS1_11target_archE1100ELNS1_3gpuE3ELNS1_3repE0EEENS1_36merge_oddeven_config_static_selectorELNS0_4arch9wavefront6targetE0EEEvSM_
		.amdhsa_group_segment_fixed_size 0
		.amdhsa_private_segment_fixed_size 0
		.amdhsa_kernarg_size 64
		.amdhsa_user_sgpr_count 2
		.amdhsa_user_sgpr_dispatch_ptr 0
		.amdhsa_user_sgpr_queue_ptr 0
		.amdhsa_user_sgpr_kernarg_segment_ptr 1
		.amdhsa_user_sgpr_dispatch_id 0
		.amdhsa_user_sgpr_kernarg_preload_length 0
		.amdhsa_user_sgpr_kernarg_preload_offset 0
		.amdhsa_user_sgpr_private_segment_size 0
		.amdhsa_wavefront_size32 1
		.amdhsa_uses_dynamic_stack 0
		.amdhsa_enable_private_segment 0
		.amdhsa_system_sgpr_workgroup_id_x 1
		.amdhsa_system_sgpr_workgroup_id_y 0
		.amdhsa_system_sgpr_workgroup_id_z 0
		.amdhsa_system_sgpr_workgroup_info 0
		.amdhsa_system_vgpr_workitem_id 0
		.amdhsa_next_free_vgpr 1
		.amdhsa_next_free_sgpr 1
		.amdhsa_named_barrier_count 0
		.amdhsa_reserve_vcc 0
		.amdhsa_float_round_mode_32 0
		.amdhsa_float_round_mode_16_64 0
		.amdhsa_float_denorm_mode_32 3
		.amdhsa_float_denorm_mode_16_64 3
		.amdhsa_fp16_overflow 0
		.amdhsa_memory_ordered 1
		.amdhsa_forward_progress 1
		.amdhsa_inst_pref_size 0
		.amdhsa_round_robin_scheduling 0
		.amdhsa_exception_fp_ieee_invalid_op 0
		.amdhsa_exception_fp_denorm_src 0
		.amdhsa_exception_fp_ieee_div_zero 0
		.amdhsa_exception_fp_ieee_overflow 0
		.amdhsa_exception_fp_ieee_underflow 0
		.amdhsa_exception_fp_ieee_inexact 0
		.amdhsa_exception_int_div_zero 0
	.end_amdhsa_kernel
	.section	.text._ZN7rocprim17ROCPRIM_400000_NS6detail17trampoline_kernelINS0_14default_configENS1_38merge_sort_block_merge_config_selectorIlNS0_10empty_typeEEEZZNS1_27merge_sort_block_merge_implIS3_PlPS5_mZN2at6native12_GLOBAL__N_124unique_dim_cuda_templateIfEESt5tupleIJNSA_6TensorESF_SF_EERKSF_lbbbEUlllE_EE10hipError_tT0_T1_T2_jT3_P12ihipStream_tbPNSt15iterator_traitsISL_E10value_typeEPNSR_ISM_E10value_typeEPSN_NS1_7vsmem_tEENKUlT_SL_SM_SN_E_clIS8_S8_S9_S9_EESK_S10_SL_SM_SN_EUlS10_E1_NS1_11comp_targetILNS1_3genE9ELNS1_11target_archE1100ELNS1_3gpuE3ELNS1_3repE0EEENS1_36merge_oddeven_config_static_selectorELNS0_4arch9wavefront6targetE0EEEvSM_,"axG",@progbits,_ZN7rocprim17ROCPRIM_400000_NS6detail17trampoline_kernelINS0_14default_configENS1_38merge_sort_block_merge_config_selectorIlNS0_10empty_typeEEEZZNS1_27merge_sort_block_merge_implIS3_PlPS5_mZN2at6native12_GLOBAL__N_124unique_dim_cuda_templateIfEESt5tupleIJNSA_6TensorESF_SF_EERKSF_lbbbEUlllE_EE10hipError_tT0_T1_T2_jT3_P12ihipStream_tbPNSt15iterator_traitsISL_E10value_typeEPNSR_ISM_E10value_typeEPSN_NS1_7vsmem_tEENKUlT_SL_SM_SN_E_clIS8_S8_S9_S9_EESK_S10_SL_SM_SN_EUlS10_E1_NS1_11comp_targetILNS1_3genE9ELNS1_11target_archE1100ELNS1_3gpuE3ELNS1_3repE0EEENS1_36merge_oddeven_config_static_selectorELNS0_4arch9wavefront6targetE0EEEvSM_,comdat
.Lfunc_end902:
	.size	_ZN7rocprim17ROCPRIM_400000_NS6detail17trampoline_kernelINS0_14default_configENS1_38merge_sort_block_merge_config_selectorIlNS0_10empty_typeEEEZZNS1_27merge_sort_block_merge_implIS3_PlPS5_mZN2at6native12_GLOBAL__N_124unique_dim_cuda_templateIfEESt5tupleIJNSA_6TensorESF_SF_EERKSF_lbbbEUlllE_EE10hipError_tT0_T1_T2_jT3_P12ihipStream_tbPNSt15iterator_traitsISL_E10value_typeEPNSR_ISM_E10value_typeEPSN_NS1_7vsmem_tEENKUlT_SL_SM_SN_E_clIS8_S8_S9_S9_EESK_S10_SL_SM_SN_EUlS10_E1_NS1_11comp_targetILNS1_3genE9ELNS1_11target_archE1100ELNS1_3gpuE3ELNS1_3repE0EEENS1_36merge_oddeven_config_static_selectorELNS0_4arch9wavefront6targetE0EEEvSM_, .Lfunc_end902-_ZN7rocprim17ROCPRIM_400000_NS6detail17trampoline_kernelINS0_14default_configENS1_38merge_sort_block_merge_config_selectorIlNS0_10empty_typeEEEZZNS1_27merge_sort_block_merge_implIS3_PlPS5_mZN2at6native12_GLOBAL__N_124unique_dim_cuda_templateIfEESt5tupleIJNSA_6TensorESF_SF_EERKSF_lbbbEUlllE_EE10hipError_tT0_T1_T2_jT3_P12ihipStream_tbPNSt15iterator_traitsISL_E10value_typeEPNSR_ISM_E10value_typeEPSN_NS1_7vsmem_tEENKUlT_SL_SM_SN_E_clIS8_S8_S9_S9_EESK_S10_SL_SM_SN_EUlS10_E1_NS1_11comp_targetILNS1_3genE9ELNS1_11target_archE1100ELNS1_3gpuE3ELNS1_3repE0EEENS1_36merge_oddeven_config_static_selectorELNS0_4arch9wavefront6targetE0EEEvSM_
                                        ; -- End function
	.set _ZN7rocprim17ROCPRIM_400000_NS6detail17trampoline_kernelINS0_14default_configENS1_38merge_sort_block_merge_config_selectorIlNS0_10empty_typeEEEZZNS1_27merge_sort_block_merge_implIS3_PlPS5_mZN2at6native12_GLOBAL__N_124unique_dim_cuda_templateIfEESt5tupleIJNSA_6TensorESF_SF_EERKSF_lbbbEUlllE_EE10hipError_tT0_T1_T2_jT3_P12ihipStream_tbPNSt15iterator_traitsISL_E10value_typeEPNSR_ISM_E10value_typeEPSN_NS1_7vsmem_tEENKUlT_SL_SM_SN_E_clIS8_S8_S9_S9_EESK_S10_SL_SM_SN_EUlS10_E1_NS1_11comp_targetILNS1_3genE9ELNS1_11target_archE1100ELNS1_3gpuE3ELNS1_3repE0EEENS1_36merge_oddeven_config_static_selectorELNS0_4arch9wavefront6targetE0EEEvSM_.num_vgpr, 0
	.set _ZN7rocprim17ROCPRIM_400000_NS6detail17trampoline_kernelINS0_14default_configENS1_38merge_sort_block_merge_config_selectorIlNS0_10empty_typeEEEZZNS1_27merge_sort_block_merge_implIS3_PlPS5_mZN2at6native12_GLOBAL__N_124unique_dim_cuda_templateIfEESt5tupleIJNSA_6TensorESF_SF_EERKSF_lbbbEUlllE_EE10hipError_tT0_T1_T2_jT3_P12ihipStream_tbPNSt15iterator_traitsISL_E10value_typeEPNSR_ISM_E10value_typeEPSN_NS1_7vsmem_tEENKUlT_SL_SM_SN_E_clIS8_S8_S9_S9_EESK_S10_SL_SM_SN_EUlS10_E1_NS1_11comp_targetILNS1_3genE9ELNS1_11target_archE1100ELNS1_3gpuE3ELNS1_3repE0EEENS1_36merge_oddeven_config_static_selectorELNS0_4arch9wavefront6targetE0EEEvSM_.num_agpr, 0
	.set _ZN7rocprim17ROCPRIM_400000_NS6detail17trampoline_kernelINS0_14default_configENS1_38merge_sort_block_merge_config_selectorIlNS0_10empty_typeEEEZZNS1_27merge_sort_block_merge_implIS3_PlPS5_mZN2at6native12_GLOBAL__N_124unique_dim_cuda_templateIfEESt5tupleIJNSA_6TensorESF_SF_EERKSF_lbbbEUlllE_EE10hipError_tT0_T1_T2_jT3_P12ihipStream_tbPNSt15iterator_traitsISL_E10value_typeEPNSR_ISM_E10value_typeEPSN_NS1_7vsmem_tEENKUlT_SL_SM_SN_E_clIS8_S8_S9_S9_EESK_S10_SL_SM_SN_EUlS10_E1_NS1_11comp_targetILNS1_3genE9ELNS1_11target_archE1100ELNS1_3gpuE3ELNS1_3repE0EEENS1_36merge_oddeven_config_static_selectorELNS0_4arch9wavefront6targetE0EEEvSM_.numbered_sgpr, 0
	.set _ZN7rocprim17ROCPRIM_400000_NS6detail17trampoline_kernelINS0_14default_configENS1_38merge_sort_block_merge_config_selectorIlNS0_10empty_typeEEEZZNS1_27merge_sort_block_merge_implIS3_PlPS5_mZN2at6native12_GLOBAL__N_124unique_dim_cuda_templateIfEESt5tupleIJNSA_6TensorESF_SF_EERKSF_lbbbEUlllE_EE10hipError_tT0_T1_T2_jT3_P12ihipStream_tbPNSt15iterator_traitsISL_E10value_typeEPNSR_ISM_E10value_typeEPSN_NS1_7vsmem_tEENKUlT_SL_SM_SN_E_clIS8_S8_S9_S9_EESK_S10_SL_SM_SN_EUlS10_E1_NS1_11comp_targetILNS1_3genE9ELNS1_11target_archE1100ELNS1_3gpuE3ELNS1_3repE0EEENS1_36merge_oddeven_config_static_selectorELNS0_4arch9wavefront6targetE0EEEvSM_.num_named_barrier, 0
	.set _ZN7rocprim17ROCPRIM_400000_NS6detail17trampoline_kernelINS0_14default_configENS1_38merge_sort_block_merge_config_selectorIlNS0_10empty_typeEEEZZNS1_27merge_sort_block_merge_implIS3_PlPS5_mZN2at6native12_GLOBAL__N_124unique_dim_cuda_templateIfEESt5tupleIJNSA_6TensorESF_SF_EERKSF_lbbbEUlllE_EE10hipError_tT0_T1_T2_jT3_P12ihipStream_tbPNSt15iterator_traitsISL_E10value_typeEPNSR_ISM_E10value_typeEPSN_NS1_7vsmem_tEENKUlT_SL_SM_SN_E_clIS8_S8_S9_S9_EESK_S10_SL_SM_SN_EUlS10_E1_NS1_11comp_targetILNS1_3genE9ELNS1_11target_archE1100ELNS1_3gpuE3ELNS1_3repE0EEENS1_36merge_oddeven_config_static_selectorELNS0_4arch9wavefront6targetE0EEEvSM_.private_seg_size, 0
	.set _ZN7rocprim17ROCPRIM_400000_NS6detail17trampoline_kernelINS0_14default_configENS1_38merge_sort_block_merge_config_selectorIlNS0_10empty_typeEEEZZNS1_27merge_sort_block_merge_implIS3_PlPS5_mZN2at6native12_GLOBAL__N_124unique_dim_cuda_templateIfEESt5tupleIJNSA_6TensorESF_SF_EERKSF_lbbbEUlllE_EE10hipError_tT0_T1_T2_jT3_P12ihipStream_tbPNSt15iterator_traitsISL_E10value_typeEPNSR_ISM_E10value_typeEPSN_NS1_7vsmem_tEENKUlT_SL_SM_SN_E_clIS8_S8_S9_S9_EESK_S10_SL_SM_SN_EUlS10_E1_NS1_11comp_targetILNS1_3genE9ELNS1_11target_archE1100ELNS1_3gpuE3ELNS1_3repE0EEENS1_36merge_oddeven_config_static_selectorELNS0_4arch9wavefront6targetE0EEEvSM_.uses_vcc, 0
	.set _ZN7rocprim17ROCPRIM_400000_NS6detail17trampoline_kernelINS0_14default_configENS1_38merge_sort_block_merge_config_selectorIlNS0_10empty_typeEEEZZNS1_27merge_sort_block_merge_implIS3_PlPS5_mZN2at6native12_GLOBAL__N_124unique_dim_cuda_templateIfEESt5tupleIJNSA_6TensorESF_SF_EERKSF_lbbbEUlllE_EE10hipError_tT0_T1_T2_jT3_P12ihipStream_tbPNSt15iterator_traitsISL_E10value_typeEPNSR_ISM_E10value_typeEPSN_NS1_7vsmem_tEENKUlT_SL_SM_SN_E_clIS8_S8_S9_S9_EESK_S10_SL_SM_SN_EUlS10_E1_NS1_11comp_targetILNS1_3genE9ELNS1_11target_archE1100ELNS1_3gpuE3ELNS1_3repE0EEENS1_36merge_oddeven_config_static_selectorELNS0_4arch9wavefront6targetE0EEEvSM_.uses_flat_scratch, 0
	.set _ZN7rocprim17ROCPRIM_400000_NS6detail17trampoline_kernelINS0_14default_configENS1_38merge_sort_block_merge_config_selectorIlNS0_10empty_typeEEEZZNS1_27merge_sort_block_merge_implIS3_PlPS5_mZN2at6native12_GLOBAL__N_124unique_dim_cuda_templateIfEESt5tupleIJNSA_6TensorESF_SF_EERKSF_lbbbEUlllE_EE10hipError_tT0_T1_T2_jT3_P12ihipStream_tbPNSt15iterator_traitsISL_E10value_typeEPNSR_ISM_E10value_typeEPSN_NS1_7vsmem_tEENKUlT_SL_SM_SN_E_clIS8_S8_S9_S9_EESK_S10_SL_SM_SN_EUlS10_E1_NS1_11comp_targetILNS1_3genE9ELNS1_11target_archE1100ELNS1_3gpuE3ELNS1_3repE0EEENS1_36merge_oddeven_config_static_selectorELNS0_4arch9wavefront6targetE0EEEvSM_.has_dyn_sized_stack, 0
	.set _ZN7rocprim17ROCPRIM_400000_NS6detail17trampoline_kernelINS0_14default_configENS1_38merge_sort_block_merge_config_selectorIlNS0_10empty_typeEEEZZNS1_27merge_sort_block_merge_implIS3_PlPS5_mZN2at6native12_GLOBAL__N_124unique_dim_cuda_templateIfEESt5tupleIJNSA_6TensorESF_SF_EERKSF_lbbbEUlllE_EE10hipError_tT0_T1_T2_jT3_P12ihipStream_tbPNSt15iterator_traitsISL_E10value_typeEPNSR_ISM_E10value_typeEPSN_NS1_7vsmem_tEENKUlT_SL_SM_SN_E_clIS8_S8_S9_S9_EESK_S10_SL_SM_SN_EUlS10_E1_NS1_11comp_targetILNS1_3genE9ELNS1_11target_archE1100ELNS1_3gpuE3ELNS1_3repE0EEENS1_36merge_oddeven_config_static_selectorELNS0_4arch9wavefront6targetE0EEEvSM_.has_recursion, 0
	.set _ZN7rocprim17ROCPRIM_400000_NS6detail17trampoline_kernelINS0_14default_configENS1_38merge_sort_block_merge_config_selectorIlNS0_10empty_typeEEEZZNS1_27merge_sort_block_merge_implIS3_PlPS5_mZN2at6native12_GLOBAL__N_124unique_dim_cuda_templateIfEESt5tupleIJNSA_6TensorESF_SF_EERKSF_lbbbEUlllE_EE10hipError_tT0_T1_T2_jT3_P12ihipStream_tbPNSt15iterator_traitsISL_E10value_typeEPNSR_ISM_E10value_typeEPSN_NS1_7vsmem_tEENKUlT_SL_SM_SN_E_clIS8_S8_S9_S9_EESK_S10_SL_SM_SN_EUlS10_E1_NS1_11comp_targetILNS1_3genE9ELNS1_11target_archE1100ELNS1_3gpuE3ELNS1_3repE0EEENS1_36merge_oddeven_config_static_selectorELNS0_4arch9wavefront6targetE0EEEvSM_.has_indirect_call, 0
	.section	.AMDGPU.csdata,"",@progbits
; Kernel info:
; codeLenInByte = 0
; TotalNumSgprs: 0
; NumVgprs: 0
; ScratchSize: 0
; MemoryBound: 0
; FloatMode: 240
; IeeeMode: 1
; LDSByteSize: 0 bytes/workgroup (compile time only)
; SGPRBlocks: 0
; VGPRBlocks: 0
; NumSGPRsForWavesPerEU: 1
; NumVGPRsForWavesPerEU: 1
; NamedBarCnt: 0
; Occupancy: 16
; WaveLimiterHint : 0
; COMPUTE_PGM_RSRC2:SCRATCH_EN: 0
; COMPUTE_PGM_RSRC2:USER_SGPR: 2
; COMPUTE_PGM_RSRC2:TRAP_HANDLER: 0
; COMPUTE_PGM_RSRC2:TGID_X_EN: 1
; COMPUTE_PGM_RSRC2:TGID_Y_EN: 0
; COMPUTE_PGM_RSRC2:TGID_Z_EN: 0
; COMPUTE_PGM_RSRC2:TIDIG_COMP_CNT: 0
	.section	.text._ZN7rocprim17ROCPRIM_400000_NS6detail17trampoline_kernelINS0_14default_configENS1_38merge_sort_block_merge_config_selectorIlNS0_10empty_typeEEEZZNS1_27merge_sort_block_merge_implIS3_PlPS5_mZN2at6native12_GLOBAL__N_124unique_dim_cuda_templateIfEESt5tupleIJNSA_6TensorESF_SF_EERKSF_lbbbEUlllE_EE10hipError_tT0_T1_T2_jT3_P12ihipStream_tbPNSt15iterator_traitsISL_E10value_typeEPNSR_ISM_E10value_typeEPSN_NS1_7vsmem_tEENKUlT_SL_SM_SN_E_clIS8_S8_S9_S9_EESK_S10_SL_SM_SN_EUlS10_E1_NS1_11comp_targetILNS1_3genE8ELNS1_11target_archE1030ELNS1_3gpuE2ELNS1_3repE0EEENS1_36merge_oddeven_config_static_selectorELNS0_4arch9wavefront6targetE0EEEvSM_,"axG",@progbits,_ZN7rocprim17ROCPRIM_400000_NS6detail17trampoline_kernelINS0_14default_configENS1_38merge_sort_block_merge_config_selectorIlNS0_10empty_typeEEEZZNS1_27merge_sort_block_merge_implIS3_PlPS5_mZN2at6native12_GLOBAL__N_124unique_dim_cuda_templateIfEESt5tupleIJNSA_6TensorESF_SF_EERKSF_lbbbEUlllE_EE10hipError_tT0_T1_T2_jT3_P12ihipStream_tbPNSt15iterator_traitsISL_E10value_typeEPNSR_ISM_E10value_typeEPSN_NS1_7vsmem_tEENKUlT_SL_SM_SN_E_clIS8_S8_S9_S9_EESK_S10_SL_SM_SN_EUlS10_E1_NS1_11comp_targetILNS1_3genE8ELNS1_11target_archE1030ELNS1_3gpuE2ELNS1_3repE0EEENS1_36merge_oddeven_config_static_selectorELNS0_4arch9wavefront6targetE0EEEvSM_,comdat
	.globl	_ZN7rocprim17ROCPRIM_400000_NS6detail17trampoline_kernelINS0_14default_configENS1_38merge_sort_block_merge_config_selectorIlNS0_10empty_typeEEEZZNS1_27merge_sort_block_merge_implIS3_PlPS5_mZN2at6native12_GLOBAL__N_124unique_dim_cuda_templateIfEESt5tupleIJNSA_6TensorESF_SF_EERKSF_lbbbEUlllE_EE10hipError_tT0_T1_T2_jT3_P12ihipStream_tbPNSt15iterator_traitsISL_E10value_typeEPNSR_ISM_E10value_typeEPSN_NS1_7vsmem_tEENKUlT_SL_SM_SN_E_clIS8_S8_S9_S9_EESK_S10_SL_SM_SN_EUlS10_E1_NS1_11comp_targetILNS1_3genE8ELNS1_11target_archE1030ELNS1_3gpuE2ELNS1_3repE0EEENS1_36merge_oddeven_config_static_selectorELNS0_4arch9wavefront6targetE0EEEvSM_ ; -- Begin function _ZN7rocprim17ROCPRIM_400000_NS6detail17trampoline_kernelINS0_14default_configENS1_38merge_sort_block_merge_config_selectorIlNS0_10empty_typeEEEZZNS1_27merge_sort_block_merge_implIS3_PlPS5_mZN2at6native12_GLOBAL__N_124unique_dim_cuda_templateIfEESt5tupleIJNSA_6TensorESF_SF_EERKSF_lbbbEUlllE_EE10hipError_tT0_T1_T2_jT3_P12ihipStream_tbPNSt15iterator_traitsISL_E10value_typeEPNSR_ISM_E10value_typeEPSN_NS1_7vsmem_tEENKUlT_SL_SM_SN_E_clIS8_S8_S9_S9_EESK_S10_SL_SM_SN_EUlS10_E1_NS1_11comp_targetILNS1_3genE8ELNS1_11target_archE1030ELNS1_3gpuE2ELNS1_3repE0EEENS1_36merge_oddeven_config_static_selectorELNS0_4arch9wavefront6targetE0EEEvSM_
	.p2align	8
	.type	_ZN7rocprim17ROCPRIM_400000_NS6detail17trampoline_kernelINS0_14default_configENS1_38merge_sort_block_merge_config_selectorIlNS0_10empty_typeEEEZZNS1_27merge_sort_block_merge_implIS3_PlPS5_mZN2at6native12_GLOBAL__N_124unique_dim_cuda_templateIfEESt5tupleIJNSA_6TensorESF_SF_EERKSF_lbbbEUlllE_EE10hipError_tT0_T1_T2_jT3_P12ihipStream_tbPNSt15iterator_traitsISL_E10value_typeEPNSR_ISM_E10value_typeEPSN_NS1_7vsmem_tEENKUlT_SL_SM_SN_E_clIS8_S8_S9_S9_EESK_S10_SL_SM_SN_EUlS10_E1_NS1_11comp_targetILNS1_3genE8ELNS1_11target_archE1030ELNS1_3gpuE2ELNS1_3repE0EEENS1_36merge_oddeven_config_static_selectorELNS0_4arch9wavefront6targetE0EEEvSM_,@function
_ZN7rocprim17ROCPRIM_400000_NS6detail17trampoline_kernelINS0_14default_configENS1_38merge_sort_block_merge_config_selectorIlNS0_10empty_typeEEEZZNS1_27merge_sort_block_merge_implIS3_PlPS5_mZN2at6native12_GLOBAL__N_124unique_dim_cuda_templateIfEESt5tupleIJNSA_6TensorESF_SF_EERKSF_lbbbEUlllE_EE10hipError_tT0_T1_T2_jT3_P12ihipStream_tbPNSt15iterator_traitsISL_E10value_typeEPNSR_ISM_E10value_typeEPSN_NS1_7vsmem_tEENKUlT_SL_SM_SN_E_clIS8_S8_S9_S9_EESK_S10_SL_SM_SN_EUlS10_E1_NS1_11comp_targetILNS1_3genE8ELNS1_11target_archE1030ELNS1_3gpuE2ELNS1_3repE0EEENS1_36merge_oddeven_config_static_selectorELNS0_4arch9wavefront6targetE0EEEvSM_: ; @_ZN7rocprim17ROCPRIM_400000_NS6detail17trampoline_kernelINS0_14default_configENS1_38merge_sort_block_merge_config_selectorIlNS0_10empty_typeEEEZZNS1_27merge_sort_block_merge_implIS3_PlPS5_mZN2at6native12_GLOBAL__N_124unique_dim_cuda_templateIfEESt5tupleIJNSA_6TensorESF_SF_EERKSF_lbbbEUlllE_EE10hipError_tT0_T1_T2_jT3_P12ihipStream_tbPNSt15iterator_traitsISL_E10value_typeEPNSR_ISM_E10value_typeEPSN_NS1_7vsmem_tEENKUlT_SL_SM_SN_E_clIS8_S8_S9_S9_EESK_S10_SL_SM_SN_EUlS10_E1_NS1_11comp_targetILNS1_3genE8ELNS1_11target_archE1030ELNS1_3gpuE2ELNS1_3repE0EEENS1_36merge_oddeven_config_static_selectorELNS0_4arch9wavefront6targetE0EEEvSM_
; %bb.0:
	.section	.rodata,"a",@progbits
	.p2align	6, 0x0
	.amdhsa_kernel _ZN7rocprim17ROCPRIM_400000_NS6detail17trampoline_kernelINS0_14default_configENS1_38merge_sort_block_merge_config_selectorIlNS0_10empty_typeEEEZZNS1_27merge_sort_block_merge_implIS3_PlPS5_mZN2at6native12_GLOBAL__N_124unique_dim_cuda_templateIfEESt5tupleIJNSA_6TensorESF_SF_EERKSF_lbbbEUlllE_EE10hipError_tT0_T1_T2_jT3_P12ihipStream_tbPNSt15iterator_traitsISL_E10value_typeEPNSR_ISM_E10value_typeEPSN_NS1_7vsmem_tEENKUlT_SL_SM_SN_E_clIS8_S8_S9_S9_EESK_S10_SL_SM_SN_EUlS10_E1_NS1_11comp_targetILNS1_3genE8ELNS1_11target_archE1030ELNS1_3gpuE2ELNS1_3repE0EEENS1_36merge_oddeven_config_static_selectorELNS0_4arch9wavefront6targetE0EEEvSM_
		.amdhsa_group_segment_fixed_size 0
		.amdhsa_private_segment_fixed_size 0
		.amdhsa_kernarg_size 64
		.amdhsa_user_sgpr_count 2
		.amdhsa_user_sgpr_dispatch_ptr 0
		.amdhsa_user_sgpr_queue_ptr 0
		.amdhsa_user_sgpr_kernarg_segment_ptr 1
		.amdhsa_user_sgpr_dispatch_id 0
		.amdhsa_user_sgpr_kernarg_preload_length 0
		.amdhsa_user_sgpr_kernarg_preload_offset 0
		.amdhsa_user_sgpr_private_segment_size 0
		.amdhsa_wavefront_size32 1
		.amdhsa_uses_dynamic_stack 0
		.amdhsa_enable_private_segment 0
		.amdhsa_system_sgpr_workgroup_id_x 1
		.amdhsa_system_sgpr_workgroup_id_y 0
		.amdhsa_system_sgpr_workgroup_id_z 0
		.amdhsa_system_sgpr_workgroup_info 0
		.amdhsa_system_vgpr_workitem_id 0
		.amdhsa_next_free_vgpr 1
		.amdhsa_next_free_sgpr 1
		.amdhsa_named_barrier_count 0
		.amdhsa_reserve_vcc 0
		.amdhsa_float_round_mode_32 0
		.amdhsa_float_round_mode_16_64 0
		.amdhsa_float_denorm_mode_32 3
		.amdhsa_float_denorm_mode_16_64 3
		.amdhsa_fp16_overflow 0
		.amdhsa_memory_ordered 1
		.amdhsa_forward_progress 1
		.amdhsa_inst_pref_size 0
		.amdhsa_round_robin_scheduling 0
		.amdhsa_exception_fp_ieee_invalid_op 0
		.amdhsa_exception_fp_denorm_src 0
		.amdhsa_exception_fp_ieee_div_zero 0
		.amdhsa_exception_fp_ieee_overflow 0
		.amdhsa_exception_fp_ieee_underflow 0
		.amdhsa_exception_fp_ieee_inexact 0
		.amdhsa_exception_int_div_zero 0
	.end_amdhsa_kernel
	.section	.text._ZN7rocprim17ROCPRIM_400000_NS6detail17trampoline_kernelINS0_14default_configENS1_38merge_sort_block_merge_config_selectorIlNS0_10empty_typeEEEZZNS1_27merge_sort_block_merge_implIS3_PlPS5_mZN2at6native12_GLOBAL__N_124unique_dim_cuda_templateIfEESt5tupleIJNSA_6TensorESF_SF_EERKSF_lbbbEUlllE_EE10hipError_tT0_T1_T2_jT3_P12ihipStream_tbPNSt15iterator_traitsISL_E10value_typeEPNSR_ISM_E10value_typeEPSN_NS1_7vsmem_tEENKUlT_SL_SM_SN_E_clIS8_S8_S9_S9_EESK_S10_SL_SM_SN_EUlS10_E1_NS1_11comp_targetILNS1_3genE8ELNS1_11target_archE1030ELNS1_3gpuE2ELNS1_3repE0EEENS1_36merge_oddeven_config_static_selectorELNS0_4arch9wavefront6targetE0EEEvSM_,"axG",@progbits,_ZN7rocprim17ROCPRIM_400000_NS6detail17trampoline_kernelINS0_14default_configENS1_38merge_sort_block_merge_config_selectorIlNS0_10empty_typeEEEZZNS1_27merge_sort_block_merge_implIS3_PlPS5_mZN2at6native12_GLOBAL__N_124unique_dim_cuda_templateIfEESt5tupleIJNSA_6TensorESF_SF_EERKSF_lbbbEUlllE_EE10hipError_tT0_T1_T2_jT3_P12ihipStream_tbPNSt15iterator_traitsISL_E10value_typeEPNSR_ISM_E10value_typeEPSN_NS1_7vsmem_tEENKUlT_SL_SM_SN_E_clIS8_S8_S9_S9_EESK_S10_SL_SM_SN_EUlS10_E1_NS1_11comp_targetILNS1_3genE8ELNS1_11target_archE1030ELNS1_3gpuE2ELNS1_3repE0EEENS1_36merge_oddeven_config_static_selectorELNS0_4arch9wavefront6targetE0EEEvSM_,comdat
.Lfunc_end903:
	.size	_ZN7rocprim17ROCPRIM_400000_NS6detail17trampoline_kernelINS0_14default_configENS1_38merge_sort_block_merge_config_selectorIlNS0_10empty_typeEEEZZNS1_27merge_sort_block_merge_implIS3_PlPS5_mZN2at6native12_GLOBAL__N_124unique_dim_cuda_templateIfEESt5tupleIJNSA_6TensorESF_SF_EERKSF_lbbbEUlllE_EE10hipError_tT0_T1_T2_jT3_P12ihipStream_tbPNSt15iterator_traitsISL_E10value_typeEPNSR_ISM_E10value_typeEPSN_NS1_7vsmem_tEENKUlT_SL_SM_SN_E_clIS8_S8_S9_S9_EESK_S10_SL_SM_SN_EUlS10_E1_NS1_11comp_targetILNS1_3genE8ELNS1_11target_archE1030ELNS1_3gpuE2ELNS1_3repE0EEENS1_36merge_oddeven_config_static_selectorELNS0_4arch9wavefront6targetE0EEEvSM_, .Lfunc_end903-_ZN7rocprim17ROCPRIM_400000_NS6detail17trampoline_kernelINS0_14default_configENS1_38merge_sort_block_merge_config_selectorIlNS0_10empty_typeEEEZZNS1_27merge_sort_block_merge_implIS3_PlPS5_mZN2at6native12_GLOBAL__N_124unique_dim_cuda_templateIfEESt5tupleIJNSA_6TensorESF_SF_EERKSF_lbbbEUlllE_EE10hipError_tT0_T1_T2_jT3_P12ihipStream_tbPNSt15iterator_traitsISL_E10value_typeEPNSR_ISM_E10value_typeEPSN_NS1_7vsmem_tEENKUlT_SL_SM_SN_E_clIS8_S8_S9_S9_EESK_S10_SL_SM_SN_EUlS10_E1_NS1_11comp_targetILNS1_3genE8ELNS1_11target_archE1030ELNS1_3gpuE2ELNS1_3repE0EEENS1_36merge_oddeven_config_static_selectorELNS0_4arch9wavefront6targetE0EEEvSM_
                                        ; -- End function
	.set _ZN7rocprim17ROCPRIM_400000_NS6detail17trampoline_kernelINS0_14default_configENS1_38merge_sort_block_merge_config_selectorIlNS0_10empty_typeEEEZZNS1_27merge_sort_block_merge_implIS3_PlPS5_mZN2at6native12_GLOBAL__N_124unique_dim_cuda_templateIfEESt5tupleIJNSA_6TensorESF_SF_EERKSF_lbbbEUlllE_EE10hipError_tT0_T1_T2_jT3_P12ihipStream_tbPNSt15iterator_traitsISL_E10value_typeEPNSR_ISM_E10value_typeEPSN_NS1_7vsmem_tEENKUlT_SL_SM_SN_E_clIS8_S8_S9_S9_EESK_S10_SL_SM_SN_EUlS10_E1_NS1_11comp_targetILNS1_3genE8ELNS1_11target_archE1030ELNS1_3gpuE2ELNS1_3repE0EEENS1_36merge_oddeven_config_static_selectorELNS0_4arch9wavefront6targetE0EEEvSM_.num_vgpr, 0
	.set _ZN7rocprim17ROCPRIM_400000_NS6detail17trampoline_kernelINS0_14default_configENS1_38merge_sort_block_merge_config_selectorIlNS0_10empty_typeEEEZZNS1_27merge_sort_block_merge_implIS3_PlPS5_mZN2at6native12_GLOBAL__N_124unique_dim_cuda_templateIfEESt5tupleIJNSA_6TensorESF_SF_EERKSF_lbbbEUlllE_EE10hipError_tT0_T1_T2_jT3_P12ihipStream_tbPNSt15iterator_traitsISL_E10value_typeEPNSR_ISM_E10value_typeEPSN_NS1_7vsmem_tEENKUlT_SL_SM_SN_E_clIS8_S8_S9_S9_EESK_S10_SL_SM_SN_EUlS10_E1_NS1_11comp_targetILNS1_3genE8ELNS1_11target_archE1030ELNS1_3gpuE2ELNS1_3repE0EEENS1_36merge_oddeven_config_static_selectorELNS0_4arch9wavefront6targetE0EEEvSM_.num_agpr, 0
	.set _ZN7rocprim17ROCPRIM_400000_NS6detail17trampoline_kernelINS0_14default_configENS1_38merge_sort_block_merge_config_selectorIlNS0_10empty_typeEEEZZNS1_27merge_sort_block_merge_implIS3_PlPS5_mZN2at6native12_GLOBAL__N_124unique_dim_cuda_templateIfEESt5tupleIJNSA_6TensorESF_SF_EERKSF_lbbbEUlllE_EE10hipError_tT0_T1_T2_jT3_P12ihipStream_tbPNSt15iterator_traitsISL_E10value_typeEPNSR_ISM_E10value_typeEPSN_NS1_7vsmem_tEENKUlT_SL_SM_SN_E_clIS8_S8_S9_S9_EESK_S10_SL_SM_SN_EUlS10_E1_NS1_11comp_targetILNS1_3genE8ELNS1_11target_archE1030ELNS1_3gpuE2ELNS1_3repE0EEENS1_36merge_oddeven_config_static_selectorELNS0_4arch9wavefront6targetE0EEEvSM_.numbered_sgpr, 0
	.set _ZN7rocprim17ROCPRIM_400000_NS6detail17trampoline_kernelINS0_14default_configENS1_38merge_sort_block_merge_config_selectorIlNS0_10empty_typeEEEZZNS1_27merge_sort_block_merge_implIS3_PlPS5_mZN2at6native12_GLOBAL__N_124unique_dim_cuda_templateIfEESt5tupleIJNSA_6TensorESF_SF_EERKSF_lbbbEUlllE_EE10hipError_tT0_T1_T2_jT3_P12ihipStream_tbPNSt15iterator_traitsISL_E10value_typeEPNSR_ISM_E10value_typeEPSN_NS1_7vsmem_tEENKUlT_SL_SM_SN_E_clIS8_S8_S9_S9_EESK_S10_SL_SM_SN_EUlS10_E1_NS1_11comp_targetILNS1_3genE8ELNS1_11target_archE1030ELNS1_3gpuE2ELNS1_3repE0EEENS1_36merge_oddeven_config_static_selectorELNS0_4arch9wavefront6targetE0EEEvSM_.num_named_barrier, 0
	.set _ZN7rocprim17ROCPRIM_400000_NS6detail17trampoline_kernelINS0_14default_configENS1_38merge_sort_block_merge_config_selectorIlNS0_10empty_typeEEEZZNS1_27merge_sort_block_merge_implIS3_PlPS5_mZN2at6native12_GLOBAL__N_124unique_dim_cuda_templateIfEESt5tupleIJNSA_6TensorESF_SF_EERKSF_lbbbEUlllE_EE10hipError_tT0_T1_T2_jT3_P12ihipStream_tbPNSt15iterator_traitsISL_E10value_typeEPNSR_ISM_E10value_typeEPSN_NS1_7vsmem_tEENKUlT_SL_SM_SN_E_clIS8_S8_S9_S9_EESK_S10_SL_SM_SN_EUlS10_E1_NS1_11comp_targetILNS1_3genE8ELNS1_11target_archE1030ELNS1_3gpuE2ELNS1_3repE0EEENS1_36merge_oddeven_config_static_selectorELNS0_4arch9wavefront6targetE0EEEvSM_.private_seg_size, 0
	.set _ZN7rocprim17ROCPRIM_400000_NS6detail17trampoline_kernelINS0_14default_configENS1_38merge_sort_block_merge_config_selectorIlNS0_10empty_typeEEEZZNS1_27merge_sort_block_merge_implIS3_PlPS5_mZN2at6native12_GLOBAL__N_124unique_dim_cuda_templateIfEESt5tupleIJNSA_6TensorESF_SF_EERKSF_lbbbEUlllE_EE10hipError_tT0_T1_T2_jT3_P12ihipStream_tbPNSt15iterator_traitsISL_E10value_typeEPNSR_ISM_E10value_typeEPSN_NS1_7vsmem_tEENKUlT_SL_SM_SN_E_clIS8_S8_S9_S9_EESK_S10_SL_SM_SN_EUlS10_E1_NS1_11comp_targetILNS1_3genE8ELNS1_11target_archE1030ELNS1_3gpuE2ELNS1_3repE0EEENS1_36merge_oddeven_config_static_selectorELNS0_4arch9wavefront6targetE0EEEvSM_.uses_vcc, 0
	.set _ZN7rocprim17ROCPRIM_400000_NS6detail17trampoline_kernelINS0_14default_configENS1_38merge_sort_block_merge_config_selectorIlNS0_10empty_typeEEEZZNS1_27merge_sort_block_merge_implIS3_PlPS5_mZN2at6native12_GLOBAL__N_124unique_dim_cuda_templateIfEESt5tupleIJNSA_6TensorESF_SF_EERKSF_lbbbEUlllE_EE10hipError_tT0_T1_T2_jT3_P12ihipStream_tbPNSt15iterator_traitsISL_E10value_typeEPNSR_ISM_E10value_typeEPSN_NS1_7vsmem_tEENKUlT_SL_SM_SN_E_clIS8_S8_S9_S9_EESK_S10_SL_SM_SN_EUlS10_E1_NS1_11comp_targetILNS1_3genE8ELNS1_11target_archE1030ELNS1_3gpuE2ELNS1_3repE0EEENS1_36merge_oddeven_config_static_selectorELNS0_4arch9wavefront6targetE0EEEvSM_.uses_flat_scratch, 0
	.set _ZN7rocprim17ROCPRIM_400000_NS6detail17trampoline_kernelINS0_14default_configENS1_38merge_sort_block_merge_config_selectorIlNS0_10empty_typeEEEZZNS1_27merge_sort_block_merge_implIS3_PlPS5_mZN2at6native12_GLOBAL__N_124unique_dim_cuda_templateIfEESt5tupleIJNSA_6TensorESF_SF_EERKSF_lbbbEUlllE_EE10hipError_tT0_T1_T2_jT3_P12ihipStream_tbPNSt15iterator_traitsISL_E10value_typeEPNSR_ISM_E10value_typeEPSN_NS1_7vsmem_tEENKUlT_SL_SM_SN_E_clIS8_S8_S9_S9_EESK_S10_SL_SM_SN_EUlS10_E1_NS1_11comp_targetILNS1_3genE8ELNS1_11target_archE1030ELNS1_3gpuE2ELNS1_3repE0EEENS1_36merge_oddeven_config_static_selectorELNS0_4arch9wavefront6targetE0EEEvSM_.has_dyn_sized_stack, 0
	.set _ZN7rocprim17ROCPRIM_400000_NS6detail17trampoline_kernelINS0_14default_configENS1_38merge_sort_block_merge_config_selectorIlNS0_10empty_typeEEEZZNS1_27merge_sort_block_merge_implIS3_PlPS5_mZN2at6native12_GLOBAL__N_124unique_dim_cuda_templateIfEESt5tupleIJNSA_6TensorESF_SF_EERKSF_lbbbEUlllE_EE10hipError_tT0_T1_T2_jT3_P12ihipStream_tbPNSt15iterator_traitsISL_E10value_typeEPNSR_ISM_E10value_typeEPSN_NS1_7vsmem_tEENKUlT_SL_SM_SN_E_clIS8_S8_S9_S9_EESK_S10_SL_SM_SN_EUlS10_E1_NS1_11comp_targetILNS1_3genE8ELNS1_11target_archE1030ELNS1_3gpuE2ELNS1_3repE0EEENS1_36merge_oddeven_config_static_selectorELNS0_4arch9wavefront6targetE0EEEvSM_.has_recursion, 0
	.set _ZN7rocprim17ROCPRIM_400000_NS6detail17trampoline_kernelINS0_14default_configENS1_38merge_sort_block_merge_config_selectorIlNS0_10empty_typeEEEZZNS1_27merge_sort_block_merge_implIS3_PlPS5_mZN2at6native12_GLOBAL__N_124unique_dim_cuda_templateIfEESt5tupleIJNSA_6TensorESF_SF_EERKSF_lbbbEUlllE_EE10hipError_tT0_T1_T2_jT3_P12ihipStream_tbPNSt15iterator_traitsISL_E10value_typeEPNSR_ISM_E10value_typeEPSN_NS1_7vsmem_tEENKUlT_SL_SM_SN_E_clIS8_S8_S9_S9_EESK_S10_SL_SM_SN_EUlS10_E1_NS1_11comp_targetILNS1_3genE8ELNS1_11target_archE1030ELNS1_3gpuE2ELNS1_3repE0EEENS1_36merge_oddeven_config_static_selectorELNS0_4arch9wavefront6targetE0EEEvSM_.has_indirect_call, 0
	.section	.AMDGPU.csdata,"",@progbits
; Kernel info:
; codeLenInByte = 0
; TotalNumSgprs: 0
; NumVgprs: 0
; ScratchSize: 0
; MemoryBound: 0
; FloatMode: 240
; IeeeMode: 1
; LDSByteSize: 0 bytes/workgroup (compile time only)
; SGPRBlocks: 0
; VGPRBlocks: 0
; NumSGPRsForWavesPerEU: 1
; NumVGPRsForWavesPerEU: 1
; NamedBarCnt: 0
; Occupancy: 16
; WaveLimiterHint : 0
; COMPUTE_PGM_RSRC2:SCRATCH_EN: 0
; COMPUTE_PGM_RSRC2:USER_SGPR: 2
; COMPUTE_PGM_RSRC2:TRAP_HANDLER: 0
; COMPUTE_PGM_RSRC2:TGID_X_EN: 1
; COMPUTE_PGM_RSRC2:TGID_Y_EN: 0
; COMPUTE_PGM_RSRC2:TGID_Z_EN: 0
; COMPUTE_PGM_RSRC2:TIDIG_COMP_CNT: 0
	.section	.text._ZN7rocprim17ROCPRIM_400000_NS6detail17trampoline_kernelINS0_14default_configENS1_35adjacent_difference_config_selectorILb0ElEEZNS1_24adjacent_difference_implIS3_Lb0ELb0EPlS7_ZN2at6native12_GLOBAL__N_124unique_dim_cuda_templateIfEESt5tupleIJNS8_6TensorESD_SD_EERKSD_lbbbEUlllE1_EE10hipError_tPvRmT2_T3_mT4_P12ihipStream_tbEUlT_E_NS1_11comp_targetILNS1_3genE0ELNS1_11target_archE4294967295ELNS1_3gpuE0ELNS1_3repE0EEENS1_30default_config_static_selectorELNS0_4arch9wavefront6targetE0EEEvT1_,"axG",@progbits,_ZN7rocprim17ROCPRIM_400000_NS6detail17trampoline_kernelINS0_14default_configENS1_35adjacent_difference_config_selectorILb0ElEEZNS1_24adjacent_difference_implIS3_Lb0ELb0EPlS7_ZN2at6native12_GLOBAL__N_124unique_dim_cuda_templateIfEESt5tupleIJNS8_6TensorESD_SD_EERKSD_lbbbEUlllE1_EE10hipError_tPvRmT2_T3_mT4_P12ihipStream_tbEUlT_E_NS1_11comp_targetILNS1_3genE0ELNS1_11target_archE4294967295ELNS1_3gpuE0ELNS1_3repE0EEENS1_30default_config_static_selectorELNS0_4arch9wavefront6targetE0EEEvT1_,comdat
	.globl	_ZN7rocprim17ROCPRIM_400000_NS6detail17trampoline_kernelINS0_14default_configENS1_35adjacent_difference_config_selectorILb0ElEEZNS1_24adjacent_difference_implIS3_Lb0ELb0EPlS7_ZN2at6native12_GLOBAL__N_124unique_dim_cuda_templateIfEESt5tupleIJNS8_6TensorESD_SD_EERKSD_lbbbEUlllE1_EE10hipError_tPvRmT2_T3_mT4_P12ihipStream_tbEUlT_E_NS1_11comp_targetILNS1_3genE0ELNS1_11target_archE4294967295ELNS1_3gpuE0ELNS1_3repE0EEENS1_30default_config_static_selectorELNS0_4arch9wavefront6targetE0EEEvT1_ ; -- Begin function _ZN7rocprim17ROCPRIM_400000_NS6detail17trampoline_kernelINS0_14default_configENS1_35adjacent_difference_config_selectorILb0ElEEZNS1_24adjacent_difference_implIS3_Lb0ELb0EPlS7_ZN2at6native12_GLOBAL__N_124unique_dim_cuda_templateIfEESt5tupleIJNS8_6TensorESD_SD_EERKSD_lbbbEUlllE1_EE10hipError_tPvRmT2_T3_mT4_P12ihipStream_tbEUlT_E_NS1_11comp_targetILNS1_3genE0ELNS1_11target_archE4294967295ELNS1_3gpuE0ELNS1_3repE0EEENS1_30default_config_static_selectorELNS0_4arch9wavefront6targetE0EEEvT1_
	.p2align	8
	.type	_ZN7rocprim17ROCPRIM_400000_NS6detail17trampoline_kernelINS0_14default_configENS1_35adjacent_difference_config_selectorILb0ElEEZNS1_24adjacent_difference_implIS3_Lb0ELb0EPlS7_ZN2at6native12_GLOBAL__N_124unique_dim_cuda_templateIfEESt5tupleIJNS8_6TensorESD_SD_EERKSD_lbbbEUlllE1_EE10hipError_tPvRmT2_T3_mT4_P12ihipStream_tbEUlT_E_NS1_11comp_targetILNS1_3genE0ELNS1_11target_archE4294967295ELNS1_3gpuE0ELNS1_3repE0EEENS1_30default_config_static_selectorELNS0_4arch9wavefront6targetE0EEEvT1_,@function
_ZN7rocprim17ROCPRIM_400000_NS6detail17trampoline_kernelINS0_14default_configENS1_35adjacent_difference_config_selectorILb0ElEEZNS1_24adjacent_difference_implIS3_Lb0ELb0EPlS7_ZN2at6native12_GLOBAL__N_124unique_dim_cuda_templateIfEESt5tupleIJNS8_6TensorESD_SD_EERKSD_lbbbEUlllE1_EE10hipError_tPvRmT2_T3_mT4_P12ihipStream_tbEUlT_E_NS1_11comp_targetILNS1_3genE0ELNS1_11target_archE4294967295ELNS1_3gpuE0ELNS1_3repE0EEENS1_30default_config_static_selectorELNS0_4arch9wavefront6targetE0EEEvT1_: ; @_ZN7rocprim17ROCPRIM_400000_NS6detail17trampoline_kernelINS0_14default_configENS1_35adjacent_difference_config_selectorILb0ElEEZNS1_24adjacent_difference_implIS3_Lb0ELb0EPlS7_ZN2at6native12_GLOBAL__N_124unique_dim_cuda_templateIfEESt5tupleIJNS8_6TensorESD_SD_EERKSD_lbbbEUlllE1_EE10hipError_tPvRmT2_T3_mT4_P12ihipStream_tbEUlT_E_NS1_11comp_targetILNS1_3genE0ELNS1_11target_archE4294967295ELNS1_3gpuE0ELNS1_3repE0EEENS1_30default_config_static_selectorELNS0_4arch9wavefront6targetE0EEEvT1_
; %bb.0:
	s_load_b256 s[4:11], s[0:1], 0x0
	s_bfe_u32 s2, ttmp6, 0x4000c
	s_and_b32 s3, ttmp6, 15
	s_add_co_i32 s2, s2, 1
	s_getreg_b32 s12, hwreg(HW_REG_IB_STS2, 6, 4)
	s_mul_i32 s2, ttmp9, s2
	s_load_b64 s[16:17], s[0:1], 0x38
	s_add_co_i32 s3, s3, s2
	s_mov_b32 s23, 0
	s_delay_alu instid0(SALU_CYCLE_1)
	s_mov_b32 s19, s23
	s_wait_kmcnt 0x0
	s_lshl_b64 s[6:7], s[6:7], 3
	s_cmp_eq_u32 s12, 0
	s_add_nc_u64 s[4:5], s[4:5], s[6:7]
	s_cselect_b32 s18, ttmp9, s3
	s_and_b64 s[12:13], s[10:11], 0x7f
	s_lshr_b64 s[20:21], s[10:11], 7
	s_lshl_b32 s2, s18, 7
	s_cmp_lg_u64 s[12:13], 0
	s_load_b128 s[12:15], s[0:1], 0x20
	s_cselect_b32 s3, -1, 0
	s_add_nc_u64 s[18:19], s[16:17], s[18:19]
	v_cndmask_b32_e64 v1, 0, 1, s3
	s_delay_alu instid0(VALU_DEP_1) | instskip(SKIP_2) | instid1(SALU_CYCLE_1)
	v_readfirstlane_b32 s22, v1
	s_wait_xcnt 0x0
	s_add_nc_u64 s[0:1], s[20:21], s[22:23]
	s_add_nc_u64 s[16:17], s[0:1], -1
	s_delay_alu instid0(SALU_CYCLE_1)
	v_cmp_ge_u64_e64 s11, s[18:19], s[16:17]
	s_and_b32 vcc_lo, exec_lo, s11
	s_cbranch_vccz .LBB904_4
; %bb.1:
	s_lshl_b32 s3, s16, 7
	s_mov_b32 s20, exec_lo
	s_sub_co_i32 s3, s10, s3
                                        ; implicit-def: $vgpr2_vgpr3
	s_delay_alu instid0(SALU_CYCLE_1)
	v_cmpx_gt_u32_e64 s3, v0
	s_cbranch_execz .LBB904_3
; %bb.2:
	s_mov_b32 s3, 0
	s_delay_alu instid0(SALU_CYCLE_1) | instskip(NEXT) | instid1(SALU_CYCLE_1)
	s_lshl_b64 s[22:23], s[2:3], 3
	s_add_nc_u64 s[22:23], s[4:5], s[22:23]
	global_load_b64 v[2:3], v0, s[22:23] scale_offset
.LBB904_3:
	s_wait_xcnt 0x0
	s_or_b32 exec_lo, exec_lo, s20
	v_lshlrev_b32_e32 v1, 3, v0
	s_wait_loadcnt 0x0
	ds_store_b64 v1, v[2:3]
	s_wait_dscnt 0x0
	s_barrier_signal -1
	s_barrier_wait -1
	s_branch .LBB904_6
.LBB904_4:
                                        ; implicit-def: $vgpr1
	s_cbranch_execz .LBB904_6
; %bb.5:
	s_mov_b32 s3, 0
	v_lshlrev_b32_e32 v1, 3, v0
	s_lshl_b64 s[20:21], s[2:3], 3
	s_delay_alu instid0(SALU_CYCLE_1)
	s_add_nc_u64 s[20:21], s[4:5], s[20:21]
	global_load_b64 v[2:3], v0, s[20:21] scale_offset
	s_wait_loadcnt 0x0
	ds_store_b64 v1, v[2:3]
	s_wait_dscnt 0x0
	s_barrier_signal -1
	s_barrier_wait -1
.LBB904_6:
	ds_load_b64 v[2:3], v1
	s_cmp_eq_u64 s[18:19], 0
	s_wait_dscnt 0x0
	s_barrier_signal -1
	s_barrier_wait -1
	s_cbranch_scc1 .LBB904_15
; %bb.7:
	s_mov_b32 s3, 0
	s_delay_alu instid0(SALU_CYCLE_1) | instskip(SKIP_2) | instid1(SALU_CYCLE_1)
	s_lshl_b64 s[20:21], s[2:3], 3
	s_cmp_eq_u64 s[18:19], s[16:17]
	s_add_nc_u64 s[4:5], s[4:5], s[20:21]
	s_add_nc_u64 s[4:5], s[4:5], -8
	s_load_b64 s[4:5], s[4:5], 0x0
	s_cbranch_scc1 .LBB904_16
; %bb.8:
	s_wait_kmcnt 0x0
	v_mov_b64_e32 v[4:5], s[4:5]
	v_lshlrev_b32_e32 v1, 3, v0
	s_mov_b32 s3, exec_lo
	ds_store_b64 v1, v[2:3]
	s_wait_dscnt 0x0
	s_barrier_signal -1
	s_barrier_wait -1
	v_cmpx_ne_u32_e32 0, v0
; %bb.9:
	v_add_nc_u32_e32 v1, -8, v1
	ds_load_b64 v[4:5], v1
; %bb.10:
	s_or_b32 exec_lo, exec_lo, s3
	v_cmp_lt_i64_e64 s3, s[12:13], 1
	s_and_b32 vcc_lo, exec_lo, s3
	s_cbranch_vccnz .LBB904_18
; %bb.11:
	v_mul_u64_e32 v[6:7], s[12:13], v[2:3]
	s_wait_dscnt 0x0
	v_mul_u64_e32 v[4:5], s[12:13], v[4:5]
	s_mov_b32 s3, 0
	s_mov_b64 s[20:21], s[12:13]
                                        ; implicit-def: $sgpr17
	s_delay_alu instid0(VALU_DEP_2) | instskip(NEXT) | instid1(VALU_DEP_2)
	v_lshl_add_u64 v[6:7], v[6:7], 2, s[14:15]
	v_lshl_add_u64 v[8:9], v[4:5], 2, s[14:15]
	s_branch .LBB904_13
.LBB904_12:                             ;   in Loop: Header=BB904_13 Depth=1
	s_or_b32 exec_lo, exec_lo, s19
	s_delay_alu instid0(SALU_CYCLE_1) | instskip(NEXT) | instid1(SALU_CYCLE_1)
	s_and_b32 s19, exec_lo, s17
	s_or_b32 s3, s19, s3
	s_delay_alu instid0(SALU_CYCLE_1)
	s_and_not1_b32 exec_lo, exec_lo, s3
	s_cbranch_execz .LBB904_17
.LBB904_13:                             ; =>This Inner Loop Header: Depth=1
	global_load_b32 v1, v[6:7], off
	global_load_b32 v10, v[8:9], off
	v_mov_b64_e32 v[4:5], 1
	s_or_b32 s17, s17, exec_lo
	s_mov_b32 s19, exec_lo
	s_wait_loadcnt 0x0
	v_cmpx_eq_f32_e32 v1, v10
	s_cbranch_execz .LBB904_12
; %bb.14:                               ;   in Loop: Header=BB904_13 Depth=1
	s_add_nc_u64 s[20:21], s[20:21], -1
	v_add_nc_u64_e32 v[6:7], 4, v[6:7]
	s_cmp_eq_u64 s[20:21], 0
	v_add_nc_u64_e32 v[8:9], 4, v[8:9]
	v_mov_b64_e32 v[4:5], 0
	s_cselect_b32 s22, -1, 0
	s_and_not1_b32 s17, s17, exec_lo
	s_and_b32 s22, s22, exec_lo
	s_delay_alu instid0(SALU_CYCLE_1)
	s_or_b32 s17, s17, s22
	s_branch .LBB904_12
.LBB904_15:
                                        ; implicit-def: $vgpr4_vgpr5
	s_branch .LBB904_31
.LBB904_16:
                                        ; implicit-def: $vgpr4_vgpr5
	s_cbranch_execnz .LBB904_19
	s_branch .LBB904_30
.LBB904_17:
	s_or_b32 exec_lo, exec_lo, s3
	s_branch .LBB904_30
.LBB904_18:
	s_wait_dscnt 0x0
	v_mov_b64_e32 v[4:5], 0
	s_branch .LBB904_30
.LBB904_19:
	s_wait_kmcnt 0x0
	v_mov_b64_e32 v[6:7], s[4:5]
	v_lshlrev_b32_e32 v1, 3, v0
	s_mov_b32 s3, exec_lo
	ds_store_b64 v1, v[2:3]
	s_wait_dscnt 0x0
	s_barrier_signal -1
	s_barrier_wait -1
	v_cmpx_ne_u32_e32 0, v0
; %bb.20:
	v_add_nc_u32_e32 v1, -8, v1
	ds_load_b64 v[6:7], v1
; %bb.21:
	s_or_b32 exec_lo, exec_lo, s3
	s_lshl_b32 s3, s18, 7
	v_mov_b64_e32 v[4:5], v[2:3]
	s_sub_co_i32 s3, s10, s3
	s_delay_alu instid0(SALU_CYCLE_1)
	v_cmp_gt_u32_e32 vcc_lo, s3, v0
	s_and_saveexec_b32 s3, vcc_lo
	s_cbranch_execz .LBB904_29
; %bb.22:
	v_cmp_lt_i64_e64 s4, s[12:13], 1
	s_and_b32 vcc_lo, exec_lo, s4
	s_cbranch_vccnz .LBB904_28
; %bb.23:
	v_mul_u64_e32 v[4:5], s[12:13], v[2:3]
	s_wait_dscnt 0x0
	v_mul_u64_e32 v[8:9], s[12:13], v[6:7]
	s_mov_b32 s17, 0
	s_mov_b64 s[4:5], s[12:13]
                                        ; implicit-def: $sgpr18
	s_delay_alu instid0(VALU_DEP_2) | instskip(NEXT) | instid1(VALU_DEP_2)
	v_lshl_add_u64 v[6:7], v[4:5], 2, s[14:15]
	v_lshl_add_u64 v[8:9], v[8:9], 2, s[14:15]
	s_branch .LBB904_25
.LBB904_24:                             ;   in Loop: Header=BB904_25 Depth=1
	s_or_b32 exec_lo, exec_lo, s19
	s_delay_alu instid0(SALU_CYCLE_1) | instskip(NEXT) | instid1(SALU_CYCLE_1)
	s_and_b32 s19, exec_lo, s18
	s_or_b32 s17, s19, s17
	s_delay_alu instid0(SALU_CYCLE_1)
	s_and_not1_b32 exec_lo, exec_lo, s17
	s_cbranch_execz .LBB904_27
.LBB904_25:                             ; =>This Inner Loop Header: Depth=1
	global_load_b32 v1, v[6:7], off
	global_load_b32 v10, v[8:9], off
	v_mov_b64_e32 v[4:5], 1
	s_or_b32 s18, s18, exec_lo
	s_mov_b32 s19, exec_lo
	s_wait_loadcnt 0x0
	v_cmpx_eq_f32_e32 v1, v10
	s_cbranch_execz .LBB904_24
; %bb.26:                               ;   in Loop: Header=BB904_25 Depth=1
	s_add_nc_u64 s[4:5], s[4:5], -1
	v_add_nc_u64_e32 v[6:7], 4, v[6:7]
	s_cmp_eq_u64 s[4:5], 0
	v_add_nc_u64_e32 v[8:9], 4, v[8:9]
	v_mov_b64_e32 v[4:5], 0
	s_cselect_b32 s20, -1, 0
	s_and_not1_b32 s18, s18, exec_lo
	s_and_b32 s20, s20, exec_lo
	s_delay_alu instid0(SALU_CYCLE_1)
	s_or_b32 s18, s18, s20
	s_branch .LBB904_24
.LBB904_27:
	s_or_b32 exec_lo, exec_lo, s17
	s_branch .LBB904_29
.LBB904_28:
	v_mov_b64_e32 v[4:5], 0
.LBB904_29:
	s_or_b32 exec_lo, exec_lo, s3
.LBB904_30:
	s_cbranch_execnz .LBB904_51
.LBB904_31:
	s_cmp_eq_u64 s[0:1], 1
	v_cmp_ne_u32_e32 vcc_lo, 0, v0
	s_cbranch_scc1 .LBB904_38
; %bb.32:
	v_mov_b64_e32 v[4:5], v[2:3]
	v_lshlrev_b32_e32 v1, 3, v0
	s_mov_b32 s3, 0
	ds_store_b64 v1, v[2:3]
	s_wait_dscnt 0x0
	s_barrier_signal -1
	s_barrier_wait -1
	s_wait_kmcnt 0x0
	s_and_saveexec_b32 s4, vcc_lo
	s_cbranch_execz .LBB904_40
; %bb.33:
	v_cmp_lt_i64_e64 s0, s[12:13], 1
	s_and_b32 vcc_lo, exec_lo, s0
	s_cbranch_vccnz .LBB904_48
; %bb.34:
	v_add_nc_u32_e32 v1, -8, v1
	v_mul_u64_e32 v[6:7], s[12:13], v[2:3]
	s_mov_b32 s5, 0
	s_mov_b64 s[0:1], s[12:13]
                                        ; implicit-def: $sgpr17
	ds_load_b64 v[4:5], v1
	s_wait_dscnt 0x0
	v_mul_u64_e32 v[4:5], s[12:13], v[4:5]
	v_lshl_add_u64 v[6:7], v[6:7], 2, s[14:15]
	s_delay_alu instid0(VALU_DEP_2)
	v_lshl_add_u64 v[8:9], v[4:5], 2, s[14:15]
	s_branch .LBB904_36
.LBB904_35:                             ;   in Loop: Header=BB904_36 Depth=1
	s_or_b32 exec_lo, exec_lo, s18
	s_delay_alu instid0(SALU_CYCLE_1) | instskip(NEXT) | instid1(SALU_CYCLE_1)
	s_and_b32 s18, exec_lo, s17
	s_or_b32 s5, s18, s5
	s_delay_alu instid0(SALU_CYCLE_1)
	s_and_not1_b32 exec_lo, exec_lo, s5
	s_cbranch_execz .LBB904_39
.LBB904_36:                             ; =>This Inner Loop Header: Depth=1
	global_load_b32 v1, v[6:7], off
	global_load_b32 v10, v[8:9], off
	v_mov_b64_e32 v[4:5], 1
	s_or_b32 s17, s17, exec_lo
	s_mov_b32 s18, exec_lo
	s_wait_loadcnt 0x0
	v_cmpx_eq_f32_e32 v1, v10
	s_cbranch_execz .LBB904_35
; %bb.37:                               ;   in Loop: Header=BB904_36 Depth=1
	s_add_nc_u64 s[0:1], s[0:1], -1
	v_add_nc_u64_e32 v[6:7], 4, v[6:7]
	s_cmp_eq_u64 s[0:1], 0
	v_add_nc_u64_e32 v[8:9], 4, v[8:9]
	v_mov_b64_e32 v[4:5], 0
	s_cselect_b32 s19, -1, 0
	s_and_not1_b32 s17, s17, exec_lo
	s_and_b32 s19, s19, exec_lo
	s_delay_alu instid0(SALU_CYCLE_1)
	s_or_b32 s17, s17, s19
	s_branch .LBB904_35
.LBB904_38:
                                        ; implicit-def: $vgpr4_vgpr5
	s_branch .LBB904_41
.LBB904_39:
	s_or_b32 exec_lo, exec_lo, s5
.LBB904_40:
	s_delay_alu instid0(SALU_CYCLE_1) | instskip(NEXT) | instid1(SALU_CYCLE_1)
	s_or_b32 exec_lo, exec_lo, s4
	s_and_not1_b32 vcc_lo, exec_lo, s3
	s_cbranch_vccnz .LBB904_51
.LBB904_41:
	v_cmp_ne_u32_e32 vcc_lo, 0, v0
	v_cmp_gt_u32_e64 s0, s10, v0
	v_lshlrev_b32_e32 v1, 3, v0
	s_and_b32 s1, vcc_lo, s0
	ds_store_b64 v1, v[2:3]
	s_wait_dscnt 0x0
	s_barrier_signal -1
	s_barrier_wait -1
	s_and_saveexec_b32 s0, s1
	s_cbranch_execz .LBB904_50
; %bb.42:
	s_wait_kmcnt 0x0
	v_cmp_lt_i64_e64 s1, s[12:13], 1
	s_and_b32 vcc_lo, exec_lo, s1
	s_cbranch_vccnz .LBB904_49
; %bb.43:
	v_add_nc_u32_e32 v1, -8, v1
	v_mul_u64_e32 v[2:3], s[12:13], v[2:3]
	s_mov_b32 s1, 0
                                        ; implicit-def: $sgpr3
	ds_load_b64 v[4:5], v1
	s_wait_dscnt 0x0
	v_mul_u64_e32 v[6:7], s[12:13], v[4:5]
	v_lshl_add_u64 v[4:5], v[2:3], 2, s[14:15]
	s_delay_alu instid0(VALU_DEP_2)
	v_lshl_add_u64 v[6:7], v[6:7], 2, s[14:15]
	s_branch .LBB904_45
.LBB904_44:                             ;   in Loop: Header=BB904_45 Depth=1
	s_or_b32 exec_lo, exec_lo, s4
	s_delay_alu instid0(SALU_CYCLE_1) | instskip(NEXT) | instid1(SALU_CYCLE_1)
	s_and_b32 s4, exec_lo, s3
	s_or_b32 s1, s4, s1
	s_delay_alu instid0(SALU_CYCLE_1)
	s_and_not1_b32 exec_lo, exec_lo, s1
	s_cbranch_execz .LBB904_47
.LBB904_45:                             ; =>This Inner Loop Header: Depth=1
	global_load_b32 v1, v[4:5], off
	global_load_b32 v8, v[6:7], off
	v_mov_b64_e32 v[2:3], 1
	s_or_b32 s3, s3, exec_lo
	s_mov_b32 s4, exec_lo
	s_wait_loadcnt 0x0
	v_cmpx_eq_f32_e32 v1, v8
	s_cbranch_execz .LBB904_44
; %bb.46:                               ;   in Loop: Header=BB904_45 Depth=1
	s_add_nc_u64 s[12:13], s[12:13], -1
	v_add_nc_u64_e32 v[4:5], 4, v[4:5]
	s_cmp_eq_u64 s[12:13], 0
	v_add_nc_u64_e32 v[6:7], 4, v[6:7]
	v_mov_b64_e32 v[2:3], 0
	s_cselect_b32 s5, -1, 0
	s_and_not1_b32 s3, s3, exec_lo
	s_and_b32 s5, s5, exec_lo
	s_delay_alu instid0(SALU_CYCLE_1)
	s_or_b32 s3, s3, s5
	s_branch .LBB904_44
.LBB904_47:
	s_or_b32 exec_lo, exec_lo, s1
	s_branch .LBB904_50
.LBB904_48:
	v_mov_b64_e32 v[4:5], 0
	s_or_b32 exec_lo, exec_lo, s4
	s_delay_alu instid0(SALU_CYCLE_1)
	s_and_not1_b32 vcc_lo, exec_lo, s3
	s_cbranch_vccz .LBB904_41
	s_branch .LBB904_51
.LBB904_49:
	v_mov_b64_e32 v[2:3], 0
.LBB904_50:
	s_or_b32 exec_lo, exec_lo, s0
	s_delay_alu instid0(VALU_DEP_1)
	v_mov_b64_e32 v[4:5], v[2:3]
.LBB904_51:
	s_add_nc_u64 s[0:1], s[8:9], s[6:7]
	s_and_b32 vcc_lo, exec_lo, s11
	s_mov_b32 s3, -1
	s_wait_dscnt 0x0
	s_barrier_signal -1
	s_barrier_wait -1
	s_cbranch_vccnz .LBB904_54
; %bb.52:
	s_and_not1_b32 vcc_lo, exec_lo, s3
	s_cbranch_vccz .LBB904_57
.LBB904_53:
	s_endpgm
.LBB904_54:
	v_lshlrev_b32_e32 v1, 3, v0
	s_lshl_b32 s3, s16, 7
	s_wait_kmcnt 0x0
	s_mov_b32 s4, exec_lo
	s_sub_co_i32 s3, s10, s3
	ds_store_b64 v1, v[4:5]
	s_wait_dscnt 0x0
	s_barrier_signal -1
	s_barrier_wait -1
	v_cmpx_gt_u32_e64 s3, v0
	s_cbranch_execz .LBB904_56
; %bb.55:
	ds_load_b64 v[2:3], v1
	s_mov_b32 s3, 0
	s_delay_alu instid0(SALU_CYCLE_1) | instskip(NEXT) | instid1(SALU_CYCLE_1)
	s_lshl_b64 s[6:7], s[2:3], 3
	s_add_nc_u64 s[6:7], s[0:1], s[6:7]
	s_wait_dscnt 0x0
	global_store_b64 v0, v[2:3], s[6:7] scale_offset
.LBB904_56:
	s_wait_xcnt 0x0
	s_or_b32 exec_lo, exec_lo, s4
	s_cbranch_execnz .LBB904_53
.LBB904_57:
	v_lshlrev_b32_e32 v1, 3, v0
	s_mov_b32 s3, 0
	s_delay_alu instid0(SALU_CYCLE_1) | instskip(NEXT) | instid1(SALU_CYCLE_1)
	s_lshl_b64 s[2:3], s[2:3], 3
	s_add_nc_u64 s[0:1], s[0:1], s[2:3]
	ds_store_b64 v1, v[4:5]
	s_wait_storecnt_dscnt 0x0
	s_barrier_signal -1
	s_barrier_wait -1
	ds_load_b64 v[2:3], v1
	s_wait_dscnt 0x0
	global_store_b64 v0, v[2:3], s[0:1] scale_offset
	s_endpgm
	.section	.rodata,"a",@progbits
	.p2align	6, 0x0
	.amdhsa_kernel _ZN7rocprim17ROCPRIM_400000_NS6detail17trampoline_kernelINS0_14default_configENS1_35adjacent_difference_config_selectorILb0ElEEZNS1_24adjacent_difference_implIS3_Lb0ELb0EPlS7_ZN2at6native12_GLOBAL__N_124unique_dim_cuda_templateIfEESt5tupleIJNS8_6TensorESD_SD_EERKSD_lbbbEUlllE1_EE10hipError_tPvRmT2_T3_mT4_P12ihipStream_tbEUlT_E_NS1_11comp_targetILNS1_3genE0ELNS1_11target_archE4294967295ELNS1_3gpuE0ELNS1_3repE0EEENS1_30default_config_static_selectorELNS0_4arch9wavefront6targetE0EEEvT1_
		.amdhsa_group_segment_fixed_size 2048
		.amdhsa_private_segment_fixed_size 0
		.amdhsa_kernarg_size 64
		.amdhsa_user_sgpr_count 2
		.amdhsa_user_sgpr_dispatch_ptr 0
		.amdhsa_user_sgpr_queue_ptr 0
		.amdhsa_user_sgpr_kernarg_segment_ptr 1
		.amdhsa_user_sgpr_dispatch_id 0
		.amdhsa_user_sgpr_kernarg_preload_length 0
		.amdhsa_user_sgpr_kernarg_preload_offset 0
		.amdhsa_user_sgpr_private_segment_size 0
		.amdhsa_wavefront_size32 1
		.amdhsa_uses_dynamic_stack 0
		.amdhsa_enable_private_segment 0
		.amdhsa_system_sgpr_workgroup_id_x 1
		.amdhsa_system_sgpr_workgroup_id_y 0
		.amdhsa_system_sgpr_workgroup_id_z 0
		.amdhsa_system_sgpr_workgroup_info 0
		.amdhsa_system_vgpr_workitem_id 0
		.amdhsa_next_free_vgpr 11
		.amdhsa_next_free_sgpr 24
		.amdhsa_named_barrier_count 0
		.amdhsa_reserve_vcc 1
		.amdhsa_float_round_mode_32 0
		.amdhsa_float_round_mode_16_64 0
		.amdhsa_float_denorm_mode_32 3
		.amdhsa_float_denorm_mode_16_64 3
		.amdhsa_fp16_overflow 0
		.amdhsa_memory_ordered 1
		.amdhsa_forward_progress 1
		.amdhsa_inst_pref_size 14
		.amdhsa_round_robin_scheduling 0
		.amdhsa_exception_fp_ieee_invalid_op 0
		.amdhsa_exception_fp_denorm_src 0
		.amdhsa_exception_fp_ieee_div_zero 0
		.amdhsa_exception_fp_ieee_overflow 0
		.amdhsa_exception_fp_ieee_underflow 0
		.amdhsa_exception_fp_ieee_inexact 0
		.amdhsa_exception_int_div_zero 0
	.end_amdhsa_kernel
	.section	.text._ZN7rocprim17ROCPRIM_400000_NS6detail17trampoline_kernelINS0_14default_configENS1_35adjacent_difference_config_selectorILb0ElEEZNS1_24adjacent_difference_implIS3_Lb0ELb0EPlS7_ZN2at6native12_GLOBAL__N_124unique_dim_cuda_templateIfEESt5tupleIJNS8_6TensorESD_SD_EERKSD_lbbbEUlllE1_EE10hipError_tPvRmT2_T3_mT4_P12ihipStream_tbEUlT_E_NS1_11comp_targetILNS1_3genE0ELNS1_11target_archE4294967295ELNS1_3gpuE0ELNS1_3repE0EEENS1_30default_config_static_selectorELNS0_4arch9wavefront6targetE0EEEvT1_,"axG",@progbits,_ZN7rocprim17ROCPRIM_400000_NS6detail17trampoline_kernelINS0_14default_configENS1_35adjacent_difference_config_selectorILb0ElEEZNS1_24adjacent_difference_implIS3_Lb0ELb0EPlS7_ZN2at6native12_GLOBAL__N_124unique_dim_cuda_templateIfEESt5tupleIJNS8_6TensorESD_SD_EERKSD_lbbbEUlllE1_EE10hipError_tPvRmT2_T3_mT4_P12ihipStream_tbEUlT_E_NS1_11comp_targetILNS1_3genE0ELNS1_11target_archE4294967295ELNS1_3gpuE0ELNS1_3repE0EEENS1_30default_config_static_selectorELNS0_4arch9wavefront6targetE0EEEvT1_,comdat
.Lfunc_end904:
	.size	_ZN7rocprim17ROCPRIM_400000_NS6detail17trampoline_kernelINS0_14default_configENS1_35adjacent_difference_config_selectorILb0ElEEZNS1_24adjacent_difference_implIS3_Lb0ELb0EPlS7_ZN2at6native12_GLOBAL__N_124unique_dim_cuda_templateIfEESt5tupleIJNS8_6TensorESD_SD_EERKSD_lbbbEUlllE1_EE10hipError_tPvRmT2_T3_mT4_P12ihipStream_tbEUlT_E_NS1_11comp_targetILNS1_3genE0ELNS1_11target_archE4294967295ELNS1_3gpuE0ELNS1_3repE0EEENS1_30default_config_static_selectorELNS0_4arch9wavefront6targetE0EEEvT1_, .Lfunc_end904-_ZN7rocprim17ROCPRIM_400000_NS6detail17trampoline_kernelINS0_14default_configENS1_35adjacent_difference_config_selectorILb0ElEEZNS1_24adjacent_difference_implIS3_Lb0ELb0EPlS7_ZN2at6native12_GLOBAL__N_124unique_dim_cuda_templateIfEESt5tupleIJNS8_6TensorESD_SD_EERKSD_lbbbEUlllE1_EE10hipError_tPvRmT2_T3_mT4_P12ihipStream_tbEUlT_E_NS1_11comp_targetILNS1_3genE0ELNS1_11target_archE4294967295ELNS1_3gpuE0ELNS1_3repE0EEENS1_30default_config_static_selectorELNS0_4arch9wavefront6targetE0EEEvT1_
                                        ; -- End function
	.set _ZN7rocprim17ROCPRIM_400000_NS6detail17trampoline_kernelINS0_14default_configENS1_35adjacent_difference_config_selectorILb0ElEEZNS1_24adjacent_difference_implIS3_Lb0ELb0EPlS7_ZN2at6native12_GLOBAL__N_124unique_dim_cuda_templateIfEESt5tupleIJNS8_6TensorESD_SD_EERKSD_lbbbEUlllE1_EE10hipError_tPvRmT2_T3_mT4_P12ihipStream_tbEUlT_E_NS1_11comp_targetILNS1_3genE0ELNS1_11target_archE4294967295ELNS1_3gpuE0ELNS1_3repE0EEENS1_30default_config_static_selectorELNS0_4arch9wavefront6targetE0EEEvT1_.num_vgpr, 11
	.set _ZN7rocprim17ROCPRIM_400000_NS6detail17trampoline_kernelINS0_14default_configENS1_35adjacent_difference_config_selectorILb0ElEEZNS1_24adjacent_difference_implIS3_Lb0ELb0EPlS7_ZN2at6native12_GLOBAL__N_124unique_dim_cuda_templateIfEESt5tupleIJNS8_6TensorESD_SD_EERKSD_lbbbEUlllE1_EE10hipError_tPvRmT2_T3_mT4_P12ihipStream_tbEUlT_E_NS1_11comp_targetILNS1_3genE0ELNS1_11target_archE4294967295ELNS1_3gpuE0ELNS1_3repE0EEENS1_30default_config_static_selectorELNS0_4arch9wavefront6targetE0EEEvT1_.num_agpr, 0
	.set _ZN7rocprim17ROCPRIM_400000_NS6detail17trampoline_kernelINS0_14default_configENS1_35adjacent_difference_config_selectorILb0ElEEZNS1_24adjacent_difference_implIS3_Lb0ELb0EPlS7_ZN2at6native12_GLOBAL__N_124unique_dim_cuda_templateIfEESt5tupleIJNS8_6TensorESD_SD_EERKSD_lbbbEUlllE1_EE10hipError_tPvRmT2_T3_mT4_P12ihipStream_tbEUlT_E_NS1_11comp_targetILNS1_3genE0ELNS1_11target_archE4294967295ELNS1_3gpuE0ELNS1_3repE0EEENS1_30default_config_static_selectorELNS0_4arch9wavefront6targetE0EEEvT1_.numbered_sgpr, 24
	.set _ZN7rocprim17ROCPRIM_400000_NS6detail17trampoline_kernelINS0_14default_configENS1_35adjacent_difference_config_selectorILb0ElEEZNS1_24adjacent_difference_implIS3_Lb0ELb0EPlS7_ZN2at6native12_GLOBAL__N_124unique_dim_cuda_templateIfEESt5tupleIJNS8_6TensorESD_SD_EERKSD_lbbbEUlllE1_EE10hipError_tPvRmT2_T3_mT4_P12ihipStream_tbEUlT_E_NS1_11comp_targetILNS1_3genE0ELNS1_11target_archE4294967295ELNS1_3gpuE0ELNS1_3repE0EEENS1_30default_config_static_selectorELNS0_4arch9wavefront6targetE0EEEvT1_.num_named_barrier, 0
	.set _ZN7rocprim17ROCPRIM_400000_NS6detail17trampoline_kernelINS0_14default_configENS1_35adjacent_difference_config_selectorILb0ElEEZNS1_24adjacent_difference_implIS3_Lb0ELb0EPlS7_ZN2at6native12_GLOBAL__N_124unique_dim_cuda_templateIfEESt5tupleIJNS8_6TensorESD_SD_EERKSD_lbbbEUlllE1_EE10hipError_tPvRmT2_T3_mT4_P12ihipStream_tbEUlT_E_NS1_11comp_targetILNS1_3genE0ELNS1_11target_archE4294967295ELNS1_3gpuE0ELNS1_3repE0EEENS1_30default_config_static_selectorELNS0_4arch9wavefront6targetE0EEEvT1_.private_seg_size, 0
	.set _ZN7rocprim17ROCPRIM_400000_NS6detail17trampoline_kernelINS0_14default_configENS1_35adjacent_difference_config_selectorILb0ElEEZNS1_24adjacent_difference_implIS3_Lb0ELb0EPlS7_ZN2at6native12_GLOBAL__N_124unique_dim_cuda_templateIfEESt5tupleIJNS8_6TensorESD_SD_EERKSD_lbbbEUlllE1_EE10hipError_tPvRmT2_T3_mT4_P12ihipStream_tbEUlT_E_NS1_11comp_targetILNS1_3genE0ELNS1_11target_archE4294967295ELNS1_3gpuE0ELNS1_3repE0EEENS1_30default_config_static_selectorELNS0_4arch9wavefront6targetE0EEEvT1_.uses_vcc, 1
	.set _ZN7rocprim17ROCPRIM_400000_NS6detail17trampoline_kernelINS0_14default_configENS1_35adjacent_difference_config_selectorILb0ElEEZNS1_24adjacent_difference_implIS3_Lb0ELb0EPlS7_ZN2at6native12_GLOBAL__N_124unique_dim_cuda_templateIfEESt5tupleIJNS8_6TensorESD_SD_EERKSD_lbbbEUlllE1_EE10hipError_tPvRmT2_T3_mT4_P12ihipStream_tbEUlT_E_NS1_11comp_targetILNS1_3genE0ELNS1_11target_archE4294967295ELNS1_3gpuE0ELNS1_3repE0EEENS1_30default_config_static_selectorELNS0_4arch9wavefront6targetE0EEEvT1_.uses_flat_scratch, 0
	.set _ZN7rocprim17ROCPRIM_400000_NS6detail17trampoline_kernelINS0_14default_configENS1_35adjacent_difference_config_selectorILb0ElEEZNS1_24adjacent_difference_implIS3_Lb0ELb0EPlS7_ZN2at6native12_GLOBAL__N_124unique_dim_cuda_templateIfEESt5tupleIJNS8_6TensorESD_SD_EERKSD_lbbbEUlllE1_EE10hipError_tPvRmT2_T3_mT4_P12ihipStream_tbEUlT_E_NS1_11comp_targetILNS1_3genE0ELNS1_11target_archE4294967295ELNS1_3gpuE0ELNS1_3repE0EEENS1_30default_config_static_selectorELNS0_4arch9wavefront6targetE0EEEvT1_.has_dyn_sized_stack, 0
	.set _ZN7rocprim17ROCPRIM_400000_NS6detail17trampoline_kernelINS0_14default_configENS1_35adjacent_difference_config_selectorILb0ElEEZNS1_24adjacent_difference_implIS3_Lb0ELb0EPlS7_ZN2at6native12_GLOBAL__N_124unique_dim_cuda_templateIfEESt5tupleIJNS8_6TensorESD_SD_EERKSD_lbbbEUlllE1_EE10hipError_tPvRmT2_T3_mT4_P12ihipStream_tbEUlT_E_NS1_11comp_targetILNS1_3genE0ELNS1_11target_archE4294967295ELNS1_3gpuE0ELNS1_3repE0EEENS1_30default_config_static_selectorELNS0_4arch9wavefront6targetE0EEEvT1_.has_recursion, 0
	.set _ZN7rocprim17ROCPRIM_400000_NS6detail17trampoline_kernelINS0_14default_configENS1_35adjacent_difference_config_selectorILb0ElEEZNS1_24adjacent_difference_implIS3_Lb0ELb0EPlS7_ZN2at6native12_GLOBAL__N_124unique_dim_cuda_templateIfEESt5tupleIJNS8_6TensorESD_SD_EERKSD_lbbbEUlllE1_EE10hipError_tPvRmT2_T3_mT4_P12ihipStream_tbEUlT_E_NS1_11comp_targetILNS1_3genE0ELNS1_11target_archE4294967295ELNS1_3gpuE0ELNS1_3repE0EEENS1_30default_config_static_selectorELNS0_4arch9wavefront6targetE0EEEvT1_.has_indirect_call, 0
	.section	.AMDGPU.csdata,"",@progbits
; Kernel info:
; codeLenInByte = 1704
; TotalNumSgprs: 26
; NumVgprs: 11
; ScratchSize: 0
; MemoryBound: 0
; FloatMode: 240
; IeeeMode: 1
; LDSByteSize: 2048 bytes/workgroup (compile time only)
; SGPRBlocks: 0
; VGPRBlocks: 0
; NumSGPRsForWavesPerEU: 26
; NumVGPRsForWavesPerEU: 11
; NamedBarCnt: 0
; Occupancy: 16
; WaveLimiterHint : 0
; COMPUTE_PGM_RSRC2:SCRATCH_EN: 0
; COMPUTE_PGM_RSRC2:USER_SGPR: 2
; COMPUTE_PGM_RSRC2:TRAP_HANDLER: 0
; COMPUTE_PGM_RSRC2:TGID_X_EN: 1
; COMPUTE_PGM_RSRC2:TGID_Y_EN: 0
; COMPUTE_PGM_RSRC2:TGID_Z_EN: 0
; COMPUTE_PGM_RSRC2:TIDIG_COMP_CNT: 0
	.section	.text._ZN7rocprim17ROCPRIM_400000_NS6detail17trampoline_kernelINS0_14default_configENS1_35adjacent_difference_config_selectorILb0ElEEZNS1_24adjacent_difference_implIS3_Lb0ELb0EPlS7_ZN2at6native12_GLOBAL__N_124unique_dim_cuda_templateIfEESt5tupleIJNS8_6TensorESD_SD_EERKSD_lbbbEUlllE1_EE10hipError_tPvRmT2_T3_mT4_P12ihipStream_tbEUlT_E_NS1_11comp_targetILNS1_3genE10ELNS1_11target_archE1201ELNS1_3gpuE5ELNS1_3repE0EEENS1_30default_config_static_selectorELNS0_4arch9wavefront6targetE0EEEvT1_,"axG",@progbits,_ZN7rocprim17ROCPRIM_400000_NS6detail17trampoline_kernelINS0_14default_configENS1_35adjacent_difference_config_selectorILb0ElEEZNS1_24adjacent_difference_implIS3_Lb0ELb0EPlS7_ZN2at6native12_GLOBAL__N_124unique_dim_cuda_templateIfEESt5tupleIJNS8_6TensorESD_SD_EERKSD_lbbbEUlllE1_EE10hipError_tPvRmT2_T3_mT4_P12ihipStream_tbEUlT_E_NS1_11comp_targetILNS1_3genE10ELNS1_11target_archE1201ELNS1_3gpuE5ELNS1_3repE0EEENS1_30default_config_static_selectorELNS0_4arch9wavefront6targetE0EEEvT1_,comdat
	.globl	_ZN7rocprim17ROCPRIM_400000_NS6detail17trampoline_kernelINS0_14default_configENS1_35adjacent_difference_config_selectorILb0ElEEZNS1_24adjacent_difference_implIS3_Lb0ELb0EPlS7_ZN2at6native12_GLOBAL__N_124unique_dim_cuda_templateIfEESt5tupleIJNS8_6TensorESD_SD_EERKSD_lbbbEUlllE1_EE10hipError_tPvRmT2_T3_mT4_P12ihipStream_tbEUlT_E_NS1_11comp_targetILNS1_3genE10ELNS1_11target_archE1201ELNS1_3gpuE5ELNS1_3repE0EEENS1_30default_config_static_selectorELNS0_4arch9wavefront6targetE0EEEvT1_ ; -- Begin function _ZN7rocprim17ROCPRIM_400000_NS6detail17trampoline_kernelINS0_14default_configENS1_35adjacent_difference_config_selectorILb0ElEEZNS1_24adjacent_difference_implIS3_Lb0ELb0EPlS7_ZN2at6native12_GLOBAL__N_124unique_dim_cuda_templateIfEESt5tupleIJNS8_6TensorESD_SD_EERKSD_lbbbEUlllE1_EE10hipError_tPvRmT2_T3_mT4_P12ihipStream_tbEUlT_E_NS1_11comp_targetILNS1_3genE10ELNS1_11target_archE1201ELNS1_3gpuE5ELNS1_3repE0EEENS1_30default_config_static_selectorELNS0_4arch9wavefront6targetE0EEEvT1_
	.p2align	8
	.type	_ZN7rocprim17ROCPRIM_400000_NS6detail17trampoline_kernelINS0_14default_configENS1_35adjacent_difference_config_selectorILb0ElEEZNS1_24adjacent_difference_implIS3_Lb0ELb0EPlS7_ZN2at6native12_GLOBAL__N_124unique_dim_cuda_templateIfEESt5tupleIJNS8_6TensorESD_SD_EERKSD_lbbbEUlllE1_EE10hipError_tPvRmT2_T3_mT4_P12ihipStream_tbEUlT_E_NS1_11comp_targetILNS1_3genE10ELNS1_11target_archE1201ELNS1_3gpuE5ELNS1_3repE0EEENS1_30default_config_static_selectorELNS0_4arch9wavefront6targetE0EEEvT1_,@function
_ZN7rocprim17ROCPRIM_400000_NS6detail17trampoline_kernelINS0_14default_configENS1_35adjacent_difference_config_selectorILb0ElEEZNS1_24adjacent_difference_implIS3_Lb0ELb0EPlS7_ZN2at6native12_GLOBAL__N_124unique_dim_cuda_templateIfEESt5tupleIJNS8_6TensorESD_SD_EERKSD_lbbbEUlllE1_EE10hipError_tPvRmT2_T3_mT4_P12ihipStream_tbEUlT_E_NS1_11comp_targetILNS1_3genE10ELNS1_11target_archE1201ELNS1_3gpuE5ELNS1_3repE0EEENS1_30default_config_static_selectorELNS0_4arch9wavefront6targetE0EEEvT1_: ; @_ZN7rocprim17ROCPRIM_400000_NS6detail17trampoline_kernelINS0_14default_configENS1_35adjacent_difference_config_selectorILb0ElEEZNS1_24adjacent_difference_implIS3_Lb0ELb0EPlS7_ZN2at6native12_GLOBAL__N_124unique_dim_cuda_templateIfEESt5tupleIJNS8_6TensorESD_SD_EERKSD_lbbbEUlllE1_EE10hipError_tPvRmT2_T3_mT4_P12ihipStream_tbEUlT_E_NS1_11comp_targetILNS1_3genE10ELNS1_11target_archE1201ELNS1_3gpuE5ELNS1_3repE0EEENS1_30default_config_static_selectorELNS0_4arch9wavefront6targetE0EEEvT1_
; %bb.0:
	.section	.rodata,"a",@progbits
	.p2align	6, 0x0
	.amdhsa_kernel _ZN7rocprim17ROCPRIM_400000_NS6detail17trampoline_kernelINS0_14default_configENS1_35adjacent_difference_config_selectorILb0ElEEZNS1_24adjacent_difference_implIS3_Lb0ELb0EPlS7_ZN2at6native12_GLOBAL__N_124unique_dim_cuda_templateIfEESt5tupleIJNS8_6TensorESD_SD_EERKSD_lbbbEUlllE1_EE10hipError_tPvRmT2_T3_mT4_P12ihipStream_tbEUlT_E_NS1_11comp_targetILNS1_3genE10ELNS1_11target_archE1201ELNS1_3gpuE5ELNS1_3repE0EEENS1_30default_config_static_selectorELNS0_4arch9wavefront6targetE0EEEvT1_
		.amdhsa_group_segment_fixed_size 0
		.amdhsa_private_segment_fixed_size 0
		.amdhsa_kernarg_size 64
		.amdhsa_user_sgpr_count 2
		.amdhsa_user_sgpr_dispatch_ptr 0
		.amdhsa_user_sgpr_queue_ptr 0
		.amdhsa_user_sgpr_kernarg_segment_ptr 1
		.amdhsa_user_sgpr_dispatch_id 0
		.amdhsa_user_sgpr_kernarg_preload_length 0
		.amdhsa_user_sgpr_kernarg_preload_offset 0
		.amdhsa_user_sgpr_private_segment_size 0
		.amdhsa_wavefront_size32 1
		.amdhsa_uses_dynamic_stack 0
		.amdhsa_enable_private_segment 0
		.amdhsa_system_sgpr_workgroup_id_x 1
		.amdhsa_system_sgpr_workgroup_id_y 0
		.amdhsa_system_sgpr_workgroup_id_z 0
		.amdhsa_system_sgpr_workgroup_info 0
		.amdhsa_system_vgpr_workitem_id 0
		.amdhsa_next_free_vgpr 1
		.amdhsa_next_free_sgpr 1
		.amdhsa_named_barrier_count 0
		.amdhsa_reserve_vcc 0
		.amdhsa_float_round_mode_32 0
		.amdhsa_float_round_mode_16_64 0
		.amdhsa_float_denorm_mode_32 3
		.amdhsa_float_denorm_mode_16_64 3
		.amdhsa_fp16_overflow 0
		.amdhsa_memory_ordered 1
		.amdhsa_forward_progress 1
		.amdhsa_inst_pref_size 0
		.amdhsa_round_robin_scheduling 0
		.amdhsa_exception_fp_ieee_invalid_op 0
		.amdhsa_exception_fp_denorm_src 0
		.amdhsa_exception_fp_ieee_div_zero 0
		.amdhsa_exception_fp_ieee_overflow 0
		.amdhsa_exception_fp_ieee_underflow 0
		.amdhsa_exception_fp_ieee_inexact 0
		.amdhsa_exception_int_div_zero 0
	.end_amdhsa_kernel
	.section	.text._ZN7rocprim17ROCPRIM_400000_NS6detail17trampoline_kernelINS0_14default_configENS1_35adjacent_difference_config_selectorILb0ElEEZNS1_24adjacent_difference_implIS3_Lb0ELb0EPlS7_ZN2at6native12_GLOBAL__N_124unique_dim_cuda_templateIfEESt5tupleIJNS8_6TensorESD_SD_EERKSD_lbbbEUlllE1_EE10hipError_tPvRmT2_T3_mT4_P12ihipStream_tbEUlT_E_NS1_11comp_targetILNS1_3genE10ELNS1_11target_archE1201ELNS1_3gpuE5ELNS1_3repE0EEENS1_30default_config_static_selectorELNS0_4arch9wavefront6targetE0EEEvT1_,"axG",@progbits,_ZN7rocprim17ROCPRIM_400000_NS6detail17trampoline_kernelINS0_14default_configENS1_35adjacent_difference_config_selectorILb0ElEEZNS1_24adjacent_difference_implIS3_Lb0ELb0EPlS7_ZN2at6native12_GLOBAL__N_124unique_dim_cuda_templateIfEESt5tupleIJNS8_6TensorESD_SD_EERKSD_lbbbEUlllE1_EE10hipError_tPvRmT2_T3_mT4_P12ihipStream_tbEUlT_E_NS1_11comp_targetILNS1_3genE10ELNS1_11target_archE1201ELNS1_3gpuE5ELNS1_3repE0EEENS1_30default_config_static_selectorELNS0_4arch9wavefront6targetE0EEEvT1_,comdat
.Lfunc_end905:
	.size	_ZN7rocprim17ROCPRIM_400000_NS6detail17trampoline_kernelINS0_14default_configENS1_35adjacent_difference_config_selectorILb0ElEEZNS1_24adjacent_difference_implIS3_Lb0ELb0EPlS7_ZN2at6native12_GLOBAL__N_124unique_dim_cuda_templateIfEESt5tupleIJNS8_6TensorESD_SD_EERKSD_lbbbEUlllE1_EE10hipError_tPvRmT2_T3_mT4_P12ihipStream_tbEUlT_E_NS1_11comp_targetILNS1_3genE10ELNS1_11target_archE1201ELNS1_3gpuE5ELNS1_3repE0EEENS1_30default_config_static_selectorELNS0_4arch9wavefront6targetE0EEEvT1_, .Lfunc_end905-_ZN7rocprim17ROCPRIM_400000_NS6detail17trampoline_kernelINS0_14default_configENS1_35adjacent_difference_config_selectorILb0ElEEZNS1_24adjacent_difference_implIS3_Lb0ELb0EPlS7_ZN2at6native12_GLOBAL__N_124unique_dim_cuda_templateIfEESt5tupleIJNS8_6TensorESD_SD_EERKSD_lbbbEUlllE1_EE10hipError_tPvRmT2_T3_mT4_P12ihipStream_tbEUlT_E_NS1_11comp_targetILNS1_3genE10ELNS1_11target_archE1201ELNS1_3gpuE5ELNS1_3repE0EEENS1_30default_config_static_selectorELNS0_4arch9wavefront6targetE0EEEvT1_
                                        ; -- End function
	.set _ZN7rocprim17ROCPRIM_400000_NS6detail17trampoline_kernelINS0_14default_configENS1_35adjacent_difference_config_selectorILb0ElEEZNS1_24adjacent_difference_implIS3_Lb0ELb0EPlS7_ZN2at6native12_GLOBAL__N_124unique_dim_cuda_templateIfEESt5tupleIJNS8_6TensorESD_SD_EERKSD_lbbbEUlllE1_EE10hipError_tPvRmT2_T3_mT4_P12ihipStream_tbEUlT_E_NS1_11comp_targetILNS1_3genE10ELNS1_11target_archE1201ELNS1_3gpuE5ELNS1_3repE0EEENS1_30default_config_static_selectorELNS0_4arch9wavefront6targetE0EEEvT1_.num_vgpr, 0
	.set _ZN7rocprim17ROCPRIM_400000_NS6detail17trampoline_kernelINS0_14default_configENS1_35adjacent_difference_config_selectorILb0ElEEZNS1_24adjacent_difference_implIS3_Lb0ELb0EPlS7_ZN2at6native12_GLOBAL__N_124unique_dim_cuda_templateIfEESt5tupleIJNS8_6TensorESD_SD_EERKSD_lbbbEUlllE1_EE10hipError_tPvRmT2_T3_mT4_P12ihipStream_tbEUlT_E_NS1_11comp_targetILNS1_3genE10ELNS1_11target_archE1201ELNS1_3gpuE5ELNS1_3repE0EEENS1_30default_config_static_selectorELNS0_4arch9wavefront6targetE0EEEvT1_.num_agpr, 0
	.set _ZN7rocprim17ROCPRIM_400000_NS6detail17trampoline_kernelINS0_14default_configENS1_35adjacent_difference_config_selectorILb0ElEEZNS1_24adjacent_difference_implIS3_Lb0ELb0EPlS7_ZN2at6native12_GLOBAL__N_124unique_dim_cuda_templateIfEESt5tupleIJNS8_6TensorESD_SD_EERKSD_lbbbEUlllE1_EE10hipError_tPvRmT2_T3_mT4_P12ihipStream_tbEUlT_E_NS1_11comp_targetILNS1_3genE10ELNS1_11target_archE1201ELNS1_3gpuE5ELNS1_3repE0EEENS1_30default_config_static_selectorELNS0_4arch9wavefront6targetE0EEEvT1_.numbered_sgpr, 0
	.set _ZN7rocprim17ROCPRIM_400000_NS6detail17trampoline_kernelINS0_14default_configENS1_35adjacent_difference_config_selectorILb0ElEEZNS1_24adjacent_difference_implIS3_Lb0ELb0EPlS7_ZN2at6native12_GLOBAL__N_124unique_dim_cuda_templateIfEESt5tupleIJNS8_6TensorESD_SD_EERKSD_lbbbEUlllE1_EE10hipError_tPvRmT2_T3_mT4_P12ihipStream_tbEUlT_E_NS1_11comp_targetILNS1_3genE10ELNS1_11target_archE1201ELNS1_3gpuE5ELNS1_3repE0EEENS1_30default_config_static_selectorELNS0_4arch9wavefront6targetE0EEEvT1_.num_named_barrier, 0
	.set _ZN7rocprim17ROCPRIM_400000_NS6detail17trampoline_kernelINS0_14default_configENS1_35adjacent_difference_config_selectorILb0ElEEZNS1_24adjacent_difference_implIS3_Lb0ELb0EPlS7_ZN2at6native12_GLOBAL__N_124unique_dim_cuda_templateIfEESt5tupleIJNS8_6TensorESD_SD_EERKSD_lbbbEUlllE1_EE10hipError_tPvRmT2_T3_mT4_P12ihipStream_tbEUlT_E_NS1_11comp_targetILNS1_3genE10ELNS1_11target_archE1201ELNS1_3gpuE5ELNS1_3repE0EEENS1_30default_config_static_selectorELNS0_4arch9wavefront6targetE0EEEvT1_.private_seg_size, 0
	.set _ZN7rocprim17ROCPRIM_400000_NS6detail17trampoline_kernelINS0_14default_configENS1_35adjacent_difference_config_selectorILb0ElEEZNS1_24adjacent_difference_implIS3_Lb0ELb0EPlS7_ZN2at6native12_GLOBAL__N_124unique_dim_cuda_templateIfEESt5tupleIJNS8_6TensorESD_SD_EERKSD_lbbbEUlllE1_EE10hipError_tPvRmT2_T3_mT4_P12ihipStream_tbEUlT_E_NS1_11comp_targetILNS1_3genE10ELNS1_11target_archE1201ELNS1_3gpuE5ELNS1_3repE0EEENS1_30default_config_static_selectorELNS0_4arch9wavefront6targetE0EEEvT1_.uses_vcc, 0
	.set _ZN7rocprim17ROCPRIM_400000_NS6detail17trampoline_kernelINS0_14default_configENS1_35adjacent_difference_config_selectorILb0ElEEZNS1_24adjacent_difference_implIS3_Lb0ELb0EPlS7_ZN2at6native12_GLOBAL__N_124unique_dim_cuda_templateIfEESt5tupleIJNS8_6TensorESD_SD_EERKSD_lbbbEUlllE1_EE10hipError_tPvRmT2_T3_mT4_P12ihipStream_tbEUlT_E_NS1_11comp_targetILNS1_3genE10ELNS1_11target_archE1201ELNS1_3gpuE5ELNS1_3repE0EEENS1_30default_config_static_selectorELNS0_4arch9wavefront6targetE0EEEvT1_.uses_flat_scratch, 0
	.set _ZN7rocprim17ROCPRIM_400000_NS6detail17trampoline_kernelINS0_14default_configENS1_35adjacent_difference_config_selectorILb0ElEEZNS1_24adjacent_difference_implIS3_Lb0ELb0EPlS7_ZN2at6native12_GLOBAL__N_124unique_dim_cuda_templateIfEESt5tupleIJNS8_6TensorESD_SD_EERKSD_lbbbEUlllE1_EE10hipError_tPvRmT2_T3_mT4_P12ihipStream_tbEUlT_E_NS1_11comp_targetILNS1_3genE10ELNS1_11target_archE1201ELNS1_3gpuE5ELNS1_3repE0EEENS1_30default_config_static_selectorELNS0_4arch9wavefront6targetE0EEEvT1_.has_dyn_sized_stack, 0
	.set _ZN7rocprim17ROCPRIM_400000_NS6detail17trampoline_kernelINS0_14default_configENS1_35adjacent_difference_config_selectorILb0ElEEZNS1_24adjacent_difference_implIS3_Lb0ELb0EPlS7_ZN2at6native12_GLOBAL__N_124unique_dim_cuda_templateIfEESt5tupleIJNS8_6TensorESD_SD_EERKSD_lbbbEUlllE1_EE10hipError_tPvRmT2_T3_mT4_P12ihipStream_tbEUlT_E_NS1_11comp_targetILNS1_3genE10ELNS1_11target_archE1201ELNS1_3gpuE5ELNS1_3repE0EEENS1_30default_config_static_selectorELNS0_4arch9wavefront6targetE0EEEvT1_.has_recursion, 0
	.set _ZN7rocprim17ROCPRIM_400000_NS6detail17trampoline_kernelINS0_14default_configENS1_35adjacent_difference_config_selectorILb0ElEEZNS1_24adjacent_difference_implIS3_Lb0ELb0EPlS7_ZN2at6native12_GLOBAL__N_124unique_dim_cuda_templateIfEESt5tupleIJNS8_6TensorESD_SD_EERKSD_lbbbEUlllE1_EE10hipError_tPvRmT2_T3_mT4_P12ihipStream_tbEUlT_E_NS1_11comp_targetILNS1_3genE10ELNS1_11target_archE1201ELNS1_3gpuE5ELNS1_3repE0EEENS1_30default_config_static_selectorELNS0_4arch9wavefront6targetE0EEEvT1_.has_indirect_call, 0
	.section	.AMDGPU.csdata,"",@progbits
; Kernel info:
; codeLenInByte = 0
; TotalNumSgprs: 0
; NumVgprs: 0
; ScratchSize: 0
; MemoryBound: 0
; FloatMode: 240
; IeeeMode: 1
; LDSByteSize: 0 bytes/workgroup (compile time only)
; SGPRBlocks: 0
; VGPRBlocks: 0
; NumSGPRsForWavesPerEU: 1
; NumVGPRsForWavesPerEU: 1
; NamedBarCnt: 0
; Occupancy: 16
; WaveLimiterHint : 0
; COMPUTE_PGM_RSRC2:SCRATCH_EN: 0
; COMPUTE_PGM_RSRC2:USER_SGPR: 2
; COMPUTE_PGM_RSRC2:TRAP_HANDLER: 0
; COMPUTE_PGM_RSRC2:TGID_X_EN: 1
; COMPUTE_PGM_RSRC2:TGID_Y_EN: 0
; COMPUTE_PGM_RSRC2:TGID_Z_EN: 0
; COMPUTE_PGM_RSRC2:TIDIG_COMP_CNT: 0
	.section	.text._ZN7rocprim17ROCPRIM_400000_NS6detail17trampoline_kernelINS0_14default_configENS1_35adjacent_difference_config_selectorILb0ElEEZNS1_24adjacent_difference_implIS3_Lb0ELb0EPlS7_ZN2at6native12_GLOBAL__N_124unique_dim_cuda_templateIfEESt5tupleIJNS8_6TensorESD_SD_EERKSD_lbbbEUlllE1_EE10hipError_tPvRmT2_T3_mT4_P12ihipStream_tbEUlT_E_NS1_11comp_targetILNS1_3genE5ELNS1_11target_archE942ELNS1_3gpuE9ELNS1_3repE0EEENS1_30default_config_static_selectorELNS0_4arch9wavefront6targetE0EEEvT1_,"axG",@progbits,_ZN7rocprim17ROCPRIM_400000_NS6detail17trampoline_kernelINS0_14default_configENS1_35adjacent_difference_config_selectorILb0ElEEZNS1_24adjacent_difference_implIS3_Lb0ELb0EPlS7_ZN2at6native12_GLOBAL__N_124unique_dim_cuda_templateIfEESt5tupleIJNS8_6TensorESD_SD_EERKSD_lbbbEUlllE1_EE10hipError_tPvRmT2_T3_mT4_P12ihipStream_tbEUlT_E_NS1_11comp_targetILNS1_3genE5ELNS1_11target_archE942ELNS1_3gpuE9ELNS1_3repE0EEENS1_30default_config_static_selectorELNS0_4arch9wavefront6targetE0EEEvT1_,comdat
	.globl	_ZN7rocprim17ROCPRIM_400000_NS6detail17trampoline_kernelINS0_14default_configENS1_35adjacent_difference_config_selectorILb0ElEEZNS1_24adjacent_difference_implIS3_Lb0ELb0EPlS7_ZN2at6native12_GLOBAL__N_124unique_dim_cuda_templateIfEESt5tupleIJNS8_6TensorESD_SD_EERKSD_lbbbEUlllE1_EE10hipError_tPvRmT2_T3_mT4_P12ihipStream_tbEUlT_E_NS1_11comp_targetILNS1_3genE5ELNS1_11target_archE942ELNS1_3gpuE9ELNS1_3repE0EEENS1_30default_config_static_selectorELNS0_4arch9wavefront6targetE0EEEvT1_ ; -- Begin function _ZN7rocprim17ROCPRIM_400000_NS6detail17trampoline_kernelINS0_14default_configENS1_35adjacent_difference_config_selectorILb0ElEEZNS1_24adjacent_difference_implIS3_Lb0ELb0EPlS7_ZN2at6native12_GLOBAL__N_124unique_dim_cuda_templateIfEESt5tupleIJNS8_6TensorESD_SD_EERKSD_lbbbEUlllE1_EE10hipError_tPvRmT2_T3_mT4_P12ihipStream_tbEUlT_E_NS1_11comp_targetILNS1_3genE5ELNS1_11target_archE942ELNS1_3gpuE9ELNS1_3repE0EEENS1_30default_config_static_selectorELNS0_4arch9wavefront6targetE0EEEvT1_
	.p2align	8
	.type	_ZN7rocprim17ROCPRIM_400000_NS6detail17trampoline_kernelINS0_14default_configENS1_35adjacent_difference_config_selectorILb0ElEEZNS1_24adjacent_difference_implIS3_Lb0ELb0EPlS7_ZN2at6native12_GLOBAL__N_124unique_dim_cuda_templateIfEESt5tupleIJNS8_6TensorESD_SD_EERKSD_lbbbEUlllE1_EE10hipError_tPvRmT2_T3_mT4_P12ihipStream_tbEUlT_E_NS1_11comp_targetILNS1_3genE5ELNS1_11target_archE942ELNS1_3gpuE9ELNS1_3repE0EEENS1_30default_config_static_selectorELNS0_4arch9wavefront6targetE0EEEvT1_,@function
_ZN7rocprim17ROCPRIM_400000_NS6detail17trampoline_kernelINS0_14default_configENS1_35adjacent_difference_config_selectorILb0ElEEZNS1_24adjacent_difference_implIS3_Lb0ELb0EPlS7_ZN2at6native12_GLOBAL__N_124unique_dim_cuda_templateIfEESt5tupleIJNS8_6TensorESD_SD_EERKSD_lbbbEUlllE1_EE10hipError_tPvRmT2_T3_mT4_P12ihipStream_tbEUlT_E_NS1_11comp_targetILNS1_3genE5ELNS1_11target_archE942ELNS1_3gpuE9ELNS1_3repE0EEENS1_30default_config_static_selectorELNS0_4arch9wavefront6targetE0EEEvT1_: ; @_ZN7rocprim17ROCPRIM_400000_NS6detail17trampoline_kernelINS0_14default_configENS1_35adjacent_difference_config_selectorILb0ElEEZNS1_24adjacent_difference_implIS3_Lb0ELb0EPlS7_ZN2at6native12_GLOBAL__N_124unique_dim_cuda_templateIfEESt5tupleIJNS8_6TensorESD_SD_EERKSD_lbbbEUlllE1_EE10hipError_tPvRmT2_T3_mT4_P12ihipStream_tbEUlT_E_NS1_11comp_targetILNS1_3genE5ELNS1_11target_archE942ELNS1_3gpuE9ELNS1_3repE0EEENS1_30default_config_static_selectorELNS0_4arch9wavefront6targetE0EEEvT1_
; %bb.0:
	.section	.rodata,"a",@progbits
	.p2align	6, 0x0
	.amdhsa_kernel _ZN7rocprim17ROCPRIM_400000_NS6detail17trampoline_kernelINS0_14default_configENS1_35adjacent_difference_config_selectorILb0ElEEZNS1_24adjacent_difference_implIS3_Lb0ELb0EPlS7_ZN2at6native12_GLOBAL__N_124unique_dim_cuda_templateIfEESt5tupleIJNS8_6TensorESD_SD_EERKSD_lbbbEUlllE1_EE10hipError_tPvRmT2_T3_mT4_P12ihipStream_tbEUlT_E_NS1_11comp_targetILNS1_3genE5ELNS1_11target_archE942ELNS1_3gpuE9ELNS1_3repE0EEENS1_30default_config_static_selectorELNS0_4arch9wavefront6targetE0EEEvT1_
		.amdhsa_group_segment_fixed_size 0
		.amdhsa_private_segment_fixed_size 0
		.amdhsa_kernarg_size 64
		.amdhsa_user_sgpr_count 2
		.amdhsa_user_sgpr_dispatch_ptr 0
		.amdhsa_user_sgpr_queue_ptr 0
		.amdhsa_user_sgpr_kernarg_segment_ptr 1
		.amdhsa_user_sgpr_dispatch_id 0
		.amdhsa_user_sgpr_kernarg_preload_length 0
		.amdhsa_user_sgpr_kernarg_preload_offset 0
		.amdhsa_user_sgpr_private_segment_size 0
		.amdhsa_wavefront_size32 1
		.amdhsa_uses_dynamic_stack 0
		.amdhsa_enable_private_segment 0
		.amdhsa_system_sgpr_workgroup_id_x 1
		.amdhsa_system_sgpr_workgroup_id_y 0
		.amdhsa_system_sgpr_workgroup_id_z 0
		.amdhsa_system_sgpr_workgroup_info 0
		.amdhsa_system_vgpr_workitem_id 0
		.amdhsa_next_free_vgpr 1
		.amdhsa_next_free_sgpr 1
		.amdhsa_named_barrier_count 0
		.amdhsa_reserve_vcc 0
		.amdhsa_float_round_mode_32 0
		.amdhsa_float_round_mode_16_64 0
		.amdhsa_float_denorm_mode_32 3
		.amdhsa_float_denorm_mode_16_64 3
		.amdhsa_fp16_overflow 0
		.amdhsa_memory_ordered 1
		.amdhsa_forward_progress 1
		.amdhsa_inst_pref_size 0
		.amdhsa_round_robin_scheduling 0
		.amdhsa_exception_fp_ieee_invalid_op 0
		.amdhsa_exception_fp_denorm_src 0
		.amdhsa_exception_fp_ieee_div_zero 0
		.amdhsa_exception_fp_ieee_overflow 0
		.amdhsa_exception_fp_ieee_underflow 0
		.amdhsa_exception_fp_ieee_inexact 0
		.amdhsa_exception_int_div_zero 0
	.end_amdhsa_kernel
	.section	.text._ZN7rocprim17ROCPRIM_400000_NS6detail17trampoline_kernelINS0_14default_configENS1_35adjacent_difference_config_selectorILb0ElEEZNS1_24adjacent_difference_implIS3_Lb0ELb0EPlS7_ZN2at6native12_GLOBAL__N_124unique_dim_cuda_templateIfEESt5tupleIJNS8_6TensorESD_SD_EERKSD_lbbbEUlllE1_EE10hipError_tPvRmT2_T3_mT4_P12ihipStream_tbEUlT_E_NS1_11comp_targetILNS1_3genE5ELNS1_11target_archE942ELNS1_3gpuE9ELNS1_3repE0EEENS1_30default_config_static_selectorELNS0_4arch9wavefront6targetE0EEEvT1_,"axG",@progbits,_ZN7rocprim17ROCPRIM_400000_NS6detail17trampoline_kernelINS0_14default_configENS1_35adjacent_difference_config_selectorILb0ElEEZNS1_24adjacent_difference_implIS3_Lb0ELb0EPlS7_ZN2at6native12_GLOBAL__N_124unique_dim_cuda_templateIfEESt5tupleIJNS8_6TensorESD_SD_EERKSD_lbbbEUlllE1_EE10hipError_tPvRmT2_T3_mT4_P12ihipStream_tbEUlT_E_NS1_11comp_targetILNS1_3genE5ELNS1_11target_archE942ELNS1_3gpuE9ELNS1_3repE0EEENS1_30default_config_static_selectorELNS0_4arch9wavefront6targetE0EEEvT1_,comdat
.Lfunc_end906:
	.size	_ZN7rocprim17ROCPRIM_400000_NS6detail17trampoline_kernelINS0_14default_configENS1_35adjacent_difference_config_selectorILb0ElEEZNS1_24adjacent_difference_implIS3_Lb0ELb0EPlS7_ZN2at6native12_GLOBAL__N_124unique_dim_cuda_templateIfEESt5tupleIJNS8_6TensorESD_SD_EERKSD_lbbbEUlllE1_EE10hipError_tPvRmT2_T3_mT4_P12ihipStream_tbEUlT_E_NS1_11comp_targetILNS1_3genE5ELNS1_11target_archE942ELNS1_3gpuE9ELNS1_3repE0EEENS1_30default_config_static_selectorELNS0_4arch9wavefront6targetE0EEEvT1_, .Lfunc_end906-_ZN7rocprim17ROCPRIM_400000_NS6detail17trampoline_kernelINS0_14default_configENS1_35adjacent_difference_config_selectorILb0ElEEZNS1_24adjacent_difference_implIS3_Lb0ELb0EPlS7_ZN2at6native12_GLOBAL__N_124unique_dim_cuda_templateIfEESt5tupleIJNS8_6TensorESD_SD_EERKSD_lbbbEUlllE1_EE10hipError_tPvRmT2_T3_mT4_P12ihipStream_tbEUlT_E_NS1_11comp_targetILNS1_3genE5ELNS1_11target_archE942ELNS1_3gpuE9ELNS1_3repE0EEENS1_30default_config_static_selectorELNS0_4arch9wavefront6targetE0EEEvT1_
                                        ; -- End function
	.set _ZN7rocprim17ROCPRIM_400000_NS6detail17trampoline_kernelINS0_14default_configENS1_35adjacent_difference_config_selectorILb0ElEEZNS1_24adjacent_difference_implIS3_Lb0ELb0EPlS7_ZN2at6native12_GLOBAL__N_124unique_dim_cuda_templateIfEESt5tupleIJNS8_6TensorESD_SD_EERKSD_lbbbEUlllE1_EE10hipError_tPvRmT2_T3_mT4_P12ihipStream_tbEUlT_E_NS1_11comp_targetILNS1_3genE5ELNS1_11target_archE942ELNS1_3gpuE9ELNS1_3repE0EEENS1_30default_config_static_selectorELNS0_4arch9wavefront6targetE0EEEvT1_.num_vgpr, 0
	.set _ZN7rocprim17ROCPRIM_400000_NS6detail17trampoline_kernelINS0_14default_configENS1_35adjacent_difference_config_selectorILb0ElEEZNS1_24adjacent_difference_implIS3_Lb0ELb0EPlS7_ZN2at6native12_GLOBAL__N_124unique_dim_cuda_templateIfEESt5tupleIJNS8_6TensorESD_SD_EERKSD_lbbbEUlllE1_EE10hipError_tPvRmT2_T3_mT4_P12ihipStream_tbEUlT_E_NS1_11comp_targetILNS1_3genE5ELNS1_11target_archE942ELNS1_3gpuE9ELNS1_3repE0EEENS1_30default_config_static_selectorELNS0_4arch9wavefront6targetE0EEEvT1_.num_agpr, 0
	.set _ZN7rocprim17ROCPRIM_400000_NS6detail17trampoline_kernelINS0_14default_configENS1_35adjacent_difference_config_selectorILb0ElEEZNS1_24adjacent_difference_implIS3_Lb0ELb0EPlS7_ZN2at6native12_GLOBAL__N_124unique_dim_cuda_templateIfEESt5tupleIJNS8_6TensorESD_SD_EERKSD_lbbbEUlllE1_EE10hipError_tPvRmT2_T3_mT4_P12ihipStream_tbEUlT_E_NS1_11comp_targetILNS1_3genE5ELNS1_11target_archE942ELNS1_3gpuE9ELNS1_3repE0EEENS1_30default_config_static_selectorELNS0_4arch9wavefront6targetE0EEEvT1_.numbered_sgpr, 0
	.set _ZN7rocprim17ROCPRIM_400000_NS6detail17trampoline_kernelINS0_14default_configENS1_35adjacent_difference_config_selectorILb0ElEEZNS1_24adjacent_difference_implIS3_Lb0ELb0EPlS7_ZN2at6native12_GLOBAL__N_124unique_dim_cuda_templateIfEESt5tupleIJNS8_6TensorESD_SD_EERKSD_lbbbEUlllE1_EE10hipError_tPvRmT2_T3_mT4_P12ihipStream_tbEUlT_E_NS1_11comp_targetILNS1_3genE5ELNS1_11target_archE942ELNS1_3gpuE9ELNS1_3repE0EEENS1_30default_config_static_selectorELNS0_4arch9wavefront6targetE0EEEvT1_.num_named_barrier, 0
	.set _ZN7rocprim17ROCPRIM_400000_NS6detail17trampoline_kernelINS0_14default_configENS1_35adjacent_difference_config_selectorILb0ElEEZNS1_24adjacent_difference_implIS3_Lb0ELb0EPlS7_ZN2at6native12_GLOBAL__N_124unique_dim_cuda_templateIfEESt5tupleIJNS8_6TensorESD_SD_EERKSD_lbbbEUlllE1_EE10hipError_tPvRmT2_T3_mT4_P12ihipStream_tbEUlT_E_NS1_11comp_targetILNS1_3genE5ELNS1_11target_archE942ELNS1_3gpuE9ELNS1_3repE0EEENS1_30default_config_static_selectorELNS0_4arch9wavefront6targetE0EEEvT1_.private_seg_size, 0
	.set _ZN7rocprim17ROCPRIM_400000_NS6detail17trampoline_kernelINS0_14default_configENS1_35adjacent_difference_config_selectorILb0ElEEZNS1_24adjacent_difference_implIS3_Lb0ELb0EPlS7_ZN2at6native12_GLOBAL__N_124unique_dim_cuda_templateIfEESt5tupleIJNS8_6TensorESD_SD_EERKSD_lbbbEUlllE1_EE10hipError_tPvRmT2_T3_mT4_P12ihipStream_tbEUlT_E_NS1_11comp_targetILNS1_3genE5ELNS1_11target_archE942ELNS1_3gpuE9ELNS1_3repE0EEENS1_30default_config_static_selectorELNS0_4arch9wavefront6targetE0EEEvT1_.uses_vcc, 0
	.set _ZN7rocprim17ROCPRIM_400000_NS6detail17trampoline_kernelINS0_14default_configENS1_35adjacent_difference_config_selectorILb0ElEEZNS1_24adjacent_difference_implIS3_Lb0ELb0EPlS7_ZN2at6native12_GLOBAL__N_124unique_dim_cuda_templateIfEESt5tupleIJNS8_6TensorESD_SD_EERKSD_lbbbEUlllE1_EE10hipError_tPvRmT2_T3_mT4_P12ihipStream_tbEUlT_E_NS1_11comp_targetILNS1_3genE5ELNS1_11target_archE942ELNS1_3gpuE9ELNS1_3repE0EEENS1_30default_config_static_selectorELNS0_4arch9wavefront6targetE0EEEvT1_.uses_flat_scratch, 0
	.set _ZN7rocprim17ROCPRIM_400000_NS6detail17trampoline_kernelINS0_14default_configENS1_35adjacent_difference_config_selectorILb0ElEEZNS1_24adjacent_difference_implIS3_Lb0ELb0EPlS7_ZN2at6native12_GLOBAL__N_124unique_dim_cuda_templateIfEESt5tupleIJNS8_6TensorESD_SD_EERKSD_lbbbEUlllE1_EE10hipError_tPvRmT2_T3_mT4_P12ihipStream_tbEUlT_E_NS1_11comp_targetILNS1_3genE5ELNS1_11target_archE942ELNS1_3gpuE9ELNS1_3repE0EEENS1_30default_config_static_selectorELNS0_4arch9wavefront6targetE0EEEvT1_.has_dyn_sized_stack, 0
	.set _ZN7rocprim17ROCPRIM_400000_NS6detail17trampoline_kernelINS0_14default_configENS1_35adjacent_difference_config_selectorILb0ElEEZNS1_24adjacent_difference_implIS3_Lb0ELb0EPlS7_ZN2at6native12_GLOBAL__N_124unique_dim_cuda_templateIfEESt5tupleIJNS8_6TensorESD_SD_EERKSD_lbbbEUlllE1_EE10hipError_tPvRmT2_T3_mT4_P12ihipStream_tbEUlT_E_NS1_11comp_targetILNS1_3genE5ELNS1_11target_archE942ELNS1_3gpuE9ELNS1_3repE0EEENS1_30default_config_static_selectorELNS0_4arch9wavefront6targetE0EEEvT1_.has_recursion, 0
	.set _ZN7rocprim17ROCPRIM_400000_NS6detail17trampoline_kernelINS0_14default_configENS1_35adjacent_difference_config_selectorILb0ElEEZNS1_24adjacent_difference_implIS3_Lb0ELb0EPlS7_ZN2at6native12_GLOBAL__N_124unique_dim_cuda_templateIfEESt5tupleIJNS8_6TensorESD_SD_EERKSD_lbbbEUlllE1_EE10hipError_tPvRmT2_T3_mT4_P12ihipStream_tbEUlT_E_NS1_11comp_targetILNS1_3genE5ELNS1_11target_archE942ELNS1_3gpuE9ELNS1_3repE0EEENS1_30default_config_static_selectorELNS0_4arch9wavefront6targetE0EEEvT1_.has_indirect_call, 0
	.section	.AMDGPU.csdata,"",@progbits
; Kernel info:
; codeLenInByte = 0
; TotalNumSgprs: 0
; NumVgprs: 0
; ScratchSize: 0
; MemoryBound: 0
; FloatMode: 240
; IeeeMode: 1
; LDSByteSize: 0 bytes/workgroup (compile time only)
; SGPRBlocks: 0
; VGPRBlocks: 0
; NumSGPRsForWavesPerEU: 1
; NumVGPRsForWavesPerEU: 1
; NamedBarCnt: 0
; Occupancy: 16
; WaveLimiterHint : 0
; COMPUTE_PGM_RSRC2:SCRATCH_EN: 0
; COMPUTE_PGM_RSRC2:USER_SGPR: 2
; COMPUTE_PGM_RSRC2:TRAP_HANDLER: 0
; COMPUTE_PGM_RSRC2:TGID_X_EN: 1
; COMPUTE_PGM_RSRC2:TGID_Y_EN: 0
; COMPUTE_PGM_RSRC2:TGID_Z_EN: 0
; COMPUTE_PGM_RSRC2:TIDIG_COMP_CNT: 0
	.section	.text._ZN7rocprim17ROCPRIM_400000_NS6detail17trampoline_kernelINS0_14default_configENS1_35adjacent_difference_config_selectorILb0ElEEZNS1_24adjacent_difference_implIS3_Lb0ELb0EPlS7_ZN2at6native12_GLOBAL__N_124unique_dim_cuda_templateIfEESt5tupleIJNS8_6TensorESD_SD_EERKSD_lbbbEUlllE1_EE10hipError_tPvRmT2_T3_mT4_P12ihipStream_tbEUlT_E_NS1_11comp_targetILNS1_3genE4ELNS1_11target_archE910ELNS1_3gpuE8ELNS1_3repE0EEENS1_30default_config_static_selectorELNS0_4arch9wavefront6targetE0EEEvT1_,"axG",@progbits,_ZN7rocprim17ROCPRIM_400000_NS6detail17trampoline_kernelINS0_14default_configENS1_35adjacent_difference_config_selectorILb0ElEEZNS1_24adjacent_difference_implIS3_Lb0ELb0EPlS7_ZN2at6native12_GLOBAL__N_124unique_dim_cuda_templateIfEESt5tupleIJNS8_6TensorESD_SD_EERKSD_lbbbEUlllE1_EE10hipError_tPvRmT2_T3_mT4_P12ihipStream_tbEUlT_E_NS1_11comp_targetILNS1_3genE4ELNS1_11target_archE910ELNS1_3gpuE8ELNS1_3repE0EEENS1_30default_config_static_selectorELNS0_4arch9wavefront6targetE0EEEvT1_,comdat
	.globl	_ZN7rocprim17ROCPRIM_400000_NS6detail17trampoline_kernelINS0_14default_configENS1_35adjacent_difference_config_selectorILb0ElEEZNS1_24adjacent_difference_implIS3_Lb0ELb0EPlS7_ZN2at6native12_GLOBAL__N_124unique_dim_cuda_templateIfEESt5tupleIJNS8_6TensorESD_SD_EERKSD_lbbbEUlllE1_EE10hipError_tPvRmT2_T3_mT4_P12ihipStream_tbEUlT_E_NS1_11comp_targetILNS1_3genE4ELNS1_11target_archE910ELNS1_3gpuE8ELNS1_3repE0EEENS1_30default_config_static_selectorELNS0_4arch9wavefront6targetE0EEEvT1_ ; -- Begin function _ZN7rocprim17ROCPRIM_400000_NS6detail17trampoline_kernelINS0_14default_configENS1_35adjacent_difference_config_selectorILb0ElEEZNS1_24adjacent_difference_implIS3_Lb0ELb0EPlS7_ZN2at6native12_GLOBAL__N_124unique_dim_cuda_templateIfEESt5tupleIJNS8_6TensorESD_SD_EERKSD_lbbbEUlllE1_EE10hipError_tPvRmT2_T3_mT4_P12ihipStream_tbEUlT_E_NS1_11comp_targetILNS1_3genE4ELNS1_11target_archE910ELNS1_3gpuE8ELNS1_3repE0EEENS1_30default_config_static_selectorELNS0_4arch9wavefront6targetE0EEEvT1_
	.p2align	8
	.type	_ZN7rocprim17ROCPRIM_400000_NS6detail17trampoline_kernelINS0_14default_configENS1_35adjacent_difference_config_selectorILb0ElEEZNS1_24adjacent_difference_implIS3_Lb0ELb0EPlS7_ZN2at6native12_GLOBAL__N_124unique_dim_cuda_templateIfEESt5tupleIJNS8_6TensorESD_SD_EERKSD_lbbbEUlllE1_EE10hipError_tPvRmT2_T3_mT4_P12ihipStream_tbEUlT_E_NS1_11comp_targetILNS1_3genE4ELNS1_11target_archE910ELNS1_3gpuE8ELNS1_3repE0EEENS1_30default_config_static_selectorELNS0_4arch9wavefront6targetE0EEEvT1_,@function
_ZN7rocprim17ROCPRIM_400000_NS6detail17trampoline_kernelINS0_14default_configENS1_35adjacent_difference_config_selectorILb0ElEEZNS1_24adjacent_difference_implIS3_Lb0ELb0EPlS7_ZN2at6native12_GLOBAL__N_124unique_dim_cuda_templateIfEESt5tupleIJNS8_6TensorESD_SD_EERKSD_lbbbEUlllE1_EE10hipError_tPvRmT2_T3_mT4_P12ihipStream_tbEUlT_E_NS1_11comp_targetILNS1_3genE4ELNS1_11target_archE910ELNS1_3gpuE8ELNS1_3repE0EEENS1_30default_config_static_selectorELNS0_4arch9wavefront6targetE0EEEvT1_: ; @_ZN7rocprim17ROCPRIM_400000_NS6detail17trampoline_kernelINS0_14default_configENS1_35adjacent_difference_config_selectorILb0ElEEZNS1_24adjacent_difference_implIS3_Lb0ELb0EPlS7_ZN2at6native12_GLOBAL__N_124unique_dim_cuda_templateIfEESt5tupleIJNS8_6TensorESD_SD_EERKSD_lbbbEUlllE1_EE10hipError_tPvRmT2_T3_mT4_P12ihipStream_tbEUlT_E_NS1_11comp_targetILNS1_3genE4ELNS1_11target_archE910ELNS1_3gpuE8ELNS1_3repE0EEENS1_30default_config_static_selectorELNS0_4arch9wavefront6targetE0EEEvT1_
; %bb.0:
	.section	.rodata,"a",@progbits
	.p2align	6, 0x0
	.amdhsa_kernel _ZN7rocprim17ROCPRIM_400000_NS6detail17trampoline_kernelINS0_14default_configENS1_35adjacent_difference_config_selectorILb0ElEEZNS1_24adjacent_difference_implIS3_Lb0ELb0EPlS7_ZN2at6native12_GLOBAL__N_124unique_dim_cuda_templateIfEESt5tupleIJNS8_6TensorESD_SD_EERKSD_lbbbEUlllE1_EE10hipError_tPvRmT2_T3_mT4_P12ihipStream_tbEUlT_E_NS1_11comp_targetILNS1_3genE4ELNS1_11target_archE910ELNS1_3gpuE8ELNS1_3repE0EEENS1_30default_config_static_selectorELNS0_4arch9wavefront6targetE0EEEvT1_
		.amdhsa_group_segment_fixed_size 0
		.amdhsa_private_segment_fixed_size 0
		.amdhsa_kernarg_size 64
		.amdhsa_user_sgpr_count 2
		.amdhsa_user_sgpr_dispatch_ptr 0
		.amdhsa_user_sgpr_queue_ptr 0
		.amdhsa_user_sgpr_kernarg_segment_ptr 1
		.amdhsa_user_sgpr_dispatch_id 0
		.amdhsa_user_sgpr_kernarg_preload_length 0
		.amdhsa_user_sgpr_kernarg_preload_offset 0
		.amdhsa_user_sgpr_private_segment_size 0
		.amdhsa_wavefront_size32 1
		.amdhsa_uses_dynamic_stack 0
		.amdhsa_enable_private_segment 0
		.amdhsa_system_sgpr_workgroup_id_x 1
		.amdhsa_system_sgpr_workgroup_id_y 0
		.amdhsa_system_sgpr_workgroup_id_z 0
		.amdhsa_system_sgpr_workgroup_info 0
		.amdhsa_system_vgpr_workitem_id 0
		.amdhsa_next_free_vgpr 1
		.amdhsa_next_free_sgpr 1
		.amdhsa_named_barrier_count 0
		.amdhsa_reserve_vcc 0
		.amdhsa_float_round_mode_32 0
		.amdhsa_float_round_mode_16_64 0
		.amdhsa_float_denorm_mode_32 3
		.amdhsa_float_denorm_mode_16_64 3
		.amdhsa_fp16_overflow 0
		.amdhsa_memory_ordered 1
		.amdhsa_forward_progress 1
		.amdhsa_inst_pref_size 0
		.amdhsa_round_robin_scheduling 0
		.amdhsa_exception_fp_ieee_invalid_op 0
		.amdhsa_exception_fp_denorm_src 0
		.amdhsa_exception_fp_ieee_div_zero 0
		.amdhsa_exception_fp_ieee_overflow 0
		.amdhsa_exception_fp_ieee_underflow 0
		.amdhsa_exception_fp_ieee_inexact 0
		.amdhsa_exception_int_div_zero 0
	.end_amdhsa_kernel
	.section	.text._ZN7rocprim17ROCPRIM_400000_NS6detail17trampoline_kernelINS0_14default_configENS1_35adjacent_difference_config_selectorILb0ElEEZNS1_24adjacent_difference_implIS3_Lb0ELb0EPlS7_ZN2at6native12_GLOBAL__N_124unique_dim_cuda_templateIfEESt5tupleIJNS8_6TensorESD_SD_EERKSD_lbbbEUlllE1_EE10hipError_tPvRmT2_T3_mT4_P12ihipStream_tbEUlT_E_NS1_11comp_targetILNS1_3genE4ELNS1_11target_archE910ELNS1_3gpuE8ELNS1_3repE0EEENS1_30default_config_static_selectorELNS0_4arch9wavefront6targetE0EEEvT1_,"axG",@progbits,_ZN7rocprim17ROCPRIM_400000_NS6detail17trampoline_kernelINS0_14default_configENS1_35adjacent_difference_config_selectorILb0ElEEZNS1_24adjacent_difference_implIS3_Lb0ELb0EPlS7_ZN2at6native12_GLOBAL__N_124unique_dim_cuda_templateIfEESt5tupleIJNS8_6TensorESD_SD_EERKSD_lbbbEUlllE1_EE10hipError_tPvRmT2_T3_mT4_P12ihipStream_tbEUlT_E_NS1_11comp_targetILNS1_3genE4ELNS1_11target_archE910ELNS1_3gpuE8ELNS1_3repE0EEENS1_30default_config_static_selectorELNS0_4arch9wavefront6targetE0EEEvT1_,comdat
.Lfunc_end907:
	.size	_ZN7rocprim17ROCPRIM_400000_NS6detail17trampoline_kernelINS0_14default_configENS1_35adjacent_difference_config_selectorILb0ElEEZNS1_24adjacent_difference_implIS3_Lb0ELb0EPlS7_ZN2at6native12_GLOBAL__N_124unique_dim_cuda_templateIfEESt5tupleIJNS8_6TensorESD_SD_EERKSD_lbbbEUlllE1_EE10hipError_tPvRmT2_T3_mT4_P12ihipStream_tbEUlT_E_NS1_11comp_targetILNS1_3genE4ELNS1_11target_archE910ELNS1_3gpuE8ELNS1_3repE0EEENS1_30default_config_static_selectorELNS0_4arch9wavefront6targetE0EEEvT1_, .Lfunc_end907-_ZN7rocprim17ROCPRIM_400000_NS6detail17trampoline_kernelINS0_14default_configENS1_35adjacent_difference_config_selectorILb0ElEEZNS1_24adjacent_difference_implIS3_Lb0ELb0EPlS7_ZN2at6native12_GLOBAL__N_124unique_dim_cuda_templateIfEESt5tupleIJNS8_6TensorESD_SD_EERKSD_lbbbEUlllE1_EE10hipError_tPvRmT2_T3_mT4_P12ihipStream_tbEUlT_E_NS1_11comp_targetILNS1_3genE4ELNS1_11target_archE910ELNS1_3gpuE8ELNS1_3repE0EEENS1_30default_config_static_selectorELNS0_4arch9wavefront6targetE0EEEvT1_
                                        ; -- End function
	.set _ZN7rocprim17ROCPRIM_400000_NS6detail17trampoline_kernelINS0_14default_configENS1_35adjacent_difference_config_selectorILb0ElEEZNS1_24adjacent_difference_implIS3_Lb0ELb0EPlS7_ZN2at6native12_GLOBAL__N_124unique_dim_cuda_templateIfEESt5tupleIJNS8_6TensorESD_SD_EERKSD_lbbbEUlllE1_EE10hipError_tPvRmT2_T3_mT4_P12ihipStream_tbEUlT_E_NS1_11comp_targetILNS1_3genE4ELNS1_11target_archE910ELNS1_3gpuE8ELNS1_3repE0EEENS1_30default_config_static_selectorELNS0_4arch9wavefront6targetE0EEEvT1_.num_vgpr, 0
	.set _ZN7rocprim17ROCPRIM_400000_NS6detail17trampoline_kernelINS0_14default_configENS1_35adjacent_difference_config_selectorILb0ElEEZNS1_24adjacent_difference_implIS3_Lb0ELb0EPlS7_ZN2at6native12_GLOBAL__N_124unique_dim_cuda_templateIfEESt5tupleIJNS8_6TensorESD_SD_EERKSD_lbbbEUlllE1_EE10hipError_tPvRmT2_T3_mT4_P12ihipStream_tbEUlT_E_NS1_11comp_targetILNS1_3genE4ELNS1_11target_archE910ELNS1_3gpuE8ELNS1_3repE0EEENS1_30default_config_static_selectorELNS0_4arch9wavefront6targetE0EEEvT1_.num_agpr, 0
	.set _ZN7rocprim17ROCPRIM_400000_NS6detail17trampoline_kernelINS0_14default_configENS1_35adjacent_difference_config_selectorILb0ElEEZNS1_24adjacent_difference_implIS3_Lb0ELb0EPlS7_ZN2at6native12_GLOBAL__N_124unique_dim_cuda_templateIfEESt5tupleIJNS8_6TensorESD_SD_EERKSD_lbbbEUlllE1_EE10hipError_tPvRmT2_T3_mT4_P12ihipStream_tbEUlT_E_NS1_11comp_targetILNS1_3genE4ELNS1_11target_archE910ELNS1_3gpuE8ELNS1_3repE0EEENS1_30default_config_static_selectorELNS0_4arch9wavefront6targetE0EEEvT1_.numbered_sgpr, 0
	.set _ZN7rocprim17ROCPRIM_400000_NS6detail17trampoline_kernelINS0_14default_configENS1_35adjacent_difference_config_selectorILb0ElEEZNS1_24adjacent_difference_implIS3_Lb0ELb0EPlS7_ZN2at6native12_GLOBAL__N_124unique_dim_cuda_templateIfEESt5tupleIJNS8_6TensorESD_SD_EERKSD_lbbbEUlllE1_EE10hipError_tPvRmT2_T3_mT4_P12ihipStream_tbEUlT_E_NS1_11comp_targetILNS1_3genE4ELNS1_11target_archE910ELNS1_3gpuE8ELNS1_3repE0EEENS1_30default_config_static_selectorELNS0_4arch9wavefront6targetE0EEEvT1_.num_named_barrier, 0
	.set _ZN7rocprim17ROCPRIM_400000_NS6detail17trampoline_kernelINS0_14default_configENS1_35adjacent_difference_config_selectorILb0ElEEZNS1_24adjacent_difference_implIS3_Lb0ELb0EPlS7_ZN2at6native12_GLOBAL__N_124unique_dim_cuda_templateIfEESt5tupleIJNS8_6TensorESD_SD_EERKSD_lbbbEUlllE1_EE10hipError_tPvRmT2_T3_mT4_P12ihipStream_tbEUlT_E_NS1_11comp_targetILNS1_3genE4ELNS1_11target_archE910ELNS1_3gpuE8ELNS1_3repE0EEENS1_30default_config_static_selectorELNS0_4arch9wavefront6targetE0EEEvT1_.private_seg_size, 0
	.set _ZN7rocprim17ROCPRIM_400000_NS6detail17trampoline_kernelINS0_14default_configENS1_35adjacent_difference_config_selectorILb0ElEEZNS1_24adjacent_difference_implIS3_Lb0ELb0EPlS7_ZN2at6native12_GLOBAL__N_124unique_dim_cuda_templateIfEESt5tupleIJNS8_6TensorESD_SD_EERKSD_lbbbEUlllE1_EE10hipError_tPvRmT2_T3_mT4_P12ihipStream_tbEUlT_E_NS1_11comp_targetILNS1_3genE4ELNS1_11target_archE910ELNS1_3gpuE8ELNS1_3repE0EEENS1_30default_config_static_selectorELNS0_4arch9wavefront6targetE0EEEvT1_.uses_vcc, 0
	.set _ZN7rocprim17ROCPRIM_400000_NS6detail17trampoline_kernelINS0_14default_configENS1_35adjacent_difference_config_selectorILb0ElEEZNS1_24adjacent_difference_implIS3_Lb0ELb0EPlS7_ZN2at6native12_GLOBAL__N_124unique_dim_cuda_templateIfEESt5tupleIJNS8_6TensorESD_SD_EERKSD_lbbbEUlllE1_EE10hipError_tPvRmT2_T3_mT4_P12ihipStream_tbEUlT_E_NS1_11comp_targetILNS1_3genE4ELNS1_11target_archE910ELNS1_3gpuE8ELNS1_3repE0EEENS1_30default_config_static_selectorELNS0_4arch9wavefront6targetE0EEEvT1_.uses_flat_scratch, 0
	.set _ZN7rocprim17ROCPRIM_400000_NS6detail17trampoline_kernelINS0_14default_configENS1_35adjacent_difference_config_selectorILb0ElEEZNS1_24adjacent_difference_implIS3_Lb0ELb0EPlS7_ZN2at6native12_GLOBAL__N_124unique_dim_cuda_templateIfEESt5tupleIJNS8_6TensorESD_SD_EERKSD_lbbbEUlllE1_EE10hipError_tPvRmT2_T3_mT4_P12ihipStream_tbEUlT_E_NS1_11comp_targetILNS1_3genE4ELNS1_11target_archE910ELNS1_3gpuE8ELNS1_3repE0EEENS1_30default_config_static_selectorELNS0_4arch9wavefront6targetE0EEEvT1_.has_dyn_sized_stack, 0
	.set _ZN7rocprim17ROCPRIM_400000_NS6detail17trampoline_kernelINS0_14default_configENS1_35adjacent_difference_config_selectorILb0ElEEZNS1_24adjacent_difference_implIS3_Lb0ELb0EPlS7_ZN2at6native12_GLOBAL__N_124unique_dim_cuda_templateIfEESt5tupleIJNS8_6TensorESD_SD_EERKSD_lbbbEUlllE1_EE10hipError_tPvRmT2_T3_mT4_P12ihipStream_tbEUlT_E_NS1_11comp_targetILNS1_3genE4ELNS1_11target_archE910ELNS1_3gpuE8ELNS1_3repE0EEENS1_30default_config_static_selectorELNS0_4arch9wavefront6targetE0EEEvT1_.has_recursion, 0
	.set _ZN7rocprim17ROCPRIM_400000_NS6detail17trampoline_kernelINS0_14default_configENS1_35adjacent_difference_config_selectorILb0ElEEZNS1_24adjacent_difference_implIS3_Lb0ELb0EPlS7_ZN2at6native12_GLOBAL__N_124unique_dim_cuda_templateIfEESt5tupleIJNS8_6TensorESD_SD_EERKSD_lbbbEUlllE1_EE10hipError_tPvRmT2_T3_mT4_P12ihipStream_tbEUlT_E_NS1_11comp_targetILNS1_3genE4ELNS1_11target_archE910ELNS1_3gpuE8ELNS1_3repE0EEENS1_30default_config_static_selectorELNS0_4arch9wavefront6targetE0EEEvT1_.has_indirect_call, 0
	.section	.AMDGPU.csdata,"",@progbits
; Kernel info:
; codeLenInByte = 0
; TotalNumSgprs: 0
; NumVgprs: 0
; ScratchSize: 0
; MemoryBound: 0
; FloatMode: 240
; IeeeMode: 1
; LDSByteSize: 0 bytes/workgroup (compile time only)
; SGPRBlocks: 0
; VGPRBlocks: 0
; NumSGPRsForWavesPerEU: 1
; NumVGPRsForWavesPerEU: 1
; NamedBarCnt: 0
; Occupancy: 16
; WaveLimiterHint : 0
; COMPUTE_PGM_RSRC2:SCRATCH_EN: 0
; COMPUTE_PGM_RSRC2:USER_SGPR: 2
; COMPUTE_PGM_RSRC2:TRAP_HANDLER: 0
; COMPUTE_PGM_RSRC2:TGID_X_EN: 1
; COMPUTE_PGM_RSRC2:TGID_Y_EN: 0
; COMPUTE_PGM_RSRC2:TGID_Z_EN: 0
; COMPUTE_PGM_RSRC2:TIDIG_COMP_CNT: 0
	.section	.text._ZN7rocprim17ROCPRIM_400000_NS6detail17trampoline_kernelINS0_14default_configENS1_35adjacent_difference_config_selectorILb0ElEEZNS1_24adjacent_difference_implIS3_Lb0ELb0EPlS7_ZN2at6native12_GLOBAL__N_124unique_dim_cuda_templateIfEESt5tupleIJNS8_6TensorESD_SD_EERKSD_lbbbEUlllE1_EE10hipError_tPvRmT2_T3_mT4_P12ihipStream_tbEUlT_E_NS1_11comp_targetILNS1_3genE3ELNS1_11target_archE908ELNS1_3gpuE7ELNS1_3repE0EEENS1_30default_config_static_selectorELNS0_4arch9wavefront6targetE0EEEvT1_,"axG",@progbits,_ZN7rocprim17ROCPRIM_400000_NS6detail17trampoline_kernelINS0_14default_configENS1_35adjacent_difference_config_selectorILb0ElEEZNS1_24adjacent_difference_implIS3_Lb0ELb0EPlS7_ZN2at6native12_GLOBAL__N_124unique_dim_cuda_templateIfEESt5tupleIJNS8_6TensorESD_SD_EERKSD_lbbbEUlllE1_EE10hipError_tPvRmT2_T3_mT4_P12ihipStream_tbEUlT_E_NS1_11comp_targetILNS1_3genE3ELNS1_11target_archE908ELNS1_3gpuE7ELNS1_3repE0EEENS1_30default_config_static_selectorELNS0_4arch9wavefront6targetE0EEEvT1_,comdat
	.globl	_ZN7rocprim17ROCPRIM_400000_NS6detail17trampoline_kernelINS0_14default_configENS1_35adjacent_difference_config_selectorILb0ElEEZNS1_24adjacent_difference_implIS3_Lb0ELb0EPlS7_ZN2at6native12_GLOBAL__N_124unique_dim_cuda_templateIfEESt5tupleIJNS8_6TensorESD_SD_EERKSD_lbbbEUlllE1_EE10hipError_tPvRmT2_T3_mT4_P12ihipStream_tbEUlT_E_NS1_11comp_targetILNS1_3genE3ELNS1_11target_archE908ELNS1_3gpuE7ELNS1_3repE0EEENS1_30default_config_static_selectorELNS0_4arch9wavefront6targetE0EEEvT1_ ; -- Begin function _ZN7rocprim17ROCPRIM_400000_NS6detail17trampoline_kernelINS0_14default_configENS1_35adjacent_difference_config_selectorILb0ElEEZNS1_24adjacent_difference_implIS3_Lb0ELb0EPlS7_ZN2at6native12_GLOBAL__N_124unique_dim_cuda_templateIfEESt5tupleIJNS8_6TensorESD_SD_EERKSD_lbbbEUlllE1_EE10hipError_tPvRmT2_T3_mT4_P12ihipStream_tbEUlT_E_NS1_11comp_targetILNS1_3genE3ELNS1_11target_archE908ELNS1_3gpuE7ELNS1_3repE0EEENS1_30default_config_static_selectorELNS0_4arch9wavefront6targetE0EEEvT1_
	.p2align	8
	.type	_ZN7rocprim17ROCPRIM_400000_NS6detail17trampoline_kernelINS0_14default_configENS1_35adjacent_difference_config_selectorILb0ElEEZNS1_24adjacent_difference_implIS3_Lb0ELb0EPlS7_ZN2at6native12_GLOBAL__N_124unique_dim_cuda_templateIfEESt5tupleIJNS8_6TensorESD_SD_EERKSD_lbbbEUlllE1_EE10hipError_tPvRmT2_T3_mT4_P12ihipStream_tbEUlT_E_NS1_11comp_targetILNS1_3genE3ELNS1_11target_archE908ELNS1_3gpuE7ELNS1_3repE0EEENS1_30default_config_static_selectorELNS0_4arch9wavefront6targetE0EEEvT1_,@function
_ZN7rocprim17ROCPRIM_400000_NS6detail17trampoline_kernelINS0_14default_configENS1_35adjacent_difference_config_selectorILb0ElEEZNS1_24adjacent_difference_implIS3_Lb0ELb0EPlS7_ZN2at6native12_GLOBAL__N_124unique_dim_cuda_templateIfEESt5tupleIJNS8_6TensorESD_SD_EERKSD_lbbbEUlllE1_EE10hipError_tPvRmT2_T3_mT4_P12ihipStream_tbEUlT_E_NS1_11comp_targetILNS1_3genE3ELNS1_11target_archE908ELNS1_3gpuE7ELNS1_3repE0EEENS1_30default_config_static_selectorELNS0_4arch9wavefront6targetE0EEEvT1_: ; @_ZN7rocprim17ROCPRIM_400000_NS6detail17trampoline_kernelINS0_14default_configENS1_35adjacent_difference_config_selectorILb0ElEEZNS1_24adjacent_difference_implIS3_Lb0ELb0EPlS7_ZN2at6native12_GLOBAL__N_124unique_dim_cuda_templateIfEESt5tupleIJNS8_6TensorESD_SD_EERKSD_lbbbEUlllE1_EE10hipError_tPvRmT2_T3_mT4_P12ihipStream_tbEUlT_E_NS1_11comp_targetILNS1_3genE3ELNS1_11target_archE908ELNS1_3gpuE7ELNS1_3repE0EEENS1_30default_config_static_selectorELNS0_4arch9wavefront6targetE0EEEvT1_
; %bb.0:
	.section	.rodata,"a",@progbits
	.p2align	6, 0x0
	.amdhsa_kernel _ZN7rocprim17ROCPRIM_400000_NS6detail17trampoline_kernelINS0_14default_configENS1_35adjacent_difference_config_selectorILb0ElEEZNS1_24adjacent_difference_implIS3_Lb0ELb0EPlS7_ZN2at6native12_GLOBAL__N_124unique_dim_cuda_templateIfEESt5tupleIJNS8_6TensorESD_SD_EERKSD_lbbbEUlllE1_EE10hipError_tPvRmT2_T3_mT4_P12ihipStream_tbEUlT_E_NS1_11comp_targetILNS1_3genE3ELNS1_11target_archE908ELNS1_3gpuE7ELNS1_3repE0EEENS1_30default_config_static_selectorELNS0_4arch9wavefront6targetE0EEEvT1_
		.amdhsa_group_segment_fixed_size 0
		.amdhsa_private_segment_fixed_size 0
		.amdhsa_kernarg_size 64
		.amdhsa_user_sgpr_count 2
		.amdhsa_user_sgpr_dispatch_ptr 0
		.amdhsa_user_sgpr_queue_ptr 0
		.amdhsa_user_sgpr_kernarg_segment_ptr 1
		.amdhsa_user_sgpr_dispatch_id 0
		.amdhsa_user_sgpr_kernarg_preload_length 0
		.amdhsa_user_sgpr_kernarg_preload_offset 0
		.amdhsa_user_sgpr_private_segment_size 0
		.amdhsa_wavefront_size32 1
		.amdhsa_uses_dynamic_stack 0
		.amdhsa_enable_private_segment 0
		.amdhsa_system_sgpr_workgroup_id_x 1
		.amdhsa_system_sgpr_workgroup_id_y 0
		.amdhsa_system_sgpr_workgroup_id_z 0
		.amdhsa_system_sgpr_workgroup_info 0
		.amdhsa_system_vgpr_workitem_id 0
		.amdhsa_next_free_vgpr 1
		.amdhsa_next_free_sgpr 1
		.amdhsa_named_barrier_count 0
		.amdhsa_reserve_vcc 0
		.amdhsa_float_round_mode_32 0
		.amdhsa_float_round_mode_16_64 0
		.amdhsa_float_denorm_mode_32 3
		.amdhsa_float_denorm_mode_16_64 3
		.amdhsa_fp16_overflow 0
		.amdhsa_memory_ordered 1
		.amdhsa_forward_progress 1
		.amdhsa_inst_pref_size 0
		.amdhsa_round_robin_scheduling 0
		.amdhsa_exception_fp_ieee_invalid_op 0
		.amdhsa_exception_fp_denorm_src 0
		.amdhsa_exception_fp_ieee_div_zero 0
		.amdhsa_exception_fp_ieee_overflow 0
		.amdhsa_exception_fp_ieee_underflow 0
		.amdhsa_exception_fp_ieee_inexact 0
		.amdhsa_exception_int_div_zero 0
	.end_amdhsa_kernel
	.section	.text._ZN7rocprim17ROCPRIM_400000_NS6detail17trampoline_kernelINS0_14default_configENS1_35adjacent_difference_config_selectorILb0ElEEZNS1_24adjacent_difference_implIS3_Lb0ELb0EPlS7_ZN2at6native12_GLOBAL__N_124unique_dim_cuda_templateIfEESt5tupleIJNS8_6TensorESD_SD_EERKSD_lbbbEUlllE1_EE10hipError_tPvRmT2_T3_mT4_P12ihipStream_tbEUlT_E_NS1_11comp_targetILNS1_3genE3ELNS1_11target_archE908ELNS1_3gpuE7ELNS1_3repE0EEENS1_30default_config_static_selectorELNS0_4arch9wavefront6targetE0EEEvT1_,"axG",@progbits,_ZN7rocprim17ROCPRIM_400000_NS6detail17trampoline_kernelINS0_14default_configENS1_35adjacent_difference_config_selectorILb0ElEEZNS1_24adjacent_difference_implIS3_Lb0ELb0EPlS7_ZN2at6native12_GLOBAL__N_124unique_dim_cuda_templateIfEESt5tupleIJNS8_6TensorESD_SD_EERKSD_lbbbEUlllE1_EE10hipError_tPvRmT2_T3_mT4_P12ihipStream_tbEUlT_E_NS1_11comp_targetILNS1_3genE3ELNS1_11target_archE908ELNS1_3gpuE7ELNS1_3repE0EEENS1_30default_config_static_selectorELNS0_4arch9wavefront6targetE0EEEvT1_,comdat
.Lfunc_end908:
	.size	_ZN7rocprim17ROCPRIM_400000_NS6detail17trampoline_kernelINS0_14default_configENS1_35adjacent_difference_config_selectorILb0ElEEZNS1_24adjacent_difference_implIS3_Lb0ELb0EPlS7_ZN2at6native12_GLOBAL__N_124unique_dim_cuda_templateIfEESt5tupleIJNS8_6TensorESD_SD_EERKSD_lbbbEUlllE1_EE10hipError_tPvRmT2_T3_mT4_P12ihipStream_tbEUlT_E_NS1_11comp_targetILNS1_3genE3ELNS1_11target_archE908ELNS1_3gpuE7ELNS1_3repE0EEENS1_30default_config_static_selectorELNS0_4arch9wavefront6targetE0EEEvT1_, .Lfunc_end908-_ZN7rocprim17ROCPRIM_400000_NS6detail17trampoline_kernelINS0_14default_configENS1_35adjacent_difference_config_selectorILb0ElEEZNS1_24adjacent_difference_implIS3_Lb0ELb0EPlS7_ZN2at6native12_GLOBAL__N_124unique_dim_cuda_templateIfEESt5tupleIJNS8_6TensorESD_SD_EERKSD_lbbbEUlllE1_EE10hipError_tPvRmT2_T3_mT4_P12ihipStream_tbEUlT_E_NS1_11comp_targetILNS1_3genE3ELNS1_11target_archE908ELNS1_3gpuE7ELNS1_3repE0EEENS1_30default_config_static_selectorELNS0_4arch9wavefront6targetE0EEEvT1_
                                        ; -- End function
	.set _ZN7rocprim17ROCPRIM_400000_NS6detail17trampoline_kernelINS0_14default_configENS1_35adjacent_difference_config_selectorILb0ElEEZNS1_24adjacent_difference_implIS3_Lb0ELb0EPlS7_ZN2at6native12_GLOBAL__N_124unique_dim_cuda_templateIfEESt5tupleIJNS8_6TensorESD_SD_EERKSD_lbbbEUlllE1_EE10hipError_tPvRmT2_T3_mT4_P12ihipStream_tbEUlT_E_NS1_11comp_targetILNS1_3genE3ELNS1_11target_archE908ELNS1_3gpuE7ELNS1_3repE0EEENS1_30default_config_static_selectorELNS0_4arch9wavefront6targetE0EEEvT1_.num_vgpr, 0
	.set _ZN7rocprim17ROCPRIM_400000_NS6detail17trampoline_kernelINS0_14default_configENS1_35adjacent_difference_config_selectorILb0ElEEZNS1_24adjacent_difference_implIS3_Lb0ELb0EPlS7_ZN2at6native12_GLOBAL__N_124unique_dim_cuda_templateIfEESt5tupleIJNS8_6TensorESD_SD_EERKSD_lbbbEUlllE1_EE10hipError_tPvRmT2_T3_mT4_P12ihipStream_tbEUlT_E_NS1_11comp_targetILNS1_3genE3ELNS1_11target_archE908ELNS1_3gpuE7ELNS1_3repE0EEENS1_30default_config_static_selectorELNS0_4arch9wavefront6targetE0EEEvT1_.num_agpr, 0
	.set _ZN7rocprim17ROCPRIM_400000_NS6detail17trampoline_kernelINS0_14default_configENS1_35adjacent_difference_config_selectorILb0ElEEZNS1_24adjacent_difference_implIS3_Lb0ELb0EPlS7_ZN2at6native12_GLOBAL__N_124unique_dim_cuda_templateIfEESt5tupleIJNS8_6TensorESD_SD_EERKSD_lbbbEUlllE1_EE10hipError_tPvRmT2_T3_mT4_P12ihipStream_tbEUlT_E_NS1_11comp_targetILNS1_3genE3ELNS1_11target_archE908ELNS1_3gpuE7ELNS1_3repE0EEENS1_30default_config_static_selectorELNS0_4arch9wavefront6targetE0EEEvT1_.numbered_sgpr, 0
	.set _ZN7rocprim17ROCPRIM_400000_NS6detail17trampoline_kernelINS0_14default_configENS1_35adjacent_difference_config_selectorILb0ElEEZNS1_24adjacent_difference_implIS3_Lb0ELb0EPlS7_ZN2at6native12_GLOBAL__N_124unique_dim_cuda_templateIfEESt5tupleIJNS8_6TensorESD_SD_EERKSD_lbbbEUlllE1_EE10hipError_tPvRmT2_T3_mT4_P12ihipStream_tbEUlT_E_NS1_11comp_targetILNS1_3genE3ELNS1_11target_archE908ELNS1_3gpuE7ELNS1_3repE0EEENS1_30default_config_static_selectorELNS0_4arch9wavefront6targetE0EEEvT1_.num_named_barrier, 0
	.set _ZN7rocprim17ROCPRIM_400000_NS6detail17trampoline_kernelINS0_14default_configENS1_35adjacent_difference_config_selectorILb0ElEEZNS1_24adjacent_difference_implIS3_Lb0ELb0EPlS7_ZN2at6native12_GLOBAL__N_124unique_dim_cuda_templateIfEESt5tupleIJNS8_6TensorESD_SD_EERKSD_lbbbEUlllE1_EE10hipError_tPvRmT2_T3_mT4_P12ihipStream_tbEUlT_E_NS1_11comp_targetILNS1_3genE3ELNS1_11target_archE908ELNS1_3gpuE7ELNS1_3repE0EEENS1_30default_config_static_selectorELNS0_4arch9wavefront6targetE0EEEvT1_.private_seg_size, 0
	.set _ZN7rocprim17ROCPRIM_400000_NS6detail17trampoline_kernelINS0_14default_configENS1_35adjacent_difference_config_selectorILb0ElEEZNS1_24adjacent_difference_implIS3_Lb0ELb0EPlS7_ZN2at6native12_GLOBAL__N_124unique_dim_cuda_templateIfEESt5tupleIJNS8_6TensorESD_SD_EERKSD_lbbbEUlllE1_EE10hipError_tPvRmT2_T3_mT4_P12ihipStream_tbEUlT_E_NS1_11comp_targetILNS1_3genE3ELNS1_11target_archE908ELNS1_3gpuE7ELNS1_3repE0EEENS1_30default_config_static_selectorELNS0_4arch9wavefront6targetE0EEEvT1_.uses_vcc, 0
	.set _ZN7rocprim17ROCPRIM_400000_NS6detail17trampoline_kernelINS0_14default_configENS1_35adjacent_difference_config_selectorILb0ElEEZNS1_24adjacent_difference_implIS3_Lb0ELb0EPlS7_ZN2at6native12_GLOBAL__N_124unique_dim_cuda_templateIfEESt5tupleIJNS8_6TensorESD_SD_EERKSD_lbbbEUlllE1_EE10hipError_tPvRmT2_T3_mT4_P12ihipStream_tbEUlT_E_NS1_11comp_targetILNS1_3genE3ELNS1_11target_archE908ELNS1_3gpuE7ELNS1_3repE0EEENS1_30default_config_static_selectorELNS0_4arch9wavefront6targetE0EEEvT1_.uses_flat_scratch, 0
	.set _ZN7rocprim17ROCPRIM_400000_NS6detail17trampoline_kernelINS0_14default_configENS1_35adjacent_difference_config_selectorILb0ElEEZNS1_24adjacent_difference_implIS3_Lb0ELb0EPlS7_ZN2at6native12_GLOBAL__N_124unique_dim_cuda_templateIfEESt5tupleIJNS8_6TensorESD_SD_EERKSD_lbbbEUlllE1_EE10hipError_tPvRmT2_T3_mT4_P12ihipStream_tbEUlT_E_NS1_11comp_targetILNS1_3genE3ELNS1_11target_archE908ELNS1_3gpuE7ELNS1_3repE0EEENS1_30default_config_static_selectorELNS0_4arch9wavefront6targetE0EEEvT1_.has_dyn_sized_stack, 0
	.set _ZN7rocprim17ROCPRIM_400000_NS6detail17trampoline_kernelINS0_14default_configENS1_35adjacent_difference_config_selectorILb0ElEEZNS1_24adjacent_difference_implIS3_Lb0ELb0EPlS7_ZN2at6native12_GLOBAL__N_124unique_dim_cuda_templateIfEESt5tupleIJNS8_6TensorESD_SD_EERKSD_lbbbEUlllE1_EE10hipError_tPvRmT2_T3_mT4_P12ihipStream_tbEUlT_E_NS1_11comp_targetILNS1_3genE3ELNS1_11target_archE908ELNS1_3gpuE7ELNS1_3repE0EEENS1_30default_config_static_selectorELNS0_4arch9wavefront6targetE0EEEvT1_.has_recursion, 0
	.set _ZN7rocprim17ROCPRIM_400000_NS6detail17trampoline_kernelINS0_14default_configENS1_35adjacent_difference_config_selectorILb0ElEEZNS1_24adjacent_difference_implIS3_Lb0ELb0EPlS7_ZN2at6native12_GLOBAL__N_124unique_dim_cuda_templateIfEESt5tupleIJNS8_6TensorESD_SD_EERKSD_lbbbEUlllE1_EE10hipError_tPvRmT2_T3_mT4_P12ihipStream_tbEUlT_E_NS1_11comp_targetILNS1_3genE3ELNS1_11target_archE908ELNS1_3gpuE7ELNS1_3repE0EEENS1_30default_config_static_selectorELNS0_4arch9wavefront6targetE0EEEvT1_.has_indirect_call, 0
	.section	.AMDGPU.csdata,"",@progbits
; Kernel info:
; codeLenInByte = 0
; TotalNumSgprs: 0
; NumVgprs: 0
; ScratchSize: 0
; MemoryBound: 0
; FloatMode: 240
; IeeeMode: 1
; LDSByteSize: 0 bytes/workgroup (compile time only)
; SGPRBlocks: 0
; VGPRBlocks: 0
; NumSGPRsForWavesPerEU: 1
; NumVGPRsForWavesPerEU: 1
; NamedBarCnt: 0
; Occupancy: 16
; WaveLimiterHint : 0
; COMPUTE_PGM_RSRC2:SCRATCH_EN: 0
; COMPUTE_PGM_RSRC2:USER_SGPR: 2
; COMPUTE_PGM_RSRC2:TRAP_HANDLER: 0
; COMPUTE_PGM_RSRC2:TGID_X_EN: 1
; COMPUTE_PGM_RSRC2:TGID_Y_EN: 0
; COMPUTE_PGM_RSRC2:TGID_Z_EN: 0
; COMPUTE_PGM_RSRC2:TIDIG_COMP_CNT: 0
	.section	.text._ZN7rocprim17ROCPRIM_400000_NS6detail17trampoline_kernelINS0_14default_configENS1_35adjacent_difference_config_selectorILb0ElEEZNS1_24adjacent_difference_implIS3_Lb0ELb0EPlS7_ZN2at6native12_GLOBAL__N_124unique_dim_cuda_templateIfEESt5tupleIJNS8_6TensorESD_SD_EERKSD_lbbbEUlllE1_EE10hipError_tPvRmT2_T3_mT4_P12ihipStream_tbEUlT_E_NS1_11comp_targetILNS1_3genE2ELNS1_11target_archE906ELNS1_3gpuE6ELNS1_3repE0EEENS1_30default_config_static_selectorELNS0_4arch9wavefront6targetE0EEEvT1_,"axG",@progbits,_ZN7rocprim17ROCPRIM_400000_NS6detail17trampoline_kernelINS0_14default_configENS1_35adjacent_difference_config_selectorILb0ElEEZNS1_24adjacent_difference_implIS3_Lb0ELb0EPlS7_ZN2at6native12_GLOBAL__N_124unique_dim_cuda_templateIfEESt5tupleIJNS8_6TensorESD_SD_EERKSD_lbbbEUlllE1_EE10hipError_tPvRmT2_T3_mT4_P12ihipStream_tbEUlT_E_NS1_11comp_targetILNS1_3genE2ELNS1_11target_archE906ELNS1_3gpuE6ELNS1_3repE0EEENS1_30default_config_static_selectorELNS0_4arch9wavefront6targetE0EEEvT1_,comdat
	.globl	_ZN7rocprim17ROCPRIM_400000_NS6detail17trampoline_kernelINS0_14default_configENS1_35adjacent_difference_config_selectorILb0ElEEZNS1_24adjacent_difference_implIS3_Lb0ELb0EPlS7_ZN2at6native12_GLOBAL__N_124unique_dim_cuda_templateIfEESt5tupleIJNS8_6TensorESD_SD_EERKSD_lbbbEUlllE1_EE10hipError_tPvRmT2_T3_mT4_P12ihipStream_tbEUlT_E_NS1_11comp_targetILNS1_3genE2ELNS1_11target_archE906ELNS1_3gpuE6ELNS1_3repE0EEENS1_30default_config_static_selectorELNS0_4arch9wavefront6targetE0EEEvT1_ ; -- Begin function _ZN7rocprim17ROCPRIM_400000_NS6detail17trampoline_kernelINS0_14default_configENS1_35adjacent_difference_config_selectorILb0ElEEZNS1_24adjacent_difference_implIS3_Lb0ELb0EPlS7_ZN2at6native12_GLOBAL__N_124unique_dim_cuda_templateIfEESt5tupleIJNS8_6TensorESD_SD_EERKSD_lbbbEUlllE1_EE10hipError_tPvRmT2_T3_mT4_P12ihipStream_tbEUlT_E_NS1_11comp_targetILNS1_3genE2ELNS1_11target_archE906ELNS1_3gpuE6ELNS1_3repE0EEENS1_30default_config_static_selectorELNS0_4arch9wavefront6targetE0EEEvT1_
	.p2align	8
	.type	_ZN7rocprim17ROCPRIM_400000_NS6detail17trampoline_kernelINS0_14default_configENS1_35adjacent_difference_config_selectorILb0ElEEZNS1_24adjacent_difference_implIS3_Lb0ELb0EPlS7_ZN2at6native12_GLOBAL__N_124unique_dim_cuda_templateIfEESt5tupleIJNS8_6TensorESD_SD_EERKSD_lbbbEUlllE1_EE10hipError_tPvRmT2_T3_mT4_P12ihipStream_tbEUlT_E_NS1_11comp_targetILNS1_3genE2ELNS1_11target_archE906ELNS1_3gpuE6ELNS1_3repE0EEENS1_30default_config_static_selectorELNS0_4arch9wavefront6targetE0EEEvT1_,@function
_ZN7rocprim17ROCPRIM_400000_NS6detail17trampoline_kernelINS0_14default_configENS1_35adjacent_difference_config_selectorILb0ElEEZNS1_24adjacent_difference_implIS3_Lb0ELb0EPlS7_ZN2at6native12_GLOBAL__N_124unique_dim_cuda_templateIfEESt5tupleIJNS8_6TensorESD_SD_EERKSD_lbbbEUlllE1_EE10hipError_tPvRmT2_T3_mT4_P12ihipStream_tbEUlT_E_NS1_11comp_targetILNS1_3genE2ELNS1_11target_archE906ELNS1_3gpuE6ELNS1_3repE0EEENS1_30default_config_static_selectorELNS0_4arch9wavefront6targetE0EEEvT1_: ; @_ZN7rocprim17ROCPRIM_400000_NS6detail17trampoline_kernelINS0_14default_configENS1_35adjacent_difference_config_selectorILb0ElEEZNS1_24adjacent_difference_implIS3_Lb0ELb0EPlS7_ZN2at6native12_GLOBAL__N_124unique_dim_cuda_templateIfEESt5tupleIJNS8_6TensorESD_SD_EERKSD_lbbbEUlllE1_EE10hipError_tPvRmT2_T3_mT4_P12ihipStream_tbEUlT_E_NS1_11comp_targetILNS1_3genE2ELNS1_11target_archE906ELNS1_3gpuE6ELNS1_3repE0EEENS1_30default_config_static_selectorELNS0_4arch9wavefront6targetE0EEEvT1_
; %bb.0:
	.section	.rodata,"a",@progbits
	.p2align	6, 0x0
	.amdhsa_kernel _ZN7rocprim17ROCPRIM_400000_NS6detail17trampoline_kernelINS0_14default_configENS1_35adjacent_difference_config_selectorILb0ElEEZNS1_24adjacent_difference_implIS3_Lb0ELb0EPlS7_ZN2at6native12_GLOBAL__N_124unique_dim_cuda_templateIfEESt5tupleIJNS8_6TensorESD_SD_EERKSD_lbbbEUlllE1_EE10hipError_tPvRmT2_T3_mT4_P12ihipStream_tbEUlT_E_NS1_11comp_targetILNS1_3genE2ELNS1_11target_archE906ELNS1_3gpuE6ELNS1_3repE0EEENS1_30default_config_static_selectorELNS0_4arch9wavefront6targetE0EEEvT1_
		.amdhsa_group_segment_fixed_size 0
		.amdhsa_private_segment_fixed_size 0
		.amdhsa_kernarg_size 64
		.amdhsa_user_sgpr_count 2
		.amdhsa_user_sgpr_dispatch_ptr 0
		.amdhsa_user_sgpr_queue_ptr 0
		.amdhsa_user_sgpr_kernarg_segment_ptr 1
		.amdhsa_user_sgpr_dispatch_id 0
		.amdhsa_user_sgpr_kernarg_preload_length 0
		.amdhsa_user_sgpr_kernarg_preload_offset 0
		.amdhsa_user_sgpr_private_segment_size 0
		.amdhsa_wavefront_size32 1
		.amdhsa_uses_dynamic_stack 0
		.amdhsa_enable_private_segment 0
		.amdhsa_system_sgpr_workgroup_id_x 1
		.amdhsa_system_sgpr_workgroup_id_y 0
		.amdhsa_system_sgpr_workgroup_id_z 0
		.amdhsa_system_sgpr_workgroup_info 0
		.amdhsa_system_vgpr_workitem_id 0
		.amdhsa_next_free_vgpr 1
		.amdhsa_next_free_sgpr 1
		.amdhsa_named_barrier_count 0
		.amdhsa_reserve_vcc 0
		.amdhsa_float_round_mode_32 0
		.amdhsa_float_round_mode_16_64 0
		.amdhsa_float_denorm_mode_32 3
		.amdhsa_float_denorm_mode_16_64 3
		.amdhsa_fp16_overflow 0
		.amdhsa_memory_ordered 1
		.amdhsa_forward_progress 1
		.amdhsa_inst_pref_size 0
		.amdhsa_round_robin_scheduling 0
		.amdhsa_exception_fp_ieee_invalid_op 0
		.amdhsa_exception_fp_denorm_src 0
		.amdhsa_exception_fp_ieee_div_zero 0
		.amdhsa_exception_fp_ieee_overflow 0
		.amdhsa_exception_fp_ieee_underflow 0
		.amdhsa_exception_fp_ieee_inexact 0
		.amdhsa_exception_int_div_zero 0
	.end_amdhsa_kernel
	.section	.text._ZN7rocprim17ROCPRIM_400000_NS6detail17trampoline_kernelINS0_14default_configENS1_35adjacent_difference_config_selectorILb0ElEEZNS1_24adjacent_difference_implIS3_Lb0ELb0EPlS7_ZN2at6native12_GLOBAL__N_124unique_dim_cuda_templateIfEESt5tupleIJNS8_6TensorESD_SD_EERKSD_lbbbEUlllE1_EE10hipError_tPvRmT2_T3_mT4_P12ihipStream_tbEUlT_E_NS1_11comp_targetILNS1_3genE2ELNS1_11target_archE906ELNS1_3gpuE6ELNS1_3repE0EEENS1_30default_config_static_selectorELNS0_4arch9wavefront6targetE0EEEvT1_,"axG",@progbits,_ZN7rocprim17ROCPRIM_400000_NS6detail17trampoline_kernelINS0_14default_configENS1_35adjacent_difference_config_selectorILb0ElEEZNS1_24adjacent_difference_implIS3_Lb0ELb0EPlS7_ZN2at6native12_GLOBAL__N_124unique_dim_cuda_templateIfEESt5tupleIJNS8_6TensorESD_SD_EERKSD_lbbbEUlllE1_EE10hipError_tPvRmT2_T3_mT4_P12ihipStream_tbEUlT_E_NS1_11comp_targetILNS1_3genE2ELNS1_11target_archE906ELNS1_3gpuE6ELNS1_3repE0EEENS1_30default_config_static_selectorELNS0_4arch9wavefront6targetE0EEEvT1_,comdat
.Lfunc_end909:
	.size	_ZN7rocprim17ROCPRIM_400000_NS6detail17trampoline_kernelINS0_14default_configENS1_35adjacent_difference_config_selectorILb0ElEEZNS1_24adjacent_difference_implIS3_Lb0ELb0EPlS7_ZN2at6native12_GLOBAL__N_124unique_dim_cuda_templateIfEESt5tupleIJNS8_6TensorESD_SD_EERKSD_lbbbEUlllE1_EE10hipError_tPvRmT2_T3_mT4_P12ihipStream_tbEUlT_E_NS1_11comp_targetILNS1_3genE2ELNS1_11target_archE906ELNS1_3gpuE6ELNS1_3repE0EEENS1_30default_config_static_selectorELNS0_4arch9wavefront6targetE0EEEvT1_, .Lfunc_end909-_ZN7rocprim17ROCPRIM_400000_NS6detail17trampoline_kernelINS0_14default_configENS1_35adjacent_difference_config_selectorILb0ElEEZNS1_24adjacent_difference_implIS3_Lb0ELb0EPlS7_ZN2at6native12_GLOBAL__N_124unique_dim_cuda_templateIfEESt5tupleIJNS8_6TensorESD_SD_EERKSD_lbbbEUlllE1_EE10hipError_tPvRmT2_T3_mT4_P12ihipStream_tbEUlT_E_NS1_11comp_targetILNS1_3genE2ELNS1_11target_archE906ELNS1_3gpuE6ELNS1_3repE0EEENS1_30default_config_static_selectorELNS0_4arch9wavefront6targetE0EEEvT1_
                                        ; -- End function
	.set _ZN7rocprim17ROCPRIM_400000_NS6detail17trampoline_kernelINS0_14default_configENS1_35adjacent_difference_config_selectorILb0ElEEZNS1_24adjacent_difference_implIS3_Lb0ELb0EPlS7_ZN2at6native12_GLOBAL__N_124unique_dim_cuda_templateIfEESt5tupleIJNS8_6TensorESD_SD_EERKSD_lbbbEUlllE1_EE10hipError_tPvRmT2_T3_mT4_P12ihipStream_tbEUlT_E_NS1_11comp_targetILNS1_3genE2ELNS1_11target_archE906ELNS1_3gpuE6ELNS1_3repE0EEENS1_30default_config_static_selectorELNS0_4arch9wavefront6targetE0EEEvT1_.num_vgpr, 0
	.set _ZN7rocprim17ROCPRIM_400000_NS6detail17trampoline_kernelINS0_14default_configENS1_35adjacent_difference_config_selectorILb0ElEEZNS1_24adjacent_difference_implIS3_Lb0ELb0EPlS7_ZN2at6native12_GLOBAL__N_124unique_dim_cuda_templateIfEESt5tupleIJNS8_6TensorESD_SD_EERKSD_lbbbEUlllE1_EE10hipError_tPvRmT2_T3_mT4_P12ihipStream_tbEUlT_E_NS1_11comp_targetILNS1_3genE2ELNS1_11target_archE906ELNS1_3gpuE6ELNS1_3repE0EEENS1_30default_config_static_selectorELNS0_4arch9wavefront6targetE0EEEvT1_.num_agpr, 0
	.set _ZN7rocprim17ROCPRIM_400000_NS6detail17trampoline_kernelINS0_14default_configENS1_35adjacent_difference_config_selectorILb0ElEEZNS1_24adjacent_difference_implIS3_Lb0ELb0EPlS7_ZN2at6native12_GLOBAL__N_124unique_dim_cuda_templateIfEESt5tupleIJNS8_6TensorESD_SD_EERKSD_lbbbEUlllE1_EE10hipError_tPvRmT2_T3_mT4_P12ihipStream_tbEUlT_E_NS1_11comp_targetILNS1_3genE2ELNS1_11target_archE906ELNS1_3gpuE6ELNS1_3repE0EEENS1_30default_config_static_selectorELNS0_4arch9wavefront6targetE0EEEvT1_.numbered_sgpr, 0
	.set _ZN7rocprim17ROCPRIM_400000_NS6detail17trampoline_kernelINS0_14default_configENS1_35adjacent_difference_config_selectorILb0ElEEZNS1_24adjacent_difference_implIS3_Lb0ELb0EPlS7_ZN2at6native12_GLOBAL__N_124unique_dim_cuda_templateIfEESt5tupleIJNS8_6TensorESD_SD_EERKSD_lbbbEUlllE1_EE10hipError_tPvRmT2_T3_mT4_P12ihipStream_tbEUlT_E_NS1_11comp_targetILNS1_3genE2ELNS1_11target_archE906ELNS1_3gpuE6ELNS1_3repE0EEENS1_30default_config_static_selectorELNS0_4arch9wavefront6targetE0EEEvT1_.num_named_barrier, 0
	.set _ZN7rocprim17ROCPRIM_400000_NS6detail17trampoline_kernelINS0_14default_configENS1_35adjacent_difference_config_selectorILb0ElEEZNS1_24adjacent_difference_implIS3_Lb0ELb0EPlS7_ZN2at6native12_GLOBAL__N_124unique_dim_cuda_templateIfEESt5tupleIJNS8_6TensorESD_SD_EERKSD_lbbbEUlllE1_EE10hipError_tPvRmT2_T3_mT4_P12ihipStream_tbEUlT_E_NS1_11comp_targetILNS1_3genE2ELNS1_11target_archE906ELNS1_3gpuE6ELNS1_3repE0EEENS1_30default_config_static_selectorELNS0_4arch9wavefront6targetE0EEEvT1_.private_seg_size, 0
	.set _ZN7rocprim17ROCPRIM_400000_NS6detail17trampoline_kernelINS0_14default_configENS1_35adjacent_difference_config_selectorILb0ElEEZNS1_24adjacent_difference_implIS3_Lb0ELb0EPlS7_ZN2at6native12_GLOBAL__N_124unique_dim_cuda_templateIfEESt5tupleIJNS8_6TensorESD_SD_EERKSD_lbbbEUlllE1_EE10hipError_tPvRmT2_T3_mT4_P12ihipStream_tbEUlT_E_NS1_11comp_targetILNS1_3genE2ELNS1_11target_archE906ELNS1_3gpuE6ELNS1_3repE0EEENS1_30default_config_static_selectorELNS0_4arch9wavefront6targetE0EEEvT1_.uses_vcc, 0
	.set _ZN7rocprim17ROCPRIM_400000_NS6detail17trampoline_kernelINS0_14default_configENS1_35adjacent_difference_config_selectorILb0ElEEZNS1_24adjacent_difference_implIS3_Lb0ELb0EPlS7_ZN2at6native12_GLOBAL__N_124unique_dim_cuda_templateIfEESt5tupleIJNS8_6TensorESD_SD_EERKSD_lbbbEUlllE1_EE10hipError_tPvRmT2_T3_mT4_P12ihipStream_tbEUlT_E_NS1_11comp_targetILNS1_3genE2ELNS1_11target_archE906ELNS1_3gpuE6ELNS1_3repE0EEENS1_30default_config_static_selectorELNS0_4arch9wavefront6targetE0EEEvT1_.uses_flat_scratch, 0
	.set _ZN7rocprim17ROCPRIM_400000_NS6detail17trampoline_kernelINS0_14default_configENS1_35adjacent_difference_config_selectorILb0ElEEZNS1_24adjacent_difference_implIS3_Lb0ELb0EPlS7_ZN2at6native12_GLOBAL__N_124unique_dim_cuda_templateIfEESt5tupleIJNS8_6TensorESD_SD_EERKSD_lbbbEUlllE1_EE10hipError_tPvRmT2_T3_mT4_P12ihipStream_tbEUlT_E_NS1_11comp_targetILNS1_3genE2ELNS1_11target_archE906ELNS1_3gpuE6ELNS1_3repE0EEENS1_30default_config_static_selectorELNS0_4arch9wavefront6targetE0EEEvT1_.has_dyn_sized_stack, 0
	.set _ZN7rocprim17ROCPRIM_400000_NS6detail17trampoline_kernelINS0_14default_configENS1_35adjacent_difference_config_selectorILb0ElEEZNS1_24adjacent_difference_implIS3_Lb0ELb0EPlS7_ZN2at6native12_GLOBAL__N_124unique_dim_cuda_templateIfEESt5tupleIJNS8_6TensorESD_SD_EERKSD_lbbbEUlllE1_EE10hipError_tPvRmT2_T3_mT4_P12ihipStream_tbEUlT_E_NS1_11comp_targetILNS1_3genE2ELNS1_11target_archE906ELNS1_3gpuE6ELNS1_3repE0EEENS1_30default_config_static_selectorELNS0_4arch9wavefront6targetE0EEEvT1_.has_recursion, 0
	.set _ZN7rocprim17ROCPRIM_400000_NS6detail17trampoline_kernelINS0_14default_configENS1_35adjacent_difference_config_selectorILb0ElEEZNS1_24adjacent_difference_implIS3_Lb0ELb0EPlS7_ZN2at6native12_GLOBAL__N_124unique_dim_cuda_templateIfEESt5tupleIJNS8_6TensorESD_SD_EERKSD_lbbbEUlllE1_EE10hipError_tPvRmT2_T3_mT4_P12ihipStream_tbEUlT_E_NS1_11comp_targetILNS1_3genE2ELNS1_11target_archE906ELNS1_3gpuE6ELNS1_3repE0EEENS1_30default_config_static_selectorELNS0_4arch9wavefront6targetE0EEEvT1_.has_indirect_call, 0
	.section	.AMDGPU.csdata,"",@progbits
; Kernel info:
; codeLenInByte = 0
; TotalNumSgprs: 0
; NumVgprs: 0
; ScratchSize: 0
; MemoryBound: 0
; FloatMode: 240
; IeeeMode: 1
; LDSByteSize: 0 bytes/workgroup (compile time only)
; SGPRBlocks: 0
; VGPRBlocks: 0
; NumSGPRsForWavesPerEU: 1
; NumVGPRsForWavesPerEU: 1
; NamedBarCnt: 0
; Occupancy: 16
; WaveLimiterHint : 0
; COMPUTE_PGM_RSRC2:SCRATCH_EN: 0
; COMPUTE_PGM_RSRC2:USER_SGPR: 2
; COMPUTE_PGM_RSRC2:TRAP_HANDLER: 0
; COMPUTE_PGM_RSRC2:TGID_X_EN: 1
; COMPUTE_PGM_RSRC2:TGID_Y_EN: 0
; COMPUTE_PGM_RSRC2:TGID_Z_EN: 0
; COMPUTE_PGM_RSRC2:TIDIG_COMP_CNT: 0
	.section	.text._ZN7rocprim17ROCPRIM_400000_NS6detail17trampoline_kernelINS0_14default_configENS1_35adjacent_difference_config_selectorILb0ElEEZNS1_24adjacent_difference_implIS3_Lb0ELb0EPlS7_ZN2at6native12_GLOBAL__N_124unique_dim_cuda_templateIfEESt5tupleIJNS8_6TensorESD_SD_EERKSD_lbbbEUlllE1_EE10hipError_tPvRmT2_T3_mT4_P12ihipStream_tbEUlT_E_NS1_11comp_targetILNS1_3genE9ELNS1_11target_archE1100ELNS1_3gpuE3ELNS1_3repE0EEENS1_30default_config_static_selectorELNS0_4arch9wavefront6targetE0EEEvT1_,"axG",@progbits,_ZN7rocprim17ROCPRIM_400000_NS6detail17trampoline_kernelINS0_14default_configENS1_35adjacent_difference_config_selectorILb0ElEEZNS1_24adjacent_difference_implIS3_Lb0ELb0EPlS7_ZN2at6native12_GLOBAL__N_124unique_dim_cuda_templateIfEESt5tupleIJNS8_6TensorESD_SD_EERKSD_lbbbEUlllE1_EE10hipError_tPvRmT2_T3_mT4_P12ihipStream_tbEUlT_E_NS1_11comp_targetILNS1_3genE9ELNS1_11target_archE1100ELNS1_3gpuE3ELNS1_3repE0EEENS1_30default_config_static_selectorELNS0_4arch9wavefront6targetE0EEEvT1_,comdat
	.globl	_ZN7rocprim17ROCPRIM_400000_NS6detail17trampoline_kernelINS0_14default_configENS1_35adjacent_difference_config_selectorILb0ElEEZNS1_24adjacent_difference_implIS3_Lb0ELb0EPlS7_ZN2at6native12_GLOBAL__N_124unique_dim_cuda_templateIfEESt5tupleIJNS8_6TensorESD_SD_EERKSD_lbbbEUlllE1_EE10hipError_tPvRmT2_T3_mT4_P12ihipStream_tbEUlT_E_NS1_11comp_targetILNS1_3genE9ELNS1_11target_archE1100ELNS1_3gpuE3ELNS1_3repE0EEENS1_30default_config_static_selectorELNS0_4arch9wavefront6targetE0EEEvT1_ ; -- Begin function _ZN7rocprim17ROCPRIM_400000_NS6detail17trampoline_kernelINS0_14default_configENS1_35adjacent_difference_config_selectorILb0ElEEZNS1_24adjacent_difference_implIS3_Lb0ELb0EPlS7_ZN2at6native12_GLOBAL__N_124unique_dim_cuda_templateIfEESt5tupleIJNS8_6TensorESD_SD_EERKSD_lbbbEUlllE1_EE10hipError_tPvRmT2_T3_mT4_P12ihipStream_tbEUlT_E_NS1_11comp_targetILNS1_3genE9ELNS1_11target_archE1100ELNS1_3gpuE3ELNS1_3repE0EEENS1_30default_config_static_selectorELNS0_4arch9wavefront6targetE0EEEvT1_
	.p2align	8
	.type	_ZN7rocprim17ROCPRIM_400000_NS6detail17trampoline_kernelINS0_14default_configENS1_35adjacent_difference_config_selectorILb0ElEEZNS1_24adjacent_difference_implIS3_Lb0ELb0EPlS7_ZN2at6native12_GLOBAL__N_124unique_dim_cuda_templateIfEESt5tupleIJNS8_6TensorESD_SD_EERKSD_lbbbEUlllE1_EE10hipError_tPvRmT2_T3_mT4_P12ihipStream_tbEUlT_E_NS1_11comp_targetILNS1_3genE9ELNS1_11target_archE1100ELNS1_3gpuE3ELNS1_3repE0EEENS1_30default_config_static_selectorELNS0_4arch9wavefront6targetE0EEEvT1_,@function
_ZN7rocprim17ROCPRIM_400000_NS6detail17trampoline_kernelINS0_14default_configENS1_35adjacent_difference_config_selectorILb0ElEEZNS1_24adjacent_difference_implIS3_Lb0ELb0EPlS7_ZN2at6native12_GLOBAL__N_124unique_dim_cuda_templateIfEESt5tupleIJNS8_6TensorESD_SD_EERKSD_lbbbEUlllE1_EE10hipError_tPvRmT2_T3_mT4_P12ihipStream_tbEUlT_E_NS1_11comp_targetILNS1_3genE9ELNS1_11target_archE1100ELNS1_3gpuE3ELNS1_3repE0EEENS1_30default_config_static_selectorELNS0_4arch9wavefront6targetE0EEEvT1_: ; @_ZN7rocprim17ROCPRIM_400000_NS6detail17trampoline_kernelINS0_14default_configENS1_35adjacent_difference_config_selectorILb0ElEEZNS1_24adjacent_difference_implIS3_Lb0ELb0EPlS7_ZN2at6native12_GLOBAL__N_124unique_dim_cuda_templateIfEESt5tupleIJNS8_6TensorESD_SD_EERKSD_lbbbEUlllE1_EE10hipError_tPvRmT2_T3_mT4_P12ihipStream_tbEUlT_E_NS1_11comp_targetILNS1_3genE9ELNS1_11target_archE1100ELNS1_3gpuE3ELNS1_3repE0EEENS1_30default_config_static_selectorELNS0_4arch9wavefront6targetE0EEEvT1_
; %bb.0:
	.section	.rodata,"a",@progbits
	.p2align	6, 0x0
	.amdhsa_kernel _ZN7rocprim17ROCPRIM_400000_NS6detail17trampoline_kernelINS0_14default_configENS1_35adjacent_difference_config_selectorILb0ElEEZNS1_24adjacent_difference_implIS3_Lb0ELb0EPlS7_ZN2at6native12_GLOBAL__N_124unique_dim_cuda_templateIfEESt5tupleIJNS8_6TensorESD_SD_EERKSD_lbbbEUlllE1_EE10hipError_tPvRmT2_T3_mT4_P12ihipStream_tbEUlT_E_NS1_11comp_targetILNS1_3genE9ELNS1_11target_archE1100ELNS1_3gpuE3ELNS1_3repE0EEENS1_30default_config_static_selectorELNS0_4arch9wavefront6targetE0EEEvT1_
		.amdhsa_group_segment_fixed_size 0
		.amdhsa_private_segment_fixed_size 0
		.amdhsa_kernarg_size 64
		.amdhsa_user_sgpr_count 2
		.amdhsa_user_sgpr_dispatch_ptr 0
		.amdhsa_user_sgpr_queue_ptr 0
		.amdhsa_user_sgpr_kernarg_segment_ptr 1
		.amdhsa_user_sgpr_dispatch_id 0
		.amdhsa_user_sgpr_kernarg_preload_length 0
		.amdhsa_user_sgpr_kernarg_preload_offset 0
		.amdhsa_user_sgpr_private_segment_size 0
		.amdhsa_wavefront_size32 1
		.amdhsa_uses_dynamic_stack 0
		.amdhsa_enable_private_segment 0
		.amdhsa_system_sgpr_workgroup_id_x 1
		.amdhsa_system_sgpr_workgroup_id_y 0
		.amdhsa_system_sgpr_workgroup_id_z 0
		.amdhsa_system_sgpr_workgroup_info 0
		.amdhsa_system_vgpr_workitem_id 0
		.amdhsa_next_free_vgpr 1
		.amdhsa_next_free_sgpr 1
		.amdhsa_named_barrier_count 0
		.amdhsa_reserve_vcc 0
		.amdhsa_float_round_mode_32 0
		.amdhsa_float_round_mode_16_64 0
		.amdhsa_float_denorm_mode_32 3
		.amdhsa_float_denorm_mode_16_64 3
		.amdhsa_fp16_overflow 0
		.amdhsa_memory_ordered 1
		.amdhsa_forward_progress 1
		.amdhsa_inst_pref_size 0
		.amdhsa_round_robin_scheduling 0
		.amdhsa_exception_fp_ieee_invalid_op 0
		.amdhsa_exception_fp_denorm_src 0
		.amdhsa_exception_fp_ieee_div_zero 0
		.amdhsa_exception_fp_ieee_overflow 0
		.amdhsa_exception_fp_ieee_underflow 0
		.amdhsa_exception_fp_ieee_inexact 0
		.amdhsa_exception_int_div_zero 0
	.end_amdhsa_kernel
	.section	.text._ZN7rocprim17ROCPRIM_400000_NS6detail17trampoline_kernelINS0_14default_configENS1_35adjacent_difference_config_selectorILb0ElEEZNS1_24adjacent_difference_implIS3_Lb0ELb0EPlS7_ZN2at6native12_GLOBAL__N_124unique_dim_cuda_templateIfEESt5tupleIJNS8_6TensorESD_SD_EERKSD_lbbbEUlllE1_EE10hipError_tPvRmT2_T3_mT4_P12ihipStream_tbEUlT_E_NS1_11comp_targetILNS1_3genE9ELNS1_11target_archE1100ELNS1_3gpuE3ELNS1_3repE0EEENS1_30default_config_static_selectorELNS0_4arch9wavefront6targetE0EEEvT1_,"axG",@progbits,_ZN7rocprim17ROCPRIM_400000_NS6detail17trampoline_kernelINS0_14default_configENS1_35adjacent_difference_config_selectorILb0ElEEZNS1_24adjacent_difference_implIS3_Lb0ELb0EPlS7_ZN2at6native12_GLOBAL__N_124unique_dim_cuda_templateIfEESt5tupleIJNS8_6TensorESD_SD_EERKSD_lbbbEUlllE1_EE10hipError_tPvRmT2_T3_mT4_P12ihipStream_tbEUlT_E_NS1_11comp_targetILNS1_3genE9ELNS1_11target_archE1100ELNS1_3gpuE3ELNS1_3repE0EEENS1_30default_config_static_selectorELNS0_4arch9wavefront6targetE0EEEvT1_,comdat
.Lfunc_end910:
	.size	_ZN7rocprim17ROCPRIM_400000_NS6detail17trampoline_kernelINS0_14default_configENS1_35adjacent_difference_config_selectorILb0ElEEZNS1_24adjacent_difference_implIS3_Lb0ELb0EPlS7_ZN2at6native12_GLOBAL__N_124unique_dim_cuda_templateIfEESt5tupleIJNS8_6TensorESD_SD_EERKSD_lbbbEUlllE1_EE10hipError_tPvRmT2_T3_mT4_P12ihipStream_tbEUlT_E_NS1_11comp_targetILNS1_3genE9ELNS1_11target_archE1100ELNS1_3gpuE3ELNS1_3repE0EEENS1_30default_config_static_selectorELNS0_4arch9wavefront6targetE0EEEvT1_, .Lfunc_end910-_ZN7rocprim17ROCPRIM_400000_NS6detail17trampoline_kernelINS0_14default_configENS1_35adjacent_difference_config_selectorILb0ElEEZNS1_24adjacent_difference_implIS3_Lb0ELb0EPlS7_ZN2at6native12_GLOBAL__N_124unique_dim_cuda_templateIfEESt5tupleIJNS8_6TensorESD_SD_EERKSD_lbbbEUlllE1_EE10hipError_tPvRmT2_T3_mT4_P12ihipStream_tbEUlT_E_NS1_11comp_targetILNS1_3genE9ELNS1_11target_archE1100ELNS1_3gpuE3ELNS1_3repE0EEENS1_30default_config_static_selectorELNS0_4arch9wavefront6targetE0EEEvT1_
                                        ; -- End function
	.set _ZN7rocprim17ROCPRIM_400000_NS6detail17trampoline_kernelINS0_14default_configENS1_35adjacent_difference_config_selectorILb0ElEEZNS1_24adjacent_difference_implIS3_Lb0ELb0EPlS7_ZN2at6native12_GLOBAL__N_124unique_dim_cuda_templateIfEESt5tupleIJNS8_6TensorESD_SD_EERKSD_lbbbEUlllE1_EE10hipError_tPvRmT2_T3_mT4_P12ihipStream_tbEUlT_E_NS1_11comp_targetILNS1_3genE9ELNS1_11target_archE1100ELNS1_3gpuE3ELNS1_3repE0EEENS1_30default_config_static_selectorELNS0_4arch9wavefront6targetE0EEEvT1_.num_vgpr, 0
	.set _ZN7rocprim17ROCPRIM_400000_NS6detail17trampoline_kernelINS0_14default_configENS1_35adjacent_difference_config_selectorILb0ElEEZNS1_24adjacent_difference_implIS3_Lb0ELb0EPlS7_ZN2at6native12_GLOBAL__N_124unique_dim_cuda_templateIfEESt5tupleIJNS8_6TensorESD_SD_EERKSD_lbbbEUlllE1_EE10hipError_tPvRmT2_T3_mT4_P12ihipStream_tbEUlT_E_NS1_11comp_targetILNS1_3genE9ELNS1_11target_archE1100ELNS1_3gpuE3ELNS1_3repE0EEENS1_30default_config_static_selectorELNS0_4arch9wavefront6targetE0EEEvT1_.num_agpr, 0
	.set _ZN7rocprim17ROCPRIM_400000_NS6detail17trampoline_kernelINS0_14default_configENS1_35adjacent_difference_config_selectorILb0ElEEZNS1_24adjacent_difference_implIS3_Lb0ELb0EPlS7_ZN2at6native12_GLOBAL__N_124unique_dim_cuda_templateIfEESt5tupleIJNS8_6TensorESD_SD_EERKSD_lbbbEUlllE1_EE10hipError_tPvRmT2_T3_mT4_P12ihipStream_tbEUlT_E_NS1_11comp_targetILNS1_3genE9ELNS1_11target_archE1100ELNS1_3gpuE3ELNS1_3repE0EEENS1_30default_config_static_selectorELNS0_4arch9wavefront6targetE0EEEvT1_.numbered_sgpr, 0
	.set _ZN7rocprim17ROCPRIM_400000_NS6detail17trampoline_kernelINS0_14default_configENS1_35adjacent_difference_config_selectorILb0ElEEZNS1_24adjacent_difference_implIS3_Lb0ELb0EPlS7_ZN2at6native12_GLOBAL__N_124unique_dim_cuda_templateIfEESt5tupleIJNS8_6TensorESD_SD_EERKSD_lbbbEUlllE1_EE10hipError_tPvRmT2_T3_mT4_P12ihipStream_tbEUlT_E_NS1_11comp_targetILNS1_3genE9ELNS1_11target_archE1100ELNS1_3gpuE3ELNS1_3repE0EEENS1_30default_config_static_selectorELNS0_4arch9wavefront6targetE0EEEvT1_.num_named_barrier, 0
	.set _ZN7rocprim17ROCPRIM_400000_NS6detail17trampoline_kernelINS0_14default_configENS1_35adjacent_difference_config_selectorILb0ElEEZNS1_24adjacent_difference_implIS3_Lb0ELb0EPlS7_ZN2at6native12_GLOBAL__N_124unique_dim_cuda_templateIfEESt5tupleIJNS8_6TensorESD_SD_EERKSD_lbbbEUlllE1_EE10hipError_tPvRmT2_T3_mT4_P12ihipStream_tbEUlT_E_NS1_11comp_targetILNS1_3genE9ELNS1_11target_archE1100ELNS1_3gpuE3ELNS1_3repE0EEENS1_30default_config_static_selectorELNS0_4arch9wavefront6targetE0EEEvT1_.private_seg_size, 0
	.set _ZN7rocprim17ROCPRIM_400000_NS6detail17trampoline_kernelINS0_14default_configENS1_35adjacent_difference_config_selectorILb0ElEEZNS1_24adjacent_difference_implIS3_Lb0ELb0EPlS7_ZN2at6native12_GLOBAL__N_124unique_dim_cuda_templateIfEESt5tupleIJNS8_6TensorESD_SD_EERKSD_lbbbEUlllE1_EE10hipError_tPvRmT2_T3_mT4_P12ihipStream_tbEUlT_E_NS1_11comp_targetILNS1_3genE9ELNS1_11target_archE1100ELNS1_3gpuE3ELNS1_3repE0EEENS1_30default_config_static_selectorELNS0_4arch9wavefront6targetE0EEEvT1_.uses_vcc, 0
	.set _ZN7rocprim17ROCPRIM_400000_NS6detail17trampoline_kernelINS0_14default_configENS1_35adjacent_difference_config_selectorILb0ElEEZNS1_24adjacent_difference_implIS3_Lb0ELb0EPlS7_ZN2at6native12_GLOBAL__N_124unique_dim_cuda_templateIfEESt5tupleIJNS8_6TensorESD_SD_EERKSD_lbbbEUlllE1_EE10hipError_tPvRmT2_T3_mT4_P12ihipStream_tbEUlT_E_NS1_11comp_targetILNS1_3genE9ELNS1_11target_archE1100ELNS1_3gpuE3ELNS1_3repE0EEENS1_30default_config_static_selectorELNS0_4arch9wavefront6targetE0EEEvT1_.uses_flat_scratch, 0
	.set _ZN7rocprim17ROCPRIM_400000_NS6detail17trampoline_kernelINS0_14default_configENS1_35adjacent_difference_config_selectorILb0ElEEZNS1_24adjacent_difference_implIS3_Lb0ELb0EPlS7_ZN2at6native12_GLOBAL__N_124unique_dim_cuda_templateIfEESt5tupleIJNS8_6TensorESD_SD_EERKSD_lbbbEUlllE1_EE10hipError_tPvRmT2_T3_mT4_P12ihipStream_tbEUlT_E_NS1_11comp_targetILNS1_3genE9ELNS1_11target_archE1100ELNS1_3gpuE3ELNS1_3repE0EEENS1_30default_config_static_selectorELNS0_4arch9wavefront6targetE0EEEvT1_.has_dyn_sized_stack, 0
	.set _ZN7rocprim17ROCPRIM_400000_NS6detail17trampoline_kernelINS0_14default_configENS1_35adjacent_difference_config_selectorILb0ElEEZNS1_24adjacent_difference_implIS3_Lb0ELb0EPlS7_ZN2at6native12_GLOBAL__N_124unique_dim_cuda_templateIfEESt5tupleIJNS8_6TensorESD_SD_EERKSD_lbbbEUlllE1_EE10hipError_tPvRmT2_T3_mT4_P12ihipStream_tbEUlT_E_NS1_11comp_targetILNS1_3genE9ELNS1_11target_archE1100ELNS1_3gpuE3ELNS1_3repE0EEENS1_30default_config_static_selectorELNS0_4arch9wavefront6targetE0EEEvT1_.has_recursion, 0
	.set _ZN7rocprim17ROCPRIM_400000_NS6detail17trampoline_kernelINS0_14default_configENS1_35adjacent_difference_config_selectorILb0ElEEZNS1_24adjacent_difference_implIS3_Lb0ELb0EPlS7_ZN2at6native12_GLOBAL__N_124unique_dim_cuda_templateIfEESt5tupleIJNS8_6TensorESD_SD_EERKSD_lbbbEUlllE1_EE10hipError_tPvRmT2_T3_mT4_P12ihipStream_tbEUlT_E_NS1_11comp_targetILNS1_3genE9ELNS1_11target_archE1100ELNS1_3gpuE3ELNS1_3repE0EEENS1_30default_config_static_selectorELNS0_4arch9wavefront6targetE0EEEvT1_.has_indirect_call, 0
	.section	.AMDGPU.csdata,"",@progbits
; Kernel info:
; codeLenInByte = 0
; TotalNumSgprs: 0
; NumVgprs: 0
; ScratchSize: 0
; MemoryBound: 0
; FloatMode: 240
; IeeeMode: 1
; LDSByteSize: 0 bytes/workgroup (compile time only)
; SGPRBlocks: 0
; VGPRBlocks: 0
; NumSGPRsForWavesPerEU: 1
; NumVGPRsForWavesPerEU: 1
; NamedBarCnt: 0
; Occupancy: 16
; WaveLimiterHint : 0
; COMPUTE_PGM_RSRC2:SCRATCH_EN: 0
; COMPUTE_PGM_RSRC2:USER_SGPR: 2
; COMPUTE_PGM_RSRC2:TRAP_HANDLER: 0
; COMPUTE_PGM_RSRC2:TGID_X_EN: 1
; COMPUTE_PGM_RSRC2:TGID_Y_EN: 0
; COMPUTE_PGM_RSRC2:TGID_Z_EN: 0
; COMPUTE_PGM_RSRC2:TIDIG_COMP_CNT: 0
	.section	.text._ZN7rocprim17ROCPRIM_400000_NS6detail17trampoline_kernelINS0_14default_configENS1_35adjacent_difference_config_selectorILb0ElEEZNS1_24adjacent_difference_implIS3_Lb0ELb0EPlS7_ZN2at6native12_GLOBAL__N_124unique_dim_cuda_templateIfEESt5tupleIJNS8_6TensorESD_SD_EERKSD_lbbbEUlllE1_EE10hipError_tPvRmT2_T3_mT4_P12ihipStream_tbEUlT_E_NS1_11comp_targetILNS1_3genE8ELNS1_11target_archE1030ELNS1_3gpuE2ELNS1_3repE0EEENS1_30default_config_static_selectorELNS0_4arch9wavefront6targetE0EEEvT1_,"axG",@progbits,_ZN7rocprim17ROCPRIM_400000_NS6detail17trampoline_kernelINS0_14default_configENS1_35adjacent_difference_config_selectorILb0ElEEZNS1_24adjacent_difference_implIS3_Lb0ELb0EPlS7_ZN2at6native12_GLOBAL__N_124unique_dim_cuda_templateIfEESt5tupleIJNS8_6TensorESD_SD_EERKSD_lbbbEUlllE1_EE10hipError_tPvRmT2_T3_mT4_P12ihipStream_tbEUlT_E_NS1_11comp_targetILNS1_3genE8ELNS1_11target_archE1030ELNS1_3gpuE2ELNS1_3repE0EEENS1_30default_config_static_selectorELNS0_4arch9wavefront6targetE0EEEvT1_,comdat
	.globl	_ZN7rocprim17ROCPRIM_400000_NS6detail17trampoline_kernelINS0_14default_configENS1_35adjacent_difference_config_selectorILb0ElEEZNS1_24adjacent_difference_implIS3_Lb0ELb0EPlS7_ZN2at6native12_GLOBAL__N_124unique_dim_cuda_templateIfEESt5tupleIJNS8_6TensorESD_SD_EERKSD_lbbbEUlllE1_EE10hipError_tPvRmT2_T3_mT4_P12ihipStream_tbEUlT_E_NS1_11comp_targetILNS1_3genE8ELNS1_11target_archE1030ELNS1_3gpuE2ELNS1_3repE0EEENS1_30default_config_static_selectorELNS0_4arch9wavefront6targetE0EEEvT1_ ; -- Begin function _ZN7rocprim17ROCPRIM_400000_NS6detail17trampoline_kernelINS0_14default_configENS1_35adjacent_difference_config_selectorILb0ElEEZNS1_24adjacent_difference_implIS3_Lb0ELb0EPlS7_ZN2at6native12_GLOBAL__N_124unique_dim_cuda_templateIfEESt5tupleIJNS8_6TensorESD_SD_EERKSD_lbbbEUlllE1_EE10hipError_tPvRmT2_T3_mT4_P12ihipStream_tbEUlT_E_NS1_11comp_targetILNS1_3genE8ELNS1_11target_archE1030ELNS1_3gpuE2ELNS1_3repE0EEENS1_30default_config_static_selectorELNS0_4arch9wavefront6targetE0EEEvT1_
	.p2align	8
	.type	_ZN7rocprim17ROCPRIM_400000_NS6detail17trampoline_kernelINS0_14default_configENS1_35adjacent_difference_config_selectorILb0ElEEZNS1_24adjacent_difference_implIS3_Lb0ELb0EPlS7_ZN2at6native12_GLOBAL__N_124unique_dim_cuda_templateIfEESt5tupleIJNS8_6TensorESD_SD_EERKSD_lbbbEUlllE1_EE10hipError_tPvRmT2_T3_mT4_P12ihipStream_tbEUlT_E_NS1_11comp_targetILNS1_3genE8ELNS1_11target_archE1030ELNS1_3gpuE2ELNS1_3repE0EEENS1_30default_config_static_selectorELNS0_4arch9wavefront6targetE0EEEvT1_,@function
_ZN7rocprim17ROCPRIM_400000_NS6detail17trampoline_kernelINS0_14default_configENS1_35adjacent_difference_config_selectorILb0ElEEZNS1_24adjacent_difference_implIS3_Lb0ELb0EPlS7_ZN2at6native12_GLOBAL__N_124unique_dim_cuda_templateIfEESt5tupleIJNS8_6TensorESD_SD_EERKSD_lbbbEUlllE1_EE10hipError_tPvRmT2_T3_mT4_P12ihipStream_tbEUlT_E_NS1_11comp_targetILNS1_3genE8ELNS1_11target_archE1030ELNS1_3gpuE2ELNS1_3repE0EEENS1_30default_config_static_selectorELNS0_4arch9wavefront6targetE0EEEvT1_: ; @_ZN7rocprim17ROCPRIM_400000_NS6detail17trampoline_kernelINS0_14default_configENS1_35adjacent_difference_config_selectorILb0ElEEZNS1_24adjacent_difference_implIS3_Lb0ELb0EPlS7_ZN2at6native12_GLOBAL__N_124unique_dim_cuda_templateIfEESt5tupleIJNS8_6TensorESD_SD_EERKSD_lbbbEUlllE1_EE10hipError_tPvRmT2_T3_mT4_P12ihipStream_tbEUlT_E_NS1_11comp_targetILNS1_3genE8ELNS1_11target_archE1030ELNS1_3gpuE2ELNS1_3repE0EEENS1_30default_config_static_selectorELNS0_4arch9wavefront6targetE0EEEvT1_
; %bb.0:
	.section	.rodata,"a",@progbits
	.p2align	6, 0x0
	.amdhsa_kernel _ZN7rocprim17ROCPRIM_400000_NS6detail17trampoline_kernelINS0_14default_configENS1_35adjacent_difference_config_selectorILb0ElEEZNS1_24adjacent_difference_implIS3_Lb0ELb0EPlS7_ZN2at6native12_GLOBAL__N_124unique_dim_cuda_templateIfEESt5tupleIJNS8_6TensorESD_SD_EERKSD_lbbbEUlllE1_EE10hipError_tPvRmT2_T3_mT4_P12ihipStream_tbEUlT_E_NS1_11comp_targetILNS1_3genE8ELNS1_11target_archE1030ELNS1_3gpuE2ELNS1_3repE0EEENS1_30default_config_static_selectorELNS0_4arch9wavefront6targetE0EEEvT1_
		.amdhsa_group_segment_fixed_size 0
		.amdhsa_private_segment_fixed_size 0
		.amdhsa_kernarg_size 64
		.amdhsa_user_sgpr_count 2
		.amdhsa_user_sgpr_dispatch_ptr 0
		.amdhsa_user_sgpr_queue_ptr 0
		.amdhsa_user_sgpr_kernarg_segment_ptr 1
		.amdhsa_user_sgpr_dispatch_id 0
		.amdhsa_user_sgpr_kernarg_preload_length 0
		.amdhsa_user_sgpr_kernarg_preload_offset 0
		.amdhsa_user_sgpr_private_segment_size 0
		.amdhsa_wavefront_size32 1
		.amdhsa_uses_dynamic_stack 0
		.amdhsa_enable_private_segment 0
		.amdhsa_system_sgpr_workgroup_id_x 1
		.amdhsa_system_sgpr_workgroup_id_y 0
		.amdhsa_system_sgpr_workgroup_id_z 0
		.amdhsa_system_sgpr_workgroup_info 0
		.amdhsa_system_vgpr_workitem_id 0
		.amdhsa_next_free_vgpr 1
		.amdhsa_next_free_sgpr 1
		.amdhsa_named_barrier_count 0
		.amdhsa_reserve_vcc 0
		.amdhsa_float_round_mode_32 0
		.amdhsa_float_round_mode_16_64 0
		.amdhsa_float_denorm_mode_32 3
		.amdhsa_float_denorm_mode_16_64 3
		.amdhsa_fp16_overflow 0
		.amdhsa_memory_ordered 1
		.amdhsa_forward_progress 1
		.amdhsa_inst_pref_size 0
		.amdhsa_round_robin_scheduling 0
		.amdhsa_exception_fp_ieee_invalid_op 0
		.amdhsa_exception_fp_denorm_src 0
		.amdhsa_exception_fp_ieee_div_zero 0
		.amdhsa_exception_fp_ieee_overflow 0
		.amdhsa_exception_fp_ieee_underflow 0
		.amdhsa_exception_fp_ieee_inexact 0
		.amdhsa_exception_int_div_zero 0
	.end_amdhsa_kernel
	.section	.text._ZN7rocprim17ROCPRIM_400000_NS6detail17trampoline_kernelINS0_14default_configENS1_35adjacent_difference_config_selectorILb0ElEEZNS1_24adjacent_difference_implIS3_Lb0ELb0EPlS7_ZN2at6native12_GLOBAL__N_124unique_dim_cuda_templateIfEESt5tupleIJNS8_6TensorESD_SD_EERKSD_lbbbEUlllE1_EE10hipError_tPvRmT2_T3_mT4_P12ihipStream_tbEUlT_E_NS1_11comp_targetILNS1_3genE8ELNS1_11target_archE1030ELNS1_3gpuE2ELNS1_3repE0EEENS1_30default_config_static_selectorELNS0_4arch9wavefront6targetE0EEEvT1_,"axG",@progbits,_ZN7rocprim17ROCPRIM_400000_NS6detail17trampoline_kernelINS0_14default_configENS1_35adjacent_difference_config_selectorILb0ElEEZNS1_24adjacent_difference_implIS3_Lb0ELb0EPlS7_ZN2at6native12_GLOBAL__N_124unique_dim_cuda_templateIfEESt5tupleIJNS8_6TensorESD_SD_EERKSD_lbbbEUlllE1_EE10hipError_tPvRmT2_T3_mT4_P12ihipStream_tbEUlT_E_NS1_11comp_targetILNS1_3genE8ELNS1_11target_archE1030ELNS1_3gpuE2ELNS1_3repE0EEENS1_30default_config_static_selectorELNS0_4arch9wavefront6targetE0EEEvT1_,comdat
.Lfunc_end911:
	.size	_ZN7rocprim17ROCPRIM_400000_NS6detail17trampoline_kernelINS0_14default_configENS1_35adjacent_difference_config_selectorILb0ElEEZNS1_24adjacent_difference_implIS3_Lb0ELb0EPlS7_ZN2at6native12_GLOBAL__N_124unique_dim_cuda_templateIfEESt5tupleIJNS8_6TensorESD_SD_EERKSD_lbbbEUlllE1_EE10hipError_tPvRmT2_T3_mT4_P12ihipStream_tbEUlT_E_NS1_11comp_targetILNS1_3genE8ELNS1_11target_archE1030ELNS1_3gpuE2ELNS1_3repE0EEENS1_30default_config_static_selectorELNS0_4arch9wavefront6targetE0EEEvT1_, .Lfunc_end911-_ZN7rocprim17ROCPRIM_400000_NS6detail17trampoline_kernelINS0_14default_configENS1_35adjacent_difference_config_selectorILb0ElEEZNS1_24adjacent_difference_implIS3_Lb0ELb0EPlS7_ZN2at6native12_GLOBAL__N_124unique_dim_cuda_templateIfEESt5tupleIJNS8_6TensorESD_SD_EERKSD_lbbbEUlllE1_EE10hipError_tPvRmT2_T3_mT4_P12ihipStream_tbEUlT_E_NS1_11comp_targetILNS1_3genE8ELNS1_11target_archE1030ELNS1_3gpuE2ELNS1_3repE0EEENS1_30default_config_static_selectorELNS0_4arch9wavefront6targetE0EEEvT1_
                                        ; -- End function
	.set _ZN7rocprim17ROCPRIM_400000_NS6detail17trampoline_kernelINS0_14default_configENS1_35adjacent_difference_config_selectorILb0ElEEZNS1_24adjacent_difference_implIS3_Lb0ELb0EPlS7_ZN2at6native12_GLOBAL__N_124unique_dim_cuda_templateIfEESt5tupleIJNS8_6TensorESD_SD_EERKSD_lbbbEUlllE1_EE10hipError_tPvRmT2_T3_mT4_P12ihipStream_tbEUlT_E_NS1_11comp_targetILNS1_3genE8ELNS1_11target_archE1030ELNS1_3gpuE2ELNS1_3repE0EEENS1_30default_config_static_selectorELNS0_4arch9wavefront6targetE0EEEvT1_.num_vgpr, 0
	.set _ZN7rocprim17ROCPRIM_400000_NS6detail17trampoline_kernelINS0_14default_configENS1_35adjacent_difference_config_selectorILb0ElEEZNS1_24adjacent_difference_implIS3_Lb0ELb0EPlS7_ZN2at6native12_GLOBAL__N_124unique_dim_cuda_templateIfEESt5tupleIJNS8_6TensorESD_SD_EERKSD_lbbbEUlllE1_EE10hipError_tPvRmT2_T3_mT4_P12ihipStream_tbEUlT_E_NS1_11comp_targetILNS1_3genE8ELNS1_11target_archE1030ELNS1_3gpuE2ELNS1_3repE0EEENS1_30default_config_static_selectorELNS0_4arch9wavefront6targetE0EEEvT1_.num_agpr, 0
	.set _ZN7rocprim17ROCPRIM_400000_NS6detail17trampoline_kernelINS0_14default_configENS1_35adjacent_difference_config_selectorILb0ElEEZNS1_24adjacent_difference_implIS3_Lb0ELb0EPlS7_ZN2at6native12_GLOBAL__N_124unique_dim_cuda_templateIfEESt5tupleIJNS8_6TensorESD_SD_EERKSD_lbbbEUlllE1_EE10hipError_tPvRmT2_T3_mT4_P12ihipStream_tbEUlT_E_NS1_11comp_targetILNS1_3genE8ELNS1_11target_archE1030ELNS1_3gpuE2ELNS1_3repE0EEENS1_30default_config_static_selectorELNS0_4arch9wavefront6targetE0EEEvT1_.numbered_sgpr, 0
	.set _ZN7rocprim17ROCPRIM_400000_NS6detail17trampoline_kernelINS0_14default_configENS1_35adjacent_difference_config_selectorILb0ElEEZNS1_24adjacent_difference_implIS3_Lb0ELb0EPlS7_ZN2at6native12_GLOBAL__N_124unique_dim_cuda_templateIfEESt5tupleIJNS8_6TensorESD_SD_EERKSD_lbbbEUlllE1_EE10hipError_tPvRmT2_T3_mT4_P12ihipStream_tbEUlT_E_NS1_11comp_targetILNS1_3genE8ELNS1_11target_archE1030ELNS1_3gpuE2ELNS1_3repE0EEENS1_30default_config_static_selectorELNS0_4arch9wavefront6targetE0EEEvT1_.num_named_barrier, 0
	.set _ZN7rocprim17ROCPRIM_400000_NS6detail17trampoline_kernelINS0_14default_configENS1_35adjacent_difference_config_selectorILb0ElEEZNS1_24adjacent_difference_implIS3_Lb0ELb0EPlS7_ZN2at6native12_GLOBAL__N_124unique_dim_cuda_templateIfEESt5tupleIJNS8_6TensorESD_SD_EERKSD_lbbbEUlllE1_EE10hipError_tPvRmT2_T3_mT4_P12ihipStream_tbEUlT_E_NS1_11comp_targetILNS1_3genE8ELNS1_11target_archE1030ELNS1_3gpuE2ELNS1_3repE0EEENS1_30default_config_static_selectorELNS0_4arch9wavefront6targetE0EEEvT1_.private_seg_size, 0
	.set _ZN7rocprim17ROCPRIM_400000_NS6detail17trampoline_kernelINS0_14default_configENS1_35adjacent_difference_config_selectorILb0ElEEZNS1_24adjacent_difference_implIS3_Lb0ELb0EPlS7_ZN2at6native12_GLOBAL__N_124unique_dim_cuda_templateIfEESt5tupleIJNS8_6TensorESD_SD_EERKSD_lbbbEUlllE1_EE10hipError_tPvRmT2_T3_mT4_P12ihipStream_tbEUlT_E_NS1_11comp_targetILNS1_3genE8ELNS1_11target_archE1030ELNS1_3gpuE2ELNS1_3repE0EEENS1_30default_config_static_selectorELNS0_4arch9wavefront6targetE0EEEvT1_.uses_vcc, 0
	.set _ZN7rocprim17ROCPRIM_400000_NS6detail17trampoline_kernelINS0_14default_configENS1_35adjacent_difference_config_selectorILb0ElEEZNS1_24adjacent_difference_implIS3_Lb0ELb0EPlS7_ZN2at6native12_GLOBAL__N_124unique_dim_cuda_templateIfEESt5tupleIJNS8_6TensorESD_SD_EERKSD_lbbbEUlllE1_EE10hipError_tPvRmT2_T3_mT4_P12ihipStream_tbEUlT_E_NS1_11comp_targetILNS1_3genE8ELNS1_11target_archE1030ELNS1_3gpuE2ELNS1_3repE0EEENS1_30default_config_static_selectorELNS0_4arch9wavefront6targetE0EEEvT1_.uses_flat_scratch, 0
	.set _ZN7rocprim17ROCPRIM_400000_NS6detail17trampoline_kernelINS0_14default_configENS1_35adjacent_difference_config_selectorILb0ElEEZNS1_24adjacent_difference_implIS3_Lb0ELb0EPlS7_ZN2at6native12_GLOBAL__N_124unique_dim_cuda_templateIfEESt5tupleIJNS8_6TensorESD_SD_EERKSD_lbbbEUlllE1_EE10hipError_tPvRmT2_T3_mT4_P12ihipStream_tbEUlT_E_NS1_11comp_targetILNS1_3genE8ELNS1_11target_archE1030ELNS1_3gpuE2ELNS1_3repE0EEENS1_30default_config_static_selectorELNS0_4arch9wavefront6targetE0EEEvT1_.has_dyn_sized_stack, 0
	.set _ZN7rocprim17ROCPRIM_400000_NS6detail17trampoline_kernelINS0_14default_configENS1_35adjacent_difference_config_selectorILb0ElEEZNS1_24adjacent_difference_implIS3_Lb0ELb0EPlS7_ZN2at6native12_GLOBAL__N_124unique_dim_cuda_templateIfEESt5tupleIJNS8_6TensorESD_SD_EERKSD_lbbbEUlllE1_EE10hipError_tPvRmT2_T3_mT4_P12ihipStream_tbEUlT_E_NS1_11comp_targetILNS1_3genE8ELNS1_11target_archE1030ELNS1_3gpuE2ELNS1_3repE0EEENS1_30default_config_static_selectorELNS0_4arch9wavefront6targetE0EEEvT1_.has_recursion, 0
	.set _ZN7rocprim17ROCPRIM_400000_NS6detail17trampoline_kernelINS0_14default_configENS1_35adjacent_difference_config_selectorILb0ElEEZNS1_24adjacent_difference_implIS3_Lb0ELb0EPlS7_ZN2at6native12_GLOBAL__N_124unique_dim_cuda_templateIfEESt5tupleIJNS8_6TensorESD_SD_EERKSD_lbbbEUlllE1_EE10hipError_tPvRmT2_T3_mT4_P12ihipStream_tbEUlT_E_NS1_11comp_targetILNS1_3genE8ELNS1_11target_archE1030ELNS1_3gpuE2ELNS1_3repE0EEENS1_30default_config_static_selectorELNS0_4arch9wavefront6targetE0EEEvT1_.has_indirect_call, 0
	.section	.AMDGPU.csdata,"",@progbits
; Kernel info:
; codeLenInByte = 0
; TotalNumSgprs: 0
; NumVgprs: 0
; ScratchSize: 0
; MemoryBound: 0
; FloatMode: 240
; IeeeMode: 1
; LDSByteSize: 0 bytes/workgroup (compile time only)
; SGPRBlocks: 0
; VGPRBlocks: 0
; NumSGPRsForWavesPerEU: 1
; NumVGPRsForWavesPerEU: 1
; NamedBarCnt: 0
; Occupancy: 16
; WaveLimiterHint : 0
; COMPUTE_PGM_RSRC2:SCRATCH_EN: 0
; COMPUTE_PGM_RSRC2:USER_SGPR: 2
; COMPUTE_PGM_RSRC2:TRAP_HANDLER: 0
; COMPUTE_PGM_RSRC2:TGID_X_EN: 1
; COMPUTE_PGM_RSRC2:TGID_Y_EN: 0
; COMPUTE_PGM_RSRC2:TGID_Z_EN: 0
; COMPUTE_PGM_RSRC2:TIDIG_COMP_CNT: 0
	.section	.text._ZN7rocprim17ROCPRIM_400000_NS6detail17trampoline_kernelINS0_14default_configENS1_25transform_config_selectorIlLb0EEEZNS1_14transform_implILb0ES3_S5_NS0_18transform_iteratorINS0_17counting_iteratorImlEEZNS1_24adjacent_difference_implIS3_Lb1ELb0EPlSB_ZN2at6native12_GLOBAL__N_124unique_dim_cuda_templateIfEESt5tupleIJNSC_6TensorESH_SH_EERKSH_lbbbEUlllE1_EE10hipError_tPvRmT2_T3_mT4_P12ihipStream_tbEUlmE_lEESB_NS0_8identityIvEEEESM_SP_SQ_mSR_ST_bEUlT_E_NS1_11comp_targetILNS1_3genE0ELNS1_11target_archE4294967295ELNS1_3gpuE0ELNS1_3repE0EEENS1_30default_config_static_selectorELNS0_4arch9wavefront6targetE0EEEvT1_,"axG",@progbits,_ZN7rocprim17ROCPRIM_400000_NS6detail17trampoline_kernelINS0_14default_configENS1_25transform_config_selectorIlLb0EEEZNS1_14transform_implILb0ES3_S5_NS0_18transform_iteratorINS0_17counting_iteratorImlEEZNS1_24adjacent_difference_implIS3_Lb1ELb0EPlSB_ZN2at6native12_GLOBAL__N_124unique_dim_cuda_templateIfEESt5tupleIJNSC_6TensorESH_SH_EERKSH_lbbbEUlllE1_EE10hipError_tPvRmT2_T3_mT4_P12ihipStream_tbEUlmE_lEESB_NS0_8identityIvEEEESM_SP_SQ_mSR_ST_bEUlT_E_NS1_11comp_targetILNS1_3genE0ELNS1_11target_archE4294967295ELNS1_3gpuE0ELNS1_3repE0EEENS1_30default_config_static_selectorELNS0_4arch9wavefront6targetE0EEEvT1_,comdat
	.globl	_ZN7rocprim17ROCPRIM_400000_NS6detail17trampoline_kernelINS0_14default_configENS1_25transform_config_selectorIlLb0EEEZNS1_14transform_implILb0ES3_S5_NS0_18transform_iteratorINS0_17counting_iteratorImlEEZNS1_24adjacent_difference_implIS3_Lb1ELb0EPlSB_ZN2at6native12_GLOBAL__N_124unique_dim_cuda_templateIfEESt5tupleIJNSC_6TensorESH_SH_EERKSH_lbbbEUlllE1_EE10hipError_tPvRmT2_T3_mT4_P12ihipStream_tbEUlmE_lEESB_NS0_8identityIvEEEESM_SP_SQ_mSR_ST_bEUlT_E_NS1_11comp_targetILNS1_3genE0ELNS1_11target_archE4294967295ELNS1_3gpuE0ELNS1_3repE0EEENS1_30default_config_static_selectorELNS0_4arch9wavefront6targetE0EEEvT1_ ; -- Begin function _ZN7rocprim17ROCPRIM_400000_NS6detail17trampoline_kernelINS0_14default_configENS1_25transform_config_selectorIlLb0EEEZNS1_14transform_implILb0ES3_S5_NS0_18transform_iteratorINS0_17counting_iteratorImlEEZNS1_24adjacent_difference_implIS3_Lb1ELb0EPlSB_ZN2at6native12_GLOBAL__N_124unique_dim_cuda_templateIfEESt5tupleIJNSC_6TensorESH_SH_EERKSH_lbbbEUlllE1_EE10hipError_tPvRmT2_T3_mT4_P12ihipStream_tbEUlmE_lEESB_NS0_8identityIvEEEESM_SP_SQ_mSR_ST_bEUlT_E_NS1_11comp_targetILNS1_3genE0ELNS1_11target_archE4294967295ELNS1_3gpuE0ELNS1_3repE0EEENS1_30default_config_static_selectorELNS0_4arch9wavefront6targetE0EEEvT1_
	.p2align	8
	.type	_ZN7rocprim17ROCPRIM_400000_NS6detail17trampoline_kernelINS0_14default_configENS1_25transform_config_selectorIlLb0EEEZNS1_14transform_implILb0ES3_S5_NS0_18transform_iteratorINS0_17counting_iteratorImlEEZNS1_24adjacent_difference_implIS3_Lb1ELb0EPlSB_ZN2at6native12_GLOBAL__N_124unique_dim_cuda_templateIfEESt5tupleIJNSC_6TensorESH_SH_EERKSH_lbbbEUlllE1_EE10hipError_tPvRmT2_T3_mT4_P12ihipStream_tbEUlmE_lEESB_NS0_8identityIvEEEESM_SP_SQ_mSR_ST_bEUlT_E_NS1_11comp_targetILNS1_3genE0ELNS1_11target_archE4294967295ELNS1_3gpuE0ELNS1_3repE0EEENS1_30default_config_static_selectorELNS0_4arch9wavefront6targetE0EEEvT1_,@function
_ZN7rocprim17ROCPRIM_400000_NS6detail17trampoline_kernelINS0_14default_configENS1_25transform_config_selectorIlLb0EEEZNS1_14transform_implILb0ES3_S5_NS0_18transform_iteratorINS0_17counting_iteratorImlEEZNS1_24adjacent_difference_implIS3_Lb1ELb0EPlSB_ZN2at6native12_GLOBAL__N_124unique_dim_cuda_templateIfEESt5tupleIJNSC_6TensorESH_SH_EERKSH_lbbbEUlllE1_EE10hipError_tPvRmT2_T3_mT4_P12ihipStream_tbEUlmE_lEESB_NS0_8identityIvEEEESM_SP_SQ_mSR_ST_bEUlT_E_NS1_11comp_targetILNS1_3genE0ELNS1_11target_archE4294967295ELNS1_3gpuE0ELNS1_3repE0EEENS1_30default_config_static_selectorELNS0_4arch9wavefront6targetE0EEEvT1_: ; @_ZN7rocprim17ROCPRIM_400000_NS6detail17trampoline_kernelINS0_14default_configENS1_25transform_config_selectorIlLb0EEEZNS1_14transform_implILb0ES3_S5_NS0_18transform_iteratorINS0_17counting_iteratorImlEEZNS1_24adjacent_difference_implIS3_Lb1ELb0EPlSB_ZN2at6native12_GLOBAL__N_124unique_dim_cuda_templateIfEESt5tupleIJNSC_6TensorESH_SH_EERKSH_lbbbEUlllE1_EE10hipError_tPvRmT2_T3_mT4_P12ihipStream_tbEUlmE_lEESB_NS0_8identityIvEEEESM_SP_SQ_mSR_ST_bEUlT_E_NS1_11comp_targetILNS1_3genE0ELNS1_11target_archE4294967295ELNS1_3gpuE0ELNS1_3repE0EEENS1_30default_config_static_selectorELNS0_4arch9wavefront6targetE0EEEvT1_
; %bb.0:
	s_clause 0x1
	s_load_b32 s2, s[0:1], 0x38
	s_load_b32 s3, s[0:1], 0x20
	s_bfe_u32 s4, ttmp6, 0x4000c
	s_and_b32 s5, ttmp6, 15
	s_add_co_i32 s4, s4, 1
	s_getreg_b32 s6, hwreg(HW_REG_IB_STS2, 6, 4)
	s_mul_i32 s4, ttmp9, s4
	s_delay_alu instid0(SALU_CYCLE_1)
	s_add_co_i32 s5, s5, s4
	s_cmp_eq_u32 s6, 0
	s_cselect_b32 s4, ttmp9, s5
	s_wait_kmcnt 0x0
	s_add_co_i32 s5, s2, -1
	s_lshl_b32 s2, s4, 7
	s_cmp_lg_u32 s4, s5
	s_cselect_b32 s4, -1, 0
	s_sub_co_i32 s3, s3, s2
	s_delay_alu instid0(SALU_CYCLE_1) | instskip(SKIP_2) | instid1(SALU_CYCLE_1)
	v_cmp_gt_u32_e32 vcc_lo, s3, v0
	s_mov_b32 s3, 0
	s_or_b32 s4, s4, vcc_lo
	s_and_saveexec_b32 s5, s4
	s_cbranch_execz .LBB912_2
; %bb.1:
	s_clause 0x3
	s_load_b64 s[8:9], s[0:1], 0x18
	s_load_b128 s[4:7], s[0:1], 0x0
	s_load_b32 s10, s[0:1], 0x10
	s_load_b64 s[12:13], s[0:1], 0x28
	v_mov_b32_e32 v1, 0
	s_mov_b32 s11, s3
	s_wait_kmcnt 0x0
	s_add_nc_u64 s[0:1], s[4:5], s[8:9]
	s_delay_alu instid0(SALU_CYCLE_1) | instskip(SKIP_3) | instid1(SALU_CYCLE_1)
	s_add_nc_u64 s[0:1], s[0:1], s[2:3]
	s_lshl_b64 s[2:3], s[2:3], 3
	v_add_nc_u64_e32 v[2:3], s[0:1], v[0:1]
	s_lshl_b64 s[0:1], s[8:9], 3
	s_add_nc_u64 s[0:1], s[12:13], s[0:1]
	s_delay_alu instid0(SALU_CYCLE_1) | instskip(NEXT) | instid1(VALU_DEP_1)
	s_add_nc_u64 s[0:1], s[0:1], s[2:3]
	v_mul_u64_e32 v[2:3], s[10:11], v[2:3]
	s_delay_alu instid0(VALU_DEP_1)
	v_lshl_add_u64 v[2:3], v[2:3], 3, s[6:7]
	global_load_b64 v[2:3], v[2:3], off
	s_wait_loadcnt 0x0
	global_store_b64 v0, v[2:3], s[0:1] scale_offset
.LBB912_2:
	s_endpgm
	.section	.rodata,"a",@progbits
	.p2align	6, 0x0
	.amdhsa_kernel _ZN7rocprim17ROCPRIM_400000_NS6detail17trampoline_kernelINS0_14default_configENS1_25transform_config_selectorIlLb0EEEZNS1_14transform_implILb0ES3_S5_NS0_18transform_iteratorINS0_17counting_iteratorImlEEZNS1_24adjacent_difference_implIS3_Lb1ELb0EPlSB_ZN2at6native12_GLOBAL__N_124unique_dim_cuda_templateIfEESt5tupleIJNSC_6TensorESH_SH_EERKSH_lbbbEUlllE1_EE10hipError_tPvRmT2_T3_mT4_P12ihipStream_tbEUlmE_lEESB_NS0_8identityIvEEEESM_SP_SQ_mSR_ST_bEUlT_E_NS1_11comp_targetILNS1_3genE0ELNS1_11target_archE4294967295ELNS1_3gpuE0ELNS1_3repE0EEENS1_30default_config_static_selectorELNS0_4arch9wavefront6targetE0EEEvT1_
		.amdhsa_group_segment_fixed_size 0
		.amdhsa_private_segment_fixed_size 0
		.amdhsa_kernarg_size 312
		.amdhsa_user_sgpr_count 2
		.amdhsa_user_sgpr_dispatch_ptr 0
		.amdhsa_user_sgpr_queue_ptr 0
		.amdhsa_user_sgpr_kernarg_segment_ptr 1
		.amdhsa_user_sgpr_dispatch_id 0
		.amdhsa_user_sgpr_kernarg_preload_length 0
		.amdhsa_user_sgpr_kernarg_preload_offset 0
		.amdhsa_user_sgpr_private_segment_size 0
		.amdhsa_wavefront_size32 1
		.amdhsa_uses_dynamic_stack 0
		.amdhsa_enable_private_segment 0
		.amdhsa_system_sgpr_workgroup_id_x 1
		.amdhsa_system_sgpr_workgroup_id_y 0
		.amdhsa_system_sgpr_workgroup_id_z 0
		.amdhsa_system_sgpr_workgroup_info 0
		.amdhsa_system_vgpr_workitem_id 0
		.amdhsa_next_free_vgpr 4
		.amdhsa_next_free_sgpr 14
		.amdhsa_named_barrier_count 0
		.amdhsa_reserve_vcc 1
		.amdhsa_float_round_mode_32 0
		.amdhsa_float_round_mode_16_64 0
		.amdhsa_float_denorm_mode_32 3
		.amdhsa_float_denorm_mode_16_64 3
		.amdhsa_fp16_overflow 0
		.amdhsa_memory_ordered 1
		.amdhsa_forward_progress 1
		.amdhsa_inst_pref_size 2
		.amdhsa_round_robin_scheduling 0
		.amdhsa_exception_fp_ieee_invalid_op 0
		.amdhsa_exception_fp_denorm_src 0
		.amdhsa_exception_fp_ieee_div_zero 0
		.amdhsa_exception_fp_ieee_overflow 0
		.amdhsa_exception_fp_ieee_underflow 0
		.amdhsa_exception_fp_ieee_inexact 0
		.amdhsa_exception_int_div_zero 0
	.end_amdhsa_kernel
	.section	.text._ZN7rocprim17ROCPRIM_400000_NS6detail17trampoline_kernelINS0_14default_configENS1_25transform_config_selectorIlLb0EEEZNS1_14transform_implILb0ES3_S5_NS0_18transform_iteratorINS0_17counting_iteratorImlEEZNS1_24adjacent_difference_implIS3_Lb1ELb0EPlSB_ZN2at6native12_GLOBAL__N_124unique_dim_cuda_templateIfEESt5tupleIJNSC_6TensorESH_SH_EERKSH_lbbbEUlllE1_EE10hipError_tPvRmT2_T3_mT4_P12ihipStream_tbEUlmE_lEESB_NS0_8identityIvEEEESM_SP_SQ_mSR_ST_bEUlT_E_NS1_11comp_targetILNS1_3genE0ELNS1_11target_archE4294967295ELNS1_3gpuE0ELNS1_3repE0EEENS1_30default_config_static_selectorELNS0_4arch9wavefront6targetE0EEEvT1_,"axG",@progbits,_ZN7rocprim17ROCPRIM_400000_NS6detail17trampoline_kernelINS0_14default_configENS1_25transform_config_selectorIlLb0EEEZNS1_14transform_implILb0ES3_S5_NS0_18transform_iteratorINS0_17counting_iteratorImlEEZNS1_24adjacent_difference_implIS3_Lb1ELb0EPlSB_ZN2at6native12_GLOBAL__N_124unique_dim_cuda_templateIfEESt5tupleIJNSC_6TensorESH_SH_EERKSH_lbbbEUlllE1_EE10hipError_tPvRmT2_T3_mT4_P12ihipStream_tbEUlmE_lEESB_NS0_8identityIvEEEESM_SP_SQ_mSR_ST_bEUlT_E_NS1_11comp_targetILNS1_3genE0ELNS1_11target_archE4294967295ELNS1_3gpuE0ELNS1_3repE0EEENS1_30default_config_static_selectorELNS0_4arch9wavefront6targetE0EEEvT1_,comdat
.Lfunc_end912:
	.size	_ZN7rocprim17ROCPRIM_400000_NS6detail17trampoline_kernelINS0_14default_configENS1_25transform_config_selectorIlLb0EEEZNS1_14transform_implILb0ES3_S5_NS0_18transform_iteratorINS0_17counting_iteratorImlEEZNS1_24adjacent_difference_implIS3_Lb1ELb0EPlSB_ZN2at6native12_GLOBAL__N_124unique_dim_cuda_templateIfEESt5tupleIJNSC_6TensorESH_SH_EERKSH_lbbbEUlllE1_EE10hipError_tPvRmT2_T3_mT4_P12ihipStream_tbEUlmE_lEESB_NS0_8identityIvEEEESM_SP_SQ_mSR_ST_bEUlT_E_NS1_11comp_targetILNS1_3genE0ELNS1_11target_archE4294967295ELNS1_3gpuE0ELNS1_3repE0EEENS1_30default_config_static_selectorELNS0_4arch9wavefront6targetE0EEEvT1_, .Lfunc_end912-_ZN7rocprim17ROCPRIM_400000_NS6detail17trampoline_kernelINS0_14default_configENS1_25transform_config_selectorIlLb0EEEZNS1_14transform_implILb0ES3_S5_NS0_18transform_iteratorINS0_17counting_iteratorImlEEZNS1_24adjacent_difference_implIS3_Lb1ELb0EPlSB_ZN2at6native12_GLOBAL__N_124unique_dim_cuda_templateIfEESt5tupleIJNSC_6TensorESH_SH_EERKSH_lbbbEUlllE1_EE10hipError_tPvRmT2_T3_mT4_P12ihipStream_tbEUlmE_lEESB_NS0_8identityIvEEEESM_SP_SQ_mSR_ST_bEUlT_E_NS1_11comp_targetILNS1_3genE0ELNS1_11target_archE4294967295ELNS1_3gpuE0ELNS1_3repE0EEENS1_30default_config_static_selectorELNS0_4arch9wavefront6targetE0EEEvT1_
                                        ; -- End function
	.set _ZN7rocprim17ROCPRIM_400000_NS6detail17trampoline_kernelINS0_14default_configENS1_25transform_config_selectorIlLb0EEEZNS1_14transform_implILb0ES3_S5_NS0_18transform_iteratorINS0_17counting_iteratorImlEEZNS1_24adjacent_difference_implIS3_Lb1ELb0EPlSB_ZN2at6native12_GLOBAL__N_124unique_dim_cuda_templateIfEESt5tupleIJNSC_6TensorESH_SH_EERKSH_lbbbEUlllE1_EE10hipError_tPvRmT2_T3_mT4_P12ihipStream_tbEUlmE_lEESB_NS0_8identityIvEEEESM_SP_SQ_mSR_ST_bEUlT_E_NS1_11comp_targetILNS1_3genE0ELNS1_11target_archE4294967295ELNS1_3gpuE0ELNS1_3repE0EEENS1_30default_config_static_selectorELNS0_4arch9wavefront6targetE0EEEvT1_.num_vgpr, 4
	.set _ZN7rocprim17ROCPRIM_400000_NS6detail17trampoline_kernelINS0_14default_configENS1_25transform_config_selectorIlLb0EEEZNS1_14transform_implILb0ES3_S5_NS0_18transform_iteratorINS0_17counting_iteratorImlEEZNS1_24adjacent_difference_implIS3_Lb1ELb0EPlSB_ZN2at6native12_GLOBAL__N_124unique_dim_cuda_templateIfEESt5tupleIJNSC_6TensorESH_SH_EERKSH_lbbbEUlllE1_EE10hipError_tPvRmT2_T3_mT4_P12ihipStream_tbEUlmE_lEESB_NS0_8identityIvEEEESM_SP_SQ_mSR_ST_bEUlT_E_NS1_11comp_targetILNS1_3genE0ELNS1_11target_archE4294967295ELNS1_3gpuE0ELNS1_3repE0EEENS1_30default_config_static_selectorELNS0_4arch9wavefront6targetE0EEEvT1_.num_agpr, 0
	.set _ZN7rocprim17ROCPRIM_400000_NS6detail17trampoline_kernelINS0_14default_configENS1_25transform_config_selectorIlLb0EEEZNS1_14transform_implILb0ES3_S5_NS0_18transform_iteratorINS0_17counting_iteratorImlEEZNS1_24adjacent_difference_implIS3_Lb1ELb0EPlSB_ZN2at6native12_GLOBAL__N_124unique_dim_cuda_templateIfEESt5tupleIJNSC_6TensorESH_SH_EERKSH_lbbbEUlllE1_EE10hipError_tPvRmT2_T3_mT4_P12ihipStream_tbEUlmE_lEESB_NS0_8identityIvEEEESM_SP_SQ_mSR_ST_bEUlT_E_NS1_11comp_targetILNS1_3genE0ELNS1_11target_archE4294967295ELNS1_3gpuE0ELNS1_3repE0EEENS1_30default_config_static_selectorELNS0_4arch9wavefront6targetE0EEEvT1_.numbered_sgpr, 14
	.set _ZN7rocprim17ROCPRIM_400000_NS6detail17trampoline_kernelINS0_14default_configENS1_25transform_config_selectorIlLb0EEEZNS1_14transform_implILb0ES3_S5_NS0_18transform_iteratorINS0_17counting_iteratorImlEEZNS1_24adjacent_difference_implIS3_Lb1ELb0EPlSB_ZN2at6native12_GLOBAL__N_124unique_dim_cuda_templateIfEESt5tupleIJNSC_6TensorESH_SH_EERKSH_lbbbEUlllE1_EE10hipError_tPvRmT2_T3_mT4_P12ihipStream_tbEUlmE_lEESB_NS0_8identityIvEEEESM_SP_SQ_mSR_ST_bEUlT_E_NS1_11comp_targetILNS1_3genE0ELNS1_11target_archE4294967295ELNS1_3gpuE0ELNS1_3repE0EEENS1_30default_config_static_selectorELNS0_4arch9wavefront6targetE0EEEvT1_.num_named_barrier, 0
	.set _ZN7rocprim17ROCPRIM_400000_NS6detail17trampoline_kernelINS0_14default_configENS1_25transform_config_selectorIlLb0EEEZNS1_14transform_implILb0ES3_S5_NS0_18transform_iteratorINS0_17counting_iteratorImlEEZNS1_24adjacent_difference_implIS3_Lb1ELb0EPlSB_ZN2at6native12_GLOBAL__N_124unique_dim_cuda_templateIfEESt5tupleIJNSC_6TensorESH_SH_EERKSH_lbbbEUlllE1_EE10hipError_tPvRmT2_T3_mT4_P12ihipStream_tbEUlmE_lEESB_NS0_8identityIvEEEESM_SP_SQ_mSR_ST_bEUlT_E_NS1_11comp_targetILNS1_3genE0ELNS1_11target_archE4294967295ELNS1_3gpuE0ELNS1_3repE0EEENS1_30default_config_static_selectorELNS0_4arch9wavefront6targetE0EEEvT1_.private_seg_size, 0
	.set _ZN7rocprim17ROCPRIM_400000_NS6detail17trampoline_kernelINS0_14default_configENS1_25transform_config_selectorIlLb0EEEZNS1_14transform_implILb0ES3_S5_NS0_18transform_iteratorINS0_17counting_iteratorImlEEZNS1_24adjacent_difference_implIS3_Lb1ELb0EPlSB_ZN2at6native12_GLOBAL__N_124unique_dim_cuda_templateIfEESt5tupleIJNSC_6TensorESH_SH_EERKSH_lbbbEUlllE1_EE10hipError_tPvRmT2_T3_mT4_P12ihipStream_tbEUlmE_lEESB_NS0_8identityIvEEEESM_SP_SQ_mSR_ST_bEUlT_E_NS1_11comp_targetILNS1_3genE0ELNS1_11target_archE4294967295ELNS1_3gpuE0ELNS1_3repE0EEENS1_30default_config_static_selectorELNS0_4arch9wavefront6targetE0EEEvT1_.uses_vcc, 1
	.set _ZN7rocprim17ROCPRIM_400000_NS6detail17trampoline_kernelINS0_14default_configENS1_25transform_config_selectorIlLb0EEEZNS1_14transform_implILb0ES3_S5_NS0_18transform_iteratorINS0_17counting_iteratorImlEEZNS1_24adjacent_difference_implIS3_Lb1ELb0EPlSB_ZN2at6native12_GLOBAL__N_124unique_dim_cuda_templateIfEESt5tupleIJNSC_6TensorESH_SH_EERKSH_lbbbEUlllE1_EE10hipError_tPvRmT2_T3_mT4_P12ihipStream_tbEUlmE_lEESB_NS0_8identityIvEEEESM_SP_SQ_mSR_ST_bEUlT_E_NS1_11comp_targetILNS1_3genE0ELNS1_11target_archE4294967295ELNS1_3gpuE0ELNS1_3repE0EEENS1_30default_config_static_selectorELNS0_4arch9wavefront6targetE0EEEvT1_.uses_flat_scratch, 0
	.set _ZN7rocprim17ROCPRIM_400000_NS6detail17trampoline_kernelINS0_14default_configENS1_25transform_config_selectorIlLb0EEEZNS1_14transform_implILb0ES3_S5_NS0_18transform_iteratorINS0_17counting_iteratorImlEEZNS1_24adjacent_difference_implIS3_Lb1ELb0EPlSB_ZN2at6native12_GLOBAL__N_124unique_dim_cuda_templateIfEESt5tupleIJNSC_6TensorESH_SH_EERKSH_lbbbEUlllE1_EE10hipError_tPvRmT2_T3_mT4_P12ihipStream_tbEUlmE_lEESB_NS0_8identityIvEEEESM_SP_SQ_mSR_ST_bEUlT_E_NS1_11comp_targetILNS1_3genE0ELNS1_11target_archE4294967295ELNS1_3gpuE0ELNS1_3repE0EEENS1_30default_config_static_selectorELNS0_4arch9wavefront6targetE0EEEvT1_.has_dyn_sized_stack, 0
	.set _ZN7rocprim17ROCPRIM_400000_NS6detail17trampoline_kernelINS0_14default_configENS1_25transform_config_selectorIlLb0EEEZNS1_14transform_implILb0ES3_S5_NS0_18transform_iteratorINS0_17counting_iteratorImlEEZNS1_24adjacent_difference_implIS3_Lb1ELb0EPlSB_ZN2at6native12_GLOBAL__N_124unique_dim_cuda_templateIfEESt5tupleIJNSC_6TensorESH_SH_EERKSH_lbbbEUlllE1_EE10hipError_tPvRmT2_T3_mT4_P12ihipStream_tbEUlmE_lEESB_NS0_8identityIvEEEESM_SP_SQ_mSR_ST_bEUlT_E_NS1_11comp_targetILNS1_3genE0ELNS1_11target_archE4294967295ELNS1_3gpuE0ELNS1_3repE0EEENS1_30default_config_static_selectorELNS0_4arch9wavefront6targetE0EEEvT1_.has_recursion, 0
	.set _ZN7rocprim17ROCPRIM_400000_NS6detail17trampoline_kernelINS0_14default_configENS1_25transform_config_selectorIlLb0EEEZNS1_14transform_implILb0ES3_S5_NS0_18transform_iteratorINS0_17counting_iteratorImlEEZNS1_24adjacent_difference_implIS3_Lb1ELb0EPlSB_ZN2at6native12_GLOBAL__N_124unique_dim_cuda_templateIfEESt5tupleIJNSC_6TensorESH_SH_EERKSH_lbbbEUlllE1_EE10hipError_tPvRmT2_T3_mT4_P12ihipStream_tbEUlmE_lEESB_NS0_8identityIvEEEESM_SP_SQ_mSR_ST_bEUlT_E_NS1_11comp_targetILNS1_3genE0ELNS1_11target_archE4294967295ELNS1_3gpuE0ELNS1_3repE0EEENS1_30default_config_static_selectorELNS0_4arch9wavefront6targetE0EEEvT1_.has_indirect_call, 0
	.section	.AMDGPU.csdata,"",@progbits
; Kernel info:
; codeLenInByte = 240
; TotalNumSgprs: 16
; NumVgprs: 4
; ScratchSize: 0
; MemoryBound: 0
; FloatMode: 240
; IeeeMode: 1
; LDSByteSize: 0 bytes/workgroup (compile time only)
; SGPRBlocks: 0
; VGPRBlocks: 0
; NumSGPRsForWavesPerEU: 16
; NumVGPRsForWavesPerEU: 4
; NamedBarCnt: 0
; Occupancy: 16
; WaveLimiterHint : 0
; COMPUTE_PGM_RSRC2:SCRATCH_EN: 0
; COMPUTE_PGM_RSRC2:USER_SGPR: 2
; COMPUTE_PGM_RSRC2:TRAP_HANDLER: 0
; COMPUTE_PGM_RSRC2:TGID_X_EN: 1
; COMPUTE_PGM_RSRC2:TGID_Y_EN: 0
; COMPUTE_PGM_RSRC2:TGID_Z_EN: 0
; COMPUTE_PGM_RSRC2:TIDIG_COMP_CNT: 0
	.section	.text._ZN7rocprim17ROCPRIM_400000_NS6detail17trampoline_kernelINS0_14default_configENS1_25transform_config_selectorIlLb0EEEZNS1_14transform_implILb0ES3_S5_NS0_18transform_iteratorINS0_17counting_iteratorImlEEZNS1_24adjacent_difference_implIS3_Lb1ELb0EPlSB_ZN2at6native12_GLOBAL__N_124unique_dim_cuda_templateIfEESt5tupleIJNSC_6TensorESH_SH_EERKSH_lbbbEUlllE1_EE10hipError_tPvRmT2_T3_mT4_P12ihipStream_tbEUlmE_lEESB_NS0_8identityIvEEEESM_SP_SQ_mSR_ST_bEUlT_E_NS1_11comp_targetILNS1_3genE5ELNS1_11target_archE942ELNS1_3gpuE9ELNS1_3repE0EEENS1_30default_config_static_selectorELNS0_4arch9wavefront6targetE0EEEvT1_,"axG",@progbits,_ZN7rocprim17ROCPRIM_400000_NS6detail17trampoline_kernelINS0_14default_configENS1_25transform_config_selectorIlLb0EEEZNS1_14transform_implILb0ES3_S5_NS0_18transform_iteratorINS0_17counting_iteratorImlEEZNS1_24adjacent_difference_implIS3_Lb1ELb0EPlSB_ZN2at6native12_GLOBAL__N_124unique_dim_cuda_templateIfEESt5tupleIJNSC_6TensorESH_SH_EERKSH_lbbbEUlllE1_EE10hipError_tPvRmT2_T3_mT4_P12ihipStream_tbEUlmE_lEESB_NS0_8identityIvEEEESM_SP_SQ_mSR_ST_bEUlT_E_NS1_11comp_targetILNS1_3genE5ELNS1_11target_archE942ELNS1_3gpuE9ELNS1_3repE0EEENS1_30default_config_static_selectorELNS0_4arch9wavefront6targetE0EEEvT1_,comdat
	.globl	_ZN7rocprim17ROCPRIM_400000_NS6detail17trampoline_kernelINS0_14default_configENS1_25transform_config_selectorIlLb0EEEZNS1_14transform_implILb0ES3_S5_NS0_18transform_iteratorINS0_17counting_iteratorImlEEZNS1_24adjacent_difference_implIS3_Lb1ELb0EPlSB_ZN2at6native12_GLOBAL__N_124unique_dim_cuda_templateIfEESt5tupleIJNSC_6TensorESH_SH_EERKSH_lbbbEUlllE1_EE10hipError_tPvRmT2_T3_mT4_P12ihipStream_tbEUlmE_lEESB_NS0_8identityIvEEEESM_SP_SQ_mSR_ST_bEUlT_E_NS1_11comp_targetILNS1_3genE5ELNS1_11target_archE942ELNS1_3gpuE9ELNS1_3repE0EEENS1_30default_config_static_selectorELNS0_4arch9wavefront6targetE0EEEvT1_ ; -- Begin function _ZN7rocprim17ROCPRIM_400000_NS6detail17trampoline_kernelINS0_14default_configENS1_25transform_config_selectorIlLb0EEEZNS1_14transform_implILb0ES3_S5_NS0_18transform_iteratorINS0_17counting_iteratorImlEEZNS1_24adjacent_difference_implIS3_Lb1ELb0EPlSB_ZN2at6native12_GLOBAL__N_124unique_dim_cuda_templateIfEESt5tupleIJNSC_6TensorESH_SH_EERKSH_lbbbEUlllE1_EE10hipError_tPvRmT2_T3_mT4_P12ihipStream_tbEUlmE_lEESB_NS0_8identityIvEEEESM_SP_SQ_mSR_ST_bEUlT_E_NS1_11comp_targetILNS1_3genE5ELNS1_11target_archE942ELNS1_3gpuE9ELNS1_3repE0EEENS1_30default_config_static_selectorELNS0_4arch9wavefront6targetE0EEEvT1_
	.p2align	8
	.type	_ZN7rocprim17ROCPRIM_400000_NS6detail17trampoline_kernelINS0_14default_configENS1_25transform_config_selectorIlLb0EEEZNS1_14transform_implILb0ES3_S5_NS0_18transform_iteratorINS0_17counting_iteratorImlEEZNS1_24adjacent_difference_implIS3_Lb1ELb0EPlSB_ZN2at6native12_GLOBAL__N_124unique_dim_cuda_templateIfEESt5tupleIJNSC_6TensorESH_SH_EERKSH_lbbbEUlllE1_EE10hipError_tPvRmT2_T3_mT4_P12ihipStream_tbEUlmE_lEESB_NS0_8identityIvEEEESM_SP_SQ_mSR_ST_bEUlT_E_NS1_11comp_targetILNS1_3genE5ELNS1_11target_archE942ELNS1_3gpuE9ELNS1_3repE0EEENS1_30default_config_static_selectorELNS0_4arch9wavefront6targetE0EEEvT1_,@function
_ZN7rocprim17ROCPRIM_400000_NS6detail17trampoline_kernelINS0_14default_configENS1_25transform_config_selectorIlLb0EEEZNS1_14transform_implILb0ES3_S5_NS0_18transform_iteratorINS0_17counting_iteratorImlEEZNS1_24adjacent_difference_implIS3_Lb1ELb0EPlSB_ZN2at6native12_GLOBAL__N_124unique_dim_cuda_templateIfEESt5tupleIJNSC_6TensorESH_SH_EERKSH_lbbbEUlllE1_EE10hipError_tPvRmT2_T3_mT4_P12ihipStream_tbEUlmE_lEESB_NS0_8identityIvEEEESM_SP_SQ_mSR_ST_bEUlT_E_NS1_11comp_targetILNS1_3genE5ELNS1_11target_archE942ELNS1_3gpuE9ELNS1_3repE0EEENS1_30default_config_static_selectorELNS0_4arch9wavefront6targetE0EEEvT1_: ; @_ZN7rocprim17ROCPRIM_400000_NS6detail17trampoline_kernelINS0_14default_configENS1_25transform_config_selectorIlLb0EEEZNS1_14transform_implILb0ES3_S5_NS0_18transform_iteratorINS0_17counting_iteratorImlEEZNS1_24adjacent_difference_implIS3_Lb1ELb0EPlSB_ZN2at6native12_GLOBAL__N_124unique_dim_cuda_templateIfEESt5tupleIJNSC_6TensorESH_SH_EERKSH_lbbbEUlllE1_EE10hipError_tPvRmT2_T3_mT4_P12ihipStream_tbEUlmE_lEESB_NS0_8identityIvEEEESM_SP_SQ_mSR_ST_bEUlT_E_NS1_11comp_targetILNS1_3genE5ELNS1_11target_archE942ELNS1_3gpuE9ELNS1_3repE0EEENS1_30default_config_static_selectorELNS0_4arch9wavefront6targetE0EEEvT1_
; %bb.0:
	.section	.rodata,"a",@progbits
	.p2align	6, 0x0
	.amdhsa_kernel _ZN7rocprim17ROCPRIM_400000_NS6detail17trampoline_kernelINS0_14default_configENS1_25transform_config_selectorIlLb0EEEZNS1_14transform_implILb0ES3_S5_NS0_18transform_iteratorINS0_17counting_iteratorImlEEZNS1_24adjacent_difference_implIS3_Lb1ELb0EPlSB_ZN2at6native12_GLOBAL__N_124unique_dim_cuda_templateIfEESt5tupleIJNSC_6TensorESH_SH_EERKSH_lbbbEUlllE1_EE10hipError_tPvRmT2_T3_mT4_P12ihipStream_tbEUlmE_lEESB_NS0_8identityIvEEEESM_SP_SQ_mSR_ST_bEUlT_E_NS1_11comp_targetILNS1_3genE5ELNS1_11target_archE942ELNS1_3gpuE9ELNS1_3repE0EEENS1_30default_config_static_selectorELNS0_4arch9wavefront6targetE0EEEvT1_
		.amdhsa_group_segment_fixed_size 0
		.amdhsa_private_segment_fixed_size 0
		.amdhsa_kernarg_size 56
		.amdhsa_user_sgpr_count 2
		.amdhsa_user_sgpr_dispatch_ptr 0
		.amdhsa_user_sgpr_queue_ptr 0
		.amdhsa_user_sgpr_kernarg_segment_ptr 1
		.amdhsa_user_sgpr_dispatch_id 0
		.amdhsa_user_sgpr_kernarg_preload_length 0
		.amdhsa_user_sgpr_kernarg_preload_offset 0
		.amdhsa_user_sgpr_private_segment_size 0
		.amdhsa_wavefront_size32 1
		.amdhsa_uses_dynamic_stack 0
		.amdhsa_enable_private_segment 0
		.amdhsa_system_sgpr_workgroup_id_x 1
		.amdhsa_system_sgpr_workgroup_id_y 0
		.amdhsa_system_sgpr_workgroup_id_z 0
		.amdhsa_system_sgpr_workgroup_info 0
		.amdhsa_system_vgpr_workitem_id 0
		.amdhsa_next_free_vgpr 1
		.amdhsa_next_free_sgpr 1
		.amdhsa_named_barrier_count 0
		.amdhsa_reserve_vcc 0
		.amdhsa_float_round_mode_32 0
		.amdhsa_float_round_mode_16_64 0
		.amdhsa_float_denorm_mode_32 3
		.amdhsa_float_denorm_mode_16_64 3
		.amdhsa_fp16_overflow 0
		.amdhsa_memory_ordered 1
		.amdhsa_forward_progress 1
		.amdhsa_inst_pref_size 0
		.amdhsa_round_robin_scheduling 0
		.amdhsa_exception_fp_ieee_invalid_op 0
		.amdhsa_exception_fp_denorm_src 0
		.amdhsa_exception_fp_ieee_div_zero 0
		.amdhsa_exception_fp_ieee_overflow 0
		.amdhsa_exception_fp_ieee_underflow 0
		.amdhsa_exception_fp_ieee_inexact 0
		.amdhsa_exception_int_div_zero 0
	.end_amdhsa_kernel
	.section	.text._ZN7rocprim17ROCPRIM_400000_NS6detail17trampoline_kernelINS0_14default_configENS1_25transform_config_selectorIlLb0EEEZNS1_14transform_implILb0ES3_S5_NS0_18transform_iteratorINS0_17counting_iteratorImlEEZNS1_24adjacent_difference_implIS3_Lb1ELb0EPlSB_ZN2at6native12_GLOBAL__N_124unique_dim_cuda_templateIfEESt5tupleIJNSC_6TensorESH_SH_EERKSH_lbbbEUlllE1_EE10hipError_tPvRmT2_T3_mT4_P12ihipStream_tbEUlmE_lEESB_NS0_8identityIvEEEESM_SP_SQ_mSR_ST_bEUlT_E_NS1_11comp_targetILNS1_3genE5ELNS1_11target_archE942ELNS1_3gpuE9ELNS1_3repE0EEENS1_30default_config_static_selectorELNS0_4arch9wavefront6targetE0EEEvT1_,"axG",@progbits,_ZN7rocprim17ROCPRIM_400000_NS6detail17trampoline_kernelINS0_14default_configENS1_25transform_config_selectorIlLb0EEEZNS1_14transform_implILb0ES3_S5_NS0_18transform_iteratorINS0_17counting_iteratorImlEEZNS1_24adjacent_difference_implIS3_Lb1ELb0EPlSB_ZN2at6native12_GLOBAL__N_124unique_dim_cuda_templateIfEESt5tupleIJNSC_6TensorESH_SH_EERKSH_lbbbEUlllE1_EE10hipError_tPvRmT2_T3_mT4_P12ihipStream_tbEUlmE_lEESB_NS0_8identityIvEEEESM_SP_SQ_mSR_ST_bEUlT_E_NS1_11comp_targetILNS1_3genE5ELNS1_11target_archE942ELNS1_3gpuE9ELNS1_3repE0EEENS1_30default_config_static_selectorELNS0_4arch9wavefront6targetE0EEEvT1_,comdat
.Lfunc_end913:
	.size	_ZN7rocprim17ROCPRIM_400000_NS6detail17trampoline_kernelINS0_14default_configENS1_25transform_config_selectorIlLb0EEEZNS1_14transform_implILb0ES3_S5_NS0_18transform_iteratorINS0_17counting_iteratorImlEEZNS1_24adjacent_difference_implIS3_Lb1ELb0EPlSB_ZN2at6native12_GLOBAL__N_124unique_dim_cuda_templateIfEESt5tupleIJNSC_6TensorESH_SH_EERKSH_lbbbEUlllE1_EE10hipError_tPvRmT2_T3_mT4_P12ihipStream_tbEUlmE_lEESB_NS0_8identityIvEEEESM_SP_SQ_mSR_ST_bEUlT_E_NS1_11comp_targetILNS1_3genE5ELNS1_11target_archE942ELNS1_3gpuE9ELNS1_3repE0EEENS1_30default_config_static_selectorELNS0_4arch9wavefront6targetE0EEEvT1_, .Lfunc_end913-_ZN7rocprim17ROCPRIM_400000_NS6detail17trampoline_kernelINS0_14default_configENS1_25transform_config_selectorIlLb0EEEZNS1_14transform_implILb0ES3_S5_NS0_18transform_iteratorINS0_17counting_iteratorImlEEZNS1_24adjacent_difference_implIS3_Lb1ELb0EPlSB_ZN2at6native12_GLOBAL__N_124unique_dim_cuda_templateIfEESt5tupleIJNSC_6TensorESH_SH_EERKSH_lbbbEUlllE1_EE10hipError_tPvRmT2_T3_mT4_P12ihipStream_tbEUlmE_lEESB_NS0_8identityIvEEEESM_SP_SQ_mSR_ST_bEUlT_E_NS1_11comp_targetILNS1_3genE5ELNS1_11target_archE942ELNS1_3gpuE9ELNS1_3repE0EEENS1_30default_config_static_selectorELNS0_4arch9wavefront6targetE0EEEvT1_
                                        ; -- End function
	.set _ZN7rocprim17ROCPRIM_400000_NS6detail17trampoline_kernelINS0_14default_configENS1_25transform_config_selectorIlLb0EEEZNS1_14transform_implILb0ES3_S5_NS0_18transform_iteratorINS0_17counting_iteratorImlEEZNS1_24adjacent_difference_implIS3_Lb1ELb0EPlSB_ZN2at6native12_GLOBAL__N_124unique_dim_cuda_templateIfEESt5tupleIJNSC_6TensorESH_SH_EERKSH_lbbbEUlllE1_EE10hipError_tPvRmT2_T3_mT4_P12ihipStream_tbEUlmE_lEESB_NS0_8identityIvEEEESM_SP_SQ_mSR_ST_bEUlT_E_NS1_11comp_targetILNS1_3genE5ELNS1_11target_archE942ELNS1_3gpuE9ELNS1_3repE0EEENS1_30default_config_static_selectorELNS0_4arch9wavefront6targetE0EEEvT1_.num_vgpr, 0
	.set _ZN7rocprim17ROCPRIM_400000_NS6detail17trampoline_kernelINS0_14default_configENS1_25transform_config_selectorIlLb0EEEZNS1_14transform_implILb0ES3_S5_NS0_18transform_iteratorINS0_17counting_iteratorImlEEZNS1_24adjacent_difference_implIS3_Lb1ELb0EPlSB_ZN2at6native12_GLOBAL__N_124unique_dim_cuda_templateIfEESt5tupleIJNSC_6TensorESH_SH_EERKSH_lbbbEUlllE1_EE10hipError_tPvRmT2_T3_mT4_P12ihipStream_tbEUlmE_lEESB_NS0_8identityIvEEEESM_SP_SQ_mSR_ST_bEUlT_E_NS1_11comp_targetILNS1_3genE5ELNS1_11target_archE942ELNS1_3gpuE9ELNS1_3repE0EEENS1_30default_config_static_selectorELNS0_4arch9wavefront6targetE0EEEvT1_.num_agpr, 0
	.set _ZN7rocprim17ROCPRIM_400000_NS6detail17trampoline_kernelINS0_14default_configENS1_25transform_config_selectorIlLb0EEEZNS1_14transform_implILb0ES3_S5_NS0_18transform_iteratorINS0_17counting_iteratorImlEEZNS1_24adjacent_difference_implIS3_Lb1ELb0EPlSB_ZN2at6native12_GLOBAL__N_124unique_dim_cuda_templateIfEESt5tupleIJNSC_6TensorESH_SH_EERKSH_lbbbEUlllE1_EE10hipError_tPvRmT2_T3_mT4_P12ihipStream_tbEUlmE_lEESB_NS0_8identityIvEEEESM_SP_SQ_mSR_ST_bEUlT_E_NS1_11comp_targetILNS1_3genE5ELNS1_11target_archE942ELNS1_3gpuE9ELNS1_3repE0EEENS1_30default_config_static_selectorELNS0_4arch9wavefront6targetE0EEEvT1_.numbered_sgpr, 0
	.set _ZN7rocprim17ROCPRIM_400000_NS6detail17trampoline_kernelINS0_14default_configENS1_25transform_config_selectorIlLb0EEEZNS1_14transform_implILb0ES3_S5_NS0_18transform_iteratorINS0_17counting_iteratorImlEEZNS1_24adjacent_difference_implIS3_Lb1ELb0EPlSB_ZN2at6native12_GLOBAL__N_124unique_dim_cuda_templateIfEESt5tupleIJNSC_6TensorESH_SH_EERKSH_lbbbEUlllE1_EE10hipError_tPvRmT2_T3_mT4_P12ihipStream_tbEUlmE_lEESB_NS0_8identityIvEEEESM_SP_SQ_mSR_ST_bEUlT_E_NS1_11comp_targetILNS1_3genE5ELNS1_11target_archE942ELNS1_3gpuE9ELNS1_3repE0EEENS1_30default_config_static_selectorELNS0_4arch9wavefront6targetE0EEEvT1_.num_named_barrier, 0
	.set _ZN7rocprim17ROCPRIM_400000_NS6detail17trampoline_kernelINS0_14default_configENS1_25transform_config_selectorIlLb0EEEZNS1_14transform_implILb0ES3_S5_NS0_18transform_iteratorINS0_17counting_iteratorImlEEZNS1_24adjacent_difference_implIS3_Lb1ELb0EPlSB_ZN2at6native12_GLOBAL__N_124unique_dim_cuda_templateIfEESt5tupleIJNSC_6TensorESH_SH_EERKSH_lbbbEUlllE1_EE10hipError_tPvRmT2_T3_mT4_P12ihipStream_tbEUlmE_lEESB_NS0_8identityIvEEEESM_SP_SQ_mSR_ST_bEUlT_E_NS1_11comp_targetILNS1_3genE5ELNS1_11target_archE942ELNS1_3gpuE9ELNS1_3repE0EEENS1_30default_config_static_selectorELNS0_4arch9wavefront6targetE0EEEvT1_.private_seg_size, 0
	.set _ZN7rocprim17ROCPRIM_400000_NS6detail17trampoline_kernelINS0_14default_configENS1_25transform_config_selectorIlLb0EEEZNS1_14transform_implILb0ES3_S5_NS0_18transform_iteratorINS0_17counting_iteratorImlEEZNS1_24adjacent_difference_implIS3_Lb1ELb0EPlSB_ZN2at6native12_GLOBAL__N_124unique_dim_cuda_templateIfEESt5tupleIJNSC_6TensorESH_SH_EERKSH_lbbbEUlllE1_EE10hipError_tPvRmT2_T3_mT4_P12ihipStream_tbEUlmE_lEESB_NS0_8identityIvEEEESM_SP_SQ_mSR_ST_bEUlT_E_NS1_11comp_targetILNS1_3genE5ELNS1_11target_archE942ELNS1_3gpuE9ELNS1_3repE0EEENS1_30default_config_static_selectorELNS0_4arch9wavefront6targetE0EEEvT1_.uses_vcc, 0
	.set _ZN7rocprim17ROCPRIM_400000_NS6detail17trampoline_kernelINS0_14default_configENS1_25transform_config_selectorIlLb0EEEZNS1_14transform_implILb0ES3_S5_NS0_18transform_iteratorINS0_17counting_iteratorImlEEZNS1_24adjacent_difference_implIS3_Lb1ELb0EPlSB_ZN2at6native12_GLOBAL__N_124unique_dim_cuda_templateIfEESt5tupleIJNSC_6TensorESH_SH_EERKSH_lbbbEUlllE1_EE10hipError_tPvRmT2_T3_mT4_P12ihipStream_tbEUlmE_lEESB_NS0_8identityIvEEEESM_SP_SQ_mSR_ST_bEUlT_E_NS1_11comp_targetILNS1_3genE5ELNS1_11target_archE942ELNS1_3gpuE9ELNS1_3repE0EEENS1_30default_config_static_selectorELNS0_4arch9wavefront6targetE0EEEvT1_.uses_flat_scratch, 0
	.set _ZN7rocprim17ROCPRIM_400000_NS6detail17trampoline_kernelINS0_14default_configENS1_25transform_config_selectorIlLb0EEEZNS1_14transform_implILb0ES3_S5_NS0_18transform_iteratorINS0_17counting_iteratorImlEEZNS1_24adjacent_difference_implIS3_Lb1ELb0EPlSB_ZN2at6native12_GLOBAL__N_124unique_dim_cuda_templateIfEESt5tupleIJNSC_6TensorESH_SH_EERKSH_lbbbEUlllE1_EE10hipError_tPvRmT2_T3_mT4_P12ihipStream_tbEUlmE_lEESB_NS0_8identityIvEEEESM_SP_SQ_mSR_ST_bEUlT_E_NS1_11comp_targetILNS1_3genE5ELNS1_11target_archE942ELNS1_3gpuE9ELNS1_3repE0EEENS1_30default_config_static_selectorELNS0_4arch9wavefront6targetE0EEEvT1_.has_dyn_sized_stack, 0
	.set _ZN7rocprim17ROCPRIM_400000_NS6detail17trampoline_kernelINS0_14default_configENS1_25transform_config_selectorIlLb0EEEZNS1_14transform_implILb0ES3_S5_NS0_18transform_iteratorINS0_17counting_iteratorImlEEZNS1_24adjacent_difference_implIS3_Lb1ELb0EPlSB_ZN2at6native12_GLOBAL__N_124unique_dim_cuda_templateIfEESt5tupleIJNSC_6TensorESH_SH_EERKSH_lbbbEUlllE1_EE10hipError_tPvRmT2_T3_mT4_P12ihipStream_tbEUlmE_lEESB_NS0_8identityIvEEEESM_SP_SQ_mSR_ST_bEUlT_E_NS1_11comp_targetILNS1_3genE5ELNS1_11target_archE942ELNS1_3gpuE9ELNS1_3repE0EEENS1_30default_config_static_selectorELNS0_4arch9wavefront6targetE0EEEvT1_.has_recursion, 0
	.set _ZN7rocprim17ROCPRIM_400000_NS6detail17trampoline_kernelINS0_14default_configENS1_25transform_config_selectorIlLb0EEEZNS1_14transform_implILb0ES3_S5_NS0_18transform_iteratorINS0_17counting_iteratorImlEEZNS1_24adjacent_difference_implIS3_Lb1ELb0EPlSB_ZN2at6native12_GLOBAL__N_124unique_dim_cuda_templateIfEESt5tupleIJNSC_6TensorESH_SH_EERKSH_lbbbEUlllE1_EE10hipError_tPvRmT2_T3_mT4_P12ihipStream_tbEUlmE_lEESB_NS0_8identityIvEEEESM_SP_SQ_mSR_ST_bEUlT_E_NS1_11comp_targetILNS1_3genE5ELNS1_11target_archE942ELNS1_3gpuE9ELNS1_3repE0EEENS1_30default_config_static_selectorELNS0_4arch9wavefront6targetE0EEEvT1_.has_indirect_call, 0
	.section	.AMDGPU.csdata,"",@progbits
; Kernel info:
; codeLenInByte = 0
; TotalNumSgprs: 0
; NumVgprs: 0
; ScratchSize: 0
; MemoryBound: 0
; FloatMode: 240
; IeeeMode: 1
; LDSByteSize: 0 bytes/workgroup (compile time only)
; SGPRBlocks: 0
; VGPRBlocks: 0
; NumSGPRsForWavesPerEU: 1
; NumVGPRsForWavesPerEU: 1
; NamedBarCnt: 0
; Occupancy: 16
; WaveLimiterHint : 0
; COMPUTE_PGM_RSRC2:SCRATCH_EN: 0
; COMPUTE_PGM_RSRC2:USER_SGPR: 2
; COMPUTE_PGM_RSRC2:TRAP_HANDLER: 0
; COMPUTE_PGM_RSRC2:TGID_X_EN: 1
; COMPUTE_PGM_RSRC2:TGID_Y_EN: 0
; COMPUTE_PGM_RSRC2:TGID_Z_EN: 0
; COMPUTE_PGM_RSRC2:TIDIG_COMP_CNT: 0
	.section	.text._ZN7rocprim17ROCPRIM_400000_NS6detail17trampoline_kernelINS0_14default_configENS1_25transform_config_selectorIlLb0EEEZNS1_14transform_implILb0ES3_S5_NS0_18transform_iteratorINS0_17counting_iteratorImlEEZNS1_24adjacent_difference_implIS3_Lb1ELb0EPlSB_ZN2at6native12_GLOBAL__N_124unique_dim_cuda_templateIfEESt5tupleIJNSC_6TensorESH_SH_EERKSH_lbbbEUlllE1_EE10hipError_tPvRmT2_T3_mT4_P12ihipStream_tbEUlmE_lEESB_NS0_8identityIvEEEESM_SP_SQ_mSR_ST_bEUlT_E_NS1_11comp_targetILNS1_3genE4ELNS1_11target_archE910ELNS1_3gpuE8ELNS1_3repE0EEENS1_30default_config_static_selectorELNS0_4arch9wavefront6targetE0EEEvT1_,"axG",@progbits,_ZN7rocprim17ROCPRIM_400000_NS6detail17trampoline_kernelINS0_14default_configENS1_25transform_config_selectorIlLb0EEEZNS1_14transform_implILb0ES3_S5_NS0_18transform_iteratorINS0_17counting_iteratorImlEEZNS1_24adjacent_difference_implIS3_Lb1ELb0EPlSB_ZN2at6native12_GLOBAL__N_124unique_dim_cuda_templateIfEESt5tupleIJNSC_6TensorESH_SH_EERKSH_lbbbEUlllE1_EE10hipError_tPvRmT2_T3_mT4_P12ihipStream_tbEUlmE_lEESB_NS0_8identityIvEEEESM_SP_SQ_mSR_ST_bEUlT_E_NS1_11comp_targetILNS1_3genE4ELNS1_11target_archE910ELNS1_3gpuE8ELNS1_3repE0EEENS1_30default_config_static_selectorELNS0_4arch9wavefront6targetE0EEEvT1_,comdat
	.globl	_ZN7rocprim17ROCPRIM_400000_NS6detail17trampoline_kernelINS0_14default_configENS1_25transform_config_selectorIlLb0EEEZNS1_14transform_implILb0ES3_S5_NS0_18transform_iteratorINS0_17counting_iteratorImlEEZNS1_24adjacent_difference_implIS3_Lb1ELb0EPlSB_ZN2at6native12_GLOBAL__N_124unique_dim_cuda_templateIfEESt5tupleIJNSC_6TensorESH_SH_EERKSH_lbbbEUlllE1_EE10hipError_tPvRmT2_T3_mT4_P12ihipStream_tbEUlmE_lEESB_NS0_8identityIvEEEESM_SP_SQ_mSR_ST_bEUlT_E_NS1_11comp_targetILNS1_3genE4ELNS1_11target_archE910ELNS1_3gpuE8ELNS1_3repE0EEENS1_30default_config_static_selectorELNS0_4arch9wavefront6targetE0EEEvT1_ ; -- Begin function _ZN7rocprim17ROCPRIM_400000_NS6detail17trampoline_kernelINS0_14default_configENS1_25transform_config_selectorIlLb0EEEZNS1_14transform_implILb0ES3_S5_NS0_18transform_iteratorINS0_17counting_iteratorImlEEZNS1_24adjacent_difference_implIS3_Lb1ELb0EPlSB_ZN2at6native12_GLOBAL__N_124unique_dim_cuda_templateIfEESt5tupleIJNSC_6TensorESH_SH_EERKSH_lbbbEUlllE1_EE10hipError_tPvRmT2_T3_mT4_P12ihipStream_tbEUlmE_lEESB_NS0_8identityIvEEEESM_SP_SQ_mSR_ST_bEUlT_E_NS1_11comp_targetILNS1_3genE4ELNS1_11target_archE910ELNS1_3gpuE8ELNS1_3repE0EEENS1_30default_config_static_selectorELNS0_4arch9wavefront6targetE0EEEvT1_
	.p2align	8
	.type	_ZN7rocprim17ROCPRIM_400000_NS6detail17trampoline_kernelINS0_14default_configENS1_25transform_config_selectorIlLb0EEEZNS1_14transform_implILb0ES3_S5_NS0_18transform_iteratorINS0_17counting_iteratorImlEEZNS1_24adjacent_difference_implIS3_Lb1ELb0EPlSB_ZN2at6native12_GLOBAL__N_124unique_dim_cuda_templateIfEESt5tupleIJNSC_6TensorESH_SH_EERKSH_lbbbEUlllE1_EE10hipError_tPvRmT2_T3_mT4_P12ihipStream_tbEUlmE_lEESB_NS0_8identityIvEEEESM_SP_SQ_mSR_ST_bEUlT_E_NS1_11comp_targetILNS1_3genE4ELNS1_11target_archE910ELNS1_3gpuE8ELNS1_3repE0EEENS1_30default_config_static_selectorELNS0_4arch9wavefront6targetE0EEEvT1_,@function
_ZN7rocprim17ROCPRIM_400000_NS6detail17trampoline_kernelINS0_14default_configENS1_25transform_config_selectorIlLb0EEEZNS1_14transform_implILb0ES3_S5_NS0_18transform_iteratorINS0_17counting_iteratorImlEEZNS1_24adjacent_difference_implIS3_Lb1ELb0EPlSB_ZN2at6native12_GLOBAL__N_124unique_dim_cuda_templateIfEESt5tupleIJNSC_6TensorESH_SH_EERKSH_lbbbEUlllE1_EE10hipError_tPvRmT2_T3_mT4_P12ihipStream_tbEUlmE_lEESB_NS0_8identityIvEEEESM_SP_SQ_mSR_ST_bEUlT_E_NS1_11comp_targetILNS1_3genE4ELNS1_11target_archE910ELNS1_3gpuE8ELNS1_3repE0EEENS1_30default_config_static_selectorELNS0_4arch9wavefront6targetE0EEEvT1_: ; @_ZN7rocprim17ROCPRIM_400000_NS6detail17trampoline_kernelINS0_14default_configENS1_25transform_config_selectorIlLb0EEEZNS1_14transform_implILb0ES3_S5_NS0_18transform_iteratorINS0_17counting_iteratorImlEEZNS1_24adjacent_difference_implIS3_Lb1ELb0EPlSB_ZN2at6native12_GLOBAL__N_124unique_dim_cuda_templateIfEESt5tupleIJNSC_6TensorESH_SH_EERKSH_lbbbEUlllE1_EE10hipError_tPvRmT2_T3_mT4_P12ihipStream_tbEUlmE_lEESB_NS0_8identityIvEEEESM_SP_SQ_mSR_ST_bEUlT_E_NS1_11comp_targetILNS1_3genE4ELNS1_11target_archE910ELNS1_3gpuE8ELNS1_3repE0EEENS1_30default_config_static_selectorELNS0_4arch9wavefront6targetE0EEEvT1_
; %bb.0:
	.section	.rodata,"a",@progbits
	.p2align	6, 0x0
	.amdhsa_kernel _ZN7rocprim17ROCPRIM_400000_NS6detail17trampoline_kernelINS0_14default_configENS1_25transform_config_selectorIlLb0EEEZNS1_14transform_implILb0ES3_S5_NS0_18transform_iteratorINS0_17counting_iteratorImlEEZNS1_24adjacent_difference_implIS3_Lb1ELb0EPlSB_ZN2at6native12_GLOBAL__N_124unique_dim_cuda_templateIfEESt5tupleIJNSC_6TensorESH_SH_EERKSH_lbbbEUlllE1_EE10hipError_tPvRmT2_T3_mT4_P12ihipStream_tbEUlmE_lEESB_NS0_8identityIvEEEESM_SP_SQ_mSR_ST_bEUlT_E_NS1_11comp_targetILNS1_3genE4ELNS1_11target_archE910ELNS1_3gpuE8ELNS1_3repE0EEENS1_30default_config_static_selectorELNS0_4arch9wavefront6targetE0EEEvT1_
		.amdhsa_group_segment_fixed_size 0
		.amdhsa_private_segment_fixed_size 0
		.amdhsa_kernarg_size 56
		.amdhsa_user_sgpr_count 2
		.amdhsa_user_sgpr_dispatch_ptr 0
		.amdhsa_user_sgpr_queue_ptr 0
		.amdhsa_user_sgpr_kernarg_segment_ptr 1
		.amdhsa_user_sgpr_dispatch_id 0
		.amdhsa_user_sgpr_kernarg_preload_length 0
		.amdhsa_user_sgpr_kernarg_preload_offset 0
		.amdhsa_user_sgpr_private_segment_size 0
		.amdhsa_wavefront_size32 1
		.amdhsa_uses_dynamic_stack 0
		.amdhsa_enable_private_segment 0
		.amdhsa_system_sgpr_workgroup_id_x 1
		.amdhsa_system_sgpr_workgroup_id_y 0
		.amdhsa_system_sgpr_workgroup_id_z 0
		.amdhsa_system_sgpr_workgroup_info 0
		.amdhsa_system_vgpr_workitem_id 0
		.amdhsa_next_free_vgpr 1
		.amdhsa_next_free_sgpr 1
		.amdhsa_named_barrier_count 0
		.amdhsa_reserve_vcc 0
		.amdhsa_float_round_mode_32 0
		.amdhsa_float_round_mode_16_64 0
		.amdhsa_float_denorm_mode_32 3
		.amdhsa_float_denorm_mode_16_64 3
		.amdhsa_fp16_overflow 0
		.amdhsa_memory_ordered 1
		.amdhsa_forward_progress 1
		.amdhsa_inst_pref_size 0
		.amdhsa_round_robin_scheduling 0
		.amdhsa_exception_fp_ieee_invalid_op 0
		.amdhsa_exception_fp_denorm_src 0
		.amdhsa_exception_fp_ieee_div_zero 0
		.amdhsa_exception_fp_ieee_overflow 0
		.amdhsa_exception_fp_ieee_underflow 0
		.amdhsa_exception_fp_ieee_inexact 0
		.amdhsa_exception_int_div_zero 0
	.end_amdhsa_kernel
	.section	.text._ZN7rocprim17ROCPRIM_400000_NS6detail17trampoline_kernelINS0_14default_configENS1_25transform_config_selectorIlLb0EEEZNS1_14transform_implILb0ES3_S5_NS0_18transform_iteratorINS0_17counting_iteratorImlEEZNS1_24adjacent_difference_implIS3_Lb1ELb0EPlSB_ZN2at6native12_GLOBAL__N_124unique_dim_cuda_templateIfEESt5tupleIJNSC_6TensorESH_SH_EERKSH_lbbbEUlllE1_EE10hipError_tPvRmT2_T3_mT4_P12ihipStream_tbEUlmE_lEESB_NS0_8identityIvEEEESM_SP_SQ_mSR_ST_bEUlT_E_NS1_11comp_targetILNS1_3genE4ELNS1_11target_archE910ELNS1_3gpuE8ELNS1_3repE0EEENS1_30default_config_static_selectorELNS0_4arch9wavefront6targetE0EEEvT1_,"axG",@progbits,_ZN7rocprim17ROCPRIM_400000_NS6detail17trampoline_kernelINS0_14default_configENS1_25transform_config_selectorIlLb0EEEZNS1_14transform_implILb0ES3_S5_NS0_18transform_iteratorINS0_17counting_iteratorImlEEZNS1_24adjacent_difference_implIS3_Lb1ELb0EPlSB_ZN2at6native12_GLOBAL__N_124unique_dim_cuda_templateIfEESt5tupleIJNSC_6TensorESH_SH_EERKSH_lbbbEUlllE1_EE10hipError_tPvRmT2_T3_mT4_P12ihipStream_tbEUlmE_lEESB_NS0_8identityIvEEEESM_SP_SQ_mSR_ST_bEUlT_E_NS1_11comp_targetILNS1_3genE4ELNS1_11target_archE910ELNS1_3gpuE8ELNS1_3repE0EEENS1_30default_config_static_selectorELNS0_4arch9wavefront6targetE0EEEvT1_,comdat
.Lfunc_end914:
	.size	_ZN7rocprim17ROCPRIM_400000_NS6detail17trampoline_kernelINS0_14default_configENS1_25transform_config_selectorIlLb0EEEZNS1_14transform_implILb0ES3_S5_NS0_18transform_iteratorINS0_17counting_iteratorImlEEZNS1_24adjacent_difference_implIS3_Lb1ELb0EPlSB_ZN2at6native12_GLOBAL__N_124unique_dim_cuda_templateIfEESt5tupleIJNSC_6TensorESH_SH_EERKSH_lbbbEUlllE1_EE10hipError_tPvRmT2_T3_mT4_P12ihipStream_tbEUlmE_lEESB_NS0_8identityIvEEEESM_SP_SQ_mSR_ST_bEUlT_E_NS1_11comp_targetILNS1_3genE4ELNS1_11target_archE910ELNS1_3gpuE8ELNS1_3repE0EEENS1_30default_config_static_selectorELNS0_4arch9wavefront6targetE0EEEvT1_, .Lfunc_end914-_ZN7rocprim17ROCPRIM_400000_NS6detail17trampoline_kernelINS0_14default_configENS1_25transform_config_selectorIlLb0EEEZNS1_14transform_implILb0ES3_S5_NS0_18transform_iteratorINS0_17counting_iteratorImlEEZNS1_24adjacent_difference_implIS3_Lb1ELb0EPlSB_ZN2at6native12_GLOBAL__N_124unique_dim_cuda_templateIfEESt5tupleIJNSC_6TensorESH_SH_EERKSH_lbbbEUlllE1_EE10hipError_tPvRmT2_T3_mT4_P12ihipStream_tbEUlmE_lEESB_NS0_8identityIvEEEESM_SP_SQ_mSR_ST_bEUlT_E_NS1_11comp_targetILNS1_3genE4ELNS1_11target_archE910ELNS1_3gpuE8ELNS1_3repE0EEENS1_30default_config_static_selectorELNS0_4arch9wavefront6targetE0EEEvT1_
                                        ; -- End function
	.set _ZN7rocprim17ROCPRIM_400000_NS6detail17trampoline_kernelINS0_14default_configENS1_25transform_config_selectorIlLb0EEEZNS1_14transform_implILb0ES3_S5_NS0_18transform_iteratorINS0_17counting_iteratorImlEEZNS1_24adjacent_difference_implIS3_Lb1ELb0EPlSB_ZN2at6native12_GLOBAL__N_124unique_dim_cuda_templateIfEESt5tupleIJNSC_6TensorESH_SH_EERKSH_lbbbEUlllE1_EE10hipError_tPvRmT2_T3_mT4_P12ihipStream_tbEUlmE_lEESB_NS0_8identityIvEEEESM_SP_SQ_mSR_ST_bEUlT_E_NS1_11comp_targetILNS1_3genE4ELNS1_11target_archE910ELNS1_3gpuE8ELNS1_3repE0EEENS1_30default_config_static_selectorELNS0_4arch9wavefront6targetE0EEEvT1_.num_vgpr, 0
	.set _ZN7rocprim17ROCPRIM_400000_NS6detail17trampoline_kernelINS0_14default_configENS1_25transform_config_selectorIlLb0EEEZNS1_14transform_implILb0ES3_S5_NS0_18transform_iteratorINS0_17counting_iteratorImlEEZNS1_24adjacent_difference_implIS3_Lb1ELb0EPlSB_ZN2at6native12_GLOBAL__N_124unique_dim_cuda_templateIfEESt5tupleIJNSC_6TensorESH_SH_EERKSH_lbbbEUlllE1_EE10hipError_tPvRmT2_T3_mT4_P12ihipStream_tbEUlmE_lEESB_NS0_8identityIvEEEESM_SP_SQ_mSR_ST_bEUlT_E_NS1_11comp_targetILNS1_3genE4ELNS1_11target_archE910ELNS1_3gpuE8ELNS1_3repE0EEENS1_30default_config_static_selectorELNS0_4arch9wavefront6targetE0EEEvT1_.num_agpr, 0
	.set _ZN7rocprim17ROCPRIM_400000_NS6detail17trampoline_kernelINS0_14default_configENS1_25transform_config_selectorIlLb0EEEZNS1_14transform_implILb0ES3_S5_NS0_18transform_iteratorINS0_17counting_iteratorImlEEZNS1_24adjacent_difference_implIS3_Lb1ELb0EPlSB_ZN2at6native12_GLOBAL__N_124unique_dim_cuda_templateIfEESt5tupleIJNSC_6TensorESH_SH_EERKSH_lbbbEUlllE1_EE10hipError_tPvRmT2_T3_mT4_P12ihipStream_tbEUlmE_lEESB_NS0_8identityIvEEEESM_SP_SQ_mSR_ST_bEUlT_E_NS1_11comp_targetILNS1_3genE4ELNS1_11target_archE910ELNS1_3gpuE8ELNS1_3repE0EEENS1_30default_config_static_selectorELNS0_4arch9wavefront6targetE0EEEvT1_.numbered_sgpr, 0
	.set _ZN7rocprim17ROCPRIM_400000_NS6detail17trampoline_kernelINS0_14default_configENS1_25transform_config_selectorIlLb0EEEZNS1_14transform_implILb0ES3_S5_NS0_18transform_iteratorINS0_17counting_iteratorImlEEZNS1_24adjacent_difference_implIS3_Lb1ELb0EPlSB_ZN2at6native12_GLOBAL__N_124unique_dim_cuda_templateIfEESt5tupleIJNSC_6TensorESH_SH_EERKSH_lbbbEUlllE1_EE10hipError_tPvRmT2_T3_mT4_P12ihipStream_tbEUlmE_lEESB_NS0_8identityIvEEEESM_SP_SQ_mSR_ST_bEUlT_E_NS1_11comp_targetILNS1_3genE4ELNS1_11target_archE910ELNS1_3gpuE8ELNS1_3repE0EEENS1_30default_config_static_selectorELNS0_4arch9wavefront6targetE0EEEvT1_.num_named_barrier, 0
	.set _ZN7rocprim17ROCPRIM_400000_NS6detail17trampoline_kernelINS0_14default_configENS1_25transform_config_selectorIlLb0EEEZNS1_14transform_implILb0ES3_S5_NS0_18transform_iteratorINS0_17counting_iteratorImlEEZNS1_24adjacent_difference_implIS3_Lb1ELb0EPlSB_ZN2at6native12_GLOBAL__N_124unique_dim_cuda_templateIfEESt5tupleIJNSC_6TensorESH_SH_EERKSH_lbbbEUlllE1_EE10hipError_tPvRmT2_T3_mT4_P12ihipStream_tbEUlmE_lEESB_NS0_8identityIvEEEESM_SP_SQ_mSR_ST_bEUlT_E_NS1_11comp_targetILNS1_3genE4ELNS1_11target_archE910ELNS1_3gpuE8ELNS1_3repE0EEENS1_30default_config_static_selectorELNS0_4arch9wavefront6targetE0EEEvT1_.private_seg_size, 0
	.set _ZN7rocprim17ROCPRIM_400000_NS6detail17trampoline_kernelINS0_14default_configENS1_25transform_config_selectorIlLb0EEEZNS1_14transform_implILb0ES3_S5_NS0_18transform_iteratorINS0_17counting_iteratorImlEEZNS1_24adjacent_difference_implIS3_Lb1ELb0EPlSB_ZN2at6native12_GLOBAL__N_124unique_dim_cuda_templateIfEESt5tupleIJNSC_6TensorESH_SH_EERKSH_lbbbEUlllE1_EE10hipError_tPvRmT2_T3_mT4_P12ihipStream_tbEUlmE_lEESB_NS0_8identityIvEEEESM_SP_SQ_mSR_ST_bEUlT_E_NS1_11comp_targetILNS1_3genE4ELNS1_11target_archE910ELNS1_3gpuE8ELNS1_3repE0EEENS1_30default_config_static_selectorELNS0_4arch9wavefront6targetE0EEEvT1_.uses_vcc, 0
	.set _ZN7rocprim17ROCPRIM_400000_NS6detail17trampoline_kernelINS0_14default_configENS1_25transform_config_selectorIlLb0EEEZNS1_14transform_implILb0ES3_S5_NS0_18transform_iteratorINS0_17counting_iteratorImlEEZNS1_24adjacent_difference_implIS3_Lb1ELb0EPlSB_ZN2at6native12_GLOBAL__N_124unique_dim_cuda_templateIfEESt5tupleIJNSC_6TensorESH_SH_EERKSH_lbbbEUlllE1_EE10hipError_tPvRmT2_T3_mT4_P12ihipStream_tbEUlmE_lEESB_NS0_8identityIvEEEESM_SP_SQ_mSR_ST_bEUlT_E_NS1_11comp_targetILNS1_3genE4ELNS1_11target_archE910ELNS1_3gpuE8ELNS1_3repE0EEENS1_30default_config_static_selectorELNS0_4arch9wavefront6targetE0EEEvT1_.uses_flat_scratch, 0
	.set _ZN7rocprim17ROCPRIM_400000_NS6detail17trampoline_kernelINS0_14default_configENS1_25transform_config_selectorIlLb0EEEZNS1_14transform_implILb0ES3_S5_NS0_18transform_iteratorINS0_17counting_iteratorImlEEZNS1_24adjacent_difference_implIS3_Lb1ELb0EPlSB_ZN2at6native12_GLOBAL__N_124unique_dim_cuda_templateIfEESt5tupleIJNSC_6TensorESH_SH_EERKSH_lbbbEUlllE1_EE10hipError_tPvRmT2_T3_mT4_P12ihipStream_tbEUlmE_lEESB_NS0_8identityIvEEEESM_SP_SQ_mSR_ST_bEUlT_E_NS1_11comp_targetILNS1_3genE4ELNS1_11target_archE910ELNS1_3gpuE8ELNS1_3repE0EEENS1_30default_config_static_selectorELNS0_4arch9wavefront6targetE0EEEvT1_.has_dyn_sized_stack, 0
	.set _ZN7rocprim17ROCPRIM_400000_NS6detail17trampoline_kernelINS0_14default_configENS1_25transform_config_selectorIlLb0EEEZNS1_14transform_implILb0ES3_S5_NS0_18transform_iteratorINS0_17counting_iteratorImlEEZNS1_24adjacent_difference_implIS3_Lb1ELb0EPlSB_ZN2at6native12_GLOBAL__N_124unique_dim_cuda_templateIfEESt5tupleIJNSC_6TensorESH_SH_EERKSH_lbbbEUlllE1_EE10hipError_tPvRmT2_T3_mT4_P12ihipStream_tbEUlmE_lEESB_NS0_8identityIvEEEESM_SP_SQ_mSR_ST_bEUlT_E_NS1_11comp_targetILNS1_3genE4ELNS1_11target_archE910ELNS1_3gpuE8ELNS1_3repE0EEENS1_30default_config_static_selectorELNS0_4arch9wavefront6targetE0EEEvT1_.has_recursion, 0
	.set _ZN7rocprim17ROCPRIM_400000_NS6detail17trampoline_kernelINS0_14default_configENS1_25transform_config_selectorIlLb0EEEZNS1_14transform_implILb0ES3_S5_NS0_18transform_iteratorINS0_17counting_iteratorImlEEZNS1_24adjacent_difference_implIS3_Lb1ELb0EPlSB_ZN2at6native12_GLOBAL__N_124unique_dim_cuda_templateIfEESt5tupleIJNSC_6TensorESH_SH_EERKSH_lbbbEUlllE1_EE10hipError_tPvRmT2_T3_mT4_P12ihipStream_tbEUlmE_lEESB_NS0_8identityIvEEEESM_SP_SQ_mSR_ST_bEUlT_E_NS1_11comp_targetILNS1_3genE4ELNS1_11target_archE910ELNS1_3gpuE8ELNS1_3repE0EEENS1_30default_config_static_selectorELNS0_4arch9wavefront6targetE0EEEvT1_.has_indirect_call, 0
	.section	.AMDGPU.csdata,"",@progbits
; Kernel info:
; codeLenInByte = 0
; TotalNumSgprs: 0
; NumVgprs: 0
; ScratchSize: 0
; MemoryBound: 0
; FloatMode: 240
; IeeeMode: 1
; LDSByteSize: 0 bytes/workgroup (compile time only)
; SGPRBlocks: 0
; VGPRBlocks: 0
; NumSGPRsForWavesPerEU: 1
; NumVGPRsForWavesPerEU: 1
; NamedBarCnt: 0
; Occupancy: 16
; WaveLimiterHint : 0
; COMPUTE_PGM_RSRC2:SCRATCH_EN: 0
; COMPUTE_PGM_RSRC2:USER_SGPR: 2
; COMPUTE_PGM_RSRC2:TRAP_HANDLER: 0
; COMPUTE_PGM_RSRC2:TGID_X_EN: 1
; COMPUTE_PGM_RSRC2:TGID_Y_EN: 0
; COMPUTE_PGM_RSRC2:TGID_Z_EN: 0
; COMPUTE_PGM_RSRC2:TIDIG_COMP_CNT: 0
	.section	.text._ZN7rocprim17ROCPRIM_400000_NS6detail17trampoline_kernelINS0_14default_configENS1_25transform_config_selectorIlLb0EEEZNS1_14transform_implILb0ES3_S5_NS0_18transform_iteratorINS0_17counting_iteratorImlEEZNS1_24adjacent_difference_implIS3_Lb1ELb0EPlSB_ZN2at6native12_GLOBAL__N_124unique_dim_cuda_templateIfEESt5tupleIJNSC_6TensorESH_SH_EERKSH_lbbbEUlllE1_EE10hipError_tPvRmT2_T3_mT4_P12ihipStream_tbEUlmE_lEESB_NS0_8identityIvEEEESM_SP_SQ_mSR_ST_bEUlT_E_NS1_11comp_targetILNS1_3genE3ELNS1_11target_archE908ELNS1_3gpuE7ELNS1_3repE0EEENS1_30default_config_static_selectorELNS0_4arch9wavefront6targetE0EEEvT1_,"axG",@progbits,_ZN7rocprim17ROCPRIM_400000_NS6detail17trampoline_kernelINS0_14default_configENS1_25transform_config_selectorIlLb0EEEZNS1_14transform_implILb0ES3_S5_NS0_18transform_iteratorINS0_17counting_iteratorImlEEZNS1_24adjacent_difference_implIS3_Lb1ELb0EPlSB_ZN2at6native12_GLOBAL__N_124unique_dim_cuda_templateIfEESt5tupleIJNSC_6TensorESH_SH_EERKSH_lbbbEUlllE1_EE10hipError_tPvRmT2_T3_mT4_P12ihipStream_tbEUlmE_lEESB_NS0_8identityIvEEEESM_SP_SQ_mSR_ST_bEUlT_E_NS1_11comp_targetILNS1_3genE3ELNS1_11target_archE908ELNS1_3gpuE7ELNS1_3repE0EEENS1_30default_config_static_selectorELNS0_4arch9wavefront6targetE0EEEvT1_,comdat
	.globl	_ZN7rocprim17ROCPRIM_400000_NS6detail17trampoline_kernelINS0_14default_configENS1_25transform_config_selectorIlLb0EEEZNS1_14transform_implILb0ES3_S5_NS0_18transform_iteratorINS0_17counting_iteratorImlEEZNS1_24adjacent_difference_implIS3_Lb1ELb0EPlSB_ZN2at6native12_GLOBAL__N_124unique_dim_cuda_templateIfEESt5tupleIJNSC_6TensorESH_SH_EERKSH_lbbbEUlllE1_EE10hipError_tPvRmT2_T3_mT4_P12ihipStream_tbEUlmE_lEESB_NS0_8identityIvEEEESM_SP_SQ_mSR_ST_bEUlT_E_NS1_11comp_targetILNS1_3genE3ELNS1_11target_archE908ELNS1_3gpuE7ELNS1_3repE0EEENS1_30default_config_static_selectorELNS0_4arch9wavefront6targetE0EEEvT1_ ; -- Begin function _ZN7rocprim17ROCPRIM_400000_NS6detail17trampoline_kernelINS0_14default_configENS1_25transform_config_selectorIlLb0EEEZNS1_14transform_implILb0ES3_S5_NS0_18transform_iteratorINS0_17counting_iteratorImlEEZNS1_24adjacent_difference_implIS3_Lb1ELb0EPlSB_ZN2at6native12_GLOBAL__N_124unique_dim_cuda_templateIfEESt5tupleIJNSC_6TensorESH_SH_EERKSH_lbbbEUlllE1_EE10hipError_tPvRmT2_T3_mT4_P12ihipStream_tbEUlmE_lEESB_NS0_8identityIvEEEESM_SP_SQ_mSR_ST_bEUlT_E_NS1_11comp_targetILNS1_3genE3ELNS1_11target_archE908ELNS1_3gpuE7ELNS1_3repE0EEENS1_30default_config_static_selectorELNS0_4arch9wavefront6targetE0EEEvT1_
	.p2align	8
	.type	_ZN7rocprim17ROCPRIM_400000_NS6detail17trampoline_kernelINS0_14default_configENS1_25transform_config_selectorIlLb0EEEZNS1_14transform_implILb0ES3_S5_NS0_18transform_iteratorINS0_17counting_iteratorImlEEZNS1_24adjacent_difference_implIS3_Lb1ELb0EPlSB_ZN2at6native12_GLOBAL__N_124unique_dim_cuda_templateIfEESt5tupleIJNSC_6TensorESH_SH_EERKSH_lbbbEUlllE1_EE10hipError_tPvRmT2_T3_mT4_P12ihipStream_tbEUlmE_lEESB_NS0_8identityIvEEEESM_SP_SQ_mSR_ST_bEUlT_E_NS1_11comp_targetILNS1_3genE3ELNS1_11target_archE908ELNS1_3gpuE7ELNS1_3repE0EEENS1_30default_config_static_selectorELNS0_4arch9wavefront6targetE0EEEvT1_,@function
_ZN7rocprim17ROCPRIM_400000_NS6detail17trampoline_kernelINS0_14default_configENS1_25transform_config_selectorIlLb0EEEZNS1_14transform_implILb0ES3_S5_NS0_18transform_iteratorINS0_17counting_iteratorImlEEZNS1_24adjacent_difference_implIS3_Lb1ELb0EPlSB_ZN2at6native12_GLOBAL__N_124unique_dim_cuda_templateIfEESt5tupleIJNSC_6TensorESH_SH_EERKSH_lbbbEUlllE1_EE10hipError_tPvRmT2_T3_mT4_P12ihipStream_tbEUlmE_lEESB_NS0_8identityIvEEEESM_SP_SQ_mSR_ST_bEUlT_E_NS1_11comp_targetILNS1_3genE3ELNS1_11target_archE908ELNS1_3gpuE7ELNS1_3repE0EEENS1_30default_config_static_selectorELNS0_4arch9wavefront6targetE0EEEvT1_: ; @_ZN7rocprim17ROCPRIM_400000_NS6detail17trampoline_kernelINS0_14default_configENS1_25transform_config_selectorIlLb0EEEZNS1_14transform_implILb0ES3_S5_NS0_18transform_iteratorINS0_17counting_iteratorImlEEZNS1_24adjacent_difference_implIS3_Lb1ELb0EPlSB_ZN2at6native12_GLOBAL__N_124unique_dim_cuda_templateIfEESt5tupleIJNSC_6TensorESH_SH_EERKSH_lbbbEUlllE1_EE10hipError_tPvRmT2_T3_mT4_P12ihipStream_tbEUlmE_lEESB_NS0_8identityIvEEEESM_SP_SQ_mSR_ST_bEUlT_E_NS1_11comp_targetILNS1_3genE3ELNS1_11target_archE908ELNS1_3gpuE7ELNS1_3repE0EEENS1_30default_config_static_selectorELNS0_4arch9wavefront6targetE0EEEvT1_
; %bb.0:
	.section	.rodata,"a",@progbits
	.p2align	6, 0x0
	.amdhsa_kernel _ZN7rocprim17ROCPRIM_400000_NS6detail17trampoline_kernelINS0_14default_configENS1_25transform_config_selectorIlLb0EEEZNS1_14transform_implILb0ES3_S5_NS0_18transform_iteratorINS0_17counting_iteratorImlEEZNS1_24adjacent_difference_implIS3_Lb1ELb0EPlSB_ZN2at6native12_GLOBAL__N_124unique_dim_cuda_templateIfEESt5tupleIJNSC_6TensorESH_SH_EERKSH_lbbbEUlllE1_EE10hipError_tPvRmT2_T3_mT4_P12ihipStream_tbEUlmE_lEESB_NS0_8identityIvEEEESM_SP_SQ_mSR_ST_bEUlT_E_NS1_11comp_targetILNS1_3genE3ELNS1_11target_archE908ELNS1_3gpuE7ELNS1_3repE0EEENS1_30default_config_static_selectorELNS0_4arch9wavefront6targetE0EEEvT1_
		.amdhsa_group_segment_fixed_size 0
		.amdhsa_private_segment_fixed_size 0
		.amdhsa_kernarg_size 56
		.amdhsa_user_sgpr_count 2
		.amdhsa_user_sgpr_dispatch_ptr 0
		.amdhsa_user_sgpr_queue_ptr 0
		.amdhsa_user_sgpr_kernarg_segment_ptr 1
		.amdhsa_user_sgpr_dispatch_id 0
		.amdhsa_user_sgpr_kernarg_preload_length 0
		.amdhsa_user_sgpr_kernarg_preload_offset 0
		.amdhsa_user_sgpr_private_segment_size 0
		.amdhsa_wavefront_size32 1
		.amdhsa_uses_dynamic_stack 0
		.amdhsa_enable_private_segment 0
		.amdhsa_system_sgpr_workgroup_id_x 1
		.amdhsa_system_sgpr_workgroup_id_y 0
		.amdhsa_system_sgpr_workgroup_id_z 0
		.amdhsa_system_sgpr_workgroup_info 0
		.amdhsa_system_vgpr_workitem_id 0
		.amdhsa_next_free_vgpr 1
		.amdhsa_next_free_sgpr 1
		.amdhsa_named_barrier_count 0
		.amdhsa_reserve_vcc 0
		.amdhsa_float_round_mode_32 0
		.amdhsa_float_round_mode_16_64 0
		.amdhsa_float_denorm_mode_32 3
		.amdhsa_float_denorm_mode_16_64 3
		.amdhsa_fp16_overflow 0
		.amdhsa_memory_ordered 1
		.amdhsa_forward_progress 1
		.amdhsa_inst_pref_size 0
		.amdhsa_round_robin_scheduling 0
		.amdhsa_exception_fp_ieee_invalid_op 0
		.amdhsa_exception_fp_denorm_src 0
		.amdhsa_exception_fp_ieee_div_zero 0
		.amdhsa_exception_fp_ieee_overflow 0
		.amdhsa_exception_fp_ieee_underflow 0
		.amdhsa_exception_fp_ieee_inexact 0
		.amdhsa_exception_int_div_zero 0
	.end_amdhsa_kernel
	.section	.text._ZN7rocprim17ROCPRIM_400000_NS6detail17trampoline_kernelINS0_14default_configENS1_25transform_config_selectorIlLb0EEEZNS1_14transform_implILb0ES3_S5_NS0_18transform_iteratorINS0_17counting_iteratorImlEEZNS1_24adjacent_difference_implIS3_Lb1ELb0EPlSB_ZN2at6native12_GLOBAL__N_124unique_dim_cuda_templateIfEESt5tupleIJNSC_6TensorESH_SH_EERKSH_lbbbEUlllE1_EE10hipError_tPvRmT2_T3_mT4_P12ihipStream_tbEUlmE_lEESB_NS0_8identityIvEEEESM_SP_SQ_mSR_ST_bEUlT_E_NS1_11comp_targetILNS1_3genE3ELNS1_11target_archE908ELNS1_3gpuE7ELNS1_3repE0EEENS1_30default_config_static_selectorELNS0_4arch9wavefront6targetE0EEEvT1_,"axG",@progbits,_ZN7rocprim17ROCPRIM_400000_NS6detail17trampoline_kernelINS0_14default_configENS1_25transform_config_selectorIlLb0EEEZNS1_14transform_implILb0ES3_S5_NS0_18transform_iteratorINS0_17counting_iteratorImlEEZNS1_24adjacent_difference_implIS3_Lb1ELb0EPlSB_ZN2at6native12_GLOBAL__N_124unique_dim_cuda_templateIfEESt5tupleIJNSC_6TensorESH_SH_EERKSH_lbbbEUlllE1_EE10hipError_tPvRmT2_T3_mT4_P12ihipStream_tbEUlmE_lEESB_NS0_8identityIvEEEESM_SP_SQ_mSR_ST_bEUlT_E_NS1_11comp_targetILNS1_3genE3ELNS1_11target_archE908ELNS1_3gpuE7ELNS1_3repE0EEENS1_30default_config_static_selectorELNS0_4arch9wavefront6targetE0EEEvT1_,comdat
.Lfunc_end915:
	.size	_ZN7rocprim17ROCPRIM_400000_NS6detail17trampoline_kernelINS0_14default_configENS1_25transform_config_selectorIlLb0EEEZNS1_14transform_implILb0ES3_S5_NS0_18transform_iteratorINS0_17counting_iteratorImlEEZNS1_24adjacent_difference_implIS3_Lb1ELb0EPlSB_ZN2at6native12_GLOBAL__N_124unique_dim_cuda_templateIfEESt5tupleIJNSC_6TensorESH_SH_EERKSH_lbbbEUlllE1_EE10hipError_tPvRmT2_T3_mT4_P12ihipStream_tbEUlmE_lEESB_NS0_8identityIvEEEESM_SP_SQ_mSR_ST_bEUlT_E_NS1_11comp_targetILNS1_3genE3ELNS1_11target_archE908ELNS1_3gpuE7ELNS1_3repE0EEENS1_30default_config_static_selectorELNS0_4arch9wavefront6targetE0EEEvT1_, .Lfunc_end915-_ZN7rocprim17ROCPRIM_400000_NS6detail17trampoline_kernelINS0_14default_configENS1_25transform_config_selectorIlLb0EEEZNS1_14transform_implILb0ES3_S5_NS0_18transform_iteratorINS0_17counting_iteratorImlEEZNS1_24adjacent_difference_implIS3_Lb1ELb0EPlSB_ZN2at6native12_GLOBAL__N_124unique_dim_cuda_templateIfEESt5tupleIJNSC_6TensorESH_SH_EERKSH_lbbbEUlllE1_EE10hipError_tPvRmT2_T3_mT4_P12ihipStream_tbEUlmE_lEESB_NS0_8identityIvEEEESM_SP_SQ_mSR_ST_bEUlT_E_NS1_11comp_targetILNS1_3genE3ELNS1_11target_archE908ELNS1_3gpuE7ELNS1_3repE0EEENS1_30default_config_static_selectorELNS0_4arch9wavefront6targetE0EEEvT1_
                                        ; -- End function
	.set _ZN7rocprim17ROCPRIM_400000_NS6detail17trampoline_kernelINS0_14default_configENS1_25transform_config_selectorIlLb0EEEZNS1_14transform_implILb0ES3_S5_NS0_18transform_iteratorINS0_17counting_iteratorImlEEZNS1_24adjacent_difference_implIS3_Lb1ELb0EPlSB_ZN2at6native12_GLOBAL__N_124unique_dim_cuda_templateIfEESt5tupleIJNSC_6TensorESH_SH_EERKSH_lbbbEUlllE1_EE10hipError_tPvRmT2_T3_mT4_P12ihipStream_tbEUlmE_lEESB_NS0_8identityIvEEEESM_SP_SQ_mSR_ST_bEUlT_E_NS1_11comp_targetILNS1_3genE3ELNS1_11target_archE908ELNS1_3gpuE7ELNS1_3repE0EEENS1_30default_config_static_selectorELNS0_4arch9wavefront6targetE0EEEvT1_.num_vgpr, 0
	.set _ZN7rocprim17ROCPRIM_400000_NS6detail17trampoline_kernelINS0_14default_configENS1_25transform_config_selectorIlLb0EEEZNS1_14transform_implILb0ES3_S5_NS0_18transform_iteratorINS0_17counting_iteratorImlEEZNS1_24adjacent_difference_implIS3_Lb1ELb0EPlSB_ZN2at6native12_GLOBAL__N_124unique_dim_cuda_templateIfEESt5tupleIJNSC_6TensorESH_SH_EERKSH_lbbbEUlllE1_EE10hipError_tPvRmT2_T3_mT4_P12ihipStream_tbEUlmE_lEESB_NS0_8identityIvEEEESM_SP_SQ_mSR_ST_bEUlT_E_NS1_11comp_targetILNS1_3genE3ELNS1_11target_archE908ELNS1_3gpuE7ELNS1_3repE0EEENS1_30default_config_static_selectorELNS0_4arch9wavefront6targetE0EEEvT1_.num_agpr, 0
	.set _ZN7rocprim17ROCPRIM_400000_NS6detail17trampoline_kernelINS0_14default_configENS1_25transform_config_selectorIlLb0EEEZNS1_14transform_implILb0ES3_S5_NS0_18transform_iteratorINS0_17counting_iteratorImlEEZNS1_24adjacent_difference_implIS3_Lb1ELb0EPlSB_ZN2at6native12_GLOBAL__N_124unique_dim_cuda_templateIfEESt5tupleIJNSC_6TensorESH_SH_EERKSH_lbbbEUlllE1_EE10hipError_tPvRmT2_T3_mT4_P12ihipStream_tbEUlmE_lEESB_NS0_8identityIvEEEESM_SP_SQ_mSR_ST_bEUlT_E_NS1_11comp_targetILNS1_3genE3ELNS1_11target_archE908ELNS1_3gpuE7ELNS1_3repE0EEENS1_30default_config_static_selectorELNS0_4arch9wavefront6targetE0EEEvT1_.numbered_sgpr, 0
	.set _ZN7rocprim17ROCPRIM_400000_NS6detail17trampoline_kernelINS0_14default_configENS1_25transform_config_selectorIlLb0EEEZNS1_14transform_implILb0ES3_S5_NS0_18transform_iteratorINS0_17counting_iteratorImlEEZNS1_24adjacent_difference_implIS3_Lb1ELb0EPlSB_ZN2at6native12_GLOBAL__N_124unique_dim_cuda_templateIfEESt5tupleIJNSC_6TensorESH_SH_EERKSH_lbbbEUlllE1_EE10hipError_tPvRmT2_T3_mT4_P12ihipStream_tbEUlmE_lEESB_NS0_8identityIvEEEESM_SP_SQ_mSR_ST_bEUlT_E_NS1_11comp_targetILNS1_3genE3ELNS1_11target_archE908ELNS1_3gpuE7ELNS1_3repE0EEENS1_30default_config_static_selectorELNS0_4arch9wavefront6targetE0EEEvT1_.num_named_barrier, 0
	.set _ZN7rocprim17ROCPRIM_400000_NS6detail17trampoline_kernelINS0_14default_configENS1_25transform_config_selectorIlLb0EEEZNS1_14transform_implILb0ES3_S5_NS0_18transform_iteratorINS0_17counting_iteratorImlEEZNS1_24adjacent_difference_implIS3_Lb1ELb0EPlSB_ZN2at6native12_GLOBAL__N_124unique_dim_cuda_templateIfEESt5tupleIJNSC_6TensorESH_SH_EERKSH_lbbbEUlllE1_EE10hipError_tPvRmT2_T3_mT4_P12ihipStream_tbEUlmE_lEESB_NS0_8identityIvEEEESM_SP_SQ_mSR_ST_bEUlT_E_NS1_11comp_targetILNS1_3genE3ELNS1_11target_archE908ELNS1_3gpuE7ELNS1_3repE0EEENS1_30default_config_static_selectorELNS0_4arch9wavefront6targetE0EEEvT1_.private_seg_size, 0
	.set _ZN7rocprim17ROCPRIM_400000_NS6detail17trampoline_kernelINS0_14default_configENS1_25transform_config_selectorIlLb0EEEZNS1_14transform_implILb0ES3_S5_NS0_18transform_iteratorINS0_17counting_iteratorImlEEZNS1_24adjacent_difference_implIS3_Lb1ELb0EPlSB_ZN2at6native12_GLOBAL__N_124unique_dim_cuda_templateIfEESt5tupleIJNSC_6TensorESH_SH_EERKSH_lbbbEUlllE1_EE10hipError_tPvRmT2_T3_mT4_P12ihipStream_tbEUlmE_lEESB_NS0_8identityIvEEEESM_SP_SQ_mSR_ST_bEUlT_E_NS1_11comp_targetILNS1_3genE3ELNS1_11target_archE908ELNS1_3gpuE7ELNS1_3repE0EEENS1_30default_config_static_selectorELNS0_4arch9wavefront6targetE0EEEvT1_.uses_vcc, 0
	.set _ZN7rocprim17ROCPRIM_400000_NS6detail17trampoline_kernelINS0_14default_configENS1_25transform_config_selectorIlLb0EEEZNS1_14transform_implILb0ES3_S5_NS0_18transform_iteratorINS0_17counting_iteratorImlEEZNS1_24adjacent_difference_implIS3_Lb1ELb0EPlSB_ZN2at6native12_GLOBAL__N_124unique_dim_cuda_templateIfEESt5tupleIJNSC_6TensorESH_SH_EERKSH_lbbbEUlllE1_EE10hipError_tPvRmT2_T3_mT4_P12ihipStream_tbEUlmE_lEESB_NS0_8identityIvEEEESM_SP_SQ_mSR_ST_bEUlT_E_NS1_11comp_targetILNS1_3genE3ELNS1_11target_archE908ELNS1_3gpuE7ELNS1_3repE0EEENS1_30default_config_static_selectorELNS0_4arch9wavefront6targetE0EEEvT1_.uses_flat_scratch, 0
	.set _ZN7rocprim17ROCPRIM_400000_NS6detail17trampoline_kernelINS0_14default_configENS1_25transform_config_selectorIlLb0EEEZNS1_14transform_implILb0ES3_S5_NS0_18transform_iteratorINS0_17counting_iteratorImlEEZNS1_24adjacent_difference_implIS3_Lb1ELb0EPlSB_ZN2at6native12_GLOBAL__N_124unique_dim_cuda_templateIfEESt5tupleIJNSC_6TensorESH_SH_EERKSH_lbbbEUlllE1_EE10hipError_tPvRmT2_T3_mT4_P12ihipStream_tbEUlmE_lEESB_NS0_8identityIvEEEESM_SP_SQ_mSR_ST_bEUlT_E_NS1_11comp_targetILNS1_3genE3ELNS1_11target_archE908ELNS1_3gpuE7ELNS1_3repE0EEENS1_30default_config_static_selectorELNS0_4arch9wavefront6targetE0EEEvT1_.has_dyn_sized_stack, 0
	.set _ZN7rocprim17ROCPRIM_400000_NS6detail17trampoline_kernelINS0_14default_configENS1_25transform_config_selectorIlLb0EEEZNS1_14transform_implILb0ES3_S5_NS0_18transform_iteratorINS0_17counting_iteratorImlEEZNS1_24adjacent_difference_implIS3_Lb1ELb0EPlSB_ZN2at6native12_GLOBAL__N_124unique_dim_cuda_templateIfEESt5tupleIJNSC_6TensorESH_SH_EERKSH_lbbbEUlllE1_EE10hipError_tPvRmT2_T3_mT4_P12ihipStream_tbEUlmE_lEESB_NS0_8identityIvEEEESM_SP_SQ_mSR_ST_bEUlT_E_NS1_11comp_targetILNS1_3genE3ELNS1_11target_archE908ELNS1_3gpuE7ELNS1_3repE0EEENS1_30default_config_static_selectorELNS0_4arch9wavefront6targetE0EEEvT1_.has_recursion, 0
	.set _ZN7rocprim17ROCPRIM_400000_NS6detail17trampoline_kernelINS0_14default_configENS1_25transform_config_selectorIlLb0EEEZNS1_14transform_implILb0ES3_S5_NS0_18transform_iteratorINS0_17counting_iteratorImlEEZNS1_24adjacent_difference_implIS3_Lb1ELb0EPlSB_ZN2at6native12_GLOBAL__N_124unique_dim_cuda_templateIfEESt5tupleIJNSC_6TensorESH_SH_EERKSH_lbbbEUlllE1_EE10hipError_tPvRmT2_T3_mT4_P12ihipStream_tbEUlmE_lEESB_NS0_8identityIvEEEESM_SP_SQ_mSR_ST_bEUlT_E_NS1_11comp_targetILNS1_3genE3ELNS1_11target_archE908ELNS1_3gpuE7ELNS1_3repE0EEENS1_30default_config_static_selectorELNS0_4arch9wavefront6targetE0EEEvT1_.has_indirect_call, 0
	.section	.AMDGPU.csdata,"",@progbits
; Kernel info:
; codeLenInByte = 0
; TotalNumSgprs: 0
; NumVgprs: 0
; ScratchSize: 0
; MemoryBound: 0
; FloatMode: 240
; IeeeMode: 1
; LDSByteSize: 0 bytes/workgroup (compile time only)
; SGPRBlocks: 0
; VGPRBlocks: 0
; NumSGPRsForWavesPerEU: 1
; NumVGPRsForWavesPerEU: 1
; NamedBarCnt: 0
; Occupancy: 16
; WaveLimiterHint : 0
; COMPUTE_PGM_RSRC2:SCRATCH_EN: 0
; COMPUTE_PGM_RSRC2:USER_SGPR: 2
; COMPUTE_PGM_RSRC2:TRAP_HANDLER: 0
; COMPUTE_PGM_RSRC2:TGID_X_EN: 1
; COMPUTE_PGM_RSRC2:TGID_Y_EN: 0
; COMPUTE_PGM_RSRC2:TGID_Z_EN: 0
; COMPUTE_PGM_RSRC2:TIDIG_COMP_CNT: 0
	.section	.text._ZN7rocprim17ROCPRIM_400000_NS6detail17trampoline_kernelINS0_14default_configENS1_25transform_config_selectorIlLb0EEEZNS1_14transform_implILb0ES3_S5_NS0_18transform_iteratorINS0_17counting_iteratorImlEEZNS1_24adjacent_difference_implIS3_Lb1ELb0EPlSB_ZN2at6native12_GLOBAL__N_124unique_dim_cuda_templateIfEESt5tupleIJNSC_6TensorESH_SH_EERKSH_lbbbEUlllE1_EE10hipError_tPvRmT2_T3_mT4_P12ihipStream_tbEUlmE_lEESB_NS0_8identityIvEEEESM_SP_SQ_mSR_ST_bEUlT_E_NS1_11comp_targetILNS1_3genE2ELNS1_11target_archE906ELNS1_3gpuE6ELNS1_3repE0EEENS1_30default_config_static_selectorELNS0_4arch9wavefront6targetE0EEEvT1_,"axG",@progbits,_ZN7rocprim17ROCPRIM_400000_NS6detail17trampoline_kernelINS0_14default_configENS1_25transform_config_selectorIlLb0EEEZNS1_14transform_implILb0ES3_S5_NS0_18transform_iteratorINS0_17counting_iteratorImlEEZNS1_24adjacent_difference_implIS3_Lb1ELb0EPlSB_ZN2at6native12_GLOBAL__N_124unique_dim_cuda_templateIfEESt5tupleIJNSC_6TensorESH_SH_EERKSH_lbbbEUlllE1_EE10hipError_tPvRmT2_T3_mT4_P12ihipStream_tbEUlmE_lEESB_NS0_8identityIvEEEESM_SP_SQ_mSR_ST_bEUlT_E_NS1_11comp_targetILNS1_3genE2ELNS1_11target_archE906ELNS1_3gpuE6ELNS1_3repE0EEENS1_30default_config_static_selectorELNS0_4arch9wavefront6targetE0EEEvT1_,comdat
	.globl	_ZN7rocprim17ROCPRIM_400000_NS6detail17trampoline_kernelINS0_14default_configENS1_25transform_config_selectorIlLb0EEEZNS1_14transform_implILb0ES3_S5_NS0_18transform_iteratorINS0_17counting_iteratorImlEEZNS1_24adjacent_difference_implIS3_Lb1ELb0EPlSB_ZN2at6native12_GLOBAL__N_124unique_dim_cuda_templateIfEESt5tupleIJNSC_6TensorESH_SH_EERKSH_lbbbEUlllE1_EE10hipError_tPvRmT2_T3_mT4_P12ihipStream_tbEUlmE_lEESB_NS0_8identityIvEEEESM_SP_SQ_mSR_ST_bEUlT_E_NS1_11comp_targetILNS1_3genE2ELNS1_11target_archE906ELNS1_3gpuE6ELNS1_3repE0EEENS1_30default_config_static_selectorELNS0_4arch9wavefront6targetE0EEEvT1_ ; -- Begin function _ZN7rocprim17ROCPRIM_400000_NS6detail17trampoline_kernelINS0_14default_configENS1_25transform_config_selectorIlLb0EEEZNS1_14transform_implILb0ES3_S5_NS0_18transform_iteratorINS0_17counting_iteratorImlEEZNS1_24adjacent_difference_implIS3_Lb1ELb0EPlSB_ZN2at6native12_GLOBAL__N_124unique_dim_cuda_templateIfEESt5tupleIJNSC_6TensorESH_SH_EERKSH_lbbbEUlllE1_EE10hipError_tPvRmT2_T3_mT4_P12ihipStream_tbEUlmE_lEESB_NS0_8identityIvEEEESM_SP_SQ_mSR_ST_bEUlT_E_NS1_11comp_targetILNS1_3genE2ELNS1_11target_archE906ELNS1_3gpuE6ELNS1_3repE0EEENS1_30default_config_static_selectorELNS0_4arch9wavefront6targetE0EEEvT1_
	.p2align	8
	.type	_ZN7rocprim17ROCPRIM_400000_NS6detail17trampoline_kernelINS0_14default_configENS1_25transform_config_selectorIlLb0EEEZNS1_14transform_implILb0ES3_S5_NS0_18transform_iteratorINS0_17counting_iteratorImlEEZNS1_24adjacent_difference_implIS3_Lb1ELb0EPlSB_ZN2at6native12_GLOBAL__N_124unique_dim_cuda_templateIfEESt5tupleIJNSC_6TensorESH_SH_EERKSH_lbbbEUlllE1_EE10hipError_tPvRmT2_T3_mT4_P12ihipStream_tbEUlmE_lEESB_NS0_8identityIvEEEESM_SP_SQ_mSR_ST_bEUlT_E_NS1_11comp_targetILNS1_3genE2ELNS1_11target_archE906ELNS1_3gpuE6ELNS1_3repE0EEENS1_30default_config_static_selectorELNS0_4arch9wavefront6targetE0EEEvT1_,@function
_ZN7rocprim17ROCPRIM_400000_NS6detail17trampoline_kernelINS0_14default_configENS1_25transform_config_selectorIlLb0EEEZNS1_14transform_implILb0ES3_S5_NS0_18transform_iteratorINS0_17counting_iteratorImlEEZNS1_24adjacent_difference_implIS3_Lb1ELb0EPlSB_ZN2at6native12_GLOBAL__N_124unique_dim_cuda_templateIfEESt5tupleIJNSC_6TensorESH_SH_EERKSH_lbbbEUlllE1_EE10hipError_tPvRmT2_T3_mT4_P12ihipStream_tbEUlmE_lEESB_NS0_8identityIvEEEESM_SP_SQ_mSR_ST_bEUlT_E_NS1_11comp_targetILNS1_3genE2ELNS1_11target_archE906ELNS1_3gpuE6ELNS1_3repE0EEENS1_30default_config_static_selectorELNS0_4arch9wavefront6targetE0EEEvT1_: ; @_ZN7rocprim17ROCPRIM_400000_NS6detail17trampoline_kernelINS0_14default_configENS1_25transform_config_selectorIlLb0EEEZNS1_14transform_implILb0ES3_S5_NS0_18transform_iteratorINS0_17counting_iteratorImlEEZNS1_24adjacent_difference_implIS3_Lb1ELb0EPlSB_ZN2at6native12_GLOBAL__N_124unique_dim_cuda_templateIfEESt5tupleIJNSC_6TensorESH_SH_EERKSH_lbbbEUlllE1_EE10hipError_tPvRmT2_T3_mT4_P12ihipStream_tbEUlmE_lEESB_NS0_8identityIvEEEESM_SP_SQ_mSR_ST_bEUlT_E_NS1_11comp_targetILNS1_3genE2ELNS1_11target_archE906ELNS1_3gpuE6ELNS1_3repE0EEENS1_30default_config_static_selectorELNS0_4arch9wavefront6targetE0EEEvT1_
; %bb.0:
	.section	.rodata,"a",@progbits
	.p2align	6, 0x0
	.amdhsa_kernel _ZN7rocprim17ROCPRIM_400000_NS6detail17trampoline_kernelINS0_14default_configENS1_25transform_config_selectorIlLb0EEEZNS1_14transform_implILb0ES3_S5_NS0_18transform_iteratorINS0_17counting_iteratorImlEEZNS1_24adjacent_difference_implIS3_Lb1ELb0EPlSB_ZN2at6native12_GLOBAL__N_124unique_dim_cuda_templateIfEESt5tupleIJNSC_6TensorESH_SH_EERKSH_lbbbEUlllE1_EE10hipError_tPvRmT2_T3_mT4_P12ihipStream_tbEUlmE_lEESB_NS0_8identityIvEEEESM_SP_SQ_mSR_ST_bEUlT_E_NS1_11comp_targetILNS1_3genE2ELNS1_11target_archE906ELNS1_3gpuE6ELNS1_3repE0EEENS1_30default_config_static_selectorELNS0_4arch9wavefront6targetE0EEEvT1_
		.amdhsa_group_segment_fixed_size 0
		.amdhsa_private_segment_fixed_size 0
		.amdhsa_kernarg_size 56
		.amdhsa_user_sgpr_count 2
		.amdhsa_user_sgpr_dispatch_ptr 0
		.amdhsa_user_sgpr_queue_ptr 0
		.amdhsa_user_sgpr_kernarg_segment_ptr 1
		.amdhsa_user_sgpr_dispatch_id 0
		.amdhsa_user_sgpr_kernarg_preload_length 0
		.amdhsa_user_sgpr_kernarg_preload_offset 0
		.amdhsa_user_sgpr_private_segment_size 0
		.amdhsa_wavefront_size32 1
		.amdhsa_uses_dynamic_stack 0
		.amdhsa_enable_private_segment 0
		.amdhsa_system_sgpr_workgroup_id_x 1
		.amdhsa_system_sgpr_workgroup_id_y 0
		.amdhsa_system_sgpr_workgroup_id_z 0
		.amdhsa_system_sgpr_workgroup_info 0
		.amdhsa_system_vgpr_workitem_id 0
		.amdhsa_next_free_vgpr 1
		.amdhsa_next_free_sgpr 1
		.amdhsa_named_barrier_count 0
		.amdhsa_reserve_vcc 0
		.amdhsa_float_round_mode_32 0
		.amdhsa_float_round_mode_16_64 0
		.amdhsa_float_denorm_mode_32 3
		.amdhsa_float_denorm_mode_16_64 3
		.amdhsa_fp16_overflow 0
		.amdhsa_memory_ordered 1
		.amdhsa_forward_progress 1
		.amdhsa_inst_pref_size 0
		.amdhsa_round_robin_scheduling 0
		.amdhsa_exception_fp_ieee_invalid_op 0
		.amdhsa_exception_fp_denorm_src 0
		.amdhsa_exception_fp_ieee_div_zero 0
		.amdhsa_exception_fp_ieee_overflow 0
		.amdhsa_exception_fp_ieee_underflow 0
		.amdhsa_exception_fp_ieee_inexact 0
		.amdhsa_exception_int_div_zero 0
	.end_amdhsa_kernel
	.section	.text._ZN7rocprim17ROCPRIM_400000_NS6detail17trampoline_kernelINS0_14default_configENS1_25transform_config_selectorIlLb0EEEZNS1_14transform_implILb0ES3_S5_NS0_18transform_iteratorINS0_17counting_iteratorImlEEZNS1_24adjacent_difference_implIS3_Lb1ELb0EPlSB_ZN2at6native12_GLOBAL__N_124unique_dim_cuda_templateIfEESt5tupleIJNSC_6TensorESH_SH_EERKSH_lbbbEUlllE1_EE10hipError_tPvRmT2_T3_mT4_P12ihipStream_tbEUlmE_lEESB_NS0_8identityIvEEEESM_SP_SQ_mSR_ST_bEUlT_E_NS1_11comp_targetILNS1_3genE2ELNS1_11target_archE906ELNS1_3gpuE6ELNS1_3repE0EEENS1_30default_config_static_selectorELNS0_4arch9wavefront6targetE0EEEvT1_,"axG",@progbits,_ZN7rocprim17ROCPRIM_400000_NS6detail17trampoline_kernelINS0_14default_configENS1_25transform_config_selectorIlLb0EEEZNS1_14transform_implILb0ES3_S5_NS0_18transform_iteratorINS0_17counting_iteratorImlEEZNS1_24adjacent_difference_implIS3_Lb1ELb0EPlSB_ZN2at6native12_GLOBAL__N_124unique_dim_cuda_templateIfEESt5tupleIJNSC_6TensorESH_SH_EERKSH_lbbbEUlllE1_EE10hipError_tPvRmT2_T3_mT4_P12ihipStream_tbEUlmE_lEESB_NS0_8identityIvEEEESM_SP_SQ_mSR_ST_bEUlT_E_NS1_11comp_targetILNS1_3genE2ELNS1_11target_archE906ELNS1_3gpuE6ELNS1_3repE0EEENS1_30default_config_static_selectorELNS0_4arch9wavefront6targetE0EEEvT1_,comdat
.Lfunc_end916:
	.size	_ZN7rocprim17ROCPRIM_400000_NS6detail17trampoline_kernelINS0_14default_configENS1_25transform_config_selectorIlLb0EEEZNS1_14transform_implILb0ES3_S5_NS0_18transform_iteratorINS0_17counting_iteratorImlEEZNS1_24adjacent_difference_implIS3_Lb1ELb0EPlSB_ZN2at6native12_GLOBAL__N_124unique_dim_cuda_templateIfEESt5tupleIJNSC_6TensorESH_SH_EERKSH_lbbbEUlllE1_EE10hipError_tPvRmT2_T3_mT4_P12ihipStream_tbEUlmE_lEESB_NS0_8identityIvEEEESM_SP_SQ_mSR_ST_bEUlT_E_NS1_11comp_targetILNS1_3genE2ELNS1_11target_archE906ELNS1_3gpuE6ELNS1_3repE0EEENS1_30default_config_static_selectorELNS0_4arch9wavefront6targetE0EEEvT1_, .Lfunc_end916-_ZN7rocprim17ROCPRIM_400000_NS6detail17trampoline_kernelINS0_14default_configENS1_25transform_config_selectorIlLb0EEEZNS1_14transform_implILb0ES3_S5_NS0_18transform_iteratorINS0_17counting_iteratorImlEEZNS1_24adjacent_difference_implIS3_Lb1ELb0EPlSB_ZN2at6native12_GLOBAL__N_124unique_dim_cuda_templateIfEESt5tupleIJNSC_6TensorESH_SH_EERKSH_lbbbEUlllE1_EE10hipError_tPvRmT2_T3_mT4_P12ihipStream_tbEUlmE_lEESB_NS0_8identityIvEEEESM_SP_SQ_mSR_ST_bEUlT_E_NS1_11comp_targetILNS1_3genE2ELNS1_11target_archE906ELNS1_3gpuE6ELNS1_3repE0EEENS1_30default_config_static_selectorELNS0_4arch9wavefront6targetE0EEEvT1_
                                        ; -- End function
	.set _ZN7rocprim17ROCPRIM_400000_NS6detail17trampoline_kernelINS0_14default_configENS1_25transform_config_selectorIlLb0EEEZNS1_14transform_implILb0ES3_S5_NS0_18transform_iteratorINS0_17counting_iteratorImlEEZNS1_24adjacent_difference_implIS3_Lb1ELb0EPlSB_ZN2at6native12_GLOBAL__N_124unique_dim_cuda_templateIfEESt5tupleIJNSC_6TensorESH_SH_EERKSH_lbbbEUlllE1_EE10hipError_tPvRmT2_T3_mT4_P12ihipStream_tbEUlmE_lEESB_NS0_8identityIvEEEESM_SP_SQ_mSR_ST_bEUlT_E_NS1_11comp_targetILNS1_3genE2ELNS1_11target_archE906ELNS1_3gpuE6ELNS1_3repE0EEENS1_30default_config_static_selectorELNS0_4arch9wavefront6targetE0EEEvT1_.num_vgpr, 0
	.set _ZN7rocprim17ROCPRIM_400000_NS6detail17trampoline_kernelINS0_14default_configENS1_25transform_config_selectorIlLb0EEEZNS1_14transform_implILb0ES3_S5_NS0_18transform_iteratorINS0_17counting_iteratorImlEEZNS1_24adjacent_difference_implIS3_Lb1ELb0EPlSB_ZN2at6native12_GLOBAL__N_124unique_dim_cuda_templateIfEESt5tupleIJNSC_6TensorESH_SH_EERKSH_lbbbEUlllE1_EE10hipError_tPvRmT2_T3_mT4_P12ihipStream_tbEUlmE_lEESB_NS0_8identityIvEEEESM_SP_SQ_mSR_ST_bEUlT_E_NS1_11comp_targetILNS1_3genE2ELNS1_11target_archE906ELNS1_3gpuE6ELNS1_3repE0EEENS1_30default_config_static_selectorELNS0_4arch9wavefront6targetE0EEEvT1_.num_agpr, 0
	.set _ZN7rocprim17ROCPRIM_400000_NS6detail17trampoline_kernelINS0_14default_configENS1_25transform_config_selectorIlLb0EEEZNS1_14transform_implILb0ES3_S5_NS0_18transform_iteratorINS0_17counting_iteratorImlEEZNS1_24adjacent_difference_implIS3_Lb1ELb0EPlSB_ZN2at6native12_GLOBAL__N_124unique_dim_cuda_templateIfEESt5tupleIJNSC_6TensorESH_SH_EERKSH_lbbbEUlllE1_EE10hipError_tPvRmT2_T3_mT4_P12ihipStream_tbEUlmE_lEESB_NS0_8identityIvEEEESM_SP_SQ_mSR_ST_bEUlT_E_NS1_11comp_targetILNS1_3genE2ELNS1_11target_archE906ELNS1_3gpuE6ELNS1_3repE0EEENS1_30default_config_static_selectorELNS0_4arch9wavefront6targetE0EEEvT1_.numbered_sgpr, 0
	.set _ZN7rocprim17ROCPRIM_400000_NS6detail17trampoline_kernelINS0_14default_configENS1_25transform_config_selectorIlLb0EEEZNS1_14transform_implILb0ES3_S5_NS0_18transform_iteratorINS0_17counting_iteratorImlEEZNS1_24adjacent_difference_implIS3_Lb1ELb0EPlSB_ZN2at6native12_GLOBAL__N_124unique_dim_cuda_templateIfEESt5tupleIJNSC_6TensorESH_SH_EERKSH_lbbbEUlllE1_EE10hipError_tPvRmT2_T3_mT4_P12ihipStream_tbEUlmE_lEESB_NS0_8identityIvEEEESM_SP_SQ_mSR_ST_bEUlT_E_NS1_11comp_targetILNS1_3genE2ELNS1_11target_archE906ELNS1_3gpuE6ELNS1_3repE0EEENS1_30default_config_static_selectorELNS0_4arch9wavefront6targetE0EEEvT1_.num_named_barrier, 0
	.set _ZN7rocprim17ROCPRIM_400000_NS6detail17trampoline_kernelINS0_14default_configENS1_25transform_config_selectorIlLb0EEEZNS1_14transform_implILb0ES3_S5_NS0_18transform_iteratorINS0_17counting_iteratorImlEEZNS1_24adjacent_difference_implIS3_Lb1ELb0EPlSB_ZN2at6native12_GLOBAL__N_124unique_dim_cuda_templateIfEESt5tupleIJNSC_6TensorESH_SH_EERKSH_lbbbEUlllE1_EE10hipError_tPvRmT2_T3_mT4_P12ihipStream_tbEUlmE_lEESB_NS0_8identityIvEEEESM_SP_SQ_mSR_ST_bEUlT_E_NS1_11comp_targetILNS1_3genE2ELNS1_11target_archE906ELNS1_3gpuE6ELNS1_3repE0EEENS1_30default_config_static_selectorELNS0_4arch9wavefront6targetE0EEEvT1_.private_seg_size, 0
	.set _ZN7rocprim17ROCPRIM_400000_NS6detail17trampoline_kernelINS0_14default_configENS1_25transform_config_selectorIlLb0EEEZNS1_14transform_implILb0ES3_S5_NS0_18transform_iteratorINS0_17counting_iteratorImlEEZNS1_24adjacent_difference_implIS3_Lb1ELb0EPlSB_ZN2at6native12_GLOBAL__N_124unique_dim_cuda_templateIfEESt5tupleIJNSC_6TensorESH_SH_EERKSH_lbbbEUlllE1_EE10hipError_tPvRmT2_T3_mT4_P12ihipStream_tbEUlmE_lEESB_NS0_8identityIvEEEESM_SP_SQ_mSR_ST_bEUlT_E_NS1_11comp_targetILNS1_3genE2ELNS1_11target_archE906ELNS1_3gpuE6ELNS1_3repE0EEENS1_30default_config_static_selectorELNS0_4arch9wavefront6targetE0EEEvT1_.uses_vcc, 0
	.set _ZN7rocprim17ROCPRIM_400000_NS6detail17trampoline_kernelINS0_14default_configENS1_25transform_config_selectorIlLb0EEEZNS1_14transform_implILb0ES3_S5_NS0_18transform_iteratorINS0_17counting_iteratorImlEEZNS1_24adjacent_difference_implIS3_Lb1ELb0EPlSB_ZN2at6native12_GLOBAL__N_124unique_dim_cuda_templateIfEESt5tupleIJNSC_6TensorESH_SH_EERKSH_lbbbEUlllE1_EE10hipError_tPvRmT2_T3_mT4_P12ihipStream_tbEUlmE_lEESB_NS0_8identityIvEEEESM_SP_SQ_mSR_ST_bEUlT_E_NS1_11comp_targetILNS1_3genE2ELNS1_11target_archE906ELNS1_3gpuE6ELNS1_3repE0EEENS1_30default_config_static_selectorELNS0_4arch9wavefront6targetE0EEEvT1_.uses_flat_scratch, 0
	.set _ZN7rocprim17ROCPRIM_400000_NS6detail17trampoline_kernelINS0_14default_configENS1_25transform_config_selectorIlLb0EEEZNS1_14transform_implILb0ES3_S5_NS0_18transform_iteratorINS0_17counting_iteratorImlEEZNS1_24adjacent_difference_implIS3_Lb1ELb0EPlSB_ZN2at6native12_GLOBAL__N_124unique_dim_cuda_templateIfEESt5tupleIJNSC_6TensorESH_SH_EERKSH_lbbbEUlllE1_EE10hipError_tPvRmT2_T3_mT4_P12ihipStream_tbEUlmE_lEESB_NS0_8identityIvEEEESM_SP_SQ_mSR_ST_bEUlT_E_NS1_11comp_targetILNS1_3genE2ELNS1_11target_archE906ELNS1_3gpuE6ELNS1_3repE0EEENS1_30default_config_static_selectorELNS0_4arch9wavefront6targetE0EEEvT1_.has_dyn_sized_stack, 0
	.set _ZN7rocprim17ROCPRIM_400000_NS6detail17trampoline_kernelINS0_14default_configENS1_25transform_config_selectorIlLb0EEEZNS1_14transform_implILb0ES3_S5_NS0_18transform_iteratorINS0_17counting_iteratorImlEEZNS1_24adjacent_difference_implIS3_Lb1ELb0EPlSB_ZN2at6native12_GLOBAL__N_124unique_dim_cuda_templateIfEESt5tupleIJNSC_6TensorESH_SH_EERKSH_lbbbEUlllE1_EE10hipError_tPvRmT2_T3_mT4_P12ihipStream_tbEUlmE_lEESB_NS0_8identityIvEEEESM_SP_SQ_mSR_ST_bEUlT_E_NS1_11comp_targetILNS1_3genE2ELNS1_11target_archE906ELNS1_3gpuE6ELNS1_3repE0EEENS1_30default_config_static_selectorELNS0_4arch9wavefront6targetE0EEEvT1_.has_recursion, 0
	.set _ZN7rocprim17ROCPRIM_400000_NS6detail17trampoline_kernelINS0_14default_configENS1_25transform_config_selectorIlLb0EEEZNS1_14transform_implILb0ES3_S5_NS0_18transform_iteratorINS0_17counting_iteratorImlEEZNS1_24adjacent_difference_implIS3_Lb1ELb0EPlSB_ZN2at6native12_GLOBAL__N_124unique_dim_cuda_templateIfEESt5tupleIJNSC_6TensorESH_SH_EERKSH_lbbbEUlllE1_EE10hipError_tPvRmT2_T3_mT4_P12ihipStream_tbEUlmE_lEESB_NS0_8identityIvEEEESM_SP_SQ_mSR_ST_bEUlT_E_NS1_11comp_targetILNS1_3genE2ELNS1_11target_archE906ELNS1_3gpuE6ELNS1_3repE0EEENS1_30default_config_static_selectorELNS0_4arch9wavefront6targetE0EEEvT1_.has_indirect_call, 0
	.section	.AMDGPU.csdata,"",@progbits
; Kernel info:
; codeLenInByte = 0
; TotalNumSgprs: 0
; NumVgprs: 0
; ScratchSize: 0
; MemoryBound: 0
; FloatMode: 240
; IeeeMode: 1
; LDSByteSize: 0 bytes/workgroup (compile time only)
; SGPRBlocks: 0
; VGPRBlocks: 0
; NumSGPRsForWavesPerEU: 1
; NumVGPRsForWavesPerEU: 1
; NamedBarCnt: 0
; Occupancy: 16
; WaveLimiterHint : 0
; COMPUTE_PGM_RSRC2:SCRATCH_EN: 0
; COMPUTE_PGM_RSRC2:USER_SGPR: 2
; COMPUTE_PGM_RSRC2:TRAP_HANDLER: 0
; COMPUTE_PGM_RSRC2:TGID_X_EN: 1
; COMPUTE_PGM_RSRC2:TGID_Y_EN: 0
; COMPUTE_PGM_RSRC2:TGID_Z_EN: 0
; COMPUTE_PGM_RSRC2:TIDIG_COMP_CNT: 0
	.section	.text._ZN7rocprim17ROCPRIM_400000_NS6detail17trampoline_kernelINS0_14default_configENS1_25transform_config_selectorIlLb0EEEZNS1_14transform_implILb0ES3_S5_NS0_18transform_iteratorINS0_17counting_iteratorImlEEZNS1_24adjacent_difference_implIS3_Lb1ELb0EPlSB_ZN2at6native12_GLOBAL__N_124unique_dim_cuda_templateIfEESt5tupleIJNSC_6TensorESH_SH_EERKSH_lbbbEUlllE1_EE10hipError_tPvRmT2_T3_mT4_P12ihipStream_tbEUlmE_lEESB_NS0_8identityIvEEEESM_SP_SQ_mSR_ST_bEUlT_E_NS1_11comp_targetILNS1_3genE10ELNS1_11target_archE1201ELNS1_3gpuE5ELNS1_3repE0EEENS1_30default_config_static_selectorELNS0_4arch9wavefront6targetE0EEEvT1_,"axG",@progbits,_ZN7rocprim17ROCPRIM_400000_NS6detail17trampoline_kernelINS0_14default_configENS1_25transform_config_selectorIlLb0EEEZNS1_14transform_implILb0ES3_S5_NS0_18transform_iteratorINS0_17counting_iteratorImlEEZNS1_24adjacent_difference_implIS3_Lb1ELb0EPlSB_ZN2at6native12_GLOBAL__N_124unique_dim_cuda_templateIfEESt5tupleIJNSC_6TensorESH_SH_EERKSH_lbbbEUlllE1_EE10hipError_tPvRmT2_T3_mT4_P12ihipStream_tbEUlmE_lEESB_NS0_8identityIvEEEESM_SP_SQ_mSR_ST_bEUlT_E_NS1_11comp_targetILNS1_3genE10ELNS1_11target_archE1201ELNS1_3gpuE5ELNS1_3repE0EEENS1_30default_config_static_selectorELNS0_4arch9wavefront6targetE0EEEvT1_,comdat
	.globl	_ZN7rocprim17ROCPRIM_400000_NS6detail17trampoline_kernelINS0_14default_configENS1_25transform_config_selectorIlLb0EEEZNS1_14transform_implILb0ES3_S5_NS0_18transform_iteratorINS0_17counting_iteratorImlEEZNS1_24adjacent_difference_implIS3_Lb1ELb0EPlSB_ZN2at6native12_GLOBAL__N_124unique_dim_cuda_templateIfEESt5tupleIJNSC_6TensorESH_SH_EERKSH_lbbbEUlllE1_EE10hipError_tPvRmT2_T3_mT4_P12ihipStream_tbEUlmE_lEESB_NS0_8identityIvEEEESM_SP_SQ_mSR_ST_bEUlT_E_NS1_11comp_targetILNS1_3genE10ELNS1_11target_archE1201ELNS1_3gpuE5ELNS1_3repE0EEENS1_30default_config_static_selectorELNS0_4arch9wavefront6targetE0EEEvT1_ ; -- Begin function _ZN7rocprim17ROCPRIM_400000_NS6detail17trampoline_kernelINS0_14default_configENS1_25transform_config_selectorIlLb0EEEZNS1_14transform_implILb0ES3_S5_NS0_18transform_iteratorINS0_17counting_iteratorImlEEZNS1_24adjacent_difference_implIS3_Lb1ELb0EPlSB_ZN2at6native12_GLOBAL__N_124unique_dim_cuda_templateIfEESt5tupleIJNSC_6TensorESH_SH_EERKSH_lbbbEUlllE1_EE10hipError_tPvRmT2_T3_mT4_P12ihipStream_tbEUlmE_lEESB_NS0_8identityIvEEEESM_SP_SQ_mSR_ST_bEUlT_E_NS1_11comp_targetILNS1_3genE10ELNS1_11target_archE1201ELNS1_3gpuE5ELNS1_3repE0EEENS1_30default_config_static_selectorELNS0_4arch9wavefront6targetE0EEEvT1_
	.p2align	8
	.type	_ZN7rocprim17ROCPRIM_400000_NS6detail17trampoline_kernelINS0_14default_configENS1_25transform_config_selectorIlLb0EEEZNS1_14transform_implILb0ES3_S5_NS0_18transform_iteratorINS0_17counting_iteratorImlEEZNS1_24adjacent_difference_implIS3_Lb1ELb0EPlSB_ZN2at6native12_GLOBAL__N_124unique_dim_cuda_templateIfEESt5tupleIJNSC_6TensorESH_SH_EERKSH_lbbbEUlllE1_EE10hipError_tPvRmT2_T3_mT4_P12ihipStream_tbEUlmE_lEESB_NS0_8identityIvEEEESM_SP_SQ_mSR_ST_bEUlT_E_NS1_11comp_targetILNS1_3genE10ELNS1_11target_archE1201ELNS1_3gpuE5ELNS1_3repE0EEENS1_30default_config_static_selectorELNS0_4arch9wavefront6targetE0EEEvT1_,@function
_ZN7rocprim17ROCPRIM_400000_NS6detail17trampoline_kernelINS0_14default_configENS1_25transform_config_selectorIlLb0EEEZNS1_14transform_implILb0ES3_S5_NS0_18transform_iteratorINS0_17counting_iteratorImlEEZNS1_24adjacent_difference_implIS3_Lb1ELb0EPlSB_ZN2at6native12_GLOBAL__N_124unique_dim_cuda_templateIfEESt5tupleIJNSC_6TensorESH_SH_EERKSH_lbbbEUlllE1_EE10hipError_tPvRmT2_T3_mT4_P12ihipStream_tbEUlmE_lEESB_NS0_8identityIvEEEESM_SP_SQ_mSR_ST_bEUlT_E_NS1_11comp_targetILNS1_3genE10ELNS1_11target_archE1201ELNS1_3gpuE5ELNS1_3repE0EEENS1_30default_config_static_selectorELNS0_4arch9wavefront6targetE0EEEvT1_: ; @_ZN7rocprim17ROCPRIM_400000_NS6detail17trampoline_kernelINS0_14default_configENS1_25transform_config_selectorIlLb0EEEZNS1_14transform_implILb0ES3_S5_NS0_18transform_iteratorINS0_17counting_iteratorImlEEZNS1_24adjacent_difference_implIS3_Lb1ELb0EPlSB_ZN2at6native12_GLOBAL__N_124unique_dim_cuda_templateIfEESt5tupleIJNSC_6TensorESH_SH_EERKSH_lbbbEUlllE1_EE10hipError_tPvRmT2_T3_mT4_P12ihipStream_tbEUlmE_lEESB_NS0_8identityIvEEEESM_SP_SQ_mSR_ST_bEUlT_E_NS1_11comp_targetILNS1_3genE10ELNS1_11target_archE1201ELNS1_3gpuE5ELNS1_3repE0EEENS1_30default_config_static_selectorELNS0_4arch9wavefront6targetE0EEEvT1_
; %bb.0:
	.section	.rodata,"a",@progbits
	.p2align	6, 0x0
	.amdhsa_kernel _ZN7rocprim17ROCPRIM_400000_NS6detail17trampoline_kernelINS0_14default_configENS1_25transform_config_selectorIlLb0EEEZNS1_14transform_implILb0ES3_S5_NS0_18transform_iteratorINS0_17counting_iteratorImlEEZNS1_24adjacent_difference_implIS3_Lb1ELb0EPlSB_ZN2at6native12_GLOBAL__N_124unique_dim_cuda_templateIfEESt5tupleIJNSC_6TensorESH_SH_EERKSH_lbbbEUlllE1_EE10hipError_tPvRmT2_T3_mT4_P12ihipStream_tbEUlmE_lEESB_NS0_8identityIvEEEESM_SP_SQ_mSR_ST_bEUlT_E_NS1_11comp_targetILNS1_3genE10ELNS1_11target_archE1201ELNS1_3gpuE5ELNS1_3repE0EEENS1_30default_config_static_selectorELNS0_4arch9wavefront6targetE0EEEvT1_
		.amdhsa_group_segment_fixed_size 0
		.amdhsa_private_segment_fixed_size 0
		.amdhsa_kernarg_size 56
		.amdhsa_user_sgpr_count 2
		.amdhsa_user_sgpr_dispatch_ptr 0
		.amdhsa_user_sgpr_queue_ptr 0
		.amdhsa_user_sgpr_kernarg_segment_ptr 1
		.amdhsa_user_sgpr_dispatch_id 0
		.amdhsa_user_sgpr_kernarg_preload_length 0
		.amdhsa_user_sgpr_kernarg_preload_offset 0
		.amdhsa_user_sgpr_private_segment_size 0
		.amdhsa_wavefront_size32 1
		.amdhsa_uses_dynamic_stack 0
		.amdhsa_enable_private_segment 0
		.amdhsa_system_sgpr_workgroup_id_x 1
		.amdhsa_system_sgpr_workgroup_id_y 0
		.amdhsa_system_sgpr_workgroup_id_z 0
		.amdhsa_system_sgpr_workgroup_info 0
		.amdhsa_system_vgpr_workitem_id 0
		.amdhsa_next_free_vgpr 1
		.amdhsa_next_free_sgpr 1
		.amdhsa_named_barrier_count 0
		.amdhsa_reserve_vcc 0
		.amdhsa_float_round_mode_32 0
		.amdhsa_float_round_mode_16_64 0
		.amdhsa_float_denorm_mode_32 3
		.amdhsa_float_denorm_mode_16_64 3
		.amdhsa_fp16_overflow 0
		.amdhsa_memory_ordered 1
		.amdhsa_forward_progress 1
		.amdhsa_inst_pref_size 0
		.amdhsa_round_robin_scheduling 0
		.amdhsa_exception_fp_ieee_invalid_op 0
		.amdhsa_exception_fp_denorm_src 0
		.amdhsa_exception_fp_ieee_div_zero 0
		.amdhsa_exception_fp_ieee_overflow 0
		.amdhsa_exception_fp_ieee_underflow 0
		.amdhsa_exception_fp_ieee_inexact 0
		.amdhsa_exception_int_div_zero 0
	.end_amdhsa_kernel
	.section	.text._ZN7rocprim17ROCPRIM_400000_NS6detail17trampoline_kernelINS0_14default_configENS1_25transform_config_selectorIlLb0EEEZNS1_14transform_implILb0ES3_S5_NS0_18transform_iteratorINS0_17counting_iteratorImlEEZNS1_24adjacent_difference_implIS3_Lb1ELb0EPlSB_ZN2at6native12_GLOBAL__N_124unique_dim_cuda_templateIfEESt5tupleIJNSC_6TensorESH_SH_EERKSH_lbbbEUlllE1_EE10hipError_tPvRmT2_T3_mT4_P12ihipStream_tbEUlmE_lEESB_NS0_8identityIvEEEESM_SP_SQ_mSR_ST_bEUlT_E_NS1_11comp_targetILNS1_3genE10ELNS1_11target_archE1201ELNS1_3gpuE5ELNS1_3repE0EEENS1_30default_config_static_selectorELNS0_4arch9wavefront6targetE0EEEvT1_,"axG",@progbits,_ZN7rocprim17ROCPRIM_400000_NS6detail17trampoline_kernelINS0_14default_configENS1_25transform_config_selectorIlLb0EEEZNS1_14transform_implILb0ES3_S5_NS0_18transform_iteratorINS0_17counting_iteratorImlEEZNS1_24adjacent_difference_implIS3_Lb1ELb0EPlSB_ZN2at6native12_GLOBAL__N_124unique_dim_cuda_templateIfEESt5tupleIJNSC_6TensorESH_SH_EERKSH_lbbbEUlllE1_EE10hipError_tPvRmT2_T3_mT4_P12ihipStream_tbEUlmE_lEESB_NS0_8identityIvEEEESM_SP_SQ_mSR_ST_bEUlT_E_NS1_11comp_targetILNS1_3genE10ELNS1_11target_archE1201ELNS1_3gpuE5ELNS1_3repE0EEENS1_30default_config_static_selectorELNS0_4arch9wavefront6targetE0EEEvT1_,comdat
.Lfunc_end917:
	.size	_ZN7rocprim17ROCPRIM_400000_NS6detail17trampoline_kernelINS0_14default_configENS1_25transform_config_selectorIlLb0EEEZNS1_14transform_implILb0ES3_S5_NS0_18transform_iteratorINS0_17counting_iteratorImlEEZNS1_24adjacent_difference_implIS3_Lb1ELb0EPlSB_ZN2at6native12_GLOBAL__N_124unique_dim_cuda_templateIfEESt5tupleIJNSC_6TensorESH_SH_EERKSH_lbbbEUlllE1_EE10hipError_tPvRmT2_T3_mT4_P12ihipStream_tbEUlmE_lEESB_NS0_8identityIvEEEESM_SP_SQ_mSR_ST_bEUlT_E_NS1_11comp_targetILNS1_3genE10ELNS1_11target_archE1201ELNS1_3gpuE5ELNS1_3repE0EEENS1_30default_config_static_selectorELNS0_4arch9wavefront6targetE0EEEvT1_, .Lfunc_end917-_ZN7rocprim17ROCPRIM_400000_NS6detail17trampoline_kernelINS0_14default_configENS1_25transform_config_selectorIlLb0EEEZNS1_14transform_implILb0ES3_S5_NS0_18transform_iteratorINS0_17counting_iteratorImlEEZNS1_24adjacent_difference_implIS3_Lb1ELb0EPlSB_ZN2at6native12_GLOBAL__N_124unique_dim_cuda_templateIfEESt5tupleIJNSC_6TensorESH_SH_EERKSH_lbbbEUlllE1_EE10hipError_tPvRmT2_T3_mT4_P12ihipStream_tbEUlmE_lEESB_NS0_8identityIvEEEESM_SP_SQ_mSR_ST_bEUlT_E_NS1_11comp_targetILNS1_3genE10ELNS1_11target_archE1201ELNS1_3gpuE5ELNS1_3repE0EEENS1_30default_config_static_selectorELNS0_4arch9wavefront6targetE0EEEvT1_
                                        ; -- End function
	.set _ZN7rocprim17ROCPRIM_400000_NS6detail17trampoline_kernelINS0_14default_configENS1_25transform_config_selectorIlLb0EEEZNS1_14transform_implILb0ES3_S5_NS0_18transform_iteratorINS0_17counting_iteratorImlEEZNS1_24adjacent_difference_implIS3_Lb1ELb0EPlSB_ZN2at6native12_GLOBAL__N_124unique_dim_cuda_templateIfEESt5tupleIJNSC_6TensorESH_SH_EERKSH_lbbbEUlllE1_EE10hipError_tPvRmT2_T3_mT4_P12ihipStream_tbEUlmE_lEESB_NS0_8identityIvEEEESM_SP_SQ_mSR_ST_bEUlT_E_NS1_11comp_targetILNS1_3genE10ELNS1_11target_archE1201ELNS1_3gpuE5ELNS1_3repE0EEENS1_30default_config_static_selectorELNS0_4arch9wavefront6targetE0EEEvT1_.num_vgpr, 0
	.set _ZN7rocprim17ROCPRIM_400000_NS6detail17trampoline_kernelINS0_14default_configENS1_25transform_config_selectorIlLb0EEEZNS1_14transform_implILb0ES3_S5_NS0_18transform_iteratorINS0_17counting_iteratorImlEEZNS1_24adjacent_difference_implIS3_Lb1ELb0EPlSB_ZN2at6native12_GLOBAL__N_124unique_dim_cuda_templateIfEESt5tupleIJNSC_6TensorESH_SH_EERKSH_lbbbEUlllE1_EE10hipError_tPvRmT2_T3_mT4_P12ihipStream_tbEUlmE_lEESB_NS0_8identityIvEEEESM_SP_SQ_mSR_ST_bEUlT_E_NS1_11comp_targetILNS1_3genE10ELNS1_11target_archE1201ELNS1_3gpuE5ELNS1_3repE0EEENS1_30default_config_static_selectorELNS0_4arch9wavefront6targetE0EEEvT1_.num_agpr, 0
	.set _ZN7rocprim17ROCPRIM_400000_NS6detail17trampoline_kernelINS0_14default_configENS1_25transform_config_selectorIlLb0EEEZNS1_14transform_implILb0ES3_S5_NS0_18transform_iteratorINS0_17counting_iteratorImlEEZNS1_24adjacent_difference_implIS3_Lb1ELb0EPlSB_ZN2at6native12_GLOBAL__N_124unique_dim_cuda_templateIfEESt5tupleIJNSC_6TensorESH_SH_EERKSH_lbbbEUlllE1_EE10hipError_tPvRmT2_T3_mT4_P12ihipStream_tbEUlmE_lEESB_NS0_8identityIvEEEESM_SP_SQ_mSR_ST_bEUlT_E_NS1_11comp_targetILNS1_3genE10ELNS1_11target_archE1201ELNS1_3gpuE5ELNS1_3repE0EEENS1_30default_config_static_selectorELNS0_4arch9wavefront6targetE0EEEvT1_.numbered_sgpr, 0
	.set _ZN7rocprim17ROCPRIM_400000_NS6detail17trampoline_kernelINS0_14default_configENS1_25transform_config_selectorIlLb0EEEZNS1_14transform_implILb0ES3_S5_NS0_18transform_iteratorINS0_17counting_iteratorImlEEZNS1_24adjacent_difference_implIS3_Lb1ELb0EPlSB_ZN2at6native12_GLOBAL__N_124unique_dim_cuda_templateIfEESt5tupleIJNSC_6TensorESH_SH_EERKSH_lbbbEUlllE1_EE10hipError_tPvRmT2_T3_mT4_P12ihipStream_tbEUlmE_lEESB_NS0_8identityIvEEEESM_SP_SQ_mSR_ST_bEUlT_E_NS1_11comp_targetILNS1_3genE10ELNS1_11target_archE1201ELNS1_3gpuE5ELNS1_3repE0EEENS1_30default_config_static_selectorELNS0_4arch9wavefront6targetE0EEEvT1_.num_named_barrier, 0
	.set _ZN7rocprim17ROCPRIM_400000_NS6detail17trampoline_kernelINS0_14default_configENS1_25transform_config_selectorIlLb0EEEZNS1_14transform_implILb0ES3_S5_NS0_18transform_iteratorINS0_17counting_iteratorImlEEZNS1_24adjacent_difference_implIS3_Lb1ELb0EPlSB_ZN2at6native12_GLOBAL__N_124unique_dim_cuda_templateIfEESt5tupleIJNSC_6TensorESH_SH_EERKSH_lbbbEUlllE1_EE10hipError_tPvRmT2_T3_mT4_P12ihipStream_tbEUlmE_lEESB_NS0_8identityIvEEEESM_SP_SQ_mSR_ST_bEUlT_E_NS1_11comp_targetILNS1_3genE10ELNS1_11target_archE1201ELNS1_3gpuE5ELNS1_3repE0EEENS1_30default_config_static_selectorELNS0_4arch9wavefront6targetE0EEEvT1_.private_seg_size, 0
	.set _ZN7rocprim17ROCPRIM_400000_NS6detail17trampoline_kernelINS0_14default_configENS1_25transform_config_selectorIlLb0EEEZNS1_14transform_implILb0ES3_S5_NS0_18transform_iteratorINS0_17counting_iteratorImlEEZNS1_24adjacent_difference_implIS3_Lb1ELb0EPlSB_ZN2at6native12_GLOBAL__N_124unique_dim_cuda_templateIfEESt5tupleIJNSC_6TensorESH_SH_EERKSH_lbbbEUlllE1_EE10hipError_tPvRmT2_T3_mT4_P12ihipStream_tbEUlmE_lEESB_NS0_8identityIvEEEESM_SP_SQ_mSR_ST_bEUlT_E_NS1_11comp_targetILNS1_3genE10ELNS1_11target_archE1201ELNS1_3gpuE5ELNS1_3repE0EEENS1_30default_config_static_selectorELNS0_4arch9wavefront6targetE0EEEvT1_.uses_vcc, 0
	.set _ZN7rocprim17ROCPRIM_400000_NS6detail17trampoline_kernelINS0_14default_configENS1_25transform_config_selectorIlLb0EEEZNS1_14transform_implILb0ES3_S5_NS0_18transform_iteratorINS0_17counting_iteratorImlEEZNS1_24adjacent_difference_implIS3_Lb1ELb0EPlSB_ZN2at6native12_GLOBAL__N_124unique_dim_cuda_templateIfEESt5tupleIJNSC_6TensorESH_SH_EERKSH_lbbbEUlllE1_EE10hipError_tPvRmT2_T3_mT4_P12ihipStream_tbEUlmE_lEESB_NS0_8identityIvEEEESM_SP_SQ_mSR_ST_bEUlT_E_NS1_11comp_targetILNS1_3genE10ELNS1_11target_archE1201ELNS1_3gpuE5ELNS1_3repE0EEENS1_30default_config_static_selectorELNS0_4arch9wavefront6targetE0EEEvT1_.uses_flat_scratch, 0
	.set _ZN7rocprim17ROCPRIM_400000_NS6detail17trampoline_kernelINS0_14default_configENS1_25transform_config_selectorIlLb0EEEZNS1_14transform_implILb0ES3_S5_NS0_18transform_iteratorINS0_17counting_iteratorImlEEZNS1_24adjacent_difference_implIS3_Lb1ELb0EPlSB_ZN2at6native12_GLOBAL__N_124unique_dim_cuda_templateIfEESt5tupleIJNSC_6TensorESH_SH_EERKSH_lbbbEUlllE1_EE10hipError_tPvRmT2_T3_mT4_P12ihipStream_tbEUlmE_lEESB_NS0_8identityIvEEEESM_SP_SQ_mSR_ST_bEUlT_E_NS1_11comp_targetILNS1_3genE10ELNS1_11target_archE1201ELNS1_3gpuE5ELNS1_3repE0EEENS1_30default_config_static_selectorELNS0_4arch9wavefront6targetE0EEEvT1_.has_dyn_sized_stack, 0
	.set _ZN7rocprim17ROCPRIM_400000_NS6detail17trampoline_kernelINS0_14default_configENS1_25transform_config_selectorIlLb0EEEZNS1_14transform_implILb0ES3_S5_NS0_18transform_iteratorINS0_17counting_iteratorImlEEZNS1_24adjacent_difference_implIS3_Lb1ELb0EPlSB_ZN2at6native12_GLOBAL__N_124unique_dim_cuda_templateIfEESt5tupleIJNSC_6TensorESH_SH_EERKSH_lbbbEUlllE1_EE10hipError_tPvRmT2_T3_mT4_P12ihipStream_tbEUlmE_lEESB_NS0_8identityIvEEEESM_SP_SQ_mSR_ST_bEUlT_E_NS1_11comp_targetILNS1_3genE10ELNS1_11target_archE1201ELNS1_3gpuE5ELNS1_3repE0EEENS1_30default_config_static_selectorELNS0_4arch9wavefront6targetE0EEEvT1_.has_recursion, 0
	.set _ZN7rocprim17ROCPRIM_400000_NS6detail17trampoline_kernelINS0_14default_configENS1_25transform_config_selectorIlLb0EEEZNS1_14transform_implILb0ES3_S5_NS0_18transform_iteratorINS0_17counting_iteratorImlEEZNS1_24adjacent_difference_implIS3_Lb1ELb0EPlSB_ZN2at6native12_GLOBAL__N_124unique_dim_cuda_templateIfEESt5tupleIJNSC_6TensorESH_SH_EERKSH_lbbbEUlllE1_EE10hipError_tPvRmT2_T3_mT4_P12ihipStream_tbEUlmE_lEESB_NS0_8identityIvEEEESM_SP_SQ_mSR_ST_bEUlT_E_NS1_11comp_targetILNS1_3genE10ELNS1_11target_archE1201ELNS1_3gpuE5ELNS1_3repE0EEENS1_30default_config_static_selectorELNS0_4arch9wavefront6targetE0EEEvT1_.has_indirect_call, 0
	.section	.AMDGPU.csdata,"",@progbits
; Kernel info:
; codeLenInByte = 0
; TotalNumSgprs: 0
; NumVgprs: 0
; ScratchSize: 0
; MemoryBound: 0
; FloatMode: 240
; IeeeMode: 1
; LDSByteSize: 0 bytes/workgroup (compile time only)
; SGPRBlocks: 0
; VGPRBlocks: 0
; NumSGPRsForWavesPerEU: 1
; NumVGPRsForWavesPerEU: 1
; NamedBarCnt: 0
; Occupancy: 16
; WaveLimiterHint : 0
; COMPUTE_PGM_RSRC2:SCRATCH_EN: 0
; COMPUTE_PGM_RSRC2:USER_SGPR: 2
; COMPUTE_PGM_RSRC2:TRAP_HANDLER: 0
; COMPUTE_PGM_RSRC2:TGID_X_EN: 1
; COMPUTE_PGM_RSRC2:TGID_Y_EN: 0
; COMPUTE_PGM_RSRC2:TGID_Z_EN: 0
; COMPUTE_PGM_RSRC2:TIDIG_COMP_CNT: 0
	.section	.text._ZN7rocprim17ROCPRIM_400000_NS6detail17trampoline_kernelINS0_14default_configENS1_25transform_config_selectorIlLb0EEEZNS1_14transform_implILb0ES3_S5_NS0_18transform_iteratorINS0_17counting_iteratorImlEEZNS1_24adjacent_difference_implIS3_Lb1ELb0EPlSB_ZN2at6native12_GLOBAL__N_124unique_dim_cuda_templateIfEESt5tupleIJNSC_6TensorESH_SH_EERKSH_lbbbEUlllE1_EE10hipError_tPvRmT2_T3_mT4_P12ihipStream_tbEUlmE_lEESB_NS0_8identityIvEEEESM_SP_SQ_mSR_ST_bEUlT_E_NS1_11comp_targetILNS1_3genE10ELNS1_11target_archE1200ELNS1_3gpuE4ELNS1_3repE0EEENS1_30default_config_static_selectorELNS0_4arch9wavefront6targetE0EEEvT1_,"axG",@progbits,_ZN7rocprim17ROCPRIM_400000_NS6detail17trampoline_kernelINS0_14default_configENS1_25transform_config_selectorIlLb0EEEZNS1_14transform_implILb0ES3_S5_NS0_18transform_iteratorINS0_17counting_iteratorImlEEZNS1_24adjacent_difference_implIS3_Lb1ELb0EPlSB_ZN2at6native12_GLOBAL__N_124unique_dim_cuda_templateIfEESt5tupleIJNSC_6TensorESH_SH_EERKSH_lbbbEUlllE1_EE10hipError_tPvRmT2_T3_mT4_P12ihipStream_tbEUlmE_lEESB_NS0_8identityIvEEEESM_SP_SQ_mSR_ST_bEUlT_E_NS1_11comp_targetILNS1_3genE10ELNS1_11target_archE1200ELNS1_3gpuE4ELNS1_3repE0EEENS1_30default_config_static_selectorELNS0_4arch9wavefront6targetE0EEEvT1_,comdat
	.globl	_ZN7rocprim17ROCPRIM_400000_NS6detail17trampoline_kernelINS0_14default_configENS1_25transform_config_selectorIlLb0EEEZNS1_14transform_implILb0ES3_S5_NS0_18transform_iteratorINS0_17counting_iteratorImlEEZNS1_24adjacent_difference_implIS3_Lb1ELb0EPlSB_ZN2at6native12_GLOBAL__N_124unique_dim_cuda_templateIfEESt5tupleIJNSC_6TensorESH_SH_EERKSH_lbbbEUlllE1_EE10hipError_tPvRmT2_T3_mT4_P12ihipStream_tbEUlmE_lEESB_NS0_8identityIvEEEESM_SP_SQ_mSR_ST_bEUlT_E_NS1_11comp_targetILNS1_3genE10ELNS1_11target_archE1200ELNS1_3gpuE4ELNS1_3repE0EEENS1_30default_config_static_selectorELNS0_4arch9wavefront6targetE0EEEvT1_ ; -- Begin function _ZN7rocprim17ROCPRIM_400000_NS6detail17trampoline_kernelINS0_14default_configENS1_25transform_config_selectorIlLb0EEEZNS1_14transform_implILb0ES3_S5_NS0_18transform_iteratorINS0_17counting_iteratorImlEEZNS1_24adjacent_difference_implIS3_Lb1ELb0EPlSB_ZN2at6native12_GLOBAL__N_124unique_dim_cuda_templateIfEESt5tupleIJNSC_6TensorESH_SH_EERKSH_lbbbEUlllE1_EE10hipError_tPvRmT2_T3_mT4_P12ihipStream_tbEUlmE_lEESB_NS0_8identityIvEEEESM_SP_SQ_mSR_ST_bEUlT_E_NS1_11comp_targetILNS1_3genE10ELNS1_11target_archE1200ELNS1_3gpuE4ELNS1_3repE0EEENS1_30default_config_static_selectorELNS0_4arch9wavefront6targetE0EEEvT1_
	.p2align	8
	.type	_ZN7rocprim17ROCPRIM_400000_NS6detail17trampoline_kernelINS0_14default_configENS1_25transform_config_selectorIlLb0EEEZNS1_14transform_implILb0ES3_S5_NS0_18transform_iteratorINS0_17counting_iteratorImlEEZNS1_24adjacent_difference_implIS3_Lb1ELb0EPlSB_ZN2at6native12_GLOBAL__N_124unique_dim_cuda_templateIfEESt5tupleIJNSC_6TensorESH_SH_EERKSH_lbbbEUlllE1_EE10hipError_tPvRmT2_T3_mT4_P12ihipStream_tbEUlmE_lEESB_NS0_8identityIvEEEESM_SP_SQ_mSR_ST_bEUlT_E_NS1_11comp_targetILNS1_3genE10ELNS1_11target_archE1200ELNS1_3gpuE4ELNS1_3repE0EEENS1_30default_config_static_selectorELNS0_4arch9wavefront6targetE0EEEvT1_,@function
_ZN7rocprim17ROCPRIM_400000_NS6detail17trampoline_kernelINS0_14default_configENS1_25transform_config_selectorIlLb0EEEZNS1_14transform_implILb0ES3_S5_NS0_18transform_iteratorINS0_17counting_iteratorImlEEZNS1_24adjacent_difference_implIS3_Lb1ELb0EPlSB_ZN2at6native12_GLOBAL__N_124unique_dim_cuda_templateIfEESt5tupleIJNSC_6TensorESH_SH_EERKSH_lbbbEUlllE1_EE10hipError_tPvRmT2_T3_mT4_P12ihipStream_tbEUlmE_lEESB_NS0_8identityIvEEEESM_SP_SQ_mSR_ST_bEUlT_E_NS1_11comp_targetILNS1_3genE10ELNS1_11target_archE1200ELNS1_3gpuE4ELNS1_3repE0EEENS1_30default_config_static_selectorELNS0_4arch9wavefront6targetE0EEEvT1_: ; @_ZN7rocprim17ROCPRIM_400000_NS6detail17trampoline_kernelINS0_14default_configENS1_25transform_config_selectorIlLb0EEEZNS1_14transform_implILb0ES3_S5_NS0_18transform_iteratorINS0_17counting_iteratorImlEEZNS1_24adjacent_difference_implIS3_Lb1ELb0EPlSB_ZN2at6native12_GLOBAL__N_124unique_dim_cuda_templateIfEESt5tupleIJNSC_6TensorESH_SH_EERKSH_lbbbEUlllE1_EE10hipError_tPvRmT2_T3_mT4_P12ihipStream_tbEUlmE_lEESB_NS0_8identityIvEEEESM_SP_SQ_mSR_ST_bEUlT_E_NS1_11comp_targetILNS1_3genE10ELNS1_11target_archE1200ELNS1_3gpuE4ELNS1_3repE0EEENS1_30default_config_static_selectorELNS0_4arch9wavefront6targetE0EEEvT1_
; %bb.0:
	.section	.rodata,"a",@progbits
	.p2align	6, 0x0
	.amdhsa_kernel _ZN7rocprim17ROCPRIM_400000_NS6detail17trampoline_kernelINS0_14default_configENS1_25transform_config_selectorIlLb0EEEZNS1_14transform_implILb0ES3_S5_NS0_18transform_iteratorINS0_17counting_iteratorImlEEZNS1_24adjacent_difference_implIS3_Lb1ELb0EPlSB_ZN2at6native12_GLOBAL__N_124unique_dim_cuda_templateIfEESt5tupleIJNSC_6TensorESH_SH_EERKSH_lbbbEUlllE1_EE10hipError_tPvRmT2_T3_mT4_P12ihipStream_tbEUlmE_lEESB_NS0_8identityIvEEEESM_SP_SQ_mSR_ST_bEUlT_E_NS1_11comp_targetILNS1_3genE10ELNS1_11target_archE1200ELNS1_3gpuE4ELNS1_3repE0EEENS1_30default_config_static_selectorELNS0_4arch9wavefront6targetE0EEEvT1_
		.amdhsa_group_segment_fixed_size 0
		.amdhsa_private_segment_fixed_size 0
		.amdhsa_kernarg_size 56
		.amdhsa_user_sgpr_count 2
		.amdhsa_user_sgpr_dispatch_ptr 0
		.amdhsa_user_sgpr_queue_ptr 0
		.amdhsa_user_sgpr_kernarg_segment_ptr 1
		.amdhsa_user_sgpr_dispatch_id 0
		.amdhsa_user_sgpr_kernarg_preload_length 0
		.amdhsa_user_sgpr_kernarg_preload_offset 0
		.amdhsa_user_sgpr_private_segment_size 0
		.amdhsa_wavefront_size32 1
		.amdhsa_uses_dynamic_stack 0
		.amdhsa_enable_private_segment 0
		.amdhsa_system_sgpr_workgroup_id_x 1
		.amdhsa_system_sgpr_workgroup_id_y 0
		.amdhsa_system_sgpr_workgroup_id_z 0
		.amdhsa_system_sgpr_workgroup_info 0
		.amdhsa_system_vgpr_workitem_id 0
		.amdhsa_next_free_vgpr 1
		.amdhsa_next_free_sgpr 1
		.amdhsa_named_barrier_count 0
		.amdhsa_reserve_vcc 0
		.amdhsa_float_round_mode_32 0
		.amdhsa_float_round_mode_16_64 0
		.amdhsa_float_denorm_mode_32 3
		.amdhsa_float_denorm_mode_16_64 3
		.amdhsa_fp16_overflow 0
		.amdhsa_memory_ordered 1
		.amdhsa_forward_progress 1
		.amdhsa_inst_pref_size 0
		.amdhsa_round_robin_scheduling 0
		.amdhsa_exception_fp_ieee_invalid_op 0
		.amdhsa_exception_fp_denorm_src 0
		.amdhsa_exception_fp_ieee_div_zero 0
		.amdhsa_exception_fp_ieee_overflow 0
		.amdhsa_exception_fp_ieee_underflow 0
		.amdhsa_exception_fp_ieee_inexact 0
		.amdhsa_exception_int_div_zero 0
	.end_amdhsa_kernel
	.section	.text._ZN7rocprim17ROCPRIM_400000_NS6detail17trampoline_kernelINS0_14default_configENS1_25transform_config_selectorIlLb0EEEZNS1_14transform_implILb0ES3_S5_NS0_18transform_iteratorINS0_17counting_iteratorImlEEZNS1_24adjacent_difference_implIS3_Lb1ELb0EPlSB_ZN2at6native12_GLOBAL__N_124unique_dim_cuda_templateIfEESt5tupleIJNSC_6TensorESH_SH_EERKSH_lbbbEUlllE1_EE10hipError_tPvRmT2_T3_mT4_P12ihipStream_tbEUlmE_lEESB_NS0_8identityIvEEEESM_SP_SQ_mSR_ST_bEUlT_E_NS1_11comp_targetILNS1_3genE10ELNS1_11target_archE1200ELNS1_3gpuE4ELNS1_3repE0EEENS1_30default_config_static_selectorELNS0_4arch9wavefront6targetE0EEEvT1_,"axG",@progbits,_ZN7rocprim17ROCPRIM_400000_NS6detail17trampoline_kernelINS0_14default_configENS1_25transform_config_selectorIlLb0EEEZNS1_14transform_implILb0ES3_S5_NS0_18transform_iteratorINS0_17counting_iteratorImlEEZNS1_24adjacent_difference_implIS3_Lb1ELb0EPlSB_ZN2at6native12_GLOBAL__N_124unique_dim_cuda_templateIfEESt5tupleIJNSC_6TensorESH_SH_EERKSH_lbbbEUlllE1_EE10hipError_tPvRmT2_T3_mT4_P12ihipStream_tbEUlmE_lEESB_NS0_8identityIvEEEESM_SP_SQ_mSR_ST_bEUlT_E_NS1_11comp_targetILNS1_3genE10ELNS1_11target_archE1200ELNS1_3gpuE4ELNS1_3repE0EEENS1_30default_config_static_selectorELNS0_4arch9wavefront6targetE0EEEvT1_,comdat
.Lfunc_end918:
	.size	_ZN7rocprim17ROCPRIM_400000_NS6detail17trampoline_kernelINS0_14default_configENS1_25transform_config_selectorIlLb0EEEZNS1_14transform_implILb0ES3_S5_NS0_18transform_iteratorINS0_17counting_iteratorImlEEZNS1_24adjacent_difference_implIS3_Lb1ELb0EPlSB_ZN2at6native12_GLOBAL__N_124unique_dim_cuda_templateIfEESt5tupleIJNSC_6TensorESH_SH_EERKSH_lbbbEUlllE1_EE10hipError_tPvRmT2_T3_mT4_P12ihipStream_tbEUlmE_lEESB_NS0_8identityIvEEEESM_SP_SQ_mSR_ST_bEUlT_E_NS1_11comp_targetILNS1_3genE10ELNS1_11target_archE1200ELNS1_3gpuE4ELNS1_3repE0EEENS1_30default_config_static_selectorELNS0_4arch9wavefront6targetE0EEEvT1_, .Lfunc_end918-_ZN7rocprim17ROCPRIM_400000_NS6detail17trampoline_kernelINS0_14default_configENS1_25transform_config_selectorIlLb0EEEZNS1_14transform_implILb0ES3_S5_NS0_18transform_iteratorINS0_17counting_iteratorImlEEZNS1_24adjacent_difference_implIS3_Lb1ELb0EPlSB_ZN2at6native12_GLOBAL__N_124unique_dim_cuda_templateIfEESt5tupleIJNSC_6TensorESH_SH_EERKSH_lbbbEUlllE1_EE10hipError_tPvRmT2_T3_mT4_P12ihipStream_tbEUlmE_lEESB_NS0_8identityIvEEEESM_SP_SQ_mSR_ST_bEUlT_E_NS1_11comp_targetILNS1_3genE10ELNS1_11target_archE1200ELNS1_3gpuE4ELNS1_3repE0EEENS1_30default_config_static_selectorELNS0_4arch9wavefront6targetE0EEEvT1_
                                        ; -- End function
	.set _ZN7rocprim17ROCPRIM_400000_NS6detail17trampoline_kernelINS0_14default_configENS1_25transform_config_selectorIlLb0EEEZNS1_14transform_implILb0ES3_S5_NS0_18transform_iteratorINS0_17counting_iteratorImlEEZNS1_24adjacent_difference_implIS3_Lb1ELb0EPlSB_ZN2at6native12_GLOBAL__N_124unique_dim_cuda_templateIfEESt5tupleIJNSC_6TensorESH_SH_EERKSH_lbbbEUlllE1_EE10hipError_tPvRmT2_T3_mT4_P12ihipStream_tbEUlmE_lEESB_NS0_8identityIvEEEESM_SP_SQ_mSR_ST_bEUlT_E_NS1_11comp_targetILNS1_3genE10ELNS1_11target_archE1200ELNS1_3gpuE4ELNS1_3repE0EEENS1_30default_config_static_selectorELNS0_4arch9wavefront6targetE0EEEvT1_.num_vgpr, 0
	.set _ZN7rocprim17ROCPRIM_400000_NS6detail17trampoline_kernelINS0_14default_configENS1_25transform_config_selectorIlLb0EEEZNS1_14transform_implILb0ES3_S5_NS0_18transform_iteratorINS0_17counting_iteratorImlEEZNS1_24adjacent_difference_implIS3_Lb1ELb0EPlSB_ZN2at6native12_GLOBAL__N_124unique_dim_cuda_templateIfEESt5tupleIJNSC_6TensorESH_SH_EERKSH_lbbbEUlllE1_EE10hipError_tPvRmT2_T3_mT4_P12ihipStream_tbEUlmE_lEESB_NS0_8identityIvEEEESM_SP_SQ_mSR_ST_bEUlT_E_NS1_11comp_targetILNS1_3genE10ELNS1_11target_archE1200ELNS1_3gpuE4ELNS1_3repE0EEENS1_30default_config_static_selectorELNS0_4arch9wavefront6targetE0EEEvT1_.num_agpr, 0
	.set _ZN7rocprim17ROCPRIM_400000_NS6detail17trampoline_kernelINS0_14default_configENS1_25transform_config_selectorIlLb0EEEZNS1_14transform_implILb0ES3_S5_NS0_18transform_iteratorINS0_17counting_iteratorImlEEZNS1_24adjacent_difference_implIS3_Lb1ELb0EPlSB_ZN2at6native12_GLOBAL__N_124unique_dim_cuda_templateIfEESt5tupleIJNSC_6TensorESH_SH_EERKSH_lbbbEUlllE1_EE10hipError_tPvRmT2_T3_mT4_P12ihipStream_tbEUlmE_lEESB_NS0_8identityIvEEEESM_SP_SQ_mSR_ST_bEUlT_E_NS1_11comp_targetILNS1_3genE10ELNS1_11target_archE1200ELNS1_3gpuE4ELNS1_3repE0EEENS1_30default_config_static_selectorELNS0_4arch9wavefront6targetE0EEEvT1_.numbered_sgpr, 0
	.set _ZN7rocprim17ROCPRIM_400000_NS6detail17trampoline_kernelINS0_14default_configENS1_25transform_config_selectorIlLb0EEEZNS1_14transform_implILb0ES3_S5_NS0_18transform_iteratorINS0_17counting_iteratorImlEEZNS1_24adjacent_difference_implIS3_Lb1ELb0EPlSB_ZN2at6native12_GLOBAL__N_124unique_dim_cuda_templateIfEESt5tupleIJNSC_6TensorESH_SH_EERKSH_lbbbEUlllE1_EE10hipError_tPvRmT2_T3_mT4_P12ihipStream_tbEUlmE_lEESB_NS0_8identityIvEEEESM_SP_SQ_mSR_ST_bEUlT_E_NS1_11comp_targetILNS1_3genE10ELNS1_11target_archE1200ELNS1_3gpuE4ELNS1_3repE0EEENS1_30default_config_static_selectorELNS0_4arch9wavefront6targetE0EEEvT1_.num_named_barrier, 0
	.set _ZN7rocprim17ROCPRIM_400000_NS6detail17trampoline_kernelINS0_14default_configENS1_25transform_config_selectorIlLb0EEEZNS1_14transform_implILb0ES3_S5_NS0_18transform_iteratorINS0_17counting_iteratorImlEEZNS1_24adjacent_difference_implIS3_Lb1ELb0EPlSB_ZN2at6native12_GLOBAL__N_124unique_dim_cuda_templateIfEESt5tupleIJNSC_6TensorESH_SH_EERKSH_lbbbEUlllE1_EE10hipError_tPvRmT2_T3_mT4_P12ihipStream_tbEUlmE_lEESB_NS0_8identityIvEEEESM_SP_SQ_mSR_ST_bEUlT_E_NS1_11comp_targetILNS1_3genE10ELNS1_11target_archE1200ELNS1_3gpuE4ELNS1_3repE0EEENS1_30default_config_static_selectorELNS0_4arch9wavefront6targetE0EEEvT1_.private_seg_size, 0
	.set _ZN7rocprim17ROCPRIM_400000_NS6detail17trampoline_kernelINS0_14default_configENS1_25transform_config_selectorIlLb0EEEZNS1_14transform_implILb0ES3_S5_NS0_18transform_iteratorINS0_17counting_iteratorImlEEZNS1_24adjacent_difference_implIS3_Lb1ELb0EPlSB_ZN2at6native12_GLOBAL__N_124unique_dim_cuda_templateIfEESt5tupleIJNSC_6TensorESH_SH_EERKSH_lbbbEUlllE1_EE10hipError_tPvRmT2_T3_mT4_P12ihipStream_tbEUlmE_lEESB_NS0_8identityIvEEEESM_SP_SQ_mSR_ST_bEUlT_E_NS1_11comp_targetILNS1_3genE10ELNS1_11target_archE1200ELNS1_3gpuE4ELNS1_3repE0EEENS1_30default_config_static_selectorELNS0_4arch9wavefront6targetE0EEEvT1_.uses_vcc, 0
	.set _ZN7rocprim17ROCPRIM_400000_NS6detail17trampoline_kernelINS0_14default_configENS1_25transform_config_selectorIlLb0EEEZNS1_14transform_implILb0ES3_S5_NS0_18transform_iteratorINS0_17counting_iteratorImlEEZNS1_24adjacent_difference_implIS3_Lb1ELb0EPlSB_ZN2at6native12_GLOBAL__N_124unique_dim_cuda_templateIfEESt5tupleIJNSC_6TensorESH_SH_EERKSH_lbbbEUlllE1_EE10hipError_tPvRmT2_T3_mT4_P12ihipStream_tbEUlmE_lEESB_NS0_8identityIvEEEESM_SP_SQ_mSR_ST_bEUlT_E_NS1_11comp_targetILNS1_3genE10ELNS1_11target_archE1200ELNS1_3gpuE4ELNS1_3repE0EEENS1_30default_config_static_selectorELNS0_4arch9wavefront6targetE0EEEvT1_.uses_flat_scratch, 0
	.set _ZN7rocprim17ROCPRIM_400000_NS6detail17trampoline_kernelINS0_14default_configENS1_25transform_config_selectorIlLb0EEEZNS1_14transform_implILb0ES3_S5_NS0_18transform_iteratorINS0_17counting_iteratorImlEEZNS1_24adjacent_difference_implIS3_Lb1ELb0EPlSB_ZN2at6native12_GLOBAL__N_124unique_dim_cuda_templateIfEESt5tupleIJNSC_6TensorESH_SH_EERKSH_lbbbEUlllE1_EE10hipError_tPvRmT2_T3_mT4_P12ihipStream_tbEUlmE_lEESB_NS0_8identityIvEEEESM_SP_SQ_mSR_ST_bEUlT_E_NS1_11comp_targetILNS1_3genE10ELNS1_11target_archE1200ELNS1_3gpuE4ELNS1_3repE0EEENS1_30default_config_static_selectorELNS0_4arch9wavefront6targetE0EEEvT1_.has_dyn_sized_stack, 0
	.set _ZN7rocprim17ROCPRIM_400000_NS6detail17trampoline_kernelINS0_14default_configENS1_25transform_config_selectorIlLb0EEEZNS1_14transform_implILb0ES3_S5_NS0_18transform_iteratorINS0_17counting_iteratorImlEEZNS1_24adjacent_difference_implIS3_Lb1ELb0EPlSB_ZN2at6native12_GLOBAL__N_124unique_dim_cuda_templateIfEESt5tupleIJNSC_6TensorESH_SH_EERKSH_lbbbEUlllE1_EE10hipError_tPvRmT2_T3_mT4_P12ihipStream_tbEUlmE_lEESB_NS0_8identityIvEEEESM_SP_SQ_mSR_ST_bEUlT_E_NS1_11comp_targetILNS1_3genE10ELNS1_11target_archE1200ELNS1_3gpuE4ELNS1_3repE0EEENS1_30default_config_static_selectorELNS0_4arch9wavefront6targetE0EEEvT1_.has_recursion, 0
	.set _ZN7rocprim17ROCPRIM_400000_NS6detail17trampoline_kernelINS0_14default_configENS1_25transform_config_selectorIlLb0EEEZNS1_14transform_implILb0ES3_S5_NS0_18transform_iteratorINS0_17counting_iteratorImlEEZNS1_24adjacent_difference_implIS3_Lb1ELb0EPlSB_ZN2at6native12_GLOBAL__N_124unique_dim_cuda_templateIfEESt5tupleIJNSC_6TensorESH_SH_EERKSH_lbbbEUlllE1_EE10hipError_tPvRmT2_T3_mT4_P12ihipStream_tbEUlmE_lEESB_NS0_8identityIvEEEESM_SP_SQ_mSR_ST_bEUlT_E_NS1_11comp_targetILNS1_3genE10ELNS1_11target_archE1200ELNS1_3gpuE4ELNS1_3repE0EEENS1_30default_config_static_selectorELNS0_4arch9wavefront6targetE0EEEvT1_.has_indirect_call, 0
	.section	.AMDGPU.csdata,"",@progbits
; Kernel info:
; codeLenInByte = 0
; TotalNumSgprs: 0
; NumVgprs: 0
; ScratchSize: 0
; MemoryBound: 0
; FloatMode: 240
; IeeeMode: 1
; LDSByteSize: 0 bytes/workgroup (compile time only)
; SGPRBlocks: 0
; VGPRBlocks: 0
; NumSGPRsForWavesPerEU: 1
; NumVGPRsForWavesPerEU: 1
; NamedBarCnt: 0
; Occupancy: 16
; WaveLimiterHint : 0
; COMPUTE_PGM_RSRC2:SCRATCH_EN: 0
; COMPUTE_PGM_RSRC2:USER_SGPR: 2
; COMPUTE_PGM_RSRC2:TRAP_HANDLER: 0
; COMPUTE_PGM_RSRC2:TGID_X_EN: 1
; COMPUTE_PGM_RSRC2:TGID_Y_EN: 0
; COMPUTE_PGM_RSRC2:TGID_Z_EN: 0
; COMPUTE_PGM_RSRC2:TIDIG_COMP_CNT: 0
	.section	.text._ZN7rocprim17ROCPRIM_400000_NS6detail17trampoline_kernelINS0_14default_configENS1_25transform_config_selectorIlLb0EEEZNS1_14transform_implILb0ES3_S5_NS0_18transform_iteratorINS0_17counting_iteratorImlEEZNS1_24adjacent_difference_implIS3_Lb1ELb0EPlSB_ZN2at6native12_GLOBAL__N_124unique_dim_cuda_templateIfEESt5tupleIJNSC_6TensorESH_SH_EERKSH_lbbbEUlllE1_EE10hipError_tPvRmT2_T3_mT4_P12ihipStream_tbEUlmE_lEESB_NS0_8identityIvEEEESM_SP_SQ_mSR_ST_bEUlT_E_NS1_11comp_targetILNS1_3genE9ELNS1_11target_archE1100ELNS1_3gpuE3ELNS1_3repE0EEENS1_30default_config_static_selectorELNS0_4arch9wavefront6targetE0EEEvT1_,"axG",@progbits,_ZN7rocprim17ROCPRIM_400000_NS6detail17trampoline_kernelINS0_14default_configENS1_25transform_config_selectorIlLb0EEEZNS1_14transform_implILb0ES3_S5_NS0_18transform_iteratorINS0_17counting_iteratorImlEEZNS1_24adjacent_difference_implIS3_Lb1ELb0EPlSB_ZN2at6native12_GLOBAL__N_124unique_dim_cuda_templateIfEESt5tupleIJNSC_6TensorESH_SH_EERKSH_lbbbEUlllE1_EE10hipError_tPvRmT2_T3_mT4_P12ihipStream_tbEUlmE_lEESB_NS0_8identityIvEEEESM_SP_SQ_mSR_ST_bEUlT_E_NS1_11comp_targetILNS1_3genE9ELNS1_11target_archE1100ELNS1_3gpuE3ELNS1_3repE0EEENS1_30default_config_static_selectorELNS0_4arch9wavefront6targetE0EEEvT1_,comdat
	.globl	_ZN7rocprim17ROCPRIM_400000_NS6detail17trampoline_kernelINS0_14default_configENS1_25transform_config_selectorIlLb0EEEZNS1_14transform_implILb0ES3_S5_NS0_18transform_iteratorINS0_17counting_iteratorImlEEZNS1_24adjacent_difference_implIS3_Lb1ELb0EPlSB_ZN2at6native12_GLOBAL__N_124unique_dim_cuda_templateIfEESt5tupleIJNSC_6TensorESH_SH_EERKSH_lbbbEUlllE1_EE10hipError_tPvRmT2_T3_mT4_P12ihipStream_tbEUlmE_lEESB_NS0_8identityIvEEEESM_SP_SQ_mSR_ST_bEUlT_E_NS1_11comp_targetILNS1_3genE9ELNS1_11target_archE1100ELNS1_3gpuE3ELNS1_3repE0EEENS1_30default_config_static_selectorELNS0_4arch9wavefront6targetE0EEEvT1_ ; -- Begin function _ZN7rocprim17ROCPRIM_400000_NS6detail17trampoline_kernelINS0_14default_configENS1_25transform_config_selectorIlLb0EEEZNS1_14transform_implILb0ES3_S5_NS0_18transform_iteratorINS0_17counting_iteratorImlEEZNS1_24adjacent_difference_implIS3_Lb1ELb0EPlSB_ZN2at6native12_GLOBAL__N_124unique_dim_cuda_templateIfEESt5tupleIJNSC_6TensorESH_SH_EERKSH_lbbbEUlllE1_EE10hipError_tPvRmT2_T3_mT4_P12ihipStream_tbEUlmE_lEESB_NS0_8identityIvEEEESM_SP_SQ_mSR_ST_bEUlT_E_NS1_11comp_targetILNS1_3genE9ELNS1_11target_archE1100ELNS1_3gpuE3ELNS1_3repE0EEENS1_30default_config_static_selectorELNS0_4arch9wavefront6targetE0EEEvT1_
	.p2align	8
	.type	_ZN7rocprim17ROCPRIM_400000_NS6detail17trampoline_kernelINS0_14default_configENS1_25transform_config_selectorIlLb0EEEZNS1_14transform_implILb0ES3_S5_NS0_18transform_iteratorINS0_17counting_iteratorImlEEZNS1_24adjacent_difference_implIS3_Lb1ELb0EPlSB_ZN2at6native12_GLOBAL__N_124unique_dim_cuda_templateIfEESt5tupleIJNSC_6TensorESH_SH_EERKSH_lbbbEUlllE1_EE10hipError_tPvRmT2_T3_mT4_P12ihipStream_tbEUlmE_lEESB_NS0_8identityIvEEEESM_SP_SQ_mSR_ST_bEUlT_E_NS1_11comp_targetILNS1_3genE9ELNS1_11target_archE1100ELNS1_3gpuE3ELNS1_3repE0EEENS1_30default_config_static_selectorELNS0_4arch9wavefront6targetE0EEEvT1_,@function
_ZN7rocprim17ROCPRIM_400000_NS6detail17trampoline_kernelINS0_14default_configENS1_25transform_config_selectorIlLb0EEEZNS1_14transform_implILb0ES3_S5_NS0_18transform_iteratorINS0_17counting_iteratorImlEEZNS1_24adjacent_difference_implIS3_Lb1ELb0EPlSB_ZN2at6native12_GLOBAL__N_124unique_dim_cuda_templateIfEESt5tupleIJNSC_6TensorESH_SH_EERKSH_lbbbEUlllE1_EE10hipError_tPvRmT2_T3_mT4_P12ihipStream_tbEUlmE_lEESB_NS0_8identityIvEEEESM_SP_SQ_mSR_ST_bEUlT_E_NS1_11comp_targetILNS1_3genE9ELNS1_11target_archE1100ELNS1_3gpuE3ELNS1_3repE0EEENS1_30default_config_static_selectorELNS0_4arch9wavefront6targetE0EEEvT1_: ; @_ZN7rocprim17ROCPRIM_400000_NS6detail17trampoline_kernelINS0_14default_configENS1_25transform_config_selectorIlLb0EEEZNS1_14transform_implILb0ES3_S5_NS0_18transform_iteratorINS0_17counting_iteratorImlEEZNS1_24adjacent_difference_implIS3_Lb1ELb0EPlSB_ZN2at6native12_GLOBAL__N_124unique_dim_cuda_templateIfEESt5tupleIJNSC_6TensorESH_SH_EERKSH_lbbbEUlllE1_EE10hipError_tPvRmT2_T3_mT4_P12ihipStream_tbEUlmE_lEESB_NS0_8identityIvEEEESM_SP_SQ_mSR_ST_bEUlT_E_NS1_11comp_targetILNS1_3genE9ELNS1_11target_archE1100ELNS1_3gpuE3ELNS1_3repE0EEENS1_30default_config_static_selectorELNS0_4arch9wavefront6targetE0EEEvT1_
; %bb.0:
	.section	.rodata,"a",@progbits
	.p2align	6, 0x0
	.amdhsa_kernel _ZN7rocprim17ROCPRIM_400000_NS6detail17trampoline_kernelINS0_14default_configENS1_25transform_config_selectorIlLb0EEEZNS1_14transform_implILb0ES3_S5_NS0_18transform_iteratorINS0_17counting_iteratorImlEEZNS1_24adjacent_difference_implIS3_Lb1ELb0EPlSB_ZN2at6native12_GLOBAL__N_124unique_dim_cuda_templateIfEESt5tupleIJNSC_6TensorESH_SH_EERKSH_lbbbEUlllE1_EE10hipError_tPvRmT2_T3_mT4_P12ihipStream_tbEUlmE_lEESB_NS0_8identityIvEEEESM_SP_SQ_mSR_ST_bEUlT_E_NS1_11comp_targetILNS1_3genE9ELNS1_11target_archE1100ELNS1_3gpuE3ELNS1_3repE0EEENS1_30default_config_static_selectorELNS0_4arch9wavefront6targetE0EEEvT1_
		.amdhsa_group_segment_fixed_size 0
		.amdhsa_private_segment_fixed_size 0
		.amdhsa_kernarg_size 56
		.amdhsa_user_sgpr_count 2
		.amdhsa_user_sgpr_dispatch_ptr 0
		.amdhsa_user_sgpr_queue_ptr 0
		.amdhsa_user_sgpr_kernarg_segment_ptr 1
		.amdhsa_user_sgpr_dispatch_id 0
		.amdhsa_user_sgpr_kernarg_preload_length 0
		.amdhsa_user_sgpr_kernarg_preload_offset 0
		.amdhsa_user_sgpr_private_segment_size 0
		.amdhsa_wavefront_size32 1
		.amdhsa_uses_dynamic_stack 0
		.amdhsa_enable_private_segment 0
		.amdhsa_system_sgpr_workgroup_id_x 1
		.amdhsa_system_sgpr_workgroup_id_y 0
		.amdhsa_system_sgpr_workgroup_id_z 0
		.amdhsa_system_sgpr_workgroup_info 0
		.amdhsa_system_vgpr_workitem_id 0
		.amdhsa_next_free_vgpr 1
		.amdhsa_next_free_sgpr 1
		.amdhsa_named_barrier_count 0
		.amdhsa_reserve_vcc 0
		.amdhsa_float_round_mode_32 0
		.amdhsa_float_round_mode_16_64 0
		.amdhsa_float_denorm_mode_32 3
		.amdhsa_float_denorm_mode_16_64 3
		.amdhsa_fp16_overflow 0
		.amdhsa_memory_ordered 1
		.amdhsa_forward_progress 1
		.amdhsa_inst_pref_size 0
		.amdhsa_round_robin_scheduling 0
		.amdhsa_exception_fp_ieee_invalid_op 0
		.amdhsa_exception_fp_denorm_src 0
		.amdhsa_exception_fp_ieee_div_zero 0
		.amdhsa_exception_fp_ieee_overflow 0
		.amdhsa_exception_fp_ieee_underflow 0
		.amdhsa_exception_fp_ieee_inexact 0
		.amdhsa_exception_int_div_zero 0
	.end_amdhsa_kernel
	.section	.text._ZN7rocprim17ROCPRIM_400000_NS6detail17trampoline_kernelINS0_14default_configENS1_25transform_config_selectorIlLb0EEEZNS1_14transform_implILb0ES3_S5_NS0_18transform_iteratorINS0_17counting_iteratorImlEEZNS1_24adjacent_difference_implIS3_Lb1ELb0EPlSB_ZN2at6native12_GLOBAL__N_124unique_dim_cuda_templateIfEESt5tupleIJNSC_6TensorESH_SH_EERKSH_lbbbEUlllE1_EE10hipError_tPvRmT2_T3_mT4_P12ihipStream_tbEUlmE_lEESB_NS0_8identityIvEEEESM_SP_SQ_mSR_ST_bEUlT_E_NS1_11comp_targetILNS1_3genE9ELNS1_11target_archE1100ELNS1_3gpuE3ELNS1_3repE0EEENS1_30default_config_static_selectorELNS0_4arch9wavefront6targetE0EEEvT1_,"axG",@progbits,_ZN7rocprim17ROCPRIM_400000_NS6detail17trampoline_kernelINS0_14default_configENS1_25transform_config_selectorIlLb0EEEZNS1_14transform_implILb0ES3_S5_NS0_18transform_iteratorINS0_17counting_iteratorImlEEZNS1_24adjacent_difference_implIS3_Lb1ELb0EPlSB_ZN2at6native12_GLOBAL__N_124unique_dim_cuda_templateIfEESt5tupleIJNSC_6TensorESH_SH_EERKSH_lbbbEUlllE1_EE10hipError_tPvRmT2_T3_mT4_P12ihipStream_tbEUlmE_lEESB_NS0_8identityIvEEEESM_SP_SQ_mSR_ST_bEUlT_E_NS1_11comp_targetILNS1_3genE9ELNS1_11target_archE1100ELNS1_3gpuE3ELNS1_3repE0EEENS1_30default_config_static_selectorELNS0_4arch9wavefront6targetE0EEEvT1_,comdat
.Lfunc_end919:
	.size	_ZN7rocprim17ROCPRIM_400000_NS6detail17trampoline_kernelINS0_14default_configENS1_25transform_config_selectorIlLb0EEEZNS1_14transform_implILb0ES3_S5_NS0_18transform_iteratorINS0_17counting_iteratorImlEEZNS1_24adjacent_difference_implIS3_Lb1ELb0EPlSB_ZN2at6native12_GLOBAL__N_124unique_dim_cuda_templateIfEESt5tupleIJNSC_6TensorESH_SH_EERKSH_lbbbEUlllE1_EE10hipError_tPvRmT2_T3_mT4_P12ihipStream_tbEUlmE_lEESB_NS0_8identityIvEEEESM_SP_SQ_mSR_ST_bEUlT_E_NS1_11comp_targetILNS1_3genE9ELNS1_11target_archE1100ELNS1_3gpuE3ELNS1_3repE0EEENS1_30default_config_static_selectorELNS0_4arch9wavefront6targetE0EEEvT1_, .Lfunc_end919-_ZN7rocprim17ROCPRIM_400000_NS6detail17trampoline_kernelINS0_14default_configENS1_25transform_config_selectorIlLb0EEEZNS1_14transform_implILb0ES3_S5_NS0_18transform_iteratorINS0_17counting_iteratorImlEEZNS1_24adjacent_difference_implIS3_Lb1ELb0EPlSB_ZN2at6native12_GLOBAL__N_124unique_dim_cuda_templateIfEESt5tupleIJNSC_6TensorESH_SH_EERKSH_lbbbEUlllE1_EE10hipError_tPvRmT2_T3_mT4_P12ihipStream_tbEUlmE_lEESB_NS0_8identityIvEEEESM_SP_SQ_mSR_ST_bEUlT_E_NS1_11comp_targetILNS1_3genE9ELNS1_11target_archE1100ELNS1_3gpuE3ELNS1_3repE0EEENS1_30default_config_static_selectorELNS0_4arch9wavefront6targetE0EEEvT1_
                                        ; -- End function
	.set _ZN7rocprim17ROCPRIM_400000_NS6detail17trampoline_kernelINS0_14default_configENS1_25transform_config_selectorIlLb0EEEZNS1_14transform_implILb0ES3_S5_NS0_18transform_iteratorINS0_17counting_iteratorImlEEZNS1_24adjacent_difference_implIS3_Lb1ELb0EPlSB_ZN2at6native12_GLOBAL__N_124unique_dim_cuda_templateIfEESt5tupleIJNSC_6TensorESH_SH_EERKSH_lbbbEUlllE1_EE10hipError_tPvRmT2_T3_mT4_P12ihipStream_tbEUlmE_lEESB_NS0_8identityIvEEEESM_SP_SQ_mSR_ST_bEUlT_E_NS1_11comp_targetILNS1_3genE9ELNS1_11target_archE1100ELNS1_3gpuE3ELNS1_3repE0EEENS1_30default_config_static_selectorELNS0_4arch9wavefront6targetE0EEEvT1_.num_vgpr, 0
	.set _ZN7rocprim17ROCPRIM_400000_NS6detail17trampoline_kernelINS0_14default_configENS1_25transform_config_selectorIlLb0EEEZNS1_14transform_implILb0ES3_S5_NS0_18transform_iteratorINS0_17counting_iteratorImlEEZNS1_24adjacent_difference_implIS3_Lb1ELb0EPlSB_ZN2at6native12_GLOBAL__N_124unique_dim_cuda_templateIfEESt5tupleIJNSC_6TensorESH_SH_EERKSH_lbbbEUlllE1_EE10hipError_tPvRmT2_T3_mT4_P12ihipStream_tbEUlmE_lEESB_NS0_8identityIvEEEESM_SP_SQ_mSR_ST_bEUlT_E_NS1_11comp_targetILNS1_3genE9ELNS1_11target_archE1100ELNS1_3gpuE3ELNS1_3repE0EEENS1_30default_config_static_selectorELNS0_4arch9wavefront6targetE0EEEvT1_.num_agpr, 0
	.set _ZN7rocprim17ROCPRIM_400000_NS6detail17trampoline_kernelINS0_14default_configENS1_25transform_config_selectorIlLb0EEEZNS1_14transform_implILb0ES3_S5_NS0_18transform_iteratorINS0_17counting_iteratorImlEEZNS1_24adjacent_difference_implIS3_Lb1ELb0EPlSB_ZN2at6native12_GLOBAL__N_124unique_dim_cuda_templateIfEESt5tupleIJNSC_6TensorESH_SH_EERKSH_lbbbEUlllE1_EE10hipError_tPvRmT2_T3_mT4_P12ihipStream_tbEUlmE_lEESB_NS0_8identityIvEEEESM_SP_SQ_mSR_ST_bEUlT_E_NS1_11comp_targetILNS1_3genE9ELNS1_11target_archE1100ELNS1_3gpuE3ELNS1_3repE0EEENS1_30default_config_static_selectorELNS0_4arch9wavefront6targetE0EEEvT1_.numbered_sgpr, 0
	.set _ZN7rocprim17ROCPRIM_400000_NS6detail17trampoline_kernelINS0_14default_configENS1_25transform_config_selectorIlLb0EEEZNS1_14transform_implILb0ES3_S5_NS0_18transform_iteratorINS0_17counting_iteratorImlEEZNS1_24adjacent_difference_implIS3_Lb1ELb0EPlSB_ZN2at6native12_GLOBAL__N_124unique_dim_cuda_templateIfEESt5tupleIJNSC_6TensorESH_SH_EERKSH_lbbbEUlllE1_EE10hipError_tPvRmT2_T3_mT4_P12ihipStream_tbEUlmE_lEESB_NS0_8identityIvEEEESM_SP_SQ_mSR_ST_bEUlT_E_NS1_11comp_targetILNS1_3genE9ELNS1_11target_archE1100ELNS1_3gpuE3ELNS1_3repE0EEENS1_30default_config_static_selectorELNS0_4arch9wavefront6targetE0EEEvT1_.num_named_barrier, 0
	.set _ZN7rocprim17ROCPRIM_400000_NS6detail17trampoline_kernelINS0_14default_configENS1_25transform_config_selectorIlLb0EEEZNS1_14transform_implILb0ES3_S5_NS0_18transform_iteratorINS0_17counting_iteratorImlEEZNS1_24adjacent_difference_implIS3_Lb1ELb0EPlSB_ZN2at6native12_GLOBAL__N_124unique_dim_cuda_templateIfEESt5tupleIJNSC_6TensorESH_SH_EERKSH_lbbbEUlllE1_EE10hipError_tPvRmT2_T3_mT4_P12ihipStream_tbEUlmE_lEESB_NS0_8identityIvEEEESM_SP_SQ_mSR_ST_bEUlT_E_NS1_11comp_targetILNS1_3genE9ELNS1_11target_archE1100ELNS1_3gpuE3ELNS1_3repE0EEENS1_30default_config_static_selectorELNS0_4arch9wavefront6targetE0EEEvT1_.private_seg_size, 0
	.set _ZN7rocprim17ROCPRIM_400000_NS6detail17trampoline_kernelINS0_14default_configENS1_25transform_config_selectorIlLb0EEEZNS1_14transform_implILb0ES3_S5_NS0_18transform_iteratorINS0_17counting_iteratorImlEEZNS1_24adjacent_difference_implIS3_Lb1ELb0EPlSB_ZN2at6native12_GLOBAL__N_124unique_dim_cuda_templateIfEESt5tupleIJNSC_6TensorESH_SH_EERKSH_lbbbEUlllE1_EE10hipError_tPvRmT2_T3_mT4_P12ihipStream_tbEUlmE_lEESB_NS0_8identityIvEEEESM_SP_SQ_mSR_ST_bEUlT_E_NS1_11comp_targetILNS1_3genE9ELNS1_11target_archE1100ELNS1_3gpuE3ELNS1_3repE0EEENS1_30default_config_static_selectorELNS0_4arch9wavefront6targetE0EEEvT1_.uses_vcc, 0
	.set _ZN7rocprim17ROCPRIM_400000_NS6detail17trampoline_kernelINS0_14default_configENS1_25transform_config_selectorIlLb0EEEZNS1_14transform_implILb0ES3_S5_NS0_18transform_iteratorINS0_17counting_iteratorImlEEZNS1_24adjacent_difference_implIS3_Lb1ELb0EPlSB_ZN2at6native12_GLOBAL__N_124unique_dim_cuda_templateIfEESt5tupleIJNSC_6TensorESH_SH_EERKSH_lbbbEUlllE1_EE10hipError_tPvRmT2_T3_mT4_P12ihipStream_tbEUlmE_lEESB_NS0_8identityIvEEEESM_SP_SQ_mSR_ST_bEUlT_E_NS1_11comp_targetILNS1_3genE9ELNS1_11target_archE1100ELNS1_3gpuE3ELNS1_3repE0EEENS1_30default_config_static_selectorELNS0_4arch9wavefront6targetE0EEEvT1_.uses_flat_scratch, 0
	.set _ZN7rocprim17ROCPRIM_400000_NS6detail17trampoline_kernelINS0_14default_configENS1_25transform_config_selectorIlLb0EEEZNS1_14transform_implILb0ES3_S5_NS0_18transform_iteratorINS0_17counting_iteratorImlEEZNS1_24adjacent_difference_implIS3_Lb1ELb0EPlSB_ZN2at6native12_GLOBAL__N_124unique_dim_cuda_templateIfEESt5tupleIJNSC_6TensorESH_SH_EERKSH_lbbbEUlllE1_EE10hipError_tPvRmT2_T3_mT4_P12ihipStream_tbEUlmE_lEESB_NS0_8identityIvEEEESM_SP_SQ_mSR_ST_bEUlT_E_NS1_11comp_targetILNS1_3genE9ELNS1_11target_archE1100ELNS1_3gpuE3ELNS1_3repE0EEENS1_30default_config_static_selectorELNS0_4arch9wavefront6targetE0EEEvT1_.has_dyn_sized_stack, 0
	.set _ZN7rocprim17ROCPRIM_400000_NS6detail17trampoline_kernelINS0_14default_configENS1_25transform_config_selectorIlLb0EEEZNS1_14transform_implILb0ES3_S5_NS0_18transform_iteratorINS0_17counting_iteratorImlEEZNS1_24adjacent_difference_implIS3_Lb1ELb0EPlSB_ZN2at6native12_GLOBAL__N_124unique_dim_cuda_templateIfEESt5tupleIJNSC_6TensorESH_SH_EERKSH_lbbbEUlllE1_EE10hipError_tPvRmT2_T3_mT4_P12ihipStream_tbEUlmE_lEESB_NS0_8identityIvEEEESM_SP_SQ_mSR_ST_bEUlT_E_NS1_11comp_targetILNS1_3genE9ELNS1_11target_archE1100ELNS1_3gpuE3ELNS1_3repE0EEENS1_30default_config_static_selectorELNS0_4arch9wavefront6targetE0EEEvT1_.has_recursion, 0
	.set _ZN7rocprim17ROCPRIM_400000_NS6detail17trampoline_kernelINS0_14default_configENS1_25transform_config_selectorIlLb0EEEZNS1_14transform_implILb0ES3_S5_NS0_18transform_iteratorINS0_17counting_iteratorImlEEZNS1_24adjacent_difference_implIS3_Lb1ELb0EPlSB_ZN2at6native12_GLOBAL__N_124unique_dim_cuda_templateIfEESt5tupleIJNSC_6TensorESH_SH_EERKSH_lbbbEUlllE1_EE10hipError_tPvRmT2_T3_mT4_P12ihipStream_tbEUlmE_lEESB_NS0_8identityIvEEEESM_SP_SQ_mSR_ST_bEUlT_E_NS1_11comp_targetILNS1_3genE9ELNS1_11target_archE1100ELNS1_3gpuE3ELNS1_3repE0EEENS1_30default_config_static_selectorELNS0_4arch9wavefront6targetE0EEEvT1_.has_indirect_call, 0
	.section	.AMDGPU.csdata,"",@progbits
; Kernel info:
; codeLenInByte = 0
; TotalNumSgprs: 0
; NumVgprs: 0
; ScratchSize: 0
; MemoryBound: 0
; FloatMode: 240
; IeeeMode: 1
; LDSByteSize: 0 bytes/workgroup (compile time only)
; SGPRBlocks: 0
; VGPRBlocks: 0
; NumSGPRsForWavesPerEU: 1
; NumVGPRsForWavesPerEU: 1
; NamedBarCnt: 0
; Occupancy: 16
; WaveLimiterHint : 0
; COMPUTE_PGM_RSRC2:SCRATCH_EN: 0
; COMPUTE_PGM_RSRC2:USER_SGPR: 2
; COMPUTE_PGM_RSRC2:TRAP_HANDLER: 0
; COMPUTE_PGM_RSRC2:TGID_X_EN: 1
; COMPUTE_PGM_RSRC2:TGID_Y_EN: 0
; COMPUTE_PGM_RSRC2:TGID_Z_EN: 0
; COMPUTE_PGM_RSRC2:TIDIG_COMP_CNT: 0
	.section	.text._ZN7rocprim17ROCPRIM_400000_NS6detail17trampoline_kernelINS0_14default_configENS1_25transform_config_selectorIlLb0EEEZNS1_14transform_implILb0ES3_S5_NS0_18transform_iteratorINS0_17counting_iteratorImlEEZNS1_24adjacent_difference_implIS3_Lb1ELb0EPlSB_ZN2at6native12_GLOBAL__N_124unique_dim_cuda_templateIfEESt5tupleIJNSC_6TensorESH_SH_EERKSH_lbbbEUlllE1_EE10hipError_tPvRmT2_T3_mT4_P12ihipStream_tbEUlmE_lEESB_NS0_8identityIvEEEESM_SP_SQ_mSR_ST_bEUlT_E_NS1_11comp_targetILNS1_3genE8ELNS1_11target_archE1030ELNS1_3gpuE2ELNS1_3repE0EEENS1_30default_config_static_selectorELNS0_4arch9wavefront6targetE0EEEvT1_,"axG",@progbits,_ZN7rocprim17ROCPRIM_400000_NS6detail17trampoline_kernelINS0_14default_configENS1_25transform_config_selectorIlLb0EEEZNS1_14transform_implILb0ES3_S5_NS0_18transform_iteratorINS0_17counting_iteratorImlEEZNS1_24adjacent_difference_implIS3_Lb1ELb0EPlSB_ZN2at6native12_GLOBAL__N_124unique_dim_cuda_templateIfEESt5tupleIJNSC_6TensorESH_SH_EERKSH_lbbbEUlllE1_EE10hipError_tPvRmT2_T3_mT4_P12ihipStream_tbEUlmE_lEESB_NS0_8identityIvEEEESM_SP_SQ_mSR_ST_bEUlT_E_NS1_11comp_targetILNS1_3genE8ELNS1_11target_archE1030ELNS1_3gpuE2ELNS1_3repE0EEENS1_30default_config_static_selectorELNS0_4arch9wavefront6targetE0EEEvT1_,comdat
	.globl	_ZN7rocprim17ROCPRIM_400000_NS6detail17trampoline_kernelINS0_14default_configENS1_25transform_config_selectorIlLb0EEEZNS1_14transform_implILb0ES3_S5_NS0_18transform_iteratorINS0_17counting_iteratorImlEEZNS1_24adjacent_difference_implIS3_Lb1ELb0EPlSB_ZN2at6native12_GLOBAL__N_124unique_dim_cuda_templateIfEESt5tupleIJNSC_6TensorESH_SH_EERKSH_lbbbEUlllE1_EE10hipError_tPvRmT2_T3_mT4_P12ihipStream_tbEUlmE_lEESB_NS0_8identityIvEEEESM_SP_SQ_mSR_ST_bEUlT_E_NS1_11comp_targetILNS1_3genE8ELNS1_11target_archE1030ELNS1_3gpuE2ELNS1_3repE0EEENS1_30default_config_static_selectorELNS0_4arch9wavefront6targetE0EEEvT1_ ; -- Begin function _ZN7rocprim17ROCPRIM_400000_NS6detail17trampoline_kernelINS0_14default_configENS1_25transform_config_selectorIlLb0EEEZNS1_14transform_implILb0ES3_S5_NS0_18transform_iteratorINS0_17counting_iteratorImlEEZNS1_24adjacent_difference_implIS3_Lb1ELb0EPlSB_ZN2at6native12_GLOBAL__N_124unique_dim_cuda_templateIfEESt5tupleIJNSC_6TensorESH_SH_EERKSH_lbbbEUlllE1_EE10hipError_tPvRmT2_T3_mT4_P12ihipStream_tbEUlmE_lEESB_NS0_8identityIvEEEESM_SP_SQ_mSR_ST_bEUlT_E_NS1_11comp_targetILNS1_3genE8ELNS1_11target_archE1030ELNS1_3gpuE2ELNS1_3repE0EEENS1_30default_config_static_selectorELNS0_4arch9wavefront6targetE0EEEvT1_
	.p2align	8
	.type	_ZN7rocprim17ROCPRIM_400000_NS6detail17trampoline_kernelINS0_14default_configENS1_25transform_config_selectorIlLb0EEEZNS1_14transform_implILb0ES3_S5_NS0_18transform_iteratorINS0_17counting_iteratorImlEEZNS1_24adjacent_difference_implIS3_Lb1ELb0EPlSB_ZN2at6native12_GLOBAL__N_124unique_dim_cuda_templateIfEESt5tupleIJNSC_6TensorESH_SH_EERKSH_lbbbEUlllE1_EE10hipError_tPvRmT2_T3_mT4_P12ihipStream_tbEUlmE_lEESB_NS0_8identityIvEEEESM_SP_SQ_mSR_ST_bEUlT_E_NS1_11comp_targetILNS1_3genE8ELNS1_11target_archE1030ELNS1_3gpuE2ELNS1_3repE0EEENS1_30default_config_static_selectorELNS0_4arch9wavefront6targetE0EEEvT1_,@function
_ZN7rocprim17ROCPRIM_400000_NS6detail17trampoline_kernelINS0_14default_configENS1_25transform_config_selectorIlLb0EEEZNS1_14transform_implILb0ES3_S5_NS0_18transform_iteratorINS0_17counting_iteratorImlEEZNS1_24adjacent_difference_implIS3_Lb1ELb0EPlSB_ZN2at6native12_GLOBAL__N_124unique_dim_cuda_templateIfEESt5tupleIJNSC_6TensorESH_SH_EERKSH_lbbbEUlllE1_EE10hipError_tPvRmT2_T3_mT4_P12ihipStream_tbEUlmE_lEESB_NS0_8identityIvEEEESM_SP_SQ_mSR_ST_bEUlT_E_NS1_11comp_targetILNS1_3genE8ELNS1_11target_archE1030ELNS1_3gpuE2ELNS1_3repE0EEENS1_30default_config_static_selectorELNS0_4arch9wavefront6targetE0EEEvT1_: ; @_ZN7rocprim17ROCPRIM_400000_NS6detail17trampoline_kernelINS0_14default_configENS1_25transform_config_selectorIlLb0EEEZNS1_14transform_implILb0ES3_S5_NS0_18transform_iteratorINS0_17counting_iteratorImlEEZNS1_24adjacent_difference_implIS3_Lb1ELb0EPlSB_ZN2at6native12_GLOBAL__N_124unique_dim_cuda_templateIfEESt5tupleIJNSC_6TensorESH_SH_EERKSH_lbbbEUlllE1_EE10hipError_tPvRmT2_T3_mT4_P12ihipStream_tbEUlmE_lEESB_NS0_8identityIvEEEESM_SP_SQ_mSR_ST_bEUlT_E_NS1_11comp_targetILNS1_3genE8ELNS1_11target_archE1030ELNS1_3gpuE2ELNS1_3repE0EEENS1_30default_config_static_selectorELNS0_4arch9wavefront6targetE0EEEvT1_
; %bb.0:
	.section	.rodata,"a",@progbits
	.p2align	6, 0x0
	.amdhsa_kernel _ZN7rocprim17ROCPRIM_400000_NS6detail17trampoline_kernelINS0_14default_configENS1_25transform_config_selectorIlLb0EEEZNS1_14transform_implILb0ES3_S5_NS0_18transform_iteratorINS0_17counting_iteratorImlEEZNS1_24adjacent_difference_implIS3_Lb1ELb0EPlSB_ZN2at6native12_GLOBAL__N_124unique_dim_cuda_templateIfEESt5tupleIJNSC_6TensorESH_SH_EERKSH_lbbbEUlllE1_EE10hipError_tPvRmT2_T3_mT4_P12ihipStream_tbEUlmE_lEESB_NS0_8identityIvEEEESM_SP_SQ_mSR_ST_bEUlT_E_NS1_11comp_targetILNS1_3genE8ELNS1_11target_archE1030ELNS1_3gpuE2ELNS1_3repE0EEENS1_30default_config_static_selectorELNS0_4arch9wavefront6targetE0EEEvT1_
		.amdhsa_group_segment_fixed_size 0
		.amdhsa_private_segment_fixed_size 0
		.amdhsa_kernarg_size 56
		.amdhsa_user_sgpr_count 2
		.amdhsa_user_sgpr_dispatch_ptr 0
		.amdhsa_user_sgpr_queue_ptr 0
		.amdhsa_user_sgpr_kernarg_segment_ptr 1
		.amdhsa_user_sgpr_dispatch_id 0
		.amdhsa_user_sgpr_kernarg_preload_length 0
		.amdhsa_user_sgpr_kernarg_preload_offset 0
		.amdhsa_user_sgpr_private_segment_size 0
		.amdhsa_wavefront_size32 1
		.amdhsa_uses_dynamic_stack 0
		.amdhsa_enable_private_segment 0
		.amdhsa_system_sgpr_workgroup_id_x 1
		.amdhsa_system_sgpr_workgroup_id_y 0
		.amdhsa_system_sgpr_workgroup_id_z 0
		.amdhsa_system_sgpr_workgroup_info 0
		.amdhsa_system_vgpr_workitem_id 0
		.amdhsa_next_free_vgpr 1
		.amdhsa_next_free_sgpr 1
		.amdhsa_named_barrier_count 0
		.amdhsa_reserve_vcc 0
		.amdhsa_float_round_mode_32 0
		.amdhsa_float_round_mode_16_64 0
		.amdhsa_float_denorm_mode_32 3
		.amdhsa_float_denorm_mode_16_64 3
		.amdhsa_fp16_overflow 0
		.amdhsa_memory_ordered 1
		.amdhsa_forward_progress 1
		.amdhsa_inst_pref_size 0
		.amdhsa_round_robin_scheduling 0
		.amdhsa_exception_fp_ieee_invalid_op 0
		.amdhsa_exception_fp_denorm_src 0
		.amdhsa_exception_fp_ieee_div_zero 0
		.amdhsa_exception_fp_ieee_overflow 0
		.amdhsa_exception_fp_ieee_underflow 0
		.amdhsa_exception_fp_ieee_inexact 0
		.amdhsa_exception_int_div_zero 0
	.end_amdhsa_kernel
	.section	.text._ZN7rocprim17ROCPRIM_400000_NS6detail17trampoline_kernelINS0_14default_configENS1_25transform_config_selectorIlLb0EEEZNS1_14transform_implILb0ES3_S5_NS0_18transform_iteratorINS0_17counting_iteratorImlEEZNS1_24adjacent_difference_implIS3_Lb1ELb0EPlSB_ZN2at6native12_GLOBAL__N_124unique_dim_cuda_templateIfEESt5tupleIJNSC_6TensorESH_SH_EERKSH_lbbbEUlllE1_EE10hipError_tPvRmT2_T3_mT4_P12ihipStream_tbEUlmE_lEESB_NS0_8identityIvEEEESM_SP_SQ_mSR_ST_bEUlT_E_NS1_11comp_targetILNS1_3genE8ELNS1_11target_archE1030ELNS1_3gpuE2ELNS1_3repE0EEENS1_30default_config_static_selectorELNS0_4arch9wavefront6targetE0EEEvT1_,"axG",@progbits,_ZN7rocprim17ROCPRIM_400000_NS6detail17trampoline_kernelINS0_14default_configENS1_25transform_config_selectorIlLb0EEEZNS1_14transform_implILb0ES3_S5_NS0_18transform_iteratorINS0_17counting_iteratorImlEEZNS1_24adjacent_difference_implIS3_Lb1ELb0EPlSB_ZN2at6native12_GLOBAL__N_124unique_dim_cuda_templateIfEESt5tupleIJNSC_6TensorESH_SH_EERKSH_lbbbEUlllE1_EE10hipError_tPvRmT2_T3_mT4_P12ihipStream_tbEUlmE_lEESB_NS0_8identityIvEEEESM_SP_SQ_mSR_ST_bEUlT_E_NS1_11comp_targetILNS1_3genE8ELNS1_11target_archE1030ELNS1_3gpuE2ELNS1_3repE0EEENS1_30default_config_static_selectorELNS0_4arch9wavefront6targetE0EEEvT1_,comdat
.Lfunc_end920:
	.size	_ZN7rocprim17ROCPRIM_400000_NS6detail17trampoline_kernelINS0_14default_configENS1_25transform_config_selectorIlLb0EEEZNS1_14transform_implILb0ES3_S5_NS0_18transform_iteratorINS0_17counting_iteratorImlEEZNS1_24adjacent_difference_implIS3_Lb1ELb0EPlSB_ZN2at6native12_GLOBAL__N_124unique_dim_cuda_templateIfEESt5tupleIJNSC_6TensorESH_SH_EERKSH_lbbbEUlllE1_EE10hipError_tPvRmT2_T3_mT4_P12ihipStream_tbEUlmE_lEESB_NS0_8identityIvEEEESM_SP_SQ_mSR_ST_bEUlT_E_NS1_11comp_targetILNS1_3genE8ELNS1_11target_archE1030ELNS1_3gpuE2ELNS1_3repE0EEENS1_30default_config_static_selectorELNS0_4arch9wavefront6targetE0EEEvT1_, .Lfunc_end920-_ZN7rocprim17ROCPRIM_400000_NS6detail17trampoline_kernelINS0_14default_configENS1_25transform_config_selectorIlLb0EEEZNS1_14transform_implILb0ES3_S5_NS0_18transform_iteratorINS0_17counting_iteratorImlEEZNS1_24adjacent_difference_implIS3_Lb1ELb0EPlSB_ZN2at6native12_GLOBAL__N_124unique_dim_cuda_templateIfEESt5tupleIJNSC_6TensorESH_SH_EERKSH_lbbbEUlllE1_EE10hipError_tPvRmT2_T3_mT4_P12ihipStream_tbEUlmE_lEESB_NS0_8identityIvEEEESM_SP_SQ_mSR_ST_bEUlT_E_NS1_11comp_targetILNS1_3genE8ELNS1_11target_archE1030ELNS1_3gpuE2ELNS1_3repE0EEENS1_30default_config_static_selectorELNS0_4arch9wavefront6targetE0EEEvT1_
                                        ; -- End function
	.set _ZN7rocprim17ROCPRIM_400000_NS6detail17trampoline_kernelINS0_14default_configENS1_25transform_config_selectorIlLb0EEEZNS1_14transform_implILb0ES3_S5_NS0_18transform_iteratorINS0_17counting_iteratorImlEEZNS1_24adjacent_difference_implIS3_Lb1ELb0EPlSB_ZN2at6native12_GLOBAL__N_124unique_dim_cuda_templateIfEESt5tupleIJNSC_6TensorESH_SH_EERKSH_lbbbEUlllE1_EE10hipError_tPvRmT2_T3_mT4_P12ihipStream_tbEUlmE_lEESB_NS0_8identityIvEEEESM_SP_SQ_mSR_ST_bEUlT_E_NS1_11comp_targetILNS1_3genE8ELNS1_11target_archE1030ELNS1_3gpuE2ELNS1_3repE0EEENS1_30default_config_static_selectorELNS0_4arch9wavefront6targetE0EEEvT1_.num_vgpr, 0
	.set _ZN7rocprim17ROCPRIM_400000_NS6detail17trampoline_kernelINS0_14default_configENS1_25transform_config_selectorIlLb0EEEZNS1_14transform_implILb0ES3_S5_NS0_18transform_iteratorINS0_17counting_iteratorImlEEZNS1_24adjacent_difference_implIS3_Lb1ELb0EPlSB_ZN2at6native12_GLOBAL__N_124unique_dim_cuda_templateIfEESt5tupleIJNSC_6TensorESH_SH_EERKSH_lbbbEUlllE1_EE10hipError_tPvRmT2_T3_mT4_P12ihipStream_tbEUlmE_lEESB_NS0_8identityIvEEEESM_SP_SQ_mSR_ST_bEUlT_E_NS1_11comp_targetILNS1_3genE8ELNS1_11target_archE1030ELNS1_3gpuE2ELNS1_3repE0EEENS1_30default_config_static_selectorELNS0_4arch9wavefront6targetE0EEEvT1_.num_agpr, 0
	.set _ZN7rocprim17ROCPRIM_400000_NS6detail17trampoline_kernelINS0_14default_configENS1_25transform_config_selectorIlLb0EEEZNS1_14transform_implILb0ES3_S5_NS0_18transform_iteratorINS0_17counting_iteratorImlEEZNS1_24adjacent_difference_implIS3_Lb1ELb0EPlSB_ZN2at6native12_GLOBAL__N_124unique_dim_cuda_templateIfEESt5tupleIJNSC_6TensorESH_SH_EERKSH_lbbbEUlllE1_EE10hipError_tPvRmT2_T3_mT4_P12ihipStream_tbEUlmE_lEESB_NS0_8identityIvEEEESM_SP_SQ_mSR_ST_bEUlT_E_NS1_11comp_targetILNS1_3genE8ELNS1_11target_archE1030ELNS1_3gpuE2ELNS1_3repE0EEENS1_30default_config_static_selectorELNS0_4arch9wavefront6targetE0EEEvT1_.numbered_sgpr, 0
	.set _ZN7rocprim17ROCPRIM_400000_NS6detail17trampoline_kernelINS0_14default_configENS1_25transform_config_selectorIlLb0EEEZNS1_14transform_implILb0ES3_S5_NS0_18transform_iteratorINS0_17counting_iteratorImlEEZNS1_24adjacent_difference_implIS3_Lb1ELb0EPlSB_ZN2at6native12_GLOBAL__N_124unique_dim_cuda_templateIfEESt5tupleIJNSC_6TensorESH_SH_EERKSH_lbbbEUlllE1_EE10hipError_tPvRmT2_T3_mT4_P12ihipStream_tbEUlmE_lEESB_NS0_8identityIvEEEESM_SP_SQ_mSR_ST_bEUlT_E_NS1_11comp_targetILNS1_3genE8ELNS1_11target_archE1030ELNS1_3gpuE2ELNS1_3repE0EEENS1_30default_config_static_selectorELNS0_4arch9wavefront6targetE0EEEvT1_.num_named_barrier, 0
	.set _ZN7rocprim17ROCPRIM_400000_NS6detail17trampoline_kernelINS0_14default_configENS1_25transform_config_selectorIlLb0EEEZNS1_14transform_implILb0ES3_S5_NS0_18transform_iteratorINS0_17counting_iteratorImlEEZNS1_24adjacent_difference_implIS3_Lb1ELb0EPlSB_ZN2at6native12_GLOBAL__N_124unique_dim_cuda_templateIfEESt5tupleIJNSC_6TensorESH_SH_EERKSH_lbbbEUlllE1_EE10hipError_tPvRmT2_T3_mT4_P12ihipStream_tbEUlmE_lEESB_NS0_8identityIvEEEESM_SP_SQ_mSR_ST_bEUlT_E_NS1_11comp_targetILNS1_3genE8ELNS1_11target_archE1030ELNS1_3gpuE2ELNS1_3repE0EEENS1_30default_config_static_selectorELNS0_4arch9wavefront6targetE0EEEvT1_.private_seg_size, 0
	.set _ZN7rocprim17ROCPRIM_400000_NS6detail17trampoline_kernelINS0_14default_configENS1_25transform_config_selectorIlLb0EEEZNS1_14transform_implILb0ES3_S5_NS0_18transform_iteratorINS0_17counting_iteratorImlEEZNS1_24adjacent_difference_implIS3_Lb1ELb0EPlSB_ZN2at6native12_GLOBAL__N_124unique_dim_cuda_templateIfEESt5tupleIJNSC_6TensorESH_SH_EERKSH_lbbbEUlllE1_EE10hipError_tPvRmT2_T3_mT4_P12ihipStream_tbEUlmE_lEESB_NS0_8identityIvEEEESM_SP_SQ_mSR_ST_bEUlT_E_NS1_11comp_targetILNS1_3genE8ELNS1_11target_archE1030ELNS1_3gpuE2ELNS1_3repE0EEENS1_30default_config_static_selectorELNS0_4arch9wavefront6targetE0EEEvT1_.uses_vcc, 0
	.set _ZN7rocprim17ROCPRIM_400000_NS6detail17trampoline_kernelINS0_14default_configENS1_25transform_config_selectorIlLb0EEEZNS1_14transform_implILb0ES3_S5_NS0_18transform_iteratorINS0_17counting_iteratorImlEEZNS1_24adjacent_difference_implIS3_Lb1ELb0EPlSB_ZN2at6native12_GLOBAL__N_124unique_dim_cuda_templateIfEESt5tupleIJNSC_6TensorESH_SH_EERKSH_lbbbEUlllE1_EE10hipError_tPvRmT2_T3_mT4_P12ihipStream_tbEUlmE_lEESB_NS0_8identityIvEEEESM_SP_SQ_mSR_ST_bEUlT_E_NS1_11comp_targetILNS1_3genE8ELNS1_11target_archE1030ELNS1_3gpuE2ELNS1_3repE0EEENS1_30default_config_static_selectorELNS0_4arch9wavefront6targetE0EEEvT1_.uses_flat_scratch, 0
	.set _ZN7rocprim17ROCPRIM_400000_NS6detail17trampoline_kernelINS0_14default_configENS1_25transform_config_selectorIlLb0EEEZNS1_14transform_implILb0ES3_S5_NS0_18transform_iteratorINS0_17counting_iteratorImlEEZNS1_24adjacent_difference_implIS3_Lb1ELb0EPlSB_ZN2at6native12_GLOBAL__N_124unique_dim_cuda_templateIfEESt5tupleIJNSC_6TensorESH_SH_EERKSH_lbbbEUlllE1_EE10hipError_tPvRmT2_T3_mT4_P12ihipStream_tbEUlmE_lEESB_NS0_8identityIvEEEESM_SP_SQ_mSR_ST_bEUlT_E_NS1_11comp_targetILNS1_3genE8ELNS1_11target_archE1030ELNS1_3gpuE2ELNS1_3repE0EEENS1_30default_config_static_selectorELNS0_4arch9wavefront6targetE0EEEvT1_.has_dyn_sized_stack, 0
	.set _ZN7rocprim17ROCPRIM_400000_NS6detail17trampoline_kernelINS0_14default_configENS1_25transform_config_selectorIlLb0EEEZNS1_14transform_implILb0ES3_S5_NS0_18transform_iteratorINS0_17counting_iteratorImlEEZNS1_24adjacent_difference_implIS3_Lb1ELb0EPlSB_ZN2at6native12_GLOBAL__N_124unique_dim_cuda_templateIfEESt5tupleIJNSC_6TensorESH_SH_EERKSH_lbbbEUlllE1_EE10hipError_tPvRmT2_T3_mT4_P12ihipStream_tbEUlmE_lEESB_NS0_8identityIvEEEESM_SP_SQ_mSR_ST_bEUlT_E_NS1_11comp_targetILNS1_3genE8ELNS1_11target_archE1030ELNS1_3gpuE2ELNS1_3repE0EEENS1_30default_config_static_selectorELNS0_4arch9wavefront6targetE0EEEvT1_.has_recursion, 0
	.set _ZN7rocprim17ROCPRIM_400000_NS6detail17trampoline_kernelINS0_14default_configENS1_25transform_config_selectorIlLb0EEEZNS1_14transform_implILb0ES3_S5_NS0_18transform_iteratorINS0_17counting_iteratorImlEEZNS1_24adjacent_difference_implIS3_Lb1ELb0EPlSB_ZN2at6native12_GLOBAL__N_124unique_dim_cuda_templateIfEESt5tupleIJNSC_6TensorESH_SH_EERKSH_lbbbEUlllE1_EE10hipError_tPvRmT2_T3_mT4_P12ihipStream_tbEUlmE_lEESB_NS0_8identityIvEEEESM_SP_SQ_mSR_ST_bEUlT_E_NS1_11comp_targetILNS1_3genE8ELNS1_11target_archE1030ELNS1_3gpuE2ELNS1_3repE0EEENS1_30default_config_static_selectorELNS0_4arch9wavefront6targetE0EEEvT1_.has_indirect_call, 0
	.section	.AMDGPU.csdata,"",@progbits
; Kernel info:
; codeLenInByte = 0
; TotalNumSgprs: 0
; NumVgprs: 0
; ScratchSize: 0
; MemoryBound: 0
; FloatMode: 240
; IeeeMode: 1
; LDSByteSize: 0 bytes/workgroup (compile time only)
; SGPRBlocks: 0
; VGPRBlocks: 0
; NumSGPRsForWavesPerEU: 1
; NumVGPRsForWavesPerEU: 1
; NamedBarCnt: 0
; Occupancy: 16
; WaveLimiterHint : 0
; COMPUTE_PGM_RSRC2:SCRATCH_EN: 0
; COMPUTE_PGM_RSRC2:USER_SGPR: 2
; COMPUTE_PGM_RSRC2:TRAP_HANDLER: 0
; COMPUTE_PGM_RSRC2:TGID_X_EN: 1
; COMPUTE_PGM_RSRC2:TGID_Y_EN: 0
; COMPUTE_PGM_RSRC2:TGID_Z_EN: 0
; COMPUTE_PGM_RSRC2:TIDIG_COMP_CNT: 0
	.section	.text._ZN7rocprim17ROCPRIM_400000_NS6detail17trampoline_kernelINS0_14default_configENS1_35adjacent_difference_config_selectorILb1ElEEZNS1_24adjacent_difference_implIS3_Lb1ELb0EPlS7_ZN2at6native12_GLOBAL__N_124unique_dim_cuda_templateIfEESt5tupleIJNS8_6TensorESD_SD_EERKSD_lbbbEUlllE1_EE10hipError_tPvRmT2_T3_mT4_P12ihipStream_tbEUlT_E_NS1_11comp_targetILNS1_3genE0ELNS1_11target_archE4294967295ELNS1_3gpuE0ELNS1_3repE0EEENS1_30default_config_static_selectorELNS0_4arch9wavefront6targetE0EEEvT1_,"axG",@progbits,_ZN7rocprim17ROCPRIM_400000_NS6detail17trampoline_kernelINS0_14default_configENS1_35adjacent_difference_config_selectorILb1ElEEZNS1_24adjacent_difference_implIS3_Lb1ELb0EPlS7_ZN2at6native12_GLOBAL__N_124unique_dim_cuda_templateIfEESt5tupleIJNS8_6TensorESD_SD_EERKSD_lbbbEUlllE1_EE10hipError_tPvRmT2_T3_mT4_P12ihipStream_tbEUlT_E_NS1_11comp_targetILNS1_3genE0ELNS1_11target_archE4294967295ELNS1_3gpuE0ELNS1_3repE0EEENS1_30default_config_static_selectorELNS0_4arch9wavefront6targetE0EEEvT1_,comdat
	.globl	_ZN7rocprim17ROCPRIM_400000_NS6detail17trampoline_kernelINS0_14default_configENS1_35adjacent_difference_config_selectorILb1ElEEZNS1_24adjacent_difference_implIS3_Lb1ELb0EPlS7_ZN2at6native12_GLOBAL__N_124unique_dim_cuda_templateIfEESt5tupleIJNS8_6TensorESD_SD_EERKSD_lbbbEUlllE1_EE10hipError_tPvRmT2_T3_mT4_P12ihipStream_tbEUlT_E_NS1_11comp_targetILNS1_3genE0ELNS1_11target_archE4294967295ELNS1_3gpuE0ELNS1_3repE0EEENS1_30default_config_static_selectorELNS0_4arch9wavefront6targetE0EEEvT1_ ; -- Begin function _ZN7rocprim17ROCPRIM_400000_NS6detail17trampoline_kernelINS0_14default_configENS1_35adjacent_difference_config_selectorILb1ElEEZNS1_24adjacent_difference_implIS3_Lb1ELb0EPlS7_ZN2at6native12_GLOBAL__N_124unique_dim_cuda_templateIfEESt5tupleIJNS8_6TensorESD_SD_EERKSD_lbbbEUlllE1_EE10hipError_tPvRmT2_T3_mT4_P12ihipStream_tbEUlT_E_NS1_11comp_targetILNS1_3genE0ELNS1_11target_archE4294967295ELNS1_3gpuE0ELNS1_3repE0EEENS1_30default_config_static_selectorELNS0_4arch9wavefront6targetE0EEEvT1_
	.p2align	8
	.type	_ZN7rocprim17ROCPRIM_400000_NS6detail17trampoline_kernelINS0_14default_configENS1_35adjacent_difference_config_selectorILb1ElEEZNS1_24adjacent_difference_implIS3_Lb1ELb0EPlS7_ZN2at6native12_GLOBAL__N_124unique_dim_cuda_templateIfEESt5tupleIJNS8_6TensorESD_SD_EERKSD_lbbbEUlllE1_EE10hipError_tPvRmT2_T3_mT4_P12ihipStream_tbEUlT_E_NS1_11comp_targetILNS1_3genE0ELNS1_11target_archE4294967295ELNS1_3gpuE0ELNS1_3repE0EEENS1_30default_config_static_selectorELNS0_4arch9wavefront6targetE0EEEvT1_,@function
_ZN7rocprim17ROCPRIM_400000_NS6detail17trampoline_kernelINS0_14default_configENS1_35adjacent_difference_config_selectorILb1ElEEZNS1_24adjacent_difference_implIS3_Lb1ELb0EPlS7_ZN2at6native12_GLOBAL__N_124unique_dim_cuda_templateIfEESt5tupleIJNS8_6TensorESD_SD_EERKSD_lbbbEUlllE1_EE10hipError_tPvRmT2_T3_mT4_P12ihipStream_tbEUlT_E_NS1_11comp_targetILNS1_3genE0ELNS1_11target_archE4294967295ELNS1_3gpuE0ELNS1_3repE0EEENS1_30default_config_static_selectorELNS0_4arch9wavefront6targetE0EEEvT1_: ; @_ZN7rocprim17ROCPRIM_400000_NS6detail17trampoline_kernelINS0_14default_configENS1_35adjacent_difference_config_selectorILb1ElEEZNS1_24adjacent_difference_implIS3_Lb1ELb0EPlS7_ZN2at6native12_GLOBAL__N_124unique_dim_cuda_templateIfEESt5tupleIJNS8_6TensorESD_SD_EERKSD_lbbbEUlllE1_EE10hipError_tPvRmT2_T3_mT4_P12ihipStream_tbEUlT_E_NS1_11comp_targetILNS1_3genE0ELNS1_11target_archE4294967295ELNS1_3gpuE0ELNS1_3repE0EEENS1_30default_config_static_selectorELNS0_4arch9wavefront6targetE0EEEvT1_
; %bb.0:
	s_load_b512 s[4:19], s[0:1], 0x0
	s_wait_xcnt 0x0
	s_bfe_u32 s0, ttmp6, 0x4000c
	s_and_b32 s1, ttmp6, 15
	s_add_co_i32 s0, s0, 1
	s_getreg_b32 s2, hwreg(HW_REG_IB_STS2, 6, 4)
	s_mul_i32 s0, ttmp9, s0
	s_mov_b32 s25, 0
	s_add_co_i32 s1, s1, s0
	s_wait_kmcnt 0x0
	s_lshl_b64 s[20:21], s[6:7], 3
	s_cmp_eq_u32 s2, 0
	s_add_nc_u64 s[4:5], s[4:5], s[20:21]
	s_cselect_b32 s3, ttmp9, s1
	s_and_b64 s[6:7], s[10:11], 0x3ff
	s_lshr_b64 s[0:1], s[10:11], 10
	s_lshl_b32 s2, s3, 10
	s_cmp_lg_u64 s[6:7], 0
	s_cselect_b32 s6, -1, 0
	s_delay_alu instid0(SALU_CYCLE_1) | instskip(NEXT) | instid1(VALU_DEP_1)
	v_cndmask_b32_e64 v1, 0, 1, s6
	v_readfirstlane_b32 s24, v1
	s_add_nc_u64 s[0:1], s[0:1], s[24:25]
	s_mov_b32 s24, s3
	s_add_nc_u64 s[6:7], s[0:1], -1
	s_add_nc_u64 s[22:23], s[18:19], s[24:25]
	s_mov_b32 s3, -1
	v_cmp_ge_u64_e64 s11, s[22:23], s[6:7]
	s_and_b32 vcc_lo, exec_lo, s11
	s_cbranch_vccz .LBB921_6
; %bb.1:
	v_mov_b32_e32 v2, 0
	s_lshl_b32 s3, s6, 10
	s_delay_alu instid0(SALU_CYCLE_1) | instskip(SKIP_1) | instid1(VALU_DEP_1)
	s_sub_co_i32 s28, s10, s3
	s_mov_b32 s3, s25
	v_dual_mov_b32 v3, v2 :: v_dual_mov_b32 v4, v2
	v_mov_b32_e32 v5, v2
	s_lshl_b64 s[26:27], s[2:3], 3
	s_mov_b32 s3, exec_lo
	s_add_nc_u64 s[26:27], s[4:5], s[26:27]
	v_cmpx_gt_u32_e64 s28, v0
	s_cbranch_execz .LBB921_3
; %bb.2:
	global_load_b64 v[4:5], v0, s[26:27] scale_offset
	v_dual_mov_b32 v6, v2 :: v_dual_mov_b32 v7, v2
	s_wait_loadcnt 0x0
	v_mov_b64_e32 v[2:3], v[4:5]
	s_delay_alu instid0(VALU_DEP_2)
	v_mov_b64_e32 v[4:5], v[6:7]
.LBB921_3:
	s_or_b32 exec_lo, exec_lo, s3
	v_or_b32_e32 v1, 0x200, v0
	s_mov_b32 s3, exec_lo
	s_delay_alu instid0(VALU_DEP_1)
	v_cmpx_gt_u32_e64 s28, v1
	s_cbranch_execz .LBB921_5
; %bb.4:
	global_load_b64 v[4:5], v0, s[26:27] offset:4096 scale_offset
.LBB921_5:
	s_wait_xcnt 0x0
	s_or_b32 exec_lo, exec_lo, s3
	v_dual_lshrrev_b32 v6, 2, v0 :: v_dual_lshrrev_b32 v1, 2, v1
	v_lshlrev_b32_e32 v7, 3, v0
	s_mov_b32 s3, 0
	s_delay_alu instid0(VALU_DEP_2) | instskip(NEXT) | instid1(VALU_DEP_3)
	v_and_b32_e32 v6, 0x78, v6
	v_and_b32_e32 v1, 0xf8, v1
	s_delay_alu instid0(VALU_DEP_1)
	v_dual_add_nc_u32 v6, v6, v7 :: v_dual_add_nc_u32 v1, v1, v7
	ds_store_b64 v6, v[2:3]
	s_wait_loadcnt 0x0
	ds_store_b64 v1, v[4:5] offset:4096
	s_wait_dscnt 0x0
	s_barrier_signal -1
	s_barrier_wait -1
.LBB921_6:
	s_and_b32 vcc_lo, exec_lo, s3
	s_cbranch_vccz .LBB921_8
; %bb.7:
	s_mov_b32 s3, 0
	v_or_b32_e32 v1, 0x200, v0
	s_lshl_b64 s[26:27], s[2:3], 3
	v_lshrrev_b32_e32 v6, 2, v0
	s_add_nc_u64 s[4:5], s[4:5], s[26:27]
	v_lshlrev_b32_e32 v7, 3, v0
	s_clause 0x1
	global_load_b64 v[2:3], v0, s[4:5] scale_offset
	global_load_b64 v[4:5], v0, s[4:5] offset:4096 scale_offset
	v_lshrrev_b32_e32 v1, 2, v1
	v_and_b32_e32 v6, 0x78, v6
	s_delay_alu instid0(VALU_DEP_2) | instskip(NEXT) | instid1(VALU_DEP_1)
	v_and_b32_e32 v1, 0xf8, v1
	v_dual_add_nc_u32 v6, v6, v7 :: v_dual_add_nc_u32 v1, v1, v7
	s_wait_loadcnt 0x1
	ds_store_b64 v6, v[2:3]
	s_wait_loadcnt 0x0
	ds_store_b64 v1, v[4:5] offset:4096
	s_wait_dscnt 0x0
	s_barrier_signal -1
	s_barrier_wait -1
.LBB921_8:
	v_lshrrev_b32_e32 v1, 1, v0
	s_cmp_eq_u64 s[22:23], 0
	s_delay_alu instid0(VALU_DEP_1) | instskip(NEXT) | instid1(VALU_DEP_1)
	v_and_b32_e32 v1, 0xf8, v1
	v_lshl_add_u32 v1, v0, 4, v1
	ds_load_2addr_b64 v[2:5], v1 offset1:1
	s_wait_dscnt 0x0
	s_barrier_signal -1
	s_barrier_wait -1
	s_cbranch_scc1 .LBB921_15
; %bb.9:
	s_lshl_b64 s[4:5], s[18:19], 3
	s_delay_alu instid0(SALU_CYCLE_1) | instskip(SKIP_3) | instid1(SALU_CYCLE_1)
	s_add_nc_u64 s[4:5], s[16:17], s[4:5]
	s_lshl_b64 s[16:17], s[24:25], 3
	s_cmp_eq_u64 s[22:23], s[6:7]
	s_add_nc_u64 s[4:5], s[4:5], s[16:17]
	s_add_nc_u64 s[4:5], s[4:5], -8
	s_load_b64 s[4:5], s[4:5], 0x0
	s_cbranch_scc1 .LBB921_16
; %bb.10:
	v_cmp_lt_i64_e64 s7, s[12:13], 1
	v_mov_b64_e32 v[8:9], 0
	v_cmp_gt_i64_e64 s3, s[12:13], 0
	v_lshlrev_b32_e32 v12, 3, v0
	s_and_b32 vcc_lo, exec_lo, s7
	ds_store_b64 v12, v[4:5]
	s_cbranch_vccnz .LBB921_18
; %bb.11:
	v_mul_u64_e32 v[6:7], s[12:13], v[4:5]
	v_mul_u64_e32 v[8:9], s[12:13], v[2:3]
	s_mov_b32 s7, 0
	s_mov_b64 s[16:17], s[12:13]
                                        ; implicit-def: $sgpr18
	s_delay_alu instid0(VALU_DEP_2) | instskip(NEXT) | instid1(VALU_DEP_2)
	v_lshl_add_u64 v[6:7], v[6:7], 2, s[14:15]
	v_lshl_add_u64 v[10:11], v[8:9], 2, s[14:15]
	s_branch .LBB921_13
.LBB921_12:                             ;   in Loop: Header=BB921_13 Depth=1
	s_or_b32 exec_lo, exec_lo, s19
	s_delay_alu instid0(SALU_CYCLE_1) | instskip(NEXT) | instid1(SALU_CYCLE_1)
	s_and_b32 s19, exec_lo, s18
	s_or_b32 s7, s19, s7
	s_delay_alu instid0(SALU_CYCLE_1)
	s_and_not1_b32 exec_lo, exec_lo, s7
	s_cbranch_execz .LBB921_17
.LBB921_13:                             ; =>This Inner Loop Header: Depth=1
	global_load_b32 v13, v[6:7], off
	global_load_b32 v14, v[10:11], off
	v_mov_b64_e32 v[8:9], 1
	s_or_b32 s18, s18, exec_lo
	s_mov_b32 s19, exec_lo
	s_wait_loadcnt 0x0
	v_cmpx_eq_f32_e32 v13, v14
	s_cbranch_execz .LBB921_12
; %bb.14:                               ;   in Loop: Header=BB921_13 Depth=1
	s_add_nc_u64 s[16:17], s[16:17], -1
	v_add_nc_u64_e32 v[6:7], 4, v[6:7]
	s_cmp_eq_u64 s[16:17], 0
	v_add_nc_u64_e32 v[10:11], 4, v[10:11]
	v_mov_b64_e32 v[8:9], 0
	s_cselect_b32 s23, -1, 0
	s_and_not1_b32 s18, s18, exec_lo
	s_and_b32 s23, s23, exec_lo
	s_delay_alu instid0(SALU_CYCLE_1)
	s_or_b32 s18, s18, s23
	s_branch .LBB921_12
.LBB921_15:
                                        ; implicit-def: $vgpr8_vgpr9
                                        ; implicit-def: $vgpr6_vgpr7
	s_branch .LBB921_47
.LBB921_16:
                                        ; implicit-def: $vgpr8_vgpr9
                                        ; implicit-def: $vgpr6_vgpr7
	s_cbranch_execnz .LBB921_27
	s_branch .LBB921_46
.LBB921_17:
	s_or_b32 exec_lo, exec_lo, s7
.LBB921_18:
	s_wait_kmcnt 0x0
	v_mov_b64_e32 v[6:7], s[4:5]
	s_mov_b32 s7, exec_lo
	s_wait_dscnt 0x0
	s_barrier_signal -1
	s_barrier_wait -1
	v_cmpx_ne_u32_e32 0, v0
; %bb.19:
	v_add_nc_u32_e32 v6, -8, v12
	ds_load_b64 v[6:7], v6
; %bb.20:
	s_or_b32 exec_lo, exec_lo, s7
	s_delay_alu instid0(SALU_CYCLE_1)
	s_and_not1_b32 vcc_lo, exec_lo, s3
	s_cbranch_vccnz .LBB921_26
; %bb.21:
	v_mul_u64_e32 v[10:11], s[12:13], v[2:3]
	s_wait_dscnt 0x0
	v_mul_u64_e32 v[6:7], s[12:13], v[6:7]
	s_mov_b32 s3, 0
	s_mov_b64 s[16:17], s[12:13]
                                        ; implicit-def: $sgpr7
	s_delay_alu instid0(VALU_DEP_2) | instskip(NEXT) | instid1(VALU_DEP_2)
	v_lshl_add_u64 v[10:11], v[10:11], 2, s[14:15]
	v_lshl_add_u64 v[12:13], v[6:7], 2, s[14:15]
	s_branch .LBB921_23
.LBB921_22:                             ;   in Loop: Header=BB921_23 Depth=1
	s_or_b32 exec_lo, exec_lo, s18
	s_delay_alu instid0(SALU_CYCLE_1) | instskip(NEXT) | instid1(SALU_CYCLE_1)
	s_and_b32 s18, exec_lo, s7
	s_or_b32 s3, s18, s3
	s_delay_alu instid0(SALU_CYCLE_1)
	s_and_not1_b32 exec_lo, exec_lo, s3
	s_cbranch_execz .LBB921_25
.LBB921_23:                             ; =>This Inner Loop Header: Depth=1
	global_load_b32 v14, v[10:11], off
	global_load_b32 v15, v[12:13], off
	v_mov_b64_e32 v[6:7], 1
	s_or_b32 s7, s7, exec_lo
	s_mov_b32 s18, exec_lo
	s_wait_loadcnt 0x0
	v_cmpx_eq_f32_e32 v14, v15
	s_cbranch_execz .LBB921_22
; %bb.24:                               ;   in Loop: Header=BB921_23 Depth=1
	s_add_nc_u64 s[16:17], s[16:17], -1
	v_add_nc_u64_e32 v[10:11], 4, v[10:11]
	s_cmp_eq_u64 s[16:17], 0
	v_add_nc_u64_e32 v[12:13], 4, v[12:13]
	v_mov_b64_e32 v[6:7], 0
	s_cselect_b32 s19, -1, 0
	s_and_not1_b32 s7, s7, exec_lo
	s_and_b32 s19, s19, exec_lo
	s_delay_alu instid0(SALU_CYCLE_1)
	s_or_b32 s7, s7, s19
	s_branch .LBB921_22
.LBB921_25:
	s_or_b32 exec_lo, exec_lo, s3
	s_branch .LBB921_46
.LBB921_26:
	s_wait_dscnt 0x0
	v_mov_b64_e32 v[6:7], 0
	s_branch .LBB921_46
.LBB921_27:
	v_dual_lshlrev_b32 v12, 1, v0 :: v_dual_lshlrev_b32 v13, 3, v0
	v_mov_b64_e32 v[8:9], v[4:5]
	s_lshl_b32 s3, s22, 10
	s_mov_b32 s7, exec_lo
	s_delay_alu instid0(VALU_DEP_2)
	v_or_b32_e32 v10, 1, v12
	s_sub_co_i32 s3, s10, s3
	v_mov_b64_e32 v[6:7], v[2:3]
	ds_store_b64 v13, v[4:5]
	v_cmpx_gt_u32_e64 s3, v10
	s_cbranch_execz .LBB921_35
; %bb.28:
	v_cmp_lt_i64_e64 s16, s[12:13], 1
	s_and_b32 vcc_lo, exec_lo, s16
	s_cbranch_vccnz .LBB921_34
; %bb.29:
	v_mul_u64_e32 v[6:7], s[12:13], v[4:5]
	v_mul_u64_e32 v[8:9], s[12:13], v[2:3]
	s_mov_b32 s18, 0
	s_mov_b64 s[16:17], s[12:13]
                                        ; implicit-def: $sgpr19
	s_delay_alu instid0(VALU_DEP_2) | instskip(NEXT) | instid1(VALU_DEP_2)
	v_lshl_add_u64 v[6:7], v[6:7], 2, s[14:15]
	v_lshl_add_u64 v[10:11], v[8:9], 2, s[14:15]
	s_branch .LBB921_31
.LBB921_30:                             ;   in Loop: Header=BB921_31 Depth=1
	s_or_b32 exec_lo, exec_lo, s22
	s_delay_alu instid0(SALU_CYCLE_1) | instskip(NEXT) | instid1(SALU_CYCLE_1)
	s_and_b32 s22, exec_lo, s19
	s_or_b32 s18, s22, s18
	s_delay_alu instid0(SALU_CYCLE_1)
	s_and_not1_b32 exec_lo, exec_lo, s18
	s_cbranch_execz .LBB921_33
.LBB921_31:                             ; =>This Inner Loop Header: Depth=1
	global_load_b32 v14, v[6:7], off
	global_load_b32 v15, v[10:11], off
	v_mov_b64_e32 v[8:9], 1
	s_or_b32 s19, s19, exec_lo
	s_mov_b32 s22, exec_lo
	s_wait_loadcnt 0x0
	v_cmpx_eq_f32_e32 v14, v15
	s_cbranch_execz .LBB921_30
; %bb.32:                               ;   in Loop: Header=BB921_31 Depth=1
	s_add_nc_u64 s[16:17], s[16:17], -1
	v_add_nc_u64_e32 v[6:7], 4, v[6:7]
	s_cmp_eq_u64 s[16:17], 0
	v_add_nc_u64_e32 v[10:11], 4, v[10:11]
	s_cselect_b32 s23, -1, 0
	s_and_not1_b32 s19, s19, exec_lo
	s_and_b32 s23, s23, exec_lo
	v_mov_b64_e32 v[8:9], 0
	s_or_b32 s19, s19, s23
	s_branch .LBB921_30
.LBB921_33:
	s_or_b32 exec_lo, exec_lo, s18
	s_branch .LBB921_35
.LBB921_34:
	v_mov_b64_e32 v[8:9], 0
.LBB921_35:
	s_or_b32 exec_lo, exec_lo, s7
	s_wait_kmcnt 0x0
	v_mov_b64_e32 v[10:11], s[4:5]
	s_mov_b32 s4, exec_lo
	s_wait_dscnt 0x0
	s_barrier_signal -1
	s_barrier_wait -1
	v_cmpx_ne_u32_e32 0, v0
; %bb.36:
	v_add_nc_u32_e32 v6, -8, v13
	ds_load_b64 v[10:11], v6
; %bb.37:
	s_or_b32 exec_lo, exec_lo, s4
	v_mov_b64_e32 v[6:7], v[2:3]
	v_cmp_gt_u32_e32 vcc_lo, s3, v12
	s_and_saveexec_b32 s3, vcc_lo
	s_cbranch_execz .LBB921_45
; %bb.38:
	v_cmp_lt_i64_e64 s4, s[12:13], 1
	s_and_b32 vcc_lo, exec_lo, s4
	s_cbranch_vccnz .LBB921_44
; %bb.39:
	v_mul_u64_e32 v[6:7], s[12:13], v[2:3]
	s_wait_dscnt 0x0
	v_mul_u64_e32 v[12:13], s[12:13], v[10:11]
	s_mov_b32 s7, 0
	s_mov_b64 s[4:5], s[12:13]
                                        ; implicit-def: $sgpr16
	s_delay_alu instid0(VALU_DEP_2) | instskip(NEXT) | instid1(VALU_DEP_2)
	v_lshl_add_u64 v[10:11], v[6:7], 2, s[14:15]
	v_lshl_add_u64 v[12:13], v[12:13], 2, s[14:15]
	s_branch .LBB921_41
.LBB921_40:                             ;   in Loop: Header=BB921_41 Depth=1
	s_or_b32 exec_lo, exec_lo, s17
	s_delay_alu instid0(SALU_CYCLE_1) | instskip(NEXT) | instid1(SALU_CYCLE_1)
	s_and_b32 s17, exec_lo, s16
	s_or_b32 s7, s17, s7
	s_delay_alu instid0(SALU_CYCLE_1)
	s_and_not1_b32 exec_lo, exec_lo, s7
	s_cbranch_execz .LBB921_43
.LBB921_41:                             ; =>This Inner Loop Header: Depth=1
	global_load_b32 v14, v[10:11], off
	global_load_b32 v15, v[12:13], off
	v_mov_b64_e32 v[6:7], 1
	s_or_b32 s16, s16, exec_lo
	s_mov_b32 s17, exec_lo
	s_wait_loadcnt 0x0
	v_cmpx_eq_f32_e32 v14, v15
	s_cbranch_execz .LBB921_40
; %bb.42:                               ;   in Loop: Header=BB921_41 Depth=1
	s_add_nc_u64 s[4:5], s[4:5], -1
	v_add_nc_u64_e32 v[10:11], 4, v[10:11]
	s_cmp_eq_u64 s[4:5], 0
	v_add_nc_u64_e32 v[12:13], 4, v[12:13]
	v_mov_b64_e32 v[6:7], 0
	s_cselect_b32 s18, -1, 0
	s_and_not1_b32 s16, s16, exec_lo
	s_and_b32 s18, s18, exec_lo
	s_delay_alu instid0(SALU_CYCLE_1)
	s_or_b32 s16, s16, s18
	s_branch .LBB921_40
.LBB921_43:
	s_or_b32 exec_lo, exec_lo, s7
	s_branch .LBB921_45
.LBB921_44:
	v_mov_b64_e32 v[6:7], 0
.LBB921_45:
	s_or_b32 exec_lo, exec_lo, s3
.LBB921_46:
	s_cbranch_execnz .LBB921_81
.LBB921_47:
	s_cmp_eq_u64 s[0:1], 1
	s_cbranch_scc1 .LBB921_53
; %bb.48:
	v_cmp_lt_i64_e64 s0, s[12:13], 1
	v_mov_b64_e32 v[8:9], 0
	s_wait_kmcnt 0x0
	v_cmp_gt_i64_e64 s4, s[12:13], 0
	v_lshlrev_b32_e32 v12, 3, v0
	s_and_b32 vcc_lo, exec_lo, s0
	ds_store_b64 v12, v[4:5]
	s_cbranch_vccnz .LBB921_55
; %bb.49:
	v_mul_u64_e32 v[6:7], s[12:13], v[4:5]
	v_mul_u64_e32 v[8:9], s[12:13], v[2:3]
	s_mov_b32 s3, 0
	s_mov_b64 s[0:1], s[12:13]
                                        ; implicit-def: $sgpr5
	s_delay_alu instid0(VALU_DEP_2) | instskip(SKIP_1) | instid1(VALU_DEP_2)
	v_lshl_add_u64 v[6:7], v[6:7], 2, s[14:15]
	s_wait_dscnt 0x1
	v_lshl_add_u64 v[10:11], v[8:9], 2, s[14:15]
	s_branch .LBB921_51
.LBB921_50:                             ;   in Loop: Header=BB921_51 Depth=1
	s_or_b32 exec_lo, exec_lo, s7
	s_delay_alu instid0(SALU_CYCLE_1) | instskip(NEXT) | instid1(SALU_CYCLE_1)
	s_and_b32 s7, exec_lo, s5
	s_or_b32 s3, s7, s3
	s_delay_alu instid0(SALU_CYCLE_1)
	s_and_not1_b32 exec_lo, exec_lo, s3
	s_cbranch_execz .LBB921_54
.LBB921_51:                             ; =>This Inner Loop Header: Depth=1
	global_load_b32 v13, v[6:7], off
	global_load_b32 v14, v[10:11], off
	v_mov_b64_e32 v[8:9], 1
	s_or_b32 s5, s5, exec_lo
	s_mov_b32 s7, exec_lo
	s_wait_loadcnt 0x0
	v_cmpx_eq_f32_e32 v13, v14
	s_cbranch_execz .LBB921_50
; %bb.52:                               ;   in Loop: Header=BB921_51 Depth=1
	s_add_nc_u64 s[0:1], s[0:1], -1
	v_add_nc_u64_e32 v[6:7], 4, v[6:7]
	s_cmp_eq_u64 s[0:1], 0
	v_add_nc_u64_e32 v[10:11], 4, v[10:11]
	v_mov_b64_e32 v[8:9], 0
	s_cselect_b32 s16, -1, 0
	s_and_not1_b32 s5, s5, exec_lo
	s_and_b32 s16, s16, exec_lo
	s_delay_alu instid0(SALU_CYCLE_1)
	s_or_b32 s5, s5, s16
	s_branch .LBB921_50
.LBB921_53:
                                        ; implicit-def: $vgpr8_vgpr9
                                        ; implicit-def: $vgpr6_vgpr7
	s_cbranch_execnz .LBB921_63
	s_branch .LBB921_81
.LBB921_54:
	s_or_b32 exec_lo, exec_lo, s3
.LBB921_55:
	v_mov_b64_e32 v[6:7], v[2:3]
	s_mov_b32 s3, 0
	s_mov_b32 s5, exec_lo
	s_wait_dscnt 0x0
	s_barrier_signal -1
	s_barrier_wait -1
	v_cmpx_ne_u32_e32 0, v0
	s_cbranch_execz .LBB921_62
; %bb.56:
	s_and_not1_b32 vcc_lo, exec_lo, s4
	s_cbranch_vccnz .LBB921_70
; %bb.57:
	v_add_nc_u32_e32 v6, -8, v12
	v_mul_u64_e32 v[10:11], s[12:13], v[2:3]
	s_mov_b32 s4, 0
	s_mov_b64 s[0:1], s[12:13]
                                        ; implicit-def: $sgpr7
	ds_load_b64 v[6:7], v6
	s_wait_dscnt 0x0
	v_mul_u64_e32 v[6:7], s[12:13], v[6:7]
	v_lshl_add_u64 v[10:11], v[10:11], 2, s[14:15]
	s_delay_alu instid0(VALU_DEP_2)
	v_lshl_add_u64 v[12:13], v[6:7], 2, s[14:15]
	s_branch .LBB921_59
.LBB921_58:                             ;   in Loop: Header=BB921_59 Depth=1
	s_or_b32 exec_lo, exec_lo, s16
	s_delay_alu instid0(SALU_CYCLE_1) | instskip(NEXT) | instid1(SALU_CYCLE_1)
	s_and_b32 s16, exec_lo, s7
	s_or_b32 s4, s16, s4
	s_delay_alu instid0(SALU_CYCLE_1)
	s_and_not1_b32 exec_lo, exec_lo, s4
	s_cbranch_execz .LBB921_61
.LBB921_59:                             ; =>This Inner Loop Header: Depth=1
	global_load_b32 v14, v[10:11], off
	global_load_b32 v15, v[12:13], off
	v_mov_b64_e32 v[6:7], 1
	s_or_b32 s7, s7, exec_lo
	s_mov_b32 s16, exec_lo
	s_wait_loadcnt 0x0
	v_cmpx_eq_f32_e32 v14, v15
	s_cbranch_execz .LBB921_58
; %bb.60:                               ;   in Loop: Header=BB921_59 Depth=1
	s_add_nc_u64 s[0:1], s[0:1], -1
	v_add_nc_u64_e32 v[10:11], 4, v[10:11]
	s_cmp_eq_u64 s[0:1], 0
	v_add_nc_u64_e32 v[12:13], 4, v[12:13]
	v_mov_b64_e32 v[6:7], 0
	s_cselect_b32 s17, -1, 0
	s_and_not1_b32 s7, s7, exec_lo
	s_and_b32 s17, s17, exec_lo
	s_delay_alu instid0(SALU_CYCLE_1)
	s_or_b32 s7, s7, s17
	s_branch .LBB921_58
.LBB921_61:
	s_or_b32 exec_lo, exec_lo, s4
.LBB921_62:
	s_delay_alu instid0(SALU_CYCLE_1) | instskip(NEXT) | instid1(SALU_CYCLE_1)
	s_or_b32 exec_lo, exec_lo, s5
	s_and_b32 vcc_lo, exec_lo, s3
	s_cbranch_vccz .LBB921_81
.LBB921_63:
	s_wait_dscnt 0x0
	v_dual_lshlrev_b32 v11, 1, v0 :: v_dual_lshlrev_b32 v10, 3, v0
	v_mov_b64_e32 v[8:9], v[4:5]
	s_mov_b32 s3, exec_lo
	v_mov_b64_e32 v[6:7], v[2:3]
	s_delay_alu instid0(VALU_DEP_3)
	v_or_b32_e32 v12, 1, v11
	ds_store_b64 v10, v[4:5]
	v_cmpx_gt_u32_e64 s10, v12
	s_cbranch_execz .LBB921_72
; %bb.64:
	v_cmp_lt_i64_e64 s0, s[12:13], 1
	s_and_b32 vcc_lo, exec_lo, s0
	s_cbranch_vccnz .LBB921_71
; %bb.65:
	v_mul_u64_e32 v[4:5], s[12:13], v[4:5]
	v_mul_u64_e32 v[6:7], s[12:13], v[2:3]
	s_wait_kmcnt 0x0
	s_mov_b32 s4, 0
	s_mov_b64 s[0:1], s[12:13]
                                        ; implicit-def: $sgpr5
	s_delay_alu instid0(VALU_DEP_2) | instskip(NEXT) | instid1(VALU_DEP_2)
	v_lshl_add_u64 v[4:5], v[4:5], 2, s[14:15]
	v_lshl_add_u64 v[6:7], v[6:7], 2, s[14:15]
	s_branch .LBB921_67
.LBB921_66:                             ;   in Loop: Header=BB921_67 Depth=1
	s_or_b32 exec_lo, exec_lo, s7
	s_delay_alu instid0(SALU_CYCLE_1) | instskip(NEXT) | instid1(SALU_CYCLE_1)
	s_and_b32 s7, exec_lo, s5
	s_or_b32 s4, s7, s4
	s_delay_alu instid0(SALU_CYCLE_1)
	s_and_not1_b32 exec_lo, exec_lo, s4
	s_cbranch_execz .LBB921_69
.LBB921_67:                             ; =>This Inner Loop Header: Depth=1
	global_load_b32 v12, v[4:5], off
	global_load_b32 v13, v[6:7], off
	v_mov_b64_e32 v[8:9], 1
	s_or_b32 s5, s5, exec_lo
	s_mov_b32 s7, exec_lo
	s_wait_loadcnt 0x0
	v_cmpx_eq_f32_e32 v12, v13
	s_cbranch_execz .LBB921_66
; %bb.68:                               ;   in Loop: Header=BB921_67 Depth=1
	s_add_nc_u64 s[0:1], s[0:1], -1
	v_add_nc_u64_e32 v[4:5], 4, v[4:5]
	s_cmp_eq_u64 s[0:1], 0
	v_add_nc_u64_e32 v[6:7], 4, v[6:7]
	s_cselect_b32 s16, -1, 0
	s_and_not1_b32 s5, s5, exec_lo
	s_and_b32 s16, s16, exec_lo
	v_mov_b64_e32 v[8:9], 0
	s_or_b32 s5, s5, s16
	s_branch .LBB921_66
.LBB921_69:
	s_or_b32 exec_lo, exec_lo, s4
	s_branch .LBB921_72
.LBB921_70:
	v_mov_b64_e32 v[6:7], 0
	s_or_b32 exec_lo, exec_lo, s5
	s_delay_alu instid0(SALU_CYCLE_1)
	s_and_b32 vcc_lo, exec_lo, s3
	s_cbranch_vccnz .LBB921_63
	s_branch .LBB921_81
.LBB921_71:
	v_mov_b64_e32 v[8:9], 0
.LBB921_72:
	s_or_b32 exec_lo, exec_lo, s3
	v_cmp_ne_u32_e32 vcc_lo, 0, v0
	v_cmp_gt_u32_e64 s0, s10, v11
	s_wait_dscnt 0x0
	s_barrier_signal -1
	s_barrier_wait -1
	s_and_b32 s1, vcc_lo, s0
	s_delay_alu instid0(SALU_CYCLE_1)
	s_and_saveexec_b32 s0, s1
	s_cbranch_execz .LBB921_80
; %bb.73:
	v_cmp_lt_i64_e64 s1, s[12:13], 1
	s_and_b32 vcc_lo, exec_lo, s1
	s_cbranch_vccnz .LBB921_79
; %bb.74:
	v_add_nc_u32_e32 v4, -8, v10
	v_mul_u64_e32 v[2:3], s[12:13], v[2:3]
	s_mov_b32 s1, 0
                                        ; implicit-def: $sgpr3
	ds_load_b64 v[4:5], v4
	s_wait_dscnt 0x0
	v_mul_u64_e32 v[6:7], s[12:13], v[4:5]
	v_lshl_add_u64 v[4:5], v[2:3], 2, s[14:15]
	s_delay_alu instid0(VALU_DEP_2)
	v_lshl_add_u64 v[6:7], v[6:7], 2, s[14:15]
	s_branch .LBB921_76
.LBB921_75:                             ;   in Loop: Header=BB921_76 Depth=1
	s_or_b32 exec_lo, exec_lo, s4
	s_delay_alu instid0(SALU_CYCLE_1) | instskip(NEXT) | instid1(SALU_CYCLE_1)
	s_and_b32 s4, exec_lo, s3
	s_or_b32 s1, s4, s1
	s_delay_alu instid0(SALU_CYCLE_1)
	s_and_not1_b32 exec_lo, exec_lo, s1
	s_cbranch_execz .LBB921_78
.LBB921_76:                             ; =>This Inner Loop Header: Depth=1
	global_load_b32 v10, v[4:5], off
	global_load_b32 v11, v[6:7], off
	v_mov_b64_e32 v[2:3], 1
	s_or_b32 s3, s3, exec_lo
	s_wait_kmcnt 0x0
	s_mov_b32 s4, exec_lo
	s_wait_loadcnt 0x0
	v_cmpx_eq_f32_e32 v10, v11
	s_cbranch_execz .LBB921_75
; %bb.77:                               ;   in Loop: Header=BB921_76 Depth=1
	s_add_nc_u64 s[12:13], s[12:13], -1
	v_add_nc_u64_e32 v[4:5], 4, v[4:5]
	s_cmp_eq_u64 s[12:13], 0
	v_add_nc_u64_e32 v[6:7], 4, v[6:7]
	v_mov_b64_e32 v[2:3], 0
	s_cselect_b32 s5, -1, 0
	s_and_not1_b32 s3, s3, exec_lo
	s_and_b32 s5, s5, exec_lo
	s_delay_alu instid0(SALU_CYCLE_1)
	s_or_b32 s3, s3, s5
	s_branch .LBB921_75
.LBB921_78:
	s_or_b32 exec_lo, exec_lo, s1
	s_branch .LBB921_80
.LBB921_79:
	v_mov_b64_e32 v[2:3], 0
.LBB921_80:
	s_or_b32 exec_lo, exec_lo, s0
	s_delay_alu instid0(VALU_DEP_1)
	v_mov_b64_e32 v[6:7], v[2:3]
.LBB921_81:
	s_add_nc_u64 s[0:1], s[8:9], s[20:21]
	s_and_b32 vcc_lo, exec_lo, s11
	s_wait_dscnt 0x0
	s_barrier_signal -1
	s_barrier_wait -1
	s_cbranch_vccz .LBB921_85
; %bb.82:
	v_or_b32_e32 v10, 0x200, v0
	ds_store_2addr_b64 v1, v[6:7], v[8:9] offset1:1
	s_wait_dscnt 0x0
	s_barrier_signal -1
	s_barrier_wait -1
	v_dual_lshrrev_b32 v2, 2, v10 :: v_dual_lshlrev_b32 v4, 3, v0
	s_mov_b32 s3, 0
	s_lshl_b32 s8, s6, 10
	s_delay_alu instid0(VALU_DEP_1)
	v_and_b32_e32 v2, 0xf8, v2
	s_wait_kmcnt 0x0
	s_lshl_b64 s[4:5], s[2:3], 3
	v_mov_b32_e32 v5, 0
	s_add_nc_u64 s[6:7], s[0:1], s[4:5]
	s_sub_co_i32 s4, s10, s8
	v_add_nc_u32_e32 v2, v2, v4
	s_mov_b32 s5, exec_lo
	v_add_nc_u64_e32 v[4:5], s[6:7], v[4:5]
	ds_load_b64 v[2:3], v2 offset:4096
	v_cmpx_gt_u32_e64 s4, v0
	s_cbranch_execz .LBB921_84
; %bb.83:
	v_lshrrev_b32_e32 v11, 2, v0
	s_delay_alu instid0(VALU_DEP_1) | instskip(NEXT) | instid1(VALU_DEP_1)
	v_and_b32_e32 v11, 0x78, v11
	v_lshl_add_u32 v11, v0, 3, v11
	ds_load_b64 v[12:13], v11
	s_wait_dscnt 0x0
	global_store_b64 v[4:5], v[12:13], off
.LBB921_84:
	s_wait_xcnt 0x0
	s_or_b32 exec_lo, exec_lo, s5
	v_cmp_gt_u32_e64 s4, s4, v10
	s_and_b32 vcc_lo, exec_lo, s3
	s_cbranch_vccnz .LBB921_86
	s_branch .LBB921_87
.LBB921_85:
	s_wait_kmcnt 0x0
	s_mov_b32 s4, 0
                                        ; implicit-def: $vgpr2_vgpr3
                                        ; implicit-def: $vgpr4_vgpr5
	s_cbranch_execz .LBB921_87
.LBB921_86:
	s_wait_dscnt 0x0
	v_or_b32_e32 v2, 0x200, v0
	v_dual_lshrrev_b32 v3, 2, v0 :: v_dual_lshlrev_b32 v4, 3, v0
	v_mov_b32_e32 v5, 0
	ds_store_2addr_b64 v1, v[6:7], v[8:9] offset1:1
	v_lshrrev_b32_e32 v2, 2, v2
	v_and_b32_e32 v3, 0x78, v3
	s_wait_storecnt_dscnt 0x0
	s_barrier_signal -1
	s_barrier_wait -1
	v_and_b32_e32 v2, 0xf8, v2
	v_add_nc_u32_e32 v1, v3, v4
	s_mov_b32 s3, 0
	s_or_b32 s4, s4, exec_lo
	s_delay_alu instid0(VALU_DEP_2) | instskip(SKIP_4) | instid1(SALU_CYCLE_1)
	v_add_nc_u32_e32 v2, v2, v4
	s_lshl_b64 s[2:3], s[2:3], 3
	ds_load_b64 v[6:7], v1
	ds_load_b64 v[2:3], v2 offset:4096
	s_add_nc_u64 s[0:1], s[0:1], s[2:3]
	v_add_nc_u64_e32 v[4:5], s[0:1], v[4:5]
	s_wait_dscnt 0x1
	global_store_b64 v0, v[6:7], s[0:1] scale_offset
.LBB921_87:
	s_wait_xcnt 0x0
	s_and_saveexec_b32 s0, s4
	s_cbranch_execnz .LBB921_89
; %bb.88:
	s_endpgm
.LBB921_89:
	s_wait_dscnt 0x0
	global_store_b64 v[4:5], v[2:3], off offset:4096
	s_endpgm
	.section	.rodata,"a",@progbits
	.p2align	6, 0x0
	.amdhsa_kernel _ZN7rocprim17ROCPRIM_400000_NS6detail17trampoline_kernelINS0_14default_configENS1_35adjacent_difference_config_selectorILb1ElEEZNS1_24adjacent_difference_implIS3_Lb1ELb0EPlS7_ZN2at6native12_GLOBAL__N_124unique_dim_cuda_templateIfEESt5tupleIJNS8_6TensorESD_SD_EERKSD_lbbbEUlllE1_EE10hipError_tPvRmT2_T3_mT4_P12ihipStream_tbEUlT_E_NS1_11comp_targetILNS1_3genE0ELNS1_11target_archE4294967295ELNS1_3gpuE0ELNS1_3repE0EEENS1_30default_config_static_selectorELNS0_4arch9wavefront6targetE0EEEvT1_
		.amdhsa_group_segment_fixed_size 8448
		.amdhsa_private_segment_fixed_size 0
		.amdhsa_kernarg_size 64
		.amdhsa_user_sgpr_count 2
		.amdhsa_user_sgpr_dispatch_ptr 0
		.amdhsa_user_sgpr_queue_ptr 0
		.amdhsa_user_sgpr_kernarg_segment_ptr 1
		.amdhsa_user_sgpr_dispatch_id 0
		.amdhsa_user_sgpr_kernarg_preload_length 0
		.amdhsa_user_sgpr_kernarg_preload_offset 0
		.amdhsa_user_sgpr_private_segment_size 0
		.amdhsa_wavefront_size32 1
		.amdhsa_uses_dynamic_stack 0
		.amdhsa_enable_private_segment 0
		.amdhsa_system_sgpr_workgroup_id_x 1
		.amdhsa_system_sgpr_workgroup_id_y 0
		.amdhsa_system_sgpr_workgroup_id_z 0
		.amdhsa_system_sgpr_workgroup_info 0
		.amdhsa_system_vgpr_workitem_id 0
		.amdhsa_next_free_vgpr 16
		.amdhsa_next_free_sgpr 29
		.amdhsa_named_barrier_count 0
		.amdhsa_reserve_vcc 1
		.amdhsa_float_round_mode_32 0
		.amdhsa_float_round_mode_16_64 0
		.amdhsa_float_denorm_mode_32 3
		.amdhsa_float_denorm_mode_16_64 3
		.amdhsa_fp16_overflow 0
		.amdhsa_memory_ordered 1
		.amdhsa_forward_progress 1
		.amdhsa_inst_pref_size 24
		.amdhsa_round_robin_scheduling 0
		.amdhsa_exception_fp_ieee_invalid_op 0
		.amdhsa_exception_fp_denorm_src 0
		.amdhsa_exception_fp_ieee_div_zero 0
		.amdhsa_exception_fp_ieee_overflow 0
		.amdhsa_exception_fp_ieee_underflow 0
		.amdhsa_exception_fp_ieee_inexact 0
		.amdhsa_exception_int_div_zero 0
	.end_amdhsa_kernel
	.section	.text._ZN7rocprim17ROCPRIM_400000_NS6detail17trampoline_kernelINS0_14default_configENS1_35adjacent_difference_config_selectorILb1ElEEZNS1_24adjacent_difference_implIS3_Lb1ELb0EPlS7_ZN2at6native12_GLOBAL__N_124unique_dim_cuda_templateIfEESt5tupleIJNS8_6TensorESD_SD_EERKSD_lbbbEUlllE1_EE10hipError_tPvRmT2_T3_mT4_P12ihipStream_tbEUlT_E_NS1_11comp_targetILNS1_3genE0ELNS1_11target_archE4294967295ELNS1_3gpuE0ELNS1_3repE0EEENS1_30default_config_static_selectorELNS0_4arch9wavefront6targetE0EEEvT1_,"axG",@progbits,_ZN7rocprim17ROCPRIM_400000_NS6detail17trampoline_kernelINS0_14default_configENS1_35adjacent_difference_config_selectorILb1ElEEZNS1_24adjacent_difference_implIS3_Lb1ELb0EPlS7_ZN2at6native12_GLOBAL__N_124unique_dim_cuda_templateIfEESt5tupleIJNS8_6TensorESD_SD_EERKSD_lbbbEUlllE1_EE10hipError_tPvRmT2_T3_mT4_P12ihipStream_tbEUlT_E_NS1_11comp_targetILNS1_3genE0ELNS1_11target_archE4294967295ELNS1_3gpuE0ELNS1_3repE0EEENS1_30default_config_static_selectorELNS0_4arch9wavefront6targetE0EEEvT1_,comdat
.Lfunc_end921:
	.size	_ZN7rocprim17ROCPRIM_400000_NS6detail17trampoline_kernelINS0_14default_configENS1_35adjacent_difference_config_selectorILb1ElEEZNS1_24adjacent_difference_implIS3_Lb1ELb0EPlS7_ZN2at6native12_GLOBAL__N_124unique_dim_cuda_templateIfEESt5tupleIJNS8_6TensorESD_SD_EERKSD_lbbbEUlllE1_EE10hipError_tPvRmT2_T3_mT4_P12ihipStream_tbEUlT_E_NS1_11comp_targetILNS1_3genE0ELNS1_11target_archE4294967295ELNS1_3gpuE0ELNS1_3repE0EEENS1_30default_config_static_selectorELNS0_4arch9wavefront6targetE0EEEvT1_, .Lfunc_end921-_ZN7rocprim17ROCPRIM_400000_NS6detail17trampoline_kernelINS0_14default_configENS1_35adjacent_difference_config_selectorILb1ElEEZNS1_24adjacent_difference_implIS3_Lb1ELb0EPlS7_ZN2at6native12_GLOBAL__N_124unique_dim_cuda_templateIfEESt5tupleIJNS8_6TensorESD_SD_EERKSD_lbbbEUlllE1_EE10hipError_tPvRmT2_T3_mT4_P12ihipStream_tbEUlT_E_NS1_11comp_targetILNS1_3genE0ELNS1_11target_archE4294967295ELNS1_3gpuE0ELNS1_3repE0EEENS1_30default_config_static_selectorELNS0_4arch9wavefront6targetE0EEEvT1_
                                        ; -- End function
	.set _ZN7rocprim17ROCPRIM_400000_NS6detail17trampoline_kernelINS0_14default_configENS1_35adjacent_difference_config_selectorILb1ElEEZNS1_24adjacent_difference_implIS3_Lb1ELb0EPlS7_ZN2at6native12_GLOBAL__N_124unique_dim_cuda_templateIfEESt5tupleIJNS8_6TensorESD_SD_EERKSD_lbbbEUlllE1_EE10hipError_tPvRmT2_T3_mT4_P12ihipStream_tbEUlT_E_NS1_11comp_targetILNS1_3genE0ELNS1_11target_archE4294967295ELNS1_3gpuE0ELNS1_3repE0EEENS1_30default_config_static_selectorELNS0_4arch9wavefront6targetE0EEEvT1_.num_vgpr, 16
	.set _ZN7rocprim17ROCPRIM_400000_NS6detail17trampoline_kernelINS0_14default_configENS1_35adjacent_difference_config_selectorILb1ElEEZNS1_24adjacent_difference_implIS3_Lb1ELb0EPlS7_ZN2at6native12_GLOBAL__N_124unique_dim_cuda_templateIfEESt5tupleIJNS8_6TensorESD_SD_EERKSD_lbbbEUlllE1_EE10hipError_tPvRmT2_T3_mT4_P12ihipStream_tbEUlT_E_NS1_11comp_targetILNS1_3genE0ELNS1_11target_archE4294967295ELNS1_3gpuE0ELNS1_3repE0EEENS1_30default_config_static_selectorELNS0_4arch9wavefront6targetE0EEEvT1_.num_agpr, 0
	.set _ZN7rocprim17ROCPRIM_400000_NS6detail17trampoline_kernelINS0_14default_configENS1_35adjacent_difference_config_selectorILb1ElEEZNS1_24adjacent_difference_implIS3_Lb1ELb0EPlS7_ZN2at6native12_GLOBAL__N_124unique_dim_cuda_templateIfEESt5tupleIJNS8_6TensorESD_SD_EERKSD_lbbbEUlllE1_EE10hipError_tPvRmT2_T3_mT4_P12ihipStream_tbEUlT_E_NS1_11comp_targetILNS1_3genE0ELNS1_11target_archE4294967295ELNS1_3gpuE0ELNS1_3repE0EEENS1_30default_config_static_selectorELNS0_4arch9wavefront6targetE0EEEvT1_.numbered_sgpr, 29
	.set _ZN7rocprim17ROCPRIM_400000_NS6detail17trampoline_kernelINS0_14default_configENS1_35adjacent_difference_config_selectorILb1ElEEZNS1_24adjacent_difference_implIS3_Lb1ELb0EPlS7_ZN2at6native12_GLOBAL__N_124unique_dim_cuda_templateIfEESt5tupleIJNS8_6TensorESD_SD_EERKSD_lbbbEUlllE1_EE10hipError_tPvRmT2_T3_mT4_P12ihipStream_tbEUlT_E_NS1_11comp_targetILNS1_3genE0ELNS1_11target_archE4294967295ELNS1_3gpuE0ELNS1_3repE0EEENS1_30default_config_static_selectorELNS0_4arch9wavefront6targetE0EEEvT1_.num_named_barrier, 0
	.set _ZN7rocprim17ROCPRIM_400000_NS6detail17trampoline_kernelINS0_14default_configENS1_35adjacent_difference_config_selectorILb1ElEEZNS1_24adjacent_difference_implIS3_Lb1ELb0EPlS7_ZN2at6native12_GLOBAL__N_124unique_dim_cuda_templateIfEESt5tupleIJNS8_6TensorESD_SD_EERKSD_lbbbEUlllE1_EE10hipError_tPvRmT2_T3_mT4_P12ihipStream_tbEUlT_E_NS1_11comp_targetILNS1_3genE0ELNS1_11target_archE4294967295ELNS1_3gpuE0ELNS1_3repE0EEENS1_30default_config_static_selectorELNS0_4arch9wavefront6targetE0EEEvT1_.private_seg_size, 0
	.set _ZN7rocprim17ROCPRIM_400000_NS6detail17trampoline_kernelINS0_14default_configENS1_35adjacent_difference_config_selectorILb1ElEEZNS1_24adjacent_difference_implIS3_Lb1ELb0EPlS7_ZN2at6native12_GLOBAL__N_124unique_dim_cuda_templateIfEESt5tupleIJNS8_6TensorESD_SD_EERKSD_lbbbEUlllE1_EE10hipError_tPvRmT2_T3_mT4_P12ihipStream_tbEUlT_E_NS1_11comp_targetILNS1_3genE0ELNS1_11target_archE4294967295ELNS1_3gpuE0ELNS1_3repE0EEENS1_30default_config_static_selectorELNS0_4arch9wavefront6targetE0EEEvT1_.uses_vcc, 1
	.set _ZN7rocprim17ROCPRIM_400000_NS6detail17trampoline_kernelINS0_14default_configENS1_35adjacent_difference_config_selectorILb1ElEEZNS1_24adjacent_difference_implIS3_Lb1ELb0EPlS7_ZN2at6native12_GLOBAL__N_124unique_dim_cuda_templateIfEESt5tupleIJNS8_6TensorESD_SD_EERKSD_lbbbEUlllE1_EE10hipError_tPvRmT2_T3_mT4_P12ihipStream_tbEUlT_E_NS1_11comp_targetILNS1_3genE0ELNS1_11target_archE4294967295ELNS1_3gpuE0ELNS1_3repE0EEENS1_30default_config_static_selectorELNS0_4arch9wavefront6targetE0EEEvT1_.uses_flat_scratch, 0
	.set _ZN7rocprim17ROCPRIM_400000_NS6detail17trampoline_kernelINS0_14default_configENS1_35adjacent_difference_config_selectorILb1ElEEZNS1_24adjacent_difference_implIS3_Lb1ELb0EPlS7_ZN2at6native12_GLOBAL__N_124unique_dim_cuda_templateIfEESt5tupleIJNS8_6TensorESD_SD_EERKSD_lbbbEUlllE1_EE10hipError_tPvRmT2_T3_mT4_P12ihipStream_tbEUlT_E_NS1_11comp_targetILNS1_3genE0ELNS1_11target_archE4294967295ELNS1_3gpuE0ELNS1_3repE0EEENS1_30default_config_static_selectorELNS0_4arch9wavefront6targetE0EEEvT1_.has_dyn_sized_stack, 0
	.set _ZN7rocprim17ROCPRIM_400000_NS6detail17trampoline_kernelINS0_14default_configENS1_35adjacent_difference_config_selectorILb1ElEEZNS1_24adjacent_difference_implIS3_Lb1ELb0EPlS7_ZN2at6native12_GLOBAL__N_124unique_dim_cuda_templateIfEESt5tupleIJNS8_6TensorESD_SD_EERKSD_lbbbEUlllE1_EE10hipError_tPvRmT2_T3_mT4_P12ihipStream_tbEUlT_E_NS1_11comp_targetILNS1_3genE0ELNS1_11target_archE4294967295ELNS1_3gpuE0ELNS1_3repE0EEENS1_30default_config_static_selectorELNS0_4arch9wavefront6targetE0EEEvT1_.has_recursion, 0
	.set _ZN7rocprim17ROCPRIM_400000_NS6detail17trampoline_kernelINS0_14default_configENS1_35adjacent_difference_config_selectorILb1ElEEZNS1_24adjacent_difference_implIS3_Lb1ELb0EPlS7_ZN2at6native12_GLOBAL__N_124unique_dim_cuda_templateIfEESt5tupleIJNS8_6TensorESD_SD_EERKSD_lbbbEUlllE1_EE10hipError_tPvRmT2_T3_mT4_P12ihipStream_tbEUlT_E_NS1_11comp_targetILNS1_3genE0ELNS1_11target_archE4294967295ELNS1_3gpuE0ELNS1_3repE0EEENS1_30default_config_static_selectorELNS0_4arch9wavefront6targetE0EEEvT1_.has_indirect_call, 0
	.section	.AMDGPU.csdata,"",@progbits
; Kernel info:
; codeLenInByte = 2948
; TotalNumSgprs: 31
; NumVgprs: 16
; ScratchSize: 0
; MemoryBound: 0
; FloatMode: 240
; IeeeMode: 1
; LDSByteSize: 8448 bytes/workgroup (compile time only)
; SGPRBlocks: 0
; VGPRBlocks: 0
; NumSGPRsForWavesPerEU: 31
; NumVGPRsForWavesPerEU: 16
; NamedBarCnt: 0
; Occupancy: 16
; WaveLimiterHint : 1
; COMPUTE_PGM_RSRC2:SCRATCH_EN: 0
; COMPUTE_PGM_RSRC2:USER_SGPR: 2
; COMPUTE_PGM_RSRC2:TRAP_HANDLER: 0
; COMPUTE_PGM_RSRC2:TGID_X_EN: 1
; COMPUTE_PGM_RSRC2:TGID_Y_EN: 0
; COMPUTE_PGM_RSRC2:TGID_Z_EN: 0
; COMPUTE_PGM_RSRC2:TIDIG_COMP_CNT: 0
	.section	.text._ZN7rocprim17ROCPRIM_400000_NS6detail17trampoline_kernelINS0_14default_configENS1_35adjacent_difference_config_selectorILb1ElEEZNS1_24adjacent_difference_implIS3_Lb1ELb0EPlS7_ZN2at6native12_GLOBAL__N_124unique_dim_cuda_templateIfEESt5tupleIJNS8_6TensorESD_SD_EERKSD_lbbbEUlllE1_EE10hipError_tPvRmT2_T3_mT4_P12ihipStream_tbEUlT_E_NS1_11comp_targetILNS1_3genE10ELNS1_11target_archE1201ELNS1_3gpuE5ELNS1_3repE0EEENS1_30default_config_static_selectorELNS0_4arch9wavefront6targetE0EEEvT1_,"axG",@progbits,_ZN7rocprim17ROCPRIM_400000_NS6detail17trampoline_kernelINS0_14default_configENS1_35adjacent_difference_config_selectorILb1ElEEZNS1_24adjacent_difference_implIS3_Lb1ELb0EPlS7_ZN2at6native12_GLOBAL__N_124unique_dim_cuda_templateIfEESt5tupleIJNS8_6TensorESD_SD_EERKSD_lbbbEUlllE1_EE10hipError_tPvRmT2_T3_mT4_P12ihipStream_tbEUlT_E_NS1_11comp_targetILNS1_3genE10ELNS1_11target_archE1201ELNS1_3gpuE5ELNS1_3repE0EEENS1_30default_config_static_selectorELNS0_4arch9wavefront6targetE0EEEvT1_,comdat
	.globl	_ZN7rocprim17ROCPRIM_400000_NS6detail17trampoline_kernelINS0_14default_configENS1_35adjacent_difference_config_selectorILb1ElEEZNS1_24adjacent_difference_implIS3_Lb1ELb0EPlS7_ZN2at6native12_GLOBAL__N_124unique_dim_cuda_templateIfEESt5tupleIJNS8_6TensorESD_SD_EERKSD_lbbbEUlllE1_EE10hipError_tPvRmT2_T3_mT4_P12ihipStream_tbEUlT_E_NS1_11comp_targetILNS1_3genE10ELNS1_11target_archE1201ELNS1_3gpuE5ELNS1_3repE0EEENS1_30default_config_static_selectorELNS0_4arch9wavefront6targetE0EEEvT1_ ; -- Begin function _ZN7rocprim17ROCPRIM_400000_NS6detail17trampoline_kernelINS0_14default_configENS1_35adjacent_difference_config_selectorILb1ElEEZNS1_24adjacent_difference_implIS3_Lb1ELb0EPlS7_ZN2at6native12_GLOBAL__N_124unique_dim_cuda_templateIfEESt5tupleIJNS8_6TensorESD_SD_EERKSD_lbbbEUlllE1_EE10hipError_tPvRmT2_T3_mT4_P12ihipStream_tbEUlT_E_NS1_11comp_targetILNS1_3genE10ELNS1_11target_archE1201ELNS1_3gpuE5ELNS1_3repE0EEENS1_30default_config_static_selectorELNS0_4arch9wavefront6targetE0EEEvT1_
	.p2align	8
	.type	_ZN7rocprim17ROCPRIM_400000_NS6detail17trampoline_kernelINS0_14default_configENS1_35adjacent_difference_config_selectorILb1ElEEZNS1_24adjacent_difference_implIS3_Lb1ELb0EPlS7_ZN2at6native12_GLOBAL__N_124unique_dim_cuda_templateIfEESt5tupleIJNS8_6TensorESD_SD_EERKSD_lbbbEUlllE1_EE10hipError_tPvRmT2_T3_mT4_P12ihipStream_tbEUlT_E_NS1_11comp_targetILNS1_3genE10ELNS1_11target_archE1201ELNS1_3gpuE5ELNS1_3repE0EEENS1_30default_config_static_selectorELNS0_4arch9wavefront6targetE0EEEvT1_,@function
_ZN7rocprim17ROCPRIM_400000_NS6detail17trampoline_kernelINS0_14default_configENS1_35adjacent_difference_config_selectorILb1ElEEZNS1_24adjacent_difference_implIS3_Lb1ELb0EPlS7_ZN2at6native12_GLOBAL__N_124unique_dim_cuda_templateIfEESt5tupleIJNS8_6TensorESD_SD_EERKSD_lbbbEUlllE1_EE10hipError_tPvRmT2_T3_mT4_P12ihipStream_tbEUlT_E_NS1_11comp_targetILNS1_3genE10ELNS1_11target_archE1201ELNS1_3gpuE5ELNS1_3repE0EEENS1_30default_config_static_selectorELNS0_4arch9wavefront6targetE0EEEvT1_: ; @_ZN7rocprim17ROCPRIM_400000_NS6detail17trampoline_kernelINS0_14default_configENS1_35adjacent_difference_config_selectorILb1ElEEZNS1_24adjacent_difference_implIS3_Lb1ELb0EPlS7_ZN2at6native12_GLOBAL__N_124unique_dim_cuda_templateIfEESt5tupleIJNS8_6TensorESD_SD_EERKSD_lbbbEUlllE1_EE10hipError_tPvRmT2_T3_mT4_P12ihipStream_tbEUlT_E_NS1_11comp_targetILNS1_3genE10ELNS1_11target_archE1201ELNS1_3gpuE5ELNS1_3repE0EEENS1_30default_config_static_selectorELNS0_4arch9wavefront6targetE0EEEvT1_
; %bb.0:
	.section	.rodata,"a",@progbits
	.p2align	6, 0x0
	.amdhsa_kernel _ZN7rocprim17ROCPRIM_400000_NS6detail17trampoline_kernelINS0_14default_configENS1_35adjacent_difference_config_selectorILb1ElEEZNS1_24adjacent_difference_implIS3_Lb1ELb0EPlS7_ZN2at6native12_GLOBAL__N_124unique_dim_cuda_templateIfEESt5tupleIJNS8_6TensorESD_SD_EERKSD_lbbbEUlllE1_EE10hipError_tPvRmT2_T3_mT4_P12ihipStream_tbEUlT_E_NS1_11comp_targetILNS1_3genE10ELNS1_11target_archE1201ELNS1_3gpuE5ELNS1_3repE0EEENS1_30default_config_static_selectorELNS0_4arch9wavefront6targetE0EEEvT1_
		.amdhsa_group_segment_fixed_size 0
		.amdhsa_private_segment_fixed_size 0
		.amdhsa_kernarg_size 64
		.amdhsa_user_sgpr_count 2
		.amdhsa_user_sgpr_dispatch_ptr 0
		.amdhsa_user_sgpr_queue_ptr 0
		.amdhsa_user_sgpr_kernarg_segment_ptr 1
		.amdhsa_user_sgpr_dispatch_id 0
		.amdhsa_user_sgpr_kernarg_preload_length 0
		.amdhsa_user_sgpr_kernarg_preload_offset 0
		.amdhsa_user_sgpr_private_segment_size 0
		.amdhsa_wavefront_size32 1
		.amdhsa_uses_dynamic_stack 0
		.amdhsa_enable_private_segment 0
		.amdhsa_system_sgpr_workgroup_id_x 1
		.amdhsa_system_sgpr_workgroup_id_y 0
		.amdhsa_system_sgpr_workgroup_id_z 0
		.amdhsa_system_sgpr_workgroup_info 0
		.amdhsa_system_vgpr_workitem_id 0
		.amdhsa_next_free_vgpr 1
		.amdhsa_next_free_sgpr 1
		.amdhsa_named_barrier_count 0
		.amdhsa_reserve_vcc 0
		.amdhsa_float_round_mode_32 0
		.amdhsa_float_round_mode_16_64 0
		.amdhsa_float_denorm_mode_32 3
		.amdhsa_float_denorm_mode_16_64 3
		.amdhsa_fp16_overflow 0
		.amdhsa_memory_ordered 1
		.amdhsa_forward_progress 1
		.amdhsa_inst_pref_size 0
		.amdhsa_round_robin_scheduling 0
		.amdhsa_exception_fp_ieee_invalid_op 0
		.amdhsa_exception_fp_denorm_src 0
		.amdhsa_exception_fp_ieee_div_zero 0
		.amdhsa_exception_fp_ieee_overflow 0
		.amdhsa_exception_fp_ieee_underflow 0
		.amdhsa_exception_fp_ieee_inexact 0
		.amdhsa_exception_int_div_zero 0
	.end_amdhsa_kernel
	.section	.text._ZN7rocprim17ROCPRIM_400000_NS6detail17trampoline_kernelINS0_14default_configENS1_35adjacent_difference_config_selectorILb1ElEEZNS1_24adjacent_difference_implIS3_Lb1ELb0EPlS7_ZN2at6native12_GLOBAL__N_124unique_dim_cuda_templateIfEESt5tupleIJNS8_6TensorESD_SD_EERKSD_lbbbEUlllE1_EE10hipError_tPvRmT2_T3_mT4_P12ihipStream_tbEUlT_E_NS1_11comp_targetILNS1_3genE10ELNS1_11target_archE1201ELNS1_3gpuE5ELNS1_3repE0EEENS1_30default_config_static_selectorELNS0_4arch9wavefront6targetE0EEEvT1_,"axG",@progbits,_ZN7rocprim17ROCPRIM_400000_NS6detail17trampoline_kernelINS0_14default_configENS1_35adjacent_difference_config_selectorILb1ElEEZNS1_24adjacent_difference_implIS3_Lb1ELb0EPlS7_ZN2at6native12_GLOBAL__N_124unique_dim_cuda_templateIfEESt5tupleIJNS8_6TensorESD_SD_EERKSD_lbbbEUlllE1_EE10hipError_tPvRmT2_T3_mT4_P12ihipStream_tbEUlT_E_NS1_11comp_targetILNS1_3genE10ELNS1_11target_archE1201ELNS1_3gpuE5ELNS1_3repE0EEENS1_30default_config_static_selectorELNS0_4arch9wavefront6targetE0EEEvT1_,comdat
.Lfunc_end922:
	.size	_ZN7rocprim17ROCPRIM_400000_NS6detail17trampoline_kernelINS0_14default_configENS1_35adjacent_difference_config_selectorILb1ElEEZNS1_24adjacent_difference_implIS3_Lb1ELb0EPlS7_ZN2at6native12_GLOBAL__N_124unique_dim_cuda_templateIfEESt5tupleIJNS8_6TensorESD_SD_EERKSD_lbbbEUlllE1_EE10hipError_tPvRmT2_T3_mT4_P12ihipStream_tbEUlT_E_NS1_11comp_targetILNS1_3genE10ELNS1_11target_archE1201ELNS1_3gpuE5ELNS1_3repE0EEENS1_30default_config_static_selectorELNS0_4arch9wavefront6targetE0EEEvT1_, .Lfunc_end922-_ZN7rocprim17ROCPRIM_400000_NS6detail17trampoline_kernelINS0_14default_configENS1_35adjacent_difference_config_selectorILb1ElEEZNS1_24adjacent_difference_implIS3_Lb1ELb0EPlS7_ZN2at6native12_GLOBAL__N_124unique_dim_cuda_templateIfEESt5tupleIJNS8_6TensorESD_SD_EERKSD_lbbbEUlllE1_EE10hipError_tPvRmT2_T3_mT4_P12ihipStream_tbEUlT_E_NS1_11comp_targetILNS1_3genE10ELNS1_11target_archE1201ELNS1_3gpuE5ELNS1_3repE0EEENS1_30default_config_static_selectorELNS0_4arch9wavefront6targetE0EEEvT1_
                                        ; -- End function
	.set _ZN7rocprim17ROCPRIM_400000_NS6detail17trampoline_kernelINS0_14default_configENS1_35adjacent_difference_config_selectorILb1ElEEZNS1_24adjacent_difference_implIS3_Lb1ELb0EPlS7_ZN2at6native12_GLOBAL__N_124unique_dim_cuda_templateIfEESt5tupleIJNS8_6TensorESD_SD_EERKSD_lbbbEUlllE1_EE10hipError_tPvRmT2_T3_mT4_P12ihipStream_tbEUlT_E_NS1_11comp_targetILNS1_3genE10ELNS1_11target_archE1201ELNS1_3gpuE5ELNS1_3repE0EEENS1_30default_config_static_selectorELNS0_4arch9wavefront6targetE0EEEvT1_.num_vgpr, 0
	.set _ZN7rocprim17ROCPRIM_400000_NS6detail17trampoline_kernelINS0_14default_configENS1_35adjacent_difference_config_selectorILb1ElEEZNS1_24adjacent_difference_implIS3_Lb1ELb0EPlS7_ZN2at6native12_GLOBAL__N_124unique_dim_cuda_templateIfEESt5tupleIJNS8_6TensorESD_SD_EERKSD_lbbbEUlllE1_EE10hipError_tPvRmT2_T3_mT4_P12ihipStream_tbEUlT_E_NS1_11comp_targetILNS1_3genE10ELNS1_11target_archE1201ELNS1_3gpuE5ELNS1_3repE0EEENS1_30default_config_static_selectorELNS0_4arch9wavefront6targetE0EEEvT1_.num_agpr, 0
	.set _ZN7rocprim17ROCPRIM_400000_NS6detail17trampoline_kernelINS0_14default_configENS1_35adjacent_difference_config_selectorILb1ElEEZNS1_24adjacent_difference_implIS3_Lb1ELb0EPlS7_ZN2at6native12_GLOBAL__N_124unique_dim_cuda_templateIfEESt5tupleIJNS8_6TensorESD_SD_EERKSD_lbbbEUlllE1_EE10hipError_tPvRmT2_T3_mT4_P12ihipStream_tbEUlT_E_NS1_11comp_targetILNS1_3genE10ELNS1_11target_archE1201ELNS1_3gpuE5ELNS1_3repE0EEENS1_30default_config_static_selectorELNS0_4arch9wavefront6targetE0EEEvT1_.numbered_sgpr, 0
	.set _ZN7rocprim17ROCPRIM_400000_NS6detail17trampoline_kernelINS0_14default_configENS1_35adjacent_difference_config_selectorILb1ElEEZNS1_24adjacent_difference_implIS3_Lb1ELb0EPlS7_ZN2at6native12_GLOBAL__N_124unique_dim_cuda_templateIfEESt5tupleIJNS8_6TensorESD_SD_EERKSD_lbbbEUlllE1_EE10hipError_tPvRmT2_T3_mT4_P12ihipStream_tbEUlT_E_NS1_11comp_targetILNS1_3genE10ELNS1_11target_archE1201ELNS1_3gpuE5ELNS1_3repE0EEENS1_30default_config_static_selectorELNS0_4arch9wavefront6targetE0EEEvT1_.num_named_barrier, 0
	.set _ZN7rocprim17ROCPRIM_400000_NS6detail17trampoline_kernelINS0_14default_configENS1_35adjacent_difference_config_selectorILb1ElEEZNS1_24adjacent_difference_implIS3_Lb1ELb0EPlS7_ZN2at6native12_GLOBAL__N_124unique_dim_cuda_templateIfEESt5tupleIJNS8_6TensorESD_SD_EERKSD_lbbbEUlllE1_EE10hipError_tPvRmT2_T3_mT4_P12ihipStream_tbEUlT_E_NS1_11comp_targetILNS1_3genE10ELNS1_11target_archE1201ELNS1_3gpuE5ELNS1_3repE0EEENS1_30default_config_static_selectorELNS0_4arch9wavefront6targetE0EEEvT1_.private_seg_size, 0
	.set _ZN7rocprim17ROCPRIM_400000_NS6detail17trampoline_kernelINS0_14default_configENS1_35adjacent_difference_config_selectorILb1ElEEZNS1_24adjacent_difference_implIS3_Lb1ELb0EPlS7_ZN2at6native12_GLOBAL__N_124unique_dim_cuda_templateIfEESt5tupleIJNS8_6TensorESD_SD_EERKSD_lbbbEUlllE1_EE10hipError_tPvRmT2_T3_mT4_P12ihipStream_tbEUlT_E_NS1_11comp_targetILNS1_3genE10ELNS1_11target_archE1201ELNS1_3gpuE5ELNS1_3repE0EEENS1_30default_config_static_selectorELNS0_4arch9wavefront6targetE0EEEvT1_.uses_vcc, 0
	.set _ZN7rocprim17ROCPRIM_400000_NS6detail17trampoline_kernelINS0_14default_configENS1_35adjacent_difference_config_selectorILb1ElEEZNS1_24adjacent_difference_implIS3_Lb1ELb0EPlS7_ZN2at6native12_GLOBAL__N_124unique_dim_cuda_templateIfEESt5tupleIJNS8_6TensorESD_SD_EERKSD_lbbbEUlllE1_EE10hipError_tPvRmT2_T3_mT4_P12ihipStream_tbEUlT_E_NS1_11comp_targetILNS1_3genE10ELNS1_11target_archE1201ELNS1_3gpuE5ELNS1_3repE0EEENS1_30default_config_static_selectorELNS0_4arch9wavefront6targetE0EEEvT1_.uses_flat_scratch, 0
	.set _ZN7rocprim17ROCPRIM_400000_NS6detail17trampoline_kernelINS0_14default_configENS1_35adjacent_difference_config_selectorILb1ElEEZNS1_24adjacent_difference_implIS3_Lb1ELb0EPlS7_ZN2at6native12_GLOBAL__N_124unique_dim_cuda_templateIfEESt5tupleIJNS8_6TensorESD_SD_EERKSD_lbbbEUlllE1_EE10hipError_tPvRmT2_T3_mT4_P12ihipStream_tbEUlT_E_NS1_11comp_targetILNS1_3genE10ELNS1_11target_archE1201ELNS1_3gpuE5ELNS1_3repE0EEENS1_30default_config_static_selectorELNS0_4arch9wavefront6targetE0EEEvT1_.has_dyn_sized_stack, 0
	.set _ZN7rocprim17ROCPRIM_400000_NS6detail17trampoline_kernelINS0_14default_configENS1_35adjacent_difference_config_selectorILb1ElEEZNS1_24adjacent_difference_implIS3_Lb1ELb0EPlS7_ZN2at6native12_GLOBAL__N_124unique_dim_cuda_templateIfEESt5tupleIJNS8_6TensorESD_SD_EERKSD_lbbbEUlllE1_EE10hipError_tPvRmT2_T3_mT4_P12ihipStream_tbEUlT_E_NS1_11comp_targetILNS1_3genE10ELNS1_11target_archE1201ELNS1_3gpuE5ELNS1_3repE0EEENS1_30default_config_static_selectorELNS0_4arch9wavefront6targetE0EEEvT1_.has_recursion, 0
	.set _ZN7rocprim17ROCPRIM_400000_NS6detail17trampoline_kernelINS0_14default_configENS1_35adjacent_difference_config_selectorILb1ElEEZNS1_24adjacent_difference_implIS3_Lb1ELb0EPlS7_ZN2at6native12_GLOBAL__N_124unique_dim_cuda_templateIfEESt5tupleIJNS8_6TensorESD_SD_EERKSD_lbbbEUlllE1_EE10hipError_tPvRmT2_T3_mT4_P12ihipStream_tbEUlT_E_NS1_11comp_targetILNS1_3genE10ELNS1_11target_archE1201ELNS1_3gpuE5ELNS1_3repE0EEENS1_30default_config_static_selectorELNS0_4arch9wavefront6targetE0EEEvT1_.has_indirect_call, 0
	.section	.AMDGPU.csdata,"",@progbits
; Kernel info:
; codeLenInByte = 0
; TotalNumSgprs: 0
; NumVgprs: 0
; ScratchSize: 0
; MemoryBound: 0
; FloatMode: 240
; IeeeMode: 1
; LDSByteSize: 0 bytes/workgroup (compile time only)
; SGPRBlocks: 0
; VGPRBlocks: 0
; NumSGPRsForWavesPerEU: 1
; NumVGPRsForWavesPerEU: 1
; NamedBarCnt: 0
; Occupancy: 16
; WaveLimiterHint : 0
; COMPUTE_PGM_RSRC2:SCRATCH_EN: 0
; COMPUTE_PGM_RSRC2:USER_SGPR: 2
; COMPUTE_PGM_RSRC2:TRAP_HANDLER: 0
; COMPUTE_PGM_RSRC2:TGID_X_EN: 1
; COMPUTE_PGM_RSRC2:TGID_Y_EN: 0
; COMPUTE_PGM_RSRC2:TGID_Z_EN: 0
; COMPUTE_PGM_RSRC2:TIDIG_COMP_CNT: 0
	.section	.text._ZN7rocprim17ROCPRIM_400000_NS6detail17trampoline_kernelINS0_14default_configENS1_35adjacent_difference_config_selectorILb1ElEEZNS1_24adjacent_difference_implIS3_Lb1ELb0EPlS7_ZN2at6native12_GLOBAL__N_124unique_dim_cuda_templateIfEESt5tupleIJNS8_6TensorESD_SD_EERKSD_lbbbEUlllE1_EE10hipError_tPvRmT2_T3_mT4_P12ihipStream_tbEUlT_E_NS1_11comp_targetILNS1_3genE5ELNS1_11target_archE942ELNS1_3gpuE9ELNS1_3repE0EEENS1_30default_config_static_selectorELNS0_4arch9wavefront6targetE0EEEvT1_,"axG",@progbits,_ZN7rocprim17ROCPRIM_400000_NS6detail17trampoline_kernelINS0_14default_configENS1_35adjacent_difference_config_selectorILb1ElEEZNS1_24adjacent_difference_implIS3_Lb1ELb0EPlS7_ZN2at6native12_GLOBAL__N_124unique_dim_cuda_templateIfEESt5tupleIJNS8_6TensorESD_SD_EERKSD_lbbbEUlllE1_EE10hipError_tPvRmT2_T3_mT4_P12ihipStream_tbEUlT_E_NS1_11comp_targetILNS1_3genE5ELNS1_11target_archE942ELNS1_3gpuE9ELNS1_3repE0EEENS1_30default_config_static_selectorELNS0_4arch9wavefront6targetE0EEEvT1_,comdat
	.globl	_ZN7rocprim17ROCPRIM_400000_NS6detail17trampoline_kernelINS0_14default_configENS1_35adjacent_difference_config_selectorILb1ElEEZNS1_24adjacent_difference_implIS3_Lb1ELb0EPlS7_ZN2at6native12_GLOBAL__N_124unique_dim_cuda_templateIfEESt5tupleIJNS8_6TensorESD_SD_EERKSD_lbbbEUlllE1_EE10hipError_tPvRmT2_T3_mT4_P12ihipStream_tbEUlT_E_NS1_11comp_targetILNS1_3genE5ELNS1_11target_archE942ELNS1_3gpuE9ELNS1_3repE0EEENS1_30default_config_static_selectorELNS0_4arch9wavefront6targetE0EEEvT1_ ; -- Begin function _ZN7rocprim17ROCPRIM_400000_NS6detail17trampoline_kernelINS0_14default_configENS1_35adjacent_difference_config_selectorILb1ElEEZNS1_24adjacent_difference_implIS3_Lb1ELb0EPlS7_ZN2at6native12_GLOBAL__N_124unique_dim_cuda_templateIfEESt5tupleIJNS8_6TensorESD_SD_EERKSD_lbbbEUlllE1_EE10hipError_tPvRmT2_T3_mT4_P12ihipStream_tbEUlT_E_NS1_11comp_targetILNS1_3genE5ELNS1_11target_archE942ELNS1_3gpuE9ELNS1_3repE0EEENS1_30default_config_static_selectorELNS0_4arch9wavefront6targetE0EEEvT1_
	.p2align	8
	.type	_ZN7rocprim17ROCPRIM_400000_NS6detail17trampoline_kernelINS0_14default_configENS1_35adjacent_difference_config_selectorILb1ElEEZNS1_24adjacent_difference_implIS3_Lb1ELb0EPlS7_ZN2at6native12_GLOBAL__N_124unique_dim_cuda_templateIfEESt5tupleIJNS8_6TensorESD_SD_EERKSD_lbbbEUlllE1_EE10hipError_tPvRmT2_T3_mT4_P12ihipStream_tbEUlT_E_NS1_11comp_targetILNS1_3genE5ELNS1_11target_archE942ELNS1_3gpuE9ELNS1_3repE0EEENS1_30default_config_static_selectorELNS0_4arch9wavefront6targetE0EEEvT1_,@function
_ZN7rocprim17ROCPRIM_400000_NS6detail17trampoline_kernelINS0_14default_configENS1_35adjacent_difference_config_selectorILb1ElEEZNS1_24adjacent_difference_implIS3_Lb1ELb0EPlS7_ZN2at6native12_GLOBAL__N_124unique_dim_cuda_templateIfEESt5tupleIJNS8_6TensorESD_SD_EERKSD_lbbbEUlllE1_EE10hipError_tPvRmT2_T3_mT4_P12ihipStream_tbEUlT_E_NS1_11comp_targetILNS1_3genE5ELNS1_11target_archE942ELNS1_3gpuE9ELNS1_3repE0EEENS1_30default_config_static_selectorELNS0_4arch9wavefront6targetE0EEEvT1_: ; @_ZN7rocprim17ROCPRIM_400000_NS6detail17trampoline_kernelINS0_14default_configENS1_35adjacent_difference_config_selectorILb1ElEEZNS1_24adjacent_difference_implIS3_Lb1ELb0EPlS7_ZN2at6native12_GLOBAL__N_124unique_dim_cuda_templateIfEESt5tupleIJNS8_6TensorESD_SD_EERKSD_lbbbEUlllE1_EE10hipError_tPvRmT2_T3_mT4_P12ihipStream_tbEUlT_E_NS1_11comp_targetILNS1_3genE5ELNS1_11target_archE942ELNS1_3gpuE9ELNS1_3repE0EEENS1_30default_config_static_selectorELNS0_4arch9wavefront6targetE0EEEvT1_
; %bb.0:
	.section	.rodata,"a",@progbits
	.p2align	6, 0x0
	.amdhsa_kernel _ZN7rocprim17ROCPRIM_400000_NS6detail17trampoline_kernelINS0_14default_configENS1_35adjacent_difference_config_selectorILb1ElEEZNS1_24adjacent_difference_implIS3_Lb1ELb0EPlS7_ZN2at6native12_GLOBAL__N_124unique_dim_cuda_templateIfEESt5tupleIJNS8_6TensorESD_SD_EERKSD_lbbbEUlllE1_EE10hipError_tPvRmT2_T3_mT4_P12ihipStream_tbEUlT_E_NS1_11comp_targetILNS1_3genE5ELNS1_11target_archE942ELNS1_3gpuE9ELNS1_3repE0EEENS1_30default_config_static_selectorELNS0_4arch9wavefront6targetE0EEEvT1_
		.amdhsa_group_segment_fixed_size 0
		.amdhsa_private_segment_fixed_size 0
		.amdhsa_kernarg_size 64
		.amdhsa_user_sgpr_count 2
		.amdhsa_user_sgpr_dispatch_ptr 0
		.amdhsa_user_sgpr_queue_ptr 0
		.amdhsa_user_sgpr_kernarg_segment_ptr 1
		.amdhsa_user_sgpr_dispatch_id 0
		.amdhsa_user_sgpr_kernarg_preload_length 0
		.amdhsa_user_sgpr_kernarg_preload_offset 0
		.amdhsa_user_sgpr_private_segment_size 0
		.amdhsa_wavefront_size32 1
		.amdhsa_uses_dynamic_stack 0
		.amdhsa_enable_private_segment 0
		.amdhsa_system_sgpr_workgroup_id_x 1
		.amdhsa_system_sgpr_workgroup_id_y 0
		.amdhsa_system_sgpr_workgroup_id_z 0
		.amdhsa_system_sgpr_workgroup_info 0
		.amdhsa_system_vgpr_workitem_id 0
		.amdhsa_next_free_vgpr 1
		.amdhsa_next_free_sgpr 1
		.amdhsa_named_barrier_count 0
		.amdhsa_reserve_vcc 0
		.amdhsa_float_round_mode_32 0
		.amdhsa_float_round_mode_16_64 0
		.amdhsa_float_denorm_mode_32 3
		.amdhsa_float_denorm_mode_16_64 3
		.amdhsa_fp16_overflow 0
		.amdhsa_memory_ordered 1
		.amdhsa_forward_progress 1
		.amdhsa_inst_pref_size 0
		.amdhsa_round_robin_scheduling 0
		.amdhsa_exception_fp_ieee_invalid_op 0
		.amdhsa_exception_fp_denorm_src 0
		.amdhsa_exception_fp_ieee_div_zero 0
		.amdhsa_exception_fp_ieee_overflow 0
		.amdhsa_exception_fp_ieee_underflow 0
		.amdhsa_exception_fp_ieee_inexact 0
		.amdhsa_exception_int_div_zero 0
	.end_amdhsa_kernel
	.section	.text._ZN7rocprim17ROCPRIM_400000_NS6detail17trampoline_kernelINS0_14default_configENS1_35adjacent_difference_config_selectorILb1ElEEZNS1_24adjacent_difference_implIS3_Lb1ELb0EPlS7_ZN2at6native12_GLOBAL__N_124unique_dim_cuda_templateIfEESt5tupleIJNS8_6TensorESD_SD_EERKSD_lbbbEUlllE1_EE10hipError_tPvRmT2_T3_mT4_P12ihipStream_tbEUlT_E_NS1_11comp_targetILNS1_3genE5ELNS1_11target_archE942ELNS1_3gpuE9ELNS1_3repE0EEENS1_30default_config_static_selectorELNS0_4arch9wavefront6targetE0EEEvT1_,"axG",@progbits,_ZN7rocprim17ROCPRIM_400000_NS6detail17trampoline_kernelINS0_14default_configENS1_35adjacent_difference_config_selectorILb1ElEEZNS1_24adjacent_difference_implIS3_Lb1ELb0EPlS7_ZN2at6native12_GLOBAL__N_124unique_dim_cuda_templateIfEESt5tupleIJNS8_6TensorESD_SD_EERKSD_lbbbEUlllE1_EE10hipError_tPvRmT2_T3_mT4_P12ihipStream_tbEUlT_E_NS1_11comp_targetILNS1_3genE5ELNS1_11target_archE942ELNS1_3gpuE9ELNS1_3repE0EEENS1_30default_config_static_selectorELNS0_4arch9wavefront6targetE0EEEvT1_,comdat
.Lfunc_end923:
	.size	_ZN7rocprim17ROCPRIM_400000_NS6detail17trampoline_kernelINS0_14default_configENS1_35adjacent_difference_config_selectorILb1ElEEZNS1_24adjacent_difference_implIS3_Lb1ELb0EPlS7_ZN2at6native12_GLOBAL__N_124unique_dim_cuda_templateIfEESt5tupleIJNS8_6TensorESD_SD_EERKSD_lbbbEUlllE1_EE10hipError_tPvRmT2_T3_mT4_P12ihipStream_tbEUlT_E_NS1_11comp_targetILNS1_3genE5ELNS1_11target_archE942ELNS1_3gpuE9ELNS1_3repE0EEENS1_30default_config_static_selectorELNS0_4arch9wavefront6targetE0EEEvT1_, .Lfunc_end923-_ZN7rocprim17ROCPRIM_400000_NS6detail17trampoline_kernelINS0_14default_configENS1_35adjacent_difference_config_selectorILb1ElEEZNS1_24adjacent_difference_implIS3_Lb1ELb0EPlS7_ZN2at6native12_GLOBAL__N_124unique_dim_cuda_templateIfEESt5tupleIJNS8_6TensorESD_SD_EERKSD_lbbbEUlllE1_EE10hipError_tPvRmT2_T3_mT4_P12ihipStream_tbEUlT_E_NS1_11comp_targetILNS1_3genE5ELNS1_11target_archE942ELNS1_3gpuE9ELNS1_3repE0EEENS1_30default_config_static_selectorELNS0_4arch9wavefront6targetE0EEEvT1_
                                        ; -- End function
	.set _ZN7rocprim17ROCPRIM_400000_NS6detail17trampoline_kernelINS0_14default_configENS1_35adjacent_difference_config_selectorILb1ElEEZNS1_24adjacent_difference_implIS3_Lb1ELb0EPlS7_ZN2at6native12_GLOBAL__N_124unique_dim_cuda_templateIfEESt5tupleIJNS8_6TensorESD_SD_EERKSD_lbbbEUlllE1_EE10hipError_tPvRmT2_T3_mT4_P12ihipStream_tbEUlT_E_NS1_11comp_targetILNS1_3genE5ELNS1_11target_archE942ELNS1_3gpuE9ELNS1_3repE0EEENS1_30default_config_static_selectorELNS0_4arch9wavefront6targetE0EEEvT1_.num_vgpr, 0
	.set _ZN7rocprim17ROCPRIM_400000_NS6detail17trampoline_kernelINS0_14default_configENS1_35adjacent_difference_config_selectorILb1ElEEZNS1_24adjacent_difference_implIS3_Lb1ELb0EPlS7_ZN2at6native12_GLOBAL__N_124unique_dim_cuda_templateIfEESt5tupleIJNS8_6TensorESD_SD_EERKSD_lbbbEUlllE1_EE10hipError_tPvRmT2_T3_mT4_P12ihipStream_tbEUlT_E_NS1_11comp_targetILNS1_3genE5ELNS1_11target_archE942ELNS1_3gpuE9ELNS1_3repE0EEENS1_30default_config_static_selectorELNS0_4arch9wavefront6targetE0EEEvT1_.num_agpr, 0
	.set _ZN7rocprim17ROCPRIM_400000_NS6detail17trampoline_kernelINS0_14default_configENS1_35adjacent_difference_config_selectorILb1ElEEZNS1_24adjacent_difference_implIS3_Lb1ELb0EPlS7_ZN2at6native12_GLOBAL__N_124unique_dim_cuda_templateIfEESt5tupleIJNS8_6TensorESD_SD_EERKSD_lbbbEUlllE1_EE10hipError_tPvRmT2_T3_mT4_P12ihipStream_tbEUlT_E_NS1_11comp_targetILNS1_3genE5ELNS1_11target_archE942ELNS1_3gpuE9ELNS1_3repE0EEENS1_30default_config_static_selectorELNS0_4arch9wavefront6targetE0EEEvT1_.numbered_sgpr, 0
	.set _ZN7rocprim17ROCPRIM_400000_NS6detail17trampoline_kernelINS0_14default_configENS1_35adjacent_difference_config_selectorILb1ElEEZNS1_24adjacent_difference_implIS3_Lb1ELb0EPlS7_ZN2at6native12_GLOBAL__N_124unique_dim_cuda_templateIfEESt5tupleIJNS8_6TensorESD_SD_EERKSD_lbbbEUlllE1_EE10hipError_tPvRmT2_T3_mT4_P12ihipStream_tbEUlT_E_NS1_11comp_targetILNS1_3genE5ELNS1_11target_archE942ELNS1_3gpuE9ELNS1_3repE0EEENS1_30default_config_static_selectorELNS0_4arch9wavefront6targetE0EEEvT1_.num_named_barrier, 0
	.set _ZN7rocprim17ROCPRIM_400000_NS6detail17trampoline_kernelINS0_14default_configENS1_35adjacent_difference_config_selectorILb1ElEEZNS1_24adjacent_difference_implIS3_Lb1ELb0EPlS7_ZN2at6native12_GLOBAL__N_124unique_dim_cuda_templateIfEESt5tupleIJNS8_6TensorESD_SD_EERKSD_lbbbEUlllE1_EE10hipError_tPvRmT2_T3_mT4_P12ihipStream_tbEUlT_E_NS1_11comp_targetILNS1_3genE5ELNS1_11target_archE942ELNS1_3gpuE9ELNS1_3repE0EEENS1_30default_config_static_selectorELNS0_4arch9wavefront6targetE0EEEvT1_.private_seg_size, 0
	.set _ZN7rocprim17ROCPRIM_400000_NS6detail17trampoline_kernelINS0_14default_configENS1_35adjacent_difference_config_selectorILb1ElEEZNS1_24adjacent_difference_implIS3_Lb1ELb0EPlS7_ZN2at6native12_GLOBAL__N_124unique_dim_cuda_templateIfEESt5tupleIJNS8_6TensorESD_SD_EERKSD_lbbbEUlllE1_EE10hipError_tPvRmT2_T3_mT4_P12ihipStream_tbEUlT_E_NS1_11comp_targetILNS1_3genE5ELNS1_11target_archE942ELNS1_3gpuE9ELNS1_3repE0EEENS1_30default_config_static_selectorELNS0_4arch9wavefront6targetE0EEEvT1_.uses_vcc, 0
	.set _ZN7rocprim17ROCPRIM_400000_NS6detail17trampoline_kernelINS0_14default_configENS1_35adjacent_difference_config_selectorILb1ElEEZNS1_24adjacent_difference_implIS3_Lb1ELb0EPlS7_ZN2at6native12_GLOBAL__N_124unique_dim_cuda_templateIfEESt5tupleIJNS8_6TensorESD_SD_EERKSD_lbbbEUlllE1_EE10hipError_tPvRmT2_T3_mT4_P12ihipStream_tbEUlT_E_NS1_11comp_targetILNS1_3genE5ELNS1_11target_archE942ELNS1_3gpuE9ELNS1_3repE0EEENS1_30default_config_static_selectorELNS0_4arch9wavefront6targetE0EEEvT1_.uses_flat_scratch, 0
	.set _ZN7rocprim17ROCPRIM_400000_NS6detail17trampoline_kernelINS0_14default_configENS1_35adjacent_difference_config_selectorILb1ElEEZNS1_24adjacent_difference_implIS3_Lb1ELb0EPlS7_ZN2at6native12_GLOBAL__N_124unique_dim_cuda_templateIfEESt5tupleIJNS8_6TensorESD_SD_EERKSD_lbbbEUlllE1_EE10hipError_tPvRmT2_T3_mT4_P12ihipStream_tbEUlT_E_NS1_11comp_targetILNS1_3genE5ELNS1_11target_archE942ELNS1_3gpuE9ELNS1_3repE0EEENS1_30default_config_static_selectorELNS0_4arch9wavefront6targetE0EEEvT1_.has_dyn_sized_stack, 0
	.set _ZN7rocprim17ROCPRIM_400000_NS6detail17trampoline_kernelINS0_14default_configENS1_35adjacent_difference_config_selectorILb1ElEEZNS1_24adjacent_difference_implIS3_Lb1ELb0EPlS7_ZN2at6native12_GLOBAL__N_124unique_dim_cuda_templateIfEESt5tupleIJNS8_6TensorESD_SD_EERKSD_lbbbEUlllE1_EE10hipError_tPvRmT2_T3_mT4_P12ihipStream_tbEUlT_E_NS1_11comp_targetILNS1_3genE5ELNS1_11target_archE942ELNS1_3gpuE9ELNS1_3repE0EEENS1_30default_config_static_selectorELNS0_4arch9wavefront6targetE0EEEvT1_.has_recursion, 0
	.set _ZN7rocprim17ROCPRIM_400000_NS6detail17trampoline_kernelINS0_14default_configENS1_35adjacent_difference_config_selectorILb1ElEEZNS1_24adjacent_difference_implIS3_Lb1ELb0EPlS7_ZN2at6native12_GLOBAL__N_124unique_dim_cuda_templateIfEESt5tupleIJNS8_6TensorESD_SD_EERKSD_lbbbEUlllE1_EE10hipError_tPvRmT2_T3_mT4_P12ihipStream_tbEUlT_E_NS1_11comp_targetILNS1_3genE5ELNS1_11target_archE942ELNS1_3gpuE9ELNS1_3repE0EEENS1_30default_config_static_selectorELNS0_4arch9wavefront6targetE0EEEvT1_.has_indirect_call, 0
	.section	.AMDGPU.csdata,"",@progbits
; Kernel info:
; codeLenInByte = 0
; TotalNumSgprs: 0
; NumVgprs: 0
; ScratchSize: 0
; MemoryBound: 0
; FloatMode: 240
; IeeeMode: 1
; LDSByteSize: 0 bytes/workgroup (compile time only)
; SGPRBlocks: 0
; VGPRBlocks: 0
; NumSGPRsForWavesPerEU: 1
; NumVGPRsForWavesPerEU: 1
; NamedBarCnt: 0
; Occupancy: 16
; WaveLimiterHint : 0
; COMPUTE_PGM_RSRC2:SCRATCH_EN: 0
; COMPUTE_PGM_RSRC2:USER_SGPR: 2
; COMPUTE_PGM_RSRC2:TRAP_HANDLER: 0
; COMPUTE_PGM_RSRC2:TGID_X_EN: 1
; COMPUTE_PGM_RSRC2:TGID_Y_EN: 0
; COMPUTE_PGM_RSRC2:TGID_Z_EN: 0
; COMPUTE_PGM_RSRC2:TIDIG_COMP_CNT: 0
	.section	.text._ZN7rocprim17ROCPRIM_400000_NS6detail17trampoline_kernelINS0_14default_configENS1_35adjacent_difference_config_selectorILb1ElEEZNS1_24adjacent_difference_implIS3_Lb1ELb0EPlS7_ZN2at6native12_GLOBAL__N_124unique_dim_cuda_templateIfEESt5tupleIJNS8_6TensorESD_SD_EERKSD_lbbbEUlllE1_EE10hipError_tPvRmT2_T3_mT4_P12ihipStream_tbEUlT_E_NS1_11comp_targetILNS1_3genE4ELNS1_11target_archE910ELNS1_3gpuE8ELNS1_3repE0EEENS1_30default_config_static_selectorELNS0_4arch9wavefront6targetE0EEEvT1_,"axG",@progbits,_ZN7rocprim17ROCPRIM_400000_NS6detail17trampoline_kernelINS0_14default_configENS1_35adjacent_difference_config_selectorILb1ElEEZNS1_24adjacent_difference_implIS3_Lb1ELb0EPlS7_ZN2at6native12_GLOBAL__N_124unique_dim_cuda_templateIfEESt5tupleIJNS8_6TensorESD_SD_EERKSD_lbbbEUlllE1_EE10hipError_tPvRmT2_T3_mT4_P12ihipStream_tbEUlT_E_NS1_11comp_targetILNS1_3genE4ELNS1_11target_archE910ELNS1_3gpuE8ELNS1_3repE0EEENS1_30default_config_static_selectorELNS0_4arch9wavefront6targetE0EEEvT1_,comdat
	.globl	_ZN7rocprim17ROCPRIM_400000_NS6detail17trampoline_kernelINS0_14default_configENS1_35adjacent_difference_config_selectorILb1ElEEZNS1_24adjacent_difference_implIS3_Lb1ELb0EPlS7_ZN2at6native12_GLOBAL__N_124unique_dim_cuda_templateIfEESt5tupleIJNS8_6TensorESD_SD_EERKSD_lbbbEUlllE1_EE10hipError_tPvRmT2_T3_mT4_P12ihipStream_tbEUlT_E_NS1_11comp_targetILNS1_3genE4ELNS1_11target_archE910ELNS1_3gpuE8ELNS1_3repE0EEENS1_30default_config_static_selectorELNS0_4arch9wavefront6targetE0EEEvT1_ ; -- Begin function _ZN7rocprim17ROCPRIM_400000_NS6detail17trampoline_kernelINS0_14default_configENS1_35adjacent_difference_config_selectorILb1ElEEZNS1_24adjacent_difference_implIS3_Lb1ELb0EPlS7_ZN2at6native12_GLOBAL__N_124unique_dim_cuda_templateIfEESt5tupleIJNS8_6TensorESD_SD_EERKSD_lbbbEUlllE1_EE10hipError_tPvRmT2_T3_mT4_P12ihipStream_tbEUlT_E_NS1_11comp_targetILNS1_3genE4ELNS1_11target_archE910ELNS1_3gpuE8ELNS1_3repE0EEENS1_30default_config_static_selectorELNS0_4arch9wavefront6targetE0EEEvT1_
	.p2align	8
	.type	_ZN7rocprim17ROCPRIM_400000_NS6detail17trampoline_kernelINS0_14default_configENS1_35adjacent_difference_config_selectorILb1ElEEZNS1_24adjacent_difference_implIS3_Lb1ELb0EPlS7_ZN2at6native12_GLOBAL__N_124unique_dim_cuda_templateIfEESt5tupleIJNS8_6TensorESD_SD_EERKSD_lbbbEUlllE1_EE10hipError_tPvRmT2_T3_mT4_P12ihipStream_tbEUlT_E_NS1_11comp_targetILNS1_3genE4ELNS1_11target_archE910ELNS1_3gpuE8ELNS1_3repE0EEENS1_30default_config_static_selectorELNS0_4arch9wavefront6targetE0EEEvT1_,@function
_ZN7rocprim17ROCPRIM_400000_NS6detail17trampoline_kernelINS0_14default_configENS1_35adjacent_difference_config_selectorILb1ElEEZNS1_24adjacent_difference_implIS3_Lb1ELb0EPlS7_ZN2at6native12_GLOBAL__N_124unique_dim_cuda_templateIfEESt5tupleIJNS8_6TensorESD_SD_EERKSD_lbbbEUlllE1_EE10hipError_tPvRmT2_T3_mT4_P12ihipStream_tbEUlT_E_NS1_11comp_targetILNS1_3genE4ELNS1_11target_archE910ELNS1_3gpuE8ELNS1_3repE0EEENS1_30default_config_static_selectorELNS0_4arch9wavefront6targetE0EEEvT1_: ; @_ZN7rocprim17ROCPRIM_400000_NS6detail17trampoline_kernelINS0_14default_configENS1_35adjacent_difference_config_selectorILb1ElEEZNS1_24adjacent_difference_implIS3_Lb1ELb0EPlS7_ZN2at6native12_GLOBAL__N_124unique_dim_cuda_templateIfEESt5tupleIJNS8_6TensorESD_SD_EERKSD_lbbbEUlllE1_EE10hipError_tPvRmT2_T3_mT4_P12ihipStream_tbEUlT_E_NS1_11comp_targetILNS1_3genE4ELNS1_11target_archE910ELNS1_3gpuE8ELNS1_3repE0EEENS1_30default_config_static_selectorELNS0_4arch9wavefront6targetE0EEEvT1_
; %bb.0:
	.section	.rodata,"a",@progbits
	.p2align	6, 0x0
	.amdhsa_kernel _ZN7rocprim17ROCPRIM_400000_NS6detail17trampoline_kernelINS0_14default_configENS1_35adjacent_difference_config_selectorILb1ElEEZNS1_24adjacent_difference_implIS3_Lb1ELb0EPlS7_ZN2at6native12_GLOBAL__N_124unique_dim_cuda_templateIfEESt5tupleIJNS8_6TensorESD_SD_EERKSD_lbbbEUlllE1_EE10hipError_tPvRmT2_T3_mT4_P12ihipStream_tbEUlT_E_NS1_11comp_targetILNS1_3genE4ELNS1_11target_archE910ELNS1_3gpuE8ELNS1_3repE0EEENS1_30default_config_static_selectorELNS0_4arch9wavefront6targetE0EEEvT1_
		.amdhsa_group_segment_fixed_size 0
		.amdhsa_private_segment_fixed_size 0
		.amdhsa_kernarg_size 64
		.amdhsa_user_sgpr_count 2
		.amdhsa_user_sgpr_dispatch_ptr 0
		.amdhsa_user_sgpr_queue_ptr 0
		.amdhsa_user_sgpr_kernarg_segment_ptr 1
		.amdhsa_user_sgpr_dispatch_id 0
		.amdhsa_user_sgpr_kernarg_preload_length 0
		.amdhsa_user_sgpr_kernarg_preload_offset 0
		.amdhsa_user_sgpr_private_segment_size 0
		.amdhsa_wavefront_size32 1
		.amdhsa_uses_dynamic_stack 0
		.amdhsa_enable_private_segment 0
		.amdhsa_system_sgpr_workgroup_id_x 1
		.amdhsa_system_sgpr_workgroup_id_y 0
		.amdhsa_system_sgpr_workgroup_id_z 0
		.amdhsa_system_sgpr_workgroup_info 0
		.amdhsa_system_vgpr_workitem_id 0
		.amdhsa_next_free_vgpr 1
		.amdhsa_next_free_sgpr 1
		.amdhsa_named_barrier_count 0
		.amdhsa_reserve_vcc 0
		.amdhsa_float_round_mode_32 0
		.amdhsa_float_round_mode_16_64 0
		.amdhsa_float_denorm_mode_32 3
		.amdhsa_float_denorm_mode_16_64 3
		.amdhsa_fp16_overflow 0
		.amdhsa_memory_ordered 1
		.amdhsa_forward_progress 1
		.amdhsa_inst_pref_size 0
		.amdhsa_round_robin_scheduling 0
		.amdhsa_exception_fp_ieee_invalid_op 0
		.amdhsa_exception_fp_denorm_src 0
		.amdhsa_exception_fp_ieee_div_zero 0
		.amdhsa_exception_fp_ieee_overflow 0
		.amdhsa_exception_fp_ieee_underflow 0
		.amdhsa_exception_fp_ieee_inexact 0
		.amdhsa_exception_int_div_zero 0
	.end_amdhsa_kernel
	.section	.text._ZN7rocprim17ROCPRIM_400000_NS6detail17trampoline_kernelINS0_14default_configENS1_35adjacent_difference_config_selectorILb1ElEEZNS1_24adjacent_difference_implIS3_Lb1ELb0EPlS7_ZN2at6native12_GLOBAL__N_124unique_dim_cuda_templateIfEESt5tupleIJNS8_6TensorESD_SD_EERKSD_lbbbEUlllE1_EE10hipError_tPvRmT2_T3_mT4_P12ihipStream_tbEUlT_E_NS1_11comp_targetILNS1_3genE4ELNS1_11target_archE910ELNS1_3gpuE8ELNS1_3repE0EEENS1_30default_config_static_selectorELNS0_4arch9wavefront6targetE0EEEvT1_,"axG",@progbits,_ZN7rocprim17ROCPRIM_400000_NS6detail17trampoline_kernelINS0_14default_configENS1_35adjacent_difference_config_selectorILb1ElEEZNS1_24adjacent_difference_implIS3_Lb1ELb0EPlS7_ZN2at6native12_GLOBAL__N_124unique_dim_cuda_templateIfEESt5tupleIJNS8_6TensorESD_SD_EERKSD_lbbbEUlllE1_EE10hipError_tPvRmT2_T3_mT4_P12ihipStream_tbEUlT_E_NS1_11comp_targetILNS1_3genE4ELNS1_11target_archE910ELNS1_3gpuE8ELNS1_3repE0EEENS1_30default_config_static_selectorELNS0_4arch9wavefront6targetE0EEEvT1_,comdat
.Lfunc_end924:
	.size	_ZN7rocprim17ROCPRIM_400000_NS6detail17trampoline_kernelINS0_14default_configENS1_35adjacent_difference_config_selectorILb1ElEEZNS1_24adjacent_difference_implIS3_Lb1ELb0EPlS7_ZN2at6native12_GLOBAL__N_124unique_dim_cuda_templateIfEESt5tupleIJNS8_6TensorESD_SD_EERKSD_lbbbEUlllE1_EE10hipError_tPvRmT2_T3_mT4_P12ihipStream_tbEUlT_E_NS1_11comp_targetILNS1_3genE4ELNS1_11target_archE910ELNS1_3gpuE8ELNS1_3repE0EEENS1_30default_config_static_selectorELNS0_4arch9wavefront6targetE0EEEvT1_, .Lfunc_end924-_ZN7rocprim17ROCPRIM_400000_NS6detail17trampoline_kernelINS0_14default_configENS1_35adjacent_difference_config_selectorILb1ElEEZNS1_24adjacent_difference_implIS3_Lb1ELb0EPlS7_ZN2at6native12_GLOBAL__N_124unique_dim_cuda_templateIfEESt5tupleIJNS8_6TensorESD_SD_EERKSD_lbbbEUlllE1_EE10hipError_tPvRmT2_T3_mT4_P12ihipStream_tbEUlT_E_NS1_11comp_targetILNS1_3genE4ELNS1_11target_archE910ELNS1_3gpuE8ELNS1_3repE0EEENS1_30default_config_static_selectorELNS0_4arch9wavefront6targetE0EEEvT1_
                                        ; -- End function
	.set _ZN7rocprim17ROCPRIM_400000_NS6detail17trampoline_kernelINS0_14default_configENS1_35adjacent_difference_config_selectorILb1ElEEZNS1_24adjacent_difference_implIS3_Lb1ELb0EPlS7_ZN2at6native12_GLOBAL__N_124unique_dim_cuda_templateIfEESt5tupleIJNS8_6TensorESD_SD_EERKSD_lbbbEUlllE1_EE10hipError_tPvRmT2_T3_mT4_P12ihipStream_tbEUlT_E_NS1_11comp_targetILNS1_3genE4ELNS1_11target_archE910ELNS1_3gpuE8ELNS1_3repE0EEENS1_30default_config_static_selectorELNS0_4arch9wavefront6targetE0EEEvT1_.num_vgpr, 0
	.set _ZN7rocprim17ROCPRIM_400000_NS6detail17trampoline_kernelINS0_14default_configENS1_35adjacent_difference_config_selectorILb1ElEEZNS1_24adjacent_difference_implIS3_Lb1ELb0EPlS7_ZN2at6native12_GLOBAL__N_124unique_dim_cuda_templateIfEESt5tupleIJNS8_6TensorESD_SD_EERKSD_lbbbEUlllE1_EE10hipError_tPvRmT2_T3_mT4_P12ihipStream_tbEUlT_E_NS1_11comp_targetILNS1_3genE4ELNS1_11target_archE910ELNS1_3gpuE8ELNS1_3repE0EEENS1_30default_config_static_selectorELNS0_4arch9wavefront6targetE0EEEvT1_.num_agpr, 0
	.set _ZN7rocprim17ROCPRIM_400000_NS6detail17trampoline_kernelINS0_14default_configENS1_35adjacent_difference_config_selectorILb1ElEEZNS1_24adjacent_difference_implIS3_Lb1ELb0EPlS7_ZN2at6native12_GLOBAL__N_124unique_dim_cuda_templateIfEESt5tupleIJNS8_6TensorESD_SD_EERKSD_lbbbEUlllE1_EE10hipError_tPvRmT2_T3_mT4_P12ihipStream_tbEUlT_E_NS1_11comp_targetILNS1_3genE4ELNS1_11target_archE910ELNS1_3gpuE8ELNS1_3repE0EEENS1_30default_config_static_selectorELNS0_4arch9wavefront6targetE0EEEvT1_.numbered_sgpr, 0
	.set _ZN7rocprim17ROCPRIM_400000_NS6detail17trampoline_kernelINS0_14default_configENS1_35adjacent_difference_config_selectorILb1ElEEZNS1_24adjacent_difference_implIS3_Lb1ELb0EPlS7_ZN2at6native12_GLOBAL__N_124unique_dim_cuda_templateIfEESt5tupleIJNS8_6TensorESD_SD_EERKSD_lbbbEUlllE1_EE10hipError_tPvRmT2_T3_mT4_P12ihipStream_tbEUlT_E_NS1_11comp_targetILNS1_3genE4ELNS1_11target_archE910ELNS1_3gpuE8ELNS1_3repE0EEENS1_30default_config_static_selectorELNS0_4arch9wavefront6targetE0EEEvT1_.num_named_barrier, 0
	.set _ZN7rocprim17ROCPRIM_400000_NS6detail17trampoline_kernelINS0_14default_configENS1_35adjacent_difference_config_selectorILb1ElEEZNS1_24adjacent_difference_implIS3_Lb1ELb0EPlS7_ZN2at6native12_GLOBAL__N_124unique_dim_cuda_templateIfEESt5tupleIJNS8_6TensorESD_SD_EERKSD_lbbbEUlllE1_EE10hipError_tPvRmT2_T3_mT4_P12ihipStream_tbEUlT_E_NS1_11comp_targetILNS1_3genE4ELNS1_11target_archE910ELNS1_3gpuE8ELNS1_3repE0EEENS1_30default_config_static_selectorELNS0_4arch9wavefront6targetE0EEEvT1_.private_seg_size, 0
	.set _ZN7rocprim17ROCPRIM_400000_NS6detail17trampoline_kernelINS0_14default_configENS1_35adjacent_difference_config_selectorILb1ElEEZNS1_24adjacent_difference_implIS3_Lb1ELb0EPlS7_ZN2at6native12_GLOBAL__N_124unique_dim_cuda_templateIfEESt5tupleIJNS8_6TensorESD_SD_EERKSD_lbbbEUlllE1_EE10hipError_tPvRmT2_T3_mT4_P12ihipStream_tbEUlT_E_NS1_11comp_targetILNS1_3genE4ELNS1_11target_archE910ELNS1_3gpuE8ELNS1_3repE0EEENS1_30default_config_static_selectorELNS0_4arch9wavefront6targetE0EEEvT1_.uses_vcc, 0
	.set _ZN7rocprim17ROCPRIM_400000_NS6detail17trampoline_kernelINS0_14default_configENS1_35adjacent_difference_config_selectorILb1ElEEZNS1_24adjacent_difference_implIS3_Lb1ELb0EPlS7_ZN2at6native12_GLOBAL__N_124unique_dim_cuda_templateIfEESt5tupleIJNS8_6TensorESD_SD_EERKSD_lbbbEUlllE1_EE10hipError_tPvRmT2_T3_mT4_P12ihipStream_tbEUlT_E_NS1_11comp_targetILNS1_3genE4ELNS1_11target_archE910ELNS1_3gpuE8ELNS1_3repE0EEENS1_30default_config_static_selectorELNS0_4arch9wavefront6targetE0EEEvT1_.uses_flat_scratch, 0
	.set _ZN7rocprim17ROCPRIM_400000_NS6detail17trampoline_kernelINS0_14default_configENS1_35adjacent_difference_config_selectorILb1ElEEZNS1_24adjacent_difference_implIS3_Lb1ELb0EPlS7_ZN2at6native12_GLOBAL__N_124unique_dim_cuda_templateIfEESt5tupleIJNS8_6TensorESD_SD_EERKSD_lbbbEUlllE1_EE10hipError_tPvRmT2_T3_mT4_P12ihipStream_tbEUlT_E_NS1_11comp_targetILNS1_3genE4ELNS1_11target_archE910ELNS1_3gpuE8ELNS1_3repE0EEENS1_30default_config_static_selectorELNS0_4arch9wavefront6targetE0EEEvT1_.has_dyn_sized_stack, 0
	.set _ZN7rocprim17ROCPRIM_400000_NS6detail17trampoline_kernelINS0_14default_configENS1_35adjacent_difference_config_selectorILb1ElEEZNS1_24adjacent_difference_implIS3_Lb1ELb0EPlS7_ZN2at6native12_GLOBAL__N_124unique_dim_cuda_templateIfEESt5tupleIJNS8_6TensorESD_SD_EERKSD_lbbbEUlllE1_EE10hipError_tPvRmT2_T3_mT4_P12ihipStream_tbEUlT_E_NS1_11comp_targetILNS1_3genE4ELNS1_11target_archE910ELNS1_3gpuE8ELNS1_3repE0EEENS1_30default_config_static_selectorELNS0_4arch9wavefront6targetE0EEEvT1_.has_recursion, 0
	.set _ZN7rocprim17ROCPRIM_400000_NS6detail17trampoline_kernelINS0_14default_configENS1_35adjacent_difference_config_selectorILb1ElEEZNS1_24adjacent_difference_implIS3_Lb1ELb0EPlS7_ZN2at6native12_GLOBAL__N_124unique_dim_cuda_templateIfEESt5tupleIJNS8_6TensorESD_SD_EERKSD_lbbbEUlllE1_EE10hipError_tPvRmT2_T3_mT4_P12ihipStream_tbEUlT_E_NS1_11comp_targetILNS1_3genE4ELNS1_11target_archE910ELNS1_3gpuE8ELNS1_3repE0EEENS1_30default_config_static_selectorELNS0_4arch9wavefront6targetE0EEEvT1_.has_indirect_call, 0
	.section	.AMDGPU.csdata,"",@progbits
; Kernel info:
; codeLenInByte = 0
; TotalNumSgprs: 0
; NumVgprs: 0
; ScratchSize: 0
; MemoryBound: 0
; FloatMode: 240
; IeeeMode: 1
; LDSByteSize: 0 bytes/workgroup (compile time only)
; SGPRBlocks: 0
; VGPRBlocks: 0
; NumSGPRsForWavesPerEU: 1
; NumVGPRsForWavesPerEU: 1
; NamedBarCnt: 0
; Occupancy: 16
; WaveLimiterHint : 0
; COMPUTE_PGM_RSRC2:SCRATCH_EN: 0
; COMPUTE_PGM_RSRC2:USER_SGPR: 2
; COMPUTE_PGM_RSRC2:TRAP_HANDLER: 0
; COMPUTE_PGM_RSRC2:TGID_X_EN: 1
; COMPUTE_PGM_RSRC2:TGID_Y_EN: 0
; COMPUTE_PGM_RSRC2:TGID_Z_EN: 0
; COMPUTE_PGM_RSRC2:TIDIG_COMP_CNT: 0
	.section	.text._ZN7rocprim17ROCPRIM_400000_NS6detail17trampoline_kernelINS0_14default_configENS1_35adjacent_difference_config_selectorILb1ElEEZNS1_24adjacent_difference_implIS3_Lb1ELb0EPlS7_ZN2at6native12_GLOBAL__N_124unique_dim_cuda_templateIfEESt5tupleIJNS8_6TensorESD_SD_EERKSD_lbbbEUlllE1_EE10hipError_tPvRmT2_T3_mT4_P12ihipStream_tbEUlT_E_NS1_11comp_targetILNS1_3genE3ELNS1_11target_archE908ELNS1_3gpuE7ELNS1_3repE0EEENS1_30default_config_static_selectorELNS0_4arch9wavefront6targetE0EEEvT1_,"axG",@progbits,_ZN7rocprim17ROCPRIM_400000_NS6detail17trampoline_kernelINS0_14default_configENS1_35adjacent_difference_config_selectorILb1ElEEZNS1_24adjacent_difference_implIS3_Lb1ELb0EPlS7_ZN2at6native12_GLOBAL__N_124unique_dim_cuda_templateIfEESt5tupleIJNS8_6TensorESD_SD_EERKSD_lbbbEUlllE1_EE10hipError_tPvRmT2_T3_mT4_P12ihipStream_tbEUlT_E_NS1_11comp_targetILNS1_3genE3ELNS1_11target_archE908ELNS1_3gpuE7ELNS1_3repE0EEENS1_30default_config_static_selectorELNS0_4arch9wavefront6targetE0EEEvT1_,comdat
	.globl	_ZN7rocprim17ROCPRIM_400000_NS6detail17trampoline_kernelINS0_14default_configENS1_35adjacent_difference_config_selectorILb1ElEEZNS1_24adjacent_difference_implIS3_Lb1ELb0EPlS7_ZN2at6native12_GLOBAL__N_124unique_dim_cuda_templateIfEESt5tupleIJNS8_6TensorESD_SD_EERKSD_lbbbEUlllE1_EE10hipError_tPvRmT2_T3_mT4_P12ihipStream_tbEUlT_E_NS1_11comp_targetILNS1_3genE3ELNS1_11target_archE908ELNS1_3gpuE7ELNS1_3repE0EEENS1_30default_config_static_selectorELNS0_4arch9wavefront6targetE0EEEvT1_ ; -- Begin function _ZN7rocprim17ROCPRIM_400000_NS6detail17trampoline_kernelINS0_14default_configENS1_35adjacent_difference_config_selectorILb1ElEEZNS1_24adjacent_difference_implIS3_Lb1ELb0EPlS7_ZN2at6native12_GLOBAL__N_124unique_dim_cuda_templateIfEESt5tupleIJNS8_6TensorESD_SD_EERKSD_lbbbEUlllE1_EE10hipError_tPvRmT2_T3_mT4_P12ihipStream_tbEUlT_E_NS1_11comp_targetILNS1_3genE3ELNS1_11target_archE908ELNS1_3gpuE7ELNS1_3repE0EEENS1_30default_config_static_selectorELNS0_4arch9wavefront6targetE0EEEvT1_
	.p2align	8
	.type	_ZN7rocprim17ROCPRIM_400000_NS6detail17trampoline_kernelINS0_14default_configENS1_35adjacent_difference_config_selectorILb1ElEEZNS1_24adjacent_difference_implIS3_Lb1ELb0EPlS7_ZN2at6native12_GLOBAL__N_124unique_dim_cuda_templateIfEESt5tupleIJNS8_6TensorESD_SD_EERKSD_lbbbEUlllE1_EE10hipError_tPvRmT2_T3_mT4_P12ihipStream_tbEUlT_E_NS1_11comp_targetILNS1_3genE3ELNS1_11target_archE908ELNS1_3gpuE7ELNS1_3repE0EEENS1_30default_config_static_selectorELNS0_4arch9wavefront6targetE0EEEvT1_,@function
_ZN7rocprim17ROCPRIM_400000_NS6detail17trampoline_kernelINS0_14default_configENS1_35adjacent_difference_config_selectorILb1ElEEZNS1_24adjacent_difference_implIS3_Lb1ELb0EPlS7_ZN2at6native12_GLOBAL__N_124unique_dim_cuda_templateIfEESt5tupleIJNS8_6TensorESD_SD_EERKSD_lbbbEUlllE1_EE10hipError_tPvRmT2_T3_mT4_P12ihipStream_tbEUlT_E_NS1_11comp_targetILNS1_3genE3ELNS1_11target_archE908ELNS1_3gpuE7ELNS1_3repE0EEENS1_30default_config_static_selectorELNS0_4arch9wavefront6targetE0EEEvT1_: ; @_ZN7rocprim17ROCPRIM_400000_NS6detail17trampoline_kernelINS0_14default_configENS1_35adjacent_difference_config_selectorILb1ElEEZNS1_24adjacent_difference_implIS3_Lb1ELb0EPlS7_ZN2at6native12_GLOBAL__N_124unique_dim_cuda_templateIfEESt5tupleIJNS8_6TensorESD_SD_EERKSD_lbbbEUlllE1_EE10hipError_tPvRmT2_T3_mT4_P12ihipStream_tbEUlT_E_NS1_11comp_targetILNS1_3genE3ELNS1_11target_archE908ELNS1_3gpuE7ELNS1_3repE0EEENS1_30default_config_static_selectorELNS0_4arch9wavefront6targetE0EEEvT1_
; %bb.0:
	.section	.rodata,"a",@progbits
	.p2align	6, 0x0
	.amdhsa_kernel _ZN7rocprim17ROCPRIM_400000_NS6detail17trampoline_kernelINS0_14default_configENS1_35adjacent_difference_config_selectorILb1ElEEZNS1_24adjacent_difference_implIS3_Lb1ELb0EPlS7_ZN2at6native12_GLOBAL__N_124unique_dim_cuda_templateIfEESt5tupleIJNS8_6TensorESD_SD_EERKSD_lbbbEUlllE1_EE10hipError_tPvRmT2_T3_mT4_P12ihipStream_tbEUlT_E_NS1_11comp_targetILNS1_3genE3ELNS1_11target_archE908ELNS1_3gpuE7ELNS1_3repE0EEENS1_30default_config_static_selectorELNS0_4arch9wavefront6targetE0EEEvT1_
		.amdhsa_group_segment_fixed_size 0
		.amdhsa_private_segment_fixed_size 0
		.amdhsa_kernarg_size 64
		.amdhsa_user_sgpr_count 2
		.amdhsa_user_sgpr_dispatch_ptr 0
		.amdhsa_user_sgpr_queue_ptr 0
		.amdhsa_user_sgpr_kernarg_segment_ptr 1
		.amdhsa_user_sgpr_dispatch_id 0
		.amdhsa_user_sgpr_kernarg_preload_length 0
		.amdhsa_user_sgpr_kernarg_preload_offset 0
		.amdhsa_user_sgpr_private_segment_size 0
		.amdhsa_wavefront_size32 1
		.amdhsa_uses_dynamic_stack 0
		.amdhsa_enable_private_segment 0
		.amdhsa_system_sgpr_workgroup_id_x 1
		.amdhsa_system_sgpr_workgroup_id_y 0
		.amdhsa_system_sgpr_workgroup_id_z 0
		.amdhsa_system_sgpr_workgroup_info 0
		.amdhsa_system_vgpr_workitem_id 0
		.amdhsa_next_free_vgpr 1
		.amdhsa_next_free_sgpr 1
		.amdhsa_named_barrier_count 0
		.amdhsa_reserve_vcc 0
		.amdhsa_float_round_mode_32 0
		.amdhsa_float_round_mode_16_64 0
		.amdhsa_float_denorm_mode_32 3
		.amdhsa_float_denorm_mode_16_64 3
		.amdhsa_fp16_overflow 0
		.amdhsa_memory_ordered 1
		.amdhsa_forward_progress 1
		.amdhsa_inst_pref_size 0
		.amdhsa_round_robin_scheduling 0
		.amdhsa_exception_fp_ieee_invalid_op 0
		.amdhsa_exception_fp_denorm_src 0
		.amdhsa_exception_fp_ieee_div_zero 0
		.amdhsa_exception_fp_ieee_overflow 0
		.amdhsa_exception_fp_ieee_underflow 0
		.amdhsa_exception_fp_ieee_inexact 0
		.amdhsa_exception_int_div_zero 0
	.end_amdhsa_kernel
	.section	.text._ZN7rocprim17ROCPRIM_400000_NS6detail17trampoline_kernelINS0_14default_configENS1_35adjacent_difference_config_selectorILb1ElEEZNS1_24adjacent_difference_implIS3_Lb1ELb0EPlS7_ZN2at6native12_GLOBAL__N_124unique_dim_cuda_templateIfEESt5tupleIJNS8_6TensorESD_SD_EERKSD_lbbbEUlllE1_EE10hipError_tPvRmT2_T3_mT4_P12ihipStream_tbEUlT_E_NS1_11comp_targetILNS1_3genE3ELNS1_11target_archE908ELNS1_3gpuE7ELNS1_3repE0EEENS1_30default_config_static_selectorELNS0_4arch9wavefront6targetE0EEEvT1_,"axG",@progbits,_ZN7rocprim17ROCPRIM_400000_NS6detail17trampoline_kernelINS0_14default_configENS1_35adjacent_difference_config_selectorILb1ElEEZNS1_24adjacent_difference_implIS3_Lb1ELb0EPlS7_ZN2at6native12_GLOBAL__N_124unique_dim_cuda_templateIfEESt5tupleIJNS8_6TensorESD_SD_EERKSD_lbbbEUlllE1_EE10hipError_tPvRmT2_T3_mT4_P12ihipStream_tbEUlT_E_NS1_11comp_targetILNS1_3genE3ELNS1_11target_archE908ELNS1_3gpuE7ELNS1_3repE0EEENS1_30default_config_static_selectorELNS0_4arch9wavefront6targetE0EEEvT1_,comdat
.Lfunc_end925:
	.size	_ZN7rocprim17ROCPRIM_400000_NS6detail17trampoline_kernelINS0_14default_configENS1_35adjacent_difference_config_selectorILb1ElEEZNS1_24adjacent_difference_implIS3_Lb1ELb0EPlS7_ZN2at6native12_GLOBAL__N_124unique_dim_cuda_templateIfEESt5tupleIJNS8_6TensorESD_SD_EERKSD_lbbbEUlllE1_EE10hipError_tPvRmT2_T3_mT4_P12ihipStream_tbEUlT_E_NS1_11comp_targetILNS1_3genE3ELNS1_11target_archE908ELNS1_3gpuE7ELNS1_3repE0EEENS1_30default_config_static_selectorELNS0_4arch9wavefront6targetE0EEEvT1_, .Lfunc_end925-_ZN7rocprim17ROCPRIM_400000_NS6detail17trampoline_kernelINS0_14default_configENS1_35adjacent_difference_config_selectorILb1ElEEZNS1_24adjacent_difference_implIS3_Lb1ELb0EPlS7_ZN2at6native12_GLOBAL__N_124unique_dim_cuda_templateIfEESt5tupleIJNS8_6TensorESD_SD_EERKSD_lbbbEUlllE1_EE10hipError_tPvRmT2_T3_mT4_P12ihipStream_tbEUlT_E_NS1_11comp_targetILNS1_3genE3ELNS1_11target_archE908ELNS1_3gpuE7ELNS1_3repE0EEENS1_30default_config_static_selectorELNS0_4arch9wavefront6targetE0EEEvT1_
                                        ; -- End function
	.set _ZN7rocprim17ROCPRIM_400000_NS6detail17trampoline_kernelINS0_14default_configENS1_35adjacent_difference_config_selectorILb1ElEEZNS1_24adjacent_difference_implIS3_Lb1ELb0EPlS7_ZN2at6native12_GLOBAL__N_124unique_dim_cuda_templateIfEESt5tupleIJNS8_6TensorESD_SD_EERKSD_lbbbEUlllE1_EE10hipError_tPvRmT2_T3_mT4_P12ihipStream_tbEUlT_E_NS1_11comp_targetILNS1_3genE3ELNS1_11target_archE908ELNS1_3gpuE7ELNS1_3repE0EEENS1_30default_config_static_selectorELNS0_4arch9wavefront6targetE0EEEvT1_.num_vgpr, 0
	.set _ZN7rocprim17ROCPRIM_400000_NS6detail17trampoline_kernelINS0_14default_configENS1_35adjacent_difference_config_selectorILb1ElEEZNS1_24adjacent_difference_implIS3_Lb1ELb0EPlS7_ZN2at6native12_GLOBAL__N_124unique_dim_cuda_templateIfEESt5tupleIJNS8_6TensorESD_SD_EERKSD_lbbbEUlllE1_EE10hipError_tPvRmT2_T3_mT4_P12ihipStream_tbEUlT_E_NS1_11comp_targetILNS1_3genE3ELNS1_11target_archE908ELNS1_3gpuE7ELNS1_3repE0EEENS1_30default_config_static_selectorELNS0_4arch9wavefront6targetE0EEEvT1_.num_agpr, 0
	.set _ZN7rocprim17ROCPRIM_400000_NS6detail17trampoline_kernelINS0_14default_configENS1_35adjacent_difference_config_selectorILb1ElEEZNS1_24adjacent_difference_implIS3_Lb1ELb0EPlS7_ZN2at6native12_GLOBAL__N_124unique_dim_cuda_templateIfEESt5tupleIJNS8_6TensorESD_SD_EERKSD_lbbbEUlllE1_EE10hipError_tPvRmT2_T3_mT4_P12ihipStream_tbEUlT_E_NS1_11comp_targetILNS1_3genE3ELNS1_11target_archE908ELNS1_3gpuE7ELNS1_3repE0EEENS1_30default_config_static_selectorELNS0_4arch9wavefront6targetE0EEEvT1_.numbered_sgpr, 0
	.set _ZN7rocprim17ROCPRIM_400000_NS6detail17trampoline_kernelINS0_14default_configENS1_35adjacent_difference_config_selectorILb1ElEEZNS1_24adjacent_difference_implIS3_Lb1ELb0EPlS7_ZN2at6native12_GLOBAL__N_124unique_dim_cuda_templateIfEESt5tupleIJNS8_6TensorESD_SD_EERKSD_lbbbEUlllE1_EE10hipError_tPvRmT2_T3_mT4_P12ihipStream_tbEUlT_E_NS1_11comp_targetILNS1_3genE3ELNS1_11target_archE908ELNS1_3gpuE7ELNS1_3repE0EEENS1_30default_config_static_selectorELNS0_4arch9wavefront6targetE0EEEvT1_.num_named_barrier, 0
	.set _ZN7rocprim17ROCPRIM_400000_NS6detail17trampoline_kernelINS0_14default_configENS1_35adjacent_difference_config_selectorILb1ElEEZNS1_24adjacent_difference_implIS3_Lb1ELb0EPlS7_ZN2at6native12_GLOBAL__N_124unique_dim_cuda_templateIfEESt5tupleIJNS8_6TensorESD_SD_EERKSD_lbbbEUlllE1_EE10hipError_tPvRmT2_T3_mT4_P12ihipStream_tbEUlT_E_NS1_11comp_targetILNS1_3genE3ELNS1_11target_archE908ELNS1_3gpuE7ELNS1_3repE0EEENS1_30default_config_static_selectorELNS0_4arch9wavefront6targetE0EEEvT1_.private_seg_size, 0
	.set _ZN7rocprim17ROCPRIM_400000_NS6detail17trampoline_kernelINS0_14default_configENS1_35adjacent_difference_config_selectorILb1ElEEZNS1_24adjacent_difference_implIS3_Lb1ELb0EPlS7_ZN2at6native12_GLOBAL__N_124unique_dim_cuda_templateIfEESt5tupleIJNS8_6TensorESD_SD_EERKSD_lbbbEUlllE1_EE10hipError_tPvRmT2_T3_mT4_P12ihipStream_tbEUlT_E_NS1_11comp_targetILNS1_3genE3ELNS1_11target_archE908ELNS1_3gpuE7ELNS1_3repE0EEENS1_30default_config_static_selectorELNS0_4arch9wavefront6targetE0EEEvT1_.uses_vcc, 0
	.set _ZN7rocprim17ROCPRIM_400000_NS6detail17trampoline_kernelINS0_14default_configENS1_35adjacent_difference_config_selectorILb1ElEEZNS1_24adjacent_difference_implIS3_Lb1ELb0EPlS7_ZN2at6native12_GLOBAL__N_124unique_dim_cuda_templateIfEESt5tupleIJNS8_6TensorESD_SD_EERKSD_lbbbEUlllE1_EE10hipError_tPvRmT2_T3_mT4_P12ihipStream_tbEUlT_E_NS1_11comp_targetILNS1_3genE3ELNS1_11target_archE908ELNS1_3gpuE7ELNS1_3repE0EEENS1_30default_config_static_selectorELNS0_4arch9wavefront6targetE0EEEvT1_.uses_flat_scratch, 0
	.set _ZN7rocprim17ROCPRIM_400000_NS6detail17trampoline_kernelINS0_14default_configENS1_35adjacent_difference_config_selectorILb1ElEEZNS1_24adjacent_difference_implIS3_Lb1ELb0EPlS7_ZN2at6native12_GLOBAL__N_124unique_dim_cuda_templateIfEESt5tupleIJNS8_6TensorESD_SD_EERKSD_lbbbEUlllE1_EE10hipError_tPvRmT2_T3_mT4_P12ihipStream_tbEUlT_E_NS1_11comp_targetILNS1_3genE3ELNS1_11target_archE908ELNS1_3gpuE7ELNS1_3repE0EEENS1_30default_config_static_selectorELNS0_4arch9wavefront6targetE0EEEvT1_.has_dyn_sized_stack, 0
	.set _ZN7rocprim17ROCPRIM_400000_NS6detail17trampoline_kernelINS0_14default_configENS1_35adjacent_difference_config_selectorILb1ElEEZNS1_24adjacent_difference_implIS3_Lb1ELb0EPlS7_ZN2at6native12_GLOBAL__N_124unique_dim_cuda_templateIfEESt5tupleIJNS8_6TensorESD_SD_EERKSD_lbbbEUlllE1_EE10hipError_tPvRmT2_T3_mT4_P12ihipStream_tbEUlT_E_NS1_11comp_targetILNS1_3genE3ELNS1_11target_archE908ELNS1_3gpuE7ELNS1_3repE0EEENS1_30default_config_static_selectorELNS0_4arch9wavefront6targetE0EEEvT1_.has_recursion, 0
	.set _ZN7rocprim17ROCPRIM_400000_NS6detail17trampoline_kernelINS0_14default_configENS1_35adjacent_difference_config_selectorILb1ElEEZNS1_24adjacent_difference_implIS3_Lb1ELb0EPlS7_ZN2at6native12_GLOBAL__N_124unique_dim_cuda_templateIfEESt5tupleIJNS8_6TensorESD_SD_EERKSD_lbbbEUlllE1_EE10hipError_tPvRmT2_T3_mT4_P12ihipStream_tbEUlT_E_NS1_11comp_targetILNS1_3genE3ELNS1_11target_archE908ELNS1_3gpuE7ELNS1_3repE0EEENS1_30default_config_static_selectorELNS0_4arch9wavefront6targetE0EEEvT1_.has_indirect_call, 0
	.section	.AMDGPU.csdata,"",@progbits
; Kernel info:
; codeLenInByte = 0
; TotalNumSgprs: 0
; NumVgprs: 0
; ScratchSize: 0
; MemoryBound: 0
; FloatMode: 240
; IeeeMode: 1
; LDSByteSize: 0 bytes/workgroup (compile time only)
; SGPRBlocks: 0
; VGPRBlocks: 0
; NumSGPRsForWavesPerEU: 1
; NumVGPRsForWavesPerEU: 1
; NamedBarCnt: 0
; Occupancy: 16
; WaveLimiterHint : 0
; COMPUTE_PGM_RSRC2:SCRATCH_EN: 0
; COMPUTE_PGM_RSRC2:USER_SGPR: 2
; COMPUTE_PGM_RSRC2:TRAP_HANDLER: 0
; COMPUTE_PGM_RSRC2:TGID_X_EN: 1
; COMPUTE_PGM_RSRC2:TGID_Y_EN: 0
; COMPUTE_PGM_RSRC2:TGID_Z_EN: 0
; COMPUTE_PGM_RSRC2:TIDIG_COMP_CNT: 0
	.section	.text._ZN7rocprim17ROCPRIM_400000_NS6detail17trampoline_kernelINS0_14default_configENS1_35adjacent_difference_config_selectorILb1ElEEZNS1_24adjacent_difference_implIS3_Lb1ELb0EPlS7_ZN2at6native12_GLOBAL__N_124unique_dim_cuda_templateIfEESt5tupleIJNS8_6TensorESD_SD_EERKSD_lbbbEUlllE1_EE10hipError_tPvRmT2_T3_mT4_P12ihipStream_tbEUlT_E_NS1_11comp_targetILNS1_3genE2ELNS1_11target_archE906ELNS1_3gpuE6ELNS1_3repE0EEENS1_30default_config_static_selectorELNS0_4arch9wavefront6targetE0EEEvT1_,"axG",@progbits,_ZN7rocprim17ROCPRIM_400000_NS6detail17trampoline_kernelINS0_14default_configENS1_35adjacent_difference_config_selectorILb1ElEEZNS1_24adjacent_difference_implIS3_Lb1ELb0EPlS7_ZN2at6native12_GLOBAL__N_124unique_dim_cuda_templateIfEESt5tupleIJNS8_6TensorESD_SD_EERKSD_lbbbEUlllE1_EE10hipError_tPvRmT2_T3_mT4_P12ihipStream_tbEUlT_E_NS1_11comp_targetILNS1_3genE2ELNS1_11target_archE906ELNS1_3gpuE6ELNS1_3repE0EEENS1_30default_config_static_selectorELNS0_4arch9wavefront6targetE0EEEvT1_,comdat
	.globl	_ZN7rocprim17ROCPRIM_400000_NS6detail17trampoline_kernelINS0_14default_configENS1_35adjacent_difference_config_selectorILb1ElEEZNS1_24adjacent_difference_implIS3_Lb1ELb0EPlS7_ZN2at6native12_GLOBAL__N_124unique_dim_cuda_templateIfEESt5tupleIJNS8_6TensorESD_SD_EERKSD_lbbbEUlllE1_EE10hipError_tPvRmT2_T3_mT4_P12ihipStream_tbEUlT_E_NS1_11comp_targetILNS1_3genE2ELNS1_11target_archE906ELNS1_3gpuE6ELNS1_3repE0EEENS1_30default_config_static_selectorELNS0_4arch9wavefront6targetE0EEEvT1_ ; -- Begin function _ZN7rocprim17ROCPRIM_400000_NS6detail17trampoline_kernelINS0_14default_configENS1_35adjacent_difference_config_selectorILb1ElEEZNS1_24adjacent_difference_implIS3_Lb1ELb0EPlS7_ZN2at6native12_GLOBAL__N_124unique_dim_cuda_templateIfEESt5tupleIJNS8_6TensorESD_SD_EERKSD_lbbbEUlllE1_EE10hipError_tPvRmT2_T3_mT4_P12ihipStream_tbEUlT_E_NS1_11comp_targetILNS1_3genE2ELNS1_11target_archE906ELNS1_3gpuE6ELNS1_3repE0EEENS1_30default_config_static_selectorELNS0_4arch9wavefront6targetE0EEEvT1_
	.p2align	8
	.type	_ZN7rocprim17ROCPRIM_400000_NS6detail17trampoline_kernelINS0_14default_configENS1_35adjacent_difference_config_selectorILb1ElEEZNS1_24adjacent_difference_implIS3_Lb1ELb0EPlS7_ZN2at6native12_GLOBAL__N_124unique_dim_cuda_templateIfEESt5tupleIJNS8_6TensorESD_SD_EERKSD_lbbbEUlllE1_EE10hipError_tPvRmT2_T3_mT4_P12ihipStream_tbEUlT_E_NS1_11comp_targetILNS1_3genE2ELNS1_11target_archE906ELNS1_3gpuE6ELNS1_3repE0EEENS1_30default_config_static_selectorELNS0_4arch9wavefront6targetE0EEEvT1_,@function
_ZN7rocprim17ROCPRIM_400000_NS6detail17trampoline_kernelINS0_14default_configENS1_35adjacent_difference_config_selectorILb1ElEEZNS1_24adjacent_difference_implIS3_Lb1ELb0EPlS7_ZN2at6native12_GLOBAL__N_124unique_dim_cuda_templateIfEESt5tupleIJNS8_6TensorESD_SD_EERKSD_lbbbEUlllE1_EE10hipError_tPvRmT2_T3_mT4_P12ihipStream_tbEUlT_E_NS1_11comp_targetILNS1_3genE2ELNS1_11target_archE906ELNS1_3gpuE6ELNS1_3repE0EEENS1_30default_config_static_selectorELNS0_4arch9wavefront6targetE0EEEvT1_: ; @_ZN7rocprim17ROCPRIM_400000_NS6detail17trampoline_kernelINS0_14default_configENS1_35adjacent_difference_config_selectorILb1ElEEZNS1_24adjacent_difference_implIS3_Lb1ELb0EPlS7_ZN2at6native12_GLOBAL__N_124unique_dim_cuda_templateIfEESt5tupleIJNS8_6TensorESD_SD_EERKSD_lbbbEUlllE1_EE10hipError_tPvRmT2_T3_mT4_P12ihipStream_tbEUlT_E_NS1_11comp_targetILNS1_3genE2ELNS1_11target_archE906ELNS1_3gpuE6ELNS1_3repE0EEENS1_30default_config_static_selectorELNS0_4arch9wavefront6targetE0EEEvT1_
; %bb.0:
	.section	.rodata,"a",@progbits
	.p2align	6, 0x0
	.amdhsa_kernel _ZN7rocprim17ROCPRIM_400000_NS6detail17trampoline_kernelINS0_14default_configENS1_35adjacent_difference_config_selectorILb1ElEEZNS1_24adjacent_difference_implIS3_Lb1ELb0EPlS7_ZN2at6native12_GLOBAL__N_124unique_dim_cuda_templateIfEESt5tupleIJNS8_6TensorESD_SD_EERKSD_lbbbEUlllE1_EE10hipError_tPvRmT2_T3_mT4_P12ihipStream_tbEUlT_E_NS1_11comp_targetILNS1_3genE2ELNS1_11target_archE906ELNS1_3gpuE6ELNS1_3repE0EEENS1_30default_config_static_selectorELNS0_4arch9wavefront6targetE0EEEvT1_
		.amdhsa_group_segment_fixed_size 0
		.amdhsa_private_segment_fixed_size 0
		.amdhsa_kernarg_size 64
		.amdhsa_user_sgpr_count 2
		.amdhsa_user_sgpr_dispatch_ptr 0
		.amdhsa_user_sgpr_queue_ptr 0
		.amdhsa_user_sgpr_kernarg_segment_ptr 1
		.amdhsa_user_sgpr_dispatch_id 0
		.amdhsa_user_sgpr_kernarg_preload_length 0
		.amdhsa_user_sgpr_kernarg_preload_offset 0
		.amdhsa_user_sgpr_private_segment_size 0
		.amdhsa_wavefront_size32 1
		.amdhsa_uses_dynamic_stack 0
		.amdhsa_enable_private_segment 0
		.amdhsa_system_sgpr_workgroup_id_x 1
		.amdhsa_system_sgpr_workgroup_id_y 0
		.amdhsa_system_sgpr_workgroup_id_z 0
		.amdhsa_system_sgpr_workgroup_info 0
		.amdhsa_system_vgpr_workitem_id 0
		.amdhsa_next_free_vgpr 1
		.amdhsa_next_free_sgpr 1
		.amdhsa_named_barrier_count 0
		.amdhsa_reserve_vcc 0
		.amdhsa_float_round_mode_32 0
		.amdhsa_float_round_mode_16_64 0
		.amdhsa_float_denorm_mode_32 3
		.amdhsa_float_denorm_mode_16_64 3
		.amdhsa_fp16_overflow 0
		.amdhsa_memory_ordered 1
		.amdhsa_forward_progress 1
		.amdhsa_inst_pref_size 0
		.amdhsa_round_robin_scheduling 0
		.amdhsa_exception_fp_ieee_invalid_op 0
		.amdhsa_exception_fp_denorm_src 0
		.amdhsa_exception_fp_ieee_div_zero 0
		.amdhsa_exception_fp_ieee_overflow 0
		.amdhsa_exception_fp_ieee_underflow 0
		.amdhsa_exception_fp_ieee_inexact 0
		.amdhsa_exception_int_div_zero 0
	.end_amdhsa_kernel
	.section	.text._ZN7rocprim17ROCPRIM_400000_NS6detail17trampoline_kernelINS0_14default_configENS1_35adjacent_difference_config_selectorILb1ElEEZNS1_24adjacent_difference_implIS3_Lb1ELb0EPlS7_ZN2at6native12_GLOBAL__N_124unique_dim_cuda_templateIfEESt5tupleIJNS8_6TensorESD_SD_EERKSD_lbbbEUlllE1_EE10hipError_tPvRmT2_T3_mT4_P12ihipStream_tbEUlT_E_NS1_11comp_targetILNS1_3genE2ELNS1_11target_archE906ELNS1_3gpuE6ELNS1_3repE0EEENS1_30default_config_static_selectorELNS0_4arch9wavefront6targetE0EEEvT1_,"axG",@progbits,_ZN7rocprim17ROCPRIM_400000_NS6detail17trampoline_kernelINS0_14default_configENS1_35adjacent_difference_config_selectorILb1ElEEZNS1_24adjacent_difference_implIS3_Lb1ELb0EPlS7_ZN2at6native12_GLOBAL__N_124unique_dim_cuda_templateIfEESt5tupleIJNS8_6TensorESD_SD_EERKSD_lbbbEUlllE1_EE10hipError_tPvRmT2_T3_mT4_P12ihipStream_tbEUlT_E_NS1_11comp_targetILNS1_3genE2ELNS1_11target_archE906ELNS1_3gpuE6ELNS1_3repE0EEENS1_30default_config_static_selectorELNS0_4arch9wavefront6targetE0EEEvT1_,comdat
.Lfunc_end926:
	.size	_ZN7rocprim17ROCPRIM_400000_NS6detail17trampoline_kernelINS0_14default_configENS1_35adjacent_difference_config_selectorILb1ElEEZNS1_24adjacent_difference_implIS3_Lb1ELb0EPlS7_ZN2at6native12_GLOBAL__N_124unique_dim_cuda_templateIfEESt5tupleIJNS8_6TensorESD_SD_EERKSD_lbbbEUlllE1_EE10hipError_tPvRmT2_T3_mT4_P12ihipStream_tbEUlT_E_NS1_11comp_targetILNS1_3genE2ELNS1_11target_archE906ELNS1_3gpuE6ELNS1_3repE0EEENS1_30default_config_static_selectorELNS0_4arch9wavefront6targetE0EEEvT1_, .Lfunc_end926-_ZN7rocprim17ROCPRIM_400000_NS6detail17trampoline_kernelINS0_14default_configENS1_35adjacent_difference_config_selectorILb1ElEEZNS1_24adjacent_difference_implIS3_Lb1ELb0EPlS7_ZN2at6native12_GLOBAL__N_124unique_dim_cuda_templateIfEESt5tupleIJNS8_6TensorESD_SD_EERKSD_lbbbEUlllE1_EE10hipError_tPvRmT2_T3_mT4_P12ihipStream_tbEUlT_E_NS1_11comp_targetILNS1_3genE2ELNS1_11target_archE906ELNS1_3gpuE6ELNS1_3repE0EEENS1_30default_config_static_selectorELNS0_4arch9wavefront6targetE0EEEvT1_
                                        ; -- End function
	.set _ZN7rocprim17ROCPRIM_400000_NS6detail17trampoline_kernelINS0_14default_configENS1_35adjacent_difference_config_selectorILb1ElEEZNS1_24adjacent_difference_implIS3_Lb1ELb0EPlS7_ZN2at6native12_GLOBAL__N_124unique_dim_cuda_templateIfEESt5tupleIJNS8_6TensorESD_SD_EERKSD_lbbbEUlllE1_EE10hipError_tPvRmT2_T3_mT4_P12ihipStream_tbEUlT_E_NS1_11comp_targetILNS1_3genE2ELNS1_11target_archE906ELNS1_3gpuE6ELNS1_3repE0EEENS1_30default_config_static_selectorELNS0_4arch9wavefront6targetE0EEEvT1_.num_vgpr, 0
	.set _ZN7rocprim17ROCPRIM_400000_NS6detail17trampoline_kernelINS0_14default_configENS1_35adjacent_difference_config_selectorILb1ElEEZNS1_24adjacent_difference_implIS3_Lb1ELb0EPlS7_ZN2at6native12_GLOBAL__N_124unique_dim_cuda_templateIfEESt5tupleIJNS8_6TensorESD_SD_EERKSD_lbbbEUlllE1_EE10hipError_tPvRmT2_T3_mT4_P12ihipStream_tbEUlT_E_NS1_11comp_targetILNS1_3genE2ELNS1_11target_archE906ELNS1_3gpuE6ELNS1_3repE0EEENS1_30default_config_static_selectorELNS0_4arch9wavefront6targetE0EEEvT1_.num_agpr, 0
	.set _ZN7rocprim17ROCPRIM_400000_NS6detail17trampoline_kernelINS0_14default_configENS1_35adjacent_difference_config_selectorILb1ElEEZNS1_24adjacent_difference_implIS3_Lb1ELb0EPlS7_ZN2at6native12_GLOBAL__N_124unique_dim_cuda_templateIfEESt5tupleIJNS8_6TensorESD_SD_EERKSD_lbbbEUlllE1_EE10hipError_tPvRmT2_T3_mT4_P12ihipStream_tbEUlT_E_NS1_11comp_targetILNS1_3genE2ELNS1_11target_archE906ELNS1_3gpuE6ELNS1_3repE0EEENS1_30default_config_static_selectorELNS0_4arch9wavefront6targetE0EEEvT1_.numbered_sgpr, 0
	.set _ZN7rocprim17ROCPRIM_400000_NS6detail17trampoline_kernelINS0_14default_configENS1_35adjacent_difference_config_selectorILb1ElEEZNS1_24adjacent_difference_implIS3_Lb1ELb0EPlS7_ZN2at6native12_GLOBAL__N_124unique_dim_cuda_templateIfEESt5tupleIJNS8_6TensorESD_SD_EERKSD_lbbbEUlllE1_EE10hipError_tPvRmT2_T3_mT4_P12ihipStream_tbEUlT_E_NS1_11comp_targetILNS1_3genE2ELNS1_11target_archE906ELNS1_3gpuE6ELNS1_3repE0EEENS1_30default_config_static_selectorELNS0_4arch9wavefront6targetE0EEEvT1_.num_named_barrier, 0
	.set _ZN7rocprim17ROCPRIM_400000_NS6detail17trampoline_kernelINS0_14default_configENS1_35adjacent_difference_config_selectorILb1ElEEZNS1_24adjacent_difference_implIS3_Lb1ELb0EPlS7_ZN2at6native12_GLOBAL__N_124unique_dim_cuda_templateIfEESt5tupleIJNS8_6TensorESD_SD_EERKSD_lbbbEUlllE1_EE10hipError_tPvRmT2_T3_mT4_P12ihipStream_tbEUlT_E_NS1_11comp_targetILNS1_3genE2ELNS1_11target_archE906ELNS1_3gpuE6ELNS1_3repE0EEENS1_30default_config_static_selectorELNS0_4arch9wavefront6targetE0EEEvT1_.private_seg_size, 0
	.set _ZN7rocprim17ROCPRIM_400000_NS6detail17trampoline_kernelINS0_14default_configENS1_35adjacent_difference_config_selectorILb1ElEEZNS1_24adjacent_difference_implIS3_Lb1ELb0EPlS7_ZN2at6native12_GLOBAL__N_124unique_dim_cuda_templateIfEESt5tupleIJNS8_6TensorESD_SD_EERKSD_lbbbEUlllE1_EE10hipError_tPvRmT2_T3_mT4_P12ihipStream_tbEUlT_E_NS1_11comp_targetILNS1_3genE2ELNS1_11target_archE906ELNS1_3gpuE6ELNS1_3repE0EEENS1_30default_config_static_selectorELNS0_4arch9wavefront6targetE0EEEvT1_.uses_vcc, 0
	.set _ZN7rocprim17ROCPRIM_400000_NS6detail17trampoline_kernelINS0_14default_configENS1_35adjacent_difference_config_selectorILb1ElEEZNS1_24adjacent_difference_implIS3_Lb1ELb0EPlS7_ZN2at6native12_GLOBAL__N_124unique_dim_cuda_templateIfEESt5tupleIJNS8_6TensorESD_SD_EERKSD_lbbbEUlllE1_EE10hipError_tPvRmT2_T3_mT4_P12ihipStream_tbEUlT_E_NS1_11comp_targetILNS1_3genE2ELNS1_11target_archE906ELNS1_3gpuE6ELNS1_3repE0EEENS1_30default_config_static_selectorELNS0_4arch9wavefront6targetE0EEEvT1_.uses_flat_scratch, 0
	.set _ZN7rocprim17ROCPRIM_400000_NS6detail17trampoline_kernelINS0_14default_configENS1_35adjacent_difference_config_selectorILb1ElEEZNS1_24adjacent_difference_implIS3_Lb1ELb0EPlS7_ZN2at6native12_GLOBAL__N_124unique_dim_cuda_templateIfEESt5tupleIJNS8_6TensorESD_SD_EERKSD_lbbbEUlllE1_EE10hipError_tPvRmT2_T3_mT4_P12ihipStream_tbEUlT_E_NS1_11comp_targetILNS1_3genE2ELNS1_11target_archE906ELNS1_3gpuE6ELNS1_3repE0EEENS1_30default_config_static_selectorELNS0_4arch9wavefront6targetE0EEEvT1_.has_dyn_sized_stack, 0
	.set _ZN7rocprim17ROCPRIM_400000_NS6detail17trampoline_kernelINS0_14default_configENS1_35adjacent_difference_config_selectorILb1ElEEZNS1_24adjacent_difference_implIS3_Lb1ELb0EPlS7_ZN2at6native12_GLOBAL__N_124unique_dim_cuda_templateIfEESt5tupleIJNS8_6TensorESD_SD_EERKSD_lbbbEUlllE1_EE10hipError_tPvRmT2_T3_mT4_P12ihipStream_tbEUlT_E_NS1_11comp_targetILNS1_3genE2ELNS1_11target_archE906ELNS1_3gpuE6ELNS1_3repE0EEENS1_30default_config_static_selectorELNS0_4arch9wavefront6targetE0EEEvT1_.has_recursion, 0
	.set _ZN7rocprim17ROCPRIM_400000_NS6detail17trampoline_kernelINS0_14default_configENS1_35adjacent_difference_config_selectorILb1ElEEZNS1_24adjacent_difference_implIS3_Lb1ELb0EPlS7_ZN2at6native12_GLOBAL__N_124unique_dim_cuda_templateIfEESt5tupleIJNS8_6TensorESD_SD_EERKSD_lbbbEUlllE1_EE10hipError_tPvRmT2_T3_mT4_P12ihipStream_tbEUlT_E_NS1_11comp_targetILNS1_3genE2ELNS1_11target_archE906ELNS1_3gpuE6ELNS1_3repE0EEENS1_30default_config_static_selectorELNS0_4arch9wavefront6targetE0EEEvT1_.has_indirect_call, 0
	.section	.AMDGPU.csdata,"",@progbits
; Kernel info:
; codeLenInByte = 0
; TotalNumSgprs: 0
; NumVgprs: 0
; ScratchSize: 0
; MemoryBound: 0
; FloatMode: 240
; IeeeMode: 1
; LDSByteSize: 0 bytes/workgroup (compile time only)
; SGPRBlocks: 0
; VGPRBlocks: 0
; NumSGPRsForWavesPerEU: 1
; NumVGPRsForWavesPerEU: 1
; NamedBarCnt: 0
; Occupancy: 16
; WaveLimiterHint : 0
; COMPUTE_PGM_RSRC2:SCRATCH_EN: 0
; COMPUTE_PGM_RSRC2:USER_SGPR: 2
; COMPUTE_PGM_RSRC2:TRAP_HANDLER: 0
; COMPUTE_PGM_RSRC2:TGID_X_EN: 1
; COMPUTE_PGM_RSRC2:TGID_Y_EN: 0
; COMPUTE_PGM_RSRC2:TGID_Z_EN: 0
; COMPUTE_PGM_RSRC2:TIDIG_COMP_CNT: 0
	.section	.text._ZN7rocprim17ROCPRIM_400000_NS6detail17trampoline_kernelINS0_14default_configENS1_35adjacent_difference_config_selectorILb1ElEEZNS1_24adjacent_difference_implIS3_Lb1ELb0EPlS7_ZN2at6native12_GLOBAL__N_124unique_dim_cuda_templateIfEESt5tupleIJNS8_6TensorESD_SD_EERKSD_lbbbEUlllE1_EE10hipError_tPvRmT2_T3_mT4_P12ihipStream_tbEUlT_E_NS1_11comp_targetILNS1_3genE9ELNS1_11target_archE1100ELNS1_3gpuE3ELNS1_3repE0EEENS1_30default_config_static_selectorELNS0_4arch9wavefront6targetE0EEEvT1_,"axG",@progbits,_ZN7rocprim17ROCPRIM_400000_NS6detail17trampoline_kernelINS0_14default_configENS1_35adjacent_difference_config_selectorILb1ElEEZNS1_24adjacent_difference_implIS3_Lb1ELb0EPlS7_ZN2at6native12_GLOBAL__N_124unique_dim_cuda_templateIfEESt5tupleIJNS8_6TensorESD_SD_EERKSD_lbbbEUlllE1_EE10hipError_tPvRmT2_T3_mT4_P12ihipStream_tbEUlT_E_NS1_11comp_targetILNS1_3genE9ELNS1_11target_archE1100ELNS1_3gpuE3ELNS1_3repE0EEENS1_30default_config_static_selectorELNS0_4arch9wavefront6targetE0EEEvT1_,comdat
	.globl	_ZN7rocprim17ROCPRIM_400000_NS6detail17trampoline_kernelINS0_14default_configENS1_35adjacent_difference_config_selectorILb1ElEEZNS1_24adjacent_difference_implIS3_Lb1ELb0EPlS7_ZN2at6native12_GLOBAL__N_124unique_dim_cuda_templateIfEESt5tupleIJNS8_6TensorESD_SD_EERKSD_lbbbEUlllE1_EE10hipError_tPvRmT2_T3_mT4_P12ihipStream_tbEUlT_E_NS1_11comp_targetILNS1_3genE9ELNS1_11target_archE1100ELNS1_3gpuE3ELNS1_3repE0EEENS1_30default_config_static_selectorELNS0_4arch9wavefront6targetE0EEEvT1_ ; -- Begin function _ZN7rocprim17ROCPRIM_400000_NS6detail17trampoline_kernelINS0_14default_configENS1_35adjacent_difference_config_selectorILb1ElEEZNS1_24adjacent_difference_implIS3_Lb1ELb0EPlS7_ZN2at6native12_GLOBAL__N_124unique_dim_cuda_templateIfEESt5tupleIJNS8_6TensorESD_SD_EERKSD_lbbbEUlllE1_EE10hipError_tPvRmT2_T3_mT4_P12ihipStream_tbEUlT_E_NS1_11comp_targetILNS1_3genE9ELNS1_11target_archE1100ELNS1_3gpuE3ELNS1_3repE0EEENS1_30default_config_static_selectorELNS0_4arch9wavefront6targetE0EEEvT1_
	.p2align	8
	.type	_ZN7rocprim17ROCPRIM_400000_NS6detail17trampoline_kernelINS0_14default_configENS1_35adjacent_difference_config_selectorILb1ElEEZNS1_24adjacent_difference_implIS3_Lb1ELb0EPlS7_ZN2at6native12_GLOBAL__N_124unique_dim_cuda_templateIfEESt5tupleIJNS8_6TensorESD_SD_EERKSD_lbbbEUlllE1_EE10hipError_tPvRmT2_T3_mT4_P12ihipStream_tbEUlT_E_NS1_11comp_targetILNS1_3genE9ELNS1_11target_archE1100ELNS1_3gpuE3ELNS1_3repE0EEENS1_30default_config_static_selectorELNS0_4arch9wavefront6targetE0EEEvT1_,@function
_ZN7rocprim17ROCPRIM_400000_NS6detail17trampoline_kernelINS0_14default_configENS1_35adjacent_difference_config_selectorILb1ElEEZNS1_24adjacent_difference_implIS3_Lb1ELb0EPlS7_ZN2at6native12_GLOBAL__N_124unique_dim_cuda_templateIfEESt5tupleIJNS8_6TensorESD_SD_EERKSD_lbbbEUlllE1_EE10hipError_tPvRmT2_T3_mT4_P12ihipStream_tbEUlT_E_NS1_11comp_targetILNS1_3genE9ELNS1_11target_archE1100ELNS1_3gpuE3ELNS1_3repE0EEENS1_30default_config_static_selectorELNS0_4arch9wavefront6targetE0EEEvT1_: ; @_ZN7rocprim17ROCPRIM_400000_NS6detail17trampoline_kernelINS0_14default_configENS1_35adjacent_difference_config_selectorILb1ElEEZNS1_24adjacent_difference_implIS3_Lb1ELb0EPlS7_ZN2at6native12_GLOBAL__N_124unique_dim_cuda_templateIfEESt5tupleIJNS8_6TensorESD_SD_EERKSD_lbbbEUlllE1_EE10hipError_tPvRmT2_T3_mT4_P12ihipStream_tbEUlT_E_NS1_11comp_targetILNS1_3genE9ELNS1_11target_archE1100ELNS1_3gpuE3ELNS1_3repE0EEENS1_30default_config_static_selectorELNS0_4arch9wavefront6targetE0EEEvT1_
; %bb.0:
	.section	.rodata,"a",@progbits
	.p2align	6, 0x0
	.amdhsa_kernel _ZN7rocprim17ROCPRIM_400000_NS6detail17trampoline_kernelINS0_14default_configENS1_35adjacent_difference_config_selectorILb1ElEEZNS1_24adjacent_difference_implIS3_Lb1ELb0EPlS7_ZN2at6native12_GLOBAL__N_124unique_dim_cuda_templateIfEESt5tupleIJNS8_6TensorESD_SD_EERKSD_lbbbEUlllE1_EE10hipError_tPvRmT2_T3_mT4_P12ihipStream_tbEUlT_E_NS1_11comp_targetILNS1_3genE9ELNS1_11target_archE1100ELNS1_3gpuE3ELNS1_3repE0EEENS1_30default_config_static_selectorELNS0_4arch9wavefront6targetE0EEEvT1_
		.amdhsa_group_segment_fixed_size 0
		.amdhsa_private_segment_fixed_size 0
		.amdhsa_kernarg_size 64
		.amdhsa_user_sgpr_count 2
		.amdhsa_user_sgpr_dispatch_ptr 0
		.amdhsa_user_sgpr_queue_ptr 0
		.amdhsa_user_sgpr_kernarg_segment_ptr 1
		.amdhsa_user_sgpr_dispatch_id 0
		.amdhsa_user_sgpr_kernarg_preload_length 0
		.amdhsa_user_sgpr_kernarg_preload_offset 0
		.amdhsa_user_sgpr_private_segment_size 0
		.amdhsa_wavefront_size32 1
		.amdhsa_uses_dynamic_stack 0
		.amdhsa_enable_private_segment 0
		.amdhsa_system_sgpr_workgroup_id_x 1
		.amdhsa_system_sgpr_workgroup_id_y 0
		.amdhsa_system_sgpr_workgroup_id_z 0
		.amdhsa_system_sgpr_workgroup_info 0
		.amdhsa_system_vgpr_workitem_id 0
		.amdhsa_next_free_vgpr 1
		.amdhsa_next_free_sgpr 1
		.amdhsa_named_barrier_count 0
		.amdhsa_reserve_vcc 0
		.amdhsa_float_round_mode_32 0
		.amdhsa_float_round_mode_16_64 0
		.amdhsa_float_denorm_mode_32 3
		.amdhsa_float_denorm_mode_16_64 3
		.amdhsa_fp16_overflow 0
		.amdhsa_memory_ordered 1
		.amdhsa_forward_progress 1
		.amdhsa_inst_pref_size 0
		.amdhsa_round_robin_scheduling 0
		.amdhsa_exception_fp_ieee_invalid_op 0
		.amdhsa_exception_fp_denorm_src 0
		.amdhsa_exception_fp_ieee_div_zero 0
		.amdhsa_exception_fp_ieee_overflow 0
		.amdhsa_exception_fp_ieee_underflow 0
		.amdhsa_exception_fp_ieee_inexact 0
		.amdhsa_exception_int_div_zero 0
	.end_amdhsa_kernel
	.section	.text._ZN7rocprim17ROCPRIM_400000_NS6detail17trampoline_kernelINS0_14default_configENS1_35adjacent_difference_config_selectorILb1ElEEZNS1_24adjacent_difference_implIS3_Lb1ELb0EPlS7_ZN2at6native12_GLOBAL__N_124unique_dim_cuda_templateIfEESt5tupleIJNS8_6TensorESD_SD_EERKSD_lbbbEUlllE1_EE10hipError_tPvRmT2_T3_mT4_P12ihipStream_tbEUlT_E_NS1_11comp_targetILNS1_3genE9ELNS1_11target_archE1100ELNS1_3gpuE3ELNS1_3repE0EEENS1_30default_config_static_selectorELNS0_4arch9wavefront6targetE0EEEvT1_,"axG",@progbits,_ZN7rocprim17ROCPRIM_400000_NS6detail17trampoline_kernelINS0_14default_configENS1_35adjacent_difference_config_selectorILb1ElEEZNS1_24adjacent_difference_implIS3_Lb1ELb0EPlS7_ZN2at6native12_GLOBAL__N_124unique_dim_cuda_templateIfEESt5tupleIJNS8_6TensorESD_SD_EERKSD_lbbbEUlllE1_EE10hipError_tPvRmT2_T3_mT4_P12ihipStream_tbEUlT_E_NS1_11comp_targetILNS1_3genE9ELNS1_11target_archE1100ELNS1_3gpuE3ELNS1_3repE0EEENS1_30default_config_static_selectorELNS0_4arch9wavefront6targetE0EEEvT1_,comdat
.Lfunc_end927:
	.size	_ZN7rocprim17ROCPRIM_400000_NS6detail17trampoline_kernelINS0_14default_configENS1_35adjacent_difference_config_selectorILb1ElEEZNS1_24adjacent_difference_implIS3_Lb1ELb0EPlS7_ZN2at6native12_GLOBAL__N_124unique_dim_cuda_templateIfEESt5tupleIJNS8_6TensorESD_SD_EERKSD_lbbbEUlllE1_EE10hipError_tPvRmT2_T3_mT4_P12ihipStream_tbEUlT_E_NS1_11comp_targetILNS1_3genE9ELNS1_11target_archE1100ELNS1_3gpuE3ELNS1_3repE0EEENS1_30default_config_static_selectorELNS0_4arch9wavefront6targetE0EEEvT1_, .Lfunc_end927-_ZN7rocprim17ROCPRIM_400000_NS6detail17trampoline_kernelINS0_14default_configENS1_35adjacent_difference_config_selectorILb1ElEEZNS1_24adjacent_difference_implIS3_Lb1ELb0EPlS7_ZN2at6native12_GLOBAL__N_124unique_dim_cuda_templateIfEESt5tupleIJNS8_6TensorESD_SD_EERKSD_lbbbEUlllE1_EE10hipError_tPvRmT2_T3_mT4_P12ihipStream_tbEUlT_E_NS1_11comp_targetILNS1_3genE9ELNS1_11target_archE1100ELNS1_3gpuE3ELNS1_3repE0EEENS1_30default_config_static_selectorELNS0_4arch9wavefront6targetE0EEEvT1_
                                        ; -- End function
	.set _ZN7rocprim17ROCPRIM_400000_NS6detail17trampoline_kernelINS0_14default_configENS1_35adjacent_difference_config_selectorILb1ElEEZNS1_24adjacent_difference_implIS3_Lb1ELb0EPlS7_ZN2at6native12_GLOBAL__N_124unique_dim_cuda_templateIfEESt5tupleIJNS8_6TensorESD_SD_EERKSD_lbbbEUlllE1_EE10hipError_tPvRmT2_T3_mT4_P12ihipStream_tbEUlT_E_NS1_11comp_targetILNS1_3genE9ELNS1_11target_archE1100ELNS1_3gpuE3ELNS1_3repE0EEENS1_30default_config_static_selectorELNS0_4arch9wavefront6targetE0EEEvT1_.num_vgpr, 0
	.set _ZN7rocprim17ROCPRIM_400000_NS6detail17trampoline_kernelINS0_14default_configENS1_35adjacent_difference_config_selectorILb1ElEEZNS1_24adjacent_difference_implIS3_Lb1ELb0EPlS7_ZN2at6native12_GLOBAL__N_124unique_dim_cuda_templateIfEESt5tupleIJNS8_6TensorESD_SD_EERKSD_lbbbEUlllE1_EE10hipError_tPvRmT2_T3_mT4_P12ihipStream_tbEUlT_E_NS1_11comp_targetILNS1_3genE9ELNS1_11target_archE1100ELNS1_3gpuE3ELNS1_3repE0EEENS1_30default_config_static_selectorELNS0_4arch9wavefront6targetE0EEEvT1_.num_agpr, 0
	.set _ZN7rocprim17ROCPRIM_400000_NS6detail17trampoline_kernelINS0_14default_configENS1_35adjacent_difference_config_selectorILb1ElEEZNS1_24adjacent_difference_implIS3_Lb1ELb0EPlS7_ZN2at6native12_GLOBAL__N_124unique_dim_cuda_templateIfEESt5tupleIJNS8_6TensorESD_SD_EERKSD_lbbbEUlllE1_EE10hipError_tPvRmT2_T3_mT4_P12ihipStream_tbEUlT_E_NS1_11comp_targetILNS1_3genE9ELNS1_11target_archE1100ELNS1_3gpuE3ELNS1_3repE0EEENS1_30default_config_static_selectorELNS0_4arch9wavefront6targetE0EEEvT1_.numbered_sgpr, 0
	.set _ZN7rocprim17ROCPRIM_400000_NS6detail17trampoline_kernelINS0_14default_configENS1_35adjacent_difference_config_selectorILb1ElEEZNS1_24adjacent_difference_implIS3_Lb1ELb0EPlS7_ZN2at6native12_GLOBAL__N_124unique_dim_cuda_templateIfEESt5tupleIJNS8_6TensorESD_SD_EERKSD_lbbbEUlllE1_EE10hipError_tPvRmT2_T3_mT4_P12ihipStream_tbEUlT_E_NS1_11comp_targetILNS1_3genE9ELNS1_11target_archE1100ELNS1_3gpuE3ELNS1_3repE0EEENS1_30default_config_static_selectorELNS0_4arch9wavefront6targetE0EEEvT1_.num_named_barrier, 0
	.set _ZN7rocprim17ROCPRIM_400000_NS6detail17trampoline_kernelINS0_14default_configENS1_35adjacent_difference_config_selectorILb1ElEEZNS1_24adjacent_difference_implIS3_Lb1ELb0EPlS7_ZN2at6native12_GLOBAL__N_124unique_dim_cuda_templateIfEESt5tupleIJNS8_6TensorESD_SD_EERKSD_lbbbEUlllE1_EE10hipError_tPvRmT2_T3_mT4_P12ihipStream_tbEUlT_E_NS1_11comp_targetILNS1_3genE9ELNS1_11target_archE1100ELNS1_3gpuE3ELNS1_3repE0EEENS1_30default_config_static_selectorELNS0_4arch9wavefront6targetE0EEEvT1_.private_seg_size, 0
	.set _ZN7rocprim17ROCPRIM_400000_NS6detail17trampoline_kernelINS0_14default_configENS1_35adjacent_difference_config_selectorILb1ElEEZNS1_24adjacent_difference_implIS3_Lb1ELb0EPlS7_ZN2at6native12_GLOBAL__N_124unique_dim_cuda_templateIfEESt5tupleIJNS8_6TensorESD_SD_EERKSD_lbbbEUlllE1_EE10hipError_tPvRmT2_T3_mT4_P12ihipStream_tbEUlT_E_NS1_11comp_targetILNS1_3genE9ELNS1_11target_archE1100ELNS1_3gpuE3ELNS1_3repE0EEENS1_30default_config_static_selectorELNS0_4arch9wavefront6targetE0EEEvT1_.uses_vcc, 0
	.set _ZN7rocprim17ROCPRIM_400000_NS6detail17trampoline_kernelINS0_14default_configENS1_35adjacent_difference_config_selectorILb1ElEEZNS1_24adjacent_difference_implIS3_Lb1ELb0EPlS7_ZN2at6native12_GLOBAL__N_124unique_dim_cuda_templateIfEESt5tupleIJNS8_6TensorESD_SD_EERKSD_lbbbEUlllE1_EE10hipError_tPvRmT2_T3_mT4_P12ihipStream_tbEUlT_E_NS1_11comp_targetILNS1_3genE9ELNS1_11target_archE1100ELNS1_3gpuE3ELNS1_3repE0EEENS1_30default_config_static_selectorELNS0_4arch9wavefront6targetE0EEEvT1_.uses_flat_scratch, 0
	.set _ZN7rocprim17ROCPRIM_400000_NS6detail17trampoline_kernelINS0_14default_configENS1_35adjacent_difference_config_selectorILb1ElEEZNS1_24adjacent_difference_implIS3_Lb1ELb0EPlS7_ZN2at6native12_GLOBAL__N_124unique_dim_cuda_templateIfEESt5tupleIJNS8_6TensorESD_SD_EERKSD_lbbbEUlllE1_EE10hipError_tPvRmT2_T3_mT4_P12ihipStream_tbEUlT_E_NS1_11comp_targetILNS1_3genE9ELNS1_11target_archE1100ELNS1_3gpuE3ELNS1_3repE0EEENS1_30default_config_static_selectorELNS0_4arch9wavefront6targetE0EEEvT1_.has_dyn_sized_stack, 0
	.set _ZN7rocprim17ROCPRIM_400000_NS6detail17trampoline_kernelINS0_14default_configENS1_35adjacent_difference_config_selectorILb1ElEEZNS1_24adjacent_difference_implIS3_Lb1ELb0EPlS7_ZN2at6native12_GLOBAL__N_124unique_dim_cuda_templateIfEESt5tupleIJNS8_6TensorESD_SD_EERKSD_lbbbEUlllE1_EE10hipError_tPvRmT2_T3_mT4_P12ihipStream_tbEUlT_E_NS1_11comp_targetILNS1_3genE9ELNS1_11target_archE1100ELNS1_3gpuE3ELNS1_3repE0EEENS1_30default_config_static_selectorELNS0_4arch9wavefront6targetE0EEEvT1_.has_recursion, 0
	.set _ZN7rocprim17ROCPRIM_400000_NS6detail17trampoline_kernelINS0_14default_configENS1_35adjacent_difference_config_selectorILb1ElEEZNS1_24adjacent_difference_implIS3_Lb1ELb0EPlS7_ZN2at6native12_GLOBAL__N_124unique_dim_cuda_templateIfEESt5tupleIJNS8_6TensorESD_SD_EERKSD_lbbbEUlllE1_EE10hipError_tPvRmT2_T3_mT4_P12ihipStream_tbEUlT_E_NS1_11comp_targetILNS1_3genE9ELNS1_11target_archE1100ELNS1_3gpuE3ELNS1_3repE0EEENS1_30default_config_static_selectorELNS0_4arch9wavefront6targetE0EEEvT1_.has_indirect_call, 0
	.section	.AMDGPU.csdata,"",@progbits
; Kernel info:
; codeLenInByte = 0
; TotalNumSgprs: 0
; NumVgprs: 0
; ScratchSize: 0
; MemoryBound: 0
; FloatMode: 240
; IeeeMode: 1
; LDSByteSize: 0 bytes/workgroup (compile time only)
; SGPRBlocks: 0
; VGPRBlocks: 0
; NumSGPRsForWavesPerEU: 1
; NumVGPRsForWavesPerEU: 1
; NamedBarCnt: 0
; Occupancy: 16
; WaveLimiterHint : 0
; COMPUTE_PGM_RSRC2:SCRATCH_EN: 0
; COMPUTE_PGM_RSRC2:USER_SGPR: 2
; COMPUTE_PGM_RSRC2:TRAP_HANDLER: 0
; COMPUTE_PGM_RSRC2:TGID_X_EN: 1
; COMPUTE_PGM_RSRC2:TGID_Y_EN: 0
; COMPUTE_PGM_RSRC2:TGID_Z_EN: 0
; COMPUTE_PGM_RSRC2:TIDIG_COMP_CNT: 0
	.section	.text._ZN7rocprim17ROCPRIM_400000_NS6detail17trampoline_kernelINS0_14default_configENS1_35adjacent_difference_config_selectorILb1ElEEZNS1_24adjacent_difference_implIS3_Lb1ELb0EPlS7_ZN2at6native12_GLOBAL__N_124unique_dim_cuda_templateIfEESt5tupleIJNS8_6TensorESD_SD_EERKSD_lbbbEUlllE1_EE10hipError_tPvRmT2_T3_mT4_P12ihipStream_tbEUlT_E_NS1_11comp_targetILNS1_3genE8ELNS1_11target_archE1030ELNS1_3gpuE2ELNS1_3repE0EEENS1_30default_config_static_selectorELNS0_4arch9wavefront6targetE0EEEvT1_,"axG",@progbits,_ZN7rocprim17ROCPRIM_400000_NS6detail17trampoline_kernelINS0_14default_configENS1_35adjacent_difference_config_selectorILb1ElEEZNS1_24adjacent_difference_implIS3_Lb1ELb0EPlS7_ZN2at6native12_GLOBAL__N_124unique_dim_cuda_templateIfEESt5tupleIJNS8_6TensorESD_SD_EERKSD_lbbbEUlllE1_EE10hipError_tPvRmT2_T3_mT4_P12ihipStream_tbEUlT_E_NS1_11comp_targetILNS1_3genE8ELNS1_11target_archE1030ELNS1_3gpuE2ELNS1_3repE0EEENS1_30default_config_static_selectorELNS0_4arch9wavefront6targetE0EEEvT1_,comdat
	.globl	_ZN7rocprim17ROCPRIM_400000_NS6detail17trampoline_kernelINS0_14default_configENS1_35adjacent_difference_config_selectorILb1ElEEZNS1_24adjacent_difference_implIS3_Lb1ELb0EPlS7_ZN2at6native12_GLOBAL__N_124unique_dim_cuda_templateIfEESt5tupleIJNS8_6TensorESD_SD_EERKSD_lbbbEUlllE1_EE10hipError_tPvRmT2_T3_mT4_P12ihipStream_tbEUlT_E_NS1_11comp_targetILNS1_3genE8ELNS1_11target_archE1030ELNS1_3gpuE2ELNS1_3repE0EEENS1_30default_config_static_selectorELNS0_4arch9wavefront6targetE0EEEvT1_ ; -- Begin function _ZN7rocprim17ROCPRIM_400000_NS6detail17trampoline_kernelINS0_14default_configENS1_35adjacent_difference_config_selectorILb1ElEEZNS1_24adjacent_difference_implIS3_Lb1ELb0EPlS7_ZN2at6native12_GLOBAL__N_124unique_dim_cuda_templateIfEESt5tupleIJNS8_6TensorESD_SD_EERKSD_lbbbEUlllE1_EE10hipError_tPvRmT2_T3_mT4_P12ihipStream_tbEUlT_E_NS1_11comp_targetILNS1_3genE8ELNS1_11target_archE1030ELNS1_3gpuE2ELNS1_3repE0EEENS1_30default_config_static_selectorELNS0_4arch9wavefront6targetE0EEEvT1_
	.p2align	8
	.type	_ZN7rocprim17ROCPRIM_400000_NS6detail17trampoline_kernelINS0_14default_configENS1_35adjacent_difference_config_selectorILb1ElEEZNS1_24adjacent_difference_implIS3_Lb1ELb0EPlS7_ZN2at6native12_GLOBAL__N_124unique_dim_cuda_templateIfEESt5tupleIJNS8_6TensorESD_SD_EERKSD_lbbbEUlllE1_EE10hipError_tPvRmT2_T3_mT4_P12ihipStream_tbEUlT_E_NS1_11comp_targetILNS1_3genE8ELNS1_11target_archE1030ELNS1_3gpuE2ELNS1_3repE0EEENS1_30default_config_static_selectorELNS0_4arch9wavefront6targetE0EEEvT1_,@function
_ZN7rocprim17ROCPRIM_400000_NS6detail17trampoline_kernelINS0_14default_configENS1_35adjacent_difference_config_selectorILb1ElEEZNS1_24adjacent_difference_implIS3_Lb1ELb0EPlS7_ZN2at6native12_GLOBAL__N_124unique_dim_cuda_templateIfEESt5tupleIJNS8_6TensorESD_SD_EERKSD_lbbbEUlllE1_EE10hipError_tPvRmT2_T3_mT4_P12ihipStream_tbEUlT_E_NS1_11comp_targetILNS1_3genE8ELNS1_11target_archE1030ELNS1_3gpuE2ELNS1_3repE0EEENS1_30default_config_static_selectorELNS0_4arch9wavefront6targetE0EEEvT1_: ; @_ZN7rocprim17ROCPRIM_400000_NS6detail17trampoline_kernelINS0_14default_configENS1_35adjacent_difference_config_selectorILb1ElEEZNS1_24adjacent_difference_implIS3_Lb1ELb0EPlS7_ZN2at6native12_GLOBAL__N_124unique_dim_cuda_templateIfEESt5tupleIJNS8_6TensorESD_SD_EERKSD_lbbbEUlllE1_EE10hipError_tPvRmT2_T3_mT4_P12ihipStream_tbEUlT_E_NS1_11comp_targetILNS1_3genE8ELNS1_11target_archE1030ELNS1_3gpuE2ELNS1_3repE0EEENS1_30default_config_static_selectorELNS0_4arch9wavefront6targetE0EEEvT1_
; %bb.0:
	.section	.rodata,"a",@progbits
	.p2align	6, 0x0
	.amdhsa_kernel _ZN7rocprim17ROCPRIM_400000_NS6detail17trampoline_kernelINS0_14default_configENS1_35adjacent_difference_config_selectorILb1ElEEZNS1_24adjacent_difference_implIS3_Lb1ELb0EPlS7_ZN2at6native12_GLOBAL__N_124unique_dim_cuda_templateIfEESt5tupleIJNS8_6TensorESD_SD_EERKSD_lbbbEUlllE1_EE10hipError_tPvRmT2_T3_mT4_P12ihipStream_tbEUlT_E_NS1_11comp_targetILNS1_3genE8ELNS1_11target_archE1030ELNS1_3gpuE2ELNS1_3repE0EEENS1_30default_config_static_selectorELNS0_4arch9wavefront6targetE0EEEvT1_
		.amdhsa_group_segment_fixed_size 0
		.amdhsa_private_segment_fixed_size 0
		.amdhsa_kernarg_size 64
		.amdhsa_user_sgpr_count 2
		.amdhsa_user_sgpr_dispatch_ptr 0
		.amdhsa_user_sgpr_queue_ptr 0
		.amdhsa_user_sgpr_kernarg_segment_ptr 1
		.amdhsa_user_sgpr_dispatch_id 0
		.amdhsa_user_sgpr_kernarg_preload_length 0
		.amdhsa_user_sgpr_kernarg_preload_offset 0
		.amdhsa_user_sgpr_private_segment_size 0
		.amdhsa_wavefront_size32 1
		.amdhsa_uses_dynamic_stack 0
		.amdhsa_enable_private_segment 0
		.amdhsa_system_sgpr_workgroup_id_x 1
		.amdhsa_system_sgpr_workgroup_id_y 0
		.amdhsa_system_sgpr_workgroup_id_z 0
		.amdhsa_system_sgpr_workgroup_info 0
		.amdhsa_system_vgpr_workitem_id 0
		.amdhsa_next_free_vgpr 1
		.amdhsa_next_free_sgpr 1
		.amdhsa_named_barrier_count 0
		.amdhsa_reserve_vcc 0
		.amdhsa_float_round_mode_32 0
		.amdhsa_float_round_mode_16_64 0
		.amdhsa_float_denorm_mode_32 3
		.amdhsa_float_denorm_mode_16_64 3
		.amdhsa_fp16_overflow 0
		.amdhsa_memory_ordered 1
		.amdhsa_forward_progress 1
		.amdhsa_inst_pref_size 0
		.amdhsa_round_robin_scheduling 0
		.amdhsa_exception_fp_ieee_invalid_op 0
		.amdhsa_exception_fp_denorm_src 0
		.amdhsa_exception_fp_ieee_div_zero 0
		.amdhsa_exception_fp_ieee_overflow 0
		.amdhsa_exception_fp_ieee_underflow 0
		.amdhsa_exception_fp_ieee_inexact 0
		.amdhsa_exception_int_div_zero 0
	.end_amdhsa_kernel
	.section	.text._ZN7rocprim17ROCPRIM_400000_NS6detail17trampoline_kernelINS0_14default_configENS1_35adjacent_difference_config_selectorILb1ElEEZNS1_24adjacent_difference_implIS3_Lb1ELb0EPlS7_ZN2at6native12_GLOBAL__N_124unique_dim_cuda_templateIfEESt5tupleIJNS8_6TensorESD_SD_EERKSD_lbbbEUlllE1_EE10hipError_tPvRmT2_T3_mT4_P12ihipStream_tbEUlT_E_NS1_11comp_targetILNS1_3genE8ELNS1_11target_archE1030ELNS1_3gpuE2ELNS1_3repE0EEENS1_30default_config_static_selectorELNS0_4arch9wavefront6targetE0EEEvT1_,"axG",@progbits,_ZN7rocprim17ROCPRIM_400000_NS6detail17trampoline_kernelINS0_14default_configENS1_35adjacent_difference_config_selectorILb1ElEEZNS1_24adjacent_difference_implIS3_Lb1ELb0EPlS7_ZN2at6native12_GLOBAL__N_124unique_dim_cuda_templateIfEESt5tupleIJNS8_6TensorESD_SD_EERKSD_lbbbEUlllE1_EE10hipError_tPvRmT2_T3_mT4_P12ihipStream_tbEUlT_E_NS1_11comp_targetILNS1_3genE8ELNS1_11target_archE1030ELNS1_3gpuE2ELNS1_3repE0EEENS1_30default_config_static_selectorELNS0_4arch9wavefront6targetE0EEEvT1_,comdat
.Lfunc_end928:
	.size	_ZN7rocprim17ROCPRIM_400000_NS6detail17trampoline_kernelINS0_14default_configENS1_35adjacent_difference_config_selectorILb1ElEEZNS1_24adjacent_difference_implIS3_Lb1ELb0EPlS7_ZN2at6native12_GLOBAL__N_124unique_dim_cuda_templateIfEESt5tupleIJNS8_6TensorESD_SD_EERKSD_lbbbEUlllE1_EE10hipError_tPvRmT2_T3_mT4_P12ihipStream_tbEUlT_E_NS1_11comp_targetILNS1_3genE8ELNS1_11target_archE1030ELNS1_3gpuE2ELNS1_3repE0EEENS1_30default_config_static_selectorELNS0_4arch9wavefront6targetE0EEEvT1_, .Lfunc_end928-_ZN7rocprim17ROCPRIM_400000_NS6detail17trampoline_kernelINS0_14default_configENS1_35adjacent_difference_config_selectorILb1ElEEZNS1_24adjacent_difference_implIS3_Lb1ELb0EPlS7_ZN2at6native12_GLOBAL__N_124unique_dim_cuda_templateIfEESt5tupleIJNS8_6TensorESD_SD_EERKSD_lbbbEUlllE1_EE10hipError_tPvRmT2_T3_mT4_P12ihipStream_tbEUlT_E_NS1_11comp_targetILNS1_3genE8ELNS1_11target_archE1030ELNS1_3gpuE2ELNS1_3repE0EEENS1_30default_config_static_selectorELNS0_4arch9wavefront6targetE0EEEvT1_
                                        ; -- End function
	.set _ZN7rocprim17ROCPRIM_400000_NS6detail17trampoline_kernelINS0_14default_configENS1_35adjacent_difference_config_selectorILb1ElEEZNS1_24adjacent_difference_implIS3_Lb1ELb0EPlS7_ZN2at6native12_GLOBAL__N_124unique_dim_cuda_templateIfEESt5tupleIJNS8_6TensorESD_SD_EERKSD_lbbbEUlllE1_EE10hipError_tPvRmT2_T3_mT4_P12ihipStream_tbEUlT_E_NS1_11comp_targetILNS1_3genE8ELNS1_11target_archE1030ELNS1_3gpuE2ELNS1_3repE0EEENS1_30default_config_static_selectorELNS0_4arch9wavefront6targetE0EEEvT1_.num_vgpr, 0
	.set _ZN7rocprim17ROCPRIM_400000_NS6detail17trampoline_kernelINS0_14default_configENS1_35adjacent_difference_config_selectorILb1ElEEZNS1_24adjacent_difference_implIS3_Lb1ELb0EPlS7_ZN2at6native12_GLOBAL__N_124unique_dim_cuda_templateIfEESt5tupleIJNS8_6TensorESD_SD_EERKSD_lbbbEUlllE1_EE10hipError_tPvRmT2_T3_mT4_P12ihipStream_tbEUlT_E_NS1_11comp_targetILNS1_3genE8ELNS1_11target_archE1030ELNS1_3gpuE2ELNS1_3repE0EEENS1_30default_config_static_selectorELNS0_4arch9wavefront6targetE0EEEvT1_.num_agpr, 0
	.set _ZN7rocprim17ROCPRIM_400000_NS6detail17trampoline_kernelINS0_14default_configENS1_35adjacent_difference_config_selectorILb1ElEEZNS1_24adjacent_difference_implIS3_Lb1ELb0EPlS7_ZN2at6native12_GLOBAL__N_124unique_dim_cuda_templateIfEESt5tupleIJNS8_6TensorESD_SD_EERKSD_lbbbEUlllE1_EE10hipError_tPvRmT2_T3_mT4_P12ihipStream_tbEUlT_E_NS1_11comp_targetILNS1_3genE8ELNS1_11target_archE1030ELNS1_3gpuE2ELNS1_3repE0EEENS1_30default_config_static_selectorELNS0_4arch9wavefront6targetE0EEEvT1_.numbered_sgpr, 0
	.set _ZN7rocprim17ROCPRIM_400000_NS6detail17trampoline_kernelINS0_14default_configENS1_35adjacent_difference_config_selectorILb1ElEEZNS1_24adjacent_difference_implIS3_Lb1ELb0EPlS7_ZN2at6native12_GLOBAL__N_124unique_dim_cuda_templateIfEESt5tupleIJNS8_6TensorESD_SD_EERKSD_lbbbEUlllE1_EE10hipError_tPvRmT2_T3_mT4_P12ihipStream_tbEUlT_E_NS1_11comp_targetILNS1_3genE8ELNS1_11target_archE1030ELNS1_3gpuE2ELNS1_3repE0EEENS1_30default_config_static_selectorELNS0_4arch9wavefront6targetE0EEEvT1_.num_named_barrier, 0
	.set _ZN7rocprim17ROCPRIM_400000_NS6detail17trampoline_kernelINS0_14default_configENS1_35adjacent_difference_config_selectorILb1ElEEZNS1_24adjacent_difference_implIS3_Lb1ELb0EPlS7_ZN2at6native12_GLOBAL__N_124unique_dim_cuda_templateIfEESt5tupleIJNS8_6TensorESD_SD_EERKSD_lbbbEUlllE1_EE10hipError_tPvRmT2_T3_mT4_P12ihipStream_tbEUlT_E_NS1_11comp_targetILNS1_3genE8ELNS1_11target_archE1030ELNS1_3gpuE2ELNS1_3repE0EEENS1_30default_config_static_selectorELNS0_4arch9wavefront6targetE0EEEvT1_.private_seg_size, 0
	.set _ZN7rocprim17ROCPRIM_400000_NS6detail17trampoline_kernelINS0_14default_configENS1_35adjacent_difference_config_selectorILb1ElEEZNS1_24adjacent_difference_implIS3_Lb1ELb0EPlS7_ZN2at6native12_GLOBAL__N_124unique_dim_cuda_templateIfEESt5tupleIJNS8_6TensorESD_SD_EERKSD_lbbbEUlllE1_EE10hipError_tPvRmT2_T3_mT4_P12ihipStream_tbEUlT_E_NS1_11comp_targetILNS1_3genE8ELNS1_11target_archE1030ELNS1_3gpuE2ELNS1_3repE0EEENS1_30default_config_static_selectorELNS0_4arch9wavefront6targetE0EEEvT1_.uses_vcc, 0
	.set _ZN7rocprim17ROCPRIM_400000_NS6detail17trampoline_kernelINS0_14default_configENS1_35adjacent_difference_config_selectorILb1ElEEZNS1_24adjacent_difference_implIS3_Lb1ELb0EPlS7_ZN2at6native12_GLOBAL__N_124unique_dim_cuda_templateIfEESt5tupleIJNS8_6TensorESD_SD_EERKSD_lbbbEUlllE1_EE10hipError_tPvRmT2_T3_mT4_P12ihipStream_tbEUlT_E_NS1_11comp_targetILNS1_3genE8ELNS1_11target_archE1030ELNS1_3gpuE2ELNS1_3repE0EEENS1_30default_config_static_selectorELNS0_4arch9wavefront6targetE0EEEvT1_.uses_flat_scratch, 0
	.set _ZN7rocprim17ROCPRIM_400000_NS6detail17trampoline_kernelINS0_14default_configENS1_35adjacent_difference_config_selectorILb1ElEEZNS1_24adjacent_difference_implIS3_Lb1ELb0EPlS7_ZN2at6native12_GLOBAL__N_124unique_dim_cuda_templateIfEESt5tupleIJNS8_6TensorESD_SD_EERKSD_lbbbEUlllE1_EE10hipError_tPvRmT2_T3_mT4_P12ihipStream_tbEUlT_E_NS1_11comp_targetILNS1_3genE8ELNS1_11target_archE1030ELNS1_3gpuE2ELNS1_3repE0EEENS1_30default_config_static_selectorELNS0_4arch9wavefront6targetE0EEEvT1_.has_dyn_sized_stack, 0
	.set _ZN7rocprim17ROCPRIM_400000_NS6detail17trampoline_kernelINS0_14default_configENS1_35adjacent_difference_config_selectorILb1ElEEZNS1_24adjacent_difference_implIS3_Lb1ELb0EPlS7_ZN2at6native12_GLOBAL__N_124unique_dim_cuda_templateIfEESt5tupleIJNS8_6TensorESD_SD_EERKSD_lbbbEUlllE1_EE10hipError_tPvRmT2_T3_mT4_P12ihipStream_tbEUlT_E_NS1_11comp_targetILNS1_3genE8ELNS1_11target_archE1030ELNS1_3gpuE2ELNS1_3repE0EEENS1_30default_config_static_selectorELNS0_4arch9wavefront6targetE0EEEvT1_.has_recursion, 0
	.set _ZN7rocprim17ROCPRIM_400000_NS6detail17trampoline_kernelINS0_14default_configENS1_35adjacent_difference_config_selectorILb1ElEEZNS1_24adjacent_difference_implIS3_Lb1ELb0EPlS7_ZN2at6native12_GLOBAL__N_124unique_dim_cuda_templateIfEESt5tupleIJNS8_6TensorESD_SD_EERKSD_lbbbEUlllE1_EE10hipError_tPvRmT2_T3_mT4_P12ihipStream_tbEUlT_E_NS1_11comp_targetILNS1_3genE8ELNS1_11target_archE1030ELNS1_3gpuE2ELNS1_3repE0EEENS1_30default_config_static_selectorELNS0_4arch9wavefront6targetE0EEEvT1_.has_indirect_call, 0
	.section	.AMDGPU.csdata,"",@progbits
; Kernel info:
; codeLenInByte = 0
; TotalNumSgprs: 0
; NumVgprs: 0
; ScratchSize: 0
; MemoryBound: 0
; FloatMode: 240
; IeeeMode: 1
; LDSByteSize: 0 bytes/workgroup (compile time only)
; SGPRBlocks: 0
; VGPRBlocks: 0
; NumSGPRsForWavesPerEU: 1
; NumVGPRsForWavesPerEU: 1
; NamedBarCnt: 0
; Occupancy: 16
; WaveLimiterHint : 0
; COMPUTE_PGM_RSRC2:SCRATCH_EN: 0
; COMPUTE_PGM_RSRC2:USER_SGPR: 2
; COMPUTE_PGM_RSRC2:TRAP_HANDLER: 0
; COMPUTE_PGM_RSRC2:TGID_X_EN: 1
; COMPUTE_PGM_RSRC2:TGID_Y_EN: 0
; COMPUTE_PGM_RSRC2:TGID_Z_EN: 0
; COMPUTE_PGM_RSRC2:TIDIG_COMP_CNT: 0
	.section	.text._ZN7rocprim17ROCPRIM_400000_NS6detail17trampoline_kernelINS0_14default_configENS1_25partition_config_selectorILNS1_17partition_subalgoE8ElNS0_10empty_typeEbEEZZNS1_14partition_implILS5_8ELb0ES3_jPlPS6_PKS6_NS0_5tupleIJS9_S6_EEENSD_IJSA_SA_EEENS0_18inequality_wrapperIZN2at6native12_GLOBAL__N_124unique_dim_cuda_templateIfEESt5tupleIJNSH_6TensorESM_SM_EERKSM_lbbbEUlllE0_EEPmJS6_EEE10hipError_tPvRmT3_T4_T5_T6_T7_T9_mT8_P12ihipStream_tbDpT10_ENKUlT_T0_E_clISt17integral_constantIbLb0EES1C_EEDaS17_S18_EUlS17_E_NS1_11comp_targetILNS1_3genE0ELNS1_11target_archE4294967295ELNS1_3gpuE0ELNS1_3repE0EEENS1_30default_config_static_selectorELNS0_4arch9wavefront6targetE0EEEvT1_,"axG",@progbits,_ZN7rocprim17ROCPRIM_400000_NS6detail17trampoline_kernelINS0_14default_configENS1_25partition_config_selectorILNS1_17partition_subalgoE8ElNS0_10empty_typeEbEEZZNS1_14partition_implILS5_8ELb0ES3_jPlPS6_PKS6_NS0_5tupleIJS9_S6_EEENSD_IJSA_SA_EEENS0_18inequality_wrapperIZN2at6native12_GLOBAL__N_124unique_dim_cuda_templateIfEESt5tupleIJNSH_6TensorESM_SM_EERKSM_lbbbEUlllE0_EEPmJS6_EEE10hipError_tPvRmT3_T4_T5_T6_T7_T9_mT8_P12ihipStream_tbDpT10_ENKUlT_T0_E_clISt17integral_constantIbLb0EES1C_EEDaS17_S18_EUlS17_E_NS1_11comp_targetILNS1_3genE0ELNS1_11target_archE4294967295ELNS1_3gpuE0ELNS1_3repE0EEENS1_30default_config_static_selectorELNS0_4arch9wavefront6targetE0EEEvT1_,comdat
	.globl	_ZN7rocprim17ROCPRIM_400000_NS6detail17trampoline_kernelINS0_14default_configENS1_25partition_config_selectorILNS1_17partition_subalgoE8ElNS0_10empty_typeEbEEZZNS1_14partition_implILS5_8ELb0ES3_jPlPS6_PKS6_NS0_5tupleIJS9_S6_EEENSD_IJSA_SA_EEENS0_18inequality_wrapperIZN2at6native12_GLOBAL__N_124unique_dim_cuda_templateIfEESt5tupleIJNSH_6TensorESM_SM_EERKSM_lbbbEUlllE0_EEPmJS6_EEE10hipError_tPvRmT3_T4_T5_T6_T7_T9_mT8_P12ihipStream_tbDpT10_ENKUlT_T0_E_clISt17integral_constantIbLb0EES1C_EEDaS17_S18_EUlS17_E_NS1_11comp_targetILNS1_3genE0ELNS1_11target_archE4294967295ELNS1_3gpuE0ELNS1_3repE0EEENS1_30default_config_static_selectorELNS0_4arch9wavefront6targetE0EEEvT1_ ; -- Begin function _ZN7rocprim17ROCPRIM_400000_NS6detail17trampoline_kernelINS0_14default_configENS1_25partition_config_selectorILNS1_17partition_subalgoE8ElNS0_10empty_typeEbEEZZNS1_14partition_implILS5_8ELb0ES3_jPlPS6_PKS6_NS0_5tupleIJS9_S6_EEENSD_IJSA_SA_EEENS0_18inequality_wrapperIZN2at6native12_GLOBAL__N_124unique_dim_cuda_templateIfEESt5tupleIJNSH_6TensorESM_SM_EERKSM_lbbbEUlllE0_EEPmJS6_EEE10hipError_tPvRmT3_T4_T5_T6_T7_T9_mT8_P12ihipStream_tbDpT10_ENKUlT_T0_E_clISt17integral_constantIbLb0EES1C_EEDaS17_S18_EUlS17_E_NS1_11comp_targetILNS1_3genE0ELNS1_11target_archE4294967295ELNS1_3gpuE0ELNS1_3repE0EEENS1_30default_config_static_selectorELNS0_4arch9wavefront6targetE0EEEvT1_
	.p2align	8
	.type	_ZN7rocprim17ROCPRIM_400000_NS6detail17trampoline_kernelINS0_14default_configENS1_25partition_config_selectorILNS1_17partition_subalgoE8ElNS0_10empty_typeEbEEZZNS1_14partition_implILS5_8ELb0ES3_jPlPS6_PKS6_NS0_5tupleIJS9_S6_EEENSD_IJSA_SA_EEENS0_18inequality_wrapperIZN2at6native12_GLOBAL__N_124unique_dim_cuda_templateIfEESt5tupleIJNSH_6TensorESM_SM_EERKSM_lbbbEUlllE0_EEPmJS6_EEE10hipError_tPvRmT3_T4_T5_T6_T7_T9_mT8_P12ihipStream_tbDpT10_ENKUlT_T0_E_clISt17integral_constantIbLb0EES1C_EEDaS17_S18_EUlS17_E_NS1_11comp_targetILNS1_3genE0ELNS1_11target_archE4294967295ELNS1_3gpuE0ELNS1_3repE0EEENS1_30default_config_static_selectorELNS0_4arch9wavefront6targetE0EEEvT1_,@function
_ZN7rocprim17ROCPRIM_400000_NS6detail17trampoline_kernelINS0_14default_configENS1_25partition_config_selectorILNS1_17partition_subalgoE8ElNS0_10empty_typeEbEEZZNS1_14partition_implILS5_8ELb0ES3_jPlPS6_PKS6_NS0_5tupleIJS9_S6_EEENSD_IJSA_SA_EEENS0_18inequality_wrapperIZN2at6native12_GLOBAL__N_124unique_dim_cuda_templateIfEESt5tupleIJNSH_6TensorESM_SM_EERKSM_lbbbEUlllE0_EEPmJS6_EEE10hipError_tPvRmT3_T4_T5_T6_T7_T9_mT8_P12ihipStream_tbDpT10_ENKUlT_T0_E_clISt17integral_constantIbLb0EES1C_EEDaS17_S18_EUlS17_E_NS1_11comp_targetILNS1_3genE0ELNS1_11target_archE4294967295ELNS1_3gpuE0ELNS1_3repE0EEENS1_30default_config_static_selectorELNS0_4arch9wavefront6targetE0EEEvT1_: ; @_ZN7rocprim17ROCPRIM_400000_NS6detail17trampoline_kernelINS0_14default_configENS1_25partition_config_selectorILNS1_17partition_subalgoE8ElNS0_10empty_typeEbEEZZNS1_14partition_implILS5_8ELb0ES3_jPlPS6_PKS6_NS0_5tupleIJS9_S6_EEENSD_IJSA_SA_EEENS0_18inequality_wrapperIZN2at6native12_GLOBAL__N_124unique_dim_cuda_templateIfEESt5tupleIJNSH_6TensorESM_SM_EERKSM_lbbbEUlllE0_EEPmJS6_EEE10hipError_tPvRmT3_T4_T5_T6_T7_T9_mT8_P12ihipStream_tbDpT10_ENKUlT_T0_E_clISt17integral_constantIbLb0EES1C_EEDaS17_S18_EUlS17_E_NS1_11comp_targetILNS1_3genE0ELNS1_11target_archE4294967295ELNS1_3gpuE0ELNS1_3repE0EEENS1_30default_config_static_selectorELNS0_4arch9wavefront6targetE0EEEvT1_
; %bb.0:
	s_clause 0x3
	s_load_b128 s[4:7], s[0:1], 0x8
	s_load_b256 s[12:19], s[0:1], 0x40
	s_load_b32 s24, s[0:1], 0x70
	s_load_b128 s[8:11], s[0:1], 0x60
	s_bfe_u32 s20, ttmp6, 0x4000c
	s_and_b32 s2, ttmp6, 15
	s_add_co_i32 s20, s20, 1
	s_mov_b32 s3, 0
	s_mul_i32 s20, ttmp9, s20
	s_getreg_b32 s22, hwreg(HW_REG_IB_STS2, 6, 4)
	s_add_co_i32 s20, s2, s20
	s_mov_b32 s25, s3
	v_dual_mov_b32 v1, v0 :: v_dual_lshlrev_b32 v18, 3, v0
	s_mov_b32 s21, -1
	s_wait_kmcnt 0x0
	s_lshl_b64 s[26:27], s[6:7], 3
	s_load_b64 s[14:15], s[14:15], 0x0
	s_mul_i32 s2, s24, 0xe00
	s_cmp_eq_u32 s22, 0
	s_add_nc_u64 s[22:23], s[6:7], s[2:3]
	s_cselect_b32 s20, ttmp9, s20
	s_add_co_i32 s2, s2, s6
	v_cmp_le_u64_e64 s17, s[16:17], s[22:23]
	s_add_co_i32 s24, s24, -1
	s_sub_co_i32 s23, s16, s2
	s_cmp_eq_u32 s20, s24
	s_mul_i32 s24, s20, 0xe00
	s_cselect_b32 s16, -1, 0
	s_add_nc_u64 s[2:3], s[4:5], s[26:27]
	s_and_b32 s22, s16, s17
	s_lshl_b64 s[4:5], s[24:25], 3
	s_xor_b32 s17, s22, -1
	s_add_nc_u64 s[2:3], s[2:3], s[4:5]
	s_and_b32 vcc_lo, exec_lo, s17
	s_cbranch_vccz .LBB929_2
; %bb.1:
	s_clause 0x6
	global_load_b64 v[2:3], v0, s[2:3] scale_offset
	global_load_b64 v[4:5], v0, s[2:3] offset:4096 scale_offset
	global_load_b64 v[6:7], v0, s[2:3] offset:8192 scale_offset
	;; [unrolled: 1-line block ×6, first 2 shown]
	v_lshlrev_b32_e32 v16, 3, v0
	s_mov_b32 s21, 0
	s_wait_loadcnt 0x5
	ds_store_2addr_stride64_b64 v16, v[2:3], v[4:5] offset1:8
	s_wait_loadcnt 0x3
	ds_store_2addr_stride64_b64 v16, v[6:7], v[8:9] offset0:16 offset1:24
	s_wait_loadcnt 0x1
	ds_store_2addr_stride64_b64 v16, v[10:11], v[12:13] offset0:32 offset1:40
	s_wait_loadcnt 0x0
	ds_store_b64 v16, v[14:15] offset:24576
	s_wait_dscnt 0x0
	s_barrier_signal -1
	s_barrier_wait -1
.LBB929_2:
	s_and_not1_b32 vcc_lo, exec_lo, s21
	s_add_co_i32 s21, s23, 0xe00
	s_cbranch_vccnz .LBB929_18
; %bb.3:
	v_mov_b32_e32 v2, 0
	s_mov_b32 s4, exec_lo
	s_delay_alu instid0(VALU_DEP_1)
	v_dual_mov_b32 v3, v2 :: v_dual_mov_b32 v4, v2
	v_dual_mov_b32 v5, v2 :: v_dual_mov_b32 v6, v2
	;; [unrolled: 1-line block ×6, first 2 shown]
	v_mov_b32_e32 v15, v2
	v_cmpx_gt_u32_e64 s21, v0
	s_cbranch_execz .LBB929_5
; %bb.4:
	global_load_b64 v[4:5], v0, s[2:3] scale_offset
	v_dual_mov_b32 v6, v2 :: v_dual_mov_b32 v7, v2
	v_dual_mov_b32 v8, v2 :: v_dual_mov_b32 v9, v2
	;; [unrolled: 1-line block ×6, first 2 shown]
	s_wait_loadcnt 0x0
	v_mov_b64_e32 v[2:3], v[4:5]
	v_mov_b64_e32 v[4:5], v[6:7]
	;; [unrolled: 1-line block ×8, first 2 shown]
.LBB929_5:
	s_or_b32 exec_lo, exec_lo, s4
	v_or_b32_e32 v16, 0x200, v0
	s_mov_b32 s4, exec_lo
	s_delay_alu instid0(VALU_DEP_1)
	v_cmpx_gt_u32_e64 s21, v16
	s_cbranch_execz .LBB929_7
; %bb.6:
	global_load_b64 v[4:5], v0, s[2:3] offset:4096 scale_offset
.LBB929_7:
	s_wait_xcnt 0x0
	s_or_b32 exec_lo, exec_lo, s4
	v_or_b32_e32 v16, 0x400, v0
	s_mov_b32 s4, exec_lo
	s_delay_alu instid0(VALU_DEP_1)
	v_cmpx_gt_u32_e64 s21, v16
	s_cbranch_execz .LBB929_9
; %bb.8:
	global_load_b64 v[6:7], v0, s[2:3] offset:8192 scale_offset
.LBB929_9:
	s_wait_xcnt 0x0
	s_or_b32 exec_lo, exec_lo, s4
	v_or_b32_e32 v16, 0x600, v0
	s_mov_b32 s4, exec_lo
	s_delay_alu instid0(VALU_DEP_1)
	v_cmpx_gt_u32_e64 s21, v16
	s_cbranch_execz .LBB929_11
; %bb.10:
	global_load_b64 v[8:9], v0, s[2:3] offset:12288 scale_offset
.LBB929_11:
	s_wait_xcnt 0x0
	s_or_b32 exec_lo, exec_lo, s4
	v_or_b32_e32 v16, 0x800, v0
	s_mov_b32 s4, exec_lo
	s_delay_alu instid0(VALU_DEP_1)
	v_cmpx_gt_u32_e64 s21, v16
	s_cbranch_execz .LBB929_13
; %bb.12:
	global_load_b64 v[10:11], v0, s[2:3] offset:16384 scale_offset
.LBB929_13:
	s_wait_xcnt 0x0
	s_or_b32 exec_lo, exec_lo, s4
	v_or_b32_e32 v16, 0xa00, v0
	s_mov_b32 s4, exec_lo
	s_delay_alu instid0(VALU_DEP_1)
	v_cmpx_gt_u32_e64 s21, v16
	s_cbranch_execz .LBB929_15
; %bb.14:
	global_load_b64 v[12:13], v0, s[2:3] offset:20480 scale_offset
.LBB929_15:
	s_wait_xcnt 0x0
	s_or_b32 exec_lo, exec_lo, s4
	v_or_b32_e32 v16, 0xc00, v0
	s_mov_b32 s4, exec_lo
	s_delay_alu instid0(VALU_DEP_1)
	v_cmpx_gt_u32_e64 s21, v16
	s_cbranch_execz .LBB929_17
; %bb.16:
	global_load_b64 v[14:15], v0, s[2:3] offset:24576 scale_offset
.LBB929_17:
	s_wait_xcnt 0x0
	s_or_b32 exec_lo, exec_lo, s4
	v_lshlrev_b32_e32 v16, 3, v0
	s_wait_loadcnt 0x0
	ds_store_2addr_stride64_b64 v16, v[2:3], v[4:5] offset1:8
	ds_store_2addr_stride64_b64 v16, v[6:7], v[8:9] offset0:16 offset1:24
	ds_store_2addr_stride64_b64 v16, v[10:11], v[12:13] offset0:32 offset1:40
	ds_store_b64 v16, v[14:15] offset:24576
	s_wait_dscnt 0x0
	s_barrier_signal -1
	s_barrier_wait -1
.LBB929_18:
	v_mul_u32_u24_e32 v19, 7, v0
	s_cmp_lg_u32 s20, 0
	v_cmp_gt_i64_e64 s24, s[18:19], 0
	s_cselect_b32 s23, -1, 0
	v_lshlrev_b32_e32 v24, 3, v19
	s_cmp_lg_u64 s[6:7], 0
	s_mov_b32 s6, 0
	s_cselect_b32 s4, -1, 0
	ds_load_2addr_b64 v[10:13], v24 offset1:1
	ds_load_2addr_b64 v[6:9], v24 offset0:2 offset1:3
	ds_load_2addr_b64 v[2:5], v24 offset0:4 offset1:5
	ds_load_b64 v[14:15], v24 offset:48
	s_or_b32 s4, s23, s4
	s_wait_dscnt 0x0
	s_and_b32 vcc_lo, exec_lo, s4
	s_barrier_signal -1
	s_barrier_wait -1
	s_cbranch_vccz .LBB929_34
; %bb.19:
	s_add_nc_u64 s[2:3], s[2:3], -8
	v_cndmask_b32_e64 v25, 0, 1, s24
	s_load_b64 s[4:5], s[2:3], 0x0
	v_lshlrev_b32_e32 v26, 3, v0
	s_and_b32 vcc_lo, exec_lo, s17
	s_wait_xcnt 0x0
	v_cmp_ne_u32_e64 s2, 1, v25
	ds_store_b64 v26, v[14:15]
	s_cbranch_vccz .LBB929_36
; %bb.20:
	s_and_b32 vcc_lo, exec_lo, s2
	s_cbranch_vccnz .LBB929_37
; %bb.21:
	v_mul_u64_e32 v[16:17], s[18:19], v[4:5]
	v_mul_u64_e32 v[20:21], s[18:19], v[14:15]
	s_add_nc_u64 s[6:7], s[18:19], -1
	s_mov_b32 s26, 0
	s_mov_b64 s[2:3], s[6:7]
                                        ; implicit-def: $sgpr25
	s_delay_alu instid0(VALU_DEP_2) | instskip(NEXT) | instid1(VALU_DEP_2)
	v_lshl_add_u64 v[16:17], v[16:17], 2, s[8:9]
	v_lshl_add_u64 v[20:21], v[20:21], 2, s[8:9]
	s_delay_alu instid0(VALU_DEP_2)
	v_mov_b64_e32 v[22:23], v[16:17]
.LBB929_22:                             ; =>This Inner Loop Header: Depth=1
	global_load_b32 v27, v[22:23], off
	global_load_b32 v28, v[20:21], off
	s_cmp_eq_u64 s[2:3], 0
	s_add_nc_u64 s[28:29], s[2:3], -1
	s_cselect_b32 s3, -1, 0
	s_wait_xcnt 0x1
	v_add_nc_u64_e32 v[22:23], 4, v[22:23]
	s_wait_xcnt 0x0
	v_add_nc_u64_e32 v[20:21], 4, v[20:21]
	s_wait_loadcnt 0x0
	v_cmp_neq_f32_e32 vcc_lo, v27, v28
	v_cmp_eq_f32_e64 s2, v27, v28
	s_or_b32 s3, vcc_lo, s3
	s_delay_alu instid0(SALU_CYCLE_1) | instskip(NEXT) | instid1(SALU_CYCLE_1)
	s_and_b32 s3, exec_lo, s3
	s_or_b32 s26, s3, s26
	s_and_not1_b32 s25, s25, exec_lo
	s_and_b32 s27, s2, exec_lo
	s_mov_b64 s[2:3], s[28:29]
	s_or_b32 s25, s25, s27
	s_and_not1_b32 exec_lo, exec_lo, s26
	s_cbranch_execnz .LBB929_22
; %bb.23:
	s_or_b32 exec_lo, exec_lo, s26
	v_mul_u64_e32 v[20:21], s[18:19], v[2:3]
	s_mov_b32 s27, 0
	s_mov_b64 s[2:3], s[6:7]
                                        ; implicit-def: $sgpr26
	s_delay_alu instid0(VALU_DEP_1) | instskip(NEXT) | instid1(VALU_DEP_1)
	v_lshl_add_u64 v[20:21], v[20:21], 2, s[8:9]
	v_mov_b64_e32 v[22:23], v[20:21]
.LBB929_24:                             ; =>This Inner Loop Header: Depth=1
	global_load_b32 v27, v[22:23], off
	global_load_b32 v28, v[16:17], off
	s_cmp_eq_u64 s[2:3], 0
	s_add_nc_u64 s[28:29], s[2:3], -1
	s_cselect_b32 s3, -1, 0
	s_wait_xcnt 0x1
	v_add_nc_u64_e32 v[22:23], 4, v[22:23]
	s_wait_xcnt 0x0
	v_add_nc_u64_e32 v[16:17], 4, v[16:17]
	s_wait_loadcnt 0x0
	v_cmp_neq_f32_e32 vcc_lo, v27, v28
	v_cmp_eq_f32_e64 s2, v27, v28
	s_or_b32 s3, vcc_lo, s3
	s_delay_alu instid0(SALU_CYCLE_1) | instskip(NEXT) | instid1(SALU_CYCLE_1)
	s_and_b32 s3, exec_lo, s3
	s_or_b32 s27, s3, s27
	s_and_not1_b32 s26, s26, exec_lo
	s_and_b32 s30, s2, exec_lo
	s_mov_b64 s[2:3], s[28:29]
	s_or_b32 s26, s26, s30
	s_and_not1_b32 exec_lo, exec_lo, s27
	s_cbranch_execnz .LBB929_24
; %bb.25:
	s_or_b32 exec_lo, exec_lo, s27
	v_mul_u64_e32 v[16:17], s[18:19], v[8:9]
	s_mov_b32 s28, 0
	s_mov_b64 s[2:3], s[6:7]
                                        ; implicit-def: $sgpr27
	s_delay_alu instid0(VALU_DEP_1) | instskip(NEXT) | instid1(VALU_DEP_1)
	v_lshl_add_u64 v[16:17], v[16:17], 2, s[8:9]
	v_mov_b64_e32 v[22:23], v[16:17]
.LBB929_26:                             ; =>This Inner Loop Header: Depth=1
	global_load_b32 v27, v[22:23], off
	global_load_b32 v28, v[20:21], off
	s_cmp_eq_u64 s[2:3], 0
	s_add_nc_u64 s[30:31], s[2:3], -1
	s_cselect_b32 s3, -1, 0
	s_wait_xcnt 0x1
	v_add_nc_u64_e32 v[22:23], 4, v[22:23]
	s_wait_xcnt 0x0
	v_add_nc_u64_e32 v[20:21], 4, v[20:21]
	s_wait_loadcnt 0x0
	v_cmp_neq_f32_e32 vcc_lo, v27, v28
	v_cmp_eq_f32_e64 s2, v27, v28
	s_or_b32 s3, vcc_lo, s3
	s_delay_alu instid0(SALU_CYCLE_1) | instskip(NEXT) | instid1(SALU_CYCLE_1)
	s_and_b32 s3, exec_lo, s3
	s_or_b32 s28, s3, s28
	s_and_not1_b32 s27, s27, exec_lo
	s_and_b32 s29, s2, exec_lo
	s_mov_b64 s[2:3], s[30:31]
	s_or_b32 s27, s27, s29
	s_and_not1_b32 exec_lo, exec_lo, s28
	s_cbranch_execnz .LBB929_26
; %bb.27:
	s_or_b32 exec_lo, exec_lo, s28
	v_mul_u64_e32 v[20:21], s[18:19], v[6:7]
	s_mov_b32 s29, 0
	s_mov_b64 s[2:3], s[6:7]
                                        ; implicit-def: $sgpr28
	s_delay_alu instid0(VALU_DEP_1) | instskip(NEXT) | instid1(VALU_DEP_1)
	v_lshl_add_u64 v[20:21], v[20:21], 2, s[8:9]
	v_mov_b64_e32 v[22:23], v[20:21]
.LBB929_28:                             ; =>This Inner Loop Header: Depth=1
	global_load_b32 v27, v[22:23], off
	global_load_b32 v28, v[16:17], off
	s_cmp_eq_u64 s[2:3], 0
	s_add_nc_u64 s[30:31], s[2:3], -1
	s_cselect_b32 s3, -1, 0
	s_wait_xcnt 0x1
	v_add_nc_u64_e32 v[22:23], 4, v[22:23]
	s_wait_xcnt 0x0
	v_add_nc_u64_e32 v[16:17], 4, v[16:17]
	s_wait_loadcnt 0x0
	v_cmp_neq_f32_e32 vcc_lo, v27, v28
	v_cmp_eq_f32_e64 s2, v27, v28
	s_or_b32 s3, vcc_lo, s3
	s_delay_alu instid0(SALU_CYCLE_1) | instskip(NEXT) | instid1(SALU_CYCLE_1)
	s_and_b32 s3, exec_lo, s3
	s_or_b32 s29, s3, s29
	s_and_not1_b32 s28, s28, exec_lo
	s_and_b32 s33, s2, exec_lo
	s_mov_b64 s[2:3], s[30:31]
	s_or_b32 s28, s28, s33
	s_and_not1_b32 exec_lo, exec_lo, s29
	s_cbranch_execnz .LBB929_28
; %bb.29:
	s_or_b32 exec_lo, exec_lo, s29
	v_mul_u64_e32 v[16:17], s[18:19], v[12:13]
	s_mov_b32 s30, 0
	s_mov_b64 s[2:3], s[6:7]
                                        ; implicit-def: $sgpr29
	s_delay_alu instid0(VALU_DEP_1) | instskip(NEXT) | instid1(VALU_DEP_1)
	v_lshl_add_u64 v[16:17], v[16:17], 2, s[8:9]
	v_mov_b64_e32 v[22:23], v[16:17]
.LBB929_30:                             ; =>This Inner Loop Header: Depth=1
	global_load_b32 v27, v[22:23], off
	global_load_b32 v28, v[20:21], off
	s_cmp_eq_u64 s[2:3], 0
	s_add_nc_u64 s[34:35], s[2:3], -1
	s_cselect_b32 s3, -1, 0
	s_wait_xcnt 0x1
	v_add_nc_u64_e32 v[22:23], 4, v[22:23]
	s_wait_xcnt 0x0
	v_add_nc_u64_e32 v[20:21], 4, v[20:21]
	s_wait_loadcnt 0x0
	v_cmp_neq_f32_e32 vcc_lo, v27, v28
	v_cmp_eq_f32_e64 s2, v27, v28
	s_or_b32 s3, vcc_lo, s3
	s_delay_alu instid0(SALU_CYCLE_1) | instskip(NEXT) | instid1(SALU_CYCLE_1)
	s_and_b32 s3, exec_lo, s3
	s_or_b32 s30, s3, s30
	s_and_not1_b32 s29, s29, exec_lo
	s_and_b32 s31, s2, exec_lo
	s_mov_b64 s[2:3], s[34:35]
	s_or_b32 s29, s29, s31
	s_and_not1_b32 exec_lo, exec_lo, s30
	s_cbranch_execnz .LBB929_30
; %bb.31:
	s_or_b32 exec_lo, exec_lo, s30
	v_mul_u64_e32 v[20:21], s[18:19], v[10:11]
	s_mov_b32 s30, 0
                                        ; implicit-def: $sgpr3
	s_delay_alu instid0(VALU_DEP_1)
	v_lshl_add_u64 v[20:21], v[20:21], 2, s[8:9]
.LBB929_32:                             ; =>This Inner Loop Header: Depth=1
	global_load_b32 v22, v[20:21], off
	global_load_b32 v23, v[16:17], off
	s_cmp_eq_u64 s[6:7], 0
	s_add_nc_u64 s[34:35], s[6:7], -1
	s_cselect_b32 s6, -1, 0
	s_wait_xcnt 0x1
	v_add_nc_u64_e32 v[20:21], 4, v[20:21]
	s_wait_xcnt 0x0
	v_add_nc_u64_e32 v[16:17], 4, v[16:17]
	s_wait_loadcnt 0x0
	v_cmp_neq_f32_e32 vcc_lo, v22, v23
	v_cmp_eq_f32_e64 s2, v22, v23
	s_or_b32 s6, vcc_lo, s6
	s_delay_alu instid0(SALU_CYCLE_1) | instskip(NEXT) | instid1(SALU_CYCLE_1)
	s_and_b32 s6, exec_lo, s6
	s_or_b32 s30, s6, s30
	s_and_not1_b32 s3, s3, exec_lo
	s_and_b32 s2, s2, exec_lo
	s_mov_b64 s[6:7], s[34:35]
	s_or_b32 s3, s3, s2
	s_and_not1_b32 exec_lo, exec_lo, s30
	s_cbranch_execnz .LBB929_32
; %bb.33:
	s_or_b32 exec_lo, exec_lo, s30
	s_xor_b32 s2, s28, -1
	s_xor_b32 s3, s3, -1
	v_cndmask_b32_e64 v16, 0, 1, s2
	s_xor_b32 s2, s29, -1
	s_delay_alu instid0(SALU_CYCLE_1) | instskip(SKIP_1) | instid1(VALU_DEP_2)
	v_cndmask_b32_e64 v17, 0, 1, s2
	s_xor_b32 s2, s26, -1
	v_lshlrev_b16 v16, 8, v16
	v_cndmask_b32_e64 v31, 0, 1, s2
	s_xor_b32 s2, s25, -1
	s_delay_alu instid0(SALU_CYCLE_1) | instskip(NEXT) | instid1(VALU_DEP_3)
	v_cndmask_b32_e64 v30, 0, 1, s2
	v_lshrrev_b32_e32 v16, 8, v16
	s_xor_b32 s2, s27, -1
	s_delay_alu instid0(VALU_DEP_1) | instskip(NEXT) | instid1(VALU_DEP_1)
	v_and_b32_e32 v16, 1, v16
	v_lshlrev_b16 v16, 8, v16
	s_delay_alu instid0(VALU_DEP_1) | instskip(SKIP_1) | instid1(VALU_DEP_2)
	v_or_b32_e32 v16, v17, v16
	v_cndmask_b32_e64 v17, 0, 1, s2
	v_lshlrev_b32_e32 v16, 16, v16
	s_branch .LBB929_38
.LBB929_34:
                                        ; implicit-def: $sgpr2
                                        ; implicit-def: $vgpr30
                                        ; implicit-def: $vgpr31
                                        ; implicit-def: $vgpr17
                                        ; implicit-def: $vgpr21
	s_branch .LBB929_91
.LBB929_35:
                                        ; implicit-def: $vgpr33
                                        ; implicit-def: $vgpr32
                                        ; implicit-def: $vgpr20
	s_branch .LBB929_160
.LBB929_36:
                                        ; implicit-def: $sgpr2
                                        ; implicit-def: $vgpr30
                                        ; implicit-def: $vgpr31
                                        ; implicit-def: $vgpr17
                                        ; implicit-def: $vgpr21
	s_cbranch_execnz .LBB929_45
	s_branch .LBB929_90
.LBB929_37:
	v_dual_mov_b32 v16, 0 :: v_dual_mov_b32 v30, 0
	v_dual_mov_b32 v31, 0 :: v_dual_mov_b32 v17, 0
	s_mov_b32 s3, 0
.LBB929_38:
	s_wait_kmcnt 0x0
	v_mov_b64_e32 v[20:21], s[4:5]
	s_mov_b32 s2, 0
	s_mov_b32 s6, exec_lo
	s_wait_dscnt 0x0
	s_barrier_signal -1
	s_barrier_wait -1
	v_cmpx_ne_u32_e32 0, v0
; %bb.39:
	v_add_nc_u32_e32 v20, -8, v26
	ds_load_b64 v[20:21], v20
; %bb.40:
	s_or_b32 exec_lo, exec_lo, s6
	v_cndmask_b32_e64 v22, 0, 1, s3
	v_lshrrev_b32_e32 v23, 16, v16
	s_and_not1_b32 vcc_lo, exec_lo, s24
	s_delay_alu instid0(VALU_DEP_2) | instskip(NEXT) | instid1(VALU_DEP_1)
	v_lshlrev_b16 v22, 8, v22
	v_bitop3_b16 v22, v16, v22, 0xff bitop3:0xec
	s_delay_alu instid0(VALU_DEP_3) | instskip(NEXT) | instid1(VALU_DEP_2)
	v_perm_b32 v16, v23, v16, 0xc0c0304
	v_and_b32_e32 v27, 0xffff, v22
	s_cbranch_vccnz .LBB929_44
; %bb.41:
	s_wait_dscnt 0x0
	v_mul_u64_e32 v[20:21], s[18:19], v[20:21]
	v_mul_u64_e32 v[22:23], s[18:19], v[10:11]
	s_add_nc_u64 s[2:3], s[18:19], -1
	s_mov_b32 s6, 0
                                        ; implicit-def: $sgpr7
	s_delay_alu instid0(VALU_DEP_2) | instskip(NEXT) | instid1(VALU_DEP_2)
	v_lshl_add_u64 v[20:21], v[20:21], 2, s[8:9]
	v_lshl_add_u64 v[22:23], v[22:23], 2, s[8:9]
.LBB929_42:                             ; =>This Inner Loop Header: Depth=1
	global_load_b32 v28, v[20:21], off
	global_load_b32 v29, v[22:23], off
	s_cmp_eq_u64 s[2:3], 0
	s_add_nc_u64 s[26:27], s[2:3], -1
	s_cselect_b32 s3, -1, 0
	s_wait_xcnt 0x1
	v_add_nc_u64_e32 v[20:21], 4, v[20:21]
	s_wait_xcnt 0x0
	v_add_nc_u64_e32 v[22:23], 4, v[22:23]
	s_wait_loadcnt 0x0
	v_cmp_neq_f32_e32 vcc_lo, v28, v29
	v_cmp_eq_f32_e64 s2, v28, v29
	s_or_b32 s3, vcc_lo, s3
	s_delay_alu instid0(SALU_CYCLE_1) | instskip(NEXT) | instid1(SALU_CYCLE_1)
	s_and_b32 s3, exec_lo, s3
	s_or_b32 s6, s3, s6
	s_and_not1_b32 s7, s7, exec_lo
	s_and_b32 s25, s2, exec_lo
	s_mov_b64 s[2:3], s[26:27]
	s_or_b32 s7, s7, s25
	s_and_not1_b32 exec_lo, exec_lo, s6
	s_cbranch_execnz .LBB929_42
; %bb.43:
	s_or_b32 exec_lo, exec_lo, s6
	s_xor_b32 s2, s7, -1
.LBB929_44:
	s_wait_dscnt 0x0
	s_delay_alu instid0(VALU_DEP_1)
	v_lshl_or_b32 v21, v16, 16, v27
	s_branch .LBB929_90
.LBB929_45:
	v_add_nc_u32_e32 v16, 6, v19
	s_mov_b32 s7, 0
	s_mov_b32 s6, 0
	s_mov_b32 s25, exec_lo
	s_delay_alu instid0(VALU_DEP_1)
	v_cmpx_gt_u32_e64 s21, v16
	s_cbranch_execz .LBB929_51
; %bb.46:
	s_and_not1_b32 vcc_lo, exec_lo, s24
	s_mov_b32 s2, 0
	s_cbranch_vccnz .LBB929_50
; %bb.47:
	v_mul_u64_e32 v[16:17], s[18:19], v[4:5]
	v_mul_u64_e32 v[20:21], s[18:19], v[14:15]
	s_add_nc_u64 s[2:3], s[18:19], -1
                                        ; implicit-def: $sgpr24
	s_delay_alu instid0(VALU_DEP_2) | instskip(NEXT) | instid1(VALU_DEP_2)
	v_lshl_add_u64 v[16:17], v[16:17], 2, s[8:9]
	v_lshl_add_u64 v[20:21], v[20:21], 2, s[8:9]
.LBB929_48:                             ; =>This Inner Loop Header: Depth=1
	global_load_b32 v22, v[16:17], off
	global_load_b32 v23, v[20:21], off
	s_cmp_eq_u64 s[2:3], 0
	s_add_nc_u64 s[26:27], s[2:3], -1
	s_cselect_b32 s3, -1, 0
	s_wait_xcnt 0x1
	v_add_nc_u64_e32 v[16:17], 4, v[16:17]
	s_wait_xcnt 0x0
	v_add_nc_u64_e32 v[20:21], 4, v[20:21]
	s_wait_loadcnt 0x0
	v_cmp_neq_f32_e32 vcc_lo, v22, v23
	v_cmp_eq_f32_e64 s2, v22, v23
	s_or_b32 s3, vcc_lo, s3
	s_delay_alu instid0(SALU_CYCLE_1) | instskip(NEXT) | instid1(SALU_CYCLE_1)
	s_and_b32 s3, exec_lo, s3
	s_or_b32 s6, s3, s6
	s_and_not1_b32 s24, s24, exec_lo
	s_and_b32 s28, s2, exec_lo
	s_mov_b64 s[2:3], s[26:27]
	s_or_b32 s24, s24, s28
	s_and_not1_b32 exec_lo, exec_lo, s6
	s_cbranch_execnz .LBB929_48
; %bb.49:
	s_or_b32 exec_lo, exec_lo, s6
	s_xor_b32 s2, s24, -1
.LBB929_50:
	s_delay_alu instid0(SALU_CYCLE_1)
	s_and_b32 s6, s2, exec_lo
.LBB929_51:
	s_or_b32 exec_lo, exec_lo, s25
	v_add_nc_u32_e32 v16, 5, v19
	s_mov_b32 s24, exec_lo
	s_delay_alu instid0(VALU_DEP_1)
	v_cmpx_gt_u32_e64 s21, v16
	s_cbranch_execz .LBB929_57
; %bb.52:
	v_cmp_ne_u32_e32 vcc_lo, 1, v25
	s_mov_b32 s2, 0
	s_cbranch_vccnz .LBB929_56
; %bb.53:
	v_mul_u64_e32 v[16:17], s[18:19], v[2:3]
	v_mul_u64_e32 v[20:21], s[18:19], v[4:5]
	s_add_nc_u64 s[2:3], s[18:19], -1
	s_mov_b32 s7, 0
                                        ; implicit-def: $sgpr25
	s_delay_alu instid0(VALU_DEP_2) | instskip(NEXT) | instid1(VALU_DEP_2)
	v_lshl_add_u64 v[16:17], v[16:17], 2, s[8:9]
	v_lshl_add_u64 v[20:21], v[20:21], 2, s[8:9]
.LBB929_54:                             ; =>This Inner Loop Header: Depth=1
	global_load_b32 v22, v[16:17], off
	global_load_b32 v23, v[20:21], off
	s_cmp_eq_u64 s[2:3], 0
	s_add_nc_u64 s[26:27], s[2:3], -1
	s_cselect_b32 s3, -1, 0
	s_wait_xcnt 0x1
	v_add_nc_u64_e32 v[16:17], 4, v[16:17]
	s_wait_xcnt 0x0
	v_add_nc_u64_e32 v[20:21], 4, v[20:21]
	s_wait_loadcnt 0x0
	v_cmp_neq_f32_e32 vcc_lo, v22, v23
	v_cmp_eq_f32_e64 s2, v22, v23
	s_or_b32 s3, vcc_lo, s3
	s_delay_alu instid0(SALU_CYCLE_1) | instskip(NEXT) | instid1(SALU_CYCLE_1)
	s_and_b32 s3, exec_lo, s3
	s_or_b32 s7, s3, s7
	s_and_not1_b32 s25, s25, exec_lo
	s_and_b32 s28, s2, exec_lo
	s_mov_b64 s[2:3], s[26:27]
	s_or_b32 s25, s25, s28
	s_and_not1_b32 exec_lo, exec_lo, s7
	s_cbranch_execnz .LBB929_54
; %bb.55:
	s_or_b32 exec_lo, exec_lo, s7
	s_xor_b32 s2, s25, -1
.LBB929_56:
	s_delay_alu instid0(SALU_CYCLE_1)
	s_and_b32 s7, s2, exec_lo
.LBB929_57:
	s_or_b32 exec_lo, exec_lo, s24
	v_add_nc_u32_e32 v16, 4, v19
	s_mov_b32 s25, 0
	s_mov_b32 s24, 0
	s_mov_b32 s26, exec_lo
	s_delay_alu instid0(VALU_DEP_1)
	v_cmpx_gt_u32_e64 s21, v16
	s_cbranch_execz .LBB929_63
; %bb.58:
	v_cmp_ne_u32_e32 vcc_lo, 1, v25
	s_mov_b32 s2, 0
	s_cbranch_vccnz .LBB929_62
; %bb.59:
	v_mul_u64_e32 v[16:17], s[18:19], v[8:9]
	v_mul_u64_e32 v[20:21], s[18:19], v[2:3]
	s_add_nc_u64 s[2:3], s[18:19], -1
                                        ; implicit-def: $sgpr27
	s_delay_alu instid0(VALU_DEP_2) | instskip(NEXT) | instid1(VALU_DEP_2)
	v_lshl_add_u64 v[16:17], v[16:17], 2, s[8:9]
	v_lshl_add_u64 v[20:21], v[20:21], 2, s[8:9]
.LBB929_60:                             ; =>This Inner Loop Header: Depth=1
	global_load_b32 v22, v[16:17], off
	global_load_b32 v23, v[20:21], off
	s_cmp_eq_u64 s[2:3], 0
	s_add_nc_u64 s[28:29], s[2:3], -1
	s_cselect_b32 s3, -1, 0
	s_wait_xcnt 0x1
	v_add_nc_u64_e32 v[16:17], 4, v[16:17]
	s_wait_xcnt 0x0
	v_add_nc_u64_e32 v[20:21], 4, v[20:21]
	s_wait_loadcnt 0x0
	v_cmp_neq_f32_e32 vcc_lo, v22, v23
	v_cmp_eq_f32_e64 s2, v22, v23
	s_or_b32 s3, vcc_lo, s3
	s_delay_alu instid0(SALU_CYCLE_1) | instskip(NEXT) | instid1(SALU_CYCLE_1)
	s_and_b32 s3, exec_lo, s3
	s_or_b32 s24, s3, s24
	s_and_not1_b32 s27, s27, exec_lo
	s_and_b32 s30, s2, exec_lo
	s_mov_b64 s[2:3], s[28:29]
	s_or_b32 s27, s27, s30
	s_and_not1_b32 exec_lo, exec_lo, s24
	s_cbranch_execnz .LBB929_60
; %bb.61:
	s_or_b32 exec_lo, exec_lo, s24
	s_xor_b32 s2, s27, -1
.LBB929_62:
	s_delay_alu instid0(SALU_CYCLE_1)
	s_and_b32 s24, s2, exec_lo
.LBB929_63:
	s_or_b32 exec_lo, exec_lo, s26
	v_add_nc_u32_e32 v16, 3, v19
	s_mov_b32 s26, exec_lo
	s_delay_alu instid0(VALU_DEP_1)
	v_cmpx_gt_u32_e64 s21, v16
	s_cbranch_execz .LBB929_69
; %bb.64:
	v_cmp_ne_u32_e32 vcc_lo, 1, v25
	s_mov_b32 s2, 0
	s_cbranch_vccnz .LBB929_68
; %bb.65:
	v_mul_u64_e32 v[16:17], s[18:19], v[6:7]
	v_mul_u64_e32 v[20:21], s[18:19], v[8:9]
	s_add_nc_u64 s[2:3], s[18:19], -1
	s_mov_b32 s25, 0
                                        ; implicit-def: $sgpr27
	s_delay_alu instid0(VALU_DEP_2) | instskip(NEXT) | instid1(VALU_DEP_2)
	v_lshl_add_u64 v[16:17], v[16:17], 2, s[8:9]
	v_lshl_add_u64 v[20:21], v[20:21], 2, s[8:9]
.LBB929_66:                             ; =>This Inner Loop Header: Depth=1
	global_load_b32 v22, v[16:17], off
	global_load_b32 v23, v[20:21], off
	s_cmp_eq_u64 s[2:3], 0
	s_add_nc_u64 s[28:29], s[2:3], -1
	s_cselect_b32 s3, -1, 0
	s_wait_xcnt 0x1
	v_add_nc_u64_e32 v[16:17], 4, v[16:17]
	s_wait_xcnt 0x0
	v_add_nc_u64_e32 v[20:21], 4, v[20:21]
	s_wait_loadcnt 0x0
	v_cmp_neq_f32_e32 vcc_lo, v22, v23
	v_cmp_eq_f32_e64 s2, v22, v23
	s_or_b32 s3, vcc_lo, s3
	s_delay_alu instid0(SALU_CYCLE_1) | instskip(NEXT) | instid1(SALU_CYCLE_1)
	s_and_b32 s3, exec_lo, s3
	s_or_b32 s25, s3, s25
	s_and_not1_b32 s27, s27, exec_lo
	s_and_b32 s30, s2, exec_lo
	s_mov_b64 s[2:3], s[28:29]
	s_or_b32 s27, s27, s30
	s_and_not1_b32 exec_lo, exec_lo, s25
	s_cbranch_execnz .LBB929_66
; %bb.67:
	s_or_b32 exec_lo, exec_lo, s25
	s_xor_b32 s2, s27, -1
.LBB929_68:
	s_delay_alu instid0(SALU_CYCLE_1)
	s_and_b32 s25, s2, exec_lo
.LBB929_69:
	s_or_b32 exec_lo, exec_lo, s26
	v_add_nc_u32_e32 v16, 2, v19
	s_mov_b32 s26, 0
	s_mov_b32 s27, 0
	s_mov_b32 s28, exec_lo
	s_delay_alu instid0(VALU_DEP_1)
	v_cmpx_gt_u32_e64 s21, v16
	s_cbranch_execz .LBB929_75
; %bb.70:
	v_cmp_ne_u32_e32 vcc_lo, 1, v25
	s_mov_b32 s2, 0
	s_cbranch_vccnz .LBB929_74
; %bb.71:
	v_mul_u64_e32 v[16:17], s[18:19], v[12:13]
	v_mul_u64_e32 v[20:21], s[18:19], v[6:7]
	s_add_nc_u64 s[2:3], s[18:19], -1
                                        ; implicit-def: $sgpr29
	s_delay_alu instid0(VALU_DEP_2) | instskip(NEXT) | instid1(VALU_DEP_2)
	v_lshl_add_u64 v[16:17], v[16:17], 2, s[8:9]
	v_lshl_add_u64 v[20:21], v[20:21], 2, s[8:9]
.LBB929_72:                             ; =>This Inner Loop Header: Depth=1
	global_load_b32 v22, v[16:17], off
	global_load_b32 v23, v[20:21], off
	s_cmp_eq_u64 s[2:3], 0
	s_add_nc_u64 s[30:31], s[2:3], -1
	s_cselect_b32 s3, -1, 0
	s_wait_xcnt 0x1
	v_add_nc_u64_e32 v[16:17], 4, v[16:17]
	s_wait_xcnt 0x0
	v_add_nc_u64_e32 v[20:21], 4, v[20:21]
	s_wait_loadcnt 0x0
	v_cmp_neq_f32_e32 vcc_lo, v22, v23
	v_cmp_eq_f32_e64 s2, v22, v23
	s_or_b32 s3, vcc_lo, s3
	s_delay_alu instid0(SALU_CYCLE_1) | instskip(NEXT) | instid1(SALU_CYCLE_1)
	s_and_b32 s3, exec_lo, s3
	s_or_b32 s27, s3, s27
	s_and_not1_b32 s29, s29, exec_lo
	s_and_b32 s33, s2, exec_lo
	s_mov_b64 s[2:3], s[30:31]
	s_or_b32 s29, s29, s33
	s_and_not1_b32 exec_lo, exec_lo, s27
	s_cbranch_execnz .LBB929_72
; %bb.73:
	s_or_b32 exec_lo, exec_lo, s27
	s_xor_b32 s2, s29, -1
.LBB929_74:
	s_delay_alu instid0(SALU_CYCLE_1)
	s_and_b32 s27, s2, exec_lo
.LBB929_75:
	s_or_b32 exec_lo, exec_lo, s28
	v_add_nc_u32_e32 v16, 1, v19
	s_mov_b32 s28, exec_lo
	s_delay_alu instid0(VALU_DEP_1)
	v_cmpx_gt_u32_e64 s21, v16
	s_cbranch_execz .LBB929_81
; %bb.76:
	v_cmp_ne_u32_e32 vcc_lo, 1, v25
	s_mov_b32 s2, 0
	s_cbranch_vccnz .LBB929_80
; %bb.77:
	v_mul_u64_e32 v[16:17], s[18:19], v[10:11]
	v_mul_u64_e32 v[20:21], s[18:19], v[12:13]
	s_add_nc_u64 s[2:3], s[18:19], -1
	s_mov_b32 s26, 0
                                        ; implicit-def: $sgpr29
	s_delay_alu instid0(VALU_DEP_2) | instskip(NEXT) | instid1(VALU_DEP_2)
	v_lshl_add_u64 v[16:17], v[16:17], 2, s[8:9]
	v_lshl_add_u64 v[20:21], v[20:21], 2, s[8:9]
.LBB929_78:                             ; =>This Inner Loop Header: Depth=1
	global_load_b32 v22, v[16:17], off
	global_load_b32 v23, v[20:21], off
	s_cmp_eq_u64 s[2:3], 0
	s_add_nc_u64 s[30:31], s[2:3], -1
	s_cselect_b32 s3, -1, 0
	s_wait_xcnt 0x1
	v_add_nc_u64_e32 v[16:17], 4, v[16:17]
	s_wait_xcnt 0x0
	v_add_nc_u64_e32 v[20:21], 4, v[20:21]
	s_wait_loadcnt 0x0
	v_cmp_neq_f32_e32 vcc_lo, v22, v23
	v_cmp_eq_f32_e64 s2, v22, v23
	s_or_b32 s3, vcc_lo, s3
	s_delay_alu instid0(SALU_CYCLE_1) | instskip(NEXT) | instid1(SALU_CYCLE_1)
	s_and_b32 s3, exec_lo, s3
	s_or_b32 s26, s3, s26
	s_and_not1_b32 s29, s29, exec_lo
	s_and_b32 s33, s2, exec_lo
	s_mov_b64 s[2:3], s[30:31]
	s_or_b32 s29, s29, s33
	s_and_not1_b32 exec_lo, exec_lo, s26
	s_cbranch_execnz .LBB929_78
; %bb.79:
	s_or_b32 exec_lo, exec_lo, s26
	s_xor_b32 s2, s29, -1
.LBB929_80:
	s_delay_alu instid0(SALU_CYCLE_1)
	s_and_b32 s26, s2, exec_lo
.LBB929_81:
	s_or_b32 exec_lo, exec_lo, s28
	s_wait_kmcnt 0x0
	v_mov_b64_e32 v[16:17], s[4:5]
	s_mov_b32 s2, 0
	s_mov_b32 s3, exec_lo
	s_wait_dscnt 0x0
	s_barrier_signal -1
	s_barrier_wait -1
	v_cmpx_ne_u32_e32 0, v0
; %bb.82:
	v_add_nc_u32_e32 v16, -8, v26
	ds_load_b64 v[16:17], v16
; %bb.83:
	s_or_b32 exec_lo, exec_lo, s3
	v_cndmask_b32_e64 v20, 0, 1, s25
	v_cndmask_b32_e64 v21, 0, 1, s27
	;; [unrolled: 1-line block ×3, first 2 shown]
	s_mov_b32 s4, exec_lo
	s_delay_alu instid0(VALU_DEP_3) | instskip(NEXT) | instid1(VALU_DEP_2)
	v_lshlrev_b16 v20, 8, v20
	v_lshlrev_b16 v22, 8, v22
	s_delay_alu instid0(VALU_DEP_2) | instskip(NEXT) | instid1(VALU_DEP_2)
	v_or_b32_e32 v20, v21, v20
	v_and_b32_e32 v22, 0xffff, v22
	s_delay_alu instid0(VALU_DEP_2)
	v_lshlrev_b32_e32 v23, 16, v20
	v_cmpx_gt_u32_e64 s21, v19
	s_cbranch_execz .LBB929_89
; %bb.84:
	v_cmp_ne_u32_e32 vcc_lo, 1, v25
	s_cbranch_vccnz .LBB929_88
; %bb.85:
	s_wait_dscnt 0x0
	v_mul_u64_e32 v[16:17], s[18:19], v[16:17]
	v_mul_u64_e32 v[20:21], s[18:19], v[10:11]
	s_add_nc_u64 s[2:3], s[18:19], -1
	s_mov_b32 s5, 0
                                        ; implicit-def: $sgpr25
	s_delay_alu instid0(VALU_DEP_2) | instskip(NEXT) | instid1(VALU_DEP_2)
	v_lshl_add_u64 v[16:17], v[16:17], 2, s[8:9]
	v_lshl_add_u64 v[20:21], v[20:21], 2, s[8:9]
.LBB929_86:                             ; =>This Inner Loop Header: Depth=1
	global_load_b32 v25, v[16:17], off
	global_load_b32 v26, v[20:21], off
	s_cmp_eq_u64 s[2:3], 0
	s_add_nc_u64 s[26:27], s[2:3], -1
	s_cselect_b32 s3, -1, 0
	s_wait_xcnt 0x1
	v_add_nc_u64_e32 v[16:17], 4, v[16:17]
	s_wait_xcnt 0x0
	v_add_nc_u64_e32 v[20:21], 4, v[20:21]
	s_wait_loadcnt 0x0
	v_cmp_neq_f32_e32 vcc_lo, v25, v26
	v_cmp_eq_f32_e64 s2, v25, v26
	s_or_b32 s3, vcc_lo, s3
	s_delay_alu instid0(SALU_CYCLE_1) | instskip(NEXT) | instid1(SALU_CYCLE_1)
	s_and_b32 s3, exec_lo, s3
	s_or_b32 s5, s3, s5
	s_and_not1_b32 s25, s25, exec_lo
	s_and_b32 s28, s2, exec_lo
	s_mov_b64 s[2:3], s[26:27]
	s_or_b32 s25, s25, s28
	s_and_not1_b32 exec_lo, exec_lo, s5
	s_cbranch_execnz .LBB929_86
; %bb.87:
	s_or_b32 exec_lo, exec_lo, s5
	s_xor_b32 s2, s25, -1
.LBB929_88:
	s_delay_alu instid0(SALU_CYCLE_1)
	s_and_b32 s2, s2, exec_lo
.LBB929_89:
	s_or_b32 exec_lo, exec_lo, s4
	s_wait_dscnt 0x0
	v_cndmask_b32_e64 v17, 0, 1, s24
	v_cndmask_b32_e64 v31, 0, 1, s7
	;; [unrolled: 1-line block ×3, first 2 shown]
	v_or_b32_e32 v21, v22, v23
.LBB929_90:
	s_mov_b32 s6, -1
	s_cbranch_execnz .LBB929_35
.LBB929_91:
	v_cmp_gt_i64_e64 s7, s[18:19], 0
	v_mad_i32_i24 v26, 0xffffffd0, v0, v24
	s_and_b32 vcc_lo, exec_lo, s17
	ds_store_b64 v26, v[14:15]
	s_cbranch_vccz .LBB929_106
; %bb.92:
	s_and_not1_b32 vcc_lo, exec_lo, s7
	s_cbranch_vccnz .LBB929_107
; %bb.93:
	v_mul_u64_e32 v[16:17], s[18:19], v[4:5]
	v_mul_u64_e32 v[20:21], s[18:19], v[14:15]
	s_wait_kmcnt 0x0
	s_add_nc_u64 s[4:5], s[18:19], -1
	s_mov_b32 s25, 0
	s_mov_b64 s[2:3], s[4:5]
                                        ; implicit-def: $sgpr24
	s_delay_alu instid0(VALU_DEP_2) | instskip(NEXT) | instid1(VALU_DEP_2)
	v_lshl_add_u64 v[16:17], v[16:17], 2, s[8:9]
	v_lshl_add_u64 v[20:21], v[20:21], 2, s[8:9]
	s_delay_alu instid0(VALU_DEP_2)
	v_mov_b64_e32 v[22:23], v[16:17]
.LBB929_94:                             ; =>This Inner Loop Header: Depth=1
	global_load_b32 v24, v[22:23], off
	global_load_b32 v25, v[20:21], off
	s_cmp_eq_u64 s[2:3], 0
	s_add_nc_u64 s[26:27], s[2:3], -1
	s_cselect_b32 s3, -1, 0
	s_wait_xcnt 0x1
	v_add_nc_u64_e32 v[22:23], 4, v[22:23]
	s_wait_xcnt 0x0
	v_add_nc_u64_e32 v[20:21], 4, v[20:21]
	s_wait_loadcnt 0x0
	v_cmp_neq_f32_e32 vcc_lo, v24, v25
	v_cmp_eq_f32_e64 s2, v24, v25
	s_or_b32 s3, vcc_lo, s3
	s_delay_alu instid0(SALU_CYCLE_1) | instskip(NEXT) | instid1(SALU_CYCLE_1)
	s_and_b32 s3, exec_lo, s3
	s_or_b32 s25, s3, s25
	s_and_not1_b32 s24, s24, exec_lo
	s_and_b32 s28, s2, exec_lo
	s_mov_b64 s[2:3], s[26:27]
	s_or_b32 s24, s24, s28
	s_and_not1_b32 exec_lo, exec_lo, s25
	s_cbranch_execnz .LBB929_94
; %bb.95:
	s_or_b32 exec_lo, exec_lo, s25
	v_mul_u64_e32 v[20:21], s[18:19], v[2:3]
	s_mov_b32 s26, 0
	s_mov_b64 s[2:3], s[4:5]
                                        ; implicit-def: $sgpr25
	s_delay_alu instid0(VALU_DEP_1) | instskip(NEXT) | instid1(VALU_DEP_1)
	v_lshl_add_u64 v[20:21], v[20:21], 2, s[8:9]
	v_mov_b64_e32 v[22:23], v[20:21]
.LBB929_96:                             ; =>This Inner Loop Header: Depth=1
	global_load_b32 v24, v[22:23], off
	global_load_b32 v25, v[16:17], off
	s_cmp_eq_u64 s[2:3], 0
	s_add_nc_u64 s[28:29], s[2:3], -1
	s_cselect_b32 s3, -1, 0
	s_wait_xcnt 0x1
	v_add_nc_u64_e32 v[22:23], 4, v[22:23]
	s_wait_xcnt 0x0
	v_add_nc_u64_e32 v[16:17], 4, v[16:17]
	s_wait_loadcnt 0x0
	v_cmp_neq_f32_e32 vcc_lo, v24, v25
	v_cmp_eq_f32_e64 s2, v24, v25
	s_or_b32 s3, vcc_lo, s3
	s_delay_alu instid0(SALU_CYCLE_1) | instskip(NEXT) | instid1(SALU_CYCLE_1)
	s_and_b32 s3, exec_lo, s3
	s_or_b32 s26, s3, s26
	s_and_not1_b32 s25, s25, exec_lo
	s_and_b32 s27, s2, exec_lo
	s_mov_b64 s[2:3], s[28:29]
	s_or_b32 s25, s25, s27
	s_and_not1_b32 exec_lo, exec_lo, s26
	s_cbranch_execnz .LBB929_96
; %bb.97:
	s_or_b32 exec_lo, exec_lo, s26
	v_mul_u64_e32 v[16:17], s[18:19], v[8:9]
	s_mov_b32 s27, 0
	s_mov_b64 s[2:3], s[4:5]
                                        ; implicit-def: $sgpr26
	s_delay_alu instid0(VALU_DEP_1) | instskip(NEXT) | instid1(VALU_DEP_1)
	v_lshl_add_u64 v[16:17], v[16:17], 2, s[8:9]
	v_mov_b64_e32 v[22:23], v[16:17]
.LBB929_98:                             ; =>This Inner Loop Header: Depth=1
	global_load_b32 v24, v[22:23], off
	global_load_b32 v25, v[20:21], off
	s_cmp_eq_u64 s[2:3], 0
	s_add_nc_u64 s[28:29], s[2:3], -1
	s_cselect_b32 s3, -1, 0
	s_wait_xcnt 0x1
	v_add_nc_u64_e32 v[22:23], 4, v[22:23]
	s_wait_xcnt 0x0
	v_add_nc_u64_e32 v[20:21], 4, v[20:21]
	s_wait_loadcnt 0x0
	v_cmp_neq_f32_e32 vcc_lo, v24, v25
	v_cmp_eq_f32_e64 s2, v24, v25
	s_or_b32 s3, vcc_lo, s3
	s_delay_alu instid0(SALU_CYCLE_1) | instskip(NEXT) | instid1(SALU_CYCLE_1)
	s_and_b32 s3, exec_lo, s3
	s_or_b32 s27, s3, s27
	s_and_not1_b32 s26, s26, exec_lo
	s_and_b32 s30, s2, exec_lo
	s_mov_b64 s[2:3], s[28:29]
	s_or_b32 s26, s26, s30
	s_and_not1_b32 exec_lo, exec_lo, s27
	s_cbranch_execnz .LBB929_98
; %bb.99:
	s_or_b32 exec_lo, exec_lo, s27
	v_mul_u64_e32 v[20:21], s[18:19], v[6:7]
	s_mov_b32 s28, 0
	s_mov_b64 s[2:3], s[4:5]
                                        ; implicit-def: $sgpr27
	s_delay_alu instid0(VALU_DEP_1) | instskip(NEXT) | instid1(VALU_DEP_1)
	v_lshl_add_u64 v[20:21], v[20:21], 2, s[8:9]
	v_mov_b64_e32 v[22:23], v[20:21]
.LBB929_100:                            ; =>This Inner Loop Header: Depth=1
	global_load_b32 v24, v[22:23], off
	global_load_b32 v25, v[16:17], off
	s_cmp_eq_u64 s[2:3], 0
	s_add_nc_u64 s[30:31], s[2:3], -1
	s_cselect_b32 s3, -1, 0
	s_wait_xcnt 0x1
	v_add_nc_u64_e32 v[22:23], 4, v[22:23]
	s_wait_xcnt 0x0
	v_add_nc_u64_e32 v[16:17], 4, v[16:17]
	s_wait_loadcnt 0x0
	v_cmp_neq_f32_e32 vcc_lo, v24, v25
	v_cmp_eq_f32_e64 s2, v24, v25
	s_or_b32 s3, vcc_lo, s3
	s_delay_alu instid0(SALU_CYCLE_1) | instskip(NEXT) | instid1(SALU_CYCLE_1)
	s_and_b32 s3, exec_lo, s3
	s_or_b32 s28, s3, s28
	s_and_not1_b32 s27, s27, exec_lo
	s_and_b32 s29, s2, exec_lo
	s_mov_b64 s[2:3], s[30:31]
	s_or_b32 s27, s27, s29
	s_and_not1_b32 exec_lo, exec_lo, s28
	s_cbranch_execnz .LBB929_100
; %bb.101:
	s_or_b32 exec_lo, exec_lo, s28
	v_mul_u64_e32 v[16:17], s[18:19], v[12:13]
	s_mov_b32 s29, 0
	s_mov_b64 s[2:3], s[4:5]
                                        ; implicit-def: $sgpr28
	s_delay_alu instid0(VALU_DEP_1) | instskip(NEXT) | instid1(VALU_DEP_1)
	v_lshl_add_u64 v[16:17], v[16:17], 2, s[8:9]
	v_mov_b64_e32 v[22:23], v[16:17]
.LBB929_102:                            ; =>This Inner Loop Header: Depth=1
	global_load_b32 v24, v[22:23], off
	global_load_b32 v25, v[20:21], off
	s_cmp_eq_u64 s[2:3], 0
	s_add_nc_u64 s[30:31], s[2:3], -1
	s_cselect_b32 s3, -1, 0
	s_wait_xcnt 0x1
	v_add_nc_u64_e32 v[22:23], 4, v[22:23]
	s_wait_xcnt 0x0
	v_add_nc_u64_e32 v[20:21], 4, v[20:21]
	s_wait_loadcnt 0x0
	v_cmp_neq_f32_e32 vcc_lo, v24, v25
	v_cmp_eq_f32_e64 s2, v24, v25
	s_or_b32 s3, vcc_lo, s3
	s_delay_alu instid0(SALU_CYCLE_1) | instskip(NEXT) | instid1(SALU_CYCLE_1)
	s_and_b32 s3, exec_lo, s3
	s_or_b32 s29, s3, s29
	s_and_not1_b32 s28, s28, exec_lo
	s_and_b32 s33, s2, exec_lo
	s_mov_b64 s[2:3], s[30:31]
	s_or_b32 s28, s28, s33
	s_and_not1_b32 exec_lo, exec_lo, s29
	s_cbranch_execnz .LBB929_102
; %bb.103:
	s_or_b32 exec_lo, exec_lo, s29
	v_mul_u64_e32 v[20:21], s[18:19], v[10:11]
	s_mov_b32 s29, 0
                                        ; implicit-def: $sgpr3
	s_delay_alu instid0(VALU_DEP_1)
	v_lshl_add_u64 v[20:21], v[20:21], 2, s[8:9]
.LBB929_104:                            ; =>This Inner Loop Header: Depth=1
	global_load_b32 v22, v[20:21], off
	global_load_b32 v23, v[16:17], off
	s_cmp_eq_u64 s[4:5], 0
	s_add_nc_u64 s[30:31], s[4:5], -1
	s_cselect_b32 s4, -1, 0
	s_wait_xcnt 0x1
	v_add_nc_u64_e32 v[20:21], 4, v[20:21]
	s_wait_xcnt 0x0
	v_add_nc_u64_e32 v[16:17], 4, v[16:17]
	s_wait_loadcnt 0x0
	v_cmp_neq_f32_e32 vcc_lo, v22, v23
	v_cmp_eq_f32_e64 s2, v22, v23
	s_or_b32 s4, vcc_lo, s4
	s_delay_alu instid0(SALU_CYCLE_1) | instskip(NEXT) | instid1(SALU_CYCLE_1)
	s_and_b32 s4, exec_lo, s4
	s_or_b32 s29, s4, s29
	s_and_not1_b32 s3, s3, exec_lo
	s_and_b32 s2, s2, exec_lo
	s_mov_b64 s[4:5], s[30:31]
	s_or_b32 s3, s3, s2
	s_and_not1_b32 exec_lo, exec_lo, s29
	s_cbranch_execnz .LBB929_104
; %bb.105:
	s_or_b32 exec_lo, exec_lo, s29
	s_xor_b32 s2, s27, -1
	s_delay_alu instid0(SALU_CYCLE_1) | instskip(SKIP_1) | instid1(SALU_CYCLE_1)
	v_cndmask_b32_e64 v16, 0, 1, s2
	s_xor_b32 s2, s28, -1
	v_cndmask_b32_e64 v17, 0, 1, s2
	s_xor_b32 s2, s25, -1
	s_delay_alu instid0(VALU_DEP_2) | instskip(SKIP_2) | instid1(SALU_CYCLE_1)
	v_lshlrev_b16 v16, 8, v16
	v_cndmask_b32_e64 v31, 0, 1, s2
	s_xor_b32 s2, s24, -1
	v_cndmask_b32_e64 v30, 0, 1, s2
	s_delay_alu instid0(VALU_DEP_3) | instskip(SKIP_1) | instid1(VALU_DEP_1)
	v_lshrrev_b32_e32 v16, 8, v16
	s_xor_b32 s2, s26, -1
	v_and_b32_e32 v16, 1, v16
	s_delay_alu instid0(VALU_DEP_1) | instskip(NEXT) | instid1(VALU_DEP_1)
	v_lshlrev_b16 v16, 8, v16
	v_or_b32_e32 v16, v17, v16
	v_cndmask_b32_e64 v17, 0, 1, s2
	s_xor_b32 s2, s3, -1
	s_delay_alu instid0(VALU_DEP_2)
	v_lshlrev_b32_e32 v16, 16, v16
	s_branch .LBB929_108
.LBB929_106:
	s_wait_kmcnt 0x0
                                        ; implicit-def: $sgpr2
                                        ; implicit-def: $vgpr30
                                        ; implicit-def: $vgpr31
                                        ; implicit-def: $vgpr17
                                        ; implicit-def: $vgpr21
                                        ; implicit-def: $vgpr33
                                        ; implicit-def: $vgpr32
                                        ; implicit-def: $vgpr20
	s_cbranch_execnz .LBB929_115
	s_branch .LBB929_160
.LBB929_107:
	v_dual_mov_b32 v16, 0 :: v_dual_mov_b32 v30, 0
	v_dual_mov_b32 v31, 0 :: v_dual_mov_b32 v17, 0
	s_mov_b32 s2, 0
.LBB929_108:
	s_delay_alu instid0(VALU_DEP_1)
	v_dual_lshrrev_b32 v32, 16, v16 :: v_dual_lshrrev_b32 v20, 24, v16
	v_cndmask_b32_e64 v33, 0, 1, s2
	v_mov_b32_e32 v16, 1
	s_wait_kmcnt 0x0
	s_mov_b32 s4, 0
	s_wait_dscnt 0x0
	s_barrier_signal -1
	s_barrier_wait -1
                                        ; implicit-def: $sgpr2
                                        ; implicit-def: $vgpr21
	s_mov_b32 s3, exec_lo
	v_cmpx_ne_u32_e32 0, v0
	s_xor_b32 s5, exec_lo, s3
	s_cbranch_execz .LBB929_114
; %bb.109:
	v_lshlrev_b16 v21, 8, v20
	v_lshlrev_b16 v22, 8, v33
	s_and_not1_b32 vcc_lo, exec_lo, s7
	s_mov_b32 s2, 0
	s_delay_alu instid0(VALU_DEP_2) | instskip(NEXT) | instid1(VALU_DEP_1)
	v_bitop3_b16 v21, v32, v21, 0xff bitop3:0xec
	v_dual_lshlrev_b32 v21, 16, v21 :: v_dual_bitop2_b32 v22, 1, v22 bitop3:0x54
	s_delay_alu instid0(VALU_DEP_1) | instskip(NEXT) | instid1(VALU_DEP_1)
	v_and_b32_e32 v22, 0xffff, v22
	v_or_b32_e32 v21, v22, v21
	s_cbranch_vccnz .LBB929_113
; %bb.110:
	v_add_nc_u32_e32 v22, -8, v26
	v_mul_u64_e32 v[24:25], s[18:19], v[10:11]
	s_add_nc_u64 s[2:3], s[18:19], -1
	s_mov_b32 s24, 0
                                        ; implicit-def: $sgpr25
	ds_load_b64 v[22:23], v22
	s_wait_dscnt 0x0
	v_mul_u64_e32 v[22:23], s[18:19], v[22:23]
	v_lshl_add_u64 v[24:25], v[24:25], 2, s[8:9]
	s_delay_alu instid0(VALU_DEP_2)
	v_lshl_add_u64 v[22:23], v[22:23], 2, s[8:9]
.LBB929_111:                            ; =>This Inner Loop Header: Depth=1
	global_load_b32 v27, v[22:23], off
	global_load_b32 v28, v[24:25], off
	s_cmp_eq_u64 s[2:3], 0
	s_add_nc_u64 s[26:27], s[2:3], -1
	s_cselect_b32 s3, -1, 0
	s_wait_xcnt 0x1
	v_add_nc_u64_e32 v[22:23], 4, v[22:23]
	s_wait_xcnt 0x0
	v_add_nc_u64_e32 v[24:25], 4, v[24:25]
	s_wait_loadcnt 0x0
	v_cmp_neq_f32_e32 vcc_lo, v27, v28
	v_cmp_eq_f32_e64 s2, v27, v28
	s_or_b32 s3, vcc_lo, s3
	s_delay_alu instid0(SALU_CYCLE_1) | instskip(NEXT) | instid1(SALU_CYCLE_1)
	s_and_b32 s3, exec_lo, s3
	s_or_b32 s24, s3, s24
	s_and_not1_b32 s25, s25, exec_lo
	s_and_b32 s28, s2, exec_lo
	s_mov_b64 s[2:3], s[26:27]
	s_or_b32 s25, s25, s28
	s_and_not1_b32 exec_lo, exec_lo, s24
	s_cbranch_execnz .LBB929_111
; %bb.112:
	s_or_b32 exec_lo, exec_lo, s24
	s_xor_b32 s2, s25, -1
.LBB929_113:
	s_delay_alu instid0(VALU_DEP_1)
	v_perm_b32 v21, v21, v21, 0x3020104
	s_or_b32 s6, s6, exec_lo
.LBB929_114:
	s_or_b32 exec_lo, exec_lo, s5
	s_delay_alu instid0(SALU_CYCLE_1)
	s_and_b32 vcc_lo, exec_lo, s4
	s_cbranch_vccz .LBB929_160
.LBB929_115:
	v_add_nc_u32_e32 v16, 6, v19
	s_mov_b32 s5, 0
	s_mov_b32 s4, 0
	s_mov_b32 s24, exec_lo
	s_delay_alu instid0(VALU_DEP_1)
	v_cmpx_gt_u32_e64 s21, v16
	s_cbranch_execz .LBB929_121
; %bb.116:
	s_and_not1_b32 vcc_lo, exec_lo, s7
	s_mov_b32 s2, 0
	s_cbranch_vccnz .LBB929_120
; %bb.117:
	v_mul_u64_e32 v[16:17], s[18:19], v[4:5]
	v_mul_u64_e32 v[20:21], s[18:19], v[14:15]
	s_add_nc_u64 s[2:3], s[18:19], -1
                                        ; implicit-def: $sgpr25
	s_delay_alu instid0(VALU_DEP_2) | instskip(NEXT) | instid1(VALU_DEP_2)
	v_lshl_add_u64 v[16:17], v[16:17], 2, s[8:9]
	v_lshl_add_u64 v[20:21], v[20:21], 2, s[8:9]
.LBB929_118:                            ; =>This Inner Loop Header: Depth=1
	global_load_b32 v22, v[16:17], off
	global_load_b32 v23, v[20:21], off
	s_cmp_eq_u64 s[2:3], 0
	s_add_nc_u64 s[26:27], s[2:3], -1
	s_cselect_b32 s3, -1, 0
	s_wait_xcnt 0x1
	v_add_nc_u64_e32 v[16:17], 4, v[16:17]
	s_wait_xcnt 0x0
	v_add_nc_u64_e32 v[20:21], 4, v[20:21]
	s_wait_loadcnt 0x0
	v_cmp_neq_f32_e32 vcc_lo, v22, v23
	v_cmp_eq_f32_e64 s2, v22, v23
	s_or_b32 s3, vcc_lo, s3
	s_delay_alu instid0(SALU_CYCLE_1) | instskip(NEXT) | instid1(SALU_CYCLE_1)
	s_and_b32 s3, exec_lo, s3
	s_or_b32 s4, s3, s4
	s_and_not1_b32 s25, s25, exec_lo
	s_and_b32 s28, s2, exec_lo
	s_mov_b64 s[2:3], s[26:27]
	s_or_b32 s25, s25, s28
	s_and_not1_b32 exec_lo, exec_lo, s4
	s_cbranch_execnz .LBB929_118
; %bb.119:
	s_or_b32 exec_lo, exec_lo, s4
	s_xor_b32 s2, s25, -1
.LBB929_120:
	s_delay_alu instid0(SALU_CYCLE_1)
	s_and_b32 s4, s2, exec_lo
.LBB929_121:
	s_or_b32 exec_lo, exec_lo, s24
	v_add_nc_u32_e32 v16, 5, v19
	s_mov_b32 s24, exec_lo
	s_delay_alu instid0(VALU_DEP_1)
	v_cmpx_gt_u32_e64 s21, v16
	s_cbranch_execz .LBB929_127
; %bb.122:
	s_and_not1_b32 vcc_lo, exec_lo, s7
	s_mov_b32 s2, 0
	s_cbranch_vccnz .LBB929_126
; %bb.123:
	v_mul_u64_e32 v[16:17], s[18:19], v[2:3]
	v_mul_u64_e32 v[20:21], s[18:19], v[4:5]
	s_add_nc_u64 s[2:3], s[18:19], -1
	s_mov_b32 s5, 0
                                        ; implicit-def: $sgpr25
	s_delay_alu instid0(VALU_DEP_2) | instskip(NEXT) | instid1(VALU_DEP_2)
	v_lshl_add_u64 v[16:17], v[16:17], 2, s[8:9]
	v_lshl_add_u64 v[20:21], v[20:21], 2, s[8:9]
.LBB929_124:                            ; =>This Inner Loop Header: Depth=1
	global_load_b32 v22, v[16:17], off
	global_load_b32 v23, v[20:21], off
	s_cmp_eq_u64 s[2:3], 0
	s_add_nc_u64 s[26:27], s[2:3], -1
	s_cselect_b32 s3, -1, 0
	s_wait_xcnt 0x1
	v_add_nc_u64_e32 v[16:17], 4, v[16:17]
	s_wait_xcnt 0x0
	v_add_nc_u64_e32 v[20:21], 4, v[20:21]
	s_wait_loadcnt 0x0
	v_cmp_neq_f32_e32 vcc_lo, v22, v23
	v_cmp_eq_f32_e64 s2, v22, v23
	s_or_b32 s3, vcc_lo, s3
	s_delay_alu instid0(SALU_CYCLE_1) | instskip(NEXT) | instid1(SALU_CYCLE_1)
	s_and_b32 s3, exec_lo, s3
	s_or_b32 s5, s3, s5
	s_and_not1_b32 s25, s25, exec_lo
	s_and_b32 s28, s2, exec_lo
	s_mov_b64 s[2:3], s[26:27]
	s_or_b32 s25, s25, s28
	s_and_not1_b32 exec_lo, exec_lo, s5
	s_cbranch_execnz .LBB929_124
; %bb.125:
	s_or_b32 exec_lo, exec_lo, s5
	s_xor_b32 s2, s25, -1
.LBB929_126:
	s_delay_alu instid0(SALU_CYCLE_1)
	s_and_b32 s5, s2, exec_lo
.LBB929_127:
	s_or_b32 exec_lo, exec_lo, s24
	v_add_nc_u32_e32 v16, 4, v19
	s_mov_b32 s24, 0
	s_mov_b32 s25, 0
	s_mov_b32 s26, exec_lo
	s_delay_alu instid0(VALU_DEP_1)
	v_cmpx_gt_u32_e64 s21, v16
	s_cbranch_execz .LBB929_133
; %bb.128:
	s_and_not1_b32 vcc_lo, exec_lo, s7
	s_mov_b32 s2, 0
	s_cbranch_vccnz .LBB929_132
; %bb.129:
	v_mul_u64_e32 v[16:17], s[18:19], v[8:9]
	v_mul_u64_e32 v[20:21], s[18:19], v[2:3]
	s_add_nc_u64 s[2:3], s[18:19], -1
                                        ; implicit-def: $sgpr27
	s_delay_alu instid0(VALU_DEP_2) | instskip(NEXT) | instid1(VALU_DEP_2)
	v_lshl_add_u64 v[16:17], v[16:17], 2, s[8:9]
	v_lshl_add_u64 v[20:21], v[20:21], 2, s[8:9]
.LBB929_130:                            ; =>This Inner Loop Header: Depth=1
	global_load_b32 v22, v[16:17], off
	global_load_b32 v23, v[20:21], off
	s_cmp_eq_u64 s[2:3], 0
	s_add_nc_u64 s[28:29], s[2:3], -1
	s_cselect_b32 s3, -1, 0
	s_wait_xcnt 0x1
	v_add_nc_u64_e32 v[16:17], 4, v[16:17]
	s_wait_xcnt 0x0
	v_add_nc_u64_e32 v[20:21], 4, v[20:21]
	s_wait_loadcnt 0x0
	v_cmp_neq_f32_e32 vcc_lo, v22, v23
	v_cmp_eq_f32_e64 s2, v22, v23
	s_or_b32 s3, vcc_lo, s3
	s_delay_alu instid0(SALU_CYCLE_1) | instskip(NEXT) | instid1(SALU_CYCLE_1)
	s_and_b32 s3, exec_lo, s3
	s_or_b32 s25, s3, s25
	s_and_not1_b32 s27, s27, exec_lo
	s_and_b32 s30, s2, exec_lo
	s_mov_b64 s[2:3], s[28:29]
	s_or_b32 s27, s27, s30
	s_and_not1_b32 exec_lo, exec_lo, s25
	s_cbranch_execnz .LBB929_130
; %bb.131:
	s_or_b32 exec_lo, exec_lo, s25
	s_xor_b32 s2, s27, -1
.LBB929_132:
	s_delay_alu instid0(SALU_CYCLE_1)
	s_and_b32 s25, s2, exec_lo
.LBB929_133:
	s_or_b32 exec_lo, exec_lo, s26
	v_add_nc_u32_e32 v16, 3, v19
	s_mov_b32 s26, exec_lo
	s_delay_alu instid0(VALU_DEP_1)
	v_cmpx_gt_u32_e64 s21, v16
	s_cbranch_execz .LBB929_139
; %bb.134:
	s_and_not1_b32 vcc_lo, exec_lo, s7
	s_mov_b32 s2, 0
	s_cbranch_vccnz .LBB929_138
; %bb.135:
	v_mul_u64_e32 v[16:17], s[18:19], v[6:7]
	v_mul_u64_e32 v[20:21], s[18:19], v[8:9]
	s_add_nc_u64 s[2:3], s[18:19], -1
	s_mov_b32 s24, 0
                                        ; implicit-def: $sgpr27
	s_delay_alu instid0(VALU_DEP_2) | instskip(NEXT) | instid1(VALU_DEP_2)
	v_lshl_add_u64 v[16:17], v[16:17], 2, s[8:9]
	v_lshl_add_u64 v[20:21], v[20:21], 2, s[8:9]
.LBB929_136:                            ; =>This Inner Loop Header: Depth=1
	global_load_b32 v22, v[16:17], off
	global_load_b32 v23, v[20:21], off
	s_cmp_eq_u64 s[2:3], 0
	s_add_nc_u64 s[28:29], s[2:3], -1
	s_cselect_b32 s3, -1, 0
	s_wait_xcnt 0x1
	v_add_nc_u64_e32 v[16:17], 4, v[16:17]
	s_wait_xcnt 0x0
	v_add_nc_u64_e32 v[20:21], 4, v[20:21]
	s_wait_loadcnt 0x0
	v_cmp_neq_f32_e32 vcc_lo, v22, v23
	v_cmp_eq_f32_e64 s2, v22, v23
	s_or_b32 s3, vcc_lo, s3
	s_delay_alu instid0(SALU_CYCLE_1) | instskip(NEXT) | instid1(SALU_CYCLE_1)
	s_and_b32 s3, exec_lo, s3
	s_or_b32 s24, s3, s24
	s_and_not1_b32 s27, s27, exec_lo
	s_and_b32 s30, s2, exec_lo
	s_mov_b64 s[2:3], s[28:29]
	s_or_b32 s27, s27, s30
	s_and_not1_b32 exec_lo, exec_lo, s24
	s_cbranch_execnz .LBB929_136
; %bb.137:
	s_or_b32 exec_lo, exec_lo, s24
	s_xor_b32 s2, s27, -1
.LBB929_138:
	s_delay_alu instid0(SALU_CYCLE_1)
	s_and_b32 s24, s2, exec_lo
.LBB929_139:
	s_or_b32 exec_lo, exec_lo, s26
	v_add_nc_u32_e32 v16, 2, v19
	s_mov_b32 s26, 0
	s_mov_b32 s27, 0
	s_mov_b32 s28, exec_lo
	s_delay_alu instid0(VALU_DEP_1)
	v_cmpx_gt_u32_e64 s21, v16
	s_cbranch_execz .LBB929_145
; %bb.140:
	s_and_not1_b32 vcc_lo, exec_lo, s7
	s_mov_b32 s2, 0
	s_cbranch_vccnz .LBB929_144
; %bb.141:
	v_mul_u64_e32 v[16:17], s[18:19], v[12:13]
	v_mul_u64_e32 v[20:21], s[18:19], v[6:7]
	s_add_nc_u64 s[2:3], s[18:19], -1
                                        ; implicit-def: $sgpr29
	s_delay_alu instid0(VALU_DEP_2) | instskip(NEXT) | instid1(VALU_DEP_2)
	v_lshl_add_u64 v[16:17], v[16:17], 2, s[8:9]
	v_lshl_add_u64 v[20:21], v[20:21], 2, s[8:9]
.LBB929_142:                            ; =>This Inner Loop Header: Depth=1
	global_load_b32 v22, v[16:17], off
	global_load_b32 v23, v[20:21], off
	s_cmp_eq_u64 s[2:3], 0
	s_add_nc_u64 s[30:31], s[2:3], -1
	s_cselect_b32 s3, -1, 0
	s_wait_xcnt 0x1
	v_add_nc_u64_e32 v[16:17], 4, v[16:17]
	s_wait_xcnt 0x0
	v_add_nc_u64_e32 v[20:21], 4, v[20:21]
	s_wait_loadcnt 0x0
	v_cmp_neq_f32_e32 vcc_lo, v22, v23
	v_cmp_eq_f32_e64 s2, v22, v23
	s_or_b32 s3, vcc_lo, s3
	s_delay_alu instid0(SALU_CYCLE_1) | instskip(NEXT) | instid1(SALU_CYCLE_1)
	s_and_b32 s3, exec_lo, s3
	s_or_b32 s27, s3, s27
	s_and_not1_b32 s29, s29, exec_lo
	s_and_b32 s33, s2, exec_lo
	s_mov_b64 s[2:3], s[30:31]
	s_or_b32 s29, s29, s33
	s_and_not1_b32 exec_lo, exec_lo, s27
	s_cbranch_execnz .LBB929_142
; %bb.143:
	s_or_b32 exec_lo, exec_lo, s27
	s_xor_b32 s2, s29, -1
.LBB929_144:
	s_delay_alu instid0(SALU_CYCLE_1)
	s_and_b32 s27, s2, exec_lo
.LBB929_145:
	s_or_b32 exec_lo, exec_lo, s28
	v_add_nc_u32_e32 v16, 1, v19
	s_mov_b32 s28, exec_lo
	s_delay_alu instid0(VALU_DEP_1)
	v_cmpx_gt_u32_e64 s21, v16
	s_cbranch_execz .LBB929_151
; %bb.146:
	s_and_not1_b32 vcc_lo, exec_lo, s7
	s_mov_b32 s2, 0
	s_cbranch_vccnz .LBB929_150
; %bb.147:
	v_mul_u64_e32 v[16:17], s[18:19], v[10:11]
	v_mul_u64_e32 v[20:21], s[18:19], v[12:13]
	s_add_nc_u64 s[2:3], s[18:19], -1
	s_mov_b32 s26, 0
                                        ; implicit-def: $sgpr29
	s_delay_alu instid0(VALU_DEP_2) | instskip(NEXT) | instid1(VALU_DEP_2)
	v_lshl_add_u64 v[16:17], v[16:17], 2, s[8:9]
	v_lshl_add_u64 v[20:21], v[20:21], 2, s[8:9]
.LBB929_148:                            ; =>This Inner Loop Header: Depth=1
	global_load_b32 v22, v[16:17], off
	global_load_b32 v23, v[20:21], off
	s_cmp_eq_u64 s[2:3], 0
	s_add_nc_u64 s[30:31], s[2:3], -1
	s_cselect_b32 s3, -1, 0
	s_wait_xcnt 0x1
	v_add_nc_u64_e32 v[16:17], 4, v[16:17]
	s_wait_xcnt 0x0
	v_add_nc_u64_e32 v[20:21], 4, v[20:21]
	s_wait_loadcnt 0x0
	v_cmp_neq_f32_e32 vcc_lo, v22, v23
	v_cmp_eq_f32_e64 s2, v22, v23
	s_or_b32 s3, vcc_lo, s3
	s_delay_alu instid0(SALU_CYCLE_1) | instskip(NEXT) | instid1(SALU_CYCLE_1)
	s_and_b32 s3, exec_lo, s3
	s_or_b32 s26, s3, s26
	s_and_not1_b32 s29, s29, exec_lo
	s_and_b32 s33, s2, exec_lo
	s_mov_b64 s[2:3], s[30:31]
	s_or_b32 s29, s29, s33
	s_and_not1_b32 exec_lo, exec_lo, s26
	s_cbranch_execnz .LBB929_148
; %bb.149:
	s_or_b32 exec_lo, exec_lo, s26
	s_xor_b32 s2, s29, -1
.LBB929_150:
	s_delay_alu instid0(SALU_CYCLE_1)
	s_and_b32 s26, s2, exec_lo
.LBB929_151:
	s_or_b32 exec_lo, exec_lo, s28
	v_cndmask_b32_e64 v17, 0, 1, s25
	v_cndmask_b32_e64 v31, 0, 1, s5
	;; [unrolled: 1-line block ×6, first 2 shown]
	v_mov_b32_e32 v16, 1
	s_mov_b32 s2, 0
	s_mov_b32 s4, exec_lo
	s_wait_dscnt 0x0
	s_barrier_signal -1
	s_barrier_wait -1
                                        ; implicit-def: $vgpr21
	v_cmpx_ne_u32_e32 0, v0
	s_cbranch_execz .LBB929_159
; %bb.152:
	v_lshlrev_b16 v21, 8, v33
	v_lshlrev_b16 v22, 8, v20
	s_mov_b32 s5, exec_lo
	s_delay_alu instid0(VALU_DEP_1) | instskip(NEXT) | instid1(VALU_DEP_1)
	v_or_b32_e32 v22, v32, v22
	v_dual_lshlrev_b32 v22, 16, v22 :: v_dual_bitop2_b32 v21, 1, v21 bitop3:0x54
	s_delay_alu instid0(VALU_DEP_1) | instskip(NEXT) | instid1(VALU_DEP_1)
	v_and_b32_e32 v21, 0xffff, v21
	v_or_b32_e32 v21, v21, v22
	v_cmpx_gt_u32_e64 s21, v19
	s_cbranch_execz .LBB929_158
; %bb.153:
	s_and_not1_b32 vcc_lo, exec_lo, s7
	s_cbranch_vccnz .LBB929_157
; %bb.154:
	v_add_nc_u32_e32 v22, -8, v26
	v_mul_u64_e32 v[24:25], s[18:19], v[10:11]
	s_add_nc_u64 s[2:3], s[18:19], -1
	s_mov_b32 s7, 0
	ds_load_b64 v[22:23], v22
	s_wait_dscnt 0x0
	v_mul_u64_e32 v[22:23], s[18:19], v[22:23]
	v_lshl_add_u64 v[24:25], v[24:25], 2, s[8:9]
	s_delay_alu instid0(VALU_DEP_2)
	v_lshl_add_u64 v[22:23], v[22:23], 2, s[8:9]
                                        ; implicit-def: $sgpr8
.LBB929_155:                            ; =>This Inner Loop Header: Depth=1
	global_load_b32 v26, v[22:23], off
	global_load_b32 v27, v[24:25], off
	s_cmp_eq_u64 s[2:3], 0
	s_add_nc_u64 s[18:19], s[2:3], -1
	s_cselect_b32 s3, -1, 0
	s_wait_xcnt 0x1
	v_add_nc_u64_e32 v[22:23], 4, v[22:23]
	s_wait_xcnt 0x0
	v_add_nc_u64_e32 v[24:25], 4, v[24:25]
	s_wait_loadcnt 0x0
	v_cmp_neq_f32_e32 vcc_lo, v26, v27
	v_cmp_eq_f32_e64 s2, v26, v27
	s_or_b32 s3, vcc_lo, s3
	s_delay_alu instid0(SALU_CYCLE_1) | instskip(NEXT) | instid1(SALU_CYCLE_1)
	s_and_b32 s3, exec_lo, s3
	s_or_b32 s7, s3, s7
	s_and_not1_b32 s8, s8, exec_lo
	s_and_b32 s9, s2, exec_lo
	s_mov_b64 s[2:3], s[18:19]
	s_or_b32 s8, s8, s9
	s_and_not1_b32 exec_lo, exec_lo, s7
	s_cbranch_execnz .LBB929_155
; %bb.156:
	s_or_b32 exec_lo, exec_lo, s7
	s_xor_b32 s2, s8, -1
.LBB929_157:
	s_delay_alu instid0(SALU_CYCLE_1)
	s_and_b32 s2, s2, exec_lo
.LBB929_158:
	s_or_b32 exec_lo, exec_lo, s5
	s_delay_alu instid0(VALU_DEP_2)
	v_perm_b32 v21, v21, v21, 0x3020104
	s_or_b32 s6, s6, exec_lo
.LBB929_159:
	s_or_b32 exec_lo, exec_lo, s4
.LBB929_160:
	s_and_saveexec_b32 s3, s6
; %bb.161:
	s_delay_alu instid0(VALU_DEP_1)
	v_dual_lshrrev_b32 v20, 24, v21 :: v_dual_lshrrev_b32 v32, 16, v21
	v_lshrrev_b32_e32 v33, 8, v21
	v_cndmask_b32_e64 v16, 0, 1, s2
; %bb.162:
	s_or_b32 exec_lo, exec_lo, s3
	s_delay_alu instid0(SALU_CYCLE_1)
	s_and_not1_b32 vcc_lo, exec_lo, s22
	s_cbranch_vccnz .LBB929_166
; %bb.163:
	s_delay_alu instid0(VALU_DEP_1)
	v_perm_b32 v16, v16, v33, 0xc0c0004
	v_perm_b32 v20, v32, v20, 0xc0c0004
	v_cmp_gt_u32_e32 vcc_lo, s21, v19
	v_and_b32_e32 v22, 0xff, v30
	v_perm_b32 v17, v17, v31, 0xc0c0004
	v_add_nc_u32_e32 v21, 1, v19
	v_lshl_or_b32 v16, v20, 16, v16
	s_delay_alu instid0(VALU_DEP_1) | instskip(NEXT) | instid1(VALU_DEP_3)
	v_dual_cndmask_b32 v20, 0, v16 :: v_dual_add_nc_u32 v23, 4, v19
	v_cmp_gt_u32_e32 vcc_lo, s21, v21
	v_dual_lshlrev_b32 v21, 16, v22 :: v_dual_add_nc_u32 v22, 2, v19
	s_delay_alu instid0(VALU_DEP_3) | instskip(NEXT) | instid1(VALU_DEP_1)
	v_and_b32_e32 v20, 0xff, v20
	v_cndmask_b32_e32 v20, v20, v16, vcc_lo
	s_delay_alu instid0(VALU_DEP_3) | instskip(NEXT) | instid1(VALU_DEP_2)
	v_cmp_gt_u32_e32 vcc_lo, s21, v22
	v_and_b32_e32 v20, 0xffff, v20
	v_or_b32_e32 v24, v17, v21
	v_bitop3_b32 v17, v17, 0xffff00, v21 bitop3:0xc8
	s_delay_alu instid0(VALU_DEP_3) | instskip(SKIP_1) | instid1(VALU_DEP_2)
	v_dual_cndmask_b32 v20, v20, v16 :: v_dual_add_nc_u32 v21, 5, v19
	v_cmp_gt_u32_e32 vcc_lo, s21, v23
	v_cmp_gt_u32_e64 s2, s21, v21
	s_delay_alu instid0(VALU_DEP_3) | instskip(SKIP_3) | instid1(VALU_DEP_2)
	v_and_b32_e32 v20, 0xffffff, v20
	v_dual_cndmask_b32 v17, v17, v24 :: v_dual_add_nc_u32 v22, 3, v19
	s_or_b32 vcc_lo, s2, vcc_lo
	v_add_nc_u32_e32 v19, 6, v19
	v_cmp_gt_u32_e64 s3, s21, v22
	s_delay_alu instid0(VALU_DEP_3) | instskip(NEXT) | instid1(VALU_DEP_2)
	v_and_b32_e32 v17, 0xffff00ff, v17
	v_cndmask_b32_e64 v20, v20, v16, s3
	s_delay_alu instid0(VALU_DEP_2) | instskip(SKIP_1) | instid1(VALU_DEP_1)
	v_cndmask_b32_e64 v17, v17, v24, s2
	s_mov_b32 s2, exec_lo
	v_dual_cndmask_b32 v16, v20, v16, vcc_lo :: v_dual_lshrrev_b32 v30, 16, v17
	v_lshrrev_b32_e32 v31, 8, v17
	s_delay_alu instid0(VALU_DEP_2)
	v_lshrrev_b64 v[20:21], 24, v[16:17]
	v_dual_lshrrev_b32 v32, 16, v16 :: v_dual_lshrrev_b32 v33, 8, v16
	v_cmpx_le_u32_e64 s21, v19
; %bb.164:
	v_mov_b32_e32 v30, 0
; %bb.165:
	s_or_b32 exec_lo, exec_lo, s2
.LBB929_166:
	s_delay_alu instid0(VALU_DEP_1)
	v_and_b32_e32 v19, 0xff, v16
	v_and_b32_e32 v21, 0xff, v33
	;; [unrolled: 1-line block ×5, first 2 shown]
	v_mbcnt_lo_u32_b32 v38, -1, 0
	v_and_b32_e32 v37, 0xff, v31
	v_add3_u32 v22, v21, v19, v34
	v_and_b32_e32 v23, 0xff, v30
	s_delay_alu instid0(VALU_DEP_4) | instskip(SKIP_1) | instid1(VALU_DEP_3)
	v_dual_lshrrev_b32 v39, 5, v0 :: v_dual_bitop2_b32 v24, 15, v38 bitop3:0x40
	s_and_b32 vcc_lo, exec_lo, s23
	v_add3_u32 v22, v22, v35, v36
	s_mov_b32 s8, -1
	s_wait_dscnt 0x0
	v_cmp_eq_u32_e64 s2, 0, v24
	s_wait_kmcnt 0x0
	v_cmp_lt_u32_e64 s4, 1, v24
	v_add3_u32 v40, v22, v37, v23
	v_and_b32_e32 v22, 16, v38
	v_or_b32_e32 v23, 31, v0
	v_cmp_lt_u32_e64 s5, 3, v24
	v_cmp_lt_u32_e64 s3, 7, v24
	s_barrier_signal -1
	v_cmp_eq_u32_e64 s7, 0, v22
	v_cmp_eq_u32_e64 s6, v0, v23
	s_barrier_wait -1
                                        ; implicit-def: $vgpr25
                                        ; implicit-def: $vgpr26
                                        ; implicit-def: $vgpr27
                                        ; implicit-def: $vgpr28
                                        ; implicit-def: $vgpr29
                                        ; implicit-def: $vgpr41
                                        ; implicit-def: $vgpr42
                                        ; implicit-def: $vgpr24
                                        ; implicit-def: $vgpr22
	s_cbranch_vccz .LBB929_193
; %bb.167:
	v_mov_b32_dpp v22, v40 row_shr:1 row_mask:0xf bank_mask:0xf
	s_delay_alu instid0(VALU_DEP_1) | instskip(NEXT) | instid1(VALU_DEP_1)
	v_cndmask_b32_e64 v22, v22, 0, s2
	v_add_nc_u32_e32 v22, v22, v40
	s_delay_alu instid0(VALU_DEP_1) | instskip(NEXT) | instid1(VALU_DEP_1)
	v_mov_b32_dpp v23, v22 row_shr:2 row_mask:0xf bank_mask:0xf
	v_cndmask_b32_e64 v23, 0, v23, s4
	s_delay_alu instid0(VALU_DEP_1) | instskip(NEXT) | instid1(VALU_DEP_1)
	v_add_nc_u32_e32 v22, v22, v23
	v_mov_b32_dpp v23, v22 row_shr:4 row_mask:0xf bank_mask:0xf
	s_delay_alu instid0(VALU_DEP_1) | instskip(NEXT) | instid1(VALU_DEP_1)
	v_cndmask_b32_e64 v23, 0, v23, s5
	v_add_nc_u32_e32 v22, v22, v23
	s_delay_alu instid0(VALU_DEP_1) | instskip(NEXT) | instid1(VALU_DEP_1)
	v_mov_b32_dpp v23, v22 row_shr:8 row_mask:0xf bank_mask:0xf
	v_cndmask_b32_e64 v23, 0, v23, s3
	s_delay_alu instid0(VALU_DEP_1) | instskip(SKIP_3) | instid1(VALU_DEP_1)
	v_add_nc_u32_e32 v22, v22, v23
	ds_swizzle_b32 v23, v22 offset:swizzle(BROADCAST,32,15)
	s_wait_dscnt 0x0
	v_cndmask_b32_e64 v23, v23, 0, s7
	v_add_nc_u32_e32 v22, v22, v23
	s_and_saveexec_b32 s8, s6
; %bb.168:
	v_lshlrev_b32_e32 v23, 2, v39
	ds_store_b32 v23, v22
; %bb.169:
	s_or_b32 exec_lo, exec_lo, s8
	s_delay_alu instid0(SALU_CYCLE_1)
	s_mov_b32 s8, exec_lo
	s_wait_dscnt 0x0
	s_barrier_signal -1
	s_barrier_wait -1
	v_cmpx_gt_u32_e32 16, v0
	s_cbranch_execz .LBB929_171
; %bb.170:
	v_lshlrev_b32_e32 v23, 2, v0
	ds_load_b32 v24, v23
	s_wait_dscnt 0x0
	v_mov_b32_dpp v25, v24 row_shr:1 row_mask:0xf bank_mask:0xf
	s_delay_alu instid0(VALU_DEP_1) | instskip(NEXT) | instid1(VALU_DEP_1)
	v_cndmask_b32_e64 v25, v25, 0, s2
	v_add_nc_u32_e32 v24, v25, v24
	s_delay_alu instid0(VALU_DEP_1) | instskip(NEXT) | instid1(VALU_DEP_1)
	v_mov_b32_dpp v25, v24 row_shr:2 row_mask:0xf bank_mask:0xf
	v_cndmask_b32_e64 v25, 0, v25, s4
	s_delay_alu instid0(VALU_DEP_1) | instskip(NEXT) | instid1(VALU_DEP_1)
	v_add_nc_u32_e32 v24, v24, v25
	v_mov_b32_dpp v25, v24 row_shr:4 row_mask:0xf bank_mask:0xf
	s_delay_alu instid0(VALU_DEP_1) | instskip(NEXT) | instid1(VALU_DEP_1)
	v_cndmask_b32_e64 v25, 0, v25, s5
	v_add_nc_u32_e32 v24, v24, v25
	s_delay_alu instid0(VALU_DEP_1) | instskip(NEXT) | instid1(VALU_DEP_1)
	v_mov_b32_dpp v25, v24 row_shr:8 row_mask:0xf bank_mask:0xf
	v_cndmask_b32_e64 v25, 0, v25, s3
	s_delay_alu instid0(VALU_DEP_1)
	v_add_nc_u32_e32 v24, v24, v25
	ds_store_b32 v23, v24
.LBB929_171:
	s_or_b32 exec_lo, exec_lo, s8
	s_delay_alu instid0(SALU_CYCLE_1)
	s_mov_b32 s9, exec_lo
	v_cmp_gt_u32_e32 vcc_lo, 32, v0
	s_wait_dscnt 0x0
	s_barrier_signal -1
	s_barrier_wait -1
                                        ; implicit-def: $vgpr41
	v_cmpx_lt_u32_e32 31, v0
	s_cbranch_execz .LBB929_173
; %bb.172:
	v_lshl_add_u32 v23, v39, 2, -4
	ds_load_b32 v41, v23
	s_wait_dscnt 0x0
	v_add_nc_u32_e32 v22, v41, v22
.LBB929_173:
	s_or_b32 exec_lo, exec_lo, s9
	v_sub_co_u32 v23, s8, v38, 1
	s_delay_alu instid0(VALU_DEP_1) | instskip(NEXT) | instid1(VALU_DEP_1)
	v_cmp_gt_i32_e64 s9, 0, v23
	v_cndmask_b32_e64 v23, v23, v38, s9
	s_delay_alu instid0(VALU_DEP_1)
	v_lshlrev_b32_e32 v23, 2, v23
	ds_bpermute_b32 v42, v23, v22
	s_and_saveexec_b32 s9, vcc_lo
	s_cbranch_execz .LBB929_192
; %bb.174:
	v_mov_b32_e32 v29, 0
	ds_load_b32 v22, v29 offset:60
	s_and_saveexec_b32 s18, s8
	s_cbranch_execz .LBB929_176
; %bb.175:
	s_add_co_i32 s19, s20, 32
	s_delay_alu instid0(SALU_CYCLE_1)
	v_dual_mov_b32 v23, 1 :: v_dual_mov_b32 v24, s19
	s_wait_dscnt 0x0
	global_store_b64 v24, v[22:23], s[10:11] scale_offset scope:SCOPE_DEV
.LBB929_176:
	s_wait_xcnt 0x0
	s_or_b32 exec_lo, exec_lo, s18
	v_xad_u32 v24, v38, -1, s20
	s_mov_b32 s19, 0
	s_mov_b32 s18, exec_lo
	s_delay_alu instid0(VALU_DEP_1) | instskip(SKIP_4) | instid1(VALU_DEP_1)
	v_add_nc_u32_e32 v28, 32, v24
	global_load_b64 v[26:27], v28, s[10:11] scale_offset scope:SCOPE_DEV
	s_wait_loadcnt 0x0
	v_and_b32_e32 v23, 0xff, v27
	s_wait_xcnt 0x0
	v_cmpx_eq_u16_e32 0, v23
	s_cbranch_execz .LBB929_180
; %bb.177:
	v_lshl_add_u64 v[28:29], v[28:29], 3, s[10:11]
.LBB929_178:                            ; =>This Inner Loop Header: Depth=1
	global_load_b64 v[26:27], v[28:29], off scope:SCOPE_DEV
	s_wait_loadcnt 0x0
	v_and_b32_e32 v23, 0xff, v27
	s_delay_alu instid0(VALU_DEP_1)
	v_cmp_ne_u16_e32 vcc_lo, 0, v23
	s_or_b32 s19, vcc_lo, s19
	s_wait_xcnt 0x0
	s_and_not1_b32 exec_lo, exec_lo, s19
	s_cbranch_execnz .LBB929_178
; %bb.179:
	s_or_b32 exec_lo, exec_lo, s19
.LBB929_180:
	s_delay_alu instid0(SALU_CYCLE_1)
	s_or_b32 exec_lo, exec_lo, s18
	v_cmp_ne_u32_e32 vcc_lo, 31, v38
	v_lshlrev_b32_e64 v44, v38, -1
	v_dual_add_nc_u32 v46, 2, v38 :: v_dual_add_nc_u32 v48, 4, v38
	v_dual_add_nc_u32 v50, 8, v38 :: v_dual_add_nc_u32 v52, 16, v38
	v_add_co_ci_u32_e64 v23, null, 0, v38, vcc_lo
	v_lshl_or_b32 v51, v38, 2, 64
	s_delay_alu instid0(VALU_DEP_2)
	v_lshlrev_b32_e32 v43, 2, v23
	v_and_b32_e32 v23, 0xff, v27
	ds_bpermute_b32 v25, v43, v26
	v_cmp_eq_u16_e32 vcc_lo, 2, v23
	v_and_or_b32 v23, vcc_lo, v44, 0x80000000
	v_cmp_gt_u32_e32 vcc_lo, 30, v38
	s_delay_alu instid0(VALU_DEP_2) | instskip(SKIP_1) | instid1(VALU_DEP_2)
	v_ctz_i32_b32_e32 v23, v23
	v_cndmask_b32_e64 v28, 0, 2, vcc_lo
	v_cmp_lt_u32_e32 vcc_lo, v38, v23
	s_delay_alu instid0(VALU_DEP_2)
	v_add_lshl_u32 v45, v28, v38, 2
	s_wait_dscnt 0x0
	v_cndmask_b32_e32 v25, 0, v25, vcc_lo
	v_cmp_gt_u32_e32 vcc_lo, 28, v38
	v_cndmask_b32_e64 v28, 0, 4, vcc_lo
	v_cmp_le_u32_e32 vcc_lo, v46, v23
	s_delay_alu instid0(VALU_DEP_4) | instskip(NEXT) | instid1(VALU_DEP_3)
	v_add_nc_u32_e32 v25, v25, v26
	v_add_lshl_u32 v47, v28, v38, 2
	ds_bpermute_b32 v26, v45, v25
	s_wait_dscnt 0x0
	v_cndmask_b32_e32 v26, 0, v26, vcc_lo
	v_cmp_gt_u32_e32 vcc_lo, 24, v38
	v_cndmask_b32_e64 v28, 0, 8, vcc_lo
	v_cmp_le_u32_e32 vcc_lo, v48, v23
	s_delay_alu instid0(VALU_DEP_4) | instskip(NEXT) | instid1(VALU_DEP_3)
	v_add_nc_u32_e32 v25, v25, v26
	v_add_lshl_u32 v49, v28, v38, 2
	ds_bpermute_b32 v26, v47, v25
	s_wait_dscnt 0x0
	v_cndmask_b32_e32 v26, 0, v26, vcc_lo
	v_cmp_le_u32_e32 vcc_lo, v50, v23
	s_delay_alu instid0(VALU_DEP_2) | instskip(SKIP_4) | instid1(VALU_DEP_2)
	v_add_nc_u32_e32 v25, v25, v26
	ds_bpermute_b32 v26, v49, v25
	s_wait_dscnt 0x0
	v_cndmask_b32_e32 v26, 0, v26, vcc_lo
	v_cmp_le_u32_e32 vcc_lo, v52, v23
	v_add_nc_u32_e32 v25, v25, v26
	ds_bpermute_b32 v26, v51, v25
	s_wait_dscnt 0x0
	v_cndmask_b32_e32 v23, 0, v26, vcc_lo
	s_delay_alu instid0(VALU_DEP_1)
	v_dual_mov_b32 v25, 0 :: v_dual_add_nc_u32 v26, v25, v23
	s_branch .LBB929_183
.LBB929_181:                            ;   in Loop: Header=BB929_183 Depth=1
	s_or_b32 exec_lo, exec_lo, s18
	v_and_b32_e32 v28, 0xff, v27
	ds_bpermute_b32 v29, v43, v26
	v_subrev_nc_u32_e32 v24, 32, v24
	s_mov_b32 s18, 0
	v_cmp_eq_u16_e32 vcc_lo, 2, v28
	v_and_or_b32 v28, vcc_lo, v44, 0x80000000
	s_delay_alu instid0(VALU_DEP_1) | instskip(NEXT) | instid1(VALU_DEP_1)
	v_ctz_i32_b32_e32 v28, v28
	v_cmp_lt_u32_e32 vcc_lo, v38, v28
	s_wait_dscnt 0x0
	v_cndmask_b32_e32 v29, 0, v29, vcc_lo
	v_cmp_le_u32_e32 vcc_lo, v46, v28
	s_delay_alu instid0(VALU_DEP_2) | instskip(SKIP_4) | instid1(VALU_DEP_2)
	v_add_nc_u32_e32 v26, v29, v26
	ds_bpermute_b32 v29, v45, v26
	s_wait_dscnt 0x0
	v_cndmask_b32_e32 v29, 0, v29, vcc_lo
	v_cmp_le_u32_e32 vcc_lo, v48, v28
	v_add_nc_u32_e32 v26, v26, v29
	ds_bpermute_b32 v29, v47, v26
	s_wait_dscnt 0x0
	v_cndmask_b32_e32 v29, 0, v29, vcc_lo
	v_cmp_le_u32_e32 vcc_lo, v50, v28
	s_delay_alu instid0(VALU_DEP_2) | instskip(SKIP_4) | instid1(VALU_DEP_2)
	v_add_nc_u32_e32 v26, v26, v29
	ds_bpermute_b32 v29, v49, v26
	s_wait_dscnt 0x0
	v_cndmask_b32_e32 v29, 0, v29, vcc_lo
	v_cmp_le_u32_e32 vcc_lo, v52, v28
	v_add_nc_u32_e32 v26, v26, v29
	ds_bpermute_b32 v29, v51, v26
	s_wait_dscnt 0x0
	v_cndmask_b32_e32 v28, 0, v29, vcc_lo
	s_delay_alu instid0(VALU_DEP_1)
	v_add3_u32 v26, v28, v23, v26
.LBB929_182:                            ;   in Loop: Header=BB929_183 Depth=1
	s_and_b32 vcc_lo, exec_lo, s18
	s_cbranch_vccnz .LBB929_188
.LBB929_183:                            ; =>This Loop Header: Depth=1
                                        ;     Child Loop BB929_186 Depth 2
	v_and_b32_e32 v23, 0xff, v27
	s_mov_b32 s18, -1
                                        ; implicit-def: $vgpr27
	s_delay_alu instid0(VALU_DEP_1)
	v_cmp_ne_u16_e32 vcc_lo, 2, v23
	v_mov_b32_e32 v23, v26
                                        ; implicit-def: $vgpr26
	s_cmp_lg_u32 vcc_lo, exec_lo
	s_cbranch_scc1 .LBB929_182
; %bb.184:                              ;   in Loop: Header=BB929_183 Depth=1
	global_load_b64 v[26:27], v24, s[10:11] scale_offset scope:SCOPE_DEV
	s_mov_b32 s18, exec_lo
	s_wait_loadcnt 0x0
	v_and_b32_e32 v28, 0xff, v27
	s_wait_xcnt 0x0
	s_delay_alu instid0(VALU_DEP_1)
	v_cmpx_eq_u16_e32 0, v28
	s_cbranch_execz .LBB929_181
; %bb.185:                              ;   in Loop: Header=BB929_183 Depth=1
	v_lshl_add_u64 v[28:29], v[24:25], 3, s[10:11]
	s_mov_b32 s19, 0
.LBB929_186:                            ;   Parent Loop BB929_183 Depth=1
                                        ; =>  This Inner Loop Header: Depth=2
	global_load_b64 v[26:27], v[28:29], off scope:SCOPE_DEV
	s_wait_loadcnt 0x0
	v_and_b32_e32 v53, 0xff, v27
	s_delay_alu instid0(VALU_DEP_1)
	v_cmp_ne_u16_e32 vcc_lo, 0, v53
	s_or_b32 s19, vcc_lo, s19
	s_wait_xcnt 0x0
	s_and_not1_b32 exec_lo, exec_lo, s19
	s_cbranch_execnz .LBB929_186
; %bb.187:                              ;   in Loop: Header=BB929_183 Depth=1
	s_or_b32 exec_lo, exec_lo, s19
	s_branch .LBB929_181
.LBB929_188:
	s_and_saveexec_b32 s18, s8
	s_cbranch_execz .LBB929_190
; %bb.189:
	s_add_co_i32 s19, s20, 32
	v_dual_mov_b32 v25, 2 :: v_dual_add_nc_u32 v24, v23, v22
	v_dual_mov_b32 v26, s19 :: v_dual_mov_b32 v27, 0
	global_store_b64 v26, v[24:25], s[10:11] scale_offset scope:SCOPE_DEV
	ds_store_b64 v27, v[22:23] offset:28672
.LBB929_190:
	s_wait_xcnt 0x0
	s_or_b32 exec_lo, exec_lo, s18
	v_cmp_eq_u32_e32 vcc_lo, 0, v0
	s_and_b32 exec_lo, exec_lo, vcc_lo
; %bb.191:
	v_mov_b32_e32 v22, 0
	ds_store_b32 v22, v23 offset:60
.LBB929_192:
	s_or_b32 exec_lo, exec_lo, s9
	s_wait_dscnt 0x0
	v_dual_mov_b32 v22, 0 :: v_dual_cndmask_b32 v24, v42, v41, s8
	s_wait_storecnt 0x0
	s_barrier_signal -1
	s_barrier_wait -1
	ds_load_b32 v23, v22 offset:60
	v_cmp_ne_u32_e32 vcc_lo, 0, v0
	s_wait_dscnt 0x0
	s_barrier_signal -1
	s_barrier_wait -1
	v_cndmask_b32_e32 v24, 0, v24, vcc_lo
	s_mov_b32 s8, 0
	s_delay_alu instid0(VALU_DEP_1) | instskip(SKIP_2) | instid1(VALU_DEP_1)
	v_add_nc_u32_e32 v42, v23, v24
	ds_load_b64 v[22:23], v22 offset:28672
	v_add_nc_u32_e32 v41, v42, v19
	v_add_nc_u32_e32 v29, v41, v21
	s_delay_alu instid0(VALU_DEP_1) | instskip(SKIP_1) | instid1(VALU_DEP_1)
	v_add_nc_u32_e32 v28, v29, v34
	s_wait_dscnt 0x0
	v_dual_mov_b32 v24, v23 :: v_dual_add_nc_u32 v27, v28, v35
	s_delay_alu instid0(VALU_DEP_1) | instskip(NEXT) | instid1(VALU_DEP_1)
	v_add_nc_u32_e32 v26, v27, v36
	v_add_nc_u32_e32 v25, v26, v37
.LBB929_193:
	s_and_b32 vcc_lo, exec_lo, s8
	s_cbranch_vccz .LBB929_203
; %bb.194:
	v_mov_b32_dpp v22, v40 row_shr:1 row_mask:0xf bank_mask:0xf
	s_delay_alu instid0(VALU_DEP_1) | instskip(NEXT) | instid1(VALU_DEP_1)
	v_cndmask_b32_e64 v22, v22, 0, s2
	v_add_nc_u32_e32 v22, v22, v40
	s_delay_alu instid0(VALU_DEP_1) | instskip(NEXT) | instid1(VALU_DEP_1)
	v_mov_b32_dpp v23, v22 row_shr:2 row_mask:0xf bank_mask:0xf
	v_cndmask_b32_e64 v23, 0, v23, s4
	s_delay_alu instid0(VALU_DEP_1) | instskip(NEXT) | instid1(VALU_DEP_1)
	v_add_nc_u32_e32 v22, v22, v23
	v_mov_b32_dpp v23, v22 row_shr:4 row_mask:0xf bank_mask:0xf
	s_delay_alu instid0(VALU_DEP_1) | instskip(NEXT) | instid1(VALU_DEP_1)
	v_cndmask_b32_e64 v23, 0, v23, s5
	v_add_nc_u32_e32 v22, v22, v23
	s_delay_alu instid0(VALU_DEP_1) | instskip(NEXT) | instid1(VALU_DEP_1)
	v_mov_b32_dpp v23, v22 row_shr:8 row_mask:0xf bank_mask:0xf
	v_cndmask_b32_e64 v23, 0, v23, s3
	s_delay_alu instid0(VALU_DEP_1) | instskip(SKIP_3) | instid1(VALU_DEP_1)
	v_add_nc_u32_e32 v22, v22, v23
	ds_swizzle_b32 v23, v22 offset:swizzle(BROADCAST,32,15)
	s_wait_dscnt 0x0
	v_cndmask_b32_e64 v23, v23, 0, s7
	v_add_nc_u32_e32 v22, v22, v23
	s_and_saveexec_b32 s7, s6
; %bb.195:
	v_lshlrev_b32_e32 v23, 2, v39
	ds_store_b32 v23, v22
; %bb.196:
	s_or_b32 exec_lo, exec_lo, s7
	s_delay_alu instid0(SALU_CYCLE_1)
	s_mov_b32 s6, exec_lo
	s_wait_dscnt 0x0
	s_barrier_signal -1
	s_barrier_wait -1
	v_cmpx_gt_u32_e32 16, v0
	s_cbranch_execz .LBB929_198
; %bb.197:
	v_lshlrev_b32_e32 v23, 2, v0
	ds_load_b32 v24, v23
	s_wait_dscnt 0x0
	v_mov_b32_dpp v25, v24 row_shr:1 row_mask:0xf bank_mask:0xf
	s_delay_alu instid0(VALU_DEP_1) | instskip(NEXT) | instid1(VALU_DEP_1)
	v_cndmask_b32_e64 v25, v25, 0, s2
	v_add_nc_u32_e32 v24, v25, v24
	s_delay_alu instid0(VALU_DEP_1) | instskip(NEXT) | instid1(VALU_DEP_1)
	v_mov_b32_dpp v25, v24 row_shr:2 row_mask:0xf bank_mask:0xf
	v_cndmask_b32_e64 v25, 0, v25, s4
	s_delay_alu instid0(VALU_DEP_1) | instskip(NEXT) | instid1(VALU_DEP_1)
	v_add_nc_u32_e32 v24, v24, v25
	v_mov_b32_dpp v25, v24 row_shr:4 row_mask:0xf bank_mask:0xf
	s_delay_alu instid0(VALU_DEP_1) | instskip(NEXT) | instid1(VALU_DEP_1)
	v_cndmask_b32_e64 v25, 0, v25, s5
	v_add_nc_u32_e32 v24, v24, v25
	s_delay_alu instid0(VALU_DEP_1) | instskip(NEXT) | instid1(VALU_DEP_1)
	v_mov_b32_dpp v25, v24 row_shr:8 row_mask:0xf bank_mask:0xf
	v_cndmask_b32_e64 v25, 0, v25, s3
	s_delay_alu instid0(VALU_DEP_1)
	v_add_nc_u32_e32 v24, v24, v25
	ds_store_b32 v23, v24
.LBB929_198:
	s_or_b32 exec_lo, exec_lo, s6
	v_dual_mov_b32 v23, 0 :: v_dual_mov_b32 v24, 0
	s_mov_b32 s2, exec_lo
	s_wait_dscnt 0x0
	s_barrier_signal -1
	s_barrier_wait -1
	v_cmpx_lt_u32_e32 31, v0
; %bb.199:
	v_lshl_add_u32 v24, v39, 2, -4
	ds_load_b32 v24, v24
; %bb.200:
	s_or_b32 exec_lo, exec_lo, s2
	v_sub_co_u32 v25, vcc_lo, v38, 1
	s_delay_alu instid0(VALU_DEP_1) | instskip(NEXT) | instid1(VALU_DEP_1)
	v_cmp_gt_i32_e64 s2, 0, v25
	v_cndmask_b32_e64 v25, v25, v38, s2
	s_wait_dscnt 0x0
	v_add_nc_u32_e32 v22, v24, v22
	v_cmp_eq_u32_e64 s2, 0, v0
	s_delay_alu instid0(VALU_DEP_3)
	v_lshlrev_b32_e32 v25, 2, v25
	ds_bpermute_b32 v25, v25, v22
	ds_load_b32 v22, v23 offset:60
	s_and_saveexec_b32 s3, s2
	s_cbranch_execz .LBB929_202
; %bb.201:
	v_dual_mov_b32 v26, 0 :: v_dual_mov_b32 v23, 2
	s_wait_dscnt 0x0
	global_store_b64 v26, v[22:23], s[10:11] offset:256 scope:SCOPE_DEV
.LBB929_202:
	s_wait_xcnt 0x0
	s_or_b32 exec_lo, exec_lo, s3
	s_wait_dscnt 0x1
	v_cndmask_b32_e32 v23, v25, v24, vcc_lo
	s_wait_storecnt_dscnt 0x0
	s_barrier_signal -1
	s_barrier_wait -1
	s_delay_alu instid0(VALU_DEP_1) | instskip(NEXT) | instid1(VALU_DEP_1)
	v_cndmask_b32_e64 v42, v23, 0, s2
	v_dual_mov_b32 v24, 0 :: v_dual_add_nc_u32 v41, v42, v19
	s_delay_alu instid0(VALU_DEP_1) | instskip(NEXT) | instid1(VALU_DEP_1)
	v_add_nc_u32_e32 v29, v41, v21
	v_add_nc_u32_e32 v28, v29, v34
	s_delay_alu instid0(VALU_DEP_1) | instskip(NEXT) | instid1(VALU_DEP_1)
	v_add_nc_u32_e32 v27, v28, v35
	v_add_nc_u32_e32 v26, v27, v36
	s_delay_alu instid0(VALU_DEP_1)
	v_add_nc_u32_e32 v25, v26, v37
.LBB929_203:
	s_load_b64 s[2:3], s[0:1], 0x28
	v_and_b32_e32 v16, 1, v16
	v_cmp_gt_u32_e32 vcc_lo, 0x201, v22
	s_wait_xcnt 0x0
	s_mov_b32 s1, -1
	s_delay_alu instid0(VALU_DEP_2)
	v_cmp_eq_u32_e64 s0, 1, v16
	s_cbranch_vccnz .LBB929_207
; %bb.204:
	s_and_b32 vcc_lo, exec_lo, s1
	s_cbranch_vccnz .LBB929_222
.LBB929_205:
	v_cmp_eq_u32_e32 vcc_lo, 0, v0
	s_and_b32 s0, vcc_lo, s16
	s_delay_alu instid0(SALU_CYCLE_1)
	s_and_saveexec_b32 s1, s0
	s_cbranch_execnz .LBB929_239
.LBB929_206:
	s_endpgm
.LBB929_207:
	v_add_nc_u32_e32 v19, v24, v22
	s_delay_alu instid0(VALU_DEP_1) | instskip(SKIP_1) | instid1(SALU_CYCLE_1)
	v_cmp_lt_u32_e32 vcc_lo, v42, v19
	s_or_b32 s1, s17, vcc_lo
	s_and_b32 s1, s1, s0
	s_delay_alu instid0(SALU_CYCLE_1)
	s_and_saveexec_b32 s0, s1
	s_cbranch_execz .LBB929_209
; %bb.208:
	s_lshl_b64 s[4:5], s[14:15], 3
	s_wait_kmcnt 0x0
	s_add_nc_u64 s[4:5], s[2:3], s[4:5]
	global_store_b64 v42, v[10:11], s[4:5] scale_offset
.LBB929_209:
	s_wait_xcnt 0x0
	s_or_b32 exec_lo, exec_lo, s0
	v_and_b32_e32 v21, 1, v33
	v_cmp_lt_u32_e32 vcc_lo, v41, v19
	s_delay_alu instid0(VALU_DEP_2) | instskip(SKIP_1) | instid1(SALU_CYCLE_1)
	v_cmp_eq_u32_e64 s0, 1, v21
	s_or_b32 s1, s17, vcc_lo
	s_and_b32 s1, s1, s0
	s_delay_alu instid0(SALU_CYCLE_1)
	s_and_saveexec_b32 s0, s1
	s_cbranch_execz .LBB929_211
; %bb.210:
	s_lshl_b64 s[4:5], s[14:15], 3
	s_wait_kmcnt 0x0
	s_add_nc_u64 s[4:5], s[2:3], s[4:5]
	global_store_b64 v41, v[12:13], s[4:5] scale_offset
.LBB929_211:
	s_wait_xcnt 0x0
	s_or_b32 exec_lo, exec_lo, s0
	v_and_b32_e32 v21, 1, v32
	v_cmp_lt_u32_e32 vcc_lo, v29, v19
	s_delay_alu instid0(VALU_DEP_2) | instskip(SKIP_1) | instid1(SALU_CYCLE_1)
	v_cmp_eq_u32_e64 s0, 1, v21
	;; [unrolled: 17-line block ×6, first 2 shown]
	s_or_b32 s1, s17, vcc_lo
	s_and_b32 s1, s1, s0
	s_delay_alu instid0(SALU_CYCLE_1)
	s_and_saveexec_b32 s0, s1
	s_cbranch_execz .LBB929_221
; %bb.220:
	s_lshl_b64 s[4:5], s[14:15], 3
	s_wait_kmcnt 0x0
	s_add_nc_u64 s[4:5], s[2:3], s[4:5]
	global_store_b64 v25, v[14:15], s[4:5] scale_offset
.LBB929_221:
	s_wait_xcnt 0x0
	s_or_b32 exec_lo, exec_lo, s0
	s_branch .LBB929_205
.LBB929_222:
	s_mov_b32 s0, exec_lo
	v_cmpx_eq_u32_e32 1, v16
; %bb.223:
	v_sub_nc_u32_e32 v16, v42, v24
	s_delay_alu instid0(VALU_DEP_1)
	v_lshlrev_b32_e32 v16, 3, v16
	ds_store_b64 v16, v[10:11]
; %bb.224:
	s_or_b32 exec_lo, exec_lo, s0
	v_and_b32_e32 v10, 1, v33
	s_mov_b32 s0, exec_lo
	s_delay_alu instid0(VALU_DEP_1)
	v_cmpx_eq_u32_e32 1, v10
; %bb.225:
	v_sub_nc_u32_e32 v10, v41, v24
	s_delay_alu instid0(VALU_DEP_1)
	v_lshlrev_b32_e32 v10, 3, v10
	ds_store_b64 v10, v[12:13]
; %bb.226:
	s_or_b32 exec_lo, exec_lo, s0
	v_and_b32_e32 v10, 1, v32
	s_mov_b32 s0, exec_lo
	s_delay_alu instid0(VALU_DEP_1)
	;; [unrolled: 11-line block ×6, first 2 shown]
	v_cmpx_eq_u32_e32 1, v2
; %bb.235:
	v_sub_nc_u32_e32 v2, v25, v24
	s_delay_alu instid0(VALU_DEP_1)
	v_lshlrev_b32_e32 v2, 3, v2
	ds_store_b64 v2, v[14:15]
; %bb.236:
	s_or_b32 exec_lo, exec_lo, s0
	v_mov_b32_e32 v25, 0
	s_lshl_b64 s[0:1], s[14:15], 3
	s_wait_storecnt_dscnt 0x0
	s_barrier_signal -1
	s_barrier_wait -1
	v_lshlrev_b64_e32 v[2:3], 3, v[24:25]
	v_mov_b32_e32 v19, v25
	s_delay_alu instid0(VALU_DEP_2) | instskip(SKIP_2) | instid1(VALU_DEP_1)
	v_add_nc_u64_e32 v[2:3], s[0:1], v[2:3]
	s_mov_b32 s0, 0
	s_wait_kmcnt 0x0
	v_add_nc_u64_e32 v[2:3], s[2:3], v[2:3]
	s_delay_alu instid0(VALU_DEP_1)
	v_add_nc_u64_e32 v[2:3], v[2:3], v[18:19]
.LBB929_237:                            ; =>This Inner Loop Header: Depth=1
	ds_load_b64 v[4:5], v18
	v_add_nc_u32_e32 v1, 0x200, v1
	v_add_nc_u32_e32 v18, 0x1000, v18
	s_delay_alu instid0(VALU_DEP_2)
	v_cmp_ge_u32_e32 vcc_lo, v1, v22
	s_or_b32 s0, vcc_lo, s0
	s_wait_dscnt 0x0
	global_store_b64 v[2:3], v[4:5], off
	s_wait_xcnt 0x0
	v_add_nc_u64_e32 v[2:3], 0x1000, v[2:3]
	s_and_not1_b32 exec_lo, exec_lo, s0
	s_cbranch_execnz .LBB929_237
; %bb.238:
	s_or_b32 exec_lo, exec_lo, s0
	v_cmp_eq_u32_e32 vcc_lo, 0, v0
	s_and_b32 s0, vcc_lo, s16
	s_delay_alu instid0(SALU_CYCLE_1)
	s_and_saveexec_b32 s1, s0
	s_cbranch_execz .LBB929_206
.LBB929_239:
	v_mov_b32_e32 v23, 0
	s_delay_alu instid0(VALU_DEP_1) | instskip(SKIP_1) | instid1(VALU_DEP_1)
	v_add_nc_u64_e32 v[0:1], s[14:15], v[22:23]
	v_mov_b32_e32 v25, v23
	v_add_nc_u64_e32 v[0:1], v[0:1], v[24:25]
	global_store_b64 v23, v[0:1], s[12:13]
	s_endpgm
	.section	.rodata,"a",@progbits
	.p2align	6, 0x0
	.amdhsa_kernel _ZN7rocprim17ROCPRIM_400000_NS6detail17trampoline_kernelINS0_14default_configENS1_25partition_config_selectorILNS1_17partition_subalgoE8ElNS0_10empty_typeEbEEZZNS1_14partition_implILS5_8ELb0ES3_jPlPS6_PKS6_NS0_5tupleIJS9_S6_EEENSD_IJSA_SA_EEENS0_18inequality_wrapperIZN2at6native12_GLOBAL__N_124unique_dim_cuda_templateIfEESt5tupleIJNSH_6TensorESM_SM_EERKSM_lbbbEUlllE0_EEPmJS6_EEE10hipError_tPvRmT3_T4_T5_T6_T7_T9_mT8_P12ihipStream_tbDpT10_ENKUlT_T0_E_clISt17integral_constantIbLb0EES1C_EEDaS17_S18_EUlS17_E_NS1_11comp_targetILNS1_3genE0ELNS1_11target_archE4294967295ELNS1_3gpuE0ELNS1_3repE0EEENS1_30default_config_static_selectorELNS0_4arch9wavefront6targetE0EEEvT1_
		.amdhsa_group_segment_fixed_size 28680
		.amdhsa_private_segment_fixed_size 0
		.amdhsa_kernarg_size 120
		.amdhsa_user_sgpr_count 2
		.amdhsa_user_sgpr_dispatch_ptr 0
		.amdhsa_user_sgpr_queue_ptr 0
		.amdhsa_user_sgpr_kernarg_segment_ptr 1
		.amdhsa_user_sgpr_dispatch_id 0
		.amdhsa_user_sgpr_kernarg_preload_length 0
		.amdhsa_user_sgpr_kernarg_preload_offset 0
		.amdhsa_user_sgpr_private_segment_size 0
		.amdhsa_wavefront_size32 1
		.amdhsa_uses_dynamic_stack 0
		.amdhsa_enable_private_segment 0
		.amdhsa_system_sgpr_workgroup_id_x 1
		.amdhsa_system_sgpr_workgroup_id_y 0
		.amdhsa_system_sgpr_workgroup_id_z 0
		.amdhsa_system_sgpr_workgroup_info 0
		.amdhsa_system_vgpr_workitem_id 0
		.amdhsa_next_free_vgpr 54
		.amdhsa_next_free_sgpr 36
		.amdhsa_named_barrier_count 0
		.amdhsa_reserve_vcc 1
		.amdhsa_float_round_mode_32 0
		.amdhsa_float_round_mode_16_64 0
		.amdhsa_float_denorm_mode_32 3
		.amdhsa_float_denorm_mode_16_64 3
		.amdhsa_fp16_overflow 0
		.amdhsa_memory_ordered 1
		.amdhsa_forward_progress 1
		.amdhsa_inst_pref_size 82
		.amdhsa_round_robin_scheduling 0
		.amdhsa_exception_fp_ieee_invalid_op 0
		.amdhsa_exception_fp_denorm_src 0
		.amdhsa_exception_fp_ieee_div_zero 0
		.amdhsa_exception_fp_ieee_overflow 0
		.amdhsa_exception_fp_ieee_underflow 0
		.amdhsa_exception_fp_ieee_inexact 0
		.amdhsa_exception_int_div_zero 0
	.end_amdhsa_kernel
	.section	.text._ZN7rocprim17ROCPRIM_400000_NS6detail17trampoline_kernelINS0_14default_configENS1_25partition_config_selectorILNS1_17partition_subalgoE8ElNS0_10empty_typeEbEEZZNS1_14partition_implILS5_8ELb0ES3_jPlPS6_PKS6_NS0_5tupleIJS9_S6_EEENSD_IJSA_SA_EEENS0_18inequality_wrapperIZN2at6native12_GLOBAL__N_124unique_dim_cuda_templateIfEESt5tupleIJNSH_6TensorESM_SM_EERKSM_lbbbEUlllE0_EEPmJS6_EEE10hipError_tPvRmT3_T4_T5_T6_T7_T9_mT8_P12ihipStream_tbDpT10_ENKUlT_T0_E_clISt17integral_constantIbLb0EES1C_EEDaS17_S18_EUlS17_E_NS1_11comp_targetILNS1_3genE0ELNS1_11target_archE4294967295ELNS1_3gpuE0ELNS1_3repE0EEENS1_30default_config_static_selectorELNS0_4arch9wavefront6targetE0EEEvT1_,"axG",@progbits,_ZN7rocprim17ROCPRIM_400000_NS6detail17trampoline_kernelINS0_14default_configENS1_25partition_config_selectorILNS1_17partition_subalgoE8ElNS0_10empty_typeEbEEZZNS1_14partition_implILS5_8ELb0ES3_jPlPS6_PKS6_NS0_5tupleIJS9_S6_EEENSD_IJSA_SA_EEENS0_18inequality_wrapperIZN2at6native12_GLOBAL__N_124unique_dim_cuda_templateIfEESt5tupleIJNSH_6TensorESM_SM_EERKSM_lbbbEUlllE0_EEPmJS6_EEE10hipError_tPvRmT3_T4_T5_T6_T7_T9_mT8_P12ihipStream_tbDpT10_ENKUlT_T0_E_clISt17integral_constantIbLb0EES1C_EEDaS17_S18_EUlS17_E_NS1_11comp_targetILNS1_3genE0ELNS1_11target_archE4294967295ELNS1_3gpuE0ELNS1_3repE0EEENS1_30default_config_static_selectorELNS0_4arch9wavefront6targetE0EEEvT1_,comdat
.Lfunc_end929:
	.size	_ZN7rocprim17ROCPRIM_400000_NS6detail17trampoline_kernelINS0_14default_configENS1_25partition_config_selectorILNS1_17partition_subalgoE8ElNS0_10empty_typeEbEEZZNS1_14partition_implILS5_8ELb0ES3_jPlPS6_PKS6_NS0_5tupleIJS9_S6_EEENSD_IJSA_SA_EEENS0_18inequality_wrapperIZN2at6native12_GLOBAL__N_124unique_dim_cuda_templateIfEESt5tupleIJNSH_6TensorESM_SM_EERKSM_lbbbEUlllE0_EEPmJS6_EEE10hipError_tPvRmT3_T4_T5_T6_T7_T9_mT8_P12ihipStream_tbDpT10_ENKUlT_T0_E_clISt17integral_constantIbLb0EES1C_EEDaS17_S18_EUlS17_E_NS1_11comp_targetILNS1_3genE0ELNS1_11target_archE4294967295ELNS1_3gpuE0ELNS1_3repE0EEENS1_30default_config_static_selectorELNS0_4arch9wavefront6targetE0EEEvT1_, .Lfunc_end929-_ZN7rocprim17ROCPRIM_400000_NS6detail17trampoline_kernelINS0_14default_configENS1_25partition_config_selectorILNS1_17partition_subalgoE8ElNS0_10empty_typeEbEEZZNS1_14partition_implILS5_8ELb0ES3_jPlPS6_PKS6_NS0_5tupleIJS9_S6_EEENSD_IJSA_SA_EEENS0_18inequality_wrapperIZN2at6native12_GLOBAL__N_124unique_dim_cuda_templateIfEESt5tupleIJNSH_6TensorESM_SM_EERKSM_lbbbEUlllE0_EEPmJS6_EEE10hipError_tPvRmT3_T4_T5_T6_T7_T9_mT8_P12ihipStream_tbDpT10_ENKUlT_T0_E_clISt17integral_constantIbLb0EES1C_EEDaS17_S18_EUlS17_E_NS1_11comp_targetILNS1_3genE0ELNS1_11target_archE4294967295ELNS1_3gpuE0ELNS1_3repE0EEENS1_30default_config_static_selectorELNS0_4arch9wavefront6targetE0EEEvT1_
                                        ; -- End function
	.set _ZN7rocprim17ROCPRIM_400000_NS6detail17trampoline_kernelINS0_14default_configENS1_25partition_config_selectorILNS1_17partition_subalgoE8ElNS0_10empty_typeEbEEZZNS1_14partition_implILS5_8ELb0ES3_jPlPS6_PKS6_NS0_5tupleIJS9_S6_EEENSD_IJSA_SA_EEENS0_18inequality_wrapperIZN2at6native12_GLOBAL__N_124unique_dim_cuda_templateIfEESt5tupleIJNSH_6TensorESM_SM_EERKSM_lbbbEUlllE0_EEPmJS6_EEE10hipError_tPvRmT3_T4_T5_T6_T7_T9_mT8_P12ihipStream_tbDpT10_ENKUlT_T0_E_clISt17integral_constantIbLb0EES1C_EEDaS17_S18_EUlS17_E_NS1_11comp_targetILNS1_3genE0ELNS1_11target_archE4294967295ELNS1_3gpuE0ELNS1_3repE0EEENS1_30default_config_static_selectorELNS0_4arch9wavefront6targetE0EEEvT1_.num_vgpr, 54
	.set _ZN7rocprim17ROCPRIM_400000_NS6detail17trampoline_kernelINS0_14default_configENS1_25partition_config_selectorILNS1_17partition_subalgoE8ElNS0_10empty_typeEbEEZZNS1_14partition_implILS5_8ELb0ES3_jPlPS6_PKS6_NS0_5tupleIJS9_S6_EEENSD_IJSA_SA_EEENS0_18inequality_wrapperIZN2at6native12_GLOBAL__N_124unique_dim_cuda_templateIfEESt5tupleIJNSH_6TensorESM_SM_EERKSM_lbbbEUlllE0_EEPmJS6_EEE10hipError_tPvRmT3_T4_T5_T6_T7_T9_mT8_P12ihipStream_tbDpT10_ENKUlT_T0_E_clISt17integral_constantIbLb0EES1C_EEDaS17_S18_EUlS17_E_NS1_11comp_targetILNS1_3genE0ELNS1_11target_archE4294967295ELNS1_3gpuE0ELNS1_3repE0EEENS1_30default_config_static_selectorELNS0_4arch9wavefront6targetE0EEEvT1_.num_agpr, 0
	.set _ZN7rocprim17ROCPRIM_400000_NS6detail17trampoline_kernelINS0_14default_configENS1_25partition_config_selectorILNS1_17partition_subalgoE8ElNS0_10empty_typeEbEEZZNS1_14partition_implILS5_8ELb0ES3_jPlPS6_PKS6_NS0_5tupleIJS9_S6_EEENSD_IJSA_SA_EEENS0_18inequality_wrapperIZN2at6native12_GLOBAL__N_124unique_dim_cuda_templateIfEESt5tupleIJNSH_6TensorESM_SM_EERKSM_lbbbEUlllE0_EEPmJS6_EEE10hipError_tPvRmT3_T4_T5_T6_T7_T9_mT8_P12ihipStream_tbDpT10_ENKUlT_T0_E_clISt17integral_constantIbLb0EES1C_EEDaS17_S18_EUlS17_E_NS1_11comp_targetILNS1_3genE0ELNS1_11target_archE4294967295ELNS1_3gpuE0ELNS1_3repE0EEENS1_30default_config_static_selectorELNS0_4arch9wavefront6targetE0EEEvT1_.numbered_sgpr, 36
	.set _ZN7rocprim17ROCPRIM_400000_NS6detail17trampoline_kernelINS0_14default_configENS1_25partition_config_selectorILNS1_17partition_subalgoE8ElNS0_10empty_typeEbEEZZNS1_14partition_implILS5_8ELb0ES3_jPlPS6_PKS6_NS0_5tupleIJS9_S6_EEENSD_IJSA_SA_EEENS0_18inequality_wrapperIZN2at6native12_GLOBAL__N_124unique_dim_cuda_templateIfEESt5tupleIJNSH_6TensorESM_SM_EERKSM_lbbbEUlllE0_EEPmJS6_EEE10hipError_tPvRmT3_T4_T5_T6_T7_T9_mT8_P12ihipStream_tbDpT10_ENKUlT_T0_E_clISt17integral_constantIbLb0EES1C_EEDaS17_S18_EUlS17_E_NS1_11comp_targetILNS1_3genE0ELNS1_11target_archE4294967295ELNS1_3gpuE0ELNS1_3repE0EEENS1_30default_config_static_selectorELNS0_4arch9wavefront6targetE0EEEvT1_.num_named_barrier, 0
	.set _ZN7rocprim17ROCPRIM_400000_NS6detail17trampoline_kernelINS0_14default_configENS1_25partition_config_selectorILNS1_17partition_subalgoE8ElNS0_10empty_typeEbEEZZNS1_14partition_implILS5_8ELb0ES3_jPlPS6_PKS6_NS0_5tupleIJS9_S6_EEENSD_IJSA_SA_EEENS0_18inequality_wrapperIZN2at6native12_GLOBAL__N_124unique_dim_cuda_templateIfEESt5tupleIJNSH_6TensorESM_SM_EERKSM_lbbbEUlllE0_EEPmJS6_EEE10hipError_tPvRmT3_T4_T5_T6_T7_T9_mT8_P12ihipStream_tbDpT10_ENKUlT_T0_E_clISt17integral_constantIbLb0EES1C_EEDaS17_S18_EUlS17_E_NS1_11comp_targetILNS1_3genE0ELNS1_11target_archE4294967295ELNS1_3gpuE0ELNS1_3repE0EEENS1_30default_config_static_selectorELNS0_4arch9wavefront6targetE0EEEvT1_.private_seg_size, 0
	.set _ZN7rocprim17ROCPRIM_400000_NS6detail17trampoline_kernelINS0_14default_configENS1_25partition_config_selectorILNS1_17partition_subalgoE8ElNS0_10empty_typeEbEEZZNS1_14partition_implILS5_8ELb0ES3_jPlPS6_PKS6_NS0_5tupleIJS9_S6_EEENSD_IJSA_SA_EEENS0_18inequality_wrapperIZN2at6native12_GLOBAL__N_124unique_dim_cuda_templateIfEESt5tupleIJNSH_6TensorESM_SM_EERKSM_lbbbEUlllE0_EEPmJS6_EEE10hipError_tPvRmT3_T4_T5_T6_T7_T9_mT8_P12ihipStream_tbDpT10_ENKUlT_T0_E_clISt17integral_constantIbLb0EES1C_EEDaS17_S18_EUlS17_E_NS1_11comp_targetILNS1_3genE0ELNS1_11target_archE4294967295ELNS1_3gpuE0ELNS1_3repE0EEENS1_30default_config_static_selectorELNS0_4arch9wavefront6targetE0EEEvT1_.uses_vcc, 1
	.set _ZN7rocprim17ROCPRIM_400000_NS6detail17trampoline_kernelINS0_14default_configENS1_25partition_config_selectorILNS1_17partition_subalgoE8ElNS0_10empty_typeEbEEZZNS1_14partition_implILS5_8ELb0ES3_jPlPS6_PKS6_NS0_5tupleIJS9_S6_EEENSD_IJSA_SA_EEENS0_18inequality_wrapperIZN2at6native12_GLOBAL__N_124unique_dim_cuda_templateIfEESt5tupleIJNSH_6TensorESM_SM_EERKSM_lbbbEUlllE0_EEPmJS6_EEE10hipError_tPvRmT3_T4_T5_T6_T7_T9_mT8_P12ihipStream_tbDpT10_ENKUlT_T0_E_clISt17integral_constantIbLb0EES1C_EEDaS17_S18_EUlS17_E_NS1_11comp_targetILNS1_3genE0ELNS1_11target_archE4294967295ELNS1_3gpuE0ELNS1_3repE0EEENS1_30default_config_static_selectorELNS0_4arch9wavefront6targetE0EEEvT1_.uses_flat_scratch, 0
	.set _ZN7rocprim17ROCPRIM_400000_NS6detail17trampoline_kernelINS0_14default_configENS1_25partition_config_selectorILNS1_17partition_subalgoE8ElNS0_10empty_typeEbEEZZNS1_14partition_implILS5_8ELb0ES3_jPlPS6_PKS6_NS0_5tupleIJS9_S6_EEENSD_IJSA_SA_EEENS0_18inequality_wrapperIZN2at6native12_GLOBAL__N_124unique_dim_cuda_templateIfEESt5tupleIJNSH_6TensorESM_SM_EERKSM_lbbbEUlllE0_EEPmJS6_EEE10hipError_tPvRmT3_T4_T5_T6_T7_T9_mT8_P12ihipStream_tbDpT10_ENKUlT_T0_E_clISt17integral_constantIbLb0EES1C_EEDaS17_S18_EUlS17_E_NS1_11comp_targetILNS1_3genE0ELNS1_11target_archE4294967295ELNS1_3gpuE0ELNS1_3repE0EEENS1_30default_config_static_selectorELNS0_4arch9wavefront6targetE0EEEvT1_.has_dyn_sized_stack, 0
	.set _ZN7rocprim17ROCPRIM_400000_NS6detail17trampoline_kernelINS0_14default_configENS1_25partition_config_selectorILNS1_17partition_subalgoE8ElNS0_10empty_typeEbEEZZNS1_14partition_implILS5_8ELb0ES3_jPlPS6_PKS6_NS0_5tupleIJS9_S6_EEENSD_IJSA_SA_EEENS0_18inequality_wrapperIZN2at6native12_GLOBAL__N_124unique_dim_cuda_templateIfEESt5tupleIJNSH_6TensorESM_SM_EERKSM_lbbbEUlllE0_EEPmJS6_EEE10hipError_tPvRmT3_T4_T5_T6_T7_T9_mT8_P12ihipStream_tbDpT10_ENKUlT_T0_E_clISt17integral_constantIbLb0EES1C_EEDaS17_S18_EUlS17_E_NS1_11comp_targetILNS1_3genE0ELNS1_11target_archE4294967295ELNS1_3gpuE0ELNS1_3repE0EEENS1_30default_config_static_selectorELNS0_4arch9wavefront6targetE0EEEvT1_.has_recursion, 0
	.set _ZN7rocprim17ROCPRIM_400000_NS6detail17trampoline_kernelINS0_14default_configENS1_25partition_config_selectorILNS1_17partition_subalgoE8ElNS0_10empty_typeEbEEZZNS1_14partition_implILS5_8ELb0ES3_jPlPS6_PKS6_NS0_5tupleIJS9_S6_EEENSD_IJSA_SA_EEENS0_18inequality_wrapperIZN2at6native12_GLOBAL__N_124unique_dim_cuda_templateIfEESt5tupleIJNSH_6TensorESM_SM_EERKSM_lbbbEUlllE0_EEPmJS6_EEE10hipError_tPvRmT3_T4_T5_T6_T7_T9_mT8_P12ihipStream_tbDpT10_ENKUlT_T0_E_clISt17integral_constantIbLb0EES1C_EEDaS17_S18_EUlS17_E_NS1_11comp_targetILNS1_3genE0ELNS1_11target_archE4294967295ELNS1_3gpuE0ELNS1_3repE0EEENS1_30default_config_static_selectorELNS0_4arch9wavefront6targetE0EEEvT1_.has_indirect_call, 0
	.section	.AMDGPU.csdata,"",@progbits
; Kernel info:
; codeLenInByte = 10408
; TotalNumSgprs: 38
; NumVgprs: 54
; ScratchSize: 0
; MemoryBound: 0
; FloatMode: 240
; IeeeMode: 1
; LDSByteSize: 28680 bytes/workgroup (compile time only)
; SGPRBlocks: 0
; VGPRBlocks: 3
; NumSGPRsForWavesPerEU: 38
; NumVGPRsForWavesPerEU: 54
; NamedBarCnt: 0
; Occupancy: 16
; WaveLimiterHint : 1
; COMPUTE_PGM_RSRC2:SCRATCH_EN: 0
; COMPUTE_PGM_RSRC2:USER_SGPR: 2
; COMPUTE_PGM_RSRC2:TRAP_HANDLER: 0
; COMPUTE_PGM_RSRC2:TGID_X_EN: 1
; COMPUTE_PGM_RSRC2:TGID_Y_EN: 0
; COMPUTE_PGM_RSRC2:TGID_Z_EN: 0
; COMPUTE_PGM_RSRC2:TIDIG_COMP_CNT: 0
	.section	.text._ZN7rocprim17ROCPRIM_400000_NS6detail17trampoline_kernelINS0_14default_configENS1_25partition_config_selectorILNS1_17partition_subalgoE8ElNS0_10empty_typeEbEEZZNS1_14partition_implILS5_8ELb0ES3_jPlPS6_PKS6_NS0_5tupleIJS9_S6_EEENSD_IJSA_SA_EEENS0_18inequality_wrapperIZN2at6native12_GLOBAL__N_124unique_dim_cuda_templateIfEESt5tupleIJNSH_6TensorESM_SM_EERKSM_lbbbEUlllE0_EEPmJS6_EEE10hipError_tPvRmT3_T4_T5_T6_T7_T9_mT8_P12ihipStream_tbDpT10_ENKUlT_T0_E_clISt17integral_constantIbLb0EES1C_EEDaS17_S18_EUlS17_E_NS1_11comp_targetILNS1_3genE5ELNS1_11target_archE942ELNS1_3gpuE9ELNS1_3repE0EEENS1_30default_config_static_selectorELNS0_4arch9wavefront6targetE0EEEvT1_,"axG",@progbits,_ZN7rocprim17ROCPRIM_400000_NS6detail17trampoline_kernelINS0_14default_configENS1_25partition_config_selectorILNS1_17partition_subalgoE8ElNS0_10empty_typeEbEEZZNS1_14partition_implILS5_8ELb0ES3_jPlPS6_PKS6_NS0_5tupleIJS9_S6_EEENSD_IJSA_SA_EEENS0_18inequality_wrapperIZN2at6native12_GLOBAL__N_124unique_dim_cuda_templateIfEESt5tupleIJNSH_6TensorESM_SM_EERKSM_lbbbEUlllE0_EEPmJS6_EEE10hipError_tPvRmT3_T4_T5_T6_T7_T9_mT8_P12ihipStream_tbDpT10_ENKUlT_T0_E_clISt17integral_constantIbLb0EES1C_EEDaS17_S18_EUlS17_E_NS1_11comp_targetILNS1_3genE5ELNS1_11target_archE942ELNS1_3gpuE9ELNS1_3repE0EEENS1_30default_config_static_selectorELNS0_4arch9wavefront6targetE0EEEvT1_,comdat
	.globl	_ZN7rocprim17ROCPRIM_400000_NS6detail17trampoline_kernelINS0_14default_configENS1_25partition_config_selectorILNS1_17partition_subalgoE8ElNS0_10empty_typeEbEEZZNS1_14partition_implILS5_8ELb0ES3_jPlPS6_PKS6_NS0_5tupleIJS9_S6_EEENSD_IJSA_SA_EEENS0_18inequality_wrapperIZN2at6native12_GLOBAL__N_124unique_dim_cuda_templateIfEESt5tupleIJNSH_6TensorESM_SM_EERKSM_lbbbEUlllE0_EEPmJS6_EEE10hipError_tPvRmT3_T4_T5_T6_T7_T9_mT8_P12ihipStream_tbDpT10_ENKUlT_T0_E_clISt17integral_constantIbLb0EES1C_EEDaS17_S18_EUlS17_E_NS1_11comp_targetILNS1_3genE5ELNS1_11target_archE942ELNS1_3gpuE9ELNS1_3repE0EEENS1_30default_config_static_selectorELNS0_4arch9wavefront6targetE0EEEvT1_ ; -- Begin function _ZN7rocprim17ROCPRIM_400000_NS6detail17trampoline_kernelINS0_14default_configENS1_25partition_config_selectorILNS1_17partition_subalgoE8ElNS0_10empty_typeEbEEZZNS1_14partition_implILS5_8ELb0ES3_jPlPS6_PKS6_NS0_5tupleIJS9_S6_EEENSD_IJSA_SA_EEENS0_18inequality_wrapperIZN2at6native12_GLOBAL__N_124unique_dim_cuda_templateIfEESt5tupleIJNSH_6TensorESM_SM_EERKSM_lbbbEUlllE0_EEPmJS6_EEE10hipError_tPvRmT3_T4_T5_T6_T7_T9_mT8_P12ihipStream_tbDpT10_ENKUlT_T0_E_clISt17integral_constantIbLb0EES1C_EEDaS17_S18_EUlS17_E_NS1_11comp_targetILNS1_3genE5ELNS1_11target_archE942ELNS1_3gpuE9ELNS1_3repE0EEENS1_30default_config_static_selectorELNS0_4arch9wavefront6targetE0EEEvT1_
	.p2align	8
	.type	_ZN7rocprim17ROCPRIM_400000_NS6detail17trampoline_kernelINS0_14default_configENS1_25partition_config_selectorILNS1_17partition_subalgoE8ElNS0_10empty_typeEbEEZZNS1_14partition_implILS5_8ELb0ES3_jPlPS6_PKS6_NS0_5tupleIJS9_S6_EEENSD_IJSA_SA_EEENS0_18inequality_wrapperIZN2at6native12_GLOBAL__N_124unique_dim_cuda_templateIfEESt5tupleIJNSH_6TensorESM_SM_EERKSM_lbbbEUlllE0_EEPmJS6_EEE10hipError_tPvRmT3_T4_T5_T6_T7_T9_mT8_P12ihipStream_tbDpT10_ENKUlT_T0_E_clISt17integral_constantIbLb0EES1C_EEDaS17_S18_EUlS17_E_NS1_11comp_targetILNS1_3genE5ELNS1_11target_archE942ELNS1_3gpuE9ELNS1_3repE0EEENS1_30default_config_static_selectorELNS0_4arch9wavefront6targetE0EEEvT1_,@function
_ZN7rocprim17ROCPRIM_400000_NS6detail17trampoline_kernelINS0_14default_configENS1_25partition_config_selectorILNS1_17partition_subalgoE8ElNS0_10empty_typeEbEEZZNS1_14partition_implILS5_8ELb0ES3_jPlPS6_PKS6_NS0_5tupleIJS9_S6_EEENSD_IJSA_SA_EEENS0_18inequality_wrapperIZN2at6native12_GLOBAL__N_124unique_dim_cuda_templateIfEESt5tupleIJNSH_6TensorESM_SM_EERKSM_lbbbEUlllE0_EEPmJS6_EEE10hipError_tPvRmT3_T4_T5_T6_T7_T9_mT8_P12ihipStream_tbDpT10_ENKUlT_T0_E_clISt17integral_constantIbLb0EES1C_EEDaS17_S18_EUlS17_E_NS1_11comp_targetILNS1_3genE5ELNS1_11target_archE942ELNS1_3gpuE9ELNS1_3repE0EEENS1_30default_config_static_selectorELNS0_4arch9wavefront6targetE0EEEvT1_: ; @_ZN7rocprim17ROCPRIM_400000_NS6detail17trampoline_kernelINS0_14default_configENS1_25partition_config_selectorILNS1_17partition_subalgoE8ElNS0_10empty_typeEbEEZZNS1_14partition_implILS5_8ELb0ES3_jPlPS6_PKS6_NS0_5tupleIJS9_S6_EEENSD_IJSA_SA_EEENS0_18inequality_wrapperIZN2at6native12_GLOBAL__N_124unique_dim_cuda_templateIfEESt5tupleIJNSH_6TensorESM_SM_EERKSM_lbbbEUlllE0_EEPmJS6_EEE10hipError_tPvRmT3_T4_T5_T6_T7_T9_mT8_P12ihipStream_tbDpT10_ENKUlT_T0_E_clISt17integral_constantIbLb0EES1C_EEDaS17_S18_EUlS17_E_NS1_11comp_targetILNS1_3genE5ELNS1_11target_archE942ELNS1_3gpuE9ELNS1_3repE0EEENS1_30default_config_static_selectorELNS0_4arch9wavefront6targetE0EEEvT1_
; %bb.0:
	.section	.rodata,"a",@progbits
	.p2align	6, 0x0
	.amdhsa_kernel _ZN7rocprim17ROCPRIM_400000_NS6detail17trampoline_kernelINS0_14default_configENS1_25partition_config_selectorILNS1_17partition_subalgoE8ElNS0_10empty_typeEbEEZZNS1_14partition_implILS5_8ELb0ES3_jPlPS6_PKS6_NS0_5tupleIJS9_S6_EEENSD_IJSA_SA_EEENS0_18inequality_wrapperIZN2at6native12_GLOBAL__N_124unique_dim_cuda_templateIfEESt5tupleIJNSH_6TensorESM_SM_EERKSM_lbbbEUlllE0_EEPmJS6_EEE10hipError_tPvRmT3_T4_T5_T6_T7_T9_mT8_P12ihipStream_tbDpT10_ENKUlT_T0_E_clISt17integral_constantIbLb0EES1C_EEDaS17_S18_EUlS17_E_NS1_11comp_targetILNS1_3genE5ELNS1_11target_archE942ELNS1_3gpuE9ELNS1_3repE0EEENS1_30default_config_static_selectorELNS0_4arch9wavefront6targetE0EEEvT1_
		.amdhsa_group_segment_fixed_size 0
		.amdhsa_private_segment_fixed_size 0
		.amdhsa_kernarg_size 120
		.amdhsa_user_sgpr_count 2
		.amdhsa_user_sgpr_dispatch_ptr 0
		.amdhsa_user_sgpr_queue_ptr 0
		.amdhsa_user_sgpr_kernarg_segment_ptr 1
		.amdhsa_user_sgpr_dispatch_id 0
		.amdhsa_user_sgpr_kernarg_preload_length 0
		.amdhsa_user_sgpr_kernarg_preload_offset 0
		.amdhsa_user_sgpr_private_segment_size 0
		.amdhsa_wavefront_size32 1
		.amdhsa_uses_dynamic_stack 0
		.amdhsa_enable_private_segment 0
		.amdhsa_system_sgpr_workgroup_id_x 1
		.amdhsa_system_sgpr_workgroup_id_y 0
		.amdhsa_system_sgpr_workgroup_id_z 0
		.amdhsa_system_sgpr_workgroup_info 0
		.amdhsa_system_vgpr_workitem_id 0
		.amdhsa_next_free_vgpr 1
		.amdhsa_next_free_sgpr 1
		.amdhsa_named_barrier_count 0
		.amdhsa_reserve_vcc 0
		.amdhsa_float_round_mode_32 0
		.amdhsa_float_round_mode_16_64 0
		.amdhsa_float_denorm_mode_32 3
		.amdhsa_float_denorm_mode_16_64 3
		.amdhsa_fp16_overflow 0
		.amdhsa_memory_ordered 1
		.amdhsa_forward_progress 1
		.amdhsa_inst_pref_size 0
		.amdhsa_round_robin_scheduling 0
		.amdhsa_exception_fp_ieee_invalid_op 0
		.amdhsa_exception_fp_denorm_src 0
		.amdhsa_exception_fp_ieee_div_zero 0
		.amdhsa_exception_fp_ieee_overflow 0
		.amdhsa_exception_fp_ieee_underflow 0
		.amdhsa_exception_fp_ieee_inexact 0
		.amdhsa_exception_int_div_zero 0
	.end_amdhsa_kernel
	.section	.text._ZN7rocprim17ROCPRIM_400000_NS6detail17trampoline_kernelINS0_14default_configENS1_25partition_config_selectorILNS1_17partition_subalgoE8ElNS0_10empty_typeEbEEZZNS1_14partition_implILS5_8ELb0ES3_jPlPS6_PKS6_NS0_5tupleIJS9_S6_EEENSD_IJSA_SA_EEENS0_18inequality_wrapperIZN2at6native12_GLOBAL__N_124unique_dim_cuda_templateIfEESt5tupleIJNSH_6TensorESM_SM_EERKSM_lbbbEUlllE0_EEPmJS6_EEE10hipError_tPvRmT3_T4_T5_T6_T7_T9_mT8_P12ihipStream_tbDpT10_ENKUlT_T0_E_clISt17integral_constantIbLb0EES1C_EEDaS17_S18_EUlS17_E_NS1_11comp_targetILNS1_3genE5ELNS1_11target_archE942ELNS1_3gpuE9ELNS1_3repE0EEENS1_30default_config_static_selectorELNS0_4arch9wavefront6targetE0EEEvT1_,"axG",@progbits,_ZN7rocprim17ROCPRIM_400000_NS6detail17trampoline_kernelINS0_14default_configENS1_25partition_config_selectorILNS1_17partition_subalgoE8ElNS0_10empty_typeEbEEZZNS1_14partition_implILS5_8ELb0ES3_jPlPS6_PKS6_NS0_5tupleIJS9_S6_EEENSD_IJSA_SA_EEENS0_18inequality_wrapperIZN2at6native12_GLOBAL__N_124unique_dim_cuda_templateIfEESt5tupleIJNSH_6TensorESM_SM_EERKSM_lbbbEUlllE0_EEPmJS6_EEE10hipError_tPvRmT3_T4_T5_T6_T7_T9_mT8_P12ihipStream_tbDpT10_ENKUlT_T0_E_clISt17integral_constantIbLb0EES1C_EEDaS17_S18_EUlS17_E_NS1_11comp_targetILNS1_3genE5ELNS1_11target_archE942ELNS1_3gpuE9ELNS1_3repE0EEENS1_30default_config_static_selectorELNS0_4arch9wavefront6targetE0EEEvT1_,comdat
.Lfunc_end930:
	.size	_ZN7rocprim17ROCPRIM_400000_NS6detail17trampoline_kernelINS0_14default_configENS1_25partition_config_selectorILNS1_17partition_subalgoE8ElNS0_10empty_typeEbEEZZNS1_14partition_implILS5_8ELb0ES3_jPlPS6_PKS6_NS0_5tupleIJS9_S6_EEENSD_IJSA_SA_EEENS0_18inequality_wrapperIZN2at6native12_GLOBAL__N_124unique_dim_cuda_templateIfEESt5tupleIJNSH_6TensorESM_SM_EERKSM_lbbbEUlllE0_EEPmJS6_EEE10hipError_tPvRmT3_T4_T5_T6_T7_T9_mT8_P12ihipStream_tbDpT10_ENKUlT_T0_E_clISt17integral_constantIbLb0EES1C_EEDaS17_S18_EUlS17_E_NS1_11comp_targetILNS1_3genE5ELNS1_11target_archE942ELNS1_3gpuE9ELNS1_3repE0EEENS1_30default_config_static_selectorELNS0_4arch9wavefront6targetE0EEEvT1_, .Lfunc_end930-_ZN7rocprim17ROCPRIM_400000_NS6detail17trampoline_kernelINS0_14default_configENS1_25partition_config_selectorILNS1_17partition_subalgoE8ElNS0_10empty_typeEbEEZZNS1_14partition_implILS5_8ELb0ES3_jPlPS6_PKS6_NS0_5tupleIJS9_S6_EEENSD_IJSA_SA_EEENS0_18inequality_wrapperIZN2at6native12_GLOBAL__N_124unique_dim_cuda_templateIfEESt5tupleIJNSH_6TensorESM_SM_EERKSM_lbbbEUlllE0_EEPmJS6_EEE10hipError_tPvRmT3_T4_T5_T6_T7_T9_mT8_P12ihipStream_tbDpT10_ENKUlT_T0_E_clISt17integral_constantIbLb0EES1C_EEDaS17_S18_EUlS17_E_NS1_11comp_targetILNS1_3genE5ELNS1_11target_archE942ELNS1_3gpuE9ELNS1_3repE0EEENS1_30default_config_static_selectorELNS0_4arch9wavefront6targetE0EEEvT1_
                                        ; -- End function
	.set _ZN7rocprim17ROCPRIM_400000_NS6detail17trampoline_kernelINS0_14default_configENS1_25partition_config_selectorILNS1_17partition_subalgoE8ElNS0_10empty_typeEbEEZZNS1_14partition_implILS5_8ELb0ES3_jPlPS6_PKS6_NS0_5tupleIJS9_S6_EEENSD_IJSA_SA_EEENS0_18inequality_wrapperIZN2at6native12_GLOBAL__N_124unique_dim_cuda_templateIfEESt5tupleIJNSH_6TensorESM_SM_EERKSM_lbbbEUlllE0_EEPmJS6_EEE10hipError_tPvRmT3_T4_T5_T6_T7_T9_mT8_P12ihipStream_tbDpT10_ENKUlT_T0_E_clISt17integral_constantIbLb0EES1C_EEDaS17_S18_EUlS17_E_NS1_11comp_targetILNS1_3genE5ELNS1_11target_archE942ELNS1_3gpuE9ELNS1_3repE0EEENS1_30default_config_static_selectorELNS0_4arch9wavefront6targetE0EEEvT1_.num_vgpr, 0
	.set _ZN7rocprim17ROCPRIM_400000_NS6detail17trampoline_kernelINS0_14default_configENS1_25partition_config_selectorILNS1_17partition_subalgoE8ElNS0_10empty_typeEbEEZZNS1_14partition_implILS5_8ELb0ES3_jPlPS6_PKS6_NS0_5tupleIJS9_S6_EEENSD_IJSA_SA_EEENS0_18inequality_wrapperIZN2at6native12_GLOBAL__N_124unique_dim_cuda_templateIfEESt5tupleIJNSH_6TensorESM_SM_EERKSM_lbbbEUlllE0_EEPmJS6_EEE10hipError_tPvRmT3_T4_T5_T6_T7_T9_mT8_P12ihipStream_tbDpT10_ENKUlT_T0_E_clISt17integral_constantIbLb0EES1C_EEDaS17_S18_EUlS17_E_NS1_11comp_targetILNS1_3genE5ELNS1_11target_archE942ELNS1_3gpuE9ELNS1_3repE0EEENS1_30default_config_static_selectorELNS0_4arch9wavefront6targetE0EEEvT1_.num_agpr, 0
	.set _ZN7rocprim17ROCPRIM_400000_NS6detail17trampoline_kernelINS0_14default_configENS1_25partition_config_selectorILNS1_17partition_subalgoE8ElNS0_10empty_typeEbEEZZNS1_14partition_implILS5_8ELb0ES3_jPlPS6_PKS6_NS0_5tupleIJS9_S6_EEENSD_IJSA_SA_EEENS0_18inequality_wrapperIZN2at6native12_GLOBAL__N_124unique_dim_cuda_templateIfEESt5tupleIJNSH_6TensorESM_SM_EERKSM_lbbbEUlllE0_EEPmJS6_EEE10hipError_tPvRmT3_T4_T5_T6_T7_T9_mT8_P12ihipStream_tbDpT10_ENKUlT_T0_E_clISt17integral_constantIbLb0EES1C_EEDaS17_S18_EUlS17_E_NS1_11comp_targetILNS1_3genE5ELNS1_11target_archE942ELNS1_3gpuE9ELNS1_3repE0EEENS1_30default_config_static_selectorELNS0_4arch9wavefront6targetE0EEEvT1_.numbered_sgpr, 0
	.set _ZN7rocprim17ROCPRIM_400000_NS6detail17trampoline_kernelINS0_14default_configENS1_25partition_config_selectorILNS1_17partition_subalgoE8ElNS0_10empty_typeEbEEZZNS1_14partition_implILS5_8ELb0ES3_jPlPS6_PKS6_NS0_5tupleIJS9_S6_EEENSD_IJSA_SA_EEENS0_18inequality_wrapperIZN2at6native12_GLOBAL__N_124unique_dim_cuda_templateIfEESt5tupleIJNSH_6TensorESM_SM_EERKSM_lbbbEUlllE0_EEPmJS6_EEE10hipError_tPvRmT3_T4_T5_T6_T7_T9_mT8_P12ihipStream_tbDpT10_ENKUlT_T0_E_clISt17integral_constantIbLb0EES1C_EEDaS17_S18_EUlS17_E_NS1_11comp_targetILNS1_3genE5ELNS1_11target_archE942ELNS1_3gpuE9ELNS1_3repE0EEENS1_30default_config_static_selectorELNS0_4arch9wavefront6targetE0EEEvT1_.num_named_barrier, 0
	.set _ZN7rocprim17ROCPRIM_400000_NS6detail17trampoline_kernelINS0_14default_configENS1_25partition_config_selectorILNS1_17partition_subalgoE8ElNS0_10empty_typeEbEEZZNS1_14partition_implILS5_8ELb0ES3_jPlPS6_PKS6_NS0_5tupleIJS9_S6_EEENSD_IJSA_SA_EEENS0_18inequality_wrapperIZN2at6native12_GLOBAL__N_124unique_dim_cuda_templateIfEESt5tupleIJNSH_6TensorESM_SM_EERKSM_lbbbEUlllE0_EEPmJS6_EEE10hipError_tPvRmT3_T4_T5_T6_T7_T9_mT8_P12ihipStream_tbDpT10_ENKUlT_T0_E_clISt17integral_constantIbLb0EES1C_EEDaS17_S18_EUlS17_E_NS1_11comp_targetILNS1_3genE5ELNS1_11target_archE942ELNS1_3gpuE9ELNS1_3repE0EEENS1_30default_config_static_selectorELNS0_4arch9wavefront6targetE0EEEvT1_.private_seg_size, 0
	.set _ZN7rocprim17ROCPRIM_400000_NS6detail17trampoline_kernelINS0_14default_configENS1_25partition_config_selectorILNS1_17partition_subalgoE8ElNS0_10empty_typeEbEEZZNS1_14partition_implILS5_8ELb0ES3_jPlPS6_PKS6_NS0_5tupleIJS9_S6_EEENSD_IJSA_SA_EEENS0_18inequality_wrapperIZN2at6native12_GLOBAL__N_124unique_dim_cuda_templateIfEESt5tupleIJNSH_6TensorESM_SM_EERKSM_lbbbEUlllE0_EEPmJS6_EEE10hipError_tPvRmT3_T4_T5_T6_T7_T9_mT8_P12ihipStream_tbDpT10_ENKUlT_T0_E_clISt17integral_constantIbLb0EES1C_EEDaS17_S18_EUlS17_E_NS1_11comp_targetILNS1_3genE5ELNS1_11target_archE942ELNS1_3gpuE9ELNS1_3repE0EEENS1_30default_config_static_selectorELNS0_4arch9wavefront6targetE0EEEvT1_.uses_vcc, 0
	.set _ZN7rocprim17ROCPRIM_400000_NS6detail17trampoline_kernelINS0_14default_configENS1_25partition_config_selectorILNS1_17partition_subalgoE8ElNS0_10empty_typeEbEEZZNS1_14partition_implILS5_8ELb0ES3_jPlPS6_PKS6_NS0_5tupleIJS9_S6_EEENSD_IJSA_SA_EEENS0_18inequality_wrapperIZN2at6native12_GLOBAL__N_124unique_dim_cuda_templateIfEESt5tupleIJNSH_6TensorESM_SM_EERKSM_lbbbEUlllE0_EEPmJS6_EEE10hipError_tPvRmT3_T4_T5_T6_T7_T9_mT8_P12ihipStream_tbDpT10_ENKUlT_T0_E_clISt17integral_constantIbLb0EES1C_EEDaS17_S18_EUlS17_E_NS1_11comp_targetILNS1_3genE5ELNS1_11target_archE942ELNS1_3gpuE9ELNS1_3repE0EEENS1_30default_config_static_selectorELNS0_4arch9wavefront6targetE0EEEvT1_.uses_flat_scratch, 0
	.set _ZN7rocprim17ROCPRIM_400000_NS6detail17trampoline_kernelINS0_14default_configENS1_25partition_config_selectorILNS1_17partition_subalgoE8ElNS0_10empty_typeEbEEZZNS1_14partition_implILS5_8ELb0ES3_jPlPS6_PKS6_NS0_5tupleIJS9_S6_EEENSD_IJSA_SA_EEENS0_18inequality_wrapperIZN2at6native12_GLOBAL__N_124unique_dim_cuda_templateIfEESt5tupleIJNSH_6TensorESM_SM_EERKSM_lbbbEUlllE0_EEPmJS6_EEE10hipError_tPvRmT3_T4_T5_T6_T7_T9_mT8_P12ihipStream_tbDpT10_ENKUlT_T0_E_clISt17integral_constantIbLb0EES1C_EEDaS17_S18_EUlS17_E_NS1_11comp_targetILNS1_3genE5ELNS1_11target_archE942ELNS1_3gpuE9ELNS1_3repE0EEENS1_30default_config_static_selectorELNS0_4arch9wavefront6targetE0EEEvT1_.has_dyn_sized_stack, 0
	.set _ZN7rocprim17ROCPRIM_400000_NS6detail17trampoline_kernelINS0_14default_configENS1_25partition_config_selectorILNS1_17partition_subalgoE8ElNS0_10empty_typeEbEEZZNS1_14partition_implILS5_8ELb0ES3_jPlPS6_PKS6_NS0_5tupleIJS9_S6_EEENSD_IJSA_SA_EEENS0_18inequality_wrapperIZN2at6native12_GLOBAL__N_124unique_dim_cuda_templateIfEESt5tupleIJNSH_6TensorESM_SM_EERKSM_lbbbEUlllE0_EEPmJS6_EEE10hipError_tPvRmT3_T4_T5_T6_T7_T9_mT8_P12ihipStream_tbDpT10_ENKUlT_T0_E_clISt17integral_constantIbLb0EES1C_EEDaS17_S18_EUlS17_E_NS1_11comp_targetILNS1_3genE5ELNS1_11target_archE942ELNS1_3gpuE9ELNS1_3repE0EEENS1_30default_config_static_selectorELNS0_4arch9wavefront6targetE0EEEvT1_.has_recursion, 0
	.set _ZN7rocprim17ROCPRIM_400000_NS6detail17trampoline_kernelINS0_14default_configENS1_25partition_config_selectorILNS1_17partition_subalgoE8ElNS0_10empty_typeEbEEZZNS1_14partition_implILS5_8ELb0ES3_jPlPS6_PKS6_NS0_5tupleIJS9_S6_EEENSD_IJSA_SA_EEENS0_18inequality_wrapperIZN2at6native12_GLOBAL__N_124unique_dim_cuda_templateIfEESt5tupleIJNSH_6TensorESM_SM_EERKSM_lbbbEUlllE0_EEPmJS6_EEE10hipError_tPvRmT3_T4_T5_T6_T7_T9_mT8_P12ihipStream_tbDpT10_ENKUlT_T0_E_clISt17integral_constantIbLb0EES1C_EEDaS17_S18_EUlS17_E_NS1_11comp_targetILNS1_3genE5ELNS1_11target_archE942ELNS1_3gpuE9ELNS1_3repE0EEENS1_30default_config_static_selectorELNS0_4arch9wavefront6targetE0EEEvT1_.has_indirect_call, 0
	.section	.AMDGPU.csdata,"",@progbits
; Kernel info:
; codeLenInByte = 0
; TotalNumSgprs: 0
; NumVgprs: 0
; ScratchSize: 0
; MemoryBound: 0
; FloatMode: 240
; IeeeMode: 1
; LDSByteSize: 0 bytes/workgroup (compile time only)
; SGPRBlocks: 0
; VGPRBlocks: 0
; NumSGPRsForWavesPerEU: 1
; NumVGPRsForWavesPerEU: 1
; NamedBarCnt: 0
; Occupancy: 16
; WaveLimiterHint : 0
; COMPUTE_PGM_RSRC2:SCRATCH_EN: 0
; COMPUTE_PGM_RSRC2:USER_SGPR: 2
; COMPUTE_PGM_RSRC2:TRAP_HANDLER: 0
; COMPUTE_PGM_RSRC2:TGID_X_EN: 1
; COMPUTE_PGM_RSRC2:TGID_Y_EN: 0
; COMPUTE_PGM_RSRC2:TGID_Z_EN: 0
; COMPUTE_PGM_RSRC2:TIDIG_COMP_CNT: 0
	.section	.text._ZN7rocprim17ROCPRIM_400000_NS6detail17trampoline_kernelINS0_14default_configENS1_25partition_config_selectorILNS1_17partition_subalgoE8ElNS0_10empty_typeEbEEZZNS1_14partition_implILS5_8ELb0ES3_jPlPS6_PKS6_NS0_5tupleIJS9_S6_EEENSD_IJSA_SA_EEENS0_18inequality_wrapperIZN2at6native12_GLOBAL__N_124unique_dim_cuda_templateIfEESt5tupleIJNSH_6TensorESM_SM_EERKSM_lbbbEUlllE0_EEPmJS6_EEE10hipError_tPvRmT3_T4_T5_T6_T7_T9_mT8_P12ihipStream_tbDpT10_ENKUlT_T0_E_clISt17integral_constantIbLb0EES1C_EEDaS17_S18_EUlS17_E_NS1_11comp_targetILNS1_3genE4ELNS1_11target_archE910ELNS1_3gpuE8ELNS1_3repE0EEENS1_30default_config_static_selectorELNS0_4arch9wavefront6targetE0EEEvT1_,"axG",@progbits,_ZN7rocprim17ROCPRIM_400000_NS6detail17trampoline_kernelINS0_14default_configENS1_25partition_config_selectorILNS1_17partition_subalgoE8ElNS0_10empty_typeEbEEZZNS1_14partition_implILS5_8ELb0ES3_jPlPS6_PKS6_NS0_5tupleIJS9_S6_EEENSD_IJSA_SA_EEENS0_18inequality_wrapperIZN2at6native12_GLOBAL__N_124unique_dim_cuda_templateIfEESt5tupleIJNSH_6TensorESM_SM_EERKSM_lbbbEUlllE0_EEPmJS6_EEE10hipError_tPvRmT3_T4_T5_T6_T7_T9_mT8_P12ihipStream_tbDpT10_ENKUlT_T0_E_clISt17integral_constantIbLb0EES1C_EEDaS17_S18_EUlS17_E_NS1_11comp_targetILNS1_3genE4ELNS1_11target_archE910ELNS1_3gpuE8ELNS1_3repE0EEENS1_30default_config_static_selectorELNS0_4arch9wavefront6targetE0EEEvT1_,comdat
	.globl	_ZN7rocprim17ROCPRIM_400000_NS6detail17trampoline_kernelINS0_14default_configENS1_25partition_config_selectorILNS1_17partition_subalgoE8ElNS0_10empty_typeEbEEZZNS1_14partition_implILS5_8ELb0ES3_jPlPS6_PKS6_NS0_5tupleIJS9_S6_EEENSD_IJSA_SA_EEENS0_18inequality_wrapperIZN2at6native12_GLOBAL__N_124unique_dim_cuda_templateIfEESt5tupleIJNSH_6TensorESM_SM_EERKSM_lbbbEUlllE0_EEPmJS6_EEE10hipError_tPvRmT3_T4_T5_T6_T7_T9_mT8_P12ihipStream_tbDpT10_ENKUlT_T0_E_clISt17integral_constantIbLb0EES1C_EEDaS17_S18_EUlS17_E_NS1_11comp_targetILNS1_3genE4ELNS1_11target_archE910ELNS1_3gpuE8ELNS1_3repE0EEENS1_30default_config_static_selectorELNS0_4arch9wavefront6targetE0EEEvT1_ ; -- Begin function _ZN7rocprim17ROCPRIM_400000_NS6detail17trampoline_kernelINS0_14default_configENS1_25partition_config_selectorILNS1_17partition_subalgoE8ElNS0_10empty_typeEbEEZZNS1_14partition_implILS5_8ELb0ES3_jPlPS6_PKS6_NS0_5tupleIJS9_S6_EEENSD_IJSA_SA_EEENS0_18inequality_wrapperIZN2at6native12_GLOBAL__N_124unique_dim_cuda_templateIfEESt5tupleIJNSH_6TensorESM_SM_EERKSM_lbbbEUlllE0_EEPmJS6_EEE10hipError_tPvRmT3_T4_T5_T6_T7_T9_mT8_P12ihipStream_tbDpT10_ENKUlT_T0_E_clISt17integral_constantIbLb0EES1C_EEDaS17_S18_EUlS17_E_NS1_11comp_targetILNS1_3genE4ELNS1_11target_archE910ELNS1_3gpuE8ELNS1_3repE0EEENS1_30default_config_static_selectorELNS0_4arch9wavefront6targetE0EEEvT1_
	.p2align	8
	.type	_ZN7rocprim17ROCPRIM_400000_NS6detail17trampoline_kernelINS0_14default_configENS1_25partition_config_selectorILNS1_17partition_subalgoE8ElNS0_10empty_typeEbEEZZNS1_14partition_implILS5_8ELb0ES3_jPlPS6_PKS6_NS0_5tupleIJS9_S6_EEENSD_IJSA_SA_EEENS0_18inequality_wrapperIZN2at6native12_GLOBAL__N_124unique_dim_cuda_templateIfEESt5tupleIJNSH_6TensorESM_SM_EERKSM_lbbbEUlllE0_EEPmJS6_EEE10hipError_tPvRmT3_T4_T5_T6_T7_T9_mT8_P12ihipStream_tbDpT10_ENKUlT_T0_E_clISt17integral_constantIbLb0EES1C_EEDaS17_S18_EUlS17_E_NS1_11comp_targetILNS1_3genE4ELNS1_11target_archE910ELNS1_3gpuE8ELNS1_3repE0EEENS1_30default_config_static_selectorELNS0_4arch9wavefront6targetE0EEEvT1_,@function
_ZN7rocprim17ROCPRIM_400000_NS6detail17trampoline_kernelINS0_14default_configENS1_25partition_config_selectorILNS1_17partition_subalgoE8ElNS0_10empty_typeEbEEZZNS1_14partition_implILS5_8ELb0ES3_jPlPS6_PKS6_NS0_5tupleIJS9_S6_EEENSD_IJSA_SA_EEENS0_18inequality_wrapperIZN2at6native12_GLOBAL__N_124unique_dim_cuda_templateIfEESt5tupleIJNSH_6TensorESM_SM_EERKSM_lbbbEUlllE0_EEPmJS6_EEE10hipError_tPvRmT3_T4_T5_T6_T7_T9_mT8_P12ihipStream_tbDpT10_ENKUlT_T0_E_clISt17integral_constantIbLb0EES1C_EEDaS17_S18_EUlS17_E_NS1_11comp_targetILNS1_3genE4ELNS1_11target_archE910ELNS1_3gpuE8ELNS1_3repE0EEENS1_30default_config_static_selectorELNS0_4arch9wavefront6targetE0EEEvT1_: ; @_ZN7rocprim17ROCPRIM_400000_NS6detail17trampoline_kernelINS0_14default_configENS1_25partition_config_selectorILNS1_17partition_subalgoE8ElNS0_10empty_typeEbEEZZNS1_14partition_implILS5_8ELb0ES3_jPlPS6_PKS6_NS0_5tupleIJS9_S6_EEENSD_IJSA_SA_EEENS0_18inequality_wrapperIZN2at6native12_GLOBAL__N_124unique_dim_cuda_templateIfEESt5tupleIJNSH_6TensorESM_SM_EERKSM_lbbbEUlllE0_EEPmJS6_EEE10hipError_tPvRmT3_T4_T5_T6_T7_T9_mT8_P12ihipStream_tbDpT10_ENKUlT_T0_E_clISt17integral_constantIbLb0EES1C_EEDaS17_S18_EUlS17_E_NS1_11comp_targetILNS1_3genE4ELNS1_11target_archE910ELNS1_3gpuE8ELNS1_3repE0EEENS1_30default_config_static_selectorELNS0_4arch9wavefront6targetE0EEEvT1_
; %bb.0:
	.section	.rodata,"a",@progbits
	.p2align	6, 0x0
	.amdhsa_kernel _ZN7rocprim17ROCPRIM_400000_NS6detail17trampoline_kernelINS0_14default_configENS1_25partition_config_selectorILNS1_17partition_subalgoE8ElNS0_10empty_typeEbEEZZNS1_14partition_implILS5_8ELb0ES3_jPlPS6_PKS6_NS0_5tupleIJS9_S6_EEENSD_IJSA_SA_EEENS0_18inequality_wrapperIZN2at6native12_GLOBAL__N_124unique_dim_cuda_templateIfEESt5tupleIJNSH_6TensorESM_SM_EERKSM_lbbbEUlllE0_EEPmJS6_EEE10hipError_tPvRmT3_T4_T5_T6_T7_T9_mT8_P12ihipStream_tbDpT10_ENKUlT_T0_E_clISt17integral_constantIbLb0EES1C_EEDaS17_S18_EUlS17_E_NS1_11comp_targetILNS1_3genE4ELNS1_11target_archE910ELNS1_3gpuE8ELNS1_3repE0EEENS1_30default_config_static_selectorELNS0_4arch9wavefront6targetE0EEEvT1_
		.amdhsa_group_segment_fixed_size 0
		.amdhsa_private_segment_fixed_size 0
		.amdhsa_kernarg_size 120
		.amdhsa_user_sgpr_count 2
		.amdhsa_user_sgpr_dispatch_ptr 0
		.amdhsa_user_sgpr_queue_ptr 0
		.amdhsa_user_sgpr_kernarg_segment_ptr 1
		.amdhsa_user_sgpr_dispatch_id 0
		.amdhsa_user_sgpr_kernarg_preload_length 0
		.amdhsa_user_sgpr_kernarg_preload_offset 0
		.amdhsa_user_sgpr_private_segment_size 0
		.amdhsa_wavefront_size32 1
		.amdhsa_uses_dynamic_stack 0
		.amdhsa_enable_private_segment 0
		.amdhsa_system_sgpr_workgroup_id_x 1
		.amdhsa_system_sgpr_workgroup_id_y 0
		.amdhsa_system_sgpr_workgroup_id_z 0
		.amdhsa_system_sgpr_workgroup_info 0
		.amdhsa_system_vgpr_workitem_id 0
		.amdhsa_next_free_vgpr 1
		.amdhsa_next_free_sgpr 1
		.amdhsa_named_barrier_count 0
		.amdhsa_reserve_vcc 0
		.amdhsa_float_round_mode_32 0
		.amdhsa_float_round_mode_16_64 0
		.amdhsa_float_denorm_mode_32 3
		.amdhsa_float_denorm_mode_16_64 3
		.amdhsa_fp16_overflow 0
		.amdhsa_memory_ordered 1
		.amdhsa_forward_progress 1
		.amdhsa_inst_pref_size 0
		.amdhsa_round_robin_scheduling 0
		.amdhsa_exception_fp_ieee_invalid_op 0
		.amdhsa_exception_fp_denorm_src 0
		.amdhsa_exception_fp_ieee_div_zero 0
		.amdhsa_exception_fp_ieee_overflow 0
		.amdhsa_exception_fp_ieee_underflow 0
		.amdhsa_exception_fp_ieee_inexact 0
		.amdhsa_exception_int_div_zero 0
	.end_amdhsa_kernel
	.section	.text._ZN7rocprim17ROCPRIM_400000_NS6detail17trampoline_kernelINS0_14default_configENS1_25partition_config_selectorILNS1_17partition_subalgoE8ElNS0_10empty_typeEbEEZZNS1_14partition_implILS5_8ELb0ES3_jPlPS6_PKS6_NS0_5tupleIJS9_S6_EEENSD_IJSA_SA_EEENS0_18inequality_wrapperIZN2at6native12_GLOBAL__N_124unique_dim_cuda_templateIfEESt5tupleIJNSH_6TensorESM_SM_EERKSM_lbbbEUlllE0_EEPmJS6_EEE10hipError_tPvRmT3_T4_T5_T6_T7_T9_mT8_P12ihipStream_tbDpT10_ENKUlT_T0_E_clISt17integral_constantIbLb0EES1C_EEDaS17_S18_EUlS17_E_NS1_11comp_targetILNS1_3genE4ELNS1_11target_archE910ELNS1_3gpuE8ELNS1_3repE0EEENS1_30default_config_static_selectorELNS0_4arch9wavefront6targetE0EEEvT1_,"axG",@progbits,_ZN7rocprim17ROCPRIM_400000_NS6detail17trampoline_kernelINS0_14default_configENS1_25partition_config_selectorILNS1_17partition_subalgoE8ElNS0_10empty_typeEbEEZZNS1_14partition_implILS5_8ELb0ES3_jPlPS6_PKS6_NS0_5tupleIJS9_S6_EEENSD_IJSA_SA_EEENS0_18inequality_wrapperIZN2at6native12_GLOBAL__N_124unique_dim_cuda_templateIfEESt5tupleIJNSH_6TensorESM_SM_EERKSM_lbbbEUlllE0_EEPmJS6_EEE10hipError_tPvRmT3_T4_T5_T6_T7_T9_mT8_P12ihipStream_tbDpT10_ENKUlT_T0_E_clISt17integral_constantIbLb0EES1C_EEDaS17_S18_EUlS17_E_NS1_11comp_targetILNS1_3genE4ELNS1_11target_archE910ELNS1_3gpuE8ELNS1_3repE0EEENS1_30default_config_static_selectorELNS0_4arch9wavefront6targetE0EEEvT1_,comdat
.Lfunc_end931:
	.size	_ZN7rocprim17ROCPRIM_400000_NS6detail17trampoline_kernelINS0_14default_configENS1_25partition_config_selectorILNS1_17partition_subalgoE8ElNS0_10empty_typeEbEEZZNS1_14partition_implILS5_8ELb0ES3_jPlPS6_PKS6_NS0_5tupleIJS9_S6_EEENSD_IJSA_SA_EEENS0_18inequality_wrapperIZN2at6native12_GLOBAL__N_124unique_dim_cuda_templateIfEESt5tupleIJNSH_6TensorESM_SM_EERKSM_lbbbEUlllE0_EEPmJS6_EEE10hipError_tPvRmT3_T4_T5_T6_T7_T9_mT8_P12ihipStream_tbDpT10_ENKUlT_T0_E_clISt17integral_constantIbLb0EES1C_EEDaS17_S18_EUlS17_E_NS1_11comp_targetILNS1_3genE4ELNS1_11target_archE910ELNS1_3gpuE8ELNS1_3repE0EEENS1_30default_config_static_selectorELNS0_4arch9wavefront6targetE0EEEvT1_, .Lfunc_end931-_ZN7rocprim17ROCPRIM_400000_NS6detail17trampoline_kernelINS0_14default_configENS1_25partition_config_selectorILNS1_17partition_subalgoE8ElNS0_10empty_typeEbEEZZNS1_14partition_implILS5_8ELb0ES3_jPlPS6_PKS6_NS0_5tupleIJS9_S6_EEENSD_IJSA_SA_EEENS0_18inequality_wrapperIZN2at6native12_GLOBAL__N_124unique_dim_cuda_templateIfEESt5tupleIJNSH_6TensorESM_SM_EERKSM_lbbbEUlllE0_EEPmJS6_EEE10hipError_tPvRmT3_T4_T5_T6_T7_T9_mT8_P12ihipStream_tbDpT10_ENKUlT_T0_E_clISt17integral_constantIbLb0EES1C_EEDaS17_S18_EUlS17_E_NS1_11comp_targetILNS1_3genE4ELNS1_11target_archE910ELNS1_3gpuE8ELNS1_3repE0EEENS1_30default_config_static_selectorELNS0_4arch9wavefront6targetE0EEEvT1_
                                        ; -- End function
	.set _ZN7rocprim17ROCPRIM_400000_NS6detail17trampoline_kernelINS0_14default_configENS1_25partition_config_selectorILNS1_17partition_subalgoE8ElNS0_10empty_typeEbEEZZNS1_14partition_implILS5_8ELb0ES3_jPlPS6_PKS6_NS0_5tupleIJS9_S6_EEENSD_IJSA_SA_EEENS0_18inequality_wrapperIZN2at6native12_GLOBAL__N_124unique_dim_cuda_templateIfEESt5tupleIJNSH_6TensorESM_SM_EERKSM_lbbbEUlllE0_EEPmJS6_EEE10hipError_tPvRmT3_T4_T5_T6_T7_T9_mT8_P12ihipStream_tbDpT10_ENKUlT_T0_E_clISt17integral_constantIbLb0EES1C_EEDaS17_S18_EUlS17_E_NS1_11comp_targetILNS1_3genE4ELNS1_11target_archE910ELNS1_3gpuE8ELNS1_3repE0EEENS1_30default_config_static_selectorELNS0_4arch9wavefront6targetE0EEEvT1_.num_vgpr, 0
	.set _ZN7rocprim17ROCPRIM_400000_NS6detail17trampoline_kernelINS0_14default_configENS1_25partition_config_selectorILNS1_17partition_subalgoE8ElNS0_10empty_typeEbEEZZNS1_14partition_implILS5_8ELb0ES3_jPlPS6_PKS6_NS0_5tupleIJS9_S6_EEENSD_IJSA_SA_EEENS0_18inequality_wrapperIZN2at6native12_GLOBAL__N_124unique_dim_cuda_templateIfEESt5tupleIJNSH_6TensorESM_SM_EERKSM_lbbbEUlllE0_EEPmJS6_EEE10hipError_tPvRmT3_T4_T5_T6_T7_T9_mT8_P12ihipStream_tbDpT10_ENKUlT_T0_E_clISt17integral_constantIbLb0EES1C_EEDaS17_S18_EUlS17_E_NS1_11comp_targetILNS1_3genE4ELNS1_11target_archE910ELNS1_3gpuE8ELNS1_3repE0EEENS1_30default_config_static_selectorELNS0_4arch9wavefront6targetE0EEEvT1_.num_agpr, 0
	.set _ZN7rocprim17ROCPRIM_400000_NS6detail17trampoline_kernelINS0_14default_configENS1_25partition_config_selectorILNS1_17partition_subalgoE8ElNS0_10empty_typeEbEEZZNS1_14partition_implILS5_8ELb0ES3_jPlPS6_PKS6_NS0_5tupleIJS9_S6_EEENSD_IJSA_SA_EEENS0_18inequality_wrapperIZN2at6native12_GLOBAL__N_124unique_dim_cuda_templateIfEESt5tupleIJNSH_6TensorESM_SM_EERKSM_lbbbEUlllE0_EEPmJS6_EEE10hipError_tPvRmT3_T4_T5_T6_T7_T9_mT8_P12ihipStream_tbDpT10_ENKUlT_T0_E_clISt17integral_constantIbLb0EES1C_EEDaS17_S18_EUlS17_E_NS1_11comp_targetILNS1_3genE4ELNS1_11target_archE910ELNS1_3gpuE8ELNS1_3repE0EEENS1_30default_config_static_selectorELNS0_4arch9wavefront6targetE0EEEvT1_.numbered_sgpr, 0
	.set _ZN7rocprim17ROCPRIM_400000_NS6detail17trampoline_kernelINS0_14default_configENS1_25partition_config_selectorILNS1_17partition_subalgoE8ElNS0_10empty_typeEbEEZZNS1_14partition_implILS5_8ELb0ES3_jPlPS6_PKS6_NS0_5tupleIJS9_S6_EEENSD_IJSA_SA_EEENS0_18inequality_wrapperIZN2at6native12_GLOBAL__N_124unique_dim_cuda_templateIfEESt5tupleIJNSH_6TensorESM_SM_EERKSM_lbbbEUlllE0_EEPmJS6_EEE10hipError_tPvRmT3_T4_T5_T6_T7_T9_mT8_P12ihipStream_tbDpT10_ENKUlT_T0_E_clISt17integral_constantIbLb0EES1C_EEDaS17_S18_EUlS17_E_NS1_11comp_targetILNS1_3genE4ELNS1_11target_archE910ELNS1_3gpuE8ELNS1_3repE0EEENS1_30default_config_static_selectorELNS0_4arch9wavefront6targetE0EEEvT1_.num_named_barrier, 0
	.set _ZN7rocprim17ROCPRIM_400000_NS6detail17trampoline_kernelINS0_14default_configENS1_25partition_config_selectorILNS1_17partition_subalgoE8ElNS0_10empty_typeEbEEZZNS1_14partition_implILS5_8ELb0ES3_jPlPS6_PKS6_NS0_5tupleIJS9_S6_EEENSD_IJSA_SA_EEENS0_18inequality_wrapperIZN2at6native12_GLOBAL__N_124unique_dim_cuda_templateIfEESt5tupleIJNSH_6TensorESM_SM_EERKSM_lbbbEUlllE0_EEPmJS6_EEE10hipError_tPvRmT3_T4_T5_T6_T7_T9_mT8_P12ihipStream_tbDpT10_ENKUlT_T0_E_clISt17integral_constantIbLb0EES1C_EEDaS17_S18_EUlS17_E_NS1_11comp_targetILNS1_3genE4ELNS1_11target_archE910ELNS1_3gpuE8ELNS1_3repE0EEENS1_30default_config_static_selectorELNS0_4arch9wavefront6targetE0EEEvT1_.private_seg_size, 0
	.set _ZN7rocprim17ROCPRIM_400000_NS6detail17trampoline_kernelINS0_14default_configENS1_25partition_config_selectorILNS1_17partition_subalgoE8ElNS0_10empty_typeEbEEZZNS1_14partition_implILS5_8ELb0ES3_jPlPS6_PKS6_NS0_5tupleIJS9_S6_EEENSD_IJSA_SA_EEENS0_18inequality_wrapperIZN2at6native12_GLOBAL__N_124unique_dim_cuda_templateIfEESt5tupleIJNSH_6TensorESM_SM_EERKSM_lbbbEUlllE0_EEPmJS6_EEE10hipError_tPvRmT3_T4_T5_T6_T7_T9_mT8_P12ihipStream_tbDpT10_ENKUlT_T0_E_clISt17integral_constantIbLb0EES1C_EEDaS17_S18_EUlS17_E_NS1_11comp_targetILNS1_3genE4ELNS1_11target_archE910ELNS1_3gpuE8ELNS1_3repE0EEENS1_30default_config_static_selectorELNS0_4arch9wavefront6targetE0EEEvT1_.uses_vcc, 0
	.set _ZN7rocprim17ROCPRIM_400000_NS6detail17trampoline_kernelINS0_14default_configENS1_25partition_config_selectorILNS1_17partition_subalgoE8ElNS0_10empty_typeEbEEZZNS1_14partition_implILS5_8ELb0ES3_jPlPS6_PKS6_NS0_5tupleIJS9_S6_EEENSD_IJSA_SA_EEENS0_18inequality_wrapperIZN2at6native12_GLOBAL__N_124unique_dim_cuda_templateIfEESt5tupleIJNSH_6TensorESM_SM_EERKSM_lbbbEUlllE0_EEPmJS6_EEE10hipError_tPvRmT3_T4_T5_T6_T7_T9_mT8_P12ihipStream_tbDpT10_ENKUlT_T0_E_clISt17integral_constantIbLb0EES1C_EEDaS17_S18_EUlS17_E_NS1_11comp_targetILNS1_3genE4ELNS1_11target_archE910ELNS1_3gpuE8ELNS1_3repE0EEENS1_30default_config_static_selectorELNS0_4arch9wavefront6targetE0EEEvT1_.uses_flat_scratch, 0
	.set _ZN7rocprim17ROCPRIM_400000_NS6detail17trampoline_kernelINS0_14default_configENS1_25partition_config_selectorILNS1_17partition_subalgoE8ElNS0_10empty_typeEbEEZZNS1_14partition_implILS5_8ELb0ES3_jPlPS6_PKS6_NS0_5tupleIJS9_S6_EEENSD_IJSA_SA_EEENS0_18inequality_wrapperIZN2at6native12_GLOBAL__N_124unique_dim_cuda_templateIfEESt5tupleIJNSH_6TensorESM_SM_EERKSM_lbbbEUlllE0_EEPmJS6_EEE10hipError_tPvRmT3_T4_T5_T6_T7_T9_mT8_P12ihipStream_tbDpT10_ENKUlT_T0_E_clISt17integral_constantIbLb0EES1C_EEDaS17_S18_EUlS17_E_NS1_11comp_targetILNS1_3genE4ELNS1_11target_archE910ELNS1_3gpuE8ELNS1_3repE0EEENS1_30default_config_static_selectorELNS0_4arch9wavefront6targetE0EEEvT1_.has_dyn_sized_stack, 0
	.set _ZN7rocprim17ROCPRIM_400000_NS6detail17trampoline_kernelINS0_14default_configENS1_25partition_config_selectorILNS1_17partition_subalgoE8ElNS0_10empty_typeEbEEZZNS1_14partition_implILS5_8ELb0ES3_jPlPS6_PKS6_NS0_5tupleIJS9_S6_EEENSD_IJSA_SA_EEENS0_18inequality_wrapperIZN2at6native12_GLOBAL__N_124unique_dim_cuda_templateIfEESt5tupleIJNSH_6TensorESM_SM_EERKSM_lbbbEUlllE0_EEPmJS6_EEE10hipError_tPvRmT3_T4_T5_T6_T7_T9_mT8_P12ihipStream_tbDpT10_ENKUlT_T0_E_clISt17integral_constantIbLb0EES1C_EEDaS17_S18_EUlS17_E_NS1_11comp_targetILNS1_3genE4ELNS1_11target_archE910ELNS1_3gpuE8ELNS1_3repE0EEENS1_30default_config_static_selectorELNS0_4arch9wavefront6targetE0EEEvT1_.has_recursion, 0
	.set _ZN7rocprim17ROCPRIM_400000_NS6detail17trampoline_kernelINS0_14default_configENS1_25partition_config_selectorILNS1_17partition_subalgoE8ElNS0_10empty_typeEbEEZZNS1_14partition_implILS5_8ELb0ES3_jPlPS6_PKS6_NS0_5tupleIJS9_S6_EEENSD_IJSA_SA_EEENS0_18inequality_wrapperIZN2at6native12_GLOBAL__N_124unique_dim_cuda_templateIfEESt5tupleIJNSH_6TensorESM_SM_EERKSM_lbbbEUlllE0_EEPmJS6_EEE10hipError_tPvRmT3_T4_T5_T6_T7_T9_mT8_P12ihipStream_tbDpT10_ENKUlT_T0_E_clISt17integral_constantIbLb0EES1C_EEDaS17_S18_EUlS17_E_NS1_11comp_targetILNS1_3genE4ELNS1_11target_archE910ELNS1_3gpuE8ELNS1_3repE0EEENS1_30default_config_static_selectorELNS0_4arch9wavefront6targetE0EEEvT1_.has_indirect_call, 0
	.section	.AMDGPU.csdata,"",@progbits
; Kernel info:
; codeLenInByte = 0
; TotalNumSgprs: 0
; NumVgprs: 0
; ScratchSize: 0
; MemoryBound: 0
; FloatMode: 240
; IeeeMode: 1
; LDSByteSize: 0 bytes/workgroup (compile time only)
; SGPRBlocks: 0
; VGPRBlocks: 0
; NumSGPRsForWavesPerEU: 1
; NumVGPRsForWavesPerEU: 1
; NamedBarCnt: 0
; Occupancy: 16
; WaveLimiterHint : 0
; COMPUTE_PGM_RSRC2:SCRATCH_EN: 0
; COMPUTE_PGM_RSRC2:USER_SGPR: 2
; COMPUTE_PGM_RSRC2:TRAP_HANDLER: 0
; COMPUTE_PGM_RSRC2:TGID_X_EN: 1
; COMPUTE_PGM_RSRC2:TGID_Y_EN: 0
; COMPUTE_PGM_RSRC2:TGID_Z_EN: 0
; COMPUTE_PGM_RSRC2:TIDIG_COMP_CNT: 0
	.section	.text._ZN7rocprim17ROCPRIM_400000_NS6detail17trampoline_kernelINS0_14default_configENS1_25partition_config_selectorILNS1_17partition_subalgoE8ElNS0_10empty_typeEbEEZZNS1_14partition_implILS5_8ELb0ES3_jPlPS6_PKS6_NS0_5tupleIJS9_S6_EEENSD_IJSA_SA_EEENS0_18inequality_wrapperIZN2at6native12_GLOBAL__N_124unique_dim_cuda_templateIfEESt5tupleIJNSH_6TensorESM_SM_EERKSM_lbbbEUlllE0_EEPmJS6_EEE10hipError_tPvRmT3_T4_T5_T6_T7_T9_mT8_P12ihipStream_tbDpT10_ENKUlT_T0_E_clISt17integral_constantIbLb0EES1C_EEDaS17_S18_EUlS17_E_NS1_11comp_targetILNS1_3genE3ELNS1_11target_archE908ELNS1_3gpuE7ELNS1_3repE0EEENS1_30default_config_static_selectorELNS0_4arch9wavefront6targetE0EEEvT1_,"axG",@progbits,_ZN7rocprim17ROCPRIM_400000_NS6detail17trampoline_kernelINS0_14default_configENS1_25partition_config_selectorILNS1_17partition_subalgoE8ElNS0_10empty_typeEbEEZZNS1_14partition_implILS5_8ELb0ES3_jPlPS6_PKS6_NS0_5tupleIJS9_S6_EEENSD_IJSA_SA_EEENS0_18inequality_wrapperIZN2at6native12_GLOBAL__N_124unique_dim_cuda_templateIfEESt5tupleIJNSH_6TensorESM_SM_EERKSM_lbbbEUlllE0_EEPmJS6_EEE10hipError_tPvRmT3_T4_T5_T6_T7_T9_mT8_P12ihipStream_tbDpT10_ENKUlT_T0_E_clISt17integral_constantIbLb0EES1C_EEDaS17_S18_EUlS17_E_NS1_11comp_targetILNS1_3genE3ELNS1_11target_archE908ELNS1_3gpuE7ELNS1_3repE0EEENS1_30default_config_static_selectorELNS0_4arch9wavefront6targetE0EEEvT1_,comdat
	.globl	_ZN7rocprim17ROCPRIM_400000_NS6detail17trampoline_kernelINS0_14default_configENS1_25partition_config_selectorILNS1_17partition_subalgoE8ElNS0_10empty_typeEbEEZZNS1_14partition_implILS5_8ELb0ES3_jPlPS6_PKS6_NS0_5tupleIJS9_S6_EEENSD_IJSA_SA_EEENS0_18inequality_wrapperIZN2at6native12_GLOBAL__N_124unique_dim_cuda_templateIfEESt5tupleIJNSH_6TensorESM_SM_EERKSM_lbbbEUlllE0_EEPmJS6_EEE10hipError_tPvRmT3_T4_T5_T6_T7_T9_mT8_P12ihipStream_tbDpT10_ENKUlT_T0_E_clISt17integral_constantIbLb0EES1C_EEDaS17_S18_EUlS17_E_NS1_11comp_targetILNS1_3genE3ELNS1_11target_archE908ELNS1_3gpuE7ELNS1_3repE0EEENS1_30default_config_static_selectorELNS0_4arch9wavefront6targetE0EEEvT1_ ; -- Begin function _ZN7rocprim17ROCPRIM_400000_NS6detail17trampoline_kernelINS0_14default_configENS1_25partition_config_selectorILNS1_17partition_subalgoE8ElNS0_10empty_typeEbEEZZNS1_14partition_implILS5_8ELb0ES3_jPlPS6_PKS6_NS0_5tupleIJS9_S6_EEENSD_IJSA_SA_EEENS0_18inequality_wrapperIZN2at6native12_GLOBAL__N_124unique_dim_cuda_templateIfEESt5tupleIJNSH_6TensorESM_SM_EERKSM_lbbbEUlllE0_EEPmJS6_EEE10hipError_tPvRmT3_T4_T5_T6_T7_T9_mT8_P12ihipStream_tbDpT10_ENKUlT_T0_E_clISt17integral_constantIbLb0EES1C_EEDaS17_S18_EUlS17_E_NS1_11comp_targetILNS1_3genE3ELNS1_11target_archE908ELNS1_3gpuE7ELNS1_3repE0EEENS1_30default_config_static_selectorELNS0_4arch9wavefront6targetE0EEEvT1_
	.p2align	8
	.type	_ZN7rocprim17ROCPRIM_400000_NS6detail17trampoline_kernelINS0_14default_configENS1_25partition_config_selectorILNS1_17partition_subalgoE8ElNS0_10empty_typeEbEEZZNS1_14partition_implILS5_8ELb0ES3_jPlPS6_PKS6_NS0_5tupleIJS9_S6_EEENSD_IJSA_SA_EEENS0_18inequality_wrapperIZN2at6native12_GLOBAL__N_124unique_dim_cuda_templateIfEESt5tupleIJNSH_6TensorESM_SM_EERKSM_lbbbEUlllE0_EEPmJS6_EEE10hipError_tPvRmT3_T4_T5_T6_T7_T9_mT8_P12ihipStream_tbDpT10_ENKUlT_T0_E_clISt17integral_constantIbLb0EES1C_EEDaS17_S18_EUlS17_E_NS1_11comp_targetILNS1_3genE3ELNS1_11target_archE908ELNS1_3gpuE7ELNS1_3repE0EEENS1_30default_config_static_selectorELNS0_4arch9wavefront6targetE0EEEvT1_,@function
_ZN7rocprim17ROCPRIM_400000_NS6detail17trampoline_kernelINS0_14default_configENS1_25partition_config_selectorILNS1_17partition_subalgoE8ElNS0_10empty_typeEbEEZZNS1_14partition_implILS5_8ELb0ES3_jPlPS6_PKS6_NS0_5tupleIJS9_S6_EEENSD_IJSA_SA_EEENS0_18inequality_wrapperIZN2at6native12_GLOBAL__N_124unique_dim_cuda_templateIfEESt5tupleIJNSH_6TensorESM_SM_EERKSM_lbbbEUlllE0_EEPmJS6_EEE10hipError_tPvRmT3_T4_T5_T6_T7_T9_mT8_P12ihipStream_tbDpT10_ENKUlT_T0_E_clISt17integral_constantIbLb0EES1C_EEDaS17_S18_EUlS17_E_NS1_11comp_targetILNS1_3genE3ELNS1_11target_archE908ELNS1_3gpuE7ELNS1_3repE0EEENS1_30default_config_static_selectorELNS0_4arch9wavefront6targetE0EEEvT1_: ; @_ZN7rocprim17ROCPRIM_400000_NS6detail17trampoline_kernelINS0_14default_configENS1_25partition_config_selectorILNS1_17partition_subalgoE8ElNS0_10empty_typeEbEEZZNS1_14partition_implILS5_8ELb0ES3_jPlPS6_PKS6_NS0_5tupleIJS9_S6_EEENSD_IJSA_SA_EEENS0_18inequality_wrapperIZN2at6native12_GLOBAL__N_124unique_dim_cuda_templateIfEESt5tupleIJNSH_6TensorESM_SM_EERKSM_lbbbEUlllE0_EEPmJS6_EEE10hipError_tPvRmT3_T4_T5_T6_T7_T9_mT8_P12ihipStream_tbDpT10_ENKUlT_T0_E_clISt17integral_constantIbLb0EES1C_EEDaS17_S18_EUlS17_E_NS1_11comp_targetILNS1_3genE3ELNS1_11target_archE908ELNS1_3gpuE7ELNS1_3repE0EEENS1_30default_config_static_selectorELNS0_4arch9wavefront6targetE0EEEvT1_
; %bb.0:
	.section	.rodata,"a",@progbits
	.p2align	6, 0x0
	.amdhsa_kernel _ZN7rocprim17ROCPRIM_400000_NS6detail17trampoline_kernelINS0_14default_configENS1_25partition_config_selectorILNS1_17partition_subalgoE8ElNS0_10empty_typeEbEEZZNS1_14partition_implILS5_8ELb0ES3_jPlPS6_PKS6_NS0_5tupleIJS9_S6_EEENSD_IJSA_SA_EEENS0_18inequality_wrapperIZN2at6native12_GLOBAL__N_124unique_dim_cuda_templateIfEESt5tupleIJNSH_6TensorESM_SM_EERKSM_lbbbEUlllE0_EEPmJS6_EEE10hipError_tPvRmT3_T4_T5_T6_T7_T9_mT8_P12ihipStream_tbDpT10_ENKUlT_T0_E_clISt17integral_constantIbLb0EES1C_EEDaS17_S18_EUlS17_E_NS1_11comp_targetILNS1_3genE3ELNS1_11target_archE908ELNS1_3gpuE7ELNS1_3repE0EEENS1_30default_config_static_selectorELNS0_4arch9wavefront6targetE0EEEvT1_
		.amdhsa_group_segment_fixed_size 0
		.amdhsa_private_segment_fixed_size 0
		.amdhsa_kernarg_size 120
		.amdhsa_user_sgpr_count 2
		.amdhsa_user_sgpr_dispatch_ptr 0
		.amdhsa_user_sgpr_queue_ptr 0
		.amdhsa_user_sgpr_kernarg_segment_ptr 1
		.amdhsa_user_sgpr_dispatch_id 0
		.amdhsa_user_sgpr_kernarg_preload_length 0
		.amdhsa_user_sgpr_kernarg_preload_offset 0
		.amdhsa_user_sgpr_private_segment_size 0
		.amdhsa_wavefront_size32 1
		.amdhsa_uses_dynamic_stack 0
		.amdhsa_enable_private_segment 0
		.amdhsa_system_sgpr_workgroup_id_x 1
		.amdhsa_system_sgpr_workgroup_id_y 0
		.amdhsa_system_sgpr_workgroup_id_z 0
		.amdhsa_system_sgpr_workgroup_info 0
		.amdhsa_system_vgpr_workitem_id 0
		.amdhsa_next_free_vgpr 1
		.amdhsa_next_free_sgpr 1
		.amdhsa_named_barrier_count 0
		.amdhsa_reserve_vcc 0
		.amdhsa_float_round_mode_32 0
		.amdhsa_float_round_mode_16_64 0
		.amdhsa_float_denorm_mode_32 3
		.amdhsa_float_denorm_mode_16_64 3
		.amdhsa_fp16_overflow 0
		.amdhsa_memory_ordered 1
		.amdhsa_forward_progress 1
		.amdhsa_inst_pref_size 0
		.amdhsa_round_robin_scheduling 0
		.amdhsa_exception_fp_ieee_invalid_op 0
		.amdhsa_exception_fp_denorm_src 0
		.amdhsa_exception_fp_ieee_div_zero 0
		.amdhsa_exception_fp_ieee_overflow 0
		.amdhsa_exception_fp_ieee_underflow 0
		.amdhsa_exception_fp_ieee_inexact 0
		.amdhsa_exception_int_div_zero 0
	.end_amdhsa_kernel
	.section	.text._ZN7rocprim17ROCPRIM_400000_NS6detail17trampoline_kernelINS0_14default_configENS1_25partition_config_selectorILNS1_17partition_subalgoE8ElNS0_10empty_typeEbEEZZNS1_14partition_implILS5_8ELb0ES3_jPlPS6_PKS6_NS0_5tupleIJS9_S6_EEENSD_IJSA_SA_EEENS0_18inequality_wrapperIZN2at6native12_GLOBAL__N_124unique_dim_cuda_templateIfEESt5tupleIJNSH_6TensorESM_SM_EERKSM_lbbbEUlllE0_EEPmJS6_EEE10hipError_tPvRmT3_T4_T5_T6_T7_T9_mT8_P12ihipStream_tbDpT10_ENKUlT_T0_E_clISt17integral_constantIbLb0EES1C_EEDaS17_S18_EUlS17_E_NS1_11comp_targetILNS1_3genE3ELNS1_11target_archE908ELNS1_3gpuE7ELNS1_3repE0EEENS1_30default_config_static_selectorELNS0_4arch9wavefront6targetE0EEEvT1_,"axG",@progbits,_ZN7rocprim17ROCPRIM_400000_NS6detail17trampoline_kernelINS0_14default_configENS1_25partition_config_selectorILNS1_17partition_subalgoE8ElNS0_10empty_typeEbEEZZNS1_14partition_implILS5_8ELb0ES3_jPlPS6_PKS6_NS0_5tupleIJS9_S6_EEENSD_IJSA_SA_EEENS0_18inequality_wrapperIZN2at6native12_GLOBAL__N_124unique_dim_cuda_templateIfEESt5tupleIJNSH_6TensorESM_SM_EERKSM_lbbbEUlllE0_EEPmJS6_EEE10hipError_tPvRmT3_T4_T5_T6_T7_T9_mT8_P12ihipStream_tbDpT10_ENKUlT_T0_E_clISt17integral_constantIbLb0EES1C_EEDaS17_S18_EUlS17_E_NS1_11comp_targetILNS1_3genE3ELNS1_11target_archE908ELNS1_3gpuE7ELNS1_3repE0EEENS1_30default_config_static_selectorELNS0_4arch9wavefront6targetE0EEEvT1_,comdat
.Lfunc_end932:
	.size	_ZN7rocprim17ROCPRIM_400000_NS6detail17trampoline_kernelINS0_14default_configENS1_25partition_config_selectorILNS1_17partition_subalgoE8ElNS0_10empty_typeEbEEZZNS1_14partition_implILS5_8ELb0ES3_jPlPS6_PKS6_NS0_5tupleIJS9_S6_EEENSD_IJSA_SA_EEENS0_18inequality_wrapperIZN2at6native12_GLOBAL__N_124unique_dim_cuda_templateIfEESt5tupleIJNSH_6TensorESM_SM_EERKSM_lbbbEUlllE0_EEPmJS6_EEE10hipError_tPvRmT3_T4_T5_T6_T7_T9_mT8_P12ihipStream_tbDpT10_ENKUlT_T0_E_clISt17integral_constantIbLb0EES1C_EEDaS17_S18_EUlS17_E_NS1_11comp_targetILNS1_3genE3ELNS1_11target_archE908ELNS1_3gpuE7ELNS1_3repE0EEENS1_30default_config_static_selectorELNS0_4arch9wavefront6targetE0EEEvT1_, .Lfunc_end932-_ZN7rocprim17ROCPRIM_400000_NS6detail17trampoline_kernelINS0_14default_configENS1_25partition_config_selectorILNS1_17partition_subalgoE8ElNS0_10empty_typeEbEEZZNS1_14partition_implILS5_8ELb0ES3_jPlPS6_PKS6_NS0_5tupleIJS9_S6_EEENSD_IJSA_SA_EEENS0_18inequality_wrapperIZN2at6native12_GLOBAL__N_124unique_dim_cuda_templateIfEESt5tupleIJNSH_6TensorESM_SM_EERKSM_lbbbEUlllE0_EEPmJS6_EEE10hipError_tPvRmT3_T4_T5_T6_T7_T9_mT8_P12ihipStream_tbDpT10_ENKUlT_T0_E_clISt17integral_constantIbLb0EES1C_EEDaS17_S18_EUlS17_E_NS1_11comp_targetILNS1_3genE3ELNS1_11target_archE908ELNS1_3gpuE7ELNS1_3repE0EEENS1_30default_config_static_selectorELNS0_4arch9wavefront6targetE0EEEvT1_
                                        ; -- End function
	.set _ZN7rocprim17ROCPRIM_400000_NS6detail17trampoline_kernelINS0_14default_configENS1_25partition_config_selectorILNS1_17partition_subalgoE8ElNS0_10empty_typeEbEEZZNS1_14partition_implILS5_8ELb0ES3_jPlPS6_PKS6_NS0_5tupleIJS9_S6_EEENSD_IJSA_SA_EEENS0_18inequality_wrapperIZN2at6native12_GLOBAL__N_124unique_dim_cuda_templateIfEESt5tupleIJNSH_6TensorESM_SM_EERKSM_lbbbEUlllE0_EEPmJS6_EEE10hipError_tPvRmT3_T4_T5_T6_T7_T9_mT8_P12ihipStream_tbDpT10_ENKUlT_T0_E_clISt17integral_constantIbLb0EES1C_EEDaS17_S18_EUlS17_E_NS1_11comp_targetILNS1_3genE3ELNS1_11target_archE908ELNS1_3gpuE7ELNS1_3repE0EEENS1_30default_config_static_selectorELNS0_4arch9wavefront6targetE0EEEvT1_.num_vgpr, 0
	.set _ZN7rocprim17ROCPRIM_400000_NS6detail17trampoline_kernelINS0_14default_configENS1_25partition_config_selectorILNS1_17partition_subalgoE8ElNS0_10empty_typeEbEEZZNS1_14partition_implILS5_8ELb0ES3_jPlPS6_PKS6_NS0_5tupleIJS9_S6_EEENSD_IJSA_SA_EEENS0_18inequality_wrapperIZN2at6native12_GLOBAL__N_124unique_dim_cuda_templateIfEESt5tupleIJNSH_6TensorESM_SM_EERKSM_lbbbEUlllE0_EEPmJS6_EEE10hipError_tPvRmT3_T4_T5_T6_T7_T9_mT8_P12ihipStream_tbDpT10_ENKUlT_T0_E_clISt17integral_constantIbLb0EES1C_EEDaS17_S18_EUlS17_E_NS1_11comp_targetILNS1_3genE3ELNS1_11target_archE908ELNS1_3gpuE7ELNS1_3repE0EEENS1_30default_config_static_selectorELNS0_4arch9wavefront6targetE0EEEvT1_.num_agpr, 0
	.set _ZN7rocprim17ROCPRIM_400000_NS6detail17trampoline_kernelINS0_14default_configENS1_25partition_config_selectorILNS1_17partition_subalgoE8ElNS0_10empty_typeEbEEZZNS1_14partition_implILS5_8ELb0ES3_jPlPS6_PKS6_NS0_5tupleIJS9_S6_EEENSD_IJSA_SA_EEENS0_18inequality_wrapperIZN2at6native12_GLOBAL__N_124unique_dim_cuda_templateIfEESt5tupleIJNSH_6TensorESM_SM_EERKSM_lbbbEUlllE0_EEPmJS6_EEE10hipError_tPvRmT3_T4_T5_T6_T7_T9_mT8_P12ihipStream_tbDpT10_ENKUlT_T0_E_clISt17integral_constantIbLb0EES1C_EEDaS17_S18_EUlS17_E_NS1_11comp_targetILNS1_3genE3ELNS1_11target_archE908ELNS1_3gpuE7ELNS1_3repE0EEENS1_30default_config_static_selectorELNS0_4arch9wavefront6targetE0EEEvT1_.numbered_sgpr, 0
	.set _ZN7rocprim17ROCPRIM_400000_NS6detail17trampoline_kernelINS0_14default_configENS1_25partition_config_selectorILNS1_17partition_subalgoE8ElNS0_10empty_typeEbEEZZNS1_14partition_implILS5_8ELb0ES3_jPlPS6_PKS6_NS0_5tupleIJS9_S6_EEENSD_IJSA_SA_EEENS0_18inequality_wrapperIZN2at6native12_GLOBAL__N_124unique_dim_cuda_templateIfEESt5tupleIJNSH_6TensorESM_SM_EERKSM_lbbbEUlllE0_EEPmJS6_EEE10hipError_tPvRmT3_T4_T5_T6_T7_T9_mT8_P12ihipStream_tbDpT10_ENKUlT_T0_E_clISt17integral_constantIbLb0EES1C_EEDaS17_S18_EUlS17_E_NS1_11comp_targetILNS1_3genE3ELNS1_11target_archE908ELNS1_3gpuE7ELNS1_3repE0EEENS1_30default_config_static_selectorELNS0_4arch9wavefront6targetE0EEEvT1_.num_named_barrier, 0
	.set _ZN7rocprim17ROCPRIM_400000_NS6detail17trampoline_kernelINS0_14default_configENS1_25partition_config_selectorILNS1_17partition_subalgoE8ElNS0_10empty_typeEbEEZZNS1_14partition_implILS5_8ELb0ES3_jPlPS6_PKS6_NS0_5tupleIJS9_S6_EEENSD_IJSA_SA_EEENS0_18inequality_wrapperIZN2at6native12_GLOBAL__N_124unique_dim_cuda_templateIfEESt5tupleIJNSH_6TensorESM_SM_EERKSM_lbbbEUlllE0_EEPmJS6_EEE10hipError_tPvRmT3_T4_T5_T6_T7_T9_mT8_P12ihipStream_tbDpT10_ENKUlT_T0_E_clISt17integral_constantIbLb0EES1C_EEDaS17_S18_EUlS17_E_NS1_11comp_targetILNS1_3genE3ELNS1_11target_archE908ELNS1_3gpuE7ELNS1_3repE0EEENS1_30default_config_static_selectorELNS0_4arch9wavefront6targetE0EEEvT1_.private_seg_size, 0
	.set _ZN7rocprim17ROCPRIM_400000_NS6detail17trampoline_kernelINS0_14default_configENS1_25partition_config_selectorILNS1_17partition_subalgoE8ElNS0_10empty_typeEbEEZZNS1_14partition_implILS5_8ELb0ES3_jPlPS6_PKS6_NS0_5tupleIJS9_S6_EEENSD_IJSA_SA_EEENS0_18inequality_wrapperIZN2at6native12_GLOBAL__N_124unique_dim_cuda_templateIfEESt5tupleIJNSH_6TensorESM_SM_EERKSM_lbbbEUlllE0_EEPmJS6_EEE10hipError_tPvRmT3_T4_T5_T6_T7_T9_mT8_P12ihipStream_tbDpT10_ENKUlT_T0_E_clISt17integral_constantIbLb0EES1C_EEDaS17_S18_EUlS17_E_NS1_11comp_targetILNS1_3genE3ELNS1_11target_archE908ELNS1_3gpuE7ELNS1_3repE0EEENS1_30default_config_static_selectorELNS0_4arch9wavefront6targetE0EEEvT1_.uses_vcc, 0
	.set _ZN7rocprim17ROCPRIM_400000_NS6detail17trampoline_kernelINS0_14default_configENS1_25partition_config_selectorILNS1_17partition_subalgoE8ElNS0_10empty_typeEbEEZZNS1_14partition_implILS5_8ELb0ES3_jPlPS6_PKS6_NS0_5tupleIJS9_S6_EEENSD_IJSA_SA_EEENS0_18inequality_wrapperIZN2at6native12_GLOBAL__N_124unique_dim_cuda_templateIfEESt5tupleIJNSH_6TensorESM_SM_EERKSM_lbbbEUlllE0_EEPmJS6_EEE10hipError_tPvRmT3_T4_T5_T6_T7_T9_mT8_P12ihipStream_tbDpT10_ENKUlT_T0_E_clISt17integral_constantIbLb0EES1C_EEDaS17_S18_EUlS17_E_NS1_11comp_targetILNS1_3genE3ELNS1_11target_archE908ELNS1_3gpuE7ELNS1_3repE0EEENS1_30default_config_static_selectorELNS0_4arch9wavefront6targetE0EEEvT1_.uses_flat_scratch, 0
	.set _ZN7rocprim17ROCPRIM_400000_NS6detail17trampoline_kernelINS0_14default_configENS1_25partition_config_selectorILNS1_17partition_subalgoE8ElNS0_10empty_typeEbEEZZNS1_14partition_implILS5_8ELb0ES3_jPlPS6_PKS6_NS0_5tupleIJS9_S6_EEENSD_IJSA_SA_EEENS0_18inequality_wrapperIZN2at6native12_GLOBAL__N_124unique_dim_cuda_templateIfEESt5tupleIJNSH_6TensorESM_SM_EERKSM_lbbbEUlllE0_EEPmJS6_EEE10hipError_tPvRmT3_T4_T5_T6_T7_T9_mT8_P12ihipStream_tbDpT10_ENKUlT_T0_E_clISt17integral_constantIbLb0EES1C_EEDaS17_S18_EUlS17_E_NS1_11comp_targetILNS1_3genE3ELNS1_11target_archE908ELNS1_3gpuE7ELNS1_3repE0EEENS1_30default_config_static_selectorELNS0_4arch9wavefront6targetE0EEEvT1_.has_dyn_sized_stack, 0
	.set _ZN7rocprim17ROCPRIM_400000_NS6detail17trampoline_kernelINS0_14default_configENS1_25partition_config_selectorILNS1_17partition_subalgoE8ElNS0_10empty_typeEbEEZZNS1_14partition_implILS5_8ELb0ES3_jPlPS6_PKS6_NS0_5tupleIJS9_S6_EEENSD_IJSA_SA_EEENS0_18inequality_wrapperIZN2at6native12_GLOBAL__N_124unique_dim_cuda_templateIfEESt5tupleIJNSH_6TensorESM_SM_EERKSM_lbbbEUlllE0_EEPmJS6_EEE10hipError_tPvRmT3_T4_T5_T6_T7_T9_mT8_P12ihipStream_tbDpT10_ENKUlT_T0_E_clISt17integral_constantIbLb0EES1C_EEDaS17_S18_EUlS17_E_NS1_11comp_targetILNS1_3genE3ELNS1_11target_archE908ELNS1_3gpuE7ELNS1_3repE0EEENS1_30default_config_static_selectorELNS0_4arch9wavefront6targetE0EEEvT1_.has_recursion, 0
	.set _ZN7rocprim17ROCPRIM_400000_NS6detail17trampoline_kernelINS0_14default_configENS1_25partition_config_selectorILNS1_17partition_subalgoE8ElNS0_10empty_typeEbEEZZNS1_14partition_implILS5_8ELb0ES3_jPlPS6_PKS6_NS0_5tupleIJS9_S6_EEENSD_IJSA_SA_EEENS0_18inequality_wrapperIZN2at6native12_GLOBAL__N_124unique_dim_cuda_templateIfEESt5tupleIJNSH_6TensorESM_SM_EERKSM_lbbbEUlllE0_EEPmJS6_EEE10hipError_tPvRmT3_T4_T5_T6_T7_T9_mT8_P12ihipStream_tbDpT10_ENKUlT_T0_E_clISt17integral_constantIbLb0EES1C_EEDaS17_S18_EUlS17_E_NS1_11comp_targetILNS1_3genE3ELNS1_11target_archE908ELNS1_3gpuE7ELNS1_3repE0EEENS1_30default_config_static_selectorELNS0_4arch9wavefront6targetE0EEEvT1_.has_indirect_call, 0
	.section	.AMDGPU.csdata,"",@progbits
; Kernel info:
; codeLenInByte = 0
; TotalNumSgprs: 0
; NumVgprs: 0
; ScratchSize: 0
; MemoryBound: 0
; FloatMode: 240
; IeeeMode: 1
; LDSByteSize: 0 bytes/workgroup (compile time only)
; SGPRBlocks: 0
; VGPRBlocks: 0
; NumSGPRsForWavesPerEU: 1
; NumVGPRsForWavesPerEU: 1
; NamedBarCnt: 0
; Occupancy: 16
; WaveLimiterHint : 0
; COMPUTE_PGM_RSRC2:SCRATCH_EN: 0
; COMPUTE_PGM_RSRC2:USER_SGPR: 2
; COMPUTE_PGM_RSRC2:TRAP_HANDLER: 0
; COMPUTE_PGM_RSRC2:TGID_X_EN: 1
; COMPUTE_PGM_RSRC2:TGID_Y_EN: 0
; COMPUTE_PGM_RSRC2:TGID_Z_EN: 0
; COMPUTE_PGM_RSRC2:TIDIG_COMP_CNT: 0
	.section	.text._ZN7rocprim17ROCPRIM_400000_NS6detail17trampoline_kernelINS0_14default_configENS1_25partition_config_selectorILNS1_17partition_subalgoE8ElNS0_10empty_typeEbEEZZNS1_14partition_implILS5_8ELb0ES3_jPlPS6_PKS6_NS0_5tupleIJS9_S6_EEENSD_IJSA_SA_EEENS0_18inequality_wrapperIZN2at6native12_GLOBAL__N_124unique_dim_cuda_templateIfEESt5tupleIJNSH_6TensorESM_SM_EERKSM_lbbbEUlllE0_EEPmJS6_EEE10hipError_tPvRmT3_T4_T5_T6_T7_T9_mT8_P12ihipStream_tbDpT10_ENKUlT_T0_E_clISt17integral_constantIbLb0EES1C_EEDaS17_S18_EUlS17_E_NS1_11comp_targetILNS1_3genE2ELNS1_11target_archE906ELNS1_3gpuE6ELNS1_3repE0EEENS1_30default_config_static_selectorELNS0_4arch9wavefront6targetE0EEEvT1_,"axG",@progbits,_ZN7rocprim17ROCPRIM_400000_NS6detail17trampoline_kernelINS0_14default_configENS1_25partition_config_selectorILNS1_17partition_subalgoE8ElNS0_10empty_typeEbEEZZNS1_14partition_implILS5_8ELb0ES3_jPlPS6_PKS6_NS0_5tupleIJS9_S6_EEENSD_IJSA_SA_EEENS0_18inequality_wrapperIZN2at6native12_GLOBAL__N_124unique_dim_cuda_templateIfEESt5tupleIJNSH_6TensorESM_SM_EERKSM_lbbbEUlllE0_EEPmJS6_EEE10hipError_tPvRmT3_T4_T5_T6_T7_T9_mT8_P12ihipStream_tbDpT10_ENKUlT_T0_E_clISt17integral_constantIbLb0EES1C_EEDaS17_S18_EUlS17_E_NS1_11comp_targetILNS1_3genE2ELNS1_11target_archE906ELNS1_3gpuE6ELNS1_3repE0EEENS1_30default_config_static_selectorELNS0_4arch9wavefront6targetE0EEEvT1_,comdat
	.globl	_ZN7rocprim17ROCPRIM_400000_NS6detail17trampoline_kernelINS0_14default_configENS1_25partition_config_selectorILNS1_17partition_subalgoE8ElNS0_10empty_typeEbEEZZNS1_14partition_implILS5_8ELb0ES3_jPlPS6_PKS6_NS0_5tupleIJS9_S6_EEENSD_IJSA_SA_EEENS0_18inequality_wrapperIZN2at6native12_GLOBAL__N_124unique_dim_cuda_templateIfEESt5tupleIJNSH_6TensorESM_SM_EERKSM_lbbbEUlllE0_EEPmJS6_EEE10hipError_tPvRmT3_T4_T5_T6_T7_T9_mT8_P12ihipStream_tbDpT10_ENKUlT_T0_E_clISt17integral_constantIbLb0EES1C_EEDaS17_S18_EUlS17_E_NS1_11comp_targetILNS1_3genE2ELNS1_11target_archE906ELNS1_3gpuE6ELNS1_3repE0EEENS1_30default_config_static_selectorELNS0_4arch9wavefront6targetE0EEEvT1_ ; -- Begin function _ZN7rocprim17ROCPRIM_400000_NS6detail17trampoline_kernelINS0_14default_configENS1_25partition_config_selectorILNS1_17partition_subalgoE8ElNS0_10empty_typeEbEEZZNS1_14partition_implILS5_8ELb0ES3_jPlPS6_PKS6_NS0_5tupleIJS9_S6_EEENSD_IJSA_SA_EEENS0_18inequality_wrapperIZN2at6native12_GLOBAL__N_124unique_dim_cuda_templateIfEESt5tupleIJNSH_6TensorESM_SM_EERKSM_lbbbEUlllE0_EEPmJS6_EEE10hipError_tPvRmT3_T4_T5_T6_T7_T9_mT8_P12ihipStream_tbDpT10_ENKUlT_T0_E_clISt17integral_constantIbLb0EES1C_EEDaS17_S18_EUlS17_E_NS1_11comp_targetILNS1_3genE2ELNS1_11target_archE906ELNS1_3gpuE6ELNS1_3repE0EEENS1_30default_config_static_selectorELNS0_4arch9wavefront6targetE0EEEvT1_
	.p2align	8
	.type	_ZN7rocprim17ROCPRIM_400000_NS6detail17trampoline_kernelINS0_14default_configENS1_25partition_config_selectorILNS1_17partition_subalgoE8ElNS0_10empty_typeEbEEZZNS1_14partition_implILS5_8ELb0ES3_jPlPS6_PKS6_NS0_5tupleIJS9_S6_EEENSD_IJSA_SA_EEENS0_18inequality_wrapperIZN2at6native12_GLOBAL__N_124unique_dim_cuda_templateIfEESt5tupleIJNSH_6TensorESM_SM_EERKSM_lbbbEUlllE0_EEPmJS6_EEE10hipError_tPvRmT3_T4_T5_T6_T7_T9_mT8_P12ihipStream_tbDpT10_ENKUlT_T0_E_clISt17integral_constantIbLb0EES1C_EEDaS17_S18_EUlS17_E_NS1_11comp_targetILNS1_3genE2ELNS1_11target_archE906ELNS1_3gpuE6ELNS1_3repE0EEENS1_30default_config_static_selectorELNS0_4arch9wavefront6targetE0EEEvT1_,@function
_ZN7rocprim17ROCPRIM_400000_NS6detail17trampoline_kernelINS0_14default_configENS1_25partition_config_selectorILNS1_17partition_subalgoE8ElNS0_10empty_typeEbEEZZNS1_14partition_implILS5_8ELb0ES3_jPlPS6_PKS6_NS0_5tupleIJS9_S6_EEENSD_IJSA_SA_EEENS0_18inequality_wrapperIZN2at6native12_GLOBAL__N_124unique_dim_cuda_templateIfEESt5tupleIJNSH_6TensorESM_SM_EERKSM_lbbbEUlllE0_EEPmJS6_EEE10hipError_tPvRmT3_T4_T5_T6_T7_T9_mT8_P12ihipStream_tbDpT10_ENKUlT_T0_E_clISt17integral_constantIbLb0EES1C_EEDaS17_S18_EUlS17_E_NS1_11comp_targetILNS1_3genE2ELNS1_11target_archE906ELNS1_3gpuE6ELNS1_3repE0EEENS1_30default_config_static_selectorELNS0_4arch9wavefront6targetE0EEEvT1_: ; @_ZN7rocprim17ROCPRIM_400000_NS6detail17trampoline_kernelINS0_14default_configENS1_25partition_config_selectorILNS1_17partition_subalgoE8ElNS0_10empty_typeEbEEZZNS1_14partition_implILS5_8ELb0ES3_jPlPS6_PKS6_NS0_5tupleIJS9_S6_EEENSD_IJSA_SA_EEENS0_18inequality_wrapperIZN2at6native12_GLOBAL__N_124unique_dim_cuda_templateIfEESt5tupleIJNSH_6TensorESM_SM_EERKSM_lbbbEUlllE0_EEPmJS6_EEE10hipError_tPvRmT3_T4_T5_T6_T7_T9_mT8_P12ihipStream_tbDpT10_ENKUlT_T0_E_clISt17integral_constantIbLb0EES1C_EEDaS17_S18_EUlS17_E_NS1_11comp_targetILNS1_3genE2ELNS1_11target_archE906ELNS1_3gpuE6ELNS1_3repE0EEENS1_30default_config_static_selectorELNS0_4arch9wavefront6targetE0EEEvT1_
; %bb.0:
	.section	.rodata,"a",@progbits
	.p2align	6, 0x0
	.amdhsa_kernel _ZN7rocprim17ROCPRIM_400000_NS6detail17trampoline_kernelINS0_14default_configENS1_25partition_config_selectorILNS1_17partition_subalgoE8ElNS0_10empty_typeEbEEZZNS1_14partition_implILS5_8ELb0ES3_jPlPS6_PKS6_NS0_5tupleIJS9_S6_EEENSD_IJSA_SA_EEENS0_18inequality_wrapperIZN2at6native12_GLOBAL__N_124unique_dim_cuda_templateIfEESt5tupleIJNSH_6TensorESM_SM_EERKSM_lbbbEUlllE0_EEPmJS6_EEE10hipError_tPvRmT3_T4_T5_T6_T7_T9_mT8_P12ihipStream_tbDpT10_ENKUlT_T0_E_clISt17integral_constantIbLb0EES1C_EEDaS17_S18_EUlS17_E_NS1_11comp_targetILNS1_3genE2ELNS1_11target_archE906ELNS1_3gpuE6ELNS1_3repE0EEENS1_30default_config_static_selectorELNS0_4arch9wavefront6targetE0EEEvT1_
		.amdhsa_group_segment_fixed_size 0
		.amdhsa_private_segment_fixed_size 0
		.amdhsa_kernarg_size 120
		.amdhsa_user_sgpr_count 2
		.amdhsa_user_sgpr_dispatch_ptr 0
		.amdhsa_user_sgpr_queue_ptr 0
		.amdhsa_user_sgpr_kernarg_segment_ptr 1
		.amdhsa_user_sgpr_dispatch_id 0
		.amdhsa_user_sgpr_kernarg_preload_length 0
		.amdhsa_user_sgpr_kernarg_preload_offset 0
		.amdhsa_user_sgpr_private_segment_size 0
		.amdhsa_wavefront_size32 1
		.amdhsa_uses_dynamic_stack 0
		.amdhsa_enable_private_segment 0
		.amdhsa_system_sgpr_workgroup_id_x 1
		.amdhsa_system_sgpr_workgroup_id_y 0
		.amdhsa_system_sgpr_workgroup_id_z 0
		.amdhsa_system_sgpr_workgroup_info 0
		.amdhsa_system_vgpr_workitem_id 0
		.amdhsa_next_free_vgpr 1
		.amdhsa_next_free_sgpr 1
		.amdhsa_named_barrier_count 0
		.amdhsa_reserve_vcc 0
		.amdhsa_float_round_mode_32 0
		.amdhsa_float_round_mode_16_64 0
		.amdhsa_float_denorm_mode_32 3
		.amdhsa_float_denorm_mode_16_64 3
		.amdhsa_fp16_overflow 0
		.amdhsa_memory_ordered 1
		.amdhsa_forward_progress 1
		.amdhsa_inst_pref_size 0
		.amdhsa_round_robin_scheduling 0
		.amdhsa_exception_fp_ieee_invalid_op 0
		.amdhsa_exception_fp_denorm_src 0
		.amdhsa_exception_fp_ieee_div_zero 0
		.amdhsa_exception_fp_ieee_overflow 0
		.amdhsa_exception_fp_ieee_underflow 0
		.amdhsa_exception_fp_ieee_inexact 0
		.amdhsa_exception_int_div_zero 0
	.end_amdhsa_kernel
	.section	.text._ZN7rocprim17ROCPRIM_400000_NS6detail17trampoline_kernelINS0_14default_configENS1_25partition_config_selectorILNS1_17partition_subalgoE8ElNS0_10empty_typeEbEEZZNS1_14partition_implILS5_8ELb0ES3_jPlPS6_PKS6_NS0_5tupleIJS9_S6_EEENSD_IJSA_SA_EEENS0_18inequality_wrapperIZN2at6native12_GLOBAL__N_124unique_dim_cuda_templateIfEESt5tupleIJNSH_6TensorESM_SM_EERKSM_lbbbEUlllE0_EEPmJS6_EEE10hipError_tPvRmT3_T4_T5_T6_T7_T9_mT8_P12ihipStream_tbDpT10_ENKUlT_T0_E_clISt17integral_constantIbLb0EES1C_EEDaS17_S18_EUlS17_E_NS1_11comp_targetILNS1_3genE2ELNS1_11target_archE906ELNS1_3gpuE6ELNS1_3repE0EEENS1_30default_config_static_selectorELNS0_4arch9wavefront6targetE0EEEvT1_,"axG",@progbits,_ZN7rocprim17ROCPRIM_400000_NS6detail17trampoline_kernelINS0_14default_configENS1_25partition_config_selectorILNS1_17partition_subalgoE8ElNS0_10empty_typeEbEEZZNS1_14partition_implILS5_8ELb0ES3_jPlPS6_PKS6_NS0_5tupleIJS9_S6_EEENSD_IJSA_SA_EEENS0_18inequality_wrapperIZN2at6native12_GLOBAL__N_124unique_dim_cuda_templateIfEESt5tupleIJNSH_6TensorESM_SM_EERKSM_lbbbEUlllE0_EEPmJS6_EEE10hipError_tPvRmT3_T4_T5_T6_T7_T9_mT8_P12ihipStream_tbDpT10_ENKUlT_T0_E_clISt17integral_constantIbLb0EES1C_EEDaS17_S18_EUlS17_E_NS1_11comp_targetILNS1_3genE2ELNS1_11target_archE906ELNS1_3gpuE6ELNS1_3repE0EEENS1_30default_config_static_selectorELNS0_4arch9wavefront6targetE0EEEvT1_,comdat
.Lfunc_end933:
	.size	_ZN7rocprim17ROCPRIM_400000_NS6detail17trampoline_kernelINS0_14default_configENS1_25partition_config_selectorILNS1_17partition_subalgoE8ElNS0_10empty_typeEbEEZZNS1_14partition_implILS5_8ELb0ES3_jPlPS6_PKS6_NS0_5tupleIJS9_S6_EEENSD_IJSA_SA_EEENS0_18inequality_wrapperIZN2at6native12_GLOBAL__N_124unique_dim_cuda_templateIfEESt5tupleIJNSH_6TensorESM_SM_EERKSM_lbbbEUlllE0_EEPmJS6_EEE10hipError_tPvRmT3_T4_T5_T6_T7_T9_mT8_P12ihipStream_tbDpT10_ENKUlT_T0_E_clISt17integral_constantIbLb0EES1C_EEDaS17_S18_EUlS17_E_NS1_11comp_targetILNS1_3genE2ELNS1_11target_archE906ELNS1_3gpuE6ELNS1_3repE0EEENS1_30default_config_static_selectorELNS0_4arch9wavefront6targetE0EEEvT1_, .Lfunc_end933-_ZN7rocprim17ROCPRIM_400000_NS6detail17trampoline_kernelINS0_14default_configENS1_25partition_config_selectorILNS1_17partition_subalgoE8ElNS0_10empty_typeEbEEZZNS1_14partition_implILS5_8ELb0ES3_jPlPS6_PKS6_NS0_5tupleIJS9_S6_EEENSD_IJSA_SA_EEENS0_18inequality_wrapperIZN2at6native12_GLOBAL__N_124unique_dim_cuda_templateIfEESt5tupleIJNSH_6TensorESM_SM_EERKSM_lbbbEUlllE0_EEPmJS6_EEE10hipError_tPvRmT3_T4_T5_T6_T7_T9_mT8_P12ihipStream_tbDpT10_ENKUlT_T0_E_clISt17integral_constantIbLb0EES1C_EEDaS17_S18_EUlS17_E_NS1_11comp_targetILNS1_3genE2ELNS1_11target_archE906ELNS1_3gpuE6ELNS1_3repE0EEENS1_30default_config_static_selectorELNS0_4arch9wavefront6targetE0EEEvT1_
                                        ; -- End function
	.set _ZN7rocprim17ROCPRIM_400000_NS6detail17trampoline_kernelINS0_14default_configENS1_25partition_config_selectorILNS1_17partition_subalgoE8ElNS0_10empty_typeEbEEZZNS1_14partition_implILS5_8ELb0ES3_jPlPS6_PKS6_NS0_5tupleIJS9_S6_EEENSD_IJSA_SA_EEENS0_18inequality_wrapperIZN2at6native12_GLOBAL__N_124unique_dim_cuda_templateIfEESt5tupleIJNSH_6TensorESM_SM_EERKSM_lbbbEUlllE0_EEPmJS6_EEE10hipError_tPvRmT3_T4_T5_T6_T7_T9_mT8_P12ihipStream_tbDpT10_ENKUlT_T0_E_clISt17integral_constantIbLb0EES1C_EEDaS17_S18_EUlS17_E_NS1_11comp_targetILNS1_3genE2ELNS1_11target_archE906ELNS1_3gpuE6ELNS1_3repE0EEENS1_30default_config_static_selectorELNS0_4arch9wavefront6targetE0EEEvT1_.num_vgpr, 0
	.set _ZN7rocprim17ROCPRIM_400000_NS6detail17trampoline_kernelINS0_14default_configENS1_25partition_config_selectorILNS1_17partition_subalgoE8ElNS0_10empty_typeEbEEZZNS1_14partition_implILS5_8ELb0ES3_jPlPS6_PKS6_NS0_5tupleIJS9_S6_EEENSD_IJSA_SA_EEENS0_18inequality_wrapperIZN2at6native12_GLOBAL__N_124unique_dim_cuda_templateIfEESt5tupleIJNSH_6TensorESM_SM_EERKSM_lbbbEUlllE0_EEPmJS6_EEE10hipError_tPvRmT3_T4_T5_T6_T7_T9_mT8_P12ihipStream_tbDpT10_ENKUlT_T0_E_clISt17integral_constantIbLb0EES1C_EEDaS17_S18_EUlS17_E_NS1_11comp_targetILNS1_3genE2ELNS1_11target_archE906ELNS1_3gpuE6ELNS1_3repE0EEENS1_30default_config_static_selectorELNS0_4arch9wavefront6targetE0EEEvT1_.num_agpr, 0
	.set _ZN7rocprim17ROCPRIM_400000_NS6detail17trampoline_kernelINS0_14default_configENS1_25partition_config_selectorILNS1_17partition_subalgoE8ElNS0_10empty_typeEbEEZZNS1_14partition_implILS5_8ELb0ES3_jPlPS6_PKS6_NS0_5tupleIJS9_S6_EEENSD_IJSA_SA_EEENS0_18inequality_wrapperIZN2at6native12_GLOBAL__N_124unique_dim_cuda_templateIfEESt5tupleIJNSH_6TensorESM_SM_EERKSM_lbbbEUlllE0_EEPmJS6_EEE10hipError_tPvRmT3_T4_T5_T6_T7_T9_mT8_P12ihipStream_tbDpT10_ENKUlT_T0_E_clISt17integral_constantIbLb0EES1C_EEDaS17_S18_EUlS17_E_NS1_11comp_targetILNS1_3genE2ELNS1_11target_archE906ELNS1_3gpuE6ELNS1_3repE0EEENS1_30default_config_static_selectorELNS0_4arch9wavefront6targetE0EEEvT1_.numbered_sgpr, 0
	.set _ZN7rocprim17ROCPRIM_400000_NS6detail17trampoline_kernelINS0_14default_configENS1_25partition_config_selectorILNS1_17partition_subalgoE8ElNS0_10empty_typeEbEEZZNS1_14partition_implILS5_8ELb0ES3_jPlPS6_PKS6_NS0_5tupleIJS9_S6_EEENSD_IJSA_SA_EEENS0_18inequality_wrapperIZN2at6native12_GLOBAL__N_124unique_dim_cuda_templateIfEESt5tupleIJNSH_6TensorESM_SM_EERKSM_lbbbEUlllE0_EEPmJS6_EEE10hipError_tPvRmT3_T4_T5_T6_T7_T9_mT8_P12ihipStream_tbDpT10_ENKUlT_T0_E_clISt17integral_constantIbLb0EES1C_EEDaS17_S18_EUlS17_E_NS1_11comp_targetILNS1_3genE2ELNS1_11target_archE906ELNS1_3gpuE6ELNS1_3repE0EEENS1_30default_config_static_selectorELNS0_4arch9wavefront6targetE0EEEvT1_.num_named_barrier, 0
	.set _ZN7rocprim17ROCPRIM_400000_NS6detail17trampoline_kernelINS0_14default_configENS1_25partition_config_selectorILNS1_17partition_subalgoE8ElNS0_10empty_typeEbEEZZNS1_14partition_implILS5_8ELb0ES3_jPlPS6_PKS6_NS0_5tupleIJS9_S6_EEENSD_IJSA_SA_EEENS0_18inequality_wrapperIZN2at6native12_GLOBAL__N_124unique_dim_cuda_templateIfEESt5tupleIJNSH_6TensorESM_SM_EERKSM_lbbbEUlllE0_EEPmJS6_EEE10hipError_tPvRmT3_T4_T5_T6_T7_T9_mT8_P12ihipStream_tbDpT10_ENKUlT_T0_E_clISt17integral_constantIbLb0EES1C_EEDaS17_S18_EUlS17_E_NS1_11comp_targetILNS1_3genE2ELNS1_11target_archE906ELNS1_3gpuE6ELNS1_3repE0EEENS1_30default_config_static_selectorELNS0_4arch9wavefront6targetE0EEEvT1_.private_seg_size, 0
	.set _ZN7rocprim17ROCPRIM_400000_NS6detail17trampoline_kernelINS0_14default_configENS1_25partition_config_selectorILNS1_17partition_subalgoE8ElNS0_10empty_typeEbEEZZNS1_14partition_implILS5_8ELb0ES3_jPlPS6_PKS6_NS0_5tupleIJS9_S6_EEENSD_IJSA_SA_EEENS0_18inequality_wrapperIZN2at6native12_GLOBAL__N_124unique_dim_cuda_templateIfEESt5tupleIJNSH_6TensorESM_SM_EERKSM_lbbbEUlllE0_EEPmJS6_EEE10hipError_tPvRmT3_T4_T5_T6_T7_T9_mT8_P12ihipStream_tbDpT10_ENKUlT_T0_E_clISt17integral_constantIbLb0EES1C_EEDaS17_S18_EUlS17_E_NS1_11comp_targetILNS1_3genE2ELNS1_11target_archE906ELNS1_3gpuE6ELNS1_3repE0EEENS1_30default_config_static_selectorELNS0_4arch9wavefront6targetE0EEEvT1_.uses_vcc, 0
	.set _ZN7rocprim17ROCPRIM_400000_NS6detail17trampoline_kernelINS0_14default_configENS1_25partition_config_selectorILNS1_17partition_subalgoE8ElNS0_10empty_typeEbEEZZNS1_14partition_implILS5_8ELb0ES3_jPlPS6_PKS6_NS0_5tupleIJS9_S6_EEENSD_IJSA_SA_EEENS0_18inequality_wrapperIZN2at6native12_GLOBAL__N_124unique_dim_cuda_templateIfEESt5tupleIJNSH_6TensorESM_SM_EERKSM_lbbbEUlllE0_EEPmJS6_EEE10hipError_tPvRmT3_T4_T5_T6_T7_T9_mT8_P12ihipStream_tbDpT10_ENKUlT_T0_E_clISt17integral_constantIbLb0EES1C_EEDaS17_S18_EUlS17_E_NS1_11comp_targetILNS1_3genE2ELNS1_11target_archE906ELNS1_3gpuE6ELNS1_3repE0EEENS1_30default_config_static_selectorELNS0_4arch9wavefront6targetE0EEEvT1_.uses_flat_scratch, 0
	.set _ZN7rocprim17ROCPRIM_400000_NS6detail17trampoline_kernelINS0_14default_configENS1_25partition_config_selectorILNS1_17partition_subalgoE8ElNS0_10empty_typeEbEEZZNS1_14partition_implILS5_8ELb0ES3_jPlPS6_PKS6_NS0_5tupleIJS9_S6_EEENSD_IJSA_SA_EEENS0_18inequality_wrapperIZN2at6native12_GLOBAL__N_124unique_dim_cuda_templateIfEESt5tupleIJNSH_6TensorESM_SM_EERKSM_lbbbEUlllE0_EEPmJS6_EEE10hipError_tPvRmT3_T4_T5_T6_T7_T9_mT8_P12ihipStream_tbDpT10_ENKUlT_T0_E_clISt17integral_constantIbLb0EES1C_EEDaS17_S18_EUlS17_E_NS1_11comp_targetILNS1_3genE2ELNS1_11target_archE906ELNS1_3gpuE6ELNS1_3repE0EEENS1_30default_config_static_selectorELNS0_4arch9wavefront6targetE0EEEvT1_.has_dyn_sized_stack, 0
	.set _ZN7rocprim17ROCPRIM_400000_NS6detail17trampoline_kernelINS0_14default_configENS1_25partition_config_selectorILNS1_17partition_subalgoE8ElNS0_10empty_typeEbEEZZNS1_14partition_implILS5_8ELb0ES3_jPlPS6_PKS6_NS0_5tupleIJS9_S6_EEENSD_IJSA_SA_EEENS0_18inequality_wrapperIZN2at6native12_GLOBAL__N_124unique_dim_cuda_templateIfEESt5tupleIJNSH_6TensorESM_SM_EERKSM_lbbbEUlllE0_EEPmJS6_EEE10hipError_tPvRmT3_T4_T5_T6_T7_T9_mT8_P12ihipStream_tbDpT10_ENKUlT_T0_E_clISt17integral_constantIbLb0EES1C_EEDaS17_S18_EUlS17_E_NS1_11comp_targetILNS1_3genE2ELNS1_11target_archE906ELNS1_3gpuE6ELNS1_3repE0EEENS1_30default_config_static_selectorELNS0_4arch9wavefront6targetE0EEEvT1_.has_recursion, 0
	.set _ZN7rocprim17ROCPRIM_400000_NS6detail17trampoline_kernelINS0_14default_configENS1_25partition_config_selectorILNS1_17partition_subalgoE8ElNS0_10empty_typeEbEEZZNS1_14partition_implILS5_8ELb0ES3_jPlPS6_PKS6_NS0_5tupleIJS9_S6_EEENSD_IJSA_SA_EEENS0_18inequality_wrapperIZN2at6native12_GLOBAL__N_124unique_dim_cuda_templateIfEESt5tupleIJNSH_6TensorESM_SM_EERKSM_lbbbEUlllE0_EEPmJS6_EEE10hipError_tPvRmT3_T4_T5_T6_T7_T9_mT8_P12ihipStream_tbDpT10_ENKUlT_T0_E_clISt17integral_constantIbLb0EES1C_EEDaS17_S18_EUlS17_E_NS1_11comp_targetILNS1_3genE2ELNS1_11target_archE906ELNS1_3gpuE6ELNS1_3repE0EEENS1_30default_config_static_selectorELNS0_4arch9wavefront6targetE0EEEvT1_.has_indirect_call, 0
	.section	.AMDGPU.csdata,"",@progbits
; Kernel info:
; codeLenInByte = 0
; TotalNumSgprs: 0
; NumVgprs: 0
; ScratchSize: 0
; MemoryBound: 0
; FloatMode: 240
; IeeeMode: 1
; LDSByteSize: 0 bytes/workgroup (compile time only)
; SGPRBlocks: 0
; VGPRBlocks: 0
; NumSGPRsForWavesPerEU: 1
; NumVGPRsForWavesPerEU: 1
; NamedBarCnt: 0
; Occupancy: 16
; WaveLimiterHint : 0
; COMPUTE_PGM_RSRC2:SCRATCH_EN: 0
; COMPUTE_PGM_RSRC2:USER_SGPR: 2
; COMPUTE_PGM_RSRC2:TRAP_HANDLER: 0
; COMPUTE_PGM_RSRC2:TGID_X_EN: 1
; COMPUTE_PGM_RSRC2:TGID_Y_EN: 0
; COMPUTE_PGM_RSRC2:TGID_Z_EN: 0
; COMPUTE_PGM_RSRC2:TIDIG_COMP_CNT: 0
	.section	.text._ZN7rocprim17ROCPRIM_400000_NS6detail17trampoline_kernelINS0_14default_configENS1_25partition_config_selectorILNS1_17partition_subalgoE8ElNS0_10empty_typeEbEEZZNS1_14partition_implILS5_8ELb0ES3_jPlPS6_PKS6_NS0_5tupleIJS9_S6_EEENSD_IJSA_SA_EEENS0_18inequality_wrapperIZN2at6native12_GLOBAL__N_124unique_dim_cuda_templateIfEESt5tupleIJNSH_6TensorESM_SM_EERKSM_lbbbEUlllE0_EEPmJS6_EEE10hipError_tPvRmT3_T4_T5_T6_T7_T9_mT8_P12ihipStream_tbDpT10_ENKUlT_T0_E_clISt17integral_constantIbLb0EES1C_EEDaS17_S18_EUlS17_E_NS1_11comp_targetILNS1_3genE10ELNS1_11target_archE1200ELNS1_3gpuE4ELNS1_3repE0EEENS1_30default_config_static_selectorELNS0_4arch9wavefront6targetE0EEEvT1_,"axG",@progbits,_ZN7rocprim17ROCPRIM_400000_NS6detail17trampoline_kernelINS0_14default_configENS1_25partition_config_selectorILNS1_17partition_subalgoE8ElNS0_10empty_typeEbEEZZNS1_14partition_implILS5_8ELb0ES3_jPlPS6_PKS6_NS0_5tupleIJS9_S6_EEENSD_IJSA_SA_EEENS0_18inequality_wrapperIZN2at6native12_GLOBAL__N_124unique_dim_cuda_templateIfEESt5tupleIJNSH_6TensorESM_SM_EERKSM_lbbbEUlllE0_EEPmJS6_EEE10hipError_tPvRmT3_T4_T5_T6_T7_T9_mT8_P12ihipStream_tbDpT10_ENKUlT_T0_E_clISt17integral_constantIbLb0EES1C_EEDaS17_S18_EUlS17_E_NS1_11comp_targetILNS1_3genE10ELNS1_11target_archE1200ELNS1_3gpuE4ELNS1_3repE0EEENS1_30default_config_static_selectorELNS0_4arch9wavefront6targetE0EEEvT1_,comdat
	.globl	_ZN7rocprim17ROCPRIM_400000_NS6detail17trampoline_kernelINS0_14default_configENS1_25partition_config_selectorILNS1_17partition_subalgoE8ElNS0_10empty_typeEbEEZZNS1_14partition_implILS5_8ELb0ES3_jPlPS6_PKS6_NS0_5tupleIJS9_S6_EEENSD_IJSA_SA_EEENS0_18inequality_wrapperIZN2at6native12_GLOBAL__N_124unique_dim_cuda_templateIfEESt5tupleIJNSH_6TensorESM_SM_EERKSM_lbbbEUlllE0_EEPmJS6_EEE10hipError_tPvRmT3_T4_T5_T6_T7_T9_mT8_P12ihipStream_tbDpT10_ENKUlT_T0_E_clISt17integral_constantIbLb0EES1C_EEDaS17_S18_EUlS17_E_NS1_11comp_targetILNS1_3genE10ELNS1_11target_archE1200ELNS1_3gpuE4ELNS1_3repE0EEENS1_30default_config_static_selectorELNS0_4arch9wavefront6targetE0EEEvT1_ ; -- Begin function _ZN7rocprim17ROCPRIM_400000_NS6detail17trampoline_kernelINS0_14default_configENS1_25partition_config_selectorILNS1_17partition_subalgoE8ElNS0_10empty_typeEbEEZZNS1_14partition_implILS5_8ELb0ES3_jPlPS6_PKS6_NS0_5tupleIJS9_S6_EEENSD_IJSA_SA_EEENS0_18inequality_wrapperIZN2at6native12_GLOBAL__N_124unique_dim_cuda_templateIfEESt5tupleIJNSH_6TensorESM_SM_EERKSM_lbbbEUlllE0_EEPmJS6_EEE10hipError_tPvRmT3_T4_T5_T6_T7_T9_mT8_P12ihipStream_tbDpT10_ENKUlT_T0_E_clISt17integral_constantIbLb0EES1C_EEDaS17_S18_EUlS17_E_NS1_11comp_targetILNS1_3genE10ELNS1_11target_archE1200ELNS1_3gpuE4ELNS1_3repE0EEENS1_30default_config_static_selectorELNS0_4arch9wavefront6targetE0EEEvT1_
	.p2align	8
	.type	_ZN7rocprim17ROCPRIM_400000_NS6detail17trampoline_kernelINS0_14default_configENS1_25partition_config_selectorILNS1_17partition_subalgoE8ElNS0_10empty_typeEbEEZZNS1_14partition_implILS5_8ELb0ES3_jPlPS6_PKS6_NS0_5tupleIJS9_S6_EEENSD_IJSA_SA_EEENS0_18inequality_wrapperIZN2at6native12_GLOBAL__N_124unique_dim_cuda_templateIfEESt5tupleIJNSH_6TensorESM_SM_EERKSM_lbbbEUlllE0_EEPmJS6_EEE10hipError_tPvRmT3_T4_T5_T6_T7_T9_mT8_P12ihipStream_tbDpT10_ENKUlT_T0_E_clISt17integral_constantIbLb0EES1C_EEDaS17_S18_EUlS17_E_NS1_11comp_targetILNS1_3genE10ELNS1_11target_archE1200ELNS1_3gpuE4ELNS1_3repE0EEENS1_30default_config_static_selectorELNS0_4arch9wavefront6targetE0EEEvT1_,@function
_ZN7rocprim17ROCPRIM_400000_NS6detail17trampoline_kernelINS0_14default_configENS1_25partition_config_selectorILNS1_17partition_subalgoE8ElNS0_10empty_typeEbEEZZNS1_14partition_implILS5_8ELb0ES3_jPlPS6_PKS6_NS0_5tupleIJS9_S6_EEENSD_IJSA_SA_EEENS0_18inequality_wrapperIZN2at6native12_GLOBAL__N_124unique_dim_cuda_templateIfEESt5tupleIJNSH_6TensorESM_SM_EERKSM_lbbbEUlllE0_EEPmJS6_EEE10hipError_tPvRmT3_T4_T5_T6_T7_T9_mT8_P12ihipStream_tbDpT10_ENKUlT_T0_E_clISt17integral_constantIbLb0EES1C_EEDaS17_S18_EUlS17_E_NS1_11comp_targetILNS1_3genE10ELNS1_11target_archE1200ELNS1_3gpuE4ELNS1_3repE0EEENS1_30default_config_static_selectorELNS0_4arch9wavefront6targetE0EEEvT1_: ; @_ZN7rocprim17ROCPRIM_400000_NS6detail17trampoline_kernelINS0_14default_configENS1_25partition_config_selectorILNS1_17partition_subalgoE8ElNS0_10empty_typeEbEEZZNS1_14partition_implILS5_8ELb0ES3_jPlPS6_PKS6_NS0_5tupleIJS9_S6_EEENSD_IJSA_SA_EEENS0_18inequality_wrapperIZN2at6native12_GLOBAL__N_124unique_dim_cuda_templateIfEESt5tupleIJNSH_6TensorESM_SM_EERKSM_lbbbEUlllE0_EEPmJS6_EEE10hipError_tPvRmT3_T4_T5_T6_T7_T9_mT8_P12ihipStream_tbDpT10_ENKUlT_T0_E_clISt17integral_constantIbLb0EES1C_EEDaS17_S18_EUlS17_E_NS1_11comp_targetILNS1_3genE10ELNS1_11target_archE1200ELNS1_3gpuE4ELNS1_3repE0EEENS1_30default_config_static_selectorELNS0_4arch9wavefront6targetE0EEEvT1_
; %bb.0:
	.section	.rodata,"a",@progbits
	.p2align	6, 0x0
	.amdhsa_kernel _ZN7rocprim17ROCPRIM_400000_NS6detail17trampoline_kernelINS0_14default_configENS1_25partition_config_selectorILNS1_17partition_subalgoE8ElNS0_10empty_typeEbEEZZNS1_14partition_implILS5_8ELb0ES3_jPlPS6_PKS6_NS0_5tupleIJS9_S6_EEENSD_IJSA_SA_EEENS0_18inequality_wrapperIZN2at6native12_GLOBAL__N_124unique_dim_cuda_templateIfEESt5tupleIJNSH_6TensorESM_SM_EERKSM_lbbbEUlllE0_EEPmJS6_EEE10hipError_tPvRmT3_T4_T5_T6_T7_T9_mT8_P12ihipStream_tbDpT10_ENKUlT_T0_E_clISt17integral_constantIbLb0EES1C_EEDaS17_S18_EUlS17_E_NS1_11comp_targetILNS1_3genE10ELNS1_11target_archE1200ELNS1_3gpuE4ELNS1_3repE0EEENS1_30default_config_static_selectorELNS0_4arch9wavefront6targetE0EEEvT1_
		.amdhsa_group_segment_fixed_size 0
		.amdhsa_private_segment_fixed_size 0
		.amdhsa_kernarg_size 120
		.amdhsa_user_sgpr_count 2
		.amdhsa_user_sgpr_dispatch_ptr 0
		.amdhsa_user_sgpr_queue_ptr 0
		.amdhsa_user_sgpr_kernarg_segment_ptr 1
		.amdhsa_user_sgpr_dispatch_id 0
		.amdhsa_user_sgpr_kernarg_preload_length 0
		.amdhsa_user_sgpr_kernarg_preload_offset 0
		.amdhsa_user_sgpr_private_segment_size 0
		.amdhsa_wavefront_size32 1
		.amdhsa_uses_dynamic_stack 0
		.amdhsa_enable_private_segment 0
		.amdhsa_system_sgpr_workgroup_id_x 1
		.amdhsa_system_sgpr_workgroup_id_y 0
		.amdhsa_system_sgpr_workgroup_id_z 0
		.amdhsa_system_sgpr_workgroup_info 0
		.amdhsa_system_vgpr_workitem_id 0
		.amdhsa_next_free_vgpr 1
		.amdhsa_next_free_sgpr 1
		.amdhsa_named_barrier_count 0
		.amdhsa_reserve_vcc 0
		.amdhsa_float_round_mode_32 0
		.amdhsa_float_round_mode_16_64 0
		.amdhsa_float_denorm_mode_32 3
		.amdhsa_float_denorm_mode_16_64 3
		.amdhsa_fp16_overflow 0
		.amdhsa_memory_ordered 1
		.amdhsa_forward_progress 1
		.amdhsa_inst_pref_size 0
		.amdhsa_round_robin_scheduling 0
		.amdhsa_exception_fp_ieee_invalid_op 0
		.amdhsa_exception_fp_denorm_src 0
		.amdhsa_exception_fp_ieee_div_zero 0
		.amdhsa_exception_fp_ieee_overflow 0
		.amdhsa_exception_fp_ieee_underflow 0
		.amdhsa_exception_fp_ieee_inexact 0
		.amdhsa_exception_int_div_zero 0
	.end_amdhsa_kernel
	.section	.text._ZN7rocprim17ROCPRIM_400000_NS6detail17trampoline_kernelINS0_14default_configENS1_25partition_config_selectorILNS1_17partition_subalgoE8ElNS0_10empty_typeEbEEZZNS1_14partition_implILS5_8ELb0ES3_jPlPS6_PKS6_NS0_5tupleIJS9_S6_EEENSD_IJSA_SA_EEENS0_18inequality_wrapperIZN2at6native12_GLOBAL__N_124unique_dim_cuda_templateIfEESt5tupleIJNSH_6TensorESM_SM_EERKSM_lbbbEUlllE0_EEPmJS6_EEE10hipError_tPvRmT3_T4_T5_T6_T7_T9_mT8_P12ihipStream_tbDpT10_ENKUlT_T0_E_clISt17integral_constantIbLb0EES1C_EEDaS17_S18_EUlS17_E_NS1_11comp_targetILNS1_3genE10ELNS1_11target_archE1200ELNS1_3gpuE4ELNS1_3repE0EEENS1_30default_config_static_selectorELNS0_4arch9wavefront6targetE0EEEvT1_,"axG",@progbits,_ZN7rocprim17ROCPRIM_400000_NS6detail17trampoline_kernelINS0_14default_configENS1_25partition_config_selectorILNS1_17partition_subalgoE8ElNS0_10empty_typeEbEEZZNS1_14partition_implILS5_8ELb0ES3_jPlPS6_PKS6_NS0_5tupleIJS9_S6_EEENSD_IJSA_SA_EEENS0_18inequality_wrapperIZN2at6native12_GLOBAL__N_124unique_dim_cuda_templateIfEESt5tupleIJNSH_6TensorESM_SM_EERKSM_lbbbEUlllE0_EEPmJS6_EEE10hipError_tPvRmT3_T4_T5_T6_T7_T9_mT8_P12ihipStream_tbDpT10_ENKUlT_T0_E_clISt17integral_constantIbLb0EES1C_EEDaS17_S18_EUlS17_E_NS1_11comp_targetILNS1_3genE10ELNS1_11target_archE1200ELNS1_3gpuE4ELNS1_3repE0EEENS1_30default_config_static_selectorELNS0_4arch9wavefront6targetE0EEEvT1_,comdat
.Lfunc_end934:
	.size	_ZN7rocprim17ROCPRIM_400000_NS6detail17trampoline_kernelINS0_14default_configENS1_25partition_config_selectorILNS1_17partition_subalgoE8ElNS0_10empty_typeEbEEZZNS1_14partition_implILS5_8ELb0ES3_jPlPS6_PKS6_NS0_5tupleIJS9_S6_EEENSD_IJSA_SA_EEENS0_18inequality_wrapperIZN2at6native12_GLOBAL__N_124unique_dim_cuda_templateIfEESt5tupleIJNSH_6TensorESM_SM_EERKSM_lbbbEUlllE0_EEPmJS6_EEE10hipError_tPvRmT3_T4_T5_T6_T7_T9_mT8_P12ihipStream_tbDpT10_ENKUlT_T0_E_clISt17integral_constantIbLb0EES1C_EEDaS17_S18_EUlS17_E_NS1_11comp_targetILNS1_3genE10ELNS1_11target_archE1200ELNS1_3gpuE4ELNS1_3repE0EEENS1_30default_config_static_selectorELNS0_4arch9wavefront6targetE0EEEvT1_, .Lfunc_end934-_ZN7rocprim17ROCPRIM_400000_NS6detail17trampoline_kernelINS0_14default_configENS1_25partition_config_selectorILNS1_17partition_subalgoE8ElNS0_10empty_typeEbEEZZNS1_14partition_implILS5_8ELb0ES3_jPlPS6_PKS6_NS0_5tupleIJS9_S6_EEENSD_IJSA_SA_EEENS0_18inequality_wrapperIZN2at6native12_GLOBAL__N_124unique_dim_cuda_templateIfEESt5tupleIJNSH_6TensorESM_SM_EERKSM_lbbbEUlllE0_EEPmJS6_EEE10hipError_tPvRmT3_T4_T5_T6_T7_T9_mT8_P12ihipStream_tbDpT10_ENKUlT_T0_E_clISt17integral_constantIbLb0EES1C_EEDaS17_S18_EUlS17_E_NS1_11comp_targetILNS1_3genE10ELNS1_11target_archE1200ELNS1_3gpuE4ELNS1_3repE0EEENS1_30default_config_static_selectorELNS0_4arch9wavefront6targetE0EEEvT1_
                                        ; -- End function
	.set _ZN7rocprim17ROCPRIM_400000_NS6detail17trampoline_kernelINS0_14default_configENS1_25partition_config_selectorILNS1_17partition_subalgoE8ElNS0_10empty_typeEbEEZZNS1_14partition_implILS5_8ELb0ES3_jPlPS6_PKS6_NS0_5tupleIJS9_S6_EEENSD_IJSA_SA_EEENS0_18inequality_wrapperIZN2at6native12_GLOBAL__N_124unique_dim_cuda_templateIfEESt5tupleIJNSH_6TensorESM_SM_EERKSM_lbbbEUlllE0_EEPmJS6_EEE10hipError_tPvRmT3_T4_T5_T6_T7_T9_mT8_P12ihipStream_tbDpT10_ENKUlT_T0_E_clISt17integral_constantIbLb0EES1C_EEDaS17_S18_EUlS17_E_NS1_11comp_targetILNS1_3genE10ELNS1_11target_archE1200ELNS1_3gpuE4ELNS1_3repE0EEENS1_30default_config_static_selectorELNS0_4arch9wavefront6targetE0EEEvT1_.num_vgpr, 0
	.set _ZN7rocprim17ROCPRIM_400000_NS6detail17trampoline_kernelINS0_14default_configENS1_25partition_config_selectorILNS1_17partition_subalgoE8ElNS0_10empty_typeEbEEZZNS1_14partition_implILS5_8ELb0ES3_jPlPS6_PKS6_NS0_5tupleIJS9_S6_EEENSD_IJSA_SA_EEENS0_18inequality_wrapperIZN2at6native12_GLOBAL__N_124unique_dim_cuda_templateIfEESt5tupleIJNSH_6TensorESM_SM_EERKSM_lbbbEUlllE0_EEPmJS6_EEE10hipError_tPvRmT3_T4_T5_T6_T7_T9_mT8_P12ihipStream_tbDpT10_ENKUlT_T0_E_clISt17integral_constantIbLb0EES1C_EEDaS17_S18_EUlS17_E_NS1_11comp_targetILNS1_3genE10ELNS1_11target_archE1200ELNS1_3gpuE4ELNS1_3repE0EEENS1_30default_config_static_selectorELNS0_4arch9wavefront6targetE0EEEvT1_.num_agpr, 0
	.set _ZN7rocprim17ROCPRIM_400000_NS6detail17trampoline_kernelINS0_14default_configENS1_25partition_config_selectorILNS1_17partition_subalgoE8ElNS0_10empty_typeEbEEZZNS1_14partition_implILS5_8ELb0ES3_jPlPS6_PKS6_NS0_5tupleIJS9_S6_EEENSD_IJSA_SA_EEENS0_18inequality_wrapperIZN2at6native12_GLOBAL__N_124unique_dim_cuda_templateIfEESt5tupleIJNSH_6TensorESM_SM_EERKSM_lbbbEUlllE0_EEPmJS6_EEE10hipError_tPvRmT3_T4_T5_T6_T7_T9_mT8_P12ihipStream_tbDpT10_ENKUlT_T0_E_clISt17integral_constantIbLb0EES1C_EEDaS17_S18_EUlS17_E_NS1_11comp_targetILNS1_3genE10ELNS1_11target_archE1200ELNS1_3gpuE4ELNS1_3repE0EEENS1_30default_config_static_selectorELNS0_4arch9wavefront6targetE0EEEvT1_.numbered_sgpr, 0
	.set _ZN7rocprim17ROCPRIM_400000_NS6detail17trampoline_kernelINS0_14default_configENS1_25partition_config_selectorILNS1_17partition_subalgoE8ElNS0_10empty_typeEbEEZZNS1_14partition_implILS5_8ELb0ES3_jPlPS6_PKS6_NS0_5tupleIJS9_S6_EEENSD_IJSA_SA_EEENS0_18inequality_wrapperIZN2at6native12_GLOBAL__N_124unique_dim_cuda_templateIfEESt5tupleIJNSH_6TensorESM_SM_EERKSM_lbbbEUlllE0_EEPmJS6_EEE10hipError_tPvRmT3_T4_T5_T6_T7_T9_mT8_P12ihipStream_tbDpT10_ENKUlT_T0_E_clISt17integral_constantIbLb0EES1C_EEDaS17_S18_EUlS17_E_NS1_11comp_targetILNS1_3genE10ELNS1_11target_archE1200ELNS1_3gpuE4ELNS1_3repE0EEENS1_30default_config_static_selectorELNS0_4arch9wavefront6targetE0EEEvT1_.num_named_barrier, 0
	.set _ZN7rocprim17ROCPRIM_400000_NS6detail17trampoline_kernelINS0_14default_configENS1_25partition_config_selectorILNS1_17partition_subalgoE8ElNS0_10empty_typeEbEEZZNS1_14partition_implILS5_8ELb0ES3_jPlPS6_PKS6_NS0_5tupleIJS9_S6_EEENSD_IJSA_SA_EEENS0_18inequality_wrapperIZN2at6native12_GLOBAL__N_124unique_dim_cuda_templateIfEESt5tupleIJNSH_6TensorESM_SM_EERKSM_lbbbEUlllE0_EEPmJS6_EEE10hipError_tPvRmT3_T4_T5_T6_T7_T9_mT8_P12ihipStream_tbDpT10_ENKUlT_T0_E_clISt17integral_constantIbLb0EES1C_EEDaS17_S18_EUlS17_E_NS1_11comp_targetILNS1_3genE10ELNS1_11target_archE1200ELNS1_3gpuE4ELNS1_3repE0EEENS1_30default_config_static_selectorELNS0_4arch9wavefront6targetE0EEEvT1_.private_seg_size, 0
	.set _ZN7rocprim17ROCPRIM_400000_NS6detail17trampoline_kernelINS0_14default_configENS1_25partition_config_selectorILNS1_17partition_subalgoE8ElNS0_10empty_typeEbEEZZNS1_14partition_implILS5_8ELb0ES3_jPlPS6_PKS6_NS0_5tupleIJS9_S6_EEENSD_IJSA_SA_EEENS0_18inequality_wrapperIZN2at6native12_GLOBAL__N_124unique_dim_cuda_templateIfEESt5tupleIJNSH_6TensorESM_SM_EERKSM_lbbbEUlllE0_EEPmJS6_EEE10hipError_tPvRmT3_T4_T5_T6_T7_T9_mT8_P12ihipStream_tbDpT10_ENKUlT_T0_E_clISt17integral_constantIbLb0EES1C_EEDaS17_S18_EUlS17_E_NS1_11comp_targetILNS1_3genE10ELNS1_11target_archE1200ELNS1_3gpuE4ELNS1_3repE0EEENS1_30default_config_static_selectorELNS0_4arch9wavefront6targetE0EEEvT1_.uses_vcc, 0
	.set _ZN7rocprim17ROCPRIM_400000_NS6detail17trampoline_kernelINS0_14default_configENS1_25partition_config_selectorILNS1_17partition_subalgoE8ElNS0_10empty_typeEbEEZZNS1_14partition_implILS5_8ELb0ES3_jPlPS6_PKS6_NS0_5tupleIJS9_S6_EEENSD_IJSA_SA_EEENS0_18inequality_wrapperIZN2at6native12_GLOBAL__N_124unique_dim_cuda_templateIfEESt5tupleIJNSH_6TensorESM_SM_EERKSM_lbbbEUlllE0_EEPmJS6_EEE10hipError_tPvRmT3_T4_T5_T6_T7_T9_mT8_P12ihipStream_tbDpT10_ENKUlT_T0_E_clISt17integral_constantIbLb0EES1C_EEDaS17_S18_EUlS17_E_NS1_11comp_targetILNS1_3genE10ELNS1_11target_archE1200ELNS1_3gpuE4ELNS1_3repE0EEENS1_30default_config_static_selectorELNS0_4arch9wavefront6targetE0EEEvT1_.uses_flat_scratch, 0
	.set _ZN7rocprim17ROCPRIM_400000_NS6detail17trampoline_kernelINS0_14default_configENS1_25partition_config_selectorILNS1_17partition_subalgoE8ElNS0_10empty_typeEbEEZZNS1_14partition_implILS5_8ELb0ES3_jPlPS6_PKS6_NS0_5tupleIJS9_S6_EEENSD_IJSA_SA_EEENS0_18inequality_wrapperIZN2at6native12_GLOBAL__N_124unique_dim_cuda_templateIfEESt5tupleIJNSH_6TensorESM_SM_EERKSM_lbbbEUlllE0_EEPmJS6_EEE10hipError_tPvRmT3_T4_T5_T6_T7_T9_mT8_P12ihipStream_tbDpT10_ENKUlT_T0_E_clISt17integral_constantIbLb0EES1C_EEDaS17_S18_EUlS17_E_NS1_11comp_targetILNS1_3genE10ELNS1_11target_archE1200ELNS1_3gpuE4ELNS1_3repE0EEENS1_30default_config_static_selectorELNS0_4arch9wavefront6targetE0EEEvT1_.has_dyn_sized_stack, 0
	.set _ZN7rocprim17ROCPRIM_400000_NS6detail17trampoline_kernelINS0_14default_configENS1_25partition_config_selectorILNS1_17partition_subalgoE8ElNS0_10empty_typeEbEEZZNS1_14partition_implILS5_8ELb0ES3_jPlPS6_PKS6_NS0_5tupleIJS9_S6_EEENSD_IJSA_SA_EEENS0_18inequality_wrapperIZN2at6native12_GLOBAL__N_124unique_dim_cuda_templateIfEESt5tupleIJNSH_6TensorESM_SM_EERKSM_lbbbEUlllE0_EEPmJS6_EEE10hipError_tPvRmT3_T4_T5_T6_T7_T9_mT8_P12ihipStream_tbDpT10_ENKUlT_T0_E_clISt17integral_constantIbLb0EES1C_EEDaS17_S18_EUlS17_E_NS1_11comp_targetILNS1_3genE10ELNS1_11target_archE1200ELNS1_3gpuE4ELNS1_3repE0EEENS1_30default_config_static_selectorELNS0_4arch9wavefront6targetE0EEEvT1_.has_recursion, 0
	.set _ZN7rocprim17ROCPRIM_400000_NS6detail17trampoline_kernelINS0_14default_configENS1_25partition_config_selectorILNS1_17partition_subalgoE8ElNS0_10empty_typeEbEEZZNS1_14partition_implILS5_8ELb0ES3_jPlPS6_PKS6_NS0_5tupleIJS9_S6_EEENSD_IJSA_SA_EEENS0_18inequality_wrapperIZN2at6native12_GLOBAL__N_124unique_dim_cuda_templateIfEESt5tupleIJNSH_6TensorESM_SM_EERKSM_lbbbEUlllE0_EEPmJS6_EEE10hipError_tPvRmT3_T4_T5_T6_T7_T9_mT8_P12ihipStream_tbDpT10_ENKUlT_T0_E_clISt17integral_constantIbLb0EES1C_EEDaS17_S18_EUlS17_E_NS1_11comp_targetILNS1_3genE10ELNS1_11target_archE1200ELNS1_3gpuE4ELNS1_3repE0EEENS1_30default_config_static_selectorELNS0_4arch9wavefront6targetE0EEEvT1_.has_indirect_call, 0
	.section	.AMDGPU.csdata,"",@progbits
; Kernel info:
; codeLenInByte = 0
; TotalNumSgprs: 0
; NumVgprs: 0
; ScratchSize: 0
; MemoryBound: 0
; FloatMode: 240
; IeeeMode: 1
; LDSByteSize: 0 bytes/workgroup (compile time only)
; SGPRBlocks: 0
; VGPRBlocks: 0
; NumSGPRsForWavesPerEU: 1
; NumVGPRsForWavesPerEU: 1
; NamedBarCnt: 0
; Occupancy: 16
; WaveLimiterHint : 0
; COMPUTE_PGM_RSRC2:SCRATCH_EN: 0
; COMPUTE_PGM_RSRC2:USER_SGPR: 2
; COMPUTE_PGM_RSRC2:TRAP_HANDLER: 0
; COMPUTE_PGM_RSRC2:TGID_X_EN: 1
; COMPUTE_PGM_RSRC2:TGID_Y_EN: 0
; COMPUTE_PGM_RSRC2:TGID_Z_EN: 0
; COMPUTE_PGM_RSRC2:TIDIG_COMP_CNT: 0
	.section	.text._ZN7rocprim17ROCPRIM_400000_NS6detail17trampoline_kernelINS0_14default_configENS1_25partition_config_selectorILNS1_17partition_subalgoE8ElNS0_10empty_typeEbEEZZNS1_14partition_implILS5_8ELb0ES3_jPlPS6_PKS6_NS0_5tupleIJS9_S6_EEENSD_IJSA_SA_EEENS0_18inequality_wrapperIZN2at6native12_GLOBAL__N_124unique_dim_cuda_templateIfEESt5tupleIJNSH_6TensorESM_SM_EERKSM_lbbbEUlllE0_EEPmJS6_EEE10hipError_tPvRmT3_T4_T5_T6_T7_T9_mT8_P12ihipStream_tbDpT10_ENKUlT_T0_E_clISt17integral_constantIbLb0EES1C_EEDaS17_S18_EUlS17_E_NS1_11comp_targetILNS1_3genE9ELNS1_11target_archE1100ELNS1_3gpuE3ELNS1_3repE0EEENS1_30default_config_static_selectorELNS0_4arch9wavefront6targetE0EEEvT1_,"axG",@progbits,_ZN7rocprim17ROCPRIM_400000_NS6detail17trampoline_kernelINS0_14default_configENS1_25partition_config_selectorILNS1_17partition_subalgoE8ElNS0_10empty_typeEbEEZZNS1_14partition_implILS5_8ELb0ES3_jPlPS6_PKS6_NS0_5tupleIJS9_S6_EEENSD_IJSA_SA_EEENS0_18inequality_wrapperIZN2at6native12_GLOBAL__N_124unique_dim_cuda_templateIfEESt5tupleIJNSH_6TensorESM_SM_EERKSM_lbbbEUlllE0_EEPmJS6_EEE10hipError_tPvRmT3_T4_T5_T6_T7_T9_mT8_P12ihipStream_tbDpT10_ENKUlT_T0_E_clISt17integral_constantIbLb0EES1C_EEDaS17_S18_EUlS17_E_NS1_11comp_targetILNS1_3genE9ELNS1_11target_archE1100ELNS1_3gpuE3ELNS1_3repE0EEENS1_30default_config_static_selectorELNS0_4arch9wavefront6targetE0EEEvT1_,comdat
	.globl	_ZN7rocprim17ROCPRIM_400000_NS6detail17trampoline_kernelINS0_14default_configENS1_25partition_config_selectorILNS1_17partition_subalgoE8ElNS0_10empty_typeEbEEZZNS1_14partition_implILS5_8ELb0ES3_jPlPS6_PKS6_NS0_5tupleIJS9_S6_EEENSD_IJSA_SA_EEENS0_18inequality_wrapperIZN2at6native12_GLOBAL__N_124unique_dim_cuda_templateIfEESt5tupleIJNSH_6TensorESM_SM_EERKSM_lbbbEUlllE0_EEPmJS6_EEE10hipError_tPvRmT3_T4_T5_T6_T7_T9_mT8_P12ihipStream_tbDpT10_ENKUlT_T0_E_clISt17integral_constantIbLb0EES1C_EEDaS17_S18_EUlS17_E_NS1_11comp_targetILNS1_3genE9ELNS1_11target_archE1100ELNS1_3gpuE3ELNS1_3repE0EEENS1_30default_config_static_selectorELNS0_4arch9wavefront6targetE0EEEvT1_ ; -- Begin function _ZN7rocprim17ROCPRIM_400000_NS6detail17trampoline_kernelINS0_14default_configENS1_25partition_config_selectorILNS1_17partition_subalgoE8ElNS0_10empty_typeEbEEZZNS1_14partition_implILS5_8ELb0ES3_jPlPS6_PKS6_NS0_5tupleIJS9_S6_EEENSD_IJSA_SA_EEENS0_18inequality_wrapperIZN2at6native12_GLOBAL__N_124unique_dim_cuda_templateIfEESt5tupleIJNSH_6TensorESM_SM_EERKSM_lbbbEUlllE0_EEPmJS6_EEE10hipError_tPvRmT3_T4_T5_T6_T7_T9_mT8_P12ihipStream_tbDpT10_ENKUlT_T0_E_clISt17integral_constantIbLb0EES1C_EEDaS17_S18_EUlS17_E_NS1_11comp_targetILNS1_3genE9ELNS1_11target_archE1100ELNS1_3gpuE3ELNS1_3repE0EEENS1_30default_config_static_selectorELNS0_4arch9wavefront6targetE0EEEvT1_
	.p2align	8
	.type	_ZN7rocprim17ROCPRIM_400000_NS6detail17trampoline_kernelINS0_14default_configENS1_25partition_config_selectorILNS1_17partition_subalgoE8ElNS0_10empty_typeEbEEZZNS1_14partition_implILS5_8ELb0ES3_jPlPS6_PKS6_NS0_5tupleIJS9_S6_EEENSD_IJSA_SA_EEENS0_18inequality_wrapperIZN2at6native12_GLOBAL__N_124unique_dim_cuda_templateIfEESt5tupleIJNSH_6TensorESM_SM_EERKSM_lbbbEUlllE0_EEPmJS6_EEE10hipError_tPvRmT3_T4_T5_T6_T7_T9_mT8_P12ihipStream_tbDpT10_ENKUlT_T0_E_clISt17integral_constantIbLb0EES1C_EEDaS17_S18_EUlS17_E_NS1_11comp_targetILNS1_3genE9ELNS1_11target_archE1100ELNS1_3gpuE3ELNS1_3repE0EEENS1_30default_config_static_selectorELNS0_4arch9wavefront6targetE0EEEvT1_,@function
_ZN7rocprim17ROCPRIM_400000_NS6detail17trampoline_kernelINS0_14default_configENS1_25partition_config_selectorILNS1_17partition_subalgoE8ElNS0_10empty_typeEbEEZZNS1_14partition_implILS5_8ELb0ES3_jPlPS6_PKS6_NS0_5tupleIJS9_S6_EEENSD_IJSA_SA_EEENS0_18inequality_wrapperIZN2at6native12_GLOBAL__N_124unique_dim_cuda_templateIfEESt5tupleIJNSH_6TensorESM_SM_EERKSM_lbbbEUlllE0_EEPmJS6_EEE10hipError_tPvRmT3_T4_T5_T6_T7_T9_mT8_P12ihipStream_tbDpT10_ENKUlT_T0_E_clISt17integral_constantIbLb0EES1C_EEDaS17_S18_EUlS17_E_NS1_11comp_targetILNS1_3genE9ELNS1_11target_archE1100ELNS1_3gpuE3ELNS1_3repE0EEENS1_30default_config_static_selectorELNS0_4arch9wavefront6targetE0EEEvT1_: ; @_ZN7rocprim17ROCPRIM_400000_NS6detail17trampoline_kernelINS0_14default_configENS1_25partition_config_selectorILNS1_17partition_subalgoE8ElNS0_10empty_typeEbEEZZNS1_14partition_implILS5_8ELb0ES3_jPlPS6_PKS6_NS0_5tupleIJS9_S6_EEENSD_IJSA_SA_EEENS0_18inequality_wrapperIZN2at6native12_GLOBAL__N_124unique_dim_cuda_templateIfEESt5tupleIJNSH_6TensorESM_SM_EERKSM_lbbbEUlllE0_EEPmJS6_EEE10hipError_tPvRmT3_T4_T5_T6_T7_T9_mT8_P12ihipStream_tbDpT10_ENKUlT_T0_E_clISt17integral_constantIbLb0EES1C_EEDaS17_S18_EUlS17_E_NS1_11comp_targetILNS1_3genE9ELNS1_11target_archE1100ELNS1_3gpuE3ELNS1_3repE0EEENS1_30default_config_static_selectorELNS0_4arch9wavefront6targetE0EEEvT1_
; %bb.0:
	.section	.rodata,"a",@progbits
	.p2align	6, 0x0
	.amdhsa_kernel _ZN7rocprim17ROCPRIM_400000_NS6detail17trampoline_kernelINS0_14default_configENS1_25partition_config_selectorILNS1_17partition_subalgoE8ElNS0_10empty_typeEbEEZZNS1_14partition_implILS5_8ELb0ES3_jPlPS6_PKS6_NS0_5tupleIJS9_S6_EEENSD_IJSA_SA_EEENS0_18inequality_wrapperIZN2at6native12_GLOBAL__N_124unique_dim_cuda_templateIfEESt5tupleIJNSH_6TensorESM_SM_EERKSM_lbbbEUlllE0_EEPmJS6_EEE10hipError_tPvRmT3_T4_T5_T6_T7_T9_mT8_P12ihipStream_tbDpT10_ENKUlT_T0_E_clISt17integral_constantIbLb0EES1C_EEDaS17_S18_EUlS17_E_NS1_11comp_targetILNS1_3genE9ELNS1_11target_archE1100ELNS1_3gpuE3ELNS1_3repE0EEENS1_30default_config_static_selectorELNS0_4arch9wavefront6targetE0EEEvT1_
		.amdhsa_group_segment_fixed_size 0
		.amdhsa_private_segment_fixed_size 0
		.amdhsa_kernarg_size 120
		.amdhsa_user_sgpr_count 2
		.amdhsa_user_sgpr_dispatch_ptr 0
		.amdhsa_user_sgpr_queue_ptr 0
		.amdhsa_user_sgpr_kernarg_segment_ptr 1
		.amdhsa_user_sgpr_dispatch_id 0
		.amdhsa_user_sgpr_kernarg_preload_length 0
		.amdhsa_user_sgpr_kernarg_preload_offset 0
		.amdhsa_user_sgpr_private_segment_size 0
		.amdhsa_wavefront_size32 1
		.amdhsa_uses_dynamic_stack 0
		.amdhsa_enable_private_segment 0
		.amdhsa_system_sgpr_workgroup_id_x 1
		.amdhsa_system_sgpr_workgroup_id_y 0
		.amdhsa_system_sgpr_workgroup_id_z 0
		.amdhsa_system_sgpr_workgroup_info 0
		.amdhsa_system_vgpr_workitem_id 0
		.amdhsa_next_free_vgpr 1
		.amdhsa_next_free_sgpr 1
		.amdhsa_named_barrier_count 0
		.amdhsa_reserve_vcc 0
		.amdhsa_float_round_mode_32 0
		.amdhsa_float_round_mode_16_64 0
		.amdhsa_float_denorm_mode_32 3
		.amdhsa_float_denorm_mode_16_64 3
		.amdhsa_fp16_overflow 0
		.amdhsa_memory_ordered 1
		.amdhsa_forward_progress 1
		.amdhsa_inst_pref_size 0
		.amdhsa_round_robin_scheduling 0
		.amdhsa_exception_fp_ieee_invalid_op 0
		.amdhsa_exception_fp_denorm_src 0
		.amdhsa_exception_fp_ieee_div_zero 0
		.amdhsa_exception_fp_ieee_overflow 0
		.amdhsa_exception_fp_ieee_underflow 0
		.amdhsa_exception_fp_ieee_inexact 0
		.amdhsa_exception_int_div_zero 0
	.end_amdhsa_kernel
	.section	.text._ZN7rocprim17ROCPRIM_400000_NS6detail17trampoline_kernelINS0_14default_configENS1_25partition_config_selectorILNS1_17partition_subalgoE8ElNS0_10empty_typeEbEEZZNS1_14partition_implILS5_8ELb0ES3_jPlPS6_PKS6_NS0_5tupleIJS9_S6_EEENSD_IJSA_SA_EEENS0_18inequality_wrapperIZN2at6native12_GLOBAL__N_124unique_dim_cuda_templateIfEESt5tupleIJNSH_6TensorESM_SM_EERKSM_lbbbEUlllE0_EEPmJS6_EEE10hipError_tPvRmT3_T4_T5_T6_T7_T9_mT8_P12ihipStream_tbDpT10_ENKUlT_T0_E_clISt17integral_constantIbLb0EES1C_EEDaS17_S18_EUlS17_E_NS1_11comp_targetILNS1_3genE9ELNS1_11target_archE1100ELNS1_3gpuE3ELNS1_3repE0EEENS1_30default_config_static_selectorELNS0_4arch9wavefront6targetE0EEEvT1_,"axG",@progbits,_ZN7rocprim17ROCPRIM_400000_NS6detail17trampoline_kernelINS0_14default_configENS1_25partition_config_selectorILNS1_17partition_subalgoE8ElNS0_10empty_typeEbEEZZNS1_14partition_implILS5_8ELb0ES3_jPlPS6_PKS6_NS0_5tupleIJS9_S6_EEENSD_IJSA_SA_EEENS0_18inequality_wrapperIZN2at6native12_GLOBAL__N_124unique_dim_cuda_templateIfEESt5tupleIJNSH_6TensorESM_SM_EERKSM_lbbbEUlllE0_EEPmJS6_EEE10hipError_tPvRmT3_T4_T5_T6_T7_T9_mT8_P12ihipStream_tbDpT10_ENKUlT_T0_E_clISt17integral_constantIbLb0EES1C_EEDaS17_S18_EUlS17_E_NS1_11comp_targetILNS1_3genE9ELNS1_11target_archE1100ELNS1_3gpuE3ELNS1_3repE0EEENS1_30default_config_static_selectorELNS0_4arch9wavefront6targetE0EEEvT1_,comdat
.Lfunc_end935:
	.size	_ZN7rocprim17ROCPRIM_400000_NS6detail17trampoline_kernelINS0_14default_configENS1_25partition_config_selectorILNS1_17partition_subalgoE8ElNS0_10empty_typeEbEEZZNS1_14partition_implILS5_8ELb0ES3_jPlPS6_PKS6_NS0_5tupleIJS9_S6_EEENSD_IJSA_SA_EEENS0_18inequality_wrapperIZN2at6native12_GLOBAL__N_124unique_dim_cuda_templateIfEESt5tupleIJNSH_6TensorESM_SM_EERKSM_lbbbEUlllE0_EEPmJS6_EEE10hipError_tPvRmT3_T4_T5_T6_T7_T9_mT8_P12ihipStream_tbDpT10_ENKUlT_T0_E_clISt17integral_constantIbLb0EES1C_EEDaS17_S18_EUlS17_E_NS1_11comp_targetILNS1_3genE9ELNS1_11target_archE1100ELNS1_3gpuE3ELNS1_3repE0EEENS1_30default_config_static_selectorELNS0_4arch9wavefront6targetE0EEEvT1_, .Lfunc_end935-_ZN7rocprim17ROCPRIM_400000_NS6detail17trampoline_kernelINS0_14default_configENS1_25partition_config_selectorILNS1_17partition_subalgoE8ElNS0_10empty_typeEbEEZZNS1_14partition_implILS5_8ELb0ES3_jPlPS6_PKS6_NS0_5tupleIJS9_S6_EEENSD_IJSA_SA_EEENS0_18inequality_wrapperIZN2at6native12_GLOBAL__N_124unique_dim_cuda_templateIfEESt5tupleIJNSH_6TensorESM_SM_EERKSM_lbbbEUlllE0_EEPmJS6_EEE10hipError_tPvRmT3_T4_T5_T6_T7_T9_mT8_P12ihipStream_tbDpT10_ENKUlT_T0_E_clISt17integral_constantIbLb0EES1C_EEDaS17_S18_EUlS17_E_NS1_11comp_targetILNS1_3genE9ELNS1_11target_archE1100ELNS1_3gpuE3ELNS1_3repE0EEENS1_30default_config_static_selectorELNS0_4arch9wavefront6targetE0EEEvT1_
                                        ; -- End function
	.set _ZN7rocprim17ROCPRIM_400000_NS6detail17trampoline_kernelINS0_14default_configENS1_25partition_config_selectorILNS1_17partition_subalgoE8ElNS0_10empty_typeEbEEZZNS1_14partition_implILS5_8ELb0ES3_jPlPS6_PKS6_NS0_5tupleIJS9_S6_EEENSD_IJSA_SA_EEENS0_18inequality_wrapperIZN2at6native12_GLOBAL__N_124unique_dim_cuda_templateIfEESt5tupleIJNSH_6TensorESM_SM_EERKSM_lbbbEUlllE0_EEPmJS6_EEE10hipError_tPvRmT3_T4_T5_T6_T7_T9_mT8_P12ihipStream_tbDpT10_ENKUlT_T0_E_clISt17integral_constantIbLb0EES1C_EEDaS17_S18_EUlS17_E_NS1_11comp_targetILNS1_3genE9ELNS1_11target_archE1100ELNS1_3gpuE3ELNS1_3repE0EEENS1_30default_config_static_selectorELNS0_4arch9wavefront6targetE0EEEvT1_.num_vgpr, 0
	.set _ZN7rocprim17ROCPRIM_400000_NS6detail17trampoline_kernelINS0_14default_configENS1_25partition_config_selectorILNS1_17partition_subalgoE8ElNS0_10empty_typeEbEEZZNS1_14partition_implILS5_8ELb0ES3_jPlPS6_PKS6_NS0_5tupleIJS9_S6_EEENSD_IJSA_SA_EEENS0_18inequality_wrapperIZN2at6native12_GLOBAL__N_124unique_dim_cuda_templateIfEESt5tupleIJNSH_6TensorESM_SM_EERKSM_lbbbEUlllE0_EEPmJS6_EEE10hipError_tPvRmT3_T4_T5_T6_T7_T9_mT8_P12ihipStream_tbDpT10_ENKUlT_T0_E_clISt17integral_constantIbLb0EES1C_EEDaS17_S18_EUlS17_E_NS1_11comp_targetILNS1_3genE9ELNS1_11target_archE1100ELNS1_3gpuE3ELNS1_3repE0EEENS1_30default_config_static_selectorELNS0_4arch9wavefront6targetE0EEEvT1_.num_agpr, 0
	.set _ZN7rocprim17ROCPRIM_400000_NS6detail17trampoline_kernelINS0_14default_configENS1_25partition_config_selectorILNS1_17partition_subalgoE8ElNS0_10empty_typeEbEEZZNS1_14partition_implILS5_8ELb0ES3_jPlPS6_PKS6_NS0_5tupleIJS9_S6_EEENSD_IJSA_SA_EEENS0_18inequality_wrapperIZN2at6native12_GLOBAL__N_124unique_dim_cuda_templateIfEESt5tupleIJNSH_6TensorESM_SM_EERKSM_lbbbEUlllE0_EEPmJS6_EEE10hipError_tPvRmT3_T4_T5_T6_T7_T9_mT8_P12ihipStream_tbDpT10_ENKUlT_T0_E_clISt17integral_constantIbLb0EES1C_EEDaS17_S18_EUlS17_E_NS1_11comp_targetILNS1_3genE9ELNS1_11target_archE1100ELNS1_3gpuE3ELNS1_3repE0EEENS1_30default_config_static_selectorELNS0_4arch9wavefront6targetE0EEEvT1_.numbered_sgpr, 0
	.set _ZN7rocprim17ROCPRIM_400000_NS6detail17trampoline_kernelINS0_14default_configENS1_25partition_config_selectorILNS1_17partition_subalgoE8ElNS0_10empty_typeEbEEZZNS1_14partition_implILS5_8ELb0ES3_jPlPS6_PKS6_NS0_5tupleIJS9_S6_EEENSD_IJSA_SA_EEENS0_18inequality_wrapperIZN2at6native12_GLOBAL__N_124unique_dim_cuda_templateIfEESt5tupleIJNSH_6TensorESM_SM_EERKSM_lbbbEUlllE0_EEPmJS6_EEE10hipError_tPvRmT3_T4_T5_T6_T7_T9_mT8_P12ihipStream_tbDpT10_ENKUlT_T0_E_clISt17integral_constantIbLb0EES1C_EEDaS17_S18_EUlS17_E_NS1_11comp_targetILNS1_3genE9ELNS1_11target_archE1100ELNS1_3gpuE3ELNS1_3repE0EEENS1_30default_config_static_selectorELNS0_4arch9wavefront6targetE0EEEvT1_.num_named_barrier, 0
	.set _ZN7rocprim17ROCPRIM_400000_NS6detail17trampoline_kernelINS0_14default_configENS1_25partition_config_selectorILNS1_17partition_subalgoE8ElNS0_10empty_typeEbEEZZNS1_14partition_implILS5_8ELb0ES3_jPlPS6_PKS6_NS0_5tupleIJS9_S6_EEENSD_IJSA_SA_EEENS0_18inequality_wrapperIZN2at6native12_GLOBAL__N_124unique_dim_cuda_templateIfEESt5tupleIJNSH_6TensorESM_SM_EERKSM_lbbbEUlllE0_EEPmJS6_EEE10hipError_tPvRmT3_T4_T5_T6_T7_T9_mT8_P12ihipStream_tbDpT10_ENKUlT_T0_E_clISt17integral_constantIbLb0EES1C_EEDaS17_S18_EUlS17_E_NS1_11comp_targetILNS1_3genE9ELNS1_11target_archE1100ELNS1_3gpuE3ELNS1_3repE0EEENS1_30default_config_static_selectorELNS0_4arch9wavefront6targetE0EEEvT1_.private_seg_size, 0
	.set _ZN7rocprim17ROCPRIM_400000_NS6detail17trampoline_kernelINS0_14default_configENS1_25partition_config_selectorILNS1_17partition_subalgoE8ElNS0_10empty_typeEbEEZZNS1_14partition_implILS5_8ELb0ES3_jPlPS6_PKS6_NS0_5tupleIJS9_S6_EEENSD_IJSA_SA_EEENS0_18inequality_wrapperIZN2at6native12_GLOBAL__N_124unique_dim_cuda_templateIfEESt5tupleIJNSH_6TensorESM_SM_EERKSM_lbbbEUlllE0_EEPmJS6_EEE10hipError_tPvRmT3_T4_T5_T6_T7_T9_mT8_P12ihipStream_tbDpT10_ENKUlT_T0_E_clISt17integral_constantIbLb0EES1C_EEDaS17_S18_EUlS17_E_NS1_11comp_targetILNS1_3genE9ELNS1_11target_archE1100ELNS1_3gpuE3ELNS1_3repE0EEENS1_30default_config_static_selectorELNS0_4arch9wavefront6targetE0EEEvT1_.uses_vcc, 0
	.set _ZN7rocprim17ROCPRIM_400000_NS6detail17trampoline_kernelINS0_14default_configENS1_25partition_config_selectorILNS1_17partition_subalgoE8ElNS0_10empty_typeEbEEZZNS1_14partition_implILS5_8ELb0ES3_jPlPS6_PKS6_NS0_5tupleIJS9_S6_EEENSD_IJSA_SA_EEENS0_18inequality_wrapperIZN2at6native12_GLOBAL__N_124unique_dim_cuda_templateIfEESt5tupleIJNSH_6TensorESM_SM_EERKSM_lbbbEUlllE0_EEPmJS6_EEE10hipError_tPvRmT3_T4_T5_T6_T7_T9_mT8_P12ihipStream_tbDpT10_ENKUlT_T0_E_clISt17integral_constantIbLb0EES1C_EEDaS17_S18_EUlS17_E_NS1_11comp_targetILNS1_3genE9ELNS1_11target_archE1100ELNS1_3gpuE3ELNS1_3repE0EEENS1_30default_config_static_selectorELNS0_4arch9wavefront6targetE0EEEvT1_.uses_flat_scratch, 0
	.set _ZN7rocprim17ROCPRIM_400000_NS6detail17trampoline_kernelINS0_14default_configENS1_25partition_config_selectorILNS1_17partition_subalgoE8ElNS0_10empty_typeEbEEZZNS1_14partition_implILS5_8ELb0ES3_jPlPS6_PKS6_NS0_5tupleIJS9_S6_EEENSD_IJSA_SA_EEENS0_18inequality_wrapperIZN2at6native12_GLOBAL__N_124unique_dim_cuda_templateIfEESt5tupleIJNSH_6TensorESM_SM_EERKSM_lbbbEUlllE0_EEPmJS6_EEE10hipError_tPvRmT3_T4_T5_T6_T7_T9_mT8_P12ihipStream_tbDpT10_ENKUlT_T0_E_clISt17integral_constantIbLb0EES1C_EEDaS17_S18_EUlS17_E_NS1_11comp_targetILNS1_3genE9ELNS1_11target_archE1100ELNS1_3gpuE3ELNS1_3repE0EEENS1_30default_config_static_selectorELNS0_4arch9wavefront6targetE0EEEvT1_.has_dyn_sized_stack, 0
	.set _ZN7rocprim17ROCPRIM_400000_NS6detail17trampoline_kernelINS0_14default_configENS1_25partition_config_selectorILNS1_17partition_subalgoE8ElNS0_10empty_typeEbEEZZNS1_14partition_implILS5_8ELb0ES3_jPlPS6_PKS6_NS0_5tupleIJS9_S6_EEENSD_IJSA_SA_EEENS0_18inequality_wrapperIZN2at6native12_GLOBAL__N_124unique_dim_cuda_templateIfEESt5tupleIJNSH_6TensorESM_SM_EERKSM_lbbbEUlllE0_EEPmJS6_EEE10hipError_tPvRmT3_T4_T5_T6_T7_T9_mT8_P12ihipStream_tbDpT10_ENKUlT_T0_E_clISt17integral_constantIbLb0EES1C_EEDaS17_S18_EUlS17_E_NS1_11comp_targetILNS1_3genE9ELNS1_11target_archE1100ELNS1_3gpuE3ELNS1_3repE0EEENS1_30default_config_static_selectorELNS0_4arch9wavefront6targetE0EEEvT1_.has_recursion, 0
	.set _ZN7rocprim17ROCPRIM_400000_NS6detail17trampoline_kernelINS0_14default_configENS1_25partition_config_selectorILNS1_17partition_subalgoE8ElNS0_10empty_typeEbEEZZNS1_14partition_implILS5_8ELb0ES3_jPlPS6_PKS6_NS0_5tupleIJS9_S6_EEENSD_IJSA_SA_EEENS0_18inequality_wrapperIZN2at6native12_GLOBAL__N_124unique_dim_cuda_templateIfEESt5tupleIJNSH_6TensorESM_SM_EERKSM_lbbbEUlllE0_EEPmJS6_EEE10hipError_tPvRmT3_T4_T5_T6_T7_T9_mT8_P12ihipStream_tbDpT10_ENKUlT_T0_E_clISt17integral_constantIbLb0EES1C_EEDaS17_S18_EUlS17_E_NS1_11comp_targetILNS1_3genE9ELNS1_11target_archE1100ELNS1_3gpuE3ELNS1_3repE0EEENS1_30default_config_static_selectorELNS0_4arch9wavefront6targetE0EEEvT1_.has_indirect_call, 0
	.section	.AMDGPU.csdata,"",@progbits
; Kernel info:
; codeLenInByte = 0
; TotalNumSgprs: 0
; NumVgprs: 0
; ScratchSize: 0
; MemoryBound: 0
; FloatMode: 240
; IeeeMode: 1
; LDSByteSize: 0 bytes/workgroup (compile time only)
; SGPRBlocks: 0
; VGPRBlocks: 0
; NumSGPRsForWavesPerEU: 1
; NumVGPRsForWavesPerEU: 1
; NamedBarCnt: 0
; Occupancy: 16
; WaveLimiterHint : 0
; COMPUTE_PGM_RSRC2:SCRATCH_EN: 0
; COMPUTE_PGM_RSRC2:USER_SGPR: 2
; COMPUTE_PGM_RSRC2:TRAP_HANDLER: 0
; COMPUTE_PGM_RSRC2:TGID_X_EN: 1
; COMPUTE_PGM_RSRC2:TGID_Y_EN: 0
; COMPUTE_PGM_RSRC2:TGID_Z_EN: 0
; COMPUTE_PGM_RSRC2:TIDIG_COMP_CNT: 0
	.section	.text._ZN7rocprim17ROCPRIM_400000_NS6detail17trampoline_kernelINS0_14default_configENS1_25partition_config_selectorILNS1_17partition_subalgoE8ElNS0_10empty_typeEbEEZZNS1_14partition_implILS5_8ELb0ES3_jPlPS6_PKS6_NS0_5tupleIJS9_S6_EEENSD_IJSA_SA_EEENS0_18inequality_wrapperIZN2at6native12_GLOBAL__N_124unique_dim_cuda_templateIfEESt5tupleIJNSH_6TensorESM_SM_EERKSM_lbbbEUlllE0_EEPmJS6_EEE10hipError_tPvRmT3_T4_T5_T6_T7_T9_mT8_P12ihipStream_tbDpT10_ENKUlT_T0_E_clISt17integral_constantIbLb0EES1C_EEDaS17_S18_EUlS17_E_NS1_11comp_targetILNS1_3genE8ELNS1_11target_archE1030ELNS1_3gpuE2ELNS1_3repE0EEENS1_30default_config_static_selectorELNS0_4arch9wavefront6targetE0EEEvT1_,"axG",@progbits,_ZN7rocprim17ROCPRIM_400000_NS6detail17trampoline_kernelINS0_14default_configENS1_25partition_config_selectorILNS1_17partition_subalgoE8ElNS0_10empty_typeEbEEZZNS1_14partition_implILS5_8ELb0ES3_jPlPS6_PKS6_NS0_5tupleIJS9_S6_EEENSD_IJSA_SA_EEENS0_18inequality_wrapperIZN2at6native12_GLOBAL__N_124unique_dim_cuda_templateIfEESt5tupleIJNSH_6TensorESM_SM_EERKSM_lbbbEUlllE0_EEPmJS6_EEE10hipError_tPvRmT3_T4_T5_T6_T7_T9_mT8_P12ihipStream_tbDpT10_ENKUlT_T0_E_clISt17integral_constantIbLb0EES1C_EEDaS17_S18_EUlS17_E_NS1_11comp_targetILNS1_3genE8ELNS1_11target_archE1030ELNS1_3gpuE2ELNS1_3repE0EEENS1_30default_config_static_selectorELNS0_4arch9wavefront6targetE0EEEvT1_,comdat
	.globl	_ZN7rocprim17ROCPRIM_400000_NS6detail17trampoline_kernelINS0_14default_configENS1_25partition_config_selectorILNS1_17partition_subalgoE8ElNS0_10empty_typeEbEEZZNS1_14partition_implILS5_8ELb0ES3_jPlPS6_PKS6_NS0_5tupleIJS9_S6_EEENSD_IJSA_SA_EEENS0_18inequality_wrapperIZN2at6native12_GLOBAL__N_124unique_dim_cuda_templateIfEESt5tupleIJNSH_6TensorESM_SM_EERKSM_lbbbEUlllE0_EEPmJS6_EEE10hipError_tPvRmT3_T4_T5_T6_T7_T9_mT8_P12ihipStream_tbDpT10_ENKUlT_T0_E_clISt17integral_constantIbLb0EES1C_EEDaS17_S18_EUlS17_E_NS1_11comp_targetILNS1_3genE8ELNS1_11target_archE1030ELNS1_3gpuE2ELNS1_3repE0EEENS1_30default_config_static_selectorELNS0_4arch9wavefront6targetE0EEEvT1_ ; -- Begin function _ZN7rocprim17ROCPRIM_400000_NS6detail17trampoline_kernelINS0_14default_configENS1_25partition_config_selectorILNS1_17partition_subalgoE8ElNS0_10empty_typeEbEEZZNS1_14partition_implILS5_8ELb0ES3_jPlPS6_PKS6_NS0_5tupleIJS9_S6_EEENSD_IJSA_SA_EEENS0_18inequality_wrapperIZN2at6native12_GLOBAL__N_124unique_dim_cuda_templateIfEESt5tupleIJNSH_6TensorESM_SM_EERKSM_lbbbEUlllE0_EEPmJS6_EEE10hipError_tPvRmT3_T4_T5_T6_T7_T9_mT8_P12ihipStream_tbDpT10_ENKUlT_T0_E_clISt17integral_constantIbLb0EES1C_EEDaS17_S18_EUlS17_E_NS1_11comp_targetILNS1_3genE8ELNS1_11target_archE1030ELNS1_3gpuE2ELNS1_3repE0EEENS1_30default_config_static_selectorELNS0_4arch9wavefront6targetE0EEEvT1_
	.p2align	8
	.type	_ZN7rocprim17ROCPRIM_400000_NS6detail17trampoline_kernelINS0_14default_configENS1_25partition_config_selectorILNS1_17partition_subalgoE8ElNS0_10empty_typeEbEEZZNS1_14partition_implILS5_8ELb0ES3_jPlPS6_PKS6_NS0_5tupleIJS9_S6_EEENSD_IJSA_SA_EEENS0_18inequality_wrapperIZN2at6native12_GLOBAL__N_124unique_dim_cuda_templateIfEESt5tupleIJNSH_6TensorESM_SM_EERKSM_lbbbEUlllE0_EEPmJS6_EEE10hipError_tPvRmT3_T4_T5_T6_T7_T9_mT8_P12ihipStream_tbDpT10_ENKUlT_T0_E_clISt17integral_constantIbLb0EES1C_EEDaS17_S18_EUlS17_E_NS1_11comp_targetILNS1_3genE8ELNS1_11target_archE1030ELNS1_3gpuE2ELNS1_3repE0EEENS1_30default_config_static_selectorELNS0_4arch9wavefront6targetE0EEEvT1_,@function
_ZN7rocprim17ROCPRIM_400000_NS6detail17trampoline_kernelINS0_14default_configENS1_25partition_config_selectorILNS1_17partition_subalgoE8ElNS0_10empty_typeEbEEZZNS1_14partition_implILS5_8ELb0ES3_jPlPS6_PKS6_NS0_5tupleIJS9_S6_EEENSD_IJSA_SA_EEENS0_18inequality_wrapperIZN2at6native12_GLOBAL__N_124unique_dim_cuda_templateIfEESt5tupleIJNSH_6TensorESM_SM_EERKSM_lbbbEUlllE0_EEPmJS6_EEE10hipError_tPvRmT3_T4_T5_T6_T7_T9_mT8_P12ihipStream_tbDpT10_ENKUlT_T0_E_clISt17integral_constantIbLb0EES1C_EEDaS17_S18_EUlS17_E_NS1_11comp_targetILNS1_3genE8ELNS1_11target_archE1030ELNS1_3gpuE2ELNS1_3repE0EEENS1_30default_config_static_selectorELNS0_4arch9wavefront6targetE0EEEvT1_: ; @_ZN7rocprim17ROCPRIM_400000_NS6detail17trampoline_kernelINS0_14default_configENS1_25partition_config_selectorILNS1_17partition_subalgoE8ElNS0_10empty_typeEbEEZZNS1_14partition_implILS5_8ELb0ES3_jPlPS6_PKS6_NS0_5tupleIJS9_S6_EEENSD_IJSA_SA_EEENS0_18inequality_wrapperIZN2at6native12_GLOBAL__N_124unique_dim_cuda_templateIfEESt5tupleIJNSH_6TensorESM_SM_EERKSM_lbbbEUlllE0_EEPmJS6_EEE10hipError_tPvRmT3_T4_T5_T6_T7_T9_mT8_P12ihipStream_tbDpT10_ENKUlT_T0_E_clISt17integral_constantIbLb0EES1C_EEDaS17_S18_EUlS17_E_NS1_11comp_targetILNS1_3genE8ELNS1_11target_archE1030ELNS1_3gpuE2ELNS1_3repE0EEENS1_30default_config_static_selectorELNS0_4arch9wavefront6targetE0EEEvT1_
; %bb.0:
	.section	.rodata,"a",@progbits
	.p2align	6, 0x0
	.amdhsa_kernel _ZN7rocprim17ROCPRIM_400000_NS6detail17trampoline_kernelINS0_14default_configENS1_25partition_config_selectorILNS1_17partition_subalgoE8ElNS0_10empty_typeEbEEZZNS1_14partition_implILS5_8ELb0ES3_jPlPS6_PKS6_NS0_5tupleIJS9_S6_EEENSD_IJSA_SA_EEENS0_18inequality_wrapperIZN2at6native12_GLOBAL__N_124unique_dim_cuda_templateIfEESt5tupleIJNSH_6TensorESM_SM_EERKSM_lbbbEUlllE0_EEPmJS6_EEE10hipError_tPvRmT3_T4_T5_T6_T7_T9_mT8_P12ihipStream_tbDpT10_ENKUlT_T0_E_clISt17integral_constantIbLb0EES1C_EEDaS17_S18_EUlS17_E_NS1_11comp_targetILNS1_3genE8ELNS1_11target_archE1030ELNS1_3gpuE2ELNS1_3repE0EEENS1_30default_config_static_selectorELNS0_4arch9wavefront6targetE0EEEvT1_
		.amdhsa_group_segment_fixed_size 0
		.amdhsa_private_segment_fixed_size 0
		.amdhsa_kernarg_size 120
		.amdhsa_user_sgpr_count 2
		.amdhsa_user_sgpr_dispatch_ptr 0
		.amdhsa_user_sgpr_queue_ptr 0
		.amdhsa_user_sgpr_kernarg_segment_ptr 1
		.amdhsa_user_sgpr_dispatch_id 0
		.amdhsa_user_sgpr_kernarg_preload_length 0
		.amdhsa_user_sgpr_kernarg_preload_offset 0
		.amdhsa_user_sgpr_private_segment_size 0
		.amdhsa_wavefront_size32 1
		.amdhsa_uses_dynamic_stack 0
		.amdhsa_enable_private_segment 0
		.amdhsa_system_sgpr_workgroup_id_x 1
		.amdhsa_system_sgpr_workgroup_id_y 0
		.amdhsa_system_sgpr_workgroup_id_z 0
		.amdhsa_system_sgpr_workgroup_info 0
		.amdhsa_system_vgpr_workitem_id 0
		.amdhsa_next_free_vgpr 1
		.amdhsa_next_free_sgpr 1
		.amdhsa_named_barrier_count 0
		.amdhsa_reserve_vcc 0
		.amdhsa_float_round_mode_32 0
		.amdhsa_float_round_mode_16_64 0
		.amdhsa_float_denorm_mode_32 3
		.amdhsa_float_denorm_mode_16_64 3
		.amdhsa_fp16_overflow 0
		.amdhsa_memory_ordered 1
		.amdhsa_forward_progress 1
		.amdhsa_inst_pref_size 0
		.amdhsa_round_robin_scheduling 0
		.amdhsa_exception_fp_ieee_invalid_op 0
		.amdhsa_exception_fp_denorm_src 0
		.amdhsa_exception_fp_ieee_div_zero 0
		.amdhsa_exception_fp_ieee_overflow 0
		.amdhsa_exception_fp_ieee_underflow 0
		.amdhsa_exception_fp_ieee_inexact 0
		.amdhsa_exception_int_div_zero 0
	.end_amdhsa_kernel
	.section	.text._ZN7rocprim17ROCPRIM_400000_NS6detail17trampoline_kernelINS0_14default_configENS1_25partition_config_selectorILNS1_17partition_subalgoE8ElNS0_10empty_typeEbEEZZNS1_14partition_implILS5_8ELb0ES3_jPlPS6_PKS6_NS0_5tupleIJS9_S6_EEENSD_IJSA_SA_EEENS0_18inequality_wrapperIZN2at6native12_GLOBAL__N_124unique_dim_cuda_templateIfEESt5tupleIJNSH_6TensorESM_SM_EERKSM_lbbbEUlllE0_EEPmJS6_EEE10hipError_tPvRmT3_T4_T5_T6_T7_T9_mT8_P12ihipStream_tbDpT10_ENKUlT_T0_E_clISt17integral_constantIbLb0EES1C_EEDaS17_S18_EUlS17_E_NS1_11comp_targetILNS1_3genE8ELNS1_11target_archE1030ELNS1_3gpuE2ELNS1_3repE0EEENS1_30default_config_static_selectorELNS0_4arch9wavefront6targetE0EEEvT1_,"axG",@progbits,_ZN7rocprim17ROCPRIM_400000_NS6detail17trampoline_kernelINS0_14default_configENS1_25partition_config_selectorILNS1_17partition_subalgoE8ElNS0_10empty_typeEbEEZZNS1_14partition_implILS5_8ELb0ES3_jPlPS6_PKS6_NS0_5tupleIJS9_S6_EEENSD_IJSA_SA_EEENS0_18inequality_wrapperIZN2at6native12_GLOBAL__N_124unique_dim_cuda_templateIfEESt5tupleIJNSH_6TensorESM_SM_EERKSM_lbbbEUlllE0_EEPmJS6_EEE10hipError_tPvRmT3_T4_T5_T6_T7_T9_mT8_P12ihipStream_tbDpT10_ENKUlT_T0_E_clISt17integral_constantIbLb0EES1C_EEDaS17_S18_EUlS17_E_NS1_11comp_targetILNS1_3genE8ELNS1_11target_archE1030ELNS1_3gpuE2ELNS1_3repE0EEENS1_30default_config_static_selectorELNS0_4arch9wavefront6targetE0EEEvT1_,comdat
.Lfunc_end936:
	.size	_ZN7rocprim17ROCPRIM_400000_NS6detail17trampoline_kernelINS0_14default_configENS1_25partition_config_selectorILNS1_17partition_subalgoE8ElNS0_10empty_typeEbEEZZNS1_14partition_implILS5_8ELb0ES3_jPlPS6_PKS6_NS0_5tupleIJS9_S6_EEENSD_IJSA_SA_EEENS0_18inequality_wrapperIZN2at6native12_GLOBAL__N_124unique_dim_cuda_templateIfEESt5tupleIJNSH_6TensorESM_SM_EERKSM_lbbbEUlllE0_EEPmJS6_EEE10hipError_tPvRmT3_T4_T5_T6_T7_T9_mT8_P12ihipStream_tbDpT10_ENKUlT_T0_E_clISt17integral_constantIbLb0EES1C_EEDaS17_S18_EUlS17_E_NS1_11comp_targetILNS1_3genE8ELNS1_11target_archE1030ELNS1_3gpuE2ELNS1_3repE0EEENS1_30default_config_static_selectorELNS0_4arch9wavefront6targetE0EEEvT1_, .Lfunc_end936-_ZN7rocprim17ROCPRIM_400000_NS6detail17trampoline_kernelINS0_14default_configENS1_25partition_config_selectorILNS1_17partition_subalgoE8ElNS0_10empty_typeEbEEZZNS1_14partition_implILS5_8ELb0ES3_jPlPS6_PKS6_NS0_5tupleIJS9_S6_EEENSD_IJSA_SA_EEENS0_18inequality_wrapperIZN2at6native12_GLOBAL__N_124unique_dim_cuda_templateIfEESt5tupleIJNSH_6TensorESM_SM_EERKSM_lbbbEUlllE0_EEPmJS6_EEE10hipError_tPvRmT3_T4_T5_T6_T7_T9_mT8_P12ihipStream_tbDpT10_ENKUlT_T0_E_clISt17integral_constantIbLb0EES1C_EEDaS17_S18_EUlS17_E_NS1_11comp_targetILNS1_3genE8ELNS1_11target_archE1030ELNS1_3gpuE2ELNS1_3repE0EEENS1_30default_config_static_selectorELNS0_4arch9wavefront6targetE0EEEvT1_
                                        ; -- End function
	.set _ZN7rocprim17ROCPRIM_400000_NS6detail17trampoline_kernelINS0_14default_configENS1_25partition_config_selectorILNS1_17partition_subalgoE8ElNS0_10empty_typeEbEEZZNS1_14partition_implILS5_8ELb0ES3_jPlPS6_PKS6_NS0_5tupleIJS9_S6_EEENSD_IJSA_SA_EEENS0_18inequality_wrapperIZN2at6native12_GLOBAL__N_124unique_dim_cuda_templateIfEESt5tupleIJNSH_6TensorESM_SM_EERKSM_lbbbEUlllE0_EEPmJS6_EEE10hipError_tPvRmT3_T4_T5_T6_T7_T9_mT8_P12ihipStream_tbDpT10_ENKUlT_T0_E_clISt17integral_constantIbLb0EES1C_EEDaS17_S18_EUlS17_E_NS1_11comp_targetILNS1_3genE8ELNS1_11target_archE1030ELNS1_3gpuE2ELNS1_3repE0EEENS1_30default_config_static_selectorELNS0_4arch9wavefront6targetE0EEEvT1_.num_vgpr, 0
	.set _ZN7rocprim17ROCPRIM_400000_NS6detail17trampoline_kernelINS0_14default_configENS1_25partition_config_selectorILNS1_17partition_subalgoE8ElNS0_10empty_typeEbEEZZNS1_14partition_implILS5_8ELb0ES3_jPlPS6_PKS6_NS0_5tupleIJS9_S6_EEENSD_IJSA_SA_EEENS0_18inequality_wrapperIZN2at6native12_GLOBAL__N_124unique_dim_cuda_templateIfEESt5tupleIJNSH_6TensorESM_SM_EERKSM_lbbbEUlllE0_EEPmJS6_EEE10hipError_tPvRmT3_T4_T5_T6_T7_T9_mT8_P12ihipStream_tbDpT10_ENKUlT_T0_E_clISt17integral_constantIbLb0EES1C_EEDaS17_S18_EUlS17_E_NS1_11comp_targetILNS1_3genE8ELNS1_11target_archE1030ELNS1_3gpuE2ELNS1_3repE0EEENS1_30default_config_static_selectorELNS0_4arch9wavefront6targetE0EEEvT1_.num_agpr, 0
	.set _ZN7rocprim17ROCPRIM_400000_NS6detail17trampoline_kernelINS0_14default_configENS1_25partition_config_selectorILNS1_17partition_subalgoE8ElNS0_10empty_typeEbEEZZNS1_14partition_implILS5_8ELb0ES3_jPlPS6_PKS6_NS0_5tupleIJS9_S6_EEENSD_IJSA_SA_EEENS0_18inequality_wrapperIZN2at6native12_GLOBAL__N_124unique_dim_cuda_templateIfEESt5tupleIJNSH_6TensorESM_SM_EERKSM_lbbbEUlllE0_EEPmJS6_EEE10hipError_tPvRmT3_T4_T5_T6_T7_T9_mT8_P12ihipStream_tbDpT10_ENKUlT_T0_E_clISt17integral_constantIbLb0EES1C_EEDaS17_S18_EUlS17_E_NS1_11comp_targetILNS1_3genE8ELNS1_11target_archE1030ELNS1_3gpuE2ELNS1_3repE0EEENS1_30default_config_static_selectorELNS0_4arch9wavefront6targetE0EEEvT1_.numbered_sgpr, 0
	.set _ZN7rocprim17ROCPRIM_400000_NS6detail17trampoline_kernelINS0_14default_configENS1_25partition_config_selectorILNS1_17partition_subalgoE8ElNS0_10empty_typeEbEEZZNS1_14partition_implILS5_8ELb0ES3_jPlPS6_PKS6_NS0_5tupleIJS9_S6_EEENSD_IJSA_SA_EEENS0_18inequality_wrapperIZN2at6native12_GLOBAL__N_124unique_dim_cuda_templateIfEESt5tupleIJNSH_6TensorESM_SM_EERKSM_lbbbEUlllE0_EEPmJS6_EEE10hipError_tPvRmT3_T4_T5_T6_T7_T9_mT8_P12ihipStream_tbDpT10_ENKUlT_T0_E_clISt17integral_constantIbLb0EES1C_EEDaS17_S18_EUlS17_E_NS1_11comp_targetILNS1_3genE8ELNS1_11target_archE1030ELNS1_3gpuE2ELNS1_3repE0EEENS1_30default_config_static_selectorELNS0_4arch9wavefront6targetE0EEEvT1_.num_named_barrier, 0
	.set _ZN7rocprim17ROCPRIM_400000_NS6detail17trampoline_kernelINS0_14default_configENS1_25partition_config_selectorILNS1_17partition_subalgoE8ElNS0_10empty_typeEbEEZZNS1_14partition_implILS5_8ELb0ES3_jPlPS6_PKS6_NS0_5tupleIJS9_S6_EEENSD_IJSA_SA_EEENS0_18inequality_wrapperIZN2at6native12_GLOBAL__N_124unique_dim_cuda_templateIfEESt5tupleIJNSH_6TensorESM_SM_EERKSM_lbbbEUlllE0_EEPmJS6_EEE10hipError_tPvRmT3_T4_T5_T6_T7_T9_mT8_P12ihipStream_tbDpT10_ENKUlT_T0_E_clISt17integral_constantIbLb0EES1C_EEDaS17_S18_EUlS17_E_NS1_11comp_targetILNS1_3genE8ELNS1_11target_archE1030ELNS1_3gpuE2ELNS1_3repE0EEENS1_30default_config_static_selectorELNS0_4arch9wavefront6targetE0EEEvT1_.private_seg_size, 0
	.set _ZN7rocprim17ROCPRIM_400000_NS6detail17trampoline_kernelINS0_14default_configENS1_25partition_config_selectorILNS1_17partition_subalgoE8ElNS0_10empty_typeEbEEZZNS1_14partition_implILS5_8ELb0ES3_jPlPS6_PKS6_NS0_5tupleIJS9_S6_EEENSD_IJSA_SA_EEENS0_18inequality_wrapperIZN2at6native12_GLOBAL__N_124unique_dim_cuda_templateIfEESt5tupleIJNSH_6TensorESM_SM_EERKSM_lbbbEUlllE0_EEPmJS6_EEE10hipError_tPvRmT3_T4_T5_T6_T7_T9_mT8_P12ihipStream_tbDpT10_ENKUlT_T0_E_clISt17integral_constantIbLb0EES1C_EEDaS17_S18_EUlS17_E_NS1_11comp_targetILNS1_3genE8ELNS1_11target_archE1030ELNS1_3gpuE2ELNS1_3repE0EEENS1_30default_config_static_selectorELNS0_4arch9wavefront6targetE0EEEvT1_.uses_vcc, 0
	.set _ZN7rocprim17ROCPRIM_400000_NS6detail17trampoline_kernelINS0_14default_configENS1_25partition_config_selectorILNS1_17partition_subalgoE8ElNS0_10empty_typeEbEEZZNS1_14partition_implILS5_8ELb0ES3_jPlPS6_PKS6_NS0_5tupleIJS9_S6_EEENSD_IJSA_SA_EEENS0_18inequality_wrapperIZN2at6native12_GLOBAL__N_124unique_dim_cuda_templateIfEESt5tupleIJNSH_6TensorESM_SM_EERKSM_lbbbEUlllE0_EEPmJS6_EEE10hipError_tPvRmT3_T4_T5_T6_T7_T9_mT8_P12ihipStream_tbDpT10_ENKUlT_T0_E_clISt17integral_constantIbLb0EES1C_EEDaS17_S18_EUlS17_E_NS1_11comp_targetILNS1_3genE8ELNS1_11target_archE1030ELNS1_3gpuE2ELNS1_3repE0EEENS1_30default_config_static_selectorELNS0_4arch9wavefront6targetE0EEEvT1_.uses_flat_scratch, 0
	.set _ZN7rocprim17ROCPRIM_400000_NS6detail17trampoline_kernelINS0_14default_configENS1_25partition_config_selectorILNS1_17partition_subalgoE8ElNS0_10empty_typeEbEEZZNS1_14partition_implILS5_8ELb0ES3_jPlPS6_PKS6_NS0_5tupleIJS9_S6_EEENSD_IJSA_SA_EEENS0_18inequality_wrapperIZN2at6native12_GLOBAL__N_124unique_dim_cuda_templateIfEESt5tupleIJNSH_6TensorESM_SM_EERKSM_lbbbEUlllE0_EEPmJS6_EEE10hipError_tPvRmT3_T4_T5_T6_T7_T9_mT8_P12ihipStream_tbDpT10_ENKUlT_T0_E_clISt17integral_constantIbLb0EES1C_EEDaS17_S18_EUlS17_E_NS1_11comp_targetILNS1_3genE8ELNS1_11target_archE1030ELNS1_3gpuE2ELNS1_3repE0EEENS1_30default_config_static_selectorELNS0_4arch9wavefront6targetE0EEEvT1_.has_dyn_sized_stack, 0
	.set _ZN7rocprim17ROCPRIM_400000_NS6detail17trampoline_kernelINS0_14default_configENS1_25partition_config_selectorILNS1_17partition_subalgoE8ElNS0_10empty_typeEbEEZZNS1_14partition_implILS5_8ELb0ES3_jPlPS6_PKS6_NS0_5tupleIJS9_S6_EEENSD_IJSA_SA_EEENS0_18inequality_wrapperIZN2at6native12_GLOBAL__N_124unique_dim_cuda_templateIfEESt5tupleIJNSH_6TensorESM_SM_EERKSM_lbbbEUlllE0_EEPmJS6_EEE10hipError_tPvRmT3_T4_T5_T6_T7_T9_mT8_P12ihipStream_tbDpT10_ENKUlT_T0_E_clISt17integral_constantIbLb0EES1C_EEDaS17_S18_EUlS17_E_NS1_11comp_targetILNS1_3genE8ELNS1_11target_archE1030ELNS1_3gpuE2ELNS1_3repE0EEENS1_30default_config_static_selectorELNS0_4arch9wavefront6targetE0EEEvT1_.has_recursion, 0
	.set _ZN7rocprim17ROCPRIM_400000_NS6detail17trampoline_kernelINS0_14default_configENS1_25partition_config_selectorILNS1_17partition_subalgoE8ElNS0_10empty_typeEbEEZZNS1_14partition_implILS5_8ELb0ES3_jPlPS6_PKS6_NS0_5tupleIJS9_S6_EEENSD_IJSA_SA_EEENS0_18inequality_wrapperIZN2at6native12_GLOBAL__N_124unique_dim_cuda_templateIfEESt5tupleIJNSH_6TensorESM_SM_EERKSM_lbbbEUlllE0_EEPmJS6_EEE10hipError_tPvRmT3_T4_T5_T6_T7_T9_mT8_P12ihipStream_tbDpT10_ENKUlT_T0_E_clISt17integral_constantIbLb0EES1C_EEDaS17_S18_EUlS17_E_NS1_11comp_targetILNS1_3genE8ELNS1_11target_archE1030ELNS1_3gpuE2ELNS1_3repE0EEENS1_30default_config_static_selectorELNS0_4arch9wavefront6targetE0EEEvT1_.has_indirect_call, 0
	.section	.AMDGPU.csdata,"",@progbits
; Kernel info:
; codeLenInByte = 0
; TotalNumSgprs: 0
; NumVgprs: 0
; ScratchSize: 0
; MemoryBound: 0
; FloatMode: 240
; IeeeMode: 1
; LDSByteSize: 0 bytes/workgroup (compile time only)
; SGPRBlocks: 0
; VGPRBlocks: 0
; NumSGPRsForWavesPerEU: 1
; NumVGPRsForWavesPerEU: 1
; NamedBarCnt: 0
; Occupancy: 16
; WaveLimiterHint : 0
; COMPUTE_PGM_RSRC2:SCRATCH_EN: 0
; COMPUTE_PGM_RSRC2:USER_SGPR: 2
; COMPUTE_PGM_RSRC2:TRAP_HANDLER: 0
; COMPUTE_PGM_RSRC2:TGID_X_EN: 1
; COMPUTE_PGM_RSRC2:TGID_Y_EN: 0
; COMPUTE_PGM_RSRC2:TGID_Z_EN: 0
; COMPUTE_PGM_RSRC2:TIDIG_COMP_CNT: 0
	.section	.text._ZN7rocprim17ROCPRIM_400000_NS6detail17trampoline_kernelINS0_14default_configENS1_25partition_config_selectorILNS1_17partition_subalgoE8ElNS0_10empty_typeEbEEZZNS1_14partition_implILS5_8ELb0ES3_jPlPS6_PKS6_NS0_5tupleIJS9_S6_EEENSD_IJSA_SA_EEENS0_18inequality_wrapperIZN2at6native12_GLOBAL__N_124unique_dim_cuda_templateIfEESt5tupleIJNSH_6TensorESM_SM_EERKSM_lbbbEUlllE0_EEPmJS6_EEE10hipError_tPvRmT3_T4_T5_T6_T7_T9_mT8_P12ihipStream_tbDpT10_ENKUlT_T0_E_clISt17integral_constantIbLb1EES1C_EEDaS17_S18_EUlS17_E_NS1_11comp_targetILNS1_3genE0ELNS1_11target_archE4294967295ELNS1_3gpuE0ELNS1_3repE0EEENS1_30default_config_static_selectorELNS0_4arch9wavefront6targetE0EEEvT1_,"axG",@progbits,_ZN7rocprim17ROCPRIM_400000_NS6detail17trampoline_kernelINS0_14default_configENS1_25partition_config_selectorILNS1_17partition_subalgoE8ElNS0_10empty_typeEbEEZZNS1_14partition_implILS5_8ELb0ES3_jPlPS6_PKS6_NS0_5tupleIJS9_S6_EEENSD_IJSA_SA_EEENS0_18inequality_wrapperIZN2at6native12_GLOBAL__N_124unique_dim_cuda_templateIfEESt5tupleIJNSH_6TensorESM_SM_EERKSM_lbbbEUlllE0_EEPmJS6_EEE10hipError_tPvRmT3_T4_T5_T6_T7_T9_mT8_P12ihipStream_tbDpT10_ENKUlT_T0_E_clISt17integral_constantIbLb1EES1C_EEDaS17_S18_EUlS17_E_NS1_11comp_targetILNS1_3genE0ELNS1_11target_archE4294967295ELNS1_3gpuE0ELNS1_3repE0EEENS1_30default_config_static_selectorELNS0_4arch9wavefront6targetE0EEEvT1_,comdat
	.globl	_ZN7rocprim17ROCPRIM_400000_NS6detail17trampoline_kernelINS0_14default_configENS1_25partition_config_selectorILNS1_17partition_subalgoE8ElNS0_10empty_typeEbEEZZNS1_14partition_implILS5_8ELb0ES3_jPlPS6_PKS6_NS0_5tupleIJS9_S6_EEENSD_IJSA_SA_EEENS0_18inequality_wrapperIZN2at6native12_GLOBAL__N_124unique_dim_cuda_templateIfEESt5tupleIJNSH_6TensorESM_SM_EERKSM_lbbbEUlllE0_EEPmJS6_EEE10hipError_tPvRmT3_T4_T5_T6_T7_T9_mT8_P12ihipStream_tbDpT10_ENKUlT_T0_E_clISt17integral_constantIbLb1EES1C_EEDaS17_S18_EUlS17_E_NS1_11comp_targetILNS1_3genE0ELNS1_11target_archE4294967295ELNS1_3gpuE0ELNS1_3repE0EEENS1_30default_config_static_selectorELNS0_4arch9wavefront6targetE0EEEvT1_ ; -- Begin function _ZN7rocprim17ROCPRIM_400000_NS6detail17trampoline_kernelINS0_14default_configENS1_25partition_config_selectorILNS1_17partition_subalgoE8ElNS0_10empty_typeEbEEZZNS1_14partition_implILS5_8ELb0ES3_jPlPS6_PKS6_NS0_5tupleIJS9_S6_EEENSD_IJSA_SA_EEENS0_18inequality_wrapperIZN2at6native12_GLOBAL__N_124unique_dim_cuda_templateIfEESt5tupleIJNSH_6TensorESM_SM_EERKSM_lbbbEUlllE0_EEPmJS6_EEE10hipError_tPvRmT3_T4_T5_T6_T7_T9_mT8_P12ihipStream_tbDpT10_ENKUlT_T0_E_clISt17integral_constantIbLb1EES1C_EEDaS17_S18_EUlS17_E_NS1_11comp_targetILNS1_3genE0ELNS1_11target_archE4294967295ELNS1_3gpuE0ELNS1_3repE0EEENS1_30default_config_static_selectorELNS0_4arch9wavefront6targetE0EEEvT1_
	.p2align	8
	.type	_ZN7rocprim17ROCPRIM_400000_NS6detail17trampoline_kernelINS0_14default_configENS1_25partition_config_selectorILNS1_17partition_subalgoE8ElNS0_10empty_typeEbEEZZNS1_14partition_implILS5_8ELb0ES3_jPlPS6_PKS6_NS0_5tupleIJS9_S6_EEENSD_IJSA_SA_EEENS0_18inequality_wrapperIZN2at6native12_GLOBAL__N_124unique_dim_cuda_templateIfEESt5tupleIJNSH_6TensorESM_SM_EERKSM_lbbbEUlllE0_EEPmJS6_EEE10hipError_tPvRmT3_T4_T5_T6_T7_T9_mT8_P12ihipStream_tbDpT10_ENKUlT_T0_E_clISt17integral_constantIbLb1EES1C_EEDaS17_S18_EUlS17_E_NS1_11comp_targetILNS1_3genE0ELNS1_11target_archE4294967295ELNS1_3gpuE0ELNS1_3repE0EEENS1_30default_config_static_selectorELNS0_4arch9wavefront6targetE0EEEvT1_,@function
_ZN7rocprim17ROCPRIM_400000_NS6detail17trampoline_kernelINS0_14default_configENS1_25partition_config_selectorILNS1_17partition_subalgoE8ElNS0_10empty_typeEbEEZZNS1_14partition_implILS5_8ELb0ES3_jPlPS6_PKS6_NS0_5tupleIJS9_S6_EEENSD_IJSA_SA_EEENS0_18inequality_wrapperIZN2at6native12_GLOBAL__N_124unique_dim_cuda_templateIfEESt5tupleIJNSH_6TensorESM_SM_EERKSM_lbbbEUlllE0_EEPmJS6_EEE10hipError_tPvRmT3_T4_T5_T6_T7_T9_mT8_P12ihipStream_tbDpT10_ENKUlT_T0_E_clISt17integral_constantIbLb1EES1C_EEDaS17_S18_EUlS17_E_NS1_11comp_targetILNS1_3genE0ELNS1_11target_archE4294967295ELNS1_3gpuE0ELNS1_3repE0EEENS1_30default_config_static_selectorELNS0_4arch9wavefront6targetE0EEEvT1_: ; @_ZN7rocprim17ROCPRIM_400000_NS6detail17trampoline_kernelINS0_14default_configENS1_25partition_config_selectorILNS1_17partition_subalgoE8ElNS0_10empty_typeEbEEZZNS1_14partition_implILS5_8ELb0ES3_jPlPS6_PKS6_NS0_5tupleIJS9_S6_EEENSD_IJSA_SA_EEENS0_18inequality_wrapperIZN2at6native12_GLOBAL__N_124unique_dim_cuda_templateIfEESt5tupleIJNSH_6TensorESM_SM_EERKSM_lbbbEUlllE0_EEPmJS6_EEE10hipError_tPvRmT3_T4_T5_T6_T7_T9_mT8_P12ihipStream_tbDpT10_ENKUlT_T0_E_clISt17integral_constantIbLb1EES1C_EEDaS17_S18_EUlS17_E_NS1_11comp_targetILNS1_3genE0ELNS1_11target_archE4294967295ELNS1_3gpuE0ELNS1_3repE0EEENS1_30default_config_static_selectorELNS0_4arch9wavefront6targetE0EEEvT1_
; %bb.0:
	s_endpgm
	.section	.rodata,"a",@progbits
	.p2align	6, 0x0
	.amdhsa_kernel _ZN7rocprim17ROCPRIM_400000_NS6detail17trampoline_kernelINS0_14default_configENS1_25partition_config_selectorILNS1_17partition_subalgoE8ElNS0_10empty_typeEbEEZZNS1_14partition_implILS5_8ELb0ES3_jPlPS6_PKS6_NS0_5tupleIJS9_S6_EEENSD_IJSA_SA_EEENS0_18inequality_wrapperIZN2at6native12_GLOBAL__N_124unique_dim_cuda_templateIfEESt5tupleIJNSH_6TensorESM_SM_EERKSM_lbbbEUlllE0_EEPmJS6_EEE10hipError_tPvRmT3_T4_T5_T6_T7_T9_mT8_P12ihipStream_tbDpT10_ENKUlT_T0_E_clISt17integral_constantIbLb1EES1C_EEDaS17_S18_EUlS17_E_NS1_11comp_targetILNS1_3genE0ELNS1_11target_archE4294967295ELNS1_3gpuE0ELNS1_3repE0EEENS1_30default_config_static_selectorELNS0_4arch9wavefront6targetE0EEEvT1_
		.amdhsa_group_segment_fixed_size 0
		.amdhsa_private_segment_fixed_size 0
		.amdhsa_kernarg_size 136
		.amdhsa_user_sgpr_count 2
		.amdhsa_user_sgpr_dispatch_ptr 0
		.amdhsa_user_sgpr_queue_ptr 0
		.amdhsa_user_sgpr_kernarg_segment_ptr 1
		.amdhsa_user_sgpr_dispatch_id 0
		.amdhsa_user_sgpr_kernarg_preload_length 0
		.amdhsa_user_sgpr_kernarg_preload_offset 0
		.amdhsa_user_sgpr_private_segment_size 0
		.amdhsa_wavefront_size32 1
		.amdhsa_uses_dynamic_stack 0
		.amdhsa_enable_private_segment 0
		.amdhsa_system_sgpr_workgroup_id_x 1
		.amdhsa_system_sgpr_workgroup_id_y 0
		.amdhsa_system_sgpr_workgroup_id_z 0
		.amdhsa_system_sgpr_workgroup_info 0
		.amdhsa_system_vgpr_workitem_id 0
		.amdhsa_next_free_vgpr 1
		.amdhsa_next_free_sgpr 1
		.amdhsa_named_barrier_count 0
		.amdhsa_reserve_vcc 0
		.amdhsa_float_round_mode_32 0
		.amdhsa_float_round_mode_16_64 0
		.amdhsa_float_denorm_mode_32 3
		.amdhsa_float_denorm_mode_16_64 3
		.amdhsa_fp16_overflow 0
		.amdhsa_memory_ordered 1
		.amdhsa_forward_progress 1
		.amdhsa_inst_pref_size 1
		.amdhsa_round_robin_scheduling 0
		.amdhsa_exception_fp_ieee_invalid_op 0
		.amdhsa_exception_fp_denorm_src 0
		.amdhsa_exception_fp_ieee_div_zero 0
		.amdhsa_exception_fp_ieee_overflow 0
		.amdhsa_exception_fp_ieee_underflow 0
		.amdhsa_exception_fp_ieee_inexact 0
		.amdhsa_exception_int_div_zero 0
	.end_amdhsa_kernel
	.section	.text._ZN7rocprim17ROCPRIM_400000_NS6detail17trampoline_kernelINS0_14default_configENS1_25partition_config_selectorILNS1_17partition_subalgoE8ElNS0_10empty_typeEbEEZZNS1_14partition_implILS5_8ELb0ES3_jPlPS6_PKS6_NS0_5tupleIJS9_S6_EEENSD_IJSA_SA_EEENS0_18inequality_wrapperIZN2at6native12_GLOBAL__N_124unique_dim_cuda_templateIfEESt5tupleIJNSH_6TensorESM_SM_EERKSM_lbbbEUlllE0_EEPmJS6_EEE10hipError_tPvRmT3_T4_T5_T6_T7_T9_mT8_P12ihipStream_tbDpT10_ENKUlT_T0_E_clISt17integral_constantIbLb1EES1C_EEDaS17_S18_EUlS17_E_NS1_11comp_targetILNS1_3genE0ELNS1_11target_archE4294967295ELNS1_3gpuE0ELNS1_3repE0EEENS1_30default_config_static_selectorELNS0_4arch9wavefront6targetE0EEEvT1_,"axG",@progbits,_ZN7rocprim17ROCPRIM_400000_NS6detail17trampoline_kernelINS0_14default_configENS1_25partition_config_selectorILNS1_17partition_subalgoE8ElNS0_10empty_typeEbEEZZNS1_14partition_implILS5_8ELb0ES3_jPlPS6_PKS6_NS0_5tupleIJS9_S6_EEENSD_IJSA_SA_EEENS0_18inequality_wrapperIZN2at6native12_GLOBAL__N_124unique_dim_cuda_templateIfEESt5tupleIJNSH_6TensorESM_SM_EERKSM_lbbbEUlllE0_EEPmJS6_EEE10hipError_tPvRmT3_T4_T5_T6_T7_T9_mT8_P12ihipStream_tbDpT10_ENKUlT_T0_E_clISt17integral_constantIbLb1EES1C_EEDaS17_S18_EUlS17_E_NS1_11comp_targetILNS1_3genE0ELNS1_11target_archE4294967295ELNS1_3gpuE0ELNS1_3repE0EEENS1_30default_config_static_selectorELNS0_4arch9wavefront6targetE0EEEvT1_,comdat
.Lfunc_end937:
	.size	_ZN7rocprim17ROCPRIM_400000_NS6detail17trampoline_kernelINS0_14default_configENS1_25partition_config_selectorILNS1_17partition_subalgoE8ElNS0_10empty_typeEbEEZZNS1_14partition_implILS5_8ELb0ES3_jPlPS6_PKS6_NS0_5tupleIJS9_S6_EEENSD_IJSA_SA_EEENS0_18inequality_wrapperIZN2at6native12_GLOBAL__N_124unique_dim_cuda_templateIfEESt5tupleIJNSH_6TensorESM_SM_EERKSM_lbbbEUlllE0_EEPmJS6_EEE10hipError_tPvRmT3_T4_T5_T6_T7_T9_mT8_P12ihipStream_tbDpT10_ENKUlT_T0_E_clISt17integral_constantIbLb1EES1C_EEDaS17_S18_EUlS17_E_NS1_11comp_targetILNS1_3genE0ELNS1_11target_archE4294967295ELNS1_3gpuE0ELNS1_3repE0EEENS1_30default_config_static_selectorELNS0_4arch9wavefront6targetE0EEEvT1_, .Lfunc_end937-_ZN7rocprim17ROCPRIM_400000_NS6detail17trampoline_kernelINS0_14default_configENS1_25partition_config_selectorILNS1_17partition_subalgoE8ElNS0_10empty_typeEbEEZZNS1_14partition_implILS5_8ELb0ES3_jPlPS6_PKS6_NS0_5tupleIJS9_S6_EEENSD_IJSA_SA_EEENS0_18inequality_wrapperIZN2at6native12_GLOBAL__N_124unique_dim_cuda_templateIfEESt5tupleIJNSH_6TensorESM_SM_EERKSM_lbbbEUlllE0_EEPmJS6_EEE10hipError_tPvRmT3_T4_T5_T6_T7_T9_mT8_P12ihipStream_tbDpT10_ENKUlT_T0_E_clISt17integral_constantIbLb1EES1C_EEDaS17_S18_EUlS17_E_NS1_11comp_targetILNS1_3genE0ELNS1_11target_archE4294967295ELNS1_3gpuE0ELNS1_3repE0EEENS1_30default_config_static_selectorELNS0_4arch9wavefront6targetE0EEEvT1_
                                        ; -- End function
	.set _ZN7rocprim17ROCPRIM_400000_NS6detail17trampoline_kernelINS0_14default_configENS1_25partition_config_selectorILNS1_17partition_subalgoE8ElNS0_10empty_typeEbEEZZNS1_14partition_implILS5_8ELb0ES3_jPlPS6_PKS6_NS0_5tupleIJS9_S6_EEENSD_IJSA_SA_EEENS0_18inequality_wrapperIZN2at6native12_GLOBAL__N_124unique_dim_cuda_templateIfEESt5tupleIJNSH_6TensorESM_SM_EERKSM_lbbbEUlllE0_EEPmJS6_EEE10hipError_tPvRmT3_T4_T5_T6_T7_T9_mT8_P12ihipStream_tbDpT10_ENKUlT_T0_E_clISt17integral_constantIbLb1EES1C_EEDaS17_S18_EUlS17_E_NS1_11comp_targetILNS1_3genE0ELNS1_11target_archE4294967295ELNS1_3gpuE0ELNS1_3repE0EEENS1_30default_config_static_selectorELNS0_4arch9wavefront6targetE0EEEvT1_.num_vgpr, 0
	.set _ZN7rocprim17ROCPRIM_400000_NS6detail17trampoline_kernelINS0_14default_configENS1_25partition_config_selectorILNS1_17partition_subalgoE8ElNS0_10empty_typeEbEEZZNS1_14partition_implILS5_8ELb0ES3_jPlPS6_PKS6_NS0_5tupleIJS9_S6_EEENSD_IJSA_SA_EEENS0_18inequality_wrapperIZN2at6native12_GLOBAL__N_124unique_dim_cuda_templateIfEESt5tupleIJNSH_6TensorESM_SM_EERKSM_lbbbEUlllE0_EEPmJS6_EEE10hipError_tPvRmT3_T4_T5_T6_T7_T9_mT8_P12ihipStream_tbDpT10_ENKUlT_T0_E_clISt17integral_constantIbLb1EES1C_EEDaS17_S18_EUlS17_E_NS1_11comp_targetILNS1_3genE0ELNS1_11target_archE4294967295ELNS1_3gpuE0ELNS1_3repE0EEENS1_30default_config_static_selectorELNS0_4arch9wavefront6targetE0EEEvT1_.num_agpr, 0
	.set _ZN7rocprim17ROCPRIM_400000_NS6detail17trampoline_kernelINS0_14default_configENS1_25partition_config_selectorILNS1_17partition_subalgoE8ElNS0_10empty_typeEbEEZZNS1_14partition_implILS5_8ELb0ES3_jPlPS6_PKS6_NS0_5tupleIJS9_S6_EEENSD_IJSA_SA_EEENS0_18inequality_wrapperIZN2at6native12_GLOBAL__N_124unique_dim_cuda_templateIfEESt5tupleIJNSH_6TensorESM_SM_EERKSM_lbbbEUlllE0_EEPmJS6_EEE10hipError_tPvRmT3_T4_T5_T6_T7_T9_mT8_P12ihipStream_tbDpT10_ENKUlT_T0_E_clISt17integral_constantIbLb1EES1C_EEDaS17_S18_EUlS17_E_NS1_11comp_targetILNS1_3genE0ELNS1_11target_archE4294967295ELNS1_3gpuE0ELNS1_3repE0EEENS1_30default_config_static_selectorELNS0_4arch9wavefront6targetE0EEEvT1_.numbered_sgpr, 0
	.set _ZN7rocprim17ROCPRIM_400000_NS6detail17trampoline_kernelINS0_14default_configENS1_25partition_config_selectorILNS1_17partition_subalgoE8ElNS0_10empty_typeEbEEZZNS1_14partition_implILS5_8ELb0ES3_jPlPS6_PKS6_NS0_5tupleIJS9_S6_EEENSD_IJSA_SA_EEENS0_18inequality_wrapperIZN2at6native12_GLOBAL__N_124unique_dim_cuda_templateIfEESt5tupleIJNSH_6TensorESM_SM_EERKSM_lbbbEUlllE0_EEPmJS6_EEE10hipError_tPvRmT3_T4_T5_T6_T7_T9_mT8_P12ihipStream_tbDpT10_ENKUlT_T0_E_clISt17integral_constantIbLb1EES1C_EEDaS17_S18_EUlS17_E_NS1_11comp_targetILNS1_3genE0ELNS1_11target_archE4294967295ELNS1_3gpuE0ELNS1_3repE0EEENS1_30default_config_static_selectorELNS0_4arch9wavefront6targetE0EEEvT1_.num_named_barrier, 0
	.set _ZN7rocprim17ROCPRIM_400000_NS6detail17trampoline_kernelINS0_14default_configENS1_25partition_config_selectorILNS1_17partition_subalgoE8ElNS0_10empty_typeEbEEZZNS1_14partition_implILS5_8ELb0ES3_jPlPS6_PKS6_NS0_5tupleIJS9_S6_EEENSD_IJSA_SA_EEENS0_18inequality_wrapperIZN2at6native12_GLOBAL__N_124unique_dim_cuda_templateIfEESt5tupleIJNSH_6TensorESM_SM_EERKSM_lbbbEUlllE0_EEPmJS6_EEE10hipError_tPvRmT3_T4_T5_T6_T7_T9_mT8_P12ihipStream_tbDpT10_ENKUlT_T0_E_clISt17integral_constantIbLb1EES1C_EEDaS17_S18_EUlS17_E_NS1_11comp_targetILNS1_3genE0ELNS1_11target_archE4294967295ELNS1_3gpuE0ELNS1_3repE0EEENS1_30default_config_static_selectorELNS0_4arch9wavefront6targetE0EEEvT1_.private_seg_size, 0
	.set _ZN7rocprim17ROCPRIM_400000_NS6detail17trampoline_kernelINS0_14default_configENS1_25partition_config_selectorILNS1_17partition_subalgoE8ElNS0_10empty_typeEbEEZZNS1_14partition_implILS5_8ELb0ES3_jPlPS6_PKS6_NS0_5tupleIJS9_S6_EEENSD_IJSA_SA_EEENS0_18inequality_wrapperIZN2at6native12_GLOBAL__N_124unique_dim_cuda_templateIfEESt5tupleIJNSH_6TensorESM_SM_EERKSM_lbbbEUlllE0_EEPmJS6_EEE10hipError_tPvRmT3_T4_T5_T6_T7_T9_mT8_P12ihipStream_tbDpT10_ENKUlT_T0_E_clISt17integral_constantIbLb1EES1C_EEDaS17_S18_EUlS17_E_NS1_11comp_targetILNS1_3genE0ELNS1_11target_archE4294967295ELNS1_3gpuE0ELNS1_3repE0EEENS1_30default_config_static_selectorELNS0_4arch9wavefront6targetE0EEEvT1_.uses_vcc, 0
	.set _ZN7rocprim17ROCPRIM_400000_NS6detail17trampoline_kernelINS0_14default_configENS1_25partition_config_selectorILNS1_17partition_subalgoE8ElNS0_10empty_typeEbEEZZNS1_14partition_implILS5_8ELb0ES3_jPlPS6_PKS6_NS0_5tupleIJS9_S6_EEENSD_IJSA_SA_EEENS0_18inequality_wrapperIZN2at6native12_GLOBAL__N_124unique_dim_cuda_templateIfEESt5tupleIJNSH_6TensorESM_SM_EERKSM_lbbbEUlllE0_EEPmJS6_EEE10hipError_tPvRmT3_T4_T5_T6_T7_T9_mT8_P12ihipStream_tbDpT10_ENKUlT_T0_E_clISt17integral_constantIbLb1EES1C_EEDaS17_S18_EUlS17_E_NS1_11comp_targetILNS1_3genE0ELNS1_11target_archE4294967295ELNS1_3gpuE0ELNS1_3repE0EEENS1_30default_config_static_selectorELNS0_4arch9wavefront6targetE0EEEvT1_.uses_flat_scratch, 0
	.set _ZN7rocprim17ROCPRIM_400000_NS6detail17trampoline_kernelINS0_14default_configENS1_25partition_config_selectorILNS1_17partition_subalgoE8ElNS0_10empty_typeEbEEZZNS1_14partition_implILS5_8ELb0ES3_jPlPS6_PKS6_NS0_5tupleIJS9_S6_EEENSD_IJSA_SA_EEENS0_18inequality_wrapperIZN2at6native12_GLOBAL__N_124unique_dim_cuda_templateIfEESt5tupleIJNSH_6TensorESM_SM_EERKSM_lbbbEUlllE0_EEPmJS6_EEE10hipError_tPvRmT3_T4_T5_T6_T7_T9_mT8_P12ihipStream_tbDpT10_ENKUlT_T0_E_clISt17integral_constantIbLb1EES1C_EEDaS17_S18_EUlS17_E_NS1_11comp_targetILNS1_3genE0ELNS1_11target_archE4294967295ELNS1_3gpuE0ELNS1_3repE0EEENS1_30default_config_static_selectorELNS0_4arch9wavefront6targetE0EEEvT1_.has_dyn_sized_stack, 0
	.set _ZN7rocprim17ROCPRIM_400000_NS6detail17trampoline_kernelINS0_14default_configENS1_25partition_config_selectorILNS1_17partition_subalgoE8ElNS0_10empty_typeEbEEZZNS1_14partition_implILS5_8ELb0ES3_jPlPS6_PKS6_NS0_5tupleIJS9_S6_EEENSD_IJSA_SA_EEENS0_18inequality_wrapperIZN2at6native12_GLOBAL__N_124unique_dim_cuda_templateIfEESt5tupleIJNSH_6TensorESM_SM_EERKSM_lbbbEUlllE0_EEPmJS6_EEE10hipError_tPvRmT3_T4_T5_T6_T7_T9_mT8_P12ihipStream_tbDpT10_ENKUlT_T0_E_clISt17integral_constantIbLb1EES1C_EEDaS17_S18_EUlS17_E_NS1_11comp_targetILNS1_3genE0ELNS1_11target_archE4294967295ELNS1_3gpuE0ELNS1_3repE0EEENS1_30default_config_static_selectorELNS0_4arch9wavefront6targetE0EEEvT1_.has_recursion, 0
	.set _ZN7rocprim17ROCPRIM_400000_NS6detail17trampoline_kernelINS0_14default_configENS1_25partition_config_selectorILNS1_17partition_subalgoE8ElNS0_10empty_typeEbEEZZNS1_14partition_implILS5_8ELb0ES3_jPlPS6_PKS6_NS0_5tupleIJS9_S6_EEENSD_IJSA_SA_EEENS0_18inequality_wrapperIZN2at6native12_GLOBAL__N_124unique_dim_cuda_templateIfEESt5tupleIJNSH_6TensorESM_SM_EERKSM_lbbbEUlllE0_EEPmJS6_EEE10hipError_tPvRmT3_T4_T5_T6_T7_T9_mT8_P12ihipStream_tbDpT10_ENKUlT_T0_E_clISt17integral_constantIbLb1EES1C_EEDaS17_S18_EUlS17_E_NS1_11comp_targetILNS1_3genE0ELNS1_11target_archE4294967295ELNS1_3gpuE0ELNS1_3repE0EEENS1_30default_config_static_selectorELNS0_4arch9wavefront6targetE0EEEvT1_.has_indirect_call, 0
	.section	.AMDGPU.csdata,"",@progbits
; Kernel info:
; codeLenInByte = 4
; TotalNumSgprs: 0
; NumVgprs: 0
; ScratchSize: 0
; MemoryBound: 0
; FloatMode: 240
; IeeeMode: 1
; LDSByteSize: 0 bytes/workgroup (compile time only)
; SGPRBlocks: 0
; VGPRBlocks: 0
; NumSGPRsForWavesPerEU: 1
; NumVGPRsForWavesPerEU: 1
; NamedBarCnt: 0
; Occupancy: 16
; WaveLimiterHint : 0
; COMPUTE_PGM_RSRC2:SCRATCH_EN: 0
; COMPUTE_PGM_RSRC2:USER_SGPR: 2
; COMPUTE_PGM_RSRC2:TRAP_HANDLER: 0
; COMPUTE_PGM_RSRC2:TGID_X_EN: 1
; COMPUTE_PGM_RSRC2:TGID_Y_EN: 0
; COMPUTE_PGM_RSRC2:TGID_Z_EN: 0
; COMPUTE_PGM_RSRC2:TIDIG_COMP_CNT: 0
	.section	.text._ZN7rocprim17ROCPRIM_400000_NS6detail17trampoline_kernelINS0_14default_configENS1_25partition_config_selectorILNS1_17partition_subalgoE8ElNS0_10empty_typeEbEEZZNS1_14partition_implILS5_8ELb0ES3_jPlPS6_PKS6_NS0_5tupleIJS9_S6_EEENSD_IJSA_SA_EEENS0_18inequality_wrapperIZN2at6native12_GLOBAL__N_124unique_dim_cuda_templateIfEESt5tupleIJNSH_6TensorESM_SM_EERKSM_lbbbEUlllE0_EEPmJS6_EEE10hipError_tPvRmT3_T4_T5_T6_T7_T9_mT8_P12ihipStream_tbDpT10_ENKUlT_T0_E_clISt17integral_constantIbLb1EES1C_EEDaS17_S18_EUlS17_E_NS1_11comp_targetILNS1_3genE5ELNS1_11target_archE942ELNS1_3gpuE9ELNS1_3repE0EEENS1_30default_config_static_selectorELNS0_4arch9wavefront6targetE0EEEvT1_,"axG",@progbits,_ZN7rocprim17ROCPRIM_400000_NS6detail17trampoline_kernelINS0_14default_configENS1_25partition_config_selectorILNS1_17partition_subalgoE8ElNS0_10empty_typeEbEEZZNS1_14partition_implILS5_8ELb0ES3_jPlPS6_PKS6_NS0_5tupleIJS9_S6_EEENSD_IJSA_SA_EEENS0_18inequality_wrapperIZN2at6native12_GLOBAL__N_124unique_dim_cuda_templateIfEESt5tupleIJNSH_6TensorESM_SM_EERKSM_lbbbEUlllE0_EEPmJS6_EEE10hipError_tPvRmT3_T4_T5_T6_T7_T9_mT8_P12ihipStream_tbDpT10_ENKUlT_T0_E_clISt17integral_constantIbLb1EES1C_EEDaS17_S18_EUlS17_E_NS1_11comp_targetILNS1_3genE5ELNS1_11target_archE942ELNS1_3gpuE9ELNS1_3repE0EEENS1_30default_config_static_selectorELNS0_4arch9wavefront6targetE0EEEvT1_,comdat
	.globl	_ZN7rocprim17ROCPRIM_400000_NS6detail17trampoline_kernelINS0_14default_configENS1_25partition_config_selectorILNS1_17partition_subalgoE8ElNS0_10empty_typeEbEEZZNS1_14partition_implILS5_8ELb0ES3_jPlPS6_PKS6_NS0_5tupleIJS9_S6_EEENSD_IJSA_SA_EEENS0_18inequality_wrapperIZN2at6native12_GLOBAL__N_124unique_dim_cuda_templateIfEESt5tupleIJNSH_6TensorESM_SM_EERKSM_lbbbEUlllE0_EEPmJS6_EEE10hipError_tPvRmT3_T4_T5_T6_T7_T9_mT8_P12ihipStream_tbDpT10_ENKUlT_T0_E_clISt17integral_constantIbLb1EES1C_EEDaS17_S18_EUlS17_E_NS1_11comp_targetILNS1_3genE5ELNS1_11target_archE942ELNS1_3gpuE9ELNS1_3repE0EEENS1_30default_config_static_selectorELNS0_4arch9wavefront6targetE0EEEvT1_ ; -- Begin function _ZN7rocprim17ROCPRIM_400000_NS6detail17trampoline_kernelINS0_14default_configENS1_25partition_config_selectorILNS1_17partition_subalgoE8ElNS0_10empty_typeEbEEZZNS1_14partition_implILS5_8ELb0ES3_jPlPS6_PKS6_NS0_5tupleIJS9_S6_EEENSD_IJSA_SA_EEENS0_18inequality_wrapperIZN2at6native12_GLOBAL__N_124unique_dim_cuda_templateIfEESt5tupleIJNSH_6TensorESM_SM_EERKSM_lbbbEUlllE0_EEPmJS6_EEE10hipError_tPvRmT3_T4_T5_T6_T7_T9_mT8_P12ihipStream_tbDpT10_ENKUlT_T0_E_clISt17integral_constantIbLb1EES1C_EEDaS17_S18_EUlS17_E_NS1_11comp_targetILNS1_3genE5ELNS1_11target_archE942ELNS1_3gpuE9ELNS1_3repE0EEENS1_30default_config_static_selectorELNS0_4arch9wavefront6targetE0EEEvT1_
	.p2align	8
	.type	_ZN7rocprim17ROCPRIM_400000_NS6detail17trampoline_kernelINS0_14default_configENS1_25partition_config_selectorILNS1_17partition_subalgoE8ElNS0_10empty_typeEbEEZZNS1_14partition_implILS5_8ELb0ES3_jPlPS6_PKS6_NS0_5tupleIJS9_S6_EEENSD_IJSA_SA_EEENS0_18inequality_wrapperIZN2at6native12_GLOBAL__N_124unique_dim_cuda_templateIfEESt5tupleIJNSH_6TensorESM_SM_EERKSM_lbbbEUlllE0_EEPmJS6_EEE10hipError_tPvRmT3_T4_T5_T6_T7_T9_mT8_P12ihipStream_tbDpT10_ENKUlT_T0_E_clISt17integral_constantIbLb1EES1C_EEDaS17_S18_EUlS17_E_NS1_11comp_targetILNS1_3genE5ELNS1_11target_archE942ELNS1_3gpuE9ELNS1_3repE0EEENS1_30default_config_static_selectorELNS0_4arch9wavefront6targetE0EEEvT1_,@function
_ZN7rocprim17ROCPRIM_400000_NS6detail17trampoline_kernelINS0_14default_configENS1_25partition_config_selectorILNS1_17partition_subalgoE8ElNS0_10empty_typeEbEEZZNS1_14partition_implILS5_8ELb0ES3_jPlPS6_PKS6_NS0_5tupleIJS9_S6_EEENSD_IJSA_SA_EEENS0_18inequality_wrapperIZN2at6native12_GLOBAL__N_124unique_dim_cuda_templateIfEESt5tupleIJNSH_6TensorESM_SM_EERKSM_lbbbEUlllE0_EEPmJS6_EEE10hipError_tPvRmT3_T4_T5_T6_T7_T9_mT8_P12ihipStream_tbDpT10_ENKUlT_T0_E_clISt17integral_constantIbLb1EES1C_EEDaS17_S18_EUlS17_E_NS1_11comp_targetILNS1_3genE5ELNS1_11target_archE942ELNS1_3gpuE9ELNS1_3repE0EEENS1_30default_config_static_selectorELNS0_4arch9wavefront6targetE0EEEvT1_: ; @_ZN7rocprim17ROCPRIM_400000_NS6detail17trampoline_kernelINS0_14default_configENS1_25partition_config_selectorILNS1_17partition_subalgoE8ElNS0_10empty_typeEbEEZZNS1_14partition_implILS5_8ELb0ES3_jPlPS6_PKS6_NS0_5tupleIJS9_S6_EEENSD_IJSA_SA_EEENS0_18inequality_wrapperIZN2at6native12_GLOBAL__N_124unique_dim_cuda_templateIfEESt5tupleIJNSH_6TensorESM_SM_EERKSM_lbbbEUlllE0_EEPmJS6_EEE10hipError_tPvRmT3_T4_T5_T6_T7_T9_mT8_P12ihipStream_tbDpT10_ENKUlT_T0_E_clISt17integral_constantIbLb1EES1C_EEDaS17_S18_EUlS17_E_NS1_11comp_targetILNS1_3genE5ELNS1_11target_archE942ELNS1_3gpuE9ELNS1_3repE0EEENS1_30default_config_static_selectorELNS0_4arch9wavefront6targetE0EEEvT1_
; %bb.0:
	.section	.rodata,"a",@progbits
	.p2align	6, 0x0
	.amdhsa_kernel _ZN7rocprim17ROCPRIM_400000_NS6detail17trampoline_kernelINS0_14default_configENS1_25partition_config_selectorILNS1_17partition_subalgoE8ElNS0_10empty_typeEbEEZZNS1_14partition_implILS5_8ELb0ES3_jPlPS6_PKS6_NS0_5tupleIJS9_S6_EEENSD_IJSA_SA_EEENS0_18inequality_wrapperIZN2at6native12_GLOBAL__N_124unique_dim_cuda_templateIfEESt5tupleIJNSH_6TensorESM_SM_EERKSM_lbbbEUlllE0_EEPmJS6_EEE10hipError_tPvRmT3_T4_T5_T6_T7_T9_mT8_P12ihipStream_tbDpT10_ENKUlT_T0_E_clISt17integral_constantIbLb1EES1C_EEDaS17_S18_EUlS17_E_NS1_11comp_targetILNS1_3genE5ELNS1_11target_archE942ELNS1_3gpuE9ELNS1_3repE0EEENS1_30default_config_static_selectorELNS0_4arch9wavefront6targetE0EEEvT1_
		.amdhsa_group_segment_fixed_size 0
		.amdhsa_private_segment_fixed_size 0
		.amdhsa_kernarg_size 136
		.amdhsa_user_sgpr_count 2
		.amdhsa_user_sgpr_dispatch_ptr 0
		.amdhsa_user_sgpr_queue_ptr 0
		.amdhsa_user_sgpr_kernarg_segment_ptr 1
		.amdhsa_user_sgpr_dispatch_id 0
		.amdhsa_user_sgpr_kernarg_preload_length 0
		.amdhsa_user_sgpr_kernarg_preload_offset 0
		.amdhsa_user_sgpr_private_segment_size 0
		.amdhsa_wavefront_size32 1
		.amdhsa_uses_dynamic_stack 0
		.amdhsa_enable_private_segment 0
		.amdhsa_system_sgpr_workgroup_id_x 1
		.amdhsa_system_sgpr_workgroup_id_y 0
		.amdhsa_system_sgpr_workgroup_id_z 0
		.amdhsa_system_sgpr_workgroup_info 0
		.amdhsa_system_vgpr_workitem_id 0
		.amdhsa_next_free_vgpr 1
		.amdhsa_next_free_sgpr 1
		.amdhsa_named_barrier_count 0
		.amdhsa_reserve_vcc 0
		.amdhsa_float_round_mode_32 0
		.amdhsa_float_round_mode_16_64 0
		.amdhsa_float_denorm_mode_32 3
		.amdhsa_float_denorm_mode_16_64 3
		.amdhsa_fp16_overflow 0
		.amdhsa_memory_ordered 1
		.amdhsa_forward_progress 1
		.amdhsa_inst_pref_size 0
		.amdhsa_round_robin_scheduling 0
		.amdhsa_exception_fp_ieee_invalid_op 0
		.amdhsa_exception_fp_denorm_src 0
		.amdhsa_exception_fp_ieee_div_zero 0
		.amdhsa_exception_fp_ieee_overflow 0
		.amdhsa_exception_fp_ieee_underflow 0
		.amdhsa_exception_fp_ieee_inexact 0
		.amdhsa_exception_int_div_zero 0
	.end_amdhsa_kernel
	.section	.text._ZN7rocprim17ROCPRIM_400000_NS6detail17trampoline_kernelINS0_14default_configENS1_25partition_config_selectorILNS1_17partition_subalgoE8ElNS0_10empty_typeEbEEZZNS1_14partition_implILS5_8ELb0ES3_jPlPS6_PKS6_NS0_5tupleIJS9_S6_EEENSD_IJSA_SA_EEENS0_18inequality_wrapperIZN2at6native12_GLOBAL__N_124unique_dim_cuda_templateIfEESt5tupleIJNSH_6TensorESM_SM_EERKSM_lbbbEUlllE0_EEPmJS6_EEE10hipError_tPvRmT3_T4_T5_T6_T7_T9_mT8_P12ihipStream_tbDpT10_ENKUlT_T0_E_clISt17integral_constantIbLb1EES1C_EEDaS17_S18_EUlS17_E_NS1_11comp_targetILNS1_3genE5ELNS1_11target_archE942ELNS1_3gpuE9ELNS1_3repE0EEENS1_30default_config_static_selectorELNS0_4arch9wavefront6targetE0EEEvT1_,"axG",@progbits,_ZN7rocprim17ROCPRIM_400000_NS6detail17trampoline_kernelINS0_14default_configENS1_25partition_config_selectorILNS1_17partition_subalgoE8ElNS0_10empty_typeEbEEZZNS1_14partition_implILS5_8ELb0ES3_jPlPS6_PKS6_NS0_5tupleIJS9_S6_EEENSD_IJSA_SA_EEENS0_18inequality_wrapperIZN2at6native12_GLOBAL__N_124unique_dim_cuda_templateIfEESt5tupleIJNSH_6TensorESM_SM_EERKSM_lbbbEUlllE0_EEPmJS6_EEE10hipError_tPvRmT3_T4_T5_T6_T7_T9_mT8_P12ihipStream_tbDpT10_ENKUlT_T0_E_clISt17integral_constantIbLb1EES1C_EEDaS17_S18_EUlS17_E_NS1_11comp_targetILNS1_3genE5ELNS1_11target_archE942ELNS1_3gpuE9ELNS1_3repE0EEENS1_30default_config_static_selectorELNS0_4arch9wavefront6targetE0EEEvT1_,comdat
.Lfunc_end938:
	.size	_ZN7rocprim17ROCPRIM_400000_NS6detail17trampoline_kernelINS0_14default_configENS1_25partition_config_selectorILNS1_17partition_subalgoE8ElNS0_10empty_typeEbEEZZNS1_14partition_implILS5_8ELb0ES3_jPlPS6_PKS6_NS0_5tupleIJS9_S6_EEENSD_IJSA_SA_EEENS0_18inequality_wrapperIZN2at6native12_GLOBAL__N_124unique_dim_cuda_templateIfEESt5tupleIJNSH_6TensorESM_SM_EERKSM_lbbbEUlllE0_EEPmJS6_EEE10hipError_tPvRmT3_T4_T5_T6_T7_T9_mT8_P12ihipStream_tbDpT10_ENKUlT_T0_E_clISt17integral_constantIbLb1EES1C_EEDaS17_S18_EUlS17_E_NS1_11comp_targetILNS1_3genE5ELNS1_11target_archE942ELNS1_3gpuE9ELNS1_3repE0EEENS1_30default_config_static_selectorELNS0_4arch9wavefront6targetE0EEEvT1_, .Lfunc_end938-_ZN7rocprim17ROCPRIM_400000_NS6detail17trampoline_kernelINS0_14default_configENS1_25partition_config_selectorILNS1_17partition_subalgoE8ElNS0_10empty_typeEbEEZZNS1_14partition_implILS5_8ELb0ES3_jPlPS6_PKS6_NS0_5tupleIJS9_S6_EEENSD_IJSA_SA_EEENS0_18inequality_wrapperIZN2at6native12_GLOBAL__N_124unique_dim_cuda_templateIfEESt5tupleIJNSH_6TensorESM_SM_EERKSM_lbbbEUlllE0_EEPmJS6_EEE10hipError_tPvRmT3_T4_T5_T6_T7_T9_mT8_P12ihipStream_tbDpT10_ENKUlT_T0_E_clISt17integral_constantIbLb1EES1C_EEDaS17_S18_EUlS17_E_NS1_11comp_targetILNS1_3genE5ELNS1_11target_archE942ELNS1_3gpuE9ELNS1_3repE0EEENS1_30default_config_static_selectorELNS0_4arch9wavefront6targetE0EEEvT1_
                                        ; -- End function
	.set _ZN7rocprim17ROCPRIM_400000_NS6detail17trampoline_kernelINS0_14default_configENS1_25partition_config_selectorILNS1_17partition_subalgoE8ElNS0_10empty_typeEbEEZZNS1_14partition_implILS5_8ELb0ES3_jPlPS6_PKS6_NS0_5tupleIJS9_S6_EEENSD_IJSA_SA_EEENS0_18inequality_wrapperIZN2at6native12_GLOBAL__N_124unique_dim_cuda_templateIfEESt5tupleIJNSH_6TensorESM_SM_EERKSM_lbbbEUlllE0_EEPmJS6_EEE10hipError_tPvRmT3_T4_T5_T6_T7_T9_mT8_P12ihipStream_tbDpT10_ENKUlT_T0_E_clISt17integral_constantIbLb1EES1C_EEDaS17_S18_EUlS17_E_NS1_11comp_targetILNS1_3genE5ELNS1_11target_archE942ELNS1_3gpuE9ELNS1_3repE0EEENS1_30default_config_static_selectorELNS0_4arch9wavefront6targetE0EEEvT1_.num_vgpr, 0
	.set _ZN7rocprim17ROCPRIM_400000_NS6detail17trampoline_kernelINS0_14default_configENS1_25partition_config_selectorILNS1_17partition_subalgoE8ElNS0_10empty_typeEbEEZZNS1_14partition_implILS5_8ELb0ES3_jPlPS6_PKS6_NS0_5tupleIJS9_S6_EEENSD_IJSA_SA_EEENS0_18inequality_wrapperIZN2at6native12_GLOBAL__N_124unique_dim_cuda_templateIfEESt5tupleIJNSH_6TensorESM_SM_EERKSM_lbbbEUlllE0_EEPmJS6_EEE10hipError_tPvRmT3_T4_T5_T6_T7_T9_mT8_P12ihipStream_tbDpT10_ENKUlT_T0_E_clISt17integral_constantIbLb1EES1C_EEDaS17_S18_EUlS17_E_NS1_11comp_targetILNS1_3genE5ELNS1_11target_archE942ELNS1_3gpuE9ELNS1_3repE0EEENS1_30default_config_static_selectorELNS0_4arch9wavefront6targetE0EEEvT1_.num_agpr, 0
	.set _ZN7rocprim17ROCPRIM_400000_NS6detail17trampoline_kernelINS0_14default_configENS1_25partition_config_selectorILNS1_17partition_subalgoE8ElNS0_10empty_typeEbEEZZNS1_14partition_implILS5_8ELb0ES3_jPlPS6_PKS6_NS0_5tupleIJS9_S6_EEENSD_IJSA_SA_EEENS0_18inequality_wrapperIZN2at6native12_GLOBAL__N_124unique_dim_cuda_templateIfEESt5tupleIJNSH_6TensorESM_SM_EERKSM_lbbbEUlllE0_EEPmJS6_EEE10hipError_tPvRmT3_T4_T5_T6_T7_T9_mT8_P12ihipStream_tbDpT10_ENKUlT_T0_E_clISt17integral_constantIbLb1EES1C_EEDaS17_S18_EUlS17_E_NS1_11comp_targetILNS1_3genE5ELNS1_11target_archE942ELNS1_3gpuE9ELNS1_3repE0EEENS1_30default_config_static_selectorELNS0_4arch9wavefront6targetE0EEEvT1_.numbered_sgpr, 0
	.set _ZN7rocprim17ROCPRIM_400000_NS6detail17trampoline_kernelINS0_14default_configENS1_25partition_config_selectorILNS1_17partition_subalgoE8ElNS0_10empty_typeEbEEZZNS1_14partition_implILS5_8ELb0ES3_jPlPS6_PKS6_NS0_5tupleIJS9_S6_EEENSD_IJSA_SA_EEENS0_18inequality_wrapperIZN2at6native12_GLOBAL__N_124unique_dim_cuda_templateIfEESt5tupleIJNSH_6TensorESM_SM_EERKSM_lbbbEUlllE0_EEPmJS6_EEE10hipError_tPvRmT3_T4_T5_T6_T7_T9_mT8_P12ihipStream_tbDpT10_ENKUlT_T0_E_clISt17integral_constantIbLb1EES1C_EEDaS17_S18_EUlS17_E_NS1_11comp_targetILNS1_3genE5ELNS1_11target_archE942ELNS1_3gpuE9ELNS1_3repE0EEENS1_30default_config_static_selectorELNS0_4arch9wavefront6targetE0EEEvT1_.num_named_barrier, 0
	.set _ZN7rocprim17ROCPRIM_400000_NS6detail17trampoline_kernelINS0_14default_configENS1_25partition_config_selectorILNS1_17partition_subalgoE8ElNS0_10empty_typeEbEEZZNS1_14partition_implILS5_8ELb0ES3_jPlPS6_PKS6_NS0_5tupleIJS9_S6_EEENSD_IJSA_SA_EEENS0_18inequality_wrapperIZN2at6native12_GLOBAL__N_124unique_dim_cuda_templateIfEESt5tupleIJNSH_6TensorESM_SM_EERKSM_lbbbEUlllE0_EEPmJS6_EEE10hipError_tPvRmT3_T4_T5_T6_T7_T9_mT8_P12ihipStream_tbDpT10_ENKUlT_T0_E_clISt17integral_constantIbLb1EES1C_EEDaS17_S18_EUlS17_E_NS1_11comp_targetILNS1_3genE5ELNS1_11target_archE942ELNS1_3gpuE9ELNS1_3repE0EEENS1_30default_config_static_selectorELNS0_4arch9wavefront6targetE0EEEvT1_.private_seg_size, 0
	.set _ZN7rocprim17ROCPRIM_400000_NS6detail17trampoline_kernelINS0_14default_configENS1_25partition_config_selectorILNS1_17partition_subalgoE8ElNS0_10empty_typeEbEEZZNS1_14partition_implILS5_8ELb0ES3_jPlPS6_PKS6_NS0_5tupleIJS9_S6_EEENSD_IJSA_SA_EEENS0_18inequality_wrapperIZN2at6native12_GLOBAL__N_124unique_dim_cuda_templateIfEESt5tupleIJNSH_6TensorESM_SM_EERKSM_lbbbEUlllE0_EEPmJS6_EEE10hipError_tPvRmT3_T4_T5_T6_T7_T9_mT8_P12ihipStream_tbDpT10_ENKUlT_T0_E_clISt17integral_constantIbLb1EES1C_EEDaS17_S18_EUlS17_E_NS1_11comp_targetILNS1_3genE5ELNS1_11target_archE942ELNS1_3gpuE9ELNS1_3repE0EEENS1_30default_config_static_selectorELNS0_4arch9wavefront6targetE0EEEvT1_.uses_vcc, 0
	.set _ZN7rocprim17ROCPRIM_400000_NS6detail17trampoline_kernelINS0_14default_configENS1_25partition_config_selectorILNS1_17partition_subalgoE8ElNS0_10empty_typeEbEEZZNS1_14partition_implILS5_8ELb0ES3_jPlPS6_PKS6_NS0_5tupleIJS9_S6_EEENSD_IJSA_SA_EEENS0_18inequality_wrapperIZN2at6native12_GLOBAL__N_124unique_dim_cuda_templateIfEESt5tupleIJNSH_6TensorESM_SM_EERKSM_lbbbEUlllE0_EEPmJS6_EEE10hipError_tPvRmT3_T4_T5_T6_T7_T9_mT8_P12ihipStream_tbDpT10_ENKUlT_T0_E_clISt17integral_constantIbLb1EES1C_EEDaS17_S18_EUlS17_E_NS1_11comp_targetILNS1_3genE5ELNS1_11target_archE942ELNS1_3gpuE9ELNS1_3repE0EEENS1_30default_config_static_selectorELNS0_4arch9wavefront6targetE0EEEvT1_.uses_flat_scratch, 0
	.set _ZN7rocprim17ROCPRIM_400000_NS6detail17trampoline_kernelINS0_14default_configENS1_25partition_config_selectorILNS1_17partition_subalgoE8ElNS0_10empty_typeEbEEZZNS1_14partition_implILS5_8ELb0ES3_jPlPS6_PKS6_NS0_5tupleIJS9_S6_EEENSD_IJSA_SA_EEENS0_18inequality_wrapperIZN2at6native12_GLOBAL__N_124unique_dim_cuda_templateIfEESt5tupleIJNSH_6TensorESM_SM_EERKSM_lbbbEUlllE0_EEPmJS6_EEE10hipError_tPvRmT3_T4_T5_T6_T7_T9_mT8_P12ihipStream_tbDpT10_ENKUlT_T0_E_clISt17integral_constantIbLb1EES1C_EEDaS17_S18_EUlS17_E_NS1_11comp_targetILNS1_3genE5ELNS1_11target_archE942ELNS1_3gpuE9ELNS1_3repE0EEENS1_30default_config_static_selectorELNS0_4arch9wavefront6targetE0EEEvT1_.has_dyn_sized_stack, 0
	.set _ZN7rocprim17ROCPRIM_400000_NS6detail17trampoline_kernelINS0_14default_configENS1_25partition_config_selectorILNS1_17partition_subalgoE8ElNS0_10empty_typeEbEEZZNS1_14partition_implILS5_8ELb0ES3_jPlPS6_PKS6_NS0_5tupleIJS9_S6_EEENSD_IJSA_SA_EEENS0_18inequality_wrapperIZN2at6native12_GLOBAL__N_124unique_dim_cuda_templateIfEESt5tupleIJNSH_6TensorESM_SM_EERKSM_lbbbEUlllE0_EEPmJS6_EEE10hipError_tPvRmT3_T4_T5_T6_T7_T9_mT8_P12ihipStream_tbDpT10_ENKUlT_T0_E_clISt17integral_constantIbLb1EES1C_EEDaS17_S18_EUlS17_E_NS1_11comp_targetILNS1_3genE5ELNS1_11target_archE942ELNS1_3gpuE9ELNS1_3repE0EEENS1_30default_config_static_selectorELNS0_4arch9wavefront6targetE0EEEvT1_.has_recursion, 0
	.set _ZN7rocprim17ROCPRIM_400000_NS6detail17trampoline_kernelINS0_14default_configENS1_25partition_config_selectorILNS1_17partition_subalgoE8ElNS0_10empty_typeEbEEZZNS1_14partition_implILS5_8ELb0ES3_jPlPS6_PKS6_NS0_5tupleIJS9_S6_EEENSD_IJSA_SA_EEENS0_18inequality_wrapperIZN2at6native12_GLOBAL__N_124unique_dim_cuda_templateIfEESt5tupleIJNSH_6TensorESM_SM_EERKSM_lbbbEUlllE0_EEPmJS6_EEE10hipError_tPvRmT3_T4_T5_T6_T7_T9_mT8_P12ihipStream_tbDpT10_ENKUlT_T0_E_clISt17integral_constantIbLb1EES1C_EEDaS17_S18_EUlS17_E_NS1_11comp_targetILNS1_3genE5ELNS1_11target_archE942ELNS1_3gpuE9ELNS1_3repE0EEENS1_30default_config_static_selectorELNS0_4arch9wavefront6targetE0EEEvT1_.has_indirect_call, 0
	.section	.AMDGPU.csdata,"",@progbits
; Kernel info:
; codeLenInByte = 0
; TotalNumSgprs: 0
; NumVgprs: 0
; ScratchSize: 0
; MemoryBound: 0
; FloatMode: 240
; IeeeMode: 1
; LDSByteSize: 0 bytes/workgroup (compile time only)
; SGPRBlocks: 0
; VGPRBlocks: 0
; NumSGPRsForWavesPerEU: 1
; NumVGPRsForWavesPerEU: 1
; NamedBarCnt: 0
; Occupancy: 16
; WaveLimiterHint : 0
; COMPUTE_PGM_RSRC2:SCRATCH_EN: 0
; COMPUTE_PGM_RSRC2:USER_SGPR: 2
; COMPUTE_PGM_RSRC2:TRAP_HANDLER: 0
; COMPUTE_PGM_RSRC2:TGID_X_EN: 1
; COMPUTE_PGM_RSRC2:TGID_Y_EN: 0
; COMPUTE_PGM_RSRC2:TGID_Z_EN: 0
; COMPUTE_PGM_RSRC2:TIDIG_COMP_CNT: 0
	.section	.text._ZN7rocprim17ROCPRIM_400000_NS6detail17trampoline_kernelINS0_14default_configENS1_25partition_config_selectorILNS1_17partition_subalgoE8ElNS0_10empty_typeEbEEZZNS1_14partition_implILS5_8ELb0ES3_jPlPS6_PKS6_NS0_5tupleIJS9_S6_EEENSD_IJSA_SA_EEENS0_18inequality_wrapperIZN2at6native12_GLOBAL__N_124unique_dim_cuda_templateIfEESt5tupleIJNSH_6TensorESM_SM_EERKSM_lbbbEUlllE0_EEPmJS6_EEE10hipError_tPvRmT3_T4_T5_T6_T7_T9_mT8_P12ihipStream_tbDpT10_ENKUlT_T0_E_clISt17integral_constantIbLb1EES1C_EEDaS17_S18_EUlS17_E_NS1_11comp_targetILNS1_3genE4ELNS1_11target_archE910ELNS1_3gpuE8ELNS1_3repE0EEENS1_30default_config_static_selectorELNS0_4arch9wavefront6targetE0EEEvT1_,"axG",@progbits,_ZN7rocprim17ROCPRIM_400000_NS6detail17trampoline_kernelINS0_14default_configENS1_25partition_config_selectorILNS1_17partition_subalgoE8ElNS0_10empty_typeEbEEZZNS1_14partition_implILS5_8ELb0ES3_jPlPS6_PKS6_NS0_5tupleIJS9_S6_EEENSD_IJSA_SA_EEENS0_18inequality_wrapperIZN2at6native12_GLOBAL__N_124unique_dim_cuda_templateIfEESt5tupleIJNSH_6TensorESM_SM_EERKSM_lbbbEUlllE0_EEPmJS6_EEE10hipError_tPvRmT3_T4_T5_T6_T7_T9_mT8_P12ihipStream_tbDpT10_ENKUlT_T0_E_clISt17integral_constantIbLb1EES1C_EEDaS17_S18_EUlS17_E_NS1_11comp_targetILNS1_3genE4ELNS1_11target_archE910ELNS1_3gpuE8ELNS1_3repE0EEENS1_30default_config_static_selectorELNS0_4arch9wavefront6targetE0EEEvT1_,comdat
	.globl	_ZN7rocprim17ROCPRIM_400000_NS6detail17trampoline_kernelINS0_14default_configENS1_25partition_config_selectorILNS1_17partition_subalgoE8ElNS0_10empty_typeEbEEZZNS1_14partition_implILS5_8ELb0ES3_jPlPS6_PKS6_NS0_5tupleIJS9_S6_EEENSD_IJSA_SA_EEENS0_18inequality_wrapperIZN2at6native12_GLOBAL__N_124unique_dim_cuda_templateIfEESt5tupleIJNSH_6TensorESM_SM_EERKSM_lbbbEUlllE0_EEPmJS6_EEE10hipError_tPvRmT3_T4_T5_T6_T7_T9_mT8_P12ihipStream_tbDpT10_ENKUlT_T0_E_clISt17integral_constantIbLb1EES1C_EEDaS17_S18_EUlS17_E_NS1_11comp_targetILNS1_3genE4ELNS1_11target_archE910ELNS1_3gpuE8ELNS1_3repE0EEENS1_30default_config_static_selectorELNS0_4arch9wavefront6targetE0EEEvT1_ ; -- Begin function _ZN7rocprim17ROCPRIM_400000_NS6detail17trampoline_kernelINS0_14default_configENS1_25partition_config_selectorILNS1_17partition_subalgoE8ElNS0_10empty_typeEbEEZZNS1_14partition_implILS5_8ELb0ES3_jPlPS6_PKS6_NS0_5tupleIJS9_S6_EEENSD_IJSA_SA_EEENS0_18inequality_wrapperIZN2at6native12_GLOBAL__N_124unique_dim_cuda_templateIfEESt5tupleIJNSH_6TensorESM_SM_EERKSM_lbbbEUlllE0_EEPmJS6_EEE10hipError_tPvRmT3_T4_T5_T6_T7_T9_mT8_P12ihipStream_tbDpT10_ENKUlT_T0_E_clISt17integral_constantIbLb1EES1C_EEDaS17_S18_EUlS17_E_NS1_11comp_targetILNS1_3genE4ELNS1_11target_archE910ELNS1_3gpuE8ELNS1_3repE0EEENS1_30default_config_static_selectorELNS0_4arch9wavefront6targetE0EEEvT1_
	.p2align	8
	.type	_ZN7rocprim17ROCPRIM_400000_NS6detail17trampoline_kernelINS0_14default_configENS1_25partition_config_selectorILNS1_17partition_subalgoE8ElNS0_10empty_typeEbEEZZNS1_14partition_implILS5_8ELb0ES3_jPlPS6_PKS6_NS0_5tupleIJS9_S6_EEENSD_IJSA_SA_EEENS0_18inequality_wrapperIZN2at6native12_GLOBAL__N_124unique_dim_cuda_templateIfEESt5tupleIJNSH_6TensorESM_SM_EERKSM_lbbbEUlllE0_EEPmJS6_EEE10hipError_tPvRmT3_T4_T5_T6_T7_T9_mT8_P12ihipStream_tbDpT10_ENKUlT_T0_E_clISt17integral_constantIbLb1EES1C_EEDaS17_S18_EUlS17_E_NS1_11comp_targetILNS1_3genE4ELNS1_11target_archE910ELNS1_3gpuE8ELNS1_3repE0EEENS1_30default_config_static_selectorELNS0_4arch9wavefront6targetE0EEEvT1_,@function
_ZN7rocprim17ROCPRIM_400000_NS6detail17trampoline_kernelINS0_14default_configENS1_25partition_config_selectorILNS1_17partition_subalgoE8ElNS0_10empty_typeEbEEZZNS1_14partition_implILS5_8ELb0ES3_jPlPS6_PKS6_NS0_5tupleIJS9_S6_EEENSD_IJSA_SA_EEENS0_18inequality_wrapperIZN2at6native12_GLOBAL__N_124unique_dim_cuda_templateIfEESt5tupleIJNSH_6TensorESM_SM_EERKSM_lbbbEUlllE0_EEPmJS6_EEE10hipError_tPvRmT3_T4_T5_T6_T7_T9_mT8_P12ihipStream_tbDpT10_ENKUlT_T0_E_clISt17integral_constantIbLb1EES1C_EEDaS17_S18_EUlS17_E_NS1_11comp_targetILNS1_3genE4ELNS1_11target_archE910ELNS1_3gpuE8ELNS1_3repE0EEENS1_30default_config_static_selectorELNS0_4arch9wavefront6targetE0EEEvT1_: ; @_ZN7rocprim17ROCPRIM_400000_NS6detail17trampoline_kernelINS0_14default_configENS1_25partition_config_selectorILNS1_17partition_subalgoE8ElNS0_10empty_typeEbEEZZNS1_14partition_implILS5_8ELb0ES3_jPlPS6_PKS6_NS0_5tupleIJS9_S6_EEENSD_IJSA_SA_EEENS0_18inequality_wrapperIZN2at6native12_GLOBAL__N_124unique_dim_cuda_templateIfEESt5tupleIJNSH_6TensorESM_SM_EERKSM_lbbbEUlllE0_EEPmJS6_EEE10hipError_tPvRmT3_T4_T5_T6_T7_T9_mT8_P12ihipStream_tbDpT10_ENKUlT_T0_E_clISt17integral_constantIbLb1EES1C_EEDaS17_S18_EUlS17_E_NS1_11comp_targetILNS1_3genE4ELNS1_11target_archE910ELNS1_3gpuE8ELNS1_3repE0EEENS1_30default_config_static_selectorELNS0_4arch9wavefront6targetE0EEEvT1_
; %bb.0:
	.section	.rodata,"a",@progbits
	.p2align	6, 0x0
	.amdhsa_kernel _ZN7rocprim17ROCPRIM_400000_NS6detail17trampoline_kernelINS0_14default_configENS1_25partition_config_selectorILNS1_17partition_subalgoE8ElNS0_10empty_typeEbEEZZNS1_14partition_implILS5_8ELb0ES3_jPlPS6_PKS6_NS0_5tupleIJS9_S6_EEENSD_IJSA_SA_EEENS0_18inequality_wrapperIZN2at6native12_GLOBAL__N_124unique_dim_cuda_templateIfEESt5tupleIJNSH_6TensorESM_SM_EERKSM_lbbbEUlllE0_EEPmJS6_EEE10hipError_tPvRmT3_T4_T5_T6_T7_T9_mT8_P12ihipStream_tbDpT10_ENKUlT_T0_E_clISt17integral_constantIbLb1EES1C_EEDaS17_S18_EUlS17_E_NS1_11comp_targetILNS1_3genE4ELNS1_11target_archE910ELNS1_3gpuE8ELNS1_3repE0EEENS1_30default_config_static_selectorELNS0_4arch9wavefront6targetE0EEEvT1_
		.amdhsa_group_segment_fixed_size 0
		.amdhsa_private_segment_fixed_size 0
		.amdhsa_kernarg_size 136
		.amdhsa_user_sgpr_count 2
		.amdhsa_user_sgpr_dispatch_ptr 0
		.amdhsa_user_sgpr_queue_ptr 0
		.amdhsa_user_sgpr_kernarg_segment_ptr 1
		.amdhsa_user_sgpr_dispatch_id 0
		.amdhsa_user_sgpr_kernarg_preload_length 0
		.amdhsa_user_sgpr_kernarg_preload_offset 0
		.amdhsa_user_sgpr_private_segment_size 0
		.amdhsa_wavefront_size32 1
		.amdhsa_uses_dynamic_stack 0
		.amdhsa_enable_private_segment 0
		.amdhsa_system_sgpr_workgroup_id_x 1
		.amdhsa_system_sgpr_workgroup_id_y 0
		.amdhsa_system_sgpr_workgroup_id_z 0
		.amdhsa_system_sgpr_workgroup_info 0
		.amdhsa_system_vgpr_workitem_id 0
		.amdhsa_next_free_vgpr 1
		.amdhsa_next_free_sgpr 1
		.amdhsa_named_barrier_count 0
		.amdhsa_reserve_vcc 0
		.amdhsa_float_round_mode_32 0
		.amdhsa_float_round_mode_16_64 0
		.amdhsa_float_denorm_mode_32 3
		.amdhsa_float_denorm_mode_16_64 3
		.amdhsa_fp16_overflow 0
		.amdhsa_memory_ordered 1
		.amdhsa_forward_progress 1
		.amdhsa_inst_pref_size 0
		.amdhsa_round_robin_scheduling 0
		.amdhsa_exception_fp_ieee_invalid_op 0
		.amdhsa_exception_fp_denorm_src 0
		.amdhsa_exception_fp_ieee_div_zero 0
		.amdhsa_exception_fp_ieee_overflow 0
		.amdhsa_exception_fp_ieee_underflow 0
		.amdhsa_exception_fp_ieee_inexact 0
		.amdhsa_exception_int_div_zero 0
	.end_amdhsa_kernel
	.section	.text._ZN7rocprim17ROCPRIM_400000_NS6detail17trampoline_kernelINS0_14default_configENS1_25partition_config_selectorILNS1_17partition_subalgoE8ElNS0_10empty_typeEbEEZZNS1_14partition_implILS5_8ELb0ES3_jPlPS6_PKS6_NS0_5tupleIJS9_S6_EEENSD_IJSA_SA_EEENS0_18inequality_wrapperIZN2at6native12_GLOBAL__N_124unique_dim_cuda_templateIfEESt5tupleIJNSH_6TensorESM_SM_EERKSM_lbbbEUlllE0_EEPmJS6_EEE10hipError_tPvRmT3_T4_T5_T6_T7_T9_mT8_P12ihipStream_tbDpT10_ENKUlT_T0_E_clISt17integral_constantIbLb1EES1C_EEDaS17_S18_EUlS17_E_NS1_11comp_targetILNS1_3genE4ELNS1_11target_archE910ELNS1_3gpuE8ELNS1_3repE0EEENS1_30default_config_static_selectorELNS0_4arch9wavefront6targetE0EEEvT1_,"axG",@progbits,_ZN7rocprim17ROCPRIM_400000_NS6detail17trampoline_kernelINS0_14default_configENS1_25partition_config_selectorILNS1_17partition_subalgoE8ElNS0_10empty_typeEbEEZZNS1_14partition_implILS5_8ELb0ES3_jPlPS6_PKS6_NS0_5tupleIJS9_S6_EEENSD_IJSA_SA_EEENS0_18inequality_wrapperIZN2at6native12_GLOBAL__N_124unique_dim_cuda_templateIfEESt5tupleIJNSH_6TensorESM_SM_EERKSM_lbbbEUlllE0_EEPmJS6_EEE10hipError_tPvRmT3_T4_T5_T6_T7_T9_mT8_P12ihipStream_tbDpT10_ENKUlT_T0_E_clISt17integral_constantIbLb1EES1C_EEDaS17_S18_EUlS17_E_NS1_11comp_targetILNS1_3genE4ELNS1_11target_archE910ELNS1_3gpuE8ELNS1_3repE0EEENS1_30default_config_static_selectorELNS0_4arch9wavefront6targetE0EEEvT1_,comdat
.Lfunc_end939:
	.size	_ZN7rocprim17ROCPRIM_400000_NS6detail17trampoline_kernelINS0_14default_configENS1_25partition_config_selectorILNS1_17partition_subalgoE8ElNS0_10empty_typeEbEEZZNS1_14partition_implILS5_8ELb0ES3_jPlPS6_PKS6_NS0_5tupleIJS9_S6_EEENSD_IJSA_SA_EEENS0_18inequality_wrapperIZN2at6native12_GLOBAL__N_124unique_dim_cuda_templateIfEESt5tupleIJNSH_6TensorESM_SM_EERKSM_lbbbEUlllE0_EEPmJS6_EEE10hipError_tPvRmT3_T4_T5_T6_T7_T9_mT8_P12ihipStream_tbDpT10_ENKUlT_T0_E_clISt17integral_constantIbLb1EES1C_EEDaS17_S18_EUlS17_E_NS1_11comp_targetILNS1_3genE4ELNS1_11target_archE910ELNS1_3gpuE8ELNS1_3repE0EEENS1_30default_config_static_selectorELNS0_4arch9wavefront6targetE0EEEvT1_, .Lfunc_end939-_ZN7rocprim17ROCPRIM_400000_NS6detail17trampoline_kernelINS0_14default_configENS1_25partition_config_selectorILNS1_17partition_subalgoE8ElNS0_10empty_typeEbEEZZNS1_14partition_implILS5_8ELb0ES3_jPlPS6_PKS6_NS0_5tupleIJS9_S6_EEENSD_IJSA_SA_EEENS0_18inequality_wrapperIZN2at6native12_GLOBAL__N_124unique_dim_cuda_templateIfEESt5tupleIJNSH_6TensorESM_SM_EERKSM_lbbbEUlllE0_EEPmJS6_EEE10hipError_tPvRmT3_T4_T5_T6_T7_T9_mT8_P12ihipStream_tbDpT10_ENKUlT_T0_E_clISt17integral_constantIbLb1EES1C_EEDaS17_S18_EUlS17_E_NS1_11comp_targetILNS1_3genE4ELNS1_11target_archE910ELNS1_3gpuE8ELNS1_3repE0EEENS1_30default_config_static_selectorELNS0_4arch9wavefront6targetE0EEEvT1_
                                        ; -- End function
	.set _ZN7rocprim17ROCPRIM_400000_NS6detail17trampoline_kernelINS0_14default_configENS1_25partition_config_selectorILNS1_17partition_subalgoE8ElNS0_10empty_typeEbEEZZNS1_14partition_implILS5_8ELb0ES3_jPlPS6_PKS6_NS0_5tupleIJS9_S6_EEENSD_IJSA_SA_EEENS0_18inequality_wrapperIZN2at6native12_GLOBAL__N_124unique_dim_cuda_templateIfEESt5tupleIJNSH_6TensorESM_SM_EERKSM_lbbbEUlllE0_EEPmJS6_EEE10hipError_tPvRmT3_T4_T5_T6_T7_T9_mT8_P12ihipStream_tbDpT10_ENKUlT_T0_E_clISt17integral_constantIbLb1EES1C_EEDaS17_S18_EUlS17_E_NS1_11comp_targetILNS1_3genE4ELNS1_11target_archE910ELNS1_3gpuE8ELNS1_3repE0EEENS1_30default_config_static_selectorELNS0_4arch9wavefront6targetE0EEEvT1_.num_vgpr, 0
	.set _ZN7rocprim17ROCPRIM_400000_NS6detail17trampoline_kernelINS0_14default_configENS1_25partition_config_selectorILNS1_17partition_subalgoE8ElNS0_10empty_typeEbEEZZNS1_14partition_implILS5_8ELb0ES3_jPlPS6_PKS6_NS0_5tupleIJS9_S6_EEENSD_IJSA_SA_EEENS0_18inequality_wrapperIZN2at6native12_GLOBAL__N_124unique_dim_cuda_templateIfEESt5tupleIJNSH_6TensorESM_SM_EERKSM_lbbbEUlllE0_EEPmJS6_EEE10hipError_tPvRmT3_T4_T5_T6_T7_T9_mT8_P12ihipStream_tbDpT10_ENKUlT_T0_E_clISt17integral_constantIbLb1EES1C_EEDaS17_S18_EUlS17_E_NS1_11comp_targetILNS1_3genE4ELNS1_11target_archE910ELNS1_3gpuE8ELNS1_3repE0EEENS1_30default_config_static_selectorELNS0_4arch9wavefront6targetE0EEEvT1_.num_agpr, 0
	.set _ZN7rocprim17ROCPRIM_400000_NS6detail17trampoline_kernelINS0_14default_configENS1_25partition_config_selectorILNS1_17partition_subalgoE8ElNS0_10empty_typeEbEEZZNS1_14partition_implILS5_8ELb0ES3_jPlPS6_PKS6_NS0_5tupleIJS9_S6_EEENSD_IJSA_SA_EEENS0_18inequality_wrapperIZN2at6native12_GLOBAL__N_124unique_dim_cuda_templateIfEESt5tupleIJNSH_6TensorESM_SM_EERKSM_lbbbEUlllE0_EEPmJS6_EEE10hipError_tPvRmT3_T4_T5_T6_T7_T9_mT8_P12ihipStream_tbDpT10_ENKUlT_T0_E_clISt17integral_constantIbLb1EES1C_EEDaS17_S18_EUlS17_E_NS1_11comp_targetILNS1_3genE4ELNS1_11target_archE910ELNS1_3gpuE8ELNS1_3repE0EEENS1_30default_config_static_selectorELNS0_4arch9wavefront6targetE0EEEvT1_.numbered_sgpr, 0
	.set _ZN7rocprim17ROCPRIM_400000_NS6detail17trampoline_kernelINS0_14default_configENS1_25partition_config_selectorILNS1_17partition_subalgoE8ElNS0_10empty_typeEbEEZZNS1_14partition_implILS5_8ELb0ES3_jPlPS6_PKS6_NS0_5tupleIJS9_S6_EEENSD_IJSA_SA_EEENS0_18inequality_wrapperIZN2at6native12_GLOBAL__N_124unique_dim_cuda_templateIfEESt5tupleIJNSH_6TensorESM_SM_EERKSM_lbbbEUlllE0_EEPmJS6_EEE10hipError_tPvRmT3_T4_T5_T6_T7_T9_mT8_P12ihipStream_tbDpT10_ENKUlT_T0_E_clISt17integral_constantIbLb1EES1C_EEDaS17_S18_EUlS17_E_NS1_11comp_targetILNS1_3genE4ELNS1_11target_archE910ELNS1_3gpuE8ELNS1_3repE0EEENS1_30default_config_static_selectorELNS0_4arch9wavefront6targetE0EEEvT1_.num_named_barrier, 0
	.set _ZN7rocprim17ROCPRIM_400000_NS6detail17trampoline_kernelINS0_14default_configENS1_25partition_config_selectorILNS1_17partition_subalgoE8ElNS0_10empty_typeEbEEZZNS1_14partition_implILS5_8ELb0ES3_jPlPS6_PKS6_NS0_5tupleIJS9_S6_EEENSD_IJSA_SA_EEENS0_18inequality_wrapperIZN2at6native12_GLOBAL__N_124unique_dim_cuda_templateIfEESt5tupleIJNSH_6TensorESM_SM_EERKSM_lbbbEUlllE0_EEPmJS6_EEE10hipError_tPvRmT3_T4_T5_T6_T7_T9_mT8_P12ihipStream_tbDpT10_ENKUlT_T0_E_clISt17integral_constantIbLb1EES1C_EEDaS17_S18_EUlS17_E_NS1_11comp_targetILNS1_3genE4ELNS1_11target_archE910ELNS1_3gpuE8ELNS1_3repE0EEENS1_30default_config_static_selectorELNS0_4arch9wavefront6targetE0EEEvT1_.private_seg_size, 0
	.set _ZN7rocprim17ROCPRIM_400000_NS6detail17trampoline_kernelINS0_14default_configENS1_25partition_config_selectorILNS1_17partition_subalgoE8ElNS0_10empty_typeEbEEZZNS1_14partition_implILS5_8ELb0ES3_jPlPS6_PKS6_NS0_5tupleIJS9_S6_EEENSD_IJSA_SA_EEENS0_18inequality_wrapperIZN2at6native12_GLOBAL__N_124unique_dim_cuda_templateIfEESt5tupleIJNSH_6TensorESM_SM_EERKSM_lbbbEUlllE0_EEPmJS6_EEE10hipError_tPvRmT3_T4_T5_T6_T7_T9_mT8_P12ihipStream_tbDpT10_ENKUlT_T0_E_clISt17integral_constantIbLb1EES1C_EEDaS17_S18_EUlS17_E_NS1_11comp_targetILNS1_3genE4ELNS1_11target_archE910ELNS1_3gpuE8ELNS1_3repE0EEENS1_30default_config_static_selectorELNS0_4arch9wavefront6targetE0EEEvT1_.uses_vcc, 0
	.set _ZN7rocprim17ROCPRIM_400000_NS6detail17trampoline_kernelINS0_14default_configENS1_25partition_config_selectorILNS1_17partition_subalgoE8ElNS0_10empty_typeEbEEZZNS1_14partition_implILS5_8ELb0ES3_jPlPS6_PKS6_NS0_5tupleIJS9_S6_EEENSD_IJSA_SA_EEENS0_18inequality_wrapperIZN2at6native12_GLOBAL__N_124unique_dim_cuda_templateIfEESt5tupleIJNSH_6TensorESM_SM_EERKSM_lbbbEUlllE0_EEPmJS6_EEE10hipError_tPvRmT3_T4_T5_T6_T7_T9_mT8_P12ihipStream_tbDpT10_ENKUlT_T0_E_clISt17integral_constantIbLb1EES1C_EEDaS17_S18_EUlS17_E_NS1_11comp_targetILNS1_3genE4ELNS1_11target_archE910ELNS1_3gpuE8ELNS1_3repE0EEENS1_30default_config_static_selectorELNS0_4arch9wavefront6targetE0EEEvT1_.uses_flat_scratch, 0
	.set _ZN7rocprim17ROCPRIM_400000_NS6detail17trampoline_kernelINS0_14default_configENS1_25partition_config_selectorILNS1_17partition_subalgoE8ElNS0_10empty_typeEbEEZZNS1_14partition_implILS5_8ELb0ES3_jPlPS6_PKS6_NS0_5tupleIJS9_S6_EEENSD_IJSA_SA_EEENS0_18inequality_wrapperIZN2at6native12_GLOBAL__N_124unique_dim_cuda_templateIfEESt5tupleIJNSH_6TensorESM_SM_EERKSM_lbbbEUlllE0_EEPmJS6_EEE10hipError_tPvRmT3_T4_T5_T6_T7_T9_mT8_P12ihipStream_tbDpT10_ENKUlT_T0_E_clISt17integral_constantIbLb1EES1C_EEDaS17_S18_EUlS17_E_NS1_11comp_targetILNS1_3genE4ELNS1_11target_archE910ELNS1_3gpuE8ELNS1_3repE0EEENS1_30default_config_static_selectorELNS0_4arch9wavefront6targetE0EEEvT1_.has_dyn_sized_stack, 0
	.set _ZN7rocprim17ROCPRIM_400000_NS6detail17trampoline_kernelINS0_14default_configENS1_25partition_config_selectorILNS1_17partition_subalgoE8ElNS0_10empty_typeEbEEZZNS1_14partition_implILS5_8ELb0ES3_jPlPS6_PKS6_NS0_5tupleIJS9_S6_EEENSD_IJSA_SA_EEENS0_18inequality_wrapperIZN2at6native12_GLOBAL__N_124unique_dim_cuda_templateIfEESt5tupleIJNSH_6TensorESM_SM_EERKSM_lbbbEUlllE0_EEPmJS6_EEE10hipError_tPvRmT3_T4_T5_T6_T7_T9_mT8_P12ihipStream_tbDpT10_ENKUlT_T0_E_clISt17integral_constantIbLb1EES1C_EEDaS17_S18_EUlS17_E_NS1_11comp_targetILNS1_3genE4ELNS1_11target_archE910ELNS1_3gpuE8ELNS1_3repE0EEENS1_30default_config_static_selectorELNS0_4arch9wavefront6targetE0EEEvT1_.has_recursion, 0
	.set _ZN7rocprim17ROCPRIM_400000_NS6detail17trampoline_kernelINS0_14default_configENS1_25partition_config_selectorILNS1_17partition_subalgoE8ElNS0_10empty_typeEbEEZZNS1_14partition_implILS5_8ELb0ES3_jPlPS6_PKS6_NS0_5tupleIJS9_S6_EEENSD_IJSA_SA_EEENS0_18inequality_wrapperIZN2at6native12_GLOBAL__N_124unique_dim_cuda_templateIfEESt5tupleIJNSH_6TensorESM_SM_EERKSM_lbbbEUlllE0_EEPmJS6_EEE10hipError_tPvRmT3_T4_T5_T6_T7_T9_mT8_P12ihipStream_tbDpT10_ENKUlT_T0_E_clISt17integral_constantIbLb1EES1C_EEDaS17_S18_EUlS17_E_NS1_11comp_targetILNS1_3genE4ELNS1_11target_archE910ELNS1_3gpuE8ELNS1_3repE0EEENS1_30default_config_static_selectorELNS0_4arch9wavefront6targetE0EEEvT1_.has_indirect_call, 0
	.section	.AMDGPU.csdata,"",@progbits
; Kernel info:
; codeLenInByte = 0
; TotalNumSgprs: 0
; NumVgprs: 0
; ScratchSize: 0
; MemoryBound: 0
; FloatMode: 240
; IeeeMode: 1
; LDSByteSize: 0 bytes/workgroup (compile time only)
; SGPRBlocks: 0
; VGPRBlocks: 0
; NumSGPRsForWavesPerEU: 1
; NumVGPRsForWavesPerEU: 1
; NamedBarCnt: 0
; Occupancy: 16
; WaveLimiterHint : 0
; COMPUTE_PGM_RSRC2:SCRATCH_EN: 0
; COMPUTE_PGM_RSRC2:USER_SGPR: 2
; COMPUTE_PGM_RSRC2:TRAP_HANDLER: 0
; COMPUTE_PGM_RSRC2:TGID_X_EN: 1
; COMPUTE_PGM_RSRC2:TGID_Y_EN: 0
; COMPUTE_PGM_RSRC2:TGID_Z_EN: 0
; COMPUTE_PGM_RSRC2:TIDIG_COMP_CNT: 0
	.section	.text._ZN7rocprim17ROCPRIM_400000_NS6detail17trampoline_kernelINS0_14default_configENS1_25partition_config_selectorILNS1_17partition_subalgoE8ElNS0_10empty_typeEbEEZZNS1_14partition_implILS5_8ELb0ES3_jPlPS6_PKS6_NS0_5tupleIJS9_S6_EEENSD_IJSA_SA_EEENS0_18inequality_wrapperIZN2at6native12_GLOBAL__N_124unique_dim_cuda_templateIfEESt5tupleIJNSH_6TensorESM_SM_EERKSM_lbbbEUlllE0_EEPmJS6_EEE10hipError_tPvRmT3_T4_T5_T6_T7_T9_mT8_P12ihipStream_tbDpT10_ENKUlT_T0_E_clISt17integral_constantIbLb1EES1C_EEDaS17_S18_EUlS17_E_NS1_11comp_targetILNS1_3genE3ELNS1_11target_archE908ELNS1_3gpuE7ELNS1_3repE0EEENS1_30default_config_static_selectorELNS0_4arch9wavefront6targetE0EEEvT1_,"axG",@progbits,_ZN7rocprim17ROCPRIM_400000_NS6detail17trampoline_kernelINS0_14default_configENS1_25partition_config_selectorILNS1_17partition_subalgoE8ElNS0_10empty_typeEbEEZZNS1_14partition_implILS5_8ELb0ES3_jPlPS6_PKS6_NS0_5tupleIJS9_S6_EEENSD_IJSA_SA_EEENS0_18inequality_wrapperIZN2at6native12_GLOBAL__N_124unique_dim_cuda_templateIfEESt5tupleIJNSH_6TensorESM_SM_EERKSM_lbbbEUlllE0_EEPmJS6_EEE10hipError_tPvRmT3_T4_T5_T6_T7_T9_mT8_P12ihipStream_tbDpT10_ENKUlT_T0_E_clISt17integral_constantIbLb1EES1C_EEDaS17_S18_EUlS17_E_NS1_11comp_targetILNS1_3genE3ELNS1_11target_archE908ELNS1_3gpuE7ELNS1_3repE0EEENS1_30default_config_static_selectorELNS0_4arch9wavefront6targetE0EEEvT1_,comdat
	.globl	_ZN7rocprim17ROCPRIM_400000_NS6detail17trampoline_kernelINS0_14default_configENS1_25partition_config_selectorILNS1_17partition_subalgoE8ElNS0_10empty_typeEbEEZZNS1_14partition_implILS5_8ELb0ES3_jPlPS6_PKS6_NS0_5tupleIJS9_S6_EEENSD_IJSA_SA_EEENS0_18inequality_wrapperIZN2at6native12_GLOBAL__N_124unique_dim_cuda_templateIfEESt5tupleIJNSH_6TensorESM_SM_EERKSM_lbbbEUlllE0_EEPmJS6_EEE10hipError_tPvRmT3_T4_T5_T6_T7_T9_mT8_P12ihipStream_tbDpT10_ENKUlT_T0_E_clISt17integral_constantIbLb1EES1C_EEDaS17_S18_EUlS17_E_NS1_11comp_targetILNS1_3genE3ELNS1_11target_archE908ELNS1_3gpuE7ELNS1_3repE0EEENS1_30default_config_static_selectorELNS0_4arch9wavefront6targetE0EEEvT1_ ; -- Begin function _ZN7rocprim17ROCPRIM_400000_NS6detail17trampoline_kernelINS0_14default_configENS1_25partition_config_selectorILNS1_17partition_subalgoE8ElNS0_10empty_typeEbEEZZNS1_14partition_implILS5_8ELb0ES3_jPlPS6_PKS6_NS0_5tupleIJS9_S6_EEENSD_IJSA_SA_EEENS0_18inequality_wrapperIZN2at6native12_GLOBAL__N_124unique_dim_cuda_templateIfEESt5tupleIJNSH_6TensorESM_SM_EERKSM_lbbbEUlllE0_EEPmJS6_EEE10hipError_tPvRmT3_T4_T5_T6_T7_T9_mT8_P12ihipStream_tbDpT10_ENKUlT_T0_E_clISt17integral_constantIbLb1EES1C_EEDaS17_S18_EUlS17_E_NS1_11comp_targetILNS1_3genE3ELNS1_11target_archE908ELNS1_3gpuE7ELNS1_3repE0EEENS1_30default_config_static_selectorELNS0_4arch9wavefront6targetE0EEEvT1_
	.p2align	8
	.type	_ZN7rocprim17ROCPRIM_400000_NS6detail17trampoline_kernelINS0_14default_configENS1_25partition_config_selectorILNS1_17partition_subalgoE8ElNS0_10empty_typeEbEEZZNS1_14partition_implILS5_8ELb0ES3_jPlPS6_PKS6_NS0_5tupleIJS9_S6_EEENSD_IJSA_SA_EEENS0_18inequality_wrapperIZN2at6native12_GLOBAL__N_124unique_dim_cuda_templateIfEESt5tupleIJNSH_6TensorESM_SM_EERKSM_lbbbEUlllE0_EEPmJS6_EEE10hipError_tPvRmT3_T4_T5_T6_T7_T9_mT8_P12ihipStream_tbDpT10_ENKUlT_T0_E_clISt17integral_constantIbLb1EES1C_EEDaS17_S18_EUlS17_E_NS1_11comp_targetILNS1_3genE3ELNS1_11target_archE908ELNS1_3gpuE7ELNS1_3repE0EEENS1_30default_config_static_selectorELNS0_4arch9wavefront6targetE0EEEvT1_,@function
_ZN7rocprim17ROCPRIM_400000_NS6detail17trampoline_kernelINS0_14default_configENS1_25partition_config_selectorILNS1_17partition_subalgoE8ElNS0_10empty_typeEbEEZZNS1_14partition_implILS5_8ELb0ES3_jPlPS6_PKS6_NS0_5tupleIJS9_S6_EEENSD_IJSA_SA_EEENS0_18inequality_wrapperIZN2at6native12_GLOBAL__N_124unique_dim_cuda_templateIfEESt5tupleIJNSH_6TensorESM_SM_EERKSM_lbbbEUlllE0_EEPmJS6_EEE10hipError_tPvRmT3_T4_T5_T6_T7_T9_mT8_P12ihipStream_tbDpT10_ENKUlT_T0_E_clISt17integral_constantIbLb1EES1C_EEDaS17_S18_EUlS17_E_NS1_11comp_targetILNS1_3genE3ELNS1_11target_archE908ELNS1_3gpuE7ELNS1_3repE0EEENS1_30default_config_static_selectorELNS0_4arch9wavefront6targetE0EEEvT1_: ; @_ZN7rocprim17ROCPRIM_400000_NS6detail17trampoline_kernelINS0_14default_configENS1_25partition_config_selectorILNS1_17partition_subalgoE8ElNS0_10empty_typeEbEEZZNS1_14partition_implILS5_8ELb0ES3_jPlPS6_PKS6_NS0_5tupleIJS9_S6_EEENSD_IJSA_SA_EEENS0_18inequality_wrapperIZN2at6native12_GLOBAL__N_124unique_dim_cuda_templateIfEESt5tupleIJNSH_6TensorESM_SM_EERKSM_lbbbEUlllE0_EEPmJS6_EEE10hipError_tPvRmT3_T4_T5_T6_T7_T9_mT8_P12ihipStream_tbDpT10_ENKUlT_T0_E_clISt17integral_constantIbLb1EES1C_EEDaS17_S18_EUlS17_E_NS1_11comp_targetILNS1_3genE3ELNS1_11target_archE908ELNS1_3gpuE7ELNS1_3repE0EEENS1_30default_config_static_selectorELNS0_4arch9wavefront6targetE0EEEvT1_
; %bb.0:
	.section	.rodata,"a",@progbits
	.p2align	6, 0x0
	.amdhsa_kernel _ZN7rocprim17ROCPRIM_400000_NS6detail17trampoline_kernelINS0_14default_configENS1_25partition_config_selectorILNS1_17partition_subalgoE8ElNS0_10empty_typeEbEEZZNS1_14partition_implILS5_8ELb0ES3_jPlPS6_PKS6_NS0_5tupleIJS9_S6_EEENSD_IJSA_SA_EEENS0_18inequality_wrapperIZN2at6native12_GLOBAL__N_124unique_dim_cuda_templateIfEESt5tupleIJNSH_6TensorESM_SM_EERKSM_lbbbEUlllE0_EEPmJS6_EEE10hipError_tPvRmT3_T4_T5_T6_T7_T9_mT8_P12ihipStream_tbDpT10_ENKUlT_T0_E_clISt17integral_constantIbLb1EES1C_EEDaS17_S18_EUlS17_E_NS1_11comp_targetILNS1_3genE3ELNS1_11target_archE908ELNS1_3gpuE7ELNS1_3repE0EEENS1_30default_config_static_selectorELNS0_4arch9wavefront6targetE0EEEvT1_
		.amdhsa_group_segment_fixed_size 0
		.amdhsa_private_segment_fixed_size 0
		.amdhsa_kernarg_size 136
		.amdhsa_user_sgpr_count 2
		.amdhsa_user_sgpr_dispatch_ptr 0
		.amdhsa_user_sgpr_queue_ptr 0
		.amdhsa_user_sgpr_kernarg_segment_ptr 1
		.amdhsa_user_sgpr_dispatch_id 0
		.amdhsa_user_sgpr_kernarg_preload_length 0
		.amdhsa_user_sgpr_kernarg_preload_offset 0
		.amdhsa_user_sgpr_private_segment_size 0
		.amdhsa_wavefront_size32 1
		.amdhsa_uses_dynamic_stack 0
		.amdhsa_enable_private_segment 0
		.amdhsa_system_sgpr_workgroup_id_x 1
		.amdhsa_system_sgpr_workgroup_id_y 0
		.amdhsa_system_sgpr_workgroup_id_z 0
		.amdhsa_system_sgpr_workgroup_info 0
		.amdhsa_system_vgpr_workitem_id 0
		.amdhsa_next_free_vgpr 1
		.amdhsa_next_free_sgpr 1
		.amdhsa_named_barrier_count 0
		.amdhsa_reserve_vcc 0
		.amdhsa_float_round_mode_32 0
		.amdhsa_float_round_mode_16_64 0
		.amdhsa_float_denorm_mode_32 3
		.amdhsa_float_denorm_mode_16_64 3
		.amdhsa_fp16_overflow 0
		.amdhsa_memory_ordered 1
		.amdhsa_forward_progress 1
		.amdhsa_inst_pref_size 0
		.amdhsa_round_robin_scheduling 0
		.amdhsa_exception_fp_ieee_invalid_op 0
		.amdhsa_exception_fp_denorm_src 0
		.amdhsa_exception_fp_ieee_div_zero 0
		.amdhsa_exception_fp_ieee_overflow 0
		.amdhsa_exception_fp_ieee_underflow 0
		.amdhsa_exception_fp_ieee_inexact 0
		.amdhsa_exception_int_div_zero 0
	.end_amdhsa_kernel
	.section	.text._ZN7rocprim17ROCPRIM_400000_NS6detail17trampoline_kernelINS0_14default_configENS1_25partition_config_selectorILNS1_17partition_subalgoE8ElNS0_10empty_typeEbEEZZNS1_14partition_implILS5_8ELb0ES3_jPlPS6_PKS6_NS0_5tupleIJS9_S6_EEENSD_IJSA_SA_EEENS0_18inequality_wrapperIZN2at6native12_GLOBAL__N_124unique_dim_cuda_templateIfEESt5tupleIJNSH_6TensorESM_SM_EERKSM_lbbbEUlllE0_EEPmJS6_EEE10hipError_tPvRmT3_T4_T5_T6_T7_T9_mT8_P12ihipStream_tbDpT10_ENKUlT_T0_E_clISt17integral_constantIbLb1EES1C_EEDaS17_S18_EUlS17_E_NS1_11comp_targetILNS1_3genE3ELNS1_11target_archE908ELNS1_3gpuE7ELNS1_3repE0EEENS1_30default_config_static_selectorELNS0_4arch9wavefront6targetE0EEEvT1_,"axG",@progbits,_ZN7rocprim17ROCPRIM_400000_NS6detail17trampoline_kernelINS0_14default_configENS1_25partition_config_selectorILNS1_17partition_subalgoE8ElNS0_10empty_typeEbEEZZNS1_14partition_implILS5_8ELb0ES3_jPlPS6_PKS6_NS0_5tupleIJS9_S6_EEENSD_IJSA_SA_EEENS0_18inequality_wrapperIZN2at6native12_GLOBAL__N_124unique_dim_cuda_templateIfEESt5tupleIJNSH_6TensorESM_SM_EERKSM_lbbbEUlllE0_EEPmJS6_EEE10hipError_tPvRmT3_T4_T5_T6_T7_T9_mT8_P12ihipStream_tbDpT10_ENKUlT_T0_E_clISt17integral_constantIbLb1EES1C_EEDaS17_S18_EUlS17_E_NS1_11comp_targetILNS1_3genE3ELNS1_11target_archE908ELNS1_3gpuE7ELNS1_3repE0EEENS1_30default_config_static_selectorELNS0_4arch9wavefront6targetE0EEEvT1_,comdat
.Lfunc_end940:
	.size	_ZN7rocprim17ROCPRIM_400000_NS6detail17trampoline_kernelINS0_14default_configENS1_25partition_config_selectorILNS1_17partition_subalgoE8ElNS0_10empty_typeEbEEZZNS1_14partition_implILS5_8ELb0ES3_jPlPS6_PKS6_NS0_5tupleIJS9_S6_EEENSD_IJSA_SA_EEENS0_18inequality_wrapperIZN2at6native12_GLOBAL__N_124unique_dim_cuda_templateIfEESt5tupleIJNSH_6TensorESM_SM_EERKSM_lbbbEUlllE0_EEPmJS6_EEE10hipError_tPvRmT3_T4_T5_T6_T7_T9_mT8_P12ihipStream_tbDpT10_ENKUlT_T0_E_clISt17integral_constantIbLb1EES1C_EEDaS17_S18_EUlS17_E_NS1_11comp_targetILNS1_3genE3ELNS1_11target_archE908ELNS1_3gpuE7ELNS1_3repE0EEENS1_30default_config_static_selectorELNS0_4arch9wavefront6targetE0EEEvT1_, .Lfunc_end940-_ZN7rocprim17ROCPRIM_400000_NS6detail17trampoline_kernelINS0_14default_configENS1_25partition_config_selectorILNS1_17partition_subalgoE8ElNS0_10empty_typeEbEEZZNS1_14partition_implILS5_8ELb0ES3_jPlPS6_PKS6_NS0_5tupleIJS9_S6_EEENSD_IJSA_SA_EEENS0_18inequality_wrapperIZN2at6native12_GLOBAL__N_124unique_dim_cuda_templateIfEESt5tupleIJNSH_6TensorESM_SM_EERKSM_lbbbEUlllE0_EEPmJS6_EEE10hipError_tPvRmT3_T4_T5_T6_T7_T9_mT8_P12ihipStream_tbDpT10_ENKUlT_T0_E_clISt17integral_constantIbLb1EES1C_EEDaS17_S18_EUlS17_E_NS1_11comp_targetILNS1_3genE3ELNS1_11target_archE908ELNS1_3gpuE7ELNS1_3repE0EEENS1_30default_config_static_selectorELNS0_4arch9wavefront6targetE0EEEvT1_
                                        ; -- End function
	.set _ZN7rocprim17ROCPRIM_400000_NS6detail17trampoline_kernelINS0_14default_configENS1_25partition_config_selectorILNS1_17partition_subalgoE8ElNS0_10empty_typeEbEEZZNS1_14partition_implILS5_8ELb0ES3_jPlPS6_PKS6_NS0_5tupleIJS9_S6_EEENSD_IJSA_SA_EEENS0_18inequality_wrapperIZN2at6native12_GLOBAL__N_124unique_dim_cuda_templateIfEESt5tupleIJNSH_6TensorESM_SM_EERKSM_lbbbEUlllE0_EEPmJS6_EEE10hipError_tPvRmT3_T4_T5_T6_T7_T9_mT8_P12ihipStream_tbDpT10_ENKUlT_T0_E_clISt17integral_constantIbLb1EES1C_EEDaS17_S18_EUlS17_E_NS1_11comp_targetILNS1_3genE3ELNS1_11target_archE908ELNS1_3gpuE7ELNS1_3repE0EEENS1_30default_config_static_selectorELNS0_4arch9wavefront6targetE0EEEvT1_.num_vgpr, 0
	.set _ZN7rocprim17ROCPRIM_400000_NS6detail17trampoline_kernelINS0_14default_configENS1_25partition_config_selectorILNS1_17partition_subalgoE8ElNS0_10empty_typeEbEEZZNS1_14partition_implILS5_8ELb0ES3_jPlPS6_PKS6_NS0_5tupleIJS9_S6_EEENSD_IJSA_SA_EEENS0_18inequality_wrapperIZN2at6native12_GLOBAL__N_124unique_dim_cuda_templateIfEESt5tupleIJNSH_6TensorESM_SM_EERKSM_lbbbEUlllE0_EEPmJS6_EEE10hipError_tPvRmT3_T4_T5_T6_T7_T9_mT8_P12ihipStream_tbDpT10_ENKUlT_T0_E_clISt17integral_constantIbLb1EES1C_EEDaS17_S18_EUlS17_E_NS1_11comp_targetILNS1_3genE3ELNS1_11target_archE908ELNS1_3gpuE7ELNS1_3repE0EEENS1_30default_config_static_selectorELNS0_4arch9wavefront6targetE0EEEvT1_.num_agpr, 0
	.set _ZN7rocprim17ROCPRIM_400000_NS6detail17trampoline_kernelINS0_14default_configENS1_25partition_config_selectorILNS1_17partition_subalgoE8ElNS0_10empty_typeEbEEZZNS1_14partition_implILS5_8ELb0ES3_jPlPS6_PKS6_NS0_5tupleIJS9_S6_EEENSD_IJSA_SA_EEENS0_18inequality_wrapperIZN2at6native12_GLOBAL__N_124unique_dim_cuda_templateIfEESt5tupleIJNSH_6TensorESM_SM_EERKSM_lbbbEUlllE0_EEPmJS6_EEE10hipError_tPvRmT3_T4_T5_T6_T7_T9_mT8_P12ihipStream_tbDpT10_ENKUlT_T0_E_clISt17integral_constantIbLb1EES1C_EEDaS17_S18_EUlS17_E_NS1_11comp_targetILNS1_3genE3ELNS1_11target_archE908ELNS1_3gpuE7ELNS1_3repE0EEENS1_30default_config_static_selectorELNS0_4arch9wavefront6targetE0EEEvT1_.numbered_sgpr, 0
	.set _ZN7rocprim17ROCPRIM_400000_NS6detail17trampoline_kernelINS0_14default_configENS1_25partition_config_selectorILNS1_17partition_subalgoE8ElNS0_10empty_typeEbEEZZNS1_14partition_implILS5_8ELb0ES3_jPlPS6_PKS6_NS0_5tupleIJS9_S6_EEENSD_IJSA_SA_EEENS0_18inequality_wrapperIZN2at6native12_GLOBAL__N_124unique_dim_cuda_templateIfEESt5tupleIJNSH_6TensorESM_SM_EERKSM_lbbbEUlllE0_EEPmJS6_EEE10hipError_tPvRmT3_T4_T5_T6_T7_T9_mT8_P12ihipStream_tbDpT10_ENKUlT_T0_E_clISt17integral_constantIbLb1EES1C_EEDaS17_S18_EUlS17_E_NS1_11comp_targetILNS1_3genE3ELNS1_11target_archE908ELNS1_3gpuE7ELNS1_3repE0EEENS1_30default_config_static_selectorELNS0_4arch9wavefront6targetE0EEEvT1_.num_named_barrier, 0
	.set _ZN7rocprim17ROCPRIM_400000_NS6detail17trampoline_kernelINS0_14default_configENS1_25partition_config_selectorILNS1_17partition_subalgoE8ElNS0_10empty_typeEbEEZZNS1_14partition_implILS5_8ELb0ES3_jPlPS6_PKS6_NS0_5tupleIJS9_S6_EEENSD_IJSA_SA_EEENS0_18inequality_wrapperIZN2at6native12_GLOBAL__N_124unique_dim_cuda_templateIfEESt5tupleIJNSH_6TensorESM_SM_EERKSM_lbbbEUlllE0_EEPmJS6_EEE10hipError_tPvRmT3_T4_T5_T6_T7_T9_mT8_P12ihipStream_tbDpT10_ENKUlT_T0_E_clISt17integral_constantIbLb1EES1C_EEDaS17_S18_EUlS17_E_NS1_11comp_targetILNS1_3genE3ELNS1_11target_archE908ELNS1_3gpuE7ELNS1_3repE0EEENS1_30default_config_static_selectorELNS0_4arch9wavefront6targetE0EEEvT1_.private_seg_size, 0
	.set _ZN7rocprim17ROCPRIM_400000_NS6detail17trampoline_kernelINS0_14default_configENS1_25partition_config_selectorILNS1_17partition_subalgoE8ElNS0_10empty_typeEbEEZZNS1_14partition_implILS5_8ELb0ES3_jPlPS6_PKS6_NS0_5tupleIJS9_S6_EEENSD_IJSA_SA_EEENS0_18inequality_wrapperIZN2at6native12_GLOBAL__N_124unique_dim_cuda_templateIfEESt5tupleIJNSH_6TensorESM_SM_EERKSM_lbbbEUlllE0_EEPmJS6_EEE10hipError_tPvRmT3_T4_T5_T6_T7_T9_mT8_P12ihipStream_tbDpT10_ENKUlT_T0_E_clISt17integral_constantIbLb1EES1C_EEDaS17_S18_EUlS17_E_NS1_11comp_targetILNS1_3genE3ELNS1_11target_archE908ELNS1_3gpuE7ELNS1_3repE0EEENS1_30default_config_static_selectorELNS0_4arch9wavefront6targetE0EEEvT1_.uses_vcc, 0
	.set _ZN7rocprim17ROCPRIM_400000_NS6detail17trampoline_kernelINS0_14default_configENS1_25partition_config_selectorILNS1_17partition_subalgoE8ElNS0_10empty_typeEbEEZZNS1_14partition_implILS5_8ELb0ES3_jPlPS6_PKS6_NS0_5tupleIJS9_S6_EEENSD_IJSA_SA_EEENS0_18inequality_wrapperIZN2at6native12_GLOBAL__N_124unique_dim_cuda_templateIfEESt5tupleIJNSH_6TensorESM_SM_EERKSM_lbbbEUlllE0_EEPmJS6_EEE10hipError_tPvRmT3_T4_T5_T6_T7_T9_mT8_P12ihipStream_tbDpT10_ENKUlT_T0_E_clISt17integral_constantIbLb1EES1C_EEDaS17_S18_EUlS17_E_NS1_11comp_targetILNS1_3genE3ELNS1_11target_archE908ELNS1_3gpuE7ELNS1_3repE0EEENS1_30default_config_static_selectorELNS0_4arch9wavefront6targetE0EEEvT1_.uses_flat_scratch, 0
	.set _ZN7rocprim17ROCPRIM_400000_NS6detail17trampoline_kernelINS0_14default_configENS1_25partition_config_selectorILNS1_17partition_subalgoE8ElNS0_10empty_typeEbEEZZNS1_14partition_implILS5_8ELb0ES3_jPlPS6_PKS6_NS0_5tupleIJS9_S6_EEENSD_IJSA_SA_EEENS0_18inequality_wrapperIZN2at6native12_GLOBAL__N_124unique_dim_cuda_templateIfEESt5tupleIJNSH_6TensorESM_SM_EERKSM_lbbbEUlllE0_EEPmJS6_EEE10hipError_tPvRmT3_T4_T5_T6_T7_T9_mT8_P12ihipStream_tbDpT10_ENKUlT_T0_E_clISt17integral_constantIbLb1EES1C_EEDaS17_S18_EUlS17_E_NS1_11comp_targetILNS1_3genE3ELNS1_11target_archE908ELNS1_3gpuE7ELNS1_3repE0EEENS1_30default_config_static_selectorELNS0_4arch9wavefront6targetE0EEEvT1_.has_dyn_sized_stack, 0
	.set _ZN7rocprim17ROCPRIM_400000_NS6detail17trampoline_kernelINS0_14default_configENS1_25partition_config_selectorILNS1_17partition_subalgoE8ElNS0_10empty_typeEbEEZZNS1_14partition_implILS5_8ELb0ES3_jPlPS6_PKS6_NS0_5tupleIJS9_S6_EEENSD_IJSA_SA_EEENS0_18inequality_wrapperIZN2at6native12_GLOBAL__N_124unique_dim_cuda_templateIfEESt5tupleIJNSH_6TensorESM_SM_EERKSM_lbbbEUlllE0_EEPmJS6_EEE10hipError_tPvRmT3_T4_T5_T6_T7_T9_mT8_P12ihipStream_tbDpT10_ENKUlT_T0_E_clISt17integral_constantIbLb1EES1C_EEDaS17_S18_EUlS17_E_NS1_11comp_targetILNS1_3genE3ELNS1_11target_archE908ELNS1_3gpuE7ELNS1_3repE0EEENS1_30default_config_static_selectorELNS0_4arch9wavefront6targetE0EEEvT1_.has_recursion, 0
	.set _ZN7rocprim17ROCPRIM_400000_NS6detail17trampoline_kernelINS0_14default_configENS1_25partition_config_selectorILNS1_17partition_subalgoE8ElNS0_10empty_typeEbEEZZNS1_14partition_implILS5_8ELb0ES3_jPlPS6_PKS6_NS0_5tupleIJS9_S6_EEENSD_IJSA_SA_EEENS0_18inequality_wrapperIZN2at6native12_GLOBAL__N_124unique_dim_cuda_templateIfEESt5tupleIJNSH_6TensorESM_SM_EERKSM_lbbbEUlllE0_EEPmJS6_EEE10hipError_tPvRmT3_T4_T5_T6_T7_T9_mT8_P12ihipStream_tbDpT10_ENKUlT_T0_E_clISt17integral_constantIbLb1EES1C_EEDaS17_S18_EUlS17_E_NS1_11comp_targetILNS1_3genE3ELNS1_11target_archE908ELNS1_3gpuE7ELNS1_3repE0EEENS1_30default_config_static_selectorELNS0_4arch9wavefront6targetE0EEEvT1_.has_indirect_call, 0
	.section	.AMDGPU.csdata,"",@progbits
; Kernel info:
; codeLenInByte = 0
; TotalNumSgprs: 0
; NumVgprs: 0
; ScratchSize: 0
; MemoryBound: 0
; FloatMode: 240
; IeeeMode: 1
; LDSByteSize: 0 bytes/workgroup (compile time only)
; SGPRBlocks: 0
; VGPRBlocks: 0
; NumSGPRsForWavesPerEU: 1
; NumVGPRsForWavesPerEU: 1
; NamedBarCnt: 0
; Occupancy: 16
; WaveLimiterHint : 0
; COMPUTE_PGM_RSRC2:SCRATCH_EN: 0
; COMPUTE_PGM_RSRC2:USER_SGPR: 2
; COMPUTE_PGM_RSRC2:TRAP_HANDLER: 0
; COMPUTE_PGM_RSRC2:TGID_X_EN: 1
; COMPUTE_PGM_RSRC2:TGID_Y_EN: 0
; COMPUTE_PGM_RSRC2:TGID_Z_EN: 0
; COMPUTE_PGM_RSRC2:TIDIG_COMP_CNT: 0
	.section	.text._ZN7rocprim17ROCPRIM_400000_NS6detail17trampoline_kernelINS0_14default_configENS1_25partition_config_selectorILNS1_17partition_subalgoE8ElNS0_10empty_typeEbEEZZNS1_14partition_implILS5_8ELb0ES3_jPlPS6_PKS6_NS0_5tupleIJS9_S6_EEENSD_IJSA_SA_EEENS0_18inequality_wrapperIZN2at6native12_GLOBAL__N_124unique_dim_cuda_templateIfEESt5tupleIJNSH_6TensorESM_SM_EERKSM_lbbbEUlllE0_EEPmJS6_EEE10hipError_tPvRmT3_T4_T5_T6_T7_T9_mT8_P12ihipStream_tbDpT10_ENKUlT_T0_E_clISt17integral_constantIbLb1EES1C_EEDaS17_S18_EUlS17_E_NS1_11comp_targetILNS1_3genE2ELNS1_11target_archE906ELNS1_3gpuE6ELNS1_3repE0EEENS1_30default_config_static_selectorELNS0_4arch9wavefront6targetE0EEEvT1_,"axG",@progbits,_ZN7rocprim17ROCPRIM_400000_NS6detail17trampoline_kernelINS0_14default_configENS1_25partition_config_selectorILNS1_17partition_subalgoE8ElNS0_10empty_typeEbEEZZNS1_14partition_implILS5_8ELb0ES3_jPlPS6_PKS6_NS0_5tupleIJS9_S6_EEENSD_IJSA_SA_EEENS0_18inequality_wrapperIZN2at6native12_GLOBAL__N_124unique_dim_cuda_templateIfEESt5tupleIJNSH_6TensorESM_SM_EERKSM_lbbbEUlllE0_EEPmJS6_EEE10hipError_tPvRmT3_T4_T5_T6_T7_T9_mT8_P12ihipStream_tbDpT10_ENKUlT_T0_E_clISt17integral_constantIbLb1EES1C_EEDaS17_S18_EUlS17_E_NS1_11comp_targetILNS1_3genE2ELNS1_11target_archE906ELNS1_3gpuE6ELNS1_3repE0EEENS1_30default_config_static_selectorELNS0_4arch9wavefront6targetE0EEEvT1_,comdat
	.globl	_ZN7rocprim17ROCPRIM_400000_NS6detail17trampoline_kernelINS0_14default_configENS1_25partition_config_selectorILNS1_17partition_subalgoE8ElNS0_10empty_typeEbEEZZNS1_14partition_implILS5_8ELb0ES3_jPlPS6_PKS6_NS0_5tupleIJS9_S6_EEENSD_IJSA_SA_EEENS0_18inequality_wrapperIZN2at6native12_GLOBAL__N_124unique_dim_cuda_templateIfEESt5tupleIJNSH_6TensorESM_SM_EERKSM_lbbbEUlllE0_EEPmJS6_EEE10hipError_tPvRmT3_T4_T5_T6_T7_T9_mT8_P12ihipStream_tbDpT10_ENKUlT_T0_E_clISt17integral_constantIbLb1EES1C_EEDaS17_S18_EUlS17_E_NS1_11comp_targetILNS1_3genE2ELNS1_11target_archE906ELNS1_3gpuE6ELNS1_3repE0EEENS1_30default_config_static_selectorELNS0_4arch9wavefront6targetE0EEEvT1_ ; -- Begin function _ZN7rocprim17ROCPRIM_400000_NS6detail17trampoline_kernelINS0_14default_configENS1_25partition_config_selectorILNS1_17partition_subalgoE8ElNS0_10empty_typeEbEEZZNS1_14partition_implILS5_8ELb0ES3_jPlPS6_PKS6_NS0_5tupleIJS9_S6_EEENSD_IJSA_SA_EEENS0_18inequality_wrapperIZN2at6native12_GLOBAL__N_124unique_dim_cuda_templateIfEESt5tupleIJNSH_6TensorESM_SM_EERKSM_lbbbEUlllE0_EEPmJS6_EEE10hipError_tPvRmT3_T4_T5_T6_T7_T9_mT8_P12ihipStream_tbDpT10_ENKUlT_T0_E_clISt17integral_constantIbLb1EES1C_EEDaS17_S18_EUlS17_E_NS1_11comp_targetILNS1_3genE2ELNS1_11target_archE906ELNS1_3gpuE6ELNS1_3repE0EEENS1_30default_config_static_selectorELNS0_4arch9wavefront6targetE0EEEvT1_
	.p2align	8
	.type	_ZN7rocprim17ROCPRIM_400000_NS6detail17trampoline_kernelINS0_14default_configENS1_25partition_config_selectorILNS1_17partition_subalgoE8ElNS0_10empty_typeEbEEZZNS1_14partition_implILS5_8ELb0ES3_jPlPS6_PKS6_NS0_5tupleIJS9_S6_EEENSD_IJSA_SA_EEENS0_18inequality_wrapperIZN2at6native12_GLOBAL__N_124unique_dim_cuda_templateIfEESt5tupleIJNSH_6TensorESM_SM_EERKSM_lbbbEUlllE0_EEPmJS6_EEE10hipError_tPvRmT3_T4_T5_T6_T7_T9_mT8_P12ihipStream_tbDpT10_ENKUlT_T0_E_clISt17integral_constantIbLb1EES1C_EEDaS17_S18_EUlS17_E_NS1_11comp_targetILNS1_3genE2ELNS1_11target_archE906ELNS1_3gpuE6ELNS1_3repE0EEENS1_30default_config_static_selectorELNS0_4arch9wavefront6targetE0EEEvT1_,@function
_ZN7rocprim17ROCPRIM_400000_NS6detail17trampoline_kernelINS0_14default_configENS1_25partition_config_selectorILNS1_17partition_subalgoE8ElNS0_10empty_typeEbEEZZNS1_14partition_implILS5_8ELb0ES3_jPlPS6_PKS6_NS0_5tupleIJS9_S6_EEENSD_IJSA_SA_EEENS0_18inequality_wrapperIZN2at6native12_GLOBAL__N_124unique_dim_cuda_templateIfEESt5tupleIJNSH_6TensorESM_SM_EERKSM_lbbbEUlllE0_EEPmJS6_EEE10hipError_tPvRmT3_T4_T5_T6_T7_T9_mT8_P12ihipStream_tbDpT10_ENKUlT_T0_E_clISt17integral_constantIbLb1EES1C_EEDaS17_S18_EUlS17_E_NS1_11comp_targetILNS1_3genE2ELNS1_11target_archE906ELNS1_3gpuE6ELNS1_3repE0EEENS1_30default_config_static_selectorELNS0_4arch9wavefront6targetE0EEEvT1_: ; @_ZN7rocprim17ROCPRIM_400000_NS6detail17trampoline_kernelINS0_14default_configENS1_25partition_config_selectorILNS1_17partition_subalgoE8ElNS0_10empty_typeEbEEZZNS1_14partition_implILS5_8ELb0ES3_jPlPS6_PKS6_NS0_5tupleIJS9_S6_EEENSD_IJSA_SA_EEENS0_18inequality_wrapperIZN2at6native12_GLOBAL__N_124unique_dim_cuda_templateIfEESt5tupleIJNSH_6TensorESM_SM_EERKSM_lbbbEUlllE0_EEPmJS6_EEE10hipError_tPvRmT3_T4_T5_T6_T7_T9_mT8_P12ihipStream_tbDpT10_ENKUlT_T0_E_clISt17integral_constantIbLb1EES1C_EEDaS17_S18_EUlS17_E_NS1_11comp_targetILNS1_3genE2ELNS1_11target_archE906ELNS1_3gpuE6ELNS1_3repE0EEENS1_30default_config_static_selectorELNS0_4arch9wavefront6targetE0EEEvT1_
; %bb.0:
	.section	.rodata,"a",@progbits
	.p2align	6, 0x0
	.amdhsa_kernel _ZN7rocprim17ROCPRIM_400000_NS6detail17trampoline_kernelINS0_14default_configENS1_25partition_config_selectorILNS1_17partition_subalgoE8ElNS0_10empty_typeEbEEZZNS1_14partition_implILS5_8ELb0ES3_jPlPS6_PKS6_NS0_5tupleIJS9_S6_EEENSD_IJSA_SA_EEENS0_18inequality_wrapperIZN2at6native12_GLOBAL__N_124unique_dim_cuda_templateIfEESt5tupleIJNSH_6TensorESM_SM_EERKSM_lbbbEUlllE0_EEPmJS6_EEE10hipError_tPvRmT3_T4_T5_T6_T7_T9_mT8_P12ihipStream_tbDpT10_ENKUlT_T0_E_clISt17integral_constantIbLb1EES1C_EEDaS17_S18_EUlS17_E_NS1_11comp_targetILNS1_3genE2ELNS1_11target_archE906ELNS1_3gpuE6ELNS1_3repE0EEENS1_30default_config_static_selectorELNS0_4arch9wavefront6targetE0EEEvT1_
		.amdhsa_group_segment_fixed_size 0
		.amdhsa_private_segment_fixed_size 0
		.amdhsa_kernarg_size 136
		.amdhsa_user_sgpr_count 2
		.amdhsa_user_sgpr_dispatch_ptr 0
		.amdhsa_user_sgpr_queue_ptr 0
		.amdhsa_user_sgpr_kernarg_segment_ptr 1
		.amdhsa_user_sgpr_dispatch_id 0
		.amdhsa_user_sgpr_kernarg_preload_length 0
		.amdhsa_user_sgpr_kernarg_preload_offset 0
		.amdhsa_user_sgpr_private_segment_size 0
		.amdhsa_wavefront_size32 1
		.amdhsa_uses_dynamic_stack 0
		.amdhsa_enable_private_segment 0
		.amdhsa_system_sgpr_workgroup_id_x 1
		.amdhsa_system_sgpr_workgroup_id_y 0
		.amdhsa_system_sgpr_workgroup_id_z 0
		.amdhsa_system_sgpr_workgroup_info 0
		.amdhsa_system_vgpr_workitem_id 0
		.amdhsa_next_free_vgpr 1
		.amdhsa_next_free_sgpr 1
		.amdhsa_named_barrier_count 0
		.amdhsa_reserve_vcc 0
		.amdhsa_float_round_mode_32 0
		.amdhsa_float_round_mode_16_64 0
		.amdhsa_float_denorm_mode_32 3
		.amdhsa_float_denorm_mode_16_64 3
		.amdhsa_fp16_overflow 0
		.amdhsa_memory_ordered 1
		.amdhsa_forward_progress 1
		.amdhsa_inst_pref_size 0
		.amdhsa_round_robin_scheduling 0
		.amdhsa_exception_fp_ieee_invalid_op 0
		.amdhsa_exception_fp_denorm_src 0
		.amdhsa_exception_fp_ieee_div_zero 0
		.amdhsa_exception_fp_ieee_overflow 0
		.amdhsa_exception_fp_ieee_underflow 0
		.amdhsa_exception_fp_ieee_inexact 0
		.amdhsa_exception_int_div_zero 0
	.end_amdhsa_kernel
	.section	.text._ZN7rocprim17ROCPRIM_400000_NS6detail17trampoline_kernelINS0_14default_configENS1_25partition_config_selectorILNS1_17partition_subalgoE8ElNS0_10empty_typeEbEEZZNS1_14partition_implILS5_8ELb0ES3_jPlPS6_PKS6_NS0_5tupleIJS9_S6_EEENSD_IJSA_SA_EEENS0_18inequality_wrapperIZN2at6native12_GLOBAL__N_124unique_dim_cuda_templateIfEESt5tupleIJNSH_6TensorESM_SM_EERKSM_lbbbEUlllE0_EEPmJS6_EEE10hipError_tPvRmT3_T4_T5_T6_T7_T9_mT8_P12ihipStream_tbDpT10_ENKUlT_T0_E_clISt17integral_constantIbLb1EES1C_EEDaS17_S18_EUlS17_E_NS1_11comp_targetILNS1_3genE2ELNS1_11target_archE906ELNS1_3gpuE6ELNS1_3repE0EEENS1_30default_config_static_selectorELNS0_4arch9wavefront6targetE0EEEvT1_,"axG",@progbits,_ZN7rocprim17ROCPRIM_400000_NS6detail17trampoline_kernelINS0_14default_configENS1_25partition_config_selectorILNS1_17partition_subalgoE8ElNS0_10empty_typeEbEEZZNS1_14partition_implILS5_8ELb0ES3_jPlPS6_PKS6_NS0_5tupleIJS9_S6_EEENSD_IJSA_SA_EEENS0_18inequality_wrapperIZN2at6native12_GLOBAL__N_124unique_dim_cuda_templateIfEESt5tupleIJNSH_6TensorESM_SM_EERKSM_lbbbEUlllE0_EEPmJS6_EEE10hipError_tPvRmT3_T4_T5_T6_T7_T9_mT8_P12ihipStream_tbDpT10_ENKUlT_T0_E_clISt17integral_constantIbLb1EES1C_EEDaS17_S18_EUlS17_E_NS1_11comp_targetILNS1_3genE2ELNS1_11target_archE906ELNS1_3gpuE6ELNS1_3repE0EEENS1_30default_config_static_selectorELNS0_4arch9wavefront6targetE0EEEvT1_,comdat
.Lfunc_end941:
	.size	_ZN7rocprim17ROCPRIM_400000_NS6detail17trampoline_kernelINS0_14default_configENS1_25partition_config_selectorILNS1_17partition_subalgoE8ElNS0_10empty_typeEbEEZZNS1_14partition_implILS5_8ELb0ES3_jPlPS6_PKS6_NS0_5tupleIJS9_S6_EEENSD_IJSA_SA_EEENS0_18inequality_wrapperIZN2at6native12_GLOBAL__N_124unique_dim_cuda_templateIfEESt5tupleIJNSH_6TensorESM_SM_EERKSM_lbbbEUlllE0_EEPmJS6_EEE10hipError_tPvRmT3_T4_T5_T6_T7_T9_mT8_P12ihipStream_tbDpT10_ENKUlT_T0_E_clISt17integral_constantIbLb1EES1C_EEDaS17_S18_EUlS17_E_NS1_11comp_targetILNS1_3genE2ELNS1_11target_archE906ELNS1_3gpuE6ELNS1_3repE0EEENS1_30default_config_static_selectorELNS0_4arch9wavefront6targetE0EEEvT1_, .Lfunc_end941-_ZN7rocprim17ROCPRIM_400000_NS6detail17trampoline_kernelINS0_14default_configENS1_25partition_config_selectorILNS1_17partition_subalgoE8ElNS0_10empty_typeEbEEZZNS1_14partition_implILS5_8ELb0ES3_jPlPS6_PKS6_NS0_5tupleIJS9_S6_EEENSD_IJSA_SA_EEENS0_18inequality_wrapperIZN2at6native12_GLOBAL__N_124unique_dim_cuda_templateIfEESt5tupleIJNSH_6TensorESM_SM_EERKSM_lbbbEUlllE0_EEPmJS6_EEE10hipError_tPvRmT3_T4_T5_T6_T7_T9_mT8_P12ihipStream_tbDpT10_ENKUlT_T0_E_clISt17integral_constantIbLb1EES1C_EEDaS17_S18_EUlS17_E_NS1_11comp_targetILNS1_3genE2ELNS1_11target_archE906ELNS1_3gpuE6ELNS1_3repE0EEENS1_30default_config_static_selectorELNS0_4arch9wavefront6targetE0EEEvT1_
                                        ; -- End function
	.set _ZN7rocprim17ROCPRIM_400000_NS6detail17trampoline_kernelINS0_14default_configENS1_25partition_config_selectorILNS1_17partition_subalgoE8ElNS0_10empty_typeEbEEZZNS1_14partition_implILS5_8ELb0ES3_jPlPS6_PKS6_NS0_5tupleIJS9_S6_EEENSD_IJSA_SA_EEENS0_18inequality_wrapperIZN2at6native12_GLOBAL__N_124unique_dim_cuda_templateIfEESt5tupleIJNSH_6TensorESM_SM_EERKSM_lbbbEUlllE0_EEPmJS6_EEE10hipError_tPvRmT3_T4_T5_T6_T7_T9_mT8_P12ihipStream_tbDpT10_ENKUlT_T0_E_clISt17integral_constantIbLb1EES1C_EEDaS17_S18_EUlS17_E_NS1_11comp_targetILNS1_3genE2ELNS1_11target_archE906ELNS1_3gpuE6ELNS1_3repE0EEENS1_30default_config_static_selectorELNS0_4arch9wavefront6targetE0EEEvT1_.num_vgpr, 0
	.set _ZN7rocprim17ROCPRIM_400000_NS6detail17trampoline_kernelINS0_14default_configENS1_25partition_config_selectorILNS1_17partition_subalgoE8ElNS0_10empty_typeEbEEZZNS1_14partition_implILS5_8ELb0ES3_jPlPS6_PKS6_NS0_5tupleIJS9_S6_EEENSD_IJSA_SA_EEENS0_18inequality_wrapperIZN2at6native12_GLOBAL__N_124unique_dim_cuda_templateIfEESt5tupleIJNSH_6TensorESM_SM_EERKSM_lbbbEUlllE0_EEPmJS6_EEE10hipError_tPvRmT3_T4_T5_T6_T7_T9_mT8_P12ihipStream_tbDpT10_ENKUlT_T0_E_clISt17integral_constantIbLb1EES1C_EEDaS17_S18_EUlS17_E_NS1_11comp_targetILNS1_3genE2ELNS1_11target_archE906ELNS1_3gpuE6ELNS1_3repE0EEENS1_30default_config_static_selectorELNS0_4arch9wavefront6targetE0EEEvT1_.num_agpr, 0
	.set _ZN7rocprim17ROCPRIM_400000_NS6detail17trampoline_kernelINS0_14default_configENS1_25partition_config_selectorILNS1_17partition_subalgoE8ElNS0_10empty_typeEbEEZZNS1_14partition_implILS5_8ELb0ES3_jPlPS6_PKS6_NS0_5tupleIJS9_S6_EEENSD_IJSA_SA_EEENS0_18inequality_wrapperIZN2at6native12_GLOBAL__N_124unique_dim_cuda_templateIfEESt5tupleIJNSH_6TensorESM_SM_EERKSM_lbbbEUlllE0_EEPmJS6_EEE10hipError_tPvRmT3_T4_T5_T6_T7_T9_mT8_P12ihipStream_tbDpT10_ENKUlT_T0_E_clISt17integral_constantIbLb1EES1C_EEDaS17_S18_EUlS17_E_NS1_11comp_targetILNS1_3genE2ELNS1_11target_archE906ELNS1_3gpuE6ELNS1_3repE0EEENS1_30default_config_static_selectorELNS0_4arch9wavefront6targetE0EEEvT1_.numbered_sgpr, 0
	.set _ZN7rocprim17ROCPRIM_400000_NS6detail17trampoline_kernelINS0_14default_configENS1_25partition_config_selectorILNS1_17partition_subalgoE8ElNS0_10empty_typeEbEEZZNS1_14partition_implILS5_8ELb0ES3_jPlPS6_PKS6_NS0_5tupleIJS9_S6_EEENSD_IJSA_SA_EEENS0_18inequality_wrapperIZN2at6native12_GLOBAL__N_124unique_dim_cuda_templateIfEESt5tupleIJNSH_6TensorESM_SM_EERKSM_lbbbEUlllE0_EEPmJS6_EEE10hipError_tPvRmT3_T4_T5_T6_T7_T9_mT8_P12ihipStream_tbDpT10_ENKUlT_T0_E_clISt17integral_constantIbLb1EES1C_EEDaS17_S18_EUlS17_E_NS1_11comp_targetILNS1_3genE2ELNS1_11target_archE906ELNS1_3gpuE6ELNS1_3repE0EEENS1_30default_config_static_selectorELNS0_4arch9wavefront6targetE0EEEvT1_.num_named_barrier, 0
	.set _ZN7rocprim17ROCPRIM_400000_NS6detail17trampoline_kernelINS0_14default_configENS1_25partition_config_selectorILNS1_17partition_subalgoE8ElNS0_10empty_typeEbEEZZNS1_14partition_implILS5_8ELb0ES3_jPlPS6_PKS6_NS0_5tupleIJS9_S6_EEENSD_IJSA_SA_EEENS0_18inequality_wrapperIZN2at6native12_GLOBAL__N_124unique_dim_cuda_templateIfEESt5tupleIJNSH_6TensorESM_SM_EERKSM_lbbbEUlllE0_EEPmJS6_EEE10hipError_tPvRmT3_T4_T5_T6_T7_T9_mT8_P12ihipStream_tbDpT10_ENKUlT_T0_E_clISt17integral_constantIbLb1EES1C_EEDaS17_S18_EUlS17_E_NS1_11comp_targetILNS1_3genE2ELNS1_11target_archE906ELNS1_3gpuE6ELNS1_3repE0EEENS1_30default_config_static_selectorELNS0_4arch9wavefront6targetE0EEEvT1_.private_seg_size, 0
	.set _ZN7rocprim17ROCPRIM_400000_NS6detail17trampoline_kernelINS0_14default_configENS1_25partition_config_selectorILNS1_17partition_subalgoE8ElNS0_10empty_typeEbEEZZNS1_14partition_implILS5_8ELb0ES3_jPlPS6_PKS6_NS0_5tupleIJS9_S6_EEENSD_IJSA_SA_EEENS0_18inequality_wrapperIZN2at6native12_GLOBAL__N_124unique_dim_cuda_templateIfEESt5tupleIJNSH_6TensorESM_SM_EERKSM_lbbbEUlllE0_EEPmJS6_EEE10hipError_tPvRmT3_T4_T5_T6_T7_T9_mT8_P12ihipStream_tbDpT10_ENKUlT_T0_E_clISt17integral_constantIbLb1EES1C_EEDaS17_S18_EUlS17_E_NS1_11comp_targetILNS1_3genE2ELNS1_11target_archE906ELNS1_3gpuE6ELNS1_3repE0EEENS1_30default_config_static_selectorELNS0_4arch9wavefront6targetE0EEEvT1_.uses_vcc, 0
	.set _ZN7rocprim17ROCPRIM_400000_NS6detail17trampoline_kernelINS0_14default_configENS1_25partition_config_selectorILNS1_17partition_subalgoE8ElNS0_10empty_typeEbEEZZNS1_14partition_implILS5_8ELb0ES3_jPlPS6_PKS6_NS0_5tupleIJS9_S6_EEENSD_IJSA_SA_EEENS0_18inequality_wrapperIZN2at6native12_GLOBAL__N_124unique_dim_cuda_templateIfEESt5tupleIJNSH_6TensorESM_SM_EERKSM_lbbbEUlllE0_EEPmJS6_EEE10hipError_tPvRmT3_T4_T5_T6_T7_T9_mT8_P12ihipStream_tbDpT10_ENKUlT_T0_E_clISt17integral_constantIbLb1EES1C_EEDaS17_S18_EUlS17_E_NS1_11comp_targetILNS1_3genE2ELNS1_11target_archE906ELNS1_3gpuE6ELNS1_3repE0EEENS1_30default_config_static_selectorELNS0_4arch9wavefront6targetE0EEEvT1_.uses_flat_scratch, 0
	.set _ZN7rocprim17ROCPRIM_400000_NS6detail17trampoline_kernelINS0_14default_configENS1_25partition_config_selectorILNS1_17partition_subalgoE8ElNS0_10empty_typeEbEEZZNS1_14partition_implILS5_8ELb0ES3_jPlPS6_PKS6_NS0_5tupleIJS9_S6_EEENSD_IJSA_SA_EEENS0_18inequality_wrapperIZN2at6native12_GLOBAL__N_124unique_dim_cuda_templateIfEESt5tupleIJNSH_6TensorESM_SM_EERKSM_lbbbEUlllE0_EEPmJS6_EEE10hipError_tPvRmT3_T4_T5_T6_T7_T9_mT8_P12ihipStream_tbDpT10_ENKUlT_T0_E_clISt17integral_constantIbLb1EES1C_EEDaS17_S18_EUlS17_E_NS1_11comp_targetILNS1_3genE2ELNS1_11target_archE906ELNS1_3gpuE6ELNS1_3repE0EEENS1_30default_config_static_selectorELNS0_4arch9wavefront6targetE0EEEvT1_.has_dyn_sized_stack, 0
	.set _ZN7rocprim17ROCPRIM_400000_NS6detail17trampoline_kernelINS0_14default_configENS1_25partition_config_selectorILNS1_17partition_subalgoE8ElNS0_10empty_typeEbEEZZNS1_14partition_implILS5_8ELb0ES3_jPlPS6_PKS6_NS0_5tupleIJS9_S6_EEENSD_IJSA_SA_EEENS0_18inequality_wrapperIZN2at6native12_GLOBAL__N_124unique_dim_cuda_templateIfEESt5tupleIJNSH_6TensorESM_SM_EERKSM_lbbbEUlllE0_EEPmJS6_EEE10hipError_tPvRmT3_T4_T5_T6_T7_T9_mT8_P12ihipStream_tbDpT10_ENKUlT_T0_E_clISt17integral_constantIbLb1EES1C_EEDaS17_S18_EUlS17_E_NS1_11comp_targetILNS1_3genE2ELNS1_11target_archE906ELNS1_3gpuE6ELNS1_3repE0EEENS1_30default_config_static_selectorELNS0_4arch9wavefront6targetE0EEEvT1_.has_recursion, 0
	.set _ZN7rocprim17ROCPRIM_400000_NS6detail17trampoline_kernelINS0_14default_configENS1_25partition_config_selectorILNS1_17partition_subalgoE8ElNS0_10empty_typeEbEEZZNS1_14partition_implILS5_8ELb0ES3_jPlPS6_PKS6_NS0_5tupleIJS9_S6_EEENSD_IJSA_SA_EEENS0_18inequality_wrapperIZN2at6native12_GLOBAL__N_124unique_dim_cuda_templateIfEESt5tupleIJNSH_6TensorESM_SM_EERKSM_lbbbEUlllE0_EEPmJS6_EEE10hipError_tPvRmT3_T4_T5_T6_T7_T9_mT8_P12ihipStream_tbDpT10_ENKUlT_T0_E_clISt17integral_constantIbLb1EES1C_EEDaS17_S18_EUlS17_E_NS1_11comp_targetILNS1_3genE2ELNS1_11target_archE906ELNS1_3gpuE6ELNS1_3repE0EEENS1_30default_config_static_selectorELNS0_4arch9wavefront6targetE0EEEvT1_.has_indirect_call, 0
	.section	.AMDGPU.csdata,"",@progbits
; Kernel info:
; codeLenInByte = 0
; TotalNumSgprs: 0
; NumVgprs: 0
; ScratchSize: 0
; MemoryBound: 0
; FloatMode: 240
; IeeeMode: 1
; LDSByteSize: 0 bytes/workgroup (compile time only)
; SGPRBlocks: 0
; VGPRBlocks: 0
; NumSGPRsForWavesPerEU: 1
; NumVGPRsForWavesPerEU: 1
; NamedBarCnt: 0
; Occupancy: 16
; WaveLimiterHint : 0
; COMPUTE_PGM_RSRC2:SCRATCH_EN: 0
; COMPUTE_PGM_RSRC2:USER_SGPR: 2
; COMPUTE_PGM_RSRC2:TRAP_HANDLER: 0
; COMPUTE_PGM_RSRC2:TGID_X_EN: 1
; COMPUTE_PGM_RSRC2:TGID_Y_EN: 0
; COMPUTE_PGM_RSRC2:TGID_Z_EN: 0
; COMPUTE_PGM_RSRC2:TIDIG_COMP_CNT: 0
	.section	.text._ZN7rocprim17ROCPRIM_400000_NS6detail17trampoline_kernelINS0_14default_configENS1_25partition_config_selectorILNS1_17partition_subalgoE8ElNS0_10empty_typeEbEEZZNS1_14partition_implILS5_8ELb0ES3_jPlPS6_PKS6_NS0_5tupleIJS9_S6_EEENSD_IJSA_SA_EEENS0_18inequality_wrapperIZN2at6native12_GLOBAL__N_124unique_dim_cuda_templateIfEESt5tupleIJNSH_6TensorESM_SM_EERKSM_lbbbEUlllE0_EEPmJS6_EEE10hipError_tPvRmT3_T4_T5_T6_T7_T9_mT8_P12ihipStream_tbDpT10_ENKUlT_T0_E_clISt17integral_constantIbLb1EES1C_EEDaS17_S18_EUlS17_E_NS1_11comp_targetILNS1_3genE10ELNS1_11target_archE1200ELNS1_3gpuE4ELNS1_3repE0EEENS1_30default_config_static_selectorELNS0_4arch9wavefront6targetE0EEEvT1_,"axG",@progbits,_ZN7rocprim17ROCPRIM_400000_NS6detail17trampoline_kernelINS0_14default_configENS1_25partition_config_selectorILNS1_17partition_subalgoE8ElNS0_10empty_typeEbEEZZNS1_14partition_implILS5_8ELb0ES3_jPlPS6_PKS6_NS0_5tupleIJS9_S6_EEENSD_IJSA_SA_EEENS0_18inequality_wrapperIZN2at6native12_GLOBAL__N_124unique_dim_cuda_templateIfEESt5tupleIJNSH_6TensorESM_SM_EERKSM_lbbbEUlllE0_EEPmJS6_EEE10hipError_tPvRmT3_T4_T5_T6_T7_T9_mT8_P12ihipStream_tbDpT10_ENKUlT_T0_E_clISt17integral_constantIbLb1EES1C_EEDaS17_S18_EUlS17_E_NS1_11comp_targetILNS1_3genE10ELNS1_11target_archE1200ELNS1_3gpuE4ELNS1_3repE0EEENS1_30default_config_static_selectorELNS0_4arch9wavefront6targetE0EEEvT1_,comdat
	.globl	_ZN7rocprim17ROCPRIM_400000_NS6detail17trampoline_kernelINS0_14default_configENS1_25partition_config_selectorILNS1_17partition_subalgoE8ElNS0_10empty_typeEbEEZZNS1_14partition_implILS5_8ELb0ES3_jPlPS6_PKS6_NS0_5tupleIJS9_S6_EEENSD_IJSA_SA_EEENS0_18inequality_wrapperIZN2at6native12_GLOBAL__N_124unique_dim_cuda_templateIfEESt5tupleIJNSH_6TensorESM_SM_EERKSM_lbbbEUlllE0_EEPmJS6_EEE10hipError_tPvRmT3_T4_T5_T6_T7_T9_mT8_P12ihipStream_tbDpT10_ENKUlT_T0_E_clISt17integral_constantIbLb1EES1C_EEDaS17_S18_EUlS17_E_NS1_11comp_targetILNS1_3genE10ELNS1_11target_archE1200ELNS1_3gpuE4ELNS1_3repE0EEENS1_30default_config_static_selectorELNS0_4arch9wavefront6targetE0EEEvT1_ ; -- Begin function _ZN7rocprim17ROCPRIM_400000_NS6detail17trampoline_kernelINS0_14default_configENS1_25partition_config_selectorILNS1_17partition_subalgoE8ElNS0_10empty_typeEbEEZZNS1_14partition_implILS5_8ELb0ES3_jPlPS6_PKS6_NS0_5tupleIJS9_S6_EEENSD_IJSA_SA_EEENS0_18inequality_wrapperIZN2at6native12_GLOBAL__N_124unique_dim_cuda_templateIfEESt5tupleIJNSH_6TensorESM_SM_EERKSM_lbbbEUlllE0_EEPmJS6_EEE10hipError_tPvRmT3_T4_T5_T6_T7_T9_mT8_P12ihipStream_tbDpT10_ENKUlT_T0_E_clISt17integral_constantIbLb1EES1C_EEDaS17_S18_EUlS17_E_NS1_11comp_targetILNS1_3genE10ELNS1_11target_archE1200ELNS1_3gpuE4ELNS1_3repE0EEENS1_30default_config_static_selectorELNS0_4arch9wavefront6targetE0EEEvT1_
	.p2align	8
	.type	_ZN7rocprim17ROCPRIM_400000_NS6detail17trampoline_kernelINS0_14default_configENS1_25partition_config_selectorILNS1_17partition_subalgoE8ElNS0_10empty_typeEbEEZZNS1_14partition_implILS5_8ELb0ES3_jPlPS6_PKS6_NS0_5tupleIJS9_S6_EEENSD_IJSA_SA_EEENS0_18inequality_wrapperIZN2at6native12_GLOBAL__N_124unique_dim_cuda_templateIfEESt5tupleIJNSH_6TensorESM_SM_EERKSM_lbbbEUlllE0_EEPmJS6_EEE10hipError_tPvRmT3_T4_T5_T6_T7_T9_mT8_P12ihipStream_tbDpT10_ENKUlT_T0_E_clISt17integral_constantIbLb1EES1C_EEDaS17_S18_EUlS17_E_NS1_11comp_targetILNS1_3genE10ELNS1_11target_archE1200ELNS1_3gpuE4ELNS1_3repE0EEENS1_30default_config_static_selectorELNS0_4arch9wavefront6targetE0EEEvT1_,@function
_ZN7rocprim17ROCPRIM_400000_NS6detail17trampoline_kernelINS0_14default_configENS1_25partition_config_selectorILNS1_17partition_subalgoE8ElNS0_10empty_typeEbEEZZNS1_14partition_implILS5_8ELb0ES3_jPlPS6_PKS6_NS0_5tupleIJS9_S6_EEENSD_IJSA_SA_EEENS0_18inequality_wrapperIZN2at6native12_GLOBAL__N_124unique_dim_cuda_templateIfEESt5tupleIJNSH_6TensorESM_SM_EERKSM_lbbbEUlllE0_EEPmJS6_EEE10hipError_tPvRmT3_T4_T5_T6_T7_T9_mT8_P12ihipStream_tbDpT10_ENKUlT_T0_E_clISt17integral_constantIbLb1EES1C_EEDaS17_S18_EUlS17_E_NS1_11comp_targetILNS1_3genE10ELNS1_11target_archE1200ELNS1_3gpuE4ELNS1_3repE0EEENS1_30default_config_static_selectorELNS0_4arch9wavefront6targetE0EEEvT1_: ; @_ZN7rocprim17ROCPRIM_400000_NS6detail17trampoline_kernelINS0_14default_configENS1_25partition_config_selectorILNS1_17partition_subalgoE8ElNS0_10empty_typeEbEEZZNS1_14partition_implILS5_8ELb0ES3_jPlPS6_PKS6_NS0_5tupleIJS9_S6_EEENSD_IJSA_SA_EEENS0_18inequality_wrapperIZN2at6native12_GLOBAL__N_124unique_dim_cuda_templateIfEESt5tupleIJNSH_6TensorESM_SM_EERKSM_lbbbEUlllE0_EEPmJS6_EEE10hipError_tPvRmT3_T4_T5_T6_T7_T9_mT8_P12ihipStream_tbDpT10_ENKUlT_T0_E_clISt17integral_constantIbLb1EES1C_EEDaS17_S18_EUlS17_E_NS1_11comp_targetILNS1_3genE10ELNS1_11target_archE1200ELNS1_3gpuE4ELNS1_3repE0EEENS1_30default_config_static_selectorELNS0_4arch9wavefront6targetE0EEEvT1_
; %bb.0:
	.section	.rodata,"a",@progbits
	.p2align	6, 0x0
	.amdhsa_kernel _ZN7rocprim17ROCPRIM_400000_NS6detail17trampoline_kernelINS0_14default_configENS1_25partition_config_selectorILNS1_17partition_subalgoE8ElNS0_10empty_typeEbEEZZNS1_14partition_implILS5_8ELb0ES3_jPlPS6_PKS6_NS0_5tupleIJS9_S6_EEENSD_IJSA_SA_EEENS0_18inequality_wrapperIZN2at6native12_GLOBAL__N_124unique_dim_cuda_templateIfEESt5tupleIJNSH_6TensorESM_SM_EERKSM_lbbbEUlllE0_EEPmJS6_EEE10hipError_tPvRmT3_T4_T5_T6_T7_T9_mT8_P12ihipStream_tbDpT10_ENKUlT_T0_E_clISt17integral_constantIbLb1EES1C_EEDaS17_S18_EUlS17_E_NS1_11comp_targetILNS1_3genE10ELNS1_11target_archE1200ELNS1_3gpuE4ELNS1_3repE0EEENS1_30default_config_static_selectorELNS0_4arch9wavefront6targetE0EEEvT1_
		.amdhsa_group_segment_fixed_size 0
		.amdhsa_private_segment_fixed_size 0
		.amdhsa_kernarg_size 136
		.amdhsa_user_sgpr_count 2
		.amdhsa_user_sgpr_dispatch_ptr 0
		.amdhsa_user_sgpr_queue_ptr 0
		.amdhsa_user_sgpr_kernarg_segment_ptr 1
		.amdhsa_user_sgpr_dispatch_id 0
		.amdhsa_user_sgpr_kernarg_preload_length 0
		.amdhsa_user_sgpr_kernarg_preload_offset 0
		.amdhsa_user_sgpr_private_segment_size 0
		.amdhsa_wavefront_size32 1
		.amdhsa_uses_dynamic_stack 0
		.amdhsa_enable_private_segment 0
		.amdhsa_system_sgpr_workgroup_id_x 1
		.amdhsa_system_sgpr_workgroup_id_y 0
		.amdhsa_system_sgpr_workgroup_id_z 0
		.amdhsa_system_sgpr_workgroup_info 0
		.amdhsa_system_vgpr_workitem_id 0
		.amdhsa_next_free_vgpr 1
		.amdhsa_next_free_sgpr 1
		.amdhsa_named_barrier_count 0
		.amdhsa_reserve_vcc 0
		.amdhsa_float_round_mode_32 0
		.amdhsa_float_round_mode_16_64 0
		.amdhsa_float_denorm_mode_32 3
		.amdhsa_float_denorm_mode_16_64 3
		.amdhsa_fp16_overflow 0
		.amdhsa_memory_ordered 1
		.amdhsa_forward_progress 1
		.amdhsa_inst_pref_size 0
		.amdhsa_round_robin_scheduling 0
		.amdhsa_exception_fp_ieee_invalid_op 0
		.amdhsa_exception_fp_denorm_src 0
		.amdhsa_exception_fp_ieee_div_zero 0
		.amdhsa_exception_fp_ieee_overflow 0
		.amdhsa_exception_fp_ieee_underflow 0
		.amdhsa_exception_fp_ieee_inexact 0
		.amdhsa_exception_int_div_zero 0
	.end_amdhsa_kernel
	.section	.text._ZN7rocprim17ROCPRIM_400000_NS6detail17trampoline_kernelINS0_14default_configENS1_25partition_config_selectorILNS1_17partition_subalgoE8ElNS0_10empty_typeEbEEZZNS1_14partition_implILS5_8ELb0ES3_jPlPS6_PKS6_NS0_5tupleIJS9_S6_EEENSD_IJSA_SA_EEENS0_18inequality_wrapperIZN2at6native12_GLOBAL__N_124unique_dim_cuda_templateIfEESt5tupleIJNSH_6TensorESM_SM_EERKSM_lbbbEUlllE0_EEPmJS6_EEE10hipError_tPvRmT3_T4_T5_T6_T7_T9_mT8_P12ihipStream_tbDpT10_ENKUlT_T0_E_clISt17integral_constantIbLb1EES1C_EEDaS17_S18_EUlS17_E_NS1_11comp_targetILNS1_3genE10ELNS1_11target_archE1200ELNS1_3gpuE4ELNS1_3repE0EEENS1_30default_config_static_selectorELNS0_4arch9wavefront6targetE0EEEvT1_,"axG",@progbits,_ZN7rocprim17ROCPRIM_400000_NS6detail17trampoline_kernelINS0_14default_configENS1_25partition_config_selectorILNS1_17partition_subalgoE8ElNS0_10empty_typeEbEEZZNS1_14partition_implILS5_8ELb0ES3_jPlPS6_PKS6_NS0_5tupleIJS9_S6_EEENSD_IJSA_SA_EEENS0_18inequality_wrapperIZN2at6native12_GLOBAL__N_124unique_dim_cuda_templateIfEESt5tupleIJNSH_6TensorESM_SM_EERKSM_lbbbEUlllE0_EEPmJS6_EEE10hipError_tPvRmT3_T4_T5_T6_T7_T9_mT8_P12ihipStream_tbDpT10_ENKUlT_T0_E_clISt17integral_constantIbLb1EES1C_EEDaS17_S18_EUlS17_E_NS1_11comp_targetILNS1_3genE10ELNS1_11target_archE1200ELNS1_3gpuE4ELNS1_3repE0EEENS1_30default_config_static_selectorELNS0_4arch9wavefront6targetE0EEEvT1_,comdat
.Lfunc_end942:
	.size	_ZN7rocprim17ROCPRIM_400000_NS6detail17trampoline_kernelINS0_14default_configENS1_25partition_config_selectorILNS1_17partition_subalgoE8ElNS0_10empty_typeEbEEZZNS1_14partition_implILS5_8ELb0ES3_jPlPS6_PKS6_NS0_5tupleIJS9_S6_EEENSD_IJSA_SA_EEENS0_18inequality_wrapperIZN2at6native12_GLOBAL__N_124unique_dim_cuda_templateIfEESt5tupleIJNSH_6TensorESM_SM_EERKSM_lbbbEUlllE0_EEPmJS6_EEE10hipError_tPvRmT3_T4_T5_T6_T7_T9_mT8_P12ihipStream_tbDpT10_ENKUlT_T0_E_clISt17integral_constantIbLb1EES1C_EEDaS17_S18_EUlS17_E_NS1_11comp_targetILNS1_3genE10ELNS1_11target_archE1200ELNS1_3gpuE4ELNS1_3repE0EEENS1_30default_config_static_selectorELNS0_4arch9wavefront6targetE0EEEvT1_, .Lfunc_end942-_ZN7rocprim17ROCPRIM_400000_NS6detail17trampoline_kernelINS0_14default_configENS1_25partition_config_selectorILNS1_17partition_subalgoE8ElNS0_10empty_typeEbEEZZNS1_14partition_implILS5_8ELb0ES3_jPlPS6_PKS6_NS0_5tupleIJS9_S6_EEENSD_IJSA_SA_EEENS0_18inequality_wrapperIZN2at6native12_GLOBAL__N_124unique_dim_cuda_templateIfEESt5tupleIJNSH_6TensorESM_SM_EERKSM_lbbbEUlllE0_EEPmJS6_EEE10hipError_tPvRmT3_T4_T5_T6_T7_T9_mT8_P12ihipStream_tbDpT10_ENKUlT_T0_E_clISt17integral_constantIbLb1EES1C_EEDaS17_S18_EUlS17_E_NS1_11comp_targetILNS1_3genE10ELNS1_11target_archE1200ELNS1_3gpuE4ELNS1_3repE0EEENS1_30default_config_static_selectorELNS0_4arch9wavefront6targetE0EEEvT1_
                                        ; -- End function
	.set _ZN7rocprim17ROCPRIM_400000_NS6detail17trampoline_kernelINS0_14default_configENS1_25partition_config_selectorILNS1_17partition_subalgoE8ElNS0_10empty_typeEbEEZZNS1_14partition_implILS5_8ELb0ES3_jPlPS6_PKS6_NS0_5tupleIJS9_S6_EEENSD_IJSA_SA_EEENS0_18inequality_wrapperIZN2at6native12_GLOBAL__N_124unique_dim_cuda_templateIfEESt5tupleIJNSH_6TensorESM_SM_EERKSM_lbbbEUlllE0_EEPmJS6_EEE10hipError_tPvRmT3_T4_T5_T6_T7_T9_mT8_P12ihipStream_tbDpT10_ENKUlT_T0_E_clISt17integral_constantIbLb1EES1C_EEDaS17_S18_EUlS17_E_NS1_11comp_targetILNS1_3genE10ELNS1_11target_archE1200ELNS1_3gpuE4ELNS1_3repE0EEENS1_30default_config_static_selectorELNS0_4arch9wavefront6targetE0EEEvT1_.num_vgpr, 0
	.set _ZN7rocprim17ROCPRIM_400000_NS6detail17trampoline_kernelINS0_14default_configENS1_25partition_config_selectorILNS1_17partition_subalgoE8ElNS0_10empty_typeEbEEZZNS1_14partition_implILS5_8ELb0ES3_jPlPS6_PKS6_NS0_5tupleIJS9_S6_EEENSD_IJSA_SA_EEENS0_18inequality_wrapperIZN2at6native12_GLOBAL__N_124unique_dim_cuda_templateIfEESt5tupleIJNSH_6TensorESM_SM_EERKSM_lbbbEUlllE0_EEPmJS6_EEE10hipError_tPvRmT3_T4_T5_T6_T7_T9_mT8_P12ihipStream_tbDpT10_ENKUlT_T0_E_clISt17integral_constantIbLb1EES1C_EEDaS17_S18_EUlS17_E_NS1_11comp_targetILNS1_3genE10ELNS1_11target_archE1200ELNS1_3gpuE4ELNS1_3repE0EEENS1_30default_config_static_selectorELNS0_4arch9wavefront6targetE0EEEvT1_.num_agpr, 0
	.set _ZN7rocprim17ROCPRIM_400000_NS6detail17trampoline_kernelINS0_14default_configENS1_25partition_config_selectorILNS1_17partition_subalgoE8ElNS0_10empty_typeEbEEZZNS1_14partition_implILS5_8ELb0ES3_jPlPS6_PKS6_NS0_5tupleIJS9_S6_EEENSD_IJSA_SA_EEENS0_18inequality_wrapperIZN2at6native12_GLOBAL__N_124unique_dim_cuda_templateIfEESt5tupleIJNSH_6TensorESM_SM_EERKSM_lbbbEUlllE0_EEPmJS6_EEE10hipError_tPvRmT3_T4_T5_T6_T7_T9_mT8_P12ihipStream_tbDpT10_ENKUlT_T0_E_clISt17integral_constantIbLb1EES1C_EEDaS17_S18_EUlS17_E_NS1_11comp_targetILNS1_3genE10ELNS1_11target_archE1200ELNS1_3gpuE4ELNS1_3repE0EEENS1_30default_config_static_selectorELNS0_4arch9wavefront6targetE0EEEvT1_.numbered_sgpr, 0
	.set _ZN7rocprim17ROCPRIM_400000_NS6detail17trampoline_kernelINS0_14default_configENS1_25partition_config_selectorILNS1_17partition_subalgoE8ElNS0_10empty_typeEbEEZZNS1_14partition_implILS5_8ELb0ES3_jPlPS6_PKS6_NS0_5tupleIJS9_S6_EEENSD_IJSA_SA_EEENS0_18inequality_wrapperIZN2at6native12_GLOBAL__N_124unique_dim_cuda_templateIfEESt5tupleIJNSH_6TensorESM_SM_EERKSM_lbbbEUlllE0_EEPmJS6_EEE10hipError_tPvRmT3_T4_T5_T6_T7_T9_mT8_P12ihipStream_tbDpT10_ENKUlT_T0_E_clISt17integral_constantIbLb1EES1C_EEDaS17_S18_EUlS17_E_NS1_11comp_targetILNS1_3genE10ELNS1_11target_archE1200ELNS1_3gpuE4ELNS1_3repE0EEENS1_30default_config_static_selectorELNS0_4arch9wavefront6targetE0EEEvT1_.num_named_barrier, 0
	.set _ZN7rocprim17ROCPRIM_400000_NS6detail17trampoline_kernelINS0_14default_configENS1_25partition_config_selectorILNS1_17partition_subalgoE8ElNS0_10empty_typeEbEEZZNS1_14partition_implILS5_8ELb0ES3_jPlPS6_PKS6_NS0_5tupleIJS9_S6_EEENSD_IJSA_SA_EEENS0_18inequality_wrapperIZN2at6native12_GLOBAL__N_124unique_dim_cuda_templateIfEESt5tupleIJNSH_6TensorESM_SM_EERKSM_lbbbEUlllE0_EEPmJS6_EEE10hipError_tPvRmT3_T4_T5_T6_T7_T9_mT8_P12ihipStream_tbDpT10_ENKUlT_T0_E_clISt17integral_constantIbLb1EES1C_EEDaS17_S18_EUlS17_E_NS1_11comp_targetILNS1_3genE10ELNS1_11target_archE1200ELNS1_3gpuE4ELNS1_3repE0EEENS1_30default_config_static_selectorELNS0_4arch9wavefront6targetE0EEEvT1_.private_seg_size, 0
	.set _ZN7rocprim17ROCPRIM_400000_NS6detail17trampoline_kernelINS0_14default_configENS1_25partition_config_selectorILNS1_17partition_subalgoE8ElNS0_10empty_typeEbEEZZNS1_14partition_implILS5_8ELb0ES3_jPlPS6_PKS6_NS0_5tupleIJS9_S6_EEENSD_IJSA_SA_EEENS0_18inequality_wrapperIZN2at6native12_GLOBAL__N_124unique_dim_cuda_templateIfEESt5tupleIJNSH_6TensorESM_SM_EERKSM_lbbbEUlllE0_EEPmJS6_EEE10hipError_tPvRmT3_T4_T5_T6_T7_T9_mT8_P12ihipStream_tbDpT10_ENKUlT_T0_E_clISt17integral_constantIbLb1EES1C_EEDaS17_S18_EUlS17_E_NS1_11comp_targetILNS1_3genE10ELNS1_11target_archE1200ELNS1_3gpuE4ELNS1_3repE0EEENS1_30default_config_static_selectorELNS0_4arch9wavefront6targetE0EEEvT1_.uses_vcc, 0
	.set _ZN7rocprim17ROCPRIM_400000_NS6detail17trampoline_kernelINS0_14default_configENS1_25partition_config_selectorILNS1_17partition_subalgoE8ElNS0_10empty_typeEbEEZZNS1_14partition_implILS5_8ELb0ES3_jPlPS6_PKS6_NS0_5tupleIJS9_S6_EEENSD_IJSA_SA_EEENS0_18inequality_wrapperIZN2at6native12_GLOBAL__N_124unique_dim_cuda_templateIfEESt5tupleIJNSH_6TensorESM_SM_EERKSM_lbbbEUlllE0_EEPmJS6_EEE10hipError_tPvRmT3_T4_T5_T6_T7_T9_mT8_P12ihipStream_tbDpT10_ENKUlT_T0_E_clISt17integral_constantIbLb1EES1C_EEDaS17_S18_EUlS17_E_NS1_11comp_targetILNS1_3genE10ELNS1_11target_archE1200ELNS1_3gpuE4ELNS1_3repE0EEENS1_30default_config_static_selectorELNS0_4arch9wavefront6targetE0EEEvT1_.uses_flat_scratch, 0
	.set _ZN7rocprim17ROCPRIM_400000_NS6detail17trampoline_kernelINS0_14default_configENS1_25partition_config_selectorILNS1_17partition_subalgoE8ElNS0_10empty_typeEbEEZZNS1_14partition_implILS5_8ELb0ES3_jPlPS6_PKS6_NS0_5tupleIJS9_S6_EEENSD_IJSA_SA_EEENS0_18inequality_wrapperIZN2at6native12_GLOBAL__N_124unique_dim_cuda_templateIfEESt5tupleIJNSH_6TensorESM_SM_EERKSM_lbbbEUlllE0_EEPmJS6_EEE10hipError_tPvRmT3_T4_T5_T6_T7_T9_mT8_P12ihipStream_tbDpT10_ENKUlT_T0_E_clISt17integral_constantIbLb1EES1C_EEDaS17_S18_EUlS17_E_NS1_11comp_targetILNS1_3genE10ELNS1_11target_archE1200ELNS1_3gpuE4ELNS1_3repE0EEENS1_30default_config_static_selectorELNS0_4arch9wavefront6targetE0EEEvT1_.has_dyn_sized_stack, 0
	.set _ZN7rocprim17ROCPRIM_400000_NS6detail17trampoline_kernelINS0_14default_configENS1_25partition_config_selectorILNS1_17partition_subalgoE8ElNS0_10empty_typeEbEEZZNS1_14partition_implILS5_8ELb0ES3_jPlPS6_PKS6_NS0_5tupleIJS9_S6_EEENSD_IJSA_SA_EEENS0_18inequality_wrapperIZN2at6native12_GLOBAL__N_124unique_dim_cuda_templateIfEESt5tupleIJNSH_6TensorESM_SM_EERKSM_lbbbEUlllE0_EEPmJS6_EEE10hipError_tPvRmT3_T4_T5_T6_T7_T9_mT8_P12ihipStream_tbDpT10_ENKUlT_T0_E_clISt17integral_constantIbLb1EES1C_EEDaS17_S18_EUlS17_E_NS1_11comp_targetILNS1_3genE10ELNS1_11target_archE1200ELNS1_3gpuE4ELNS1_3repE0EEENS1_30default_config_static_selectorELNS0_4arch9wavefront6targetE0EEEvT1_.has_recursion, 0
	.set _ZN7rocprim17ROCPRIM_400000_NS6detail17trampoline_kernelINS0_14default_configENS1_25partition_config_selectorILNS1_17partition_subalgoE8ElNS0_10empty_typeEbEEZZNS1_14partition_implILS5_8ELb0ES3_jPlPS6_PKS6_NS0_5tupleIJS9_S6_EEENSD_IJSA_SA_EEENS0_18inequality_wrapperIZN2at6native12_GLOBAL__N_124unique_dim_cuda_templateIfEESt5tupleIJNSH_6TensorESM_SM_EERKSM_lbbbEUlllE0_EEPmJS6_EEE10hipError_tPvRmT3_T4_T5_T6_T7_T9_mT8_P12ihipStream_tbDpT10_ENKUlT_T0_E_clISt17integral_constantIbLb1EES1C_EEDaS17_S18_EUlS17_E_NS1_11comp_targetILNS1_3genE10ELNS1_11target_archE1200ELNS1_3gpuE4ELNS1_3repE0EEENS1_30default_config_static_selectorELNS0_4arch9wavefront6targetE0EEEvT1_.has_indirect_call, 0
	.section	.AMDGPU.csdata,"",@progbits
; Kernel info:
; codeLenInByte = 0
; TotalNumSgprs: 0
; NumVgprs: 0
; ScratchSize: 0
; MemoryBound: 0
; FloatMode: 240
; IeeeMode: 1
; LDSByteSize: 0 bytes/workgroup (compile time only)
; SGPRBlocks: 0
; VGPRBlocks: 0
; NumSGPRsForWavesPerEU: 1
; NumVGPRsForWavesPerEU: 1
; NamedBarCnt: 0
; Occupancy: 16
; WaveLimiterHint : 0
; COMPUTE_PGM_RSRC2:SCRATCH_EN: 0
; COMPUTE_PGM_RSRC2:USER_SGPR: 2
; COMPUTE_PGM_RSRC2:TRAP_HANDLER: 0
; COMPUTE_PGM_RSRC2:TGID_X_EN: 1
; COMPUTE_PGM_RSRC2:TGID_Y_EN: 0
; COMPUTE_PGM_RSRC2:TGID_Z_EN: 0
; COMPUTE_PGM_RSRC2:TIDIG_COMP_CNT: 0
	.section	.text._ZN7rocprim17ROCPRIM_400000_NS6detail17trampoline_kernelINS0_14default_configENS1_25partition_config_selectorILNS1_17partition_subalgoE8ElNS0_10empty_typeEbEEZZNS1_14partition_implILS5_8ELb0ES3_jPlPS6_PKS6_NS0_5tupleIJS9_S6_EEENSD_IJSA_SA_EEENS0_18inequality_wrapperIZN2at6native12_GLOBAL__N_124unique_dim_cuda_templateIfEESt5tupleIJNSH_6TensorESM_SM_EERKSM_lbbbEUlllE0_EEPmJS6_EEE10hipError_tPvRmT3_T4_T5_T6_T7_T9_mT8_P12ihipStream_tbDpT10_ENKUlT_T0_E_clISt17integral_constantIbLb1EES1C_EEDaS17_S18_EUlS17_E_NS1_11comp_targetILNS1_3genE9ELNS1_11target_archE1100ELNS1_3gpuE3ELNS1_3repE0EEENS1_30default_config_static_selectorELNS0_4arch9wavefront6targetE0EEEvT1_,"axG",@progbits,_ZN7rocprim17ROCPRIM_400000_NS6detail17trampoline_kernelINS0_14default_configENS1_25partition_config_selectorILNS1_17partition_subalgoE8ElNS0_10empty_typeEbEEZZNS1_14partition_implILS5_8ELb0ES3_jPlPS6_PKS6_NS0_5tupleIJS9_S6_EEENSD_IJSA_SA_EEENS0_18inequality_wrapperIZN2at6native12_GLOBAL__N_124unique_dim_cuda_templateIfEESt5tupleIJNSH_6TensorESM_SM_EERKSM_lbbbEUlllE0_EEPmJS6_EEE10hipError_tPvRmT3_T4_T5_T6_T7_T9_mT8_P12ihipStream_tbDpT10_ENKUlT_T0_E_clISt17integral_constantIbLb1EES1C_EEDaS17_S18_EUlS17_E_NS1_11comp_targetILNS1_3genE9ELNS1_11target_archE1100ELNS1_3gpuE3ELNS1_3repE0EEENS1_30default_config_static_selectorELNS0_4arch9wavefront6targetE0EEEvT1_,comdat
	.globl	_ZN7rocprim17ROCPRIM_400000_NS6detail17trampoline_kernelINS0_14default_configENS1_25partition_config_selectorILNS1_17partition_subalgoE8ElNS0_10empty_typeEbEEZZNS1_14partition_implILS5_8ELb0ES3_jPlPS6_PKS6_NS0_5tupleIJS9_S6_EEENSD_IJSA_SA_EEENS0_18inequality_wrapperIZN2at6native12_GLOBAL__N_124unique_dim_cuda_templateIfEESt5tupleIJNSH_6TensorESM_SM_EERKSM_lbbbEUlllE0_EEPmJS6_EEE10hipError_tPvRmT3_T4_T5_T6_T7_T9_mT8_P12ihipStream_tbDpT10_ENKUlT_T0_E_clISt17integral_constantIbLb1EES1C_EEDaS17_S18_EUlS17_E_NS1_11comp_targetILNS1_3genE9ELNS1_11target_archE1100ELNS1_3gpuE3ELNS1_3repE0EEENS1_30default_config_static_selectorELNS0_4arch9wavefront6targetE0EEEvT1_ ; -- Begin function _ZN7rocprim17ROCPRIM_400000_NS6detail17trampoline_kernelINS0_14default_configENS1_25partition_config_selectorILNS1_17partition_subalgoE8ElNS0_10empty_typeEbEEZZNS1_14partition_implILS5_8ELb0ES3_jPlPS6_PKS6_NS0_5tupleIJS9_S6_EEENSD_IJSA_SA_EEENS0_18inequality_wrapperIZN2at6native12_GLOBAL__N_124unique_dim_cuda_templateIfEESt5tupleIJNSH_6TensorESM_SM_EERKSM_lbbbEUlllE0_EEPmJS6_EEE10hipError_tPvRmT3_T4_T5_T6_T7_T9_mT8_P12ihipStream_tbDpT10_ENKUlT_T0_E_clISt17integral_constantIbLb1EES1C_EEDaS17_S18_EUlS17_E_NS1_11comp_targetILNS1_3genE9ELNS1_11target_archE1100ELNS1_3gpuE3ELNS1_3repE0EEENS1_30default_config_static_selectorELNS0_4arch9wavefront6targetE0EEEvT1_
	.p2align	8
	.type	_ZN7rocprim17ROCPRIM_400000_NS6detail17trampoline_kernelINS0_14default_configENS1_25partition_config_selectorILNS1_17partition_subalgoE8ElNS0_10empty_typeEbEEZZNS1_14partition_implILS5_8ELb0ES3_jPlPS6_PKS6_NS0_5tupleIJS9_S6_EEENSD_IJSA_SA_EEENS0_18inequality_wrapperIZN2at6native12_GLOBAL__N_124unique_dim_cuda_templateIfEESt5tupleIJNSH_6TensorESM_SM_EERKSM_lbbbEUlllE0_EEPmJS6_EEE10hipError_tPvRmT3_T4_T5_T6_T7_T9_mT8_P12ihipStream_tbDpT10_ENKUlT_T0_E_clISt17integral_constantIbLb1EES1C_EEDaS17_S18_EUlS17_E_NS1_11comp_targetILNS1_3genE9ELNS1_11target_archE1100ELNS1_3gpuE3ELNS1_3repE0EEENS1_30default_config_static_selectorELNS0_4arch9wavefront6targetE0EEEvT1_,@function
_ZN7rocprim17ROCPRIM_400000_NS6detail17trampoline_kernelINS0_14default_configENS1_25partition_config_selectorILNS1_17partition_subalgoE8ElNS0_10empty_typeEbEEZZNS1_14partition_implILS5_8ELb0ES3_jPlPS6_PKS6_NS0_5tupleIJS9_S6_EEENSD_IJSA_SA_EEENS0_18inequality_wrapperIZN2at6native12_GLOBAL__N_124unique_dim_cuda_templateIfEESt5tupleIJNSH_6TensorESM_SM_EERKSM_lbbbEUlllE0_EEPmJS6_EEE10hipError_tPvRmT3_T4_T5_T6_T7_T9_mT8_P12ihipStream_tbDpT10_ENKUlT_T0_E_clISt17integral_constantIbLb1EES1C_EEDaS17_S18_EUlS17_E_NS1_11comp_targetILNS1_3genE9ELNS1_11target_archE1100ELNS1_3gpuE3ELNS1_3repE0EEENS1_30default_config_static_selectorELNS0_4arch9wavefront6targetE0EEEvT1_: ; @_ZN7rocprim17ROCPRIM_400000_NS6detail17trampoline_kernelINS0_14default_configENS1_25partition_config_selectorILNS1_17partition_subalgoE8ElNS0_10empty_typeEbEEZZNS1_14partition_implILS5_8ELb0ES3_jPlPS6_PKS6_NS0_5tupleIJS9_S6_EEENSD_IJSA_SA_EEENS0_18inequality_wrapperIZN2at6native12_GLOBAL__N_124unique_dim_cuda_templateIfEESt5tupleIJNSH_6TensorESM_SM_EERKSM_lbbbEUlllE0_EEPmJS6_EEE10hipError_tPvRmT3_T4_T5_T6_T7_T9_mT8_P12ihipStream_tbDpT10_ENKUlT_T0_E_clISt17integral_constantIbLb1EES1C_EEDaS17_S18_EUlS17_E_NS1_11comp_targetILNS1_3genE9ELNS1_11target_archE1100ELNS1_3gpuE3ELNS1_3repE0EEENS1_30default_config_static_selectorELNS0_4arch9wavefront6targetE0EEEvT1_
; %bb.0:
	.section	.rodata,"a",@progbits
	.p2align	6, 0x0
	.amdhsa_kernel _ZN7rocprim17ROCPRIM_400000_NS6detail17trampoline_kernelINS0_14default_configENS1_25partition_config_selectorILNS1_17partition_subalgoE8ElNS0_10empty_typeEbEEZZNS1_14partition_implILS5_8ELb0ES3_jPlPS6_PKS6_NS0_5tupleIJS9_S6_EEENSD_IJSA_SA_EEENS0_18inequality_wrapperIZN2at6native12_GLOBAL__N_124unique_dim_cuda_templateIfEESt5tupleIJNSH_6TensorESM_SM_EERKSM_lbbbEUlllE0_EEPmJS6_EEE10hipError_tPvRmT3_T4_T5_T6_T7_T9_mT8_P12ihipStream_tbDpT10_ENKUlT_T0_E_clISt17integral_constantIbLb1EES1C_EEDaS17_S18_EUlS17_E_NS1_11comp_targetILNS1_3genE9ELNS1_11target_archE1100ELNS1_3gpuE3ELNS1_3repE0EEENS1_30default_config_static_selectorELNS0_4arch9wavefront6targetE0EEEvT1_
		.amdhsa_group_segment_fixed_size 0
		.amdhsa_private_segment_fixed_size 0
		.amdhsa_kernarg_size 136
		.amdhsa_user_sgpr_count 2
		.amdhsa_user_sgpr_dispatch_ptr 0
		.amdhsa_user_sgpr_queue_ptr 0
		.amdhsa_user_sgpr_kernarg_segment_ptr 1
		.amdhsa_user_sgpr_dispatch_id 0
		.amdhsa_user_sgpr_kernarg_preload_length 0
		.amdhsa_user_sgpr_kernarg_preload_offset 0
		.amdhsa_user_sgpr_private_segment_size 0
		.amdhsa_wavefront_size32 1
		.amdhsa_uses_dynamic_stack 0
		.amdhsa_enable_private_segment 0
		.amdhsa_system_sgpr_workgroup_id_x 1
		.amdhsa_system_sgpr_workgroup_id_y 0
		.amdhsa_system_sgpr_workgroup_id_z 0
		.amdhsa_system_sgpr_workgroup_info 0
		.amdhsa_system_vgpr_workitem_id 0
		.amdhsa_next_free_vgpr 1
		.amdhsa_next_free_sgpr 1
		.amdhsa_named_barrier_count 0
		.amdhsa_reserve_vcc 0
		.amdhsa_float_round_mode_32 0
		.amdhsa_float_round_mode_16_64 0
		.amdhsa_float_denorm_mode_32 3
		.amdhsa_float_denorm_mode_16_64 3
		.amdhsa_fp16_overflow 0
		.amdhsa_memory_ordered 1
		.amdhsa_forward_progress 1
		.amdhsa_inst_pref_size 0
		.amdhsa_round_robin_scheduling 0
		.amdhsa_exception_fp_ieee_invalid_op 0
		.amdhsa_exception_fp_denorm_src 0
		.amdhsa_exception_fp_ieee_div_zero 0
		.amdhsa_exception_fp_ieee_overflow 0
		.amdhsa_exception_fp_ieee_underflow 0
		.amdhsa_exception_fp_ieee_inexact 0
		.amdhsa_exception_int_div_zero 0
	.end_amdhsa_kernel
	.section	.text._ZN7rocprim17ROCPRIM_400000_NS6detail17trampoline_kernelINS0_14default_configENS1_25partition_config_selectorILNS1_17partition_subalgoE8ElNS0_10empty_typeEbEEZZNS1_14partition_implILS5_8ELb0ES3_jPlPS6_PKS6_NS0_5tupleIJS9_S6_EEENSD_IJSA_SA_EEENS0_18inequality_wrapperIZN2at6native12_GLOBAL__N_124unique_dim_cuda_templateIfEESt5tupleIJNSH_6TensorESM_SM_EERKSM_lbbbEUlllE0_EEPmJS6_EEE10hipError_tPvRmT3_T4_T5_T6_T7_T9_mT8_P12ihipStream_tbDpT10_ENKUlT_T0_E_clISt17integral_constantIbLb1EES1C_EEDaS17_S18_EUlS17_E_NS1_11comp_targetILNS1_3genE9ELNS1_11target_archE1100ELNS1_3gpuE3ELNS1_3repE0EEENS1_30default_config_static_selectorELNS0_4arch9wavefront6targetE0EEEvT1_,"axG",@progbits,_ZN7rocprim17ROCPRIM_400000_NS6detail17trampoline_kernelINS0_14default_configENS1_25partition_config_selectorILNS1_17partition_subalgoE8ElNS0_10empty_typeEbEEZZNS1_14partition_implILS5_8ELb0ES3_jPlPS6_PKS6_NS0_5tupleIJS9_S6_EEENSD_IJSA_SA_EEENS0_18inequality_wrapperIZN2at6native12_GLOBAL__N_124unique_dim_cuda_templateIfEESt5tupleIJNSH_6TensorESM_SM_EERKSM_lbbbEUlllE0_EEPmJS6_EEE10hipError_tPvRmT3_T4_T5_T6_T7_T9_mT8_P12ihipStream_tbDpT10_ENKUlT_T0_E_clISt17integral_constantIbLb1EES1C_EEDaS17_S18_EUlS17_E_NS1_11comp_targetILNS1_3genE9ELNS1_11target_archE1100ELNS1_3gpuE3ELNS1_3repE0EEENS1_30default_config_static_selectorELNS0_4arch9wavefront6targetE0EEEvT1_,comdat
.Lfunc_end943:
	.size	_ZN7rocprim17ROCPRIM_400000_NS6detail17trampoline_kernelINS0_14default_configENS1_25partition_config_selectorILNS1_17partition_subalgoE8ElNS0_10empty_typeEbEEZZNS1_14partition_implILS5_8ELb0ES3_jPlPS6_PKS6_NS0_5tupleIJS9_S6_EEENSD_IJSA_SA_EEENS0_18inequality_wrapperIZN2at6native12_GLOBAL__N_124unique_dim_cuda_templateIfEESt5tupleIJNSH_6TensorESM_SM_EERKSM_lbbbEUlllE0_EEPmJS6_EEE10hipError_tPvRmT3_T4_T5_T6_T7_T9_mT8_P12ihipStream_tbDpT10_ENKUlT_T0_E_clISt17integral_constantIbLb1EES1C_EEDaS17_S18_EUlS17_E_NS1_11comp_targetILNS1_3genE9ELNS1_11target_archE1100ELNS1_3gpuE3ELNS1_3repE0EEENS1_30default_config_static_selectorELNS0_4arch9wavefront6targetE0EEEvT1_, .Lfunc_end943-_ZN7rocprim17ROCPRIM_400000_NS6detail17trampoline_kernelINS0_14default_configENS1_25partition_config_selectorILNS1_17partition_subalgoE8ElNS0_10empty_typeEbEEZZNS1_14partition_implILS5_8ELb0ES3_jPlPS6_PKS6_NS0_5tupleIJS9_S6_EEENSD_IJSA_SA_EEENS0_18inequality_wrapperIZN2at6native12_GLOBAL__N_124unique_dim_cuda_templateIfEESt5tupleIJNSH_6TensorESM_SM_EERKSM_lbbbEUlllE0_EEPmJS6_EEE10hipError_tPvRmT3_T4_T5_T6_T7_T9_mT8_P12ihipStream_tbDpT10_ENKUlT_T0_E_clISt17integral_constantIbLb1EES1C_EEDaS17_S18_EUlS17_E_NS1_11comp_targetILNS1_3genE9ELNS1_11target_archE1100ELNS1_3gpuE3ELNS1_3repE0EEENS1_30default_config_static_selectorELNS0_4arch9wavefront6targetE0EEEvT1_
                                        ; -- End function
	.set _ZN7rocprim17ROCPRIM_400000_NS6detail17trampoline_kernelINS0_14default_configENS1_25partition_config_selectorILNS1_17partition_subalgoE8ElNS0_10empty_typeEbEEZZNS1_14partition_implILS5_8ELb0ES3_jPlPS6_PKS6_NS0_5tupleIJS9_S6_EEENSD_IJSA_SA_EEENS0_18inequality_wrapperIZN2at6native12_GLOBAL__N_124unique_dim_cuda_templateIfEESt5tupleIJNSH_6TensorESM_SM_EERKSM_lbbbEUlllE0_EEPmJS6_EEE10hipError_tPvRmT3_T4_T5_T6_T7_T9_mT8_P12ihipStream_tbDpT10_ENKUlT_T0_E_clISt17integral_constantIbLb1EES1C_EEDaS17_S18_EUlS17_E_NS1_11comp_targetILNS1_3genE9ELNS1_11target_archE1100ELNS1_3gpuE3ELNS1_3repE0EEENS1_30default_config_static_selectorELNS0_4arch9wavefront6targetE0EEEvT1_.num_vgpr, 0
	.set _ZN7rocprim17ROCPRIM_400000_NS6detail17trampoline_kernelINS0_14default_configENS1_25partition_config_selectorILNS1_17partition_subalgoE8ElNS0_10empty_typeEbEEZZNS1_14partition_implILS5_8ELb0ES3_jPlPS6_PKS6_NS0_5tupleIJS9_S6_EEENSD_IJSA_SA_EEENS0_18inequality_wrapperIZN2at6native12_GLOBAL__N_124unique_dim_cuda_templateIfEESt5tupleIJNSH_6TensorESM_SM_EERKSM_lbbbEUlllE0_EEPmJS6_EEE10hipError_tPvRmT3_T4_T5_T6_T7_T9_mT8_P12ihipStream_tbDpT10_ENKUlT_T0_E_clISt17integral_constantIbLb1EES1C_EEDaS17_S18_EUlS17_E_NS1_11comp_targetILNS1_3genE9ELNS1_11target_archE1100ELNS1_3gpuE3ELNS1_3repE0EEENS1_30default_config_static_selectorELNS0_4arch9wavefront6targetE0EEEvT1_.num_agpr, 0
	.set _ZN7rocprim17ROCPRIM_400000_NS6detail17trampoline_kernelINS0_14default_configENS1_25partition_config_selectorILNS1_17partition_subalgoE8ElNS0_10empty_typeEbEEZZNS1_14partition_implILS5_8ELb0ES3_jPlPS6_PKS6_NS0_5tupleIJS9_S6_EEENSD_IJSA_SA_EEENS0_18inequality_wrapperIZN2at6native12_GLOBAL__N_124unique_dim_cuda_templateIfEESt5tupleIJNSH_6TensorESM_SM_EERKSM_lbbbEUlllE0_EEPmJS6_EEE10hipError_tPvRmT3_T4_T5_T6_T7_T9_mT8_P12ihipStream_tbDpT10_ENKUlT_T0_E_clISt17integral_constantIbLb1EES1C_EEDaS17_S18_EUlS17_E_NS1_11comp_targetILNS1_3genE9ELNS1_11target_archE1100ELNS1_3gpuE3ELNS1_3repE0EEENS1_30default_config_static_selectorELNS0_4arch9wavefront6targetE0EEEvT1_.numbered_sgpr, 0
	.set _ZN7rocprim17ROCPRIM_400000_NS6detail17trampoline_kernelINS0_14default_configENS1_25partition_config_selectorILNS1_17partition_subalgoE8ElNS0_10empty_typeEbEEZZNS1_14partition_implILS5_8ELb0ES3_jPlPS6_PKS6_NS0_5tupleIJS9_S6_EEENSD_IJSA_SA_EEENS0_18inequality_wrapperIZN2at6native12_GLOBAL__N_124unique_dim_cuda_templateIfEESt5tupleIJNSH_6TensorESM_SM_EERKSM_lbbbEUlllE0_EEPmJS6_EEE10hipError_tPvRmT3_T4_T5_T6_T7_T9_mT8_P12ihipStream_tbDpT10_ENKUlT_T0_E_clISt17integral_constantIbLb1EES1C_EEDaS17_S18_EUlS17_E_NS1_11comp_targetILNS1_3genE9ELNS1_11target_archE1100ELNS1_3gpuE3ELNS1_3repE0EEENS1_30default_config_static_selectorELNS0_4arch9wavefront6targetE0EEEvT1_.num_named_barrier, 0
	.set _ZN7rocprim17ROCPRIM_400000_NS6detail17trampoline_kernelINS0_14default_configENS1_25partition_config_selectorILNS1_17partition_subalgoE8ElNS0_10empty_typeEbEEZZNS1_14partition_implILS5_8ELb0ES3_jPlPS6_PKS6_NS0_5tupleIJS9_S6_EEENSD_IJSA_SA_EEENS0_18inequality_wrapperIZN2at6native12_GLOBAL__N_124unique_dim_cuda_templateIfEESt5tupleIJNSH_6TensorESM_SM_EERKSM_lbbbEUlllE0_EEPmJS6_EEE10hipError_tPvRmT3_T4_T5_T6_T7_T9_mT8_P12ihipStream_tbDpT10_ENKUlT_T0_E_clISt17integral_constantIbLb1EES1C_EEDaS17_S18_EUlS17_E_NS1_11comp_targetILNS1_3genE9ELNS1_11target_archE1100ELNS1_3gpuE3ELNS1_3repE0EEENS1_30default_config_static_selectorELNS0_4arch9wavefront6targetE0EEEvT1_.private_seg_size, 0
	.set _ZN7rocprim17ROCPRIM_400000_NS6detail17trampoline_kernelINS0_14default_configENS1_25partition_config_selectorILNS1_17partition_subalgoE8ElNS0_10empty_typeEbEEZZNS1_14partition_implILS5_8ELb0ES3_jPlPS6_PKS6_NS0_5tupleIJS9_S6_EEENSD_IJSA_SA_EEENS0_18inequality_wrapperIZN2at6native12_GLOBAL__N_124unique_dim_cuda_templateIfEESt5tupleIJNSH_6TensorESM_SM_EERKSM_lbbbEUlllE0_EEPmJS6_EEE10hipError_tPvRmT3_T4_T5_T6_T7_T9_mT8_P12ihipStream_tbDpT10_ENKUlT_T0_E_clISt17integral_constantIbLb1EES1C_EEDaS17_S18_EUlS17_E_NS1_11comp_targetILNS1_3genE9ELNS1_11target_archE1100ELNS1_3gpuE3ELNS1_3repE0EEENS1_30default_config_static_selectorELNS0_4arch9wavefront6targetE0EEEvT1_.uses_vcc, 0
	.set _ZN7rocprim17ROCPRIM_400000_NS6detail17trampoline_kernelINS0_14default_configENS1_25partition_config_selectorILNS1_17partition_subalgoE8ElNS0_10empty_typeEbEEZZNS1_14partition_implILS5_8ELb0ES3_jPlPS6_PKS6_NS0_5tupleIJS9_S6_EEENSD_IJSA_SA_EEENS0_18inequality_wrapperIZN2at6native12_GLOBAL__N_124unique_dim_cuda_templateIfEESt5tupleIJNSH_6TensorESM_SM_EERKSM_lbbbEUlllE0_EEPmJS6_EEE10hipError_tPvRmT3_T4_T5_T6_T7_T9_mT8_P12ihipStream_tbDpT10_ENKUlT_T0_E_clISt17integral_constantIbLb1EES1C_EEDaS17_S18_EUlS17_E_NS1_11comp_targetILNS1_3genE9ELNS1_11target_archE1100ELNS1_3gpuE3ELNS1_3repE0EEENS1_30default_config_static_selectorELNS0_4arch9wavefront6targetE0EEEvT1_.uses_flat_scratch, 0
	.set _ZN7rocprim17ROCPRIM_400000_NS6detail17trampoline_kernelINS0_14default_configENS1_25partition_config_selectorILNS1_17partition_subalgoE8ElNS0_10empty_typeEbEEZZNS1_14partition_implILS5_8ELb0ES3_jPlPS6_PKS6_NS0_5tupleIJS9_S6_EEENSD_IJSA_SA_EEENS0_18inequality_wrapperIZN2at6native12_GLOBAL__N_124unique_dim_cuda_templateIfEESt5tupleIJNSH_6TensorESM_SM_EERKSM_lbbbEUlllE0_EEPmJS6_EEE10hipError_tPvRmT3_T4_T5_T6_T7_T9_mT8_P12ihipStream_tbDpT10_ENKUlT_T0_E_clISt17integral_constantIbLb1EES1C_EEDaS17_S18_EUlS17_E_NS1_11comp_targetILNS1_3genE9ELNS1_11target_archE1100ELNS1_3gpuE3ELNS1_3repE0EEENS1_30default_config_static_selectorELNS0_4arch9wavefront6targetE0EEEvT1_.has_dyn_sized_stack, 0
	.set _ZN7rocprim17ROCPRIM_400000_NS6detail17trampoline_kernelINS0_14default_configENS1_25partition_config_selectorILNS1_17partition_subalgoE8ElNS0_10empty_typeEbEEZZNS1_14partition_implILS5_8ELb0ES3_jPlPS6_PKS6_NS0_5tupleIJS9_S6_EEENSD_IJSA_SA_EEENS0_18inequality_wrapperIZN2at6native12_GLOBAL__N_124unique_dim_cuda_templateIfEESt5tupleIJNSH_6TensorESM_SM_EERKSM_lbbbEUlllE0_EEPmJS6_EEE10hipError_tPvRmT3_T4_T5_T6_T7_T9_mT8_P12ihipStream_tbDpT10_ENKUlT_T0_E_clISt17integral_constantIbLb1EES1C_EEDaS17_S18_EUlS17_E_NS1_11comp_targetILNS1_3genE9ELNS1_11target_archE1100ELNS1_3gpuE3ELNS1_3repE0EEENS1_30default_config_static_selectorELNS0_4arch9wavefront6targetE0EEEvT1_.has_recursion, 0
	.set _ZN7rocprim17ROCPRIM_400000_NS6detail17trampoline_kernelINS0_14default_configENS1_25partition_config_selectorILNS1_17partition_subalgoE8ElNS0_10empty_typeEbEEZZNS1_14partition_implILS5_8ELb0ES3_jPlPS6_PKS6_NS0_5tupleIJS9_S6_EEENSD_IJSA_SA_EEENS0_18inequality_wrapperIZN2at6native12_GLOBAL__N_124unique_dim_cuda_templateIfEESt5tupleIJNSH_6TensorESM_SM_EERKSM_lbbbEUlllE0_EEPmJS6_EEE10hipError_tPvRmT3_T4_T5_T6_T7_T9_mT8_P12ihipStream_tbDpT10_ENKUlT_T0_E_clISt17integral_constantIbLb1EES1C_EEDaS17_S18_EUlS17_E_NS1_11comp_targetILNS1_3genE9ELNS1_11target_archE1100ELNS1_3gpuE3ELNS1_3repE0EEENS1_30default_config_static_selectorELNS0_4arch9wavefront6targetE0EEEvT1_.has_indirect_call, 0
	.section	.AMDGPU.csdata,"",@progbits
; Kernel info:
; codeLenInByte = 0
; TotalNumSgprs: 0
; NumVgprs: 0
; ScratchSize: 0
; MemoryBound: 0
; FloatMode: 240
; IeeeMode: 1
; LDSByteSize: 0 bytes/workgroup (compile time only)
; SGPRBlocks: 0
; VGPRBlocks: 0
; NumSGPRsForWavesPerEU: 1
; NumVGPRsForWavesPerEU: 1
; NamedBarCnt: 0
; Occupancy: 16
; WaveLimiterHint : 0
; COMPUTE_PGM_RSRC2:SCRATCH_EN: 0
; COMPUTE_PGM_RSRC2:USER_SGPR: 2
; COMPUTE_PGM_RSRC2:TRAP_HANDLER: 0
; COMPUTE_PGM_RSRC2:TGID_X_EN: 1
; COMPUTE_PGM_RSRC2:TGID_Y_EN: 0
; COMPUTE_PGM_RSRC2:TGID_Z_EN: 0
; COMPUTE_PGM_RSRC2:TIDIG_COMP_CNT: 0
	.section	.text._ZN7rocprim17ROCPRIM_400000_NS6detail17trampoline_kernelINS0_14default_configENS1_25partition_config_selectorILNS1_17partition_subalgoE8ElNS0_10empty_typeEbEEZZNS1_14partition_implILS5_8ELb0ES3_jPlPS6_PKS6_NS0_5tupleIJS9_S6_EEENSD_IJSA_SA_EEENS0_18inequality_wrapperIZN2at6native12_GLOBAL__N_124unique_dim_cuda_templateIfEESt5tupleIJNSH_6TensorESM_SM_EERKSM_lbbbEUlllE0_EEPmJS6_EEE10hipError_tPvRmT3_T4_T5_T6_T7_T9_mT8_P12ihipStream_tbDpT10_ENKUlT_T0_E_clISt17integral_constantIbLb1EES1C_EEDaS17_S18_EUlS17_E_NS1_11comp_targetILNS1_3genE8ELNS1_11target_archE1030ELNS1_3gpuE2ELNS1_3repE0EEENS1_30default_config_static_selectorELNS0_4arch9wavefront6targetE0EEEvT1_,"axG",@progbits,_ZN7rocprim17ROCPRIM_400000_NS6detail17trampoline_kernelINS0_14default_configENS1_25partition_config_selectorILNS1_17partition_subalgoE8ElNS0_10empty_typeEbEEZZNS1_14partition_implILS5_8ELb0ES3_jPlPS6_PKS6_NS0_5tupleIJS9_S6_EEENSD_IJSA_SA_EEENS0_18inequality_wrapperIZN2at6native12_GLOBAL__N_124unique_dim_cuda_templateIfEESt5tupleIJNSH_6TensorESM_SM_EERKSM_lbbbEUlllE0_EEPmJS6_EEE10hipError_tPvRmT3_T4_T5_T6_T7_T9_mT8_P12ihipStream_tbDpT10_ENKUlT_T0_E_clISt17integral_constantIbLb1EES1C_EEDaS17_S18_EUlS17_E_NS1_11comp_targetILNS1_3genE8ELNS1_11target_archE1030ELNS1_3gpuE2ELNS1_3repE0EEENS1_30default_config_static_selectorELNS0_4arch9wavefront6targetE0EEEvT1_,comdat
	.globl	_ZN7rocprim17ROCPRIM_400000_NS6detail17trampoline_kernelINS0_14default_configENS1_25partition_config_selectorILNS1_17partition_subalgoE8ElNS0_10empty_typeEbEEZZNS1_14partition_implILS5_8ELb0ES3_jPlPS6_PKS6_NS0_5tupleIJS9_S6_EEENSD_IJSA_SA_EEENS0_18inequality_wrapperIZN2at6native12_GLOBAL__N_124unique_dim_cuda_templateIfEESt5tupleIJNSH_6TensorESM_SM_EERKSM_lbbbEUlllE0_EEPmJS6_EEE10hipError_tPvRmT3_T4_T5_T6_T7_T9_mT8_P12ihipStream_tbDpT10_ENKUlT_T0_E_clISt17integral_constantIbLb1EES1C_EEDaS17_S18_EUlS17_E_NS1_11comp_targetILNS1_3genE8ELNS1_11target_archE1030ELNS1_3gpuE2ELNS1_3repE0EEENS1_30default_config_static_selectorELNS0_4arch9wavefront6targetE0EEEvT1_ ; -- Begin function _ZN7rocprim17ROCPRIM_400000_NS6detail17trampoline_kernelINS0_14default_configENS1_25partition_config_selectorILNS1_17partition_subalgoE8ElNS0_10empty_typeEbEEZZNS1_14partition_implILS5_8ELb0ES3_jPlPS6_PKS6_NS0_5tupleIJS9_S6_EEENSD_IJSA_SA_EEENS0_18inequality_wrapperIZN2at6native12_GLOBAL__N_124unique_dim_cuda_templateIfEESt5tupleIJNSH_6TensorESM_SM_EERKSM_lbbbEUlllE0_EEPmJS6_EEE10hipError_tPvRmT3_T4_T5_T6_T7_T9_mT8_P12ihipStream_tbDpT10_ENKUlT_T0_E_clISt17integral_constantIbLb1EES1C_EEDaS17_S18_EUlS17_E_NS1_11comp_targetILNS1_3genE8ELNS1_11target_archE1030ELNS1_3gpuE2ELNS1_3repE0EEENS1_30default_config_static_selectorELNS0_4arch9wavefront6targetE0EEEvT1_
	.p2align	8
	.type	_ZN7rocprim17ROCPRIM_400000_NS6detail17trampoline_kernelINS0_14default_configENS1_25partition_config_selectorILNS1_17partition_subalgoE8ElNS0_10empty_typeEbEEZZNS1_14partition_implILS5_8ELb0ES3_jPlPS6_PKS6_NS0_5tupleIJS9_S6_EEENSD_IJSA_SA_EEENS0_18inequality_wrapperIZN2at6native12_GLOBAL__N_124unique_dim_cuda_templateIfEESt5tupleIJNSH_6TensorESM_SM_EERKSM_lbbbEUlllE0_EEPmJS6_EEE10hipError_tPvRmT3_T4_T5_T6_T7_T9_mT8_P12ihipStream_tbDpT10_ENKUlT_T0_E_clISt17integral_constantIbLb1EES1C_EEDaS17_S18_EUlS17_E_NS1_11comp_targetILNS1_3genE8ELNS1_11target_archE1030ELNS1_3gpuE2ELNS1_3repE0EEENS1_30default_config_static_selectorELNS0_4arch9wavefront6targetE0EEEvT1_,@function
_ZN7rocprim17ROCPRIM_400000_NS6detail17trampoline_kernelINS0_14default_configENS1_25partition_config_selectorILNS1_17partition_subalgoE8ElNS0_10empty_typeEbEEZZNS1_14partition_implILS5_8ELb0ES3_jPlPS6_PKS6_NS0_5tupleIJS9_S6_EEENSD_IJSA_SA_EEENS0_18inequality_wrapperIZN2at6native12_GLOBAL__N_124unique_dim_cuda_templateIfEESt5tupleIJNSH_6TensorESM_SM_EERKSM_lbbbEUlllE0_EEPmJS6_EEE10hipError_tPvRmT3_T4_T5_T6_T7_T9_mT8_P12ihipStream_tbDpT10_ENKUlT_T0_E_clISt17integral_constantIbLb1EES1C_EEDaS17_S18_EUlS17_E_NS1_11comp_targetILNS1_3genE8ELNS1_11target_archE1030ELNS1_3gpuE2ELNS1_3repE0EEENS1_30default_config_static_selectorELNS0_4arch9wavefront6targetE0EEEvT1_: ; @_ZN7rocprim17ROCPRIM_400000_NS6detail17trampoline_kernelINS0_14default_configENS1_25partition_config_selectorILNS1_17partition_subalgoE8ElNS0_10empty_typeEbEEZZNS1_14partition_implILS5_8ELb0ES3_jPlPS6_PKS6_NS0_5tupleIJS9_S6_EEENSD_IJSA_SA_EEENS0_18inequality_wrapperIZN2at6native12_GLOBAL__N_124unique_dim_cuda_templateIfEESt5tupleIJNSH_6TensorESM_SM_EERKSM_lbbbEUlllE0_EEPmJS6_EEE10hipError_tPvRmT3_T4_T5_T6_T7_T9_mT8_P12ihipStream_tbDpT10_ENKUlT_T0_E_clISt17integral_constantIbLb1EES1C_EEDaS17_S18_EUlS17_E_NS1_11comp_targetILNS1_3genE8ELNS1_11target_archE1030ELNS1_3gpuE2ELNS1_3repE0EEENS1_30default_config_static_selectorELNS0_4arch9wavefront6targetE0EEEvT1_
; %bb.0:
	.section	.rodata,"a",@progbits
	.p2align	6, 0x0
	.amdhsa_kernel _ZN7rocprim17ROCPRIM_400000_NS6detail17trampoline_kernelINS0_14default_configENS1_25partition_config_selectorILNS1_17partition_subalgoE8ElNS0_10empty_typeEbEEZZNS1_14partition_implILS5_8ELb0ES3_jPlPS6_PKS6_NS0_5tupleIJS9_S6_EEENSD_IJSA_SA_EEENS0_18inequality_wrapperIZN2at6native12_GLOBAL__N_124unique_dim_cuda_templateIfEESt5tupleIJNSH_6TensorESM_SM_EERKSM_lbbbEUlllE0_EEPmJS6_EEE10hipError_tPvRmT3_T4_T5_T6_T7_T9_mT8_P12ihipStream_tbDpT10_ENKUlT_T0_E_clISt17integral_constantIbLb1EES1C_EEDaS17_S18_EUlS17_E_NS1_11comp_targetILNS1_3genE8ELNS1_11target_archE1030ELNS1_3gpuE2ELNS1_3repE0EEENS1_30default_config_static_selectorELNS0_4arch9wavefront6targetE0EEEvT1_
		.amdhsa_group_segment_fixed_size 0
		.amdhsa_private_segment_fixed_size 0
		.amdhsa_kernarg_size 136
		.amdhsa_user_sgpr_count 2
		.amdhsa_user_sgpr_dispatch_ptr 0
		.amdhsa_user_sgpr_queue_ptr 0
		.amdhsa_user_sgpr_kernarg_segment_ptr 1
		.amdhsa_user_sgpr_dispatch_id 0
		.amdhsa_user_sgpr_kernarg_preload_length 0
		.amdhsa_user_sgpr_kernarg_preload_offset 0
		.amdhsa_user_sgpr_private_segment_size 0
		.amdhsa_wavefront_size32 1
		.amdhsa_uses_dynamic_stack 0
		.amdhsa_enable_private_segment 0
		.amdhsa_system_sgpr_workgroup_id_x 1
		.amdhsa_system_sgpr_workgroup_id_y 0
		.amdhsa_system_sgpr_workgroup_id_z 0
		.amdhsa_system_sgpr_workgroup_info 0
		.amdhsa_system_vgpr_workitem_id 0
		.amdhsa_next_free_vgpr 1
		.amdhsa_next_free_sgpr 1
		.amdhsa_named_barrier_count 0
		.amdhsa_reserve_vcc 0
		.amdhsa_float_round_mode_32 0
		.amdhsa_float_round_mode_16_64 0
		.amdhsa_float_denorm_mode_32 3
		.amdhsa_float_denorm_mode_16_64 3
		.amdhsa_fp16_overflow 0
		.amdhsa_memory_ordered 1
		.amdhsa_forward_progress 1
		.amdhsa_inst_pref_size 0
		.amdhsa_round_robin_scheduling 0
		.amdhsa_exception_fp_ieee_invalid_op 0
		.amdhsa_exception_fp_denorm_src 0
		.amdhsa_exception_fp_ieee_div_zero 0
		.amdhsa_exception_fp_ieee_overflow 0
		.amdhsa_exception_fp_ieee_underflow 0
		.amdhsa_exception_fp_ieee_inexact 0
		.amdhsa_exception_int_div_zero 0
	.end_amdhsa_kernel
	.section	.text._ZN7rocprim17ROCPRIM_400000_NS6detail17trampoline_kernelINS0_14default_configENS1_25partition_config_selectorILNS1_17partition_subalgoE8ElNS0_10empty_typeEbEEZZNS1_14partition_implILS5_8ELb0ES3_jPlPS6_PKS6_NS0_5tupleIJS9_S6_EEENSD_IJSA_SA_EEENS0_18inequality_wrapperIZN2at6native12_GLOBAL__N_124unique_dim_cuda_templateIfEESt5tupleIJNSH_6TensorESM_SM_EERKSM_lbbbEUlllE0_EEPmJS6_EEE10hipError_tPvRmT3_T4_T5_T6_T7_T9_mT8_P12ihipStream_tbDpT10_ENKUlT_T0_E_clISt17integral_constantIbLb1EES1C_EEDaS17_S18_EUlS17_E_NS1_11comp_targetILNS1_3genE8ELNS1_11target_archE1030ELNS1_3gpuE2ELNS1_3repE0EEENS1_30default_config_static_selectorELNS0_4arch9wavefront6targetE0EEEvT1_,"axG",@progbits,_ZN7rocprim17ROCPRIM_400000_NS6detail17trampoline_kernelINS0_14default_configENS1_25partition_config_selectorILNS1_17partition_subalgoE8ElNS0_10empty_typeEbEEZZNS1_14partition_implILS5_8ELb0ES3_jPlPS6_PKS6_NS0_5tupleIJS9_S6_EEENSD_IJSA_SA_EEENS0_18inequality_wrapperIZN2at6native12_GLOBAL__N_124unique_dim_cuda_templateIfEESt5tupleIJNSH_6TensorESM_SM_EERKSM_lbbbEUlllE0_EEPmJS6_EEE10hipError_tPvRmT3_T4_T5_T6_T7_T9_mT8_P12ihipStream_tbDpT10_ENKUlT_T0_E_clISt17integral_constantIbLb1EES1C_EEDaS17_S18_EUlS17_E_NS1_11comp_targetILNS1_3genE8ELNS1_11target_archE1030ELNS1_3gpuE2ELNS1_3repE0EEENS1_30default_config_static_selectorELNS0_4arch9wavefront6targetE0EEEvT1_,comdat
.Lfunc_end944:
	.size	_ZN7rocprim17ROCPRIM_400000_NS6detail17trampoline_kernelINS0_14default_configENS1_25partition_config_selectorILNS1_17partition_subalgoE8ElNS0_10empty_typeEbEEZZNS1_14partition_implILS5_8ELb0ES3_jPlPS6_PKS6_NS0_5tupleIJS9_S6_EEENSD_IJSA_SA_EEENS0_18inequality_wrapperIZN2at6native12_GLOBAL__N_124unique_dim_cuda_templateIfEESt5tupleIJNSH_6TensorESM_SM_EERKSM_lbbbEUlllE0_EEPmJS6_EEE10hipError_tPvRmT3_T4_T5_T6_T7_T9_mT8_P12ihipStream_tbDpT10_ENKUlT_T0_E_clISt17integral_constantIbLb1EES1C_EEDaS17_S18_EUlS17_E_NS1_11comp_targetILNS1_3genE8ELNS1_11target_archE1030ELNS1_3gpuE2ELNS1_3repE0EEENS1_30default_config_static_selectorELNS0_4arch9wavefront6targetE0EEEvT1_, .Lfunc_end944-_ZN7rocprim17ROCPRIM_400000_NS6detail17trampoline_kernelINS0_14default_configENS1_25partition_config_selectorILNS1_17partition_subalgoE8ElNS0_10empty_typeEbEEZZNS1_14partition_implILS5_8ELb0ES3_jPlPS6_PKS6_NS0_5tupleIJS9_S6_EEENSD_IJSA_SA_EEENS0_18inequality_wrapperIZN2at6native12_GLOBAL__N_124unique_dim_cuda_templateIfEESt5tupleIJNSH_6TensorESM_SM_EERKSM_lbbbEUlllE0_EEPmJS6_EEE10hipError_tPvRmT3_T4_T5_T6_T7_T9_mT8_P12ihipStream_tbDpT10_ENKUlT_T0_E_clISt17integral_constantIbLb1EES1C_EEDaS17_S18_EUlS17_E_NS1_11comp_targetILNS1_3genE8ELNS1_11target_archE1030ELNS1_3gpuE2ELNS1_3repE0EEENS1_30default_config_static_selectorELNS0_4arch9wavefront6targetE0EEEvT1_
                                        ; -- End function
	.set _ZN7rocprim17ROCPRIM_400000_NS6detail17trampoline_kernelINS0_14default_configENS1_25partition_config_selectorILNS1_17partition_subalgoE8ElNS0_10empty_typeEbEEZZNS1_14partition_implILS5_8ELb0ES3_jPlPS6_PKS6_NS0_5tupleIJS9_S6_EEENSD_IJSA_SA_EEENS0_18inequality_wrapperIZN2at6native12_GLOBAL__N_124unique_dim_cuda_templateIfEESt5tupleIJNSH_6TensorESM_SM_EERKSM_lbbbEUlllE0_EEPmJS6_EEE10hipError_tPvRmT3_T4_T5_T6_T7_T9_mT8_P12ihipStream_tbDpT10_ENKUlT_T0_E_clISt17integral_constantIbLb1EES1C_EEDaS17_S18_EUlS17_E_NS1_11comp_targetILNS1_3genE8ELNS1_11target_archE1030ELNS1_3gpuE2ELNS1_3repE0EEENS1_30default_config_static_selectorELNS0_4arch9wavefront6targetE0EEEvT1_.num_vgpr, 0
	.set _ZN7rocprim17ROCPRIM_400000_NS6detail17trampoline_kernelINS0_14default_configENS1_25partition_config_selectorILNS1_17partition_subalgoE8ElNS0_10empty_typeEbEEZZNS1_14partition_implILS5_8ELb0ES3_jPlPS6_PKS6_NS0_5tupleIJS9_S6_EEENSD_IJSA_SA_EEENS0_18inequality_wrapperIZN2at6native12_GLOBAL__N_124unique_dim_cuda_templateIfEESt5tupleIJNSH_6TensorESM_SM_EERKSM_lbbbEUlllE0_EEPmJS6_EEE10hipError_tPvRmT3_T4_T5_T6_T7_T9_mT8_P12ihipStream_tbDpT10_ENKUlT_T0_E_clISt17integral_constantIbLb1EES1C_EEDaS17_S18_EUlS17_E_NS1_11comp_targetILNS1_3genE8ELNS1_11target_archE1030ELNS1_3gpuE2ELNS1_3repE0EEENS1_30default_config_static_selectorELNS0_4arch9wavefront6targetE0EEEvT1_.num_agpr, 0
	.set _ZN7rocprim17ROCPRIM_400000_NS6detail17trampoline_kernelINS0_14default_configENS1_25partition_config_selectorILNS1_17partition_subalgoE8ElNS0_10empty_typeEbEEZZNS1_14partition_implILS5_8ELb0ES3_jPlPS6_PKS6_NS0_5tupleIJS9_S6_EEENSD_IJSA_SA_EEENS0_18inequality_wrapperIZN2at6native12_GLOBAL__N_124unique_dim_cuda_templateIfEESt5tupleIJNSH_6TensorESM_SM_EERKSM_lbbbEUlllE0_EEPmJS6_EEE10hipError_tPvRmT3_T4_T5_T6_T7_T9_mT8_P12ihipStream_tbDpT10_ENKUlT_T0_E_clISt17integral_constantIbLb1EES1C_EEDaS17_S18_EUlS17_E_NS1_11comp_targetILNS1_3genE8ELNS1_11target_archE1030ELNS1_3gpuE2ELNS1_3repE0EEENS1_30default_config_static_selectorELNS0_4arch9wavefront6targetE0EEEvT1_.numbered_sgpr, 0
	.set _ZN7rocprim17ROCPRIM_400000_NS6detail17trampoline_kernelINS0_14default_configENS1_25partition_config_selectorILNS1_17partition_subalgoE8ElNS0_10empty_typeEbEEZZNS1_14partition_implILS5_8ELb0ES3_jPlPS6_PKS6_NS0_5tupleIJS9_S6_EEENSD_IJSA_SA_EEENS0_18inequality_wrapperIZN2at6native12_GLOBAL__N_124unique_dim_cuda_templateIfEESt5tupleIJNSH_6TensorESM_SM_EERKSM_lbbbEUlllE0_EEPmJS6_EEE10hipError_tPvRmT3_T4_T5_T6_T7_T9_mT8_P12ihipStream_tbDpT10_ENKUlT_T0_E_clISt17integral_constantIbLb1EES1C_EEDaS17_S18_EUlS17_E_NS1_11comp_targetILNS1_3genE8ELNS1_11target_archE1030ELNS1_3gpuE2ELNS1_3repE0EEENS1_30default_config_static_selectorELNS0_4arch9wavefront6targetE0EEEvT1_.num_named_barrier, 0
	.set _ZN7rocprim17ROCPRIM_400000_NS6detail17trampoline_kernelINS0_14default_configENS1_25partition_config_selectorILNS1_17partition_subalgoE8ElNS0_10empty_typeEbEEZZNS1_14partition_implILS5_8ELb0ES3_jPlPS6_PKS6_NS0_5tupleIJS9_S6_EEENSD_IJSA_SA_EEENS0_18inequality_wrapperIZN2at6native12_GLOBAL__N_124unique_dim_cuda_templateIfEESt5tupleIJNSH_6TensorESM_SM_EERKSM_lbbbEUlllE0_EEPmJS6_EEE10hipError_tPvRmT3_T4_T5_T6_T7_T9_mT8_P12ihipStream_tbDpT10_ENKUlT_T0_E_clISt17integral_constantIbLb1EES1C_EEDaS17_S18_EUlS17_E_NS1_11comp_targetILNS1_3genE8ELNS1_11target_archE1030ELNS1_3gpuE2ELNS1_3repE0EEENS1_30default_config_static_selectorELNS0_4arch9wavefront6targetE0EEEvT1_.private_seg_size, 0
	.set _ZN7rocprim17ROCPRIM_400000_NS6detail17trampoline_kernelINS0_14default_configENS1_25partition_config_selectorILNS1_17partition_subalgoE8ElNS0_10empty_typeEbEEZZNS1_14partition_implILS5_8ELb0ES3_jPlPS6_PKS6_NS0_5tupleIJS9_S6_EEENSD_IJSA_SA_EEENS0_18inequality_wrapperIZN2at6native12_GLOBAL__N_124unique_dim_cuda_templateIfEESt5tupleIJNSH_6TensorESM_SM_EERKSM_lbbbEUlllE0_EEPmJS6_EEE10hipError_tPvRmT3_T4_T5_T6_T7_T9_mT8_P12ihipStream_tbDpT10_ENKUlT_T0_E_clISt17integral_constantIbLb1EES1C_EEDaS17_S18_EUlS17_E_NS1_11comp_targetILNS1_3genE8ELNS1_11target_archE1030ELNS1_3gpuE2ELNS1_3repE0EEENS1_30default_config_static_selectorELNS0_4arch9wavefront6targetE0EEEvT1_.uses_vcc, 0
	.set _ZN7rocprim17ROCPRIM_400000_NS6detail17trampoline_kernelINS0_14default_configENS1_25partition_config_selectorILNS1_17partition_subalgoE8ElNS0_10empty_typeEbEEZZNS1_14partition_implILS5_8ELb0ES3_jPlPS6_PKS6_NS0_5tupleIJS9_S6_EEENSD_IJSA_SA_EEENS0_18inequality_wrapperIZN2at6native12_GLOBAL__N_124unique_dim_cuda_templateIfEESt5tupleIJNSH_6TensorESM_SM_EERKSM_lbbbEUlllE0_EEPmJS6_EEE10hipError_tPvRmT3_T4_T5_T6_T7_T9_mT8_P12ihipStream_tbDpT10_ENKUlT_T0_E_clISt17integral_constantIbLb1EES1C_EEDaS17_S18_EUlS17_E_NS1_11comp_targetILNS1_3genE8ELNS1_11target_archE1030ELNS1_3gpuE2ELNS1_3repE0EEENS1_30default_config_static_selectorELNS0_4arch9wavefront6targetE0EEEvT1_.uses_flat_scratch, 0
	.set _ZN7rocprim17ROCPRIM_400000_NS6detail17trampoline_kernelINS0_14default_configENS1_25partition_config_selectorILNS1_17partition_subalgoE8ElNS0_10empty_typeEbEEZZNS1_14partition_implILS5_8ELb0ES3_jPlPS6_PKS6_NS0_5tupleIJS9_S6_EEENSD_IJSA_SA_EEENS0_18inequality_wrapperIZN2at6native12_GLOBAL__N_124unique_dim_cuda_templateIfEESt5tupleIJNSH_6TensorESM_SM_EERKSM_lbbbEUlllE0_EEPmJS6_EEE10hipError_tPvRmT3_T4_T5_T6_T7_T9_mT8_P12ihipStream_tbDpT10_ENKUlT_T0_E_clISt17integral_constantIbLb1EES1C_EEDaS17_S18_EUlS17_E_NS1_11comp_targetILNS1_3genE8ELNS1_11target_archE1030ELNS1_3gpuE2ELNS1_3repE0EEENS1_30default_config_static_selectorELNS0_4arch9wavefront6targetE0EEEvT1_.has_dyn_sized_stack, 0
	.set _ZN7rocprim17ROCPRIM_400000_NS6detail17trampoline_kernelINS0_14default_configENS1_25partition_config_selectorILNS1_17partition_subalgoE8ElNS0_10empty_typeEbEEZZNS1_14partition_implILS5_8ELb0ES3_jPlPS6_PKS6_NS0_5tupleIJS9_S6_EEENSD_IJSA_SA_EEENS0_18inequality_wrapperIZN2at6native12_GLOBAL__N_124unique_dim_cuda_templateIfEESt5tupleIJNSH_6TensorESM_SM_EERKSM_lbbbEUlllE0_EEPmJS6_EEE10hipError_tPvRmT3_T4_T5_T6_T7_T9_mT8_P12ihipStream_tbDpT10_ENKUlT_T0_E_clISt17integral_constantIbLb1EES1C_EEDaS17_S18_EUlS17_E_NS1_11comp_targetILNS1_3genE8ELNS1_11target_archE1030ELNS1_3gpuE2ELNS1_3repE0EEENS1_30default_config_static_selectorELNS0_4arch9wavefront6targetE0EEEvT1_.has_recursion, 0
	.set _ZN7rocprim17ROCPRIM_400000_NS6detail17trampoline_kernelINS0_14default_configENS1_25partition_config_selectorILNS1_17partition_subalgoE8ElNS0_10empty_typeEbEEZZNS1_14partition_implILS5_8ELb0ES3_jPlPS6_PKS6_NS0_5tupleIJS9_S6_EEENSD_IJSA_SA_EEENS0_18inequality_wrapperIZN2at6native12_GLOBAL__N_124unique_dim_cuda_templateIfEESt5tupleIJNSH_6TensorESM_SM_EERKSM_lbbbEUlllE0_EEPmJS6_EEE10hipError_tPvRmT3_T4_T5_T6_T7_T9_mT8_P12ihipStream_tbDpT10_ENKUlT_T0_E_clISt17integral_constantIbLb1EES1C_EEDaS17_S18_EUlS17_E_NS1_11comp_targetILNS1_3genE8ELNS1_11target_archE1030ELNS1_3gpuE2ELNS1_3repE0EEENS1_30default_config_static_selectorELNS0_4arch9wavefront6targetE0EEEvT1_.has_indirect_call, 0
	.section	.AMDGPU.csdata,"",@progbits
; Kernel info:
; codeLenInByte = 0
; TotalNumSgprs: 0
; NumVgprs: 0
; ScratchSize: 0
; MemoryBound: 0
; FloatMode: 240
; IeeeMode: 1
; LDSByteSize: 0 bytes/workgroup (compile time only)
; SGPRBlocks: 0
; VGPRBlocks: 0
; NumSGPRsForWavesPerEU: 1
; NumVGPRsForWavesPerEU: 1
; NamedBarCnt: 0
; Occupancy: 16
; WaveLimiterHint : 0
; COMPUTE_PGM_RSRC2:SCRATCH_EN: 0
; COMPUTE_PGM_RSRC2:USER_SGPR: 2
; COMPUTE_PGM_RSRC2:TRAP_HANDLER: 0
; COMPUTE_PGM_RSRC2:TGID_X_EN: 1
; COMPUTE_PGM_RSRC2:TGID_Y_EN: 0
; COMPUTE_PGM_RSRC2:TGID_Z_EN: 0
; COMPUTE_PGM_RSRC2:TIDIG_COMP_CNT: 0
	.section	.text._ZN7rocprim17ROCPRIM_400000_NS6detail17trampoline_kernelINS0_14default_configENS1_25partition_config_selectorILNS1_17partition_subalgoE8ElNS0_10empty_typeEbEEZZNS1_14partition_implILS5_8ELb0ES3_jPlPS6_PKS6_NS0_5tupleIJS9_S6_EEENSD_IJSA_SA_EEENS0_18inequality_wrapperIZN2at6native12_GLOBAL__N_124unique_dim_cuda_templateIfEESt5tupleIJNSH_6TensorESM_SM_EERKSM_lbbbEUlllE0_EEPmJS6_EEE10hipError_tPvRmT3_T4_T5_T6_T7_T9_mT8_P12ihipStream_tbDpT10_ENKUlT_T0_E_clISt17integral_constantIbLb1EES1B_IbLb0EEEEDaS17_S18_EUlS17_E_NS1_11comp_targetILNS1_3genE0ELNS1_11target_archE4294967295ELNS1_3gpuE0ELNS1_3repE0EEENS1_30default_config_static_selectorELNS0_4arch9wavefront6targetE0EEEvT1_,"axG",@progbits,_ZN7rocprim17ROCPRIM_400000_NS6detail17trampoline_kernelINS0_14default_configENS1_25partition_config_selectorILNS1_17partition_subalgoE8ElNS0_10empty_typeEbEEZZNS1_14partition_implILS5_8ELb0ES3_jPlPS6_PKS6_NS0_5tupleIJS9_S6_EEENSD_IJSA_SA_EEENS0_18inequality_wrapperIZN2at6native12_GLOBAL__N_124unique_dim_cuda_templateIfEESt5tupleIJNSH_6TensorESM_SM_EERKSM_lbbbEUlllE0_EEPmJS6_EEE10hipError_tPvRmT3_T4_T5_T6_T7_T9_mT8_P12ihipStream_tbDpT10_ENKUlT_T0_E_clISt17integral_constantIbLb1EES1B_IbLb0EEEEDaS17_S18_EUlS17_E_NS1_11comp_targetILNS1_3genE0ELNS1_11target_archE4294967295ELNS1_3gpuE0ELNS1_3repE0EEENS1_30default_config_static_selectorELNS0_4arch9wavefront6targetE0EEEvT1_,comdat
	.globl	_ZN7rocprim17ROCPRIM_400000_NS6detail17trampoline_kernelINS0_14default_configENS1_25partition_config_selectorILNS1_17partition_subalgoE8ElNS0_10empty_typeEbEEZZNS1_14partition_implILS5_8ELb0ES3_jPlPS6_PKS6_NS0_5tupleIJS9_S6_EEENSD_IJSA_SA_EEENS0_18inequality_wrapperIZN2at6native12_GLOBAL__N_124unique_dim_cuda_templateIfEESt5tupleIJNSH_6TensorESM_SM_EERKSM_lbbbEUlllE0_EEPmJS6_EEE10hipError_tPvRmT3_T4_T5_T6_T7_T9_mT8_P12ihipStream_tbDpT10_ENKUlT_T0_E_clISt17integral_constantIbLb1EES1B_IbLb0EEEEDaS17_S18_EUlS17_E_NS1_11comp_targetILNS1_3genE0ELNS1_11target_archE4294967295ELNS1_3gpuE0ELNS1_3repE0EEENS1_30default_config_static_selectorELNS0_4arch9wavefront6targetE0EEEvT1_ ; -- Begin function _ZN7rocprim17ROCPRIM_400000_NS6detail17trampoline_kernelINS0_14default_configENS1_25partition_config_selectorILNS1_17partition_subalgoE8ElNS0_10empty_typeEbEEZZNS1_14partition_implILS5_8ELb0ES3_jPlPS6_PKS6_NS0_5tupleIJS9_S6_EEENSD_IJSA_SA_EEENS0_18inequality_wrapperIZN2at6native12_GLOBAL__N_124unique_dim_cuda_templateIfEESt5tupleIJNSH_6TensorESM_SM_EERKSM_lbbbEUlllE0_EEPmJS6_EEE10hipError_tPvRmT3_T4_T5_T6_T7_T9_mT8_P12ihipStream_tbDpT10_ENKUlT_T0_E_clISt17integral_constantIbLb1EES1B_IbLb0EEEEDaS17_S18_EUlS17_E_NS1_11comp_targetILNS1_3genE0ELNS1_11target_archE4294967295ELNS1_3gpuE0ELNS1_3repE0EEENS1_30default_config_static_selectorELNS0_4arch9wavefront6targetE0EEEvT1_
	.p2align	8
	.type	_ZN7rocprim17ROCPRIM_400000_NS6detail17trampoline_kernelINS0_14default_configENS1_25partition_config_selectorILNS1_17partition_subalgoE8ElNS0_10empty_typeEbEEZZNS1_14partition_implILS5_8ELb0ES3_jPlPS6_PKS6_NS0_5tupleIJS9_S6_EEENSD_IJSA_SA_EEENS0_18inequality_wrapperIZN2at6native12_GLOBAL__N_124unique_dim_cuda_templateIfEESt5tupleIJNSH_6TensorESM_SM_EERKSM_lbbbEUlllE0_EEPmJS6_EEE10hipError_tPvRmT3_T4_T5_T6_T7_T9_mT8_P12ihipStream_tbDpT10_ENKUlT_T0_E_clISt17integral_constantIbLb1EES1B_IbLb0EEEEDaS17_S18_EUlS17_E_NS1_11comp_targetILNS1_3genE0ELNS1_11target_archE4294967295ELNS1_3gpuE0ELNS1_3repE0EEENS1_30default_config_static_selectorELNS0_4arch9wavefront6targetE0EEEvT1_,@function
_ZN7rocprim17ROCPRIM_400000_NS6detail17trampoline_kernelINS0_14default_configENS1_25partition_config_selectorILNS1_17partition_subalgoE8ElNS0_10empty_typeEbEEZZNS1_14partition_implILS5_8ELb0ES3_jPlPS6_PKS6_NS0_5tupleIJS9_S6_EEENSD_IJSA_SA_EEENS0_18inequality_wrapperIZN2at6native12_GLOBAL__N_124unique_dim_cuda_templateIfEESt5tupleIJNSH_6TensorESM_SM_EERKSM_lbbbEUlllE0_EEPmJS6_EEE10hipError_tPvRmT3_T4_T5_T6_T7_T9_mT8_P12ihipStream_tbDpT10_ENKUlT_T0_E_clISt17integral_constantIbLb1EES1B_IbLb0EEEEDaS17_S18_EUlS17_E_NS1_11comp_targetILNS1_3genE0ELNS1_11target_archE4294967295ELNS1_3gpuE0ELNS1_3repE0EEENS1_30default_config_static_selectorELNS0_4arch9wavefront6targetE0EEEvT1_: ; @_ZN7rocprim17ROCPRIM_400000_NS6detail17trampoline_kernelINS0_14default_configENS1_25partition_config_selectorILNS1_17partition_subalgoE8ElNS0_10empty_typeEbEEZZNS1_14partition_implILS5_8ELb0ES3_jPlPS6_PKS6_NS0_5tupleIJS9_S6_EEENSD_IJSA_SA_EEENS0_18inequality_wrapperIZN2at6native12_GLOBAL__N_124unique_dim_cuda_templateIfEESt5tupleIJNSH_6TensorESM_SM_EERKSM_lbbbEUlllE0_EEPmJS6_EEE10hipError_tPvRmT3_T4_T5_T6_T7_T9_mT8_P12ihipStream_tbDpT10_ENKUlT_T0_E_clISt17integral_constantIbLb1EES1B_IbLb0EEEEDaS17_S18_EUlS17_E_NS1_11comp_targetILNS1_3genE0ELNS1_11target_archE4294967295ELNS1_3gpuE0ELNS1_3repE0EEENS1_30default_config_static_selectorELNS0_4arch9wavefront6targetE0EEEvT1_
; %bb.0:
	s_endpgm
	.section	.rodata,"a",@progbits
	.p2align	6, 0x0
	.amdhsa_kernel _ZN7rocprim17ROCPRIM_400000_NS6detail17trampoline_kernelINS0_14default_configENS1_25partition_config_selectorILNS1_17partition_subalgoE8ElNS0_10empty_typeEbEEZZNS1_14partition_implILS5_8ELb0ES3_jPlPS6_PKS6_NS0_5tupleIJS9_S6_EEENSD_IJSA_SA_EEENS0_18inequality_wrapperIZN2at6native12_GLOBAL__N_124unique_dim_cuda_templateIfEESt5tupleIJNSH_6TensorESM_SM_EERKSM_lbbbEUlllE0_EEPmJS6_EEE10hipError_tPvRmT3_T4_T5_T6_T7_T9_mT8_P12ihipStream_tbDpT10_ENKUlT_T0_E_clISt17integral_constantIbLb1EES1B_IbLb0EEEEDaS17_S18_EUlS17_E_NS1_11comp_targetILNS1_3genE0ELNS1_11target_archE4294967295ELNS1_3gpuE0ELNS1_3repE0EEENS1_30default_config_static_selectorELNS0_4arch9wavefront6targetE0EEEvT1_
		.amdhsa_group_segment_fixed_size 0
		.amdhsa_private_segment_fixed_size 0
		.amdhsa_kernarg_size 120
		.amdhsa_user_sgpr_count 2
		.amdhsa_user_sgpr_dispatch_ptr 0
		.amdhsa_user_sgpr_queue_ptr 0
		.amdhsa_user_sgpr_kernarg_segment_ptr 1
		.amdhsa_user_sgpr_dispatch_id 0
		.amdhsa_user_sgpr_kernarg_preload_length 0
		.amdhsa_user_sgpr_kernarg_preload_offset 0
		.amdhsa_user_sgpr_private_segment_size 0
		.amdhsa_wavefront_size32 1
		.amdhsa_uses_dynamic_stack 0
		.amdhsa_enable_private_segment 0
		.amdhsa_system_sgpr_workgroup_id_x 1
		.amdhsa_system_sgpr_workgroup_id_y 0
		.amdhsa_system_sgpr_workgroup_id_z 0
		.amdhsa_system_sgpr_workgroup_info 0
		.amdhsa_system_vgpr_workitem_id 0
		.amdhsa_next_free_vgpr 1
		.amdhsa_next_free_sgpr 1
		.amdhsa_named_barrier_count 0
		.amdhsa_reserve_vcc 0
		.amdhsa_float_round_mode_32 0
		.amdhsa_float_round_mode_16_64 0
		.amdhsa_float_denorm_mode_32 3
		.amdhsa_float_denorm_mode_16_64 3
		.amdhsa_fp16_overflow 0
		.amdhsa_memory_ordered 1
		.amdhsa_forward_progress 1
		.amdhsa_inst_pref_size 1
		.amdhsa_round_robin_scheduling 0
		.amdhsa_exception_fp_ieee_invalid_op 0
		.amdhsa_exception_fp_denorm_src 0
		.amdhsa_exception_fp_ieee_div_zero 0
		.amdhsa_exception_fp_ieee_overflow 0
		.amdhsa_exception_fp_ieee_underflow 0
		.amdhsa_exception_fp_ieee_inexact 0
		.amdhsa_exception_int_div_zero 0
	.end_amdhsa_kernel
	.section	.text._ZN7rocprim17ROCPRIM_400000_NS6detail17trampoline_kernelINS0_14default_configENS1_25partition_config_selectorILNS1_17partition_subalgoE8ElNS0_10empty_typeEbEEZZNS1_14partition_implILS5_8ELb0ES3_jPlPS6_PKS6_NS0_5tupleIJS9_S6_EEENSD_IJSA_SA_EEENS0_18inequality_wrapperIZN2at6native12_GLOBAL__N_124unique_dim_cuda_templateIfEESt5tupleIJNSH_6TensorESM_SM_EERKSM_lbbbEUlllE0_EEPmJS6_EEE10hipError_tPvRmT3_T4_T5_T6_T7_T9_mT8_P12ihipStream_tbDpT10_ENKUlT_T0_E_clISt17integral_constantIbLb1EES1B_IbLb0EEEEDaS17_S18_EUlS17_E_NS1_11comp_targetILNS1_3genE0ELNS1_11target_archE4294967295ELNS1_3gpuE0ELNS1_3repE0EEENS1_30default_config_static_selectorELNS0_4arch9wavefront6targetE0EEEvT1_,"axG",@progbits,_ZN7rocprim17ROCPRIM_400000_NS6detail17trampoline_kernelINS0_14default_configENS1_25partition_config_selectorILNS1_17partition_subalgoE8ElNS0_10empty_typeEbEEZZNS1_14partition_implILS5_8ELb0ES3_jPlPS6_PKS6_NS0_5tupleIJS9_S6_EEENSD_IJSA_SA_EEENS0_18inequality_wrapperIZN2at6native12_GLOBAL__N_124unique_dim_cuda_templateIfEESt5tupleIJNSH_6TensorESM_SM_EERKSM_lbbbEUlllE0_EEPmJS6_EEE10hipError_tPvRmT3_T4_T5_T6_T7_T9_mT8_P12ihipStream_tbDpT10_ENKUlT_T0_E_clISt17integral_constantIbLb1EES1B_IbLb0EEEEDaS17_S18_EUlS17_E_NS1_11comp_targetILNS1_3genE0ELNS1_11target_archE4294967295ELNS1_3gpuE0ELNS1_3repE0EEENS1_30default_config_static_selectorELNS0_4arch9wavefront6targetE0EEEvT1_,comdat
.Lfunc_end945:
	.size	_ZN7rocprim17ROCPRIM_400000_NS6detail17trampoline_kernelINS0_14default_configENS1_25partition_config_selectorILNS1_17partition_subalgoE8ElNS0_10empty_typeEbEEZZNS1_14partition_implILS5_8ELb0ES3_jPlPS6_PKS6_NS0_5tupleIJS9_S6_EEENSD_IJSA_SA_EEENS0_18inequality_wrapperIZN2at6native12_GLOBAL__N_124unique_dim_cuda_templateIfEESt5tupleIJNSH_6TensorESM_SM_EERKSM_lbbbEUlllE0_EEPmJS6_EEE10hipError_tPvRmT3_T4_T5_T6_T7_T9_mT8_P12ihipStream_tbDpT10_ENKUlT_T0_E_clISt17integral_constantIbLb1EES1B_IbLb0EEEEDaS17_S18_EUlS17_E_NS1_11comp_targetILNS1_3genE0ELNS1_11target_archE4294967295ELNS1_3gpuE0ELNS1_3repE0EEENS1_30default_config_static_selectorELNS0_4arch9wavefront6targetE0EEEvT1_, .Lfunc_end945-_ZN7rocprim17ROCPRIM_400000_NS6detail17trampoline_kernelINS0_14default_configENS1_25partition_config_selectorILNS1_17partition_subalgoE8ElNS0_10empty_typeEbEEZZNS1_14partition_implILS5_8ELb0ES3_jPlPS6_PKS6_NS0_5tupleIJS9_S6_EEENSD_IJSA_SA_EEENS0_18inequality_wrapperIZN2at6native12_GLOBAL__N_124unique_dim_cuda_templateIfEESt5tupleIJNSH_6TensorESM_SM_EERKSM_lbbbEUlllE0_EEPmJS6_EEE10hipError_tPvRmT3_T4_T5_T6_T7_T9_mT8_P12ihipStream_tbDpT10_ENKUlT_T0_E_clISt17integral_constantIbLb1EES1B_IbLb0EEEEDaS17_S18_EUlS17_E_NS1_11comp_targetILNS1_3genE0ELNS1_11target_archE4294967295ELNS1_3gpuE0ELNS1_3repE0EEENS1_30default_config_static_selectorELNS0_4arch9wavefront6targetE0EEEvT1_
                                        ; -- End function
	.set _ZN7rocprim17ROCPRIM_400000_NS6detail17trampoline_kernelINS0_14default_configENS1_25partition_config_selectorILNS1_17partition_subalgoE8ElNS0_10empty_typeEbEEZZNS1_14partition_implILS5_8ELb0ES3_jPlPS6_PKS6_NS0_5tupleIJS9_S6_EEENSD_IJSA_SA_EEENS0_18inequality_wrapperIZN2at6native12_GLOBAL__N_124unique_dim_cuda_templateIfEESt5tupleIJNSH_6TensorESM_SM_EERKSM_lbbbEUlllE0_EEPmJS6_EEE10hipError_tPvRmT3_T4_T5_T6_T7_T9_mT8_P12ihipStream_tbDpT10_ENKUlT_T0_E_clISt17integral_constantIbLb1EES1B_IbLb0EEEEDaS17_S18_EUlS17_E_NS1_11comp_targetILNS1_3genE0ELNS1_11target_archE4294967295ELNS1_3gpuE0ELNS1_3repE0EEENS1_30default_config_static_selectorELNS0_4arch9wavefront6targetE0EEEvT1_.num_vgpr, 0
	.set _ZN7rocprim17ROCPRIM_400000_NS6detail17trampoline_kernelINS0_14default_configENS1_25partition_config_selectorILNS1_17partition_subalgoE8ElNS0_10empty_typeEbEEZZNS1_14partition_implILS5_8ELb0ES3_jPlPS6_PKS6_NS0_5tupleIJS9_S6_EEENSD_IJSA_SA_EEENS0_18inequality_wrapperIZN2at6native12_GLOBAL__N_124unique_dim_cuda_templateIfEESt5tupleIJNSH_6TensorESM_SM_EERKSM_lbbbEUlllE0_EEPmJS6_EEE10hipError_tPvRmT3_T4_T5_T6_T7_T9_mT8_P12ihipStream_tbDpT10_ENKUlT_T0_E_clISt17integral_constantIbLb1EES1B_IbLb0EEEEDaS17_S18_EUlS17_E_NS1_11comp_targetILNS1_3genE0ELNS1_11target_archE4294967295ELNS1_3gpuE0ELNS1_3repE0EEENS1_30default_config_static_selectorELNS0_4arch9wavefront6targetE0EEEvT1_.num_agpr, 0
	.set _ZN7rocprim17ROCPRIM_400000_NS6detail17trampoline_kernelINS0_14default_configENS1_25partition_config_selectorILNS1_17partition_subalgoE8ElNS0_10empty_typeEbEEZZNS1_14partition_implILS5_8ELb0ES3_jPlPS6_PKS6_NS0_5tupleIJS9_S6_EEENSD_IJSA_SA_EEENS0_18inequality_wrapperIZN2at6native12_GLOBAL__N_124unique_dim_cuda_templateIfEESt5tupleIJNSH_6TensorESM_SM_EERKSM_lbbbEUlllE0_EEPmJS6_EEE10hipError_tPvRmT3_T4_T5_T6_T7_T9_mT8_P12ihipStream_tbDpT10_ENKUlT_T0_E_clISt17integral_constantIbLb1EES1B_IbLb0EEEEDaS17_S18_EUlS17_E_NS1_11comp_targetILNS1_3genE0ELNS1_11target_archE4294967295ELNS1_3gpuE0ELNS1_3repE0EEENS1_30default_config_static_selectorELNS0_4arch9wavefront6targetE0EEEvT1_.numbered_sgpr, 0
	.set _ZN7rocprim17ROCPRIM_400000_NS6detail17trampoline_kernelINS0_14default_configENS1_25partition_config_selectorILNS1_17partition_subalgoE8ElNS0_10empty_typeEbEEZZNS1_14partition_implILS5_8ELb0ES3_jPlPS6_PKS6_NS0_5tupleIJS9_S6_EEENSD_IJSA_SA_EEENS0_18inequality_wrapperIZN2at6native12_GLOBAL__N_124unique_dim_cuda_templateIfEESt5tupleIJNSH_6TensorESM_SM_EERKSM_lbbbEUlllE0_EEPmJS6_EEE10hipError_tPvRmT3_T4_T5_T6_T7_T9_mT8_P12ihipStream_tbDpT10_ENKUlT_T0_E_clISt17integral_constantIbLb1EES1B_IbLb0EEEEDaS17_S18_EUlS17_E_NS1_11comp_targetILNS1_3genE0ELNS1_11target_archE4294967295ELNS1_3gpuE0ELNS1_3repE0EEENS1_30default_config_static_selectorELNS0_4arch9wavefront6targetE0EEEvT1_.num_named_barrier, 0
	.set _ZN7rocprim17ROCPRIM_400000_NS6detail17trampoline_kernelINS0_14default_configENS1_25partition_config_selectorILNS1_17partition_subalgoE8ElNS0_10empty_typeEbEEZZNS1_14partition_implILS5_8ELb0ES3_jPlPS6_PKS6_NS0_5tupleIJS9_S6_EEENSD_IJSA_SA_EEENS0_18inequality_wrapperIZN2at6native12_GLOBAL__N_124unique_dim_cuda_templateIfEESt5tupleIJNSH_6TensorESM_SM_EERKSM_lbbbEUlllE0_EEPmJS6_EEE10hipError_tPvRmT3_T4_T5_T6_T7_T9_mT8_P12ihipStream_tbDpT10_ENKUlT_T0_E_clISt17integral_constantIbLb1EES1B_IbLb0EEEEDaS17_S18_EUlS17_E_NS1_11comp_targetILNS1_3genE0ELNS1_11target_archE4294967295ELNS1_3gpuE0ELNS1_3repE0EEENS1_30default_config_static_selectorELNS0_4arch9wavefront6targetE0EEEvT1_.private_seg_size, 0
	.set _ZN7rocprim17ROCPRIM_400000_NS6detail17trampoline_kernelINS0_14default_configENS1_25partition_config_selectorILNS1_17partition_subalgoE8ElNS0_10empty_typeEbEEZZNS1_14partition_implILS5_8ELb0ES3_jPlPS6_PKS6_NS0_5tupleIJS9_S6_EEENSD_IJSA_SA_EEENS0_18inequality_wrapperIZN2at6native12_GLOBAL__N_124unique_dim_cuda_templateIfEESt5tupleIJNSH_6TensorESM_SM_EERKSM_lbbbEUlllE0_EEPmJS6_EEE10hipError_tPvRmT3_T4_T5_T6_T7_T9_mT8_P12ihipStream_tbDpT10_ENKUlT_T0_E_clISt17integral_constantIbLb1EES1B_IbLb0EEEEDaS17_S18_EUlS17_E_NS1_11comp_targetILNS1_3genE0ELNS1_11target_archE4294967295ELNS1_3gpuE0ELNS1_3repE0EEENS1_30default_config_static_selectorELNS0_4arch9wavefront6targetE0EEEvT1_.uses_vcc, 0
	.set _ZN7rocprim17ROCPRIM_400000_NS6detail17trampoline_kernelINS0_14default_configENS1_25partition_config_selectorILNS1_17partition_subalgoE8ElNS0_10empty_typeEbEEZZNS1_14partition_implILS5_8ELb0ES3_jPlPS6_PKS6_NS0_5tupleIJS9_S6_EEENSD_IJSA_SA_EEENS0_18inequality_wrapperIZN2at6native12_GLOBAL__N_124unique_dim_cuda_templateIfEESt5tupleIJNSH_6TensorESM_SM_EERKSM_lbbbEUlllE0_EEPmJS6_EEE10hipError_tPvRmT3_T4_T5_T6_T7_T9_mT8_P12ihipStream_tbDpT10_ENKUlT_T0_E_clISt17integral_constantIbLb1EES1B_IbLb0EEEEDaS17_S18_EUlS17_E_NS1_11comp_targetILNS1_3genE0ELNS1_11target_archE4294967295ELNS1_3gpuE0ELNS1_3repE0EEENS1_30default_config_static_selectorELNS0_4arch9wavefront6targetE0EEEvT1_.uses_flat_scratch, 0
	.set _ZN7rocprim17ROCPRIM_400000_NS6detail17trampoline_kernelINS0_14default_configENS1_25partition_config_selectorILNS1_17partition_subalgoE8ElNS0_10empty_typeEbEEZZNS1_14partition_implILS5_8ELb0ES3_jPlPS6_PKS6_NS0_5tupleIJS9_S6_EEENSD_IJSA_SA_EEENS0_18inequality_wrapperIZN2at6native12_GLOBAL__N_124unique_dim_cuda_templateIfEESt5tupleIJNSH_6TensorESM_SM_EERKSM_lbbbEUlllE0_EEPmJS6_EEE10hipError_tPvRmT3_T4_T5_T6_T7_T9_mT8_P12ihipStream_tbDpT10_ENKUlT_T0_E_clISt17integral_constantIbLb1EES1B_IbLb0EEEEDaS17_S18_EUlS17_E_NS1_11comp_targetILNS1_3genE0ELNS1_11target_archE4294967295ELNS1_3gpuE0ELNS1_3repE0EEENS1_30default_config_static_selectorELNS0_4arch9wavefront6targetE0EEEvT1_.has_dyn_sized_stack, 0
	.set _ZN7rocprim17ROCPRIM_400000_NS6detail17trampoline_kernelINS0_14default_configENS1_25partition_config_selectorILNS1_17partition_subalgoE8ElNS0_10empty_typeEbEEZZNS1_14partition_implILS5_8ELb0ES3_jPlPS6_PKS6_NS0_5tupleIJS9_S6_EEENSD_IJSA_SA_EEENS0_18inequality_wrapperIZN2at6native12_GLOBAL__N_124unique_dim_cuda_templateIfEESt5tupleIJNSH_6TensorESM_SM_EERKSM_lbbbEUlllE0_EEPmJS6_EEE10hipError_tPvRmT3_T4_T5_T6_T7_T9_mT8_P12ihipStream_tbDpT10_ENKUlT_T0_E_clISt17integral_constantIbLb1EES1B_IbLb0EEEEDaS17_S18_EUlS17_E_NS1_11comp_targetILNS1_3genE0ELNS1_11target_archE4294967295ELNS1_3gpuE0ELNS1_3repE0EEENS1_30default_config_static_selectorELNS0_4arch9wavefront6targetE0EEEvT1_.has_recursion, 0
	.set _ZN7rocprim17ROCPRIM_400000_NS6detail17trampoline_kernelINS0_14default_configENS1_25partition_config_selectorILNS1_17partition_subalgoE8ElNS0_10empty_typeEbEEZZNS1_14partition_implILS5_8ELb0ES3_jPlPS6_PKS6_NS0_5tupleIJS9_S6_EEENSD_IJSA_SA_EEENS0_18inequality_wrapperIZN2at6native12_GLOBAL__N_124unique_dim_cuda_templateIfEESt5tupleIJNSH_6TensorESM_SM_EERKSM_lbbbEUlllE0_EEPmJS6_EEE10hipError_tPvRmT3_T4_T5_T6_T7_T9_mT8_P12ihipStream_tbDpT10_ENKUlT_T0_E_clISt17integral_constantIbLb1EES1B_IbLb0EEEEDaS17_S18_EUlS17_E_NS1_11comp_targetILNS1_3genE0ELNS1_11target_archE4294967295ELNS1_3gpuE0ELNS1_3repE0EEENS1_30default_config_static_selectorELNS0_4arch9wavefront6targetE0EEEvT1_.has_indirect_call, 0
	.section	.AMDGPU.csdata,"",@progbits
; Kernel info:
; codeLenInByte = 4
; TotalNumSgprs: 0
; NumVgprs: 0
; ScratchSize: 0
; MemoryBound: 0
; FloatMode: 240
; IeeeMode: 1
; LDSByteSize: 0 bytes/workgroup (compile time only)
; SGPRBlocks: 0
; VGPRBlocks: 0
; NumSGPRsForWavesPerEU: 1
; NumVGPRsForWavesPerEU: 1
; NamedBarCnt: 0
; Occupancy: 16
; WaveLimiterHint : 0
; COMPUTE_PGM_RSRC2:SCRATCH_EN: 0
; COMPUTE_PGM_RSRC2:USER_SGPR: 2
; COMPUTE_PGM_RSRC2:TRAP_HANDLER: 0
; COMPUTE_PGM_RSRC2:TGID_X_EN: 1
; COMPUTE_PGM_RSRC2:TGID_Y_EN: 0
; COMPUTE_PGM_RSRC2:TGID_Z_EN: 0
; COMPUTE_PGM_RSRC2:TIDIG_COMP_CNT: 0
	.section	.text._ZN7rocprim17ROCPRIM_400000_NS6detail17trampoline_kernelINS0_14default_configENS1_25partition_config_selectorILNS1_17partition_subalgoE8ElNS0_10empty_typeEbEEZZNS1_14partition_implILS5_8ELb0ES3_jPlPS6_PKS6_NS0_5tupleIJS9_S6_EEENSD_IJSA_SA_EEENS0_18inequality_wrapperIZN2at6native12_GLOBAL__N_124unique_dim_cuda_templateIfEESt5tupleIJNSH_6TensorESM_SM_EERKSM_lbbbEUlllE0_EEPmJS6_EEE10hipError_tPvRmT3_T4_T5_T6_T7_T9_mT8_P12ihipStream_tbDpT10_ENKUlT_T0_E_clISt17integral_constantIbLb1EES1B_IbLb0EEEEDaS17_S18_EUlS17_E_NS1_11comp_targetILNS1_3genE5ELNS1_11target_archE942ELNS1_3gpuE9ELNS1_3repE0EEENS1_30default_config_static_selectorELNS0_4arch9wavefront6targetE0EEEvT1_,"axG",@progbits,_ZN7rocprim17ROCPRIM_400000_NS6detail17trampoline_kernelINS0_14default_configENS1_25partition_config_selectorILNS1_17partition_subalgoE8ElNS0_10empty_typeEbEEZZNS1_14partition_implILS5_8ELb0ES3_jPlPS6_PKS6_NS0_5tupleIJS9_S6_EEENSD_IJSA_SA_EEENS0_18inequality_wrapperIZN2at6native12_GLOBAL__N_124unique_dim_cuda_templateIfEESt5tupleIJNSH_6TensorESM_SM_EERKSM_lbbbEUlllE0_EEPmJS6_EEE10hipError_tPvRmT3_T4_T5_T6_T7_T9_mT8_P12ihipStream_tbDpT10_ENKUlT_T0_E_clISt17integral_constantIbLb1EES1B_IbLb0EEEEDaS17_S18_EUlS17_E_NS1_11comp_targetILNS1_3genE5ELNS1_11target_archE942ELNS1_3gpuE9ELNS1_3repE0EEENS1_30default_config_static_selectorELNS0_4arch9wavefront6targetE0EEEvT1_,comdat
	.globl	_ZN7rocprim17ROCPRIM_400000_NS6detail17trampoline_kernelINS0_14default_configENS1_25partition_config_selectorILNS1_17partition_subalgoE8ElNS0_10empty_typeEbEEZZNS1_14partition_implILS5_8ELb0ES3_jPlPS6_PKS6_NS0_5tupleIJS9_S6_EEENSD_IJSA_SA_EEENS0_18inequality_wrapperIZN2at6native12_GLOBAL__N_124unique_dim_cuda_templateIfEESt5tupleIJNSH_6TensorESM_SM_EERKSM_lbbbEUlllE0_EEPmJS6_EEE10hipError_tPvRmT3_T4_T5_T6_T7_T9_mT8_P12ihipStream_tbDpT10_ENKUlT_T0_E_clISt17integral_constantIbLb1EES1B_IbLb0EEEEDaS17_S18_EUlS17_E_NS1_11comp_targetILNS1_3genE5ELNS1_11target_archE942ELNS1_3gpuE9ELNS1_3repE0EEENS1_30default_config_static_selectorELNS0_4arch9wavefront6targetE0EEEvT1_ ; -- Begin function _ZN7rocprim17ROCPRIM_400000_NS6detail17trampoline_kernelINS0_14default_configENS1_25partition_config_selectorILNS1_17partition_subalgoE8ElNS0_10empty_typeEbEEZZNS1_14partition_implILS5_8ELb0ES3_jPlPS6_PKS6_NS0_5tupleIJS9_S6_EEENSD_IJSA_SA_EEENS0_18inequality_wrapperIZN2at6native12_GLOBAL__N_124unique_dim_cuda_templateIfEESt5tupleIJNSH_6TensorESM_SM_EERKSM_lbbbEUlllE0_EEPmJS6_EEE10hipError_tPvRmT3_T4_T5_T6_T7_T9_mT8_P12ihipStream_tbDpT10_ENKUlT_T0_E_clISt17integral_constantIbLb1EES1B_IbLb0EEEEDaS17_S18_EUlS17_E_NS1_11comp_targetILNS1_3genE5ELNS1_11target_archE942ELNS1_3gpuE9ELNS1_3repE0EEENS1_30default_config_static_selectorELNS0_4arch9wavefront6targetE0EEEvT1_
	.p2align	8
	.type	_ZN7rocprim17ROCPRIM_400000_NS6detail17trampoline_kernelINS0_14default_configENS1_25partition_config_selectorILNS1_17partition_subalgoE8ElNS0_10empty_typeEbEEZZNS1_14partition_implILS5_8ELb0ES3_jPlPS6_PKS6_NS0_5tupleIJS9_S6_EEENSD_IJSA_SA_EEENS0_18inequality_wrapperIZN2at6native12_GLOBAL__N_124unique_dim_cuda_templateIfEESt5tupleIJNSH_6TensorESM_SM_EERKSM_lbbbEUlllE0_EEPmJS6_EEE10hipError_tPvRmT3_T4_T5_T6_T7_T9_mT8_P12ihipStream_tbDpT10_ENKUlT_T0_E_clISt17integral_constantIbLb1EES1B_IbLb0EEEEDaS17_S18_EUlS17_E_NS1_11comp_targetILNS1_3genE5ELNS1_11target_archE942ELNS1_3gpuE9ELNS1_3repE0EEENS1_30default_config_static_selectorELNS0_4arch9wavefront6targetE0EEEvT1_,@function
_ZN7rocprim17ROCPRIM_400000_NS6detail17trampoline_kernelINS0_14default_configENS1_25partition_config_selectorILNS1_17partition_subalgoE8ElNS0_10empty_typeEbEEZZNS1_14partition_implILS5_8ELb0ES3_jPlPS6_PKS6_NS0_5tupleIJS9_S6_EEENSD_IJSA_SA_EEENS0_18inequality_wrapperIZN2at6native12_GLOBAL__N_124unique_dim_cuda_templateIfEESt5tupleIJNSH_6TensorESM_SM_EERKSM_lbbbEUlllE0_EEPmJS6_EEE10hipError_tPvRmT3_T4_T5_T6_T7_T9_mT8_P12ihipStream_tbDpT10_ENKUlT_T0_E_clISt17integral_constantIbLb1EES1B_IbLb0EEEEDaS17_S18_EUlS17_E_NS1_11comp_targetILNS1_3genE5ELNS1_11target_archE942ELNS1_3gpuE9ELNS1_3repE0EEENS1_30default_config_static_selectorELNS0_4arch9wavefront6targetE0EEEvT1_: ; @_ZN7rocprim17ROCPRIM_400000_NS6detail17trampoline_kernelINS0_14default_configENS1_25partition_config_selectorILNS1_17partition_subalgoE8ElNS0_10empty_typeEbEEZZNS1_14partition_implILS5_8ELb0ES3_jPlPS6_PKS6_NS0_5tupleIJS9_S6_EEENSD_IJSA_SA_EEENS0_18inequality_wrapperIZN2at6native12_GLOBAL__N_124unique_dim_cuda_templateIfEESt5tupleIJNSH_6TensorESM_SM_EERKSM_lbbbEUlllE0_EEPmJS6_EEE10hipError_tPvRmT3_T4_T5_T6_T7_T9_mT8_P12ihipStream_tbDpT10_ENKUlT_T0_E_clISt17integral_constantIbLb1EES1B_IbLb0EEEEDaS17_S18_EUlS17_E_NS1_11comp_targetILNS1_3genE5ELNS1_11target_archE942ELNS1_3gpuE9ELNS1_3repE0EEENS1_30default_config_static_selectorELNS0_4arch9wavefront6targetE0EEEvT1_
; %bb.0:
	.section	.rodata,"a",@progbits
	.p2align	6, 0x0
	.amdhsa_kernel _ZN7rocprim17ROCPRIM_400000_NS6detail17trampoline_kernelINS0_14default_configENS1_25partition_config_selectorILNS1_17partition_subalgoE8ElNS0_10empty_typeEbEEZZNS1_14partition_implILS5_8ELb0ES3_jPlPS6_PKS6_NS0_5tupleIJS9_S6_EEENSD_IJSA_SA_EEENS0_18inequality_wrapperIZN2at6native12_GLOBAL__N_124unique_dim_cuda_templateIfEESt5tupleIJNSH_6TensorESM_SM_EERKSM_lbbbEUlllE0_EEPmJS6_EEE10hipError_tPvRmT3_T4_T5_T6_T7_T9_mT8_P12ihipStream_tbDpT10_ENKUlT_T0_E_clISt17integral_constantIbLb1EES1B_IbLb0EEEEDaS17_S18_EUlS17_E_NS1_11comp_targetILNS1_3genE5ELNS1_11target_archE942ELNS1_3gpuE9ELNS1_3repE0EEENS1_30default_config_static_selectorELNS0_4arch9wavefront6targetE0EEEvT1_
		.amdhsa_group_segment_fixed_size 0
		.amdhsa_private_segment_fixed_size 0
		.amdhsa_kernarg_size 120
		.amdhsa_user_sgpr_count 2
		.amdhsa_user_sgpr_dispatch_ptr 0
		.amdhsa_user_sgpr_queue_ptr 0
		.amdhsa_user_sgpr_kernarg_segment_ptr 1
		.amdhsa_user_sgpr_dispatch_id 0
		.amdhsa_user_sgpr_kernarg_preload_length 0
		.amdhsa_user_sgpr_kernarg_preload_offset 0
		.amdhsa_user_sgpr_private_segment_size 0
		.amdhsa_wavefront_size32 1
		.amdhsa_uses_dynamic_stack 0
		.amdhsa_enable_private_segment 0
		.amdhsa_system_sgpr_workgroup_id_x 1
		.amdhsa_system_sgpr_workgroup_id_y 0
		.amdhsa_system_sgpr_workgroup_id_z 0
		.amdhsa_system_sgpr_workgroup_info 0
		.amdhsa_system_vgpr_workitem_id 0
		.amdhsa_next_free_vgpr 1
		.amdhsa_next_free_sgpr 1
		.amdhsa_named_barrier_count 0
		.amdhsa_reserve_vcc 0
		.amdhsa_float_round_mode_32 0
		.amdhsa_float_round_mode_16_64 0
		.amdhsa_float_denorm_mode_32 3
		.amdhsa_float_denorm_mode_16_64 3
		.amdhsa_fp16_overflow 0
		.amdhsa_memory_ordered 1
		.amdhsa_forward_progress 1
		.amdhsa_inst_pref_size 0
		.amdhsa_round_robin_scheduling 0
		.amdhsa_exception_fp_ieee_invalid_op 0
		.amdhsa_exception_fp_denorm_src 0
		.amdhsa_exception_fp_ieee_div_zero 0
		.amdhsa_exception_fp_ieee_overflow 0
		.amdhsa_exception_fp_ieee_underflow 0
		.amdhsa_exception_fp_ieee_inexact 0
		.amdhsa_exception_int_div_zero 0
	.end_amdhsa_kernel
	.section	.text._ZN7rocprim17ROCPRIM_400000_NS6detail17trampoline_kernelINS0_14default_configENS1_25partition_config_selectorILNS1_17partition_subalgoE8ElNS0_10empty_typeEbEEZZNS1_14partition_implILS5_8ELb0ES3_jPlPS6_PKS6_NS0_5tupleIJS9_S6_EEENSD_IJSA_SA_EEENS0_18inequality_wrapperIZN2at6native12_GLOBAL__N_124unique_dim_cuda_templateIfEESt5tupleIJNSH_6TensorESM_SM_EERKSM_lbbbEUlllE0_EEPmJS6_EEE10hipError_tPvRmT3_T4_T5_T6_T7_T9_mT8_P12ihipStream_tbDpT10_ENKUlT_T0_E_clISt17integral_constantIbLb1EES1B_IbLb0EEEEDaS17_S18_EUlS17_E_NS1_11comp_targetILNS1_3genE5ELNS1_11target_archE942ELNS1_3gpuE9ELNS1_3repE0EEENS1_30default_config_static_selectorELNS0_4arch9wavefront6targetE0EEEvT1_,"axG",@progbits,_ZN7rocprim17ROCPRIM_400000_NS6detail17trampoline_kernelINS0_14default_configENS1_25partition_config_selectorILNS1_17partition_subalgoE8ElNS0_10empty_typeEbEEZZNS1_14partition_implILS5_8ELb0ES3_jPlPS6_PKS6_NS0_5tupleIJS9_S6_EEENSD_IJSA_SA_EEENS0_18inequality_wrapperIZN2at6native12_GLOBAL__N_124unique_dim_cuda_templateIfEESt5tupleIJNSH_6TensorESM_SM_EERKSM_lbbbEUlllE0_EEPmJS6_EEE10hipError_tPvRmT3_T4_T5_T6_T7_T9_mT8_P12ihipStream_tbDpT10_ENKUlT_T0_E_clISt17integral_constantIbLb1EES1B_IbLb0EEEEDaS17_S18_EUlS17_E_NS1_11comp_targetILNS1_3genE5ELNS1_11target_archE942ELNS1_3gpuE9ELNS1_3repE0EEENS1_30default_config_static_selectorELNS0_4arch9wavefront6targetE0EEEvT1_,comdat
.Lfunc_end946:
	.size	_ZN7rocprim17ROCPRIM_400000_NS6detail17trampoline_kernelINS0_14default_configENS1_25partition_config_selectorILNS1_17partition_subalgoE8ElNS0_10empty_typeEbEEZZNS1_14partition_implILS5_8ELb0ES3_jPlPS6_PKS6_NS0_5tupleIJS9_S6_EEENSD_IJSA_SA_EEENS0_18inequality_wrapperIZN2at6native12_GLOBAL__N_124unique_dim_cuda_templateIfEESt5tupleIJNSH_6TensorESM_SM_EERKSM_lbbbEUlllE0_EEPmJS6_EEE10hipError_tPvRmT3_T4_T5_T6_T7_T9_mT8_P12ihipStream_tbDpT10_ENKUlT_T0_E_clISt17integral_constantIbLb1EES1B_IbLb0EEEEDaS17_S18_EUlS17_E_NS1_11comp_targetILNS1_3genE5ELNS1_11target_archE942ELNS1_3gpuE9ELNS1_3repE0EEENS1_30default_config_static_selectorELNS0_4arch9wavefront6targetE0EEEvT1_, .Lfunc_end946-_ZN7rocprim17ROCPRIM_400000_NS6detail17trampoline_kernelINS0_14default_configENS1_25partition_config_selectorILNS1_17partition_subalgoE8ElNS0_10empty_typeEbEEZZNS1_14partition_implILS5_8ELb0ES3_jPlPS6_PKS6_NS0_5tupleIJS9_S6_EEENSD_IJSA_SA_EEENS0_18inequality_wrapperIZN2at6native12_GLOBAL__N_124unique_dim_cuda_templateIfEESt5tupleIJNSH_6TensorESM_SM_EERKSM_lbbbEUlllE0_EEPmJS6_EEE10hipError_tPvRmT3_T4_T5_T6_T7_T9_mT8_P12ihipStream_tbDpT10_ENKUlT_T0_E_clISt17integral_constantIbLb1EES1B_IbLb0EEEEDaS17_S18_EUlS17_E_NS1_11comp_targetILNS1_3genE5ELNS1_11target_archE942ELNS1_3gpuE9ELNS1_3repE0EEENS1_30default_config_static_selectorELNS0_4arch9wavefront6targetE0EEEvT1_
                                        ; -- End function
	.set _ZN7rocprim17ROCPRIM_400000_NS6detail17trampoline_kernelINS0_14default_configENS1_25partition_config_selectorILNS1_17partition_subalgoE8ElNS0_10empty_typeEbEEZZNS1_14partition_implILS5_8ELb0ES3_jPlPS6_PKS6_NS0_5tupleIJS9_S6_EEENSD_IJSA_SA_EEENS0_18inequality_wrapperIZN2at6native12_GLOBAL__N_124unique_dim_cuda_templateIfEESt5tupleIJNSH_6TensorESM_SM_EERKSM_lbbbEUlllE0_EEPmJS6_EEE10hipError_tPvRmT3_T4_T5_T6_T7_T9_mT8_P12ihipStream_tbDpT10_ENKUlT_T0_E_clISt17integral_constantIbLb1EES1B_IbLb0EEEEDaS17_S18_EUlS17_E_NS1_11comp_targetILNS1_3genE5ELNS1_11target_archE942ELNS1_3gpuE9ELNS1_3repE0EEENS1_30default_config_static_selectorELNS0_4arch9wavefront6targetE0EEEvT1_.num_vgpr, 0
	.set _ZN7rocprim17ROCPRIM_400000_NS6detail17trampoline_kernelINS0_14default_configENS1_25partition_config_selectorILNS1_17partition_subalgoE8ElNS0_10empty_typeEbEEZZNS1_14partition_implILS5_8ELb0ES3_jPlPS6_PKS6_NS0_5tupleIJS9_S6_EEENSD_IJSA_SA_EEENS0_18inequality_wrapperIZN2at6native12_GLOBAL__N_124unique_dim_cuda_templateIfEESt5tupleIJNSH_6TensorESM_SM_EERKSM_lbbbEUlllE0_EEPmJS6_EEE10hipError_tPvRmT3_T4_T5_T6_T7_T9_mT8_P12ihipStream_tbDpT10_ENKUlT_T0_E_clISt17integral_constantIbLb1EES1B_IbLb0EEEEDaS17_S18_EUlS17_E_NS1_11comp_targetILNS1_3genE5ELNS1_11target_archE942ELNS1_3gpuE9ELNS1_3repE0EEENS1_30default_config_static_selectorELNS0_4arch9wavefront6targetE0EEEvT1_.num_agpr, 0
	.set _ZN7rocprim17ROCPRIM_400000_NS6detail17trampoline_kernelINS0_14default_configENS1_25partition_config_selectorILNS1_17partition_subalgoE8ElNS0_10empty_typeEbEEZZNS1_14partition_implILS5_8ELb0ES3_jPlPS6_PKS6_NS0_5tupleIJS9_S6_EEENSD_IJSA_SA_EEENS0_18inequality_wrapperIZN2at6native12_GLOBAL__N_124unique_dim_cuda_templateIfEESt5tupleIJNSH_6TensorESM_SM_EERKSM_lbbbEUlllE0_EEPmJS6_EEE10hipError_tPvRmT3_T4_T5_T6_T7_T9_mT8_P12ihipStream_tbDpT10_ENKUlT_T0_E_clISt17integral_constantIbLb1EES1B_IbLb0EEEEDaS17_S18_EUlS17_E_NS1_11comp_targetILNS1_3genE5ELNS1_11target_archE942ELNS1_3gpuE9ELNS1_3repE0EEENS1_30default_config_static_selectorELNS0_4arch9wavefront6targetE0EEEvT1_.numbered_sgpr, 0
	.set _ZN7rocprim17ROCPRIM_400000_NS6detail17trampoline_kernelINS0_14default_configENS1_25partition_config_selectorILNS1_17partition_subalgoE8ElNS0_10empty_typeEbEEZZNS1_14partition_implILS5_8ELb0ES3_jPlPS6_PKS6_NS0_5tupleIJS9_S6_EEENSD_IJSA_SA_EEENS0_18inequality_wrapperIZN2at6native12_GLOBAL__N_124unique_dim_cuda_templateIfEESt5tupleIJNSH_6TensorESM_SM_EERKSM_lbbbEUlllE0_EEPmJS6_EEE10hipError_tPvRmT3_T4_T5_T6_T7_T9_mT8_P12ihipStream_tbDpT10_ENKUlT_T0_E_clISt17integral_constantIbLb1EES1B_IbLb0EEEEDaS17_S18_EUlS17_E_NS1_11comp_targetILNS1_3genE5ELNS1_11target_archE942ELNS1_3gpuE9ELNS1_3repE0EEENS1_30default_config_static_selectorELNS0_4arch9wavefront6targetE0EEEvT1_.num_named_barrier, 0
	.set _ZN7rocprim17ROCPRIM_400000_NS6detail17trampoline_kernelINS0_14default_configENS1_25partition_config_selectorILNS1_17partition_subalgoE8ElNS0_10empty_typeEbEEZZNS1_14partition_implILS5_8ELb0ES3_jPlPS6_PKS6_NS0_5tupleIJS9_S6_EEENSD_IJSA_SA_EEENS0_18inequality_wrapperIZN2at6native12_GLOBAL__N_124unique_dim_cuda_templateIfEESt5tupleIJNSH_6TensorESM_SM_EERKSM_lbbbEUlllE0_EEPmJS6_EEE10hipError_tPvRmT3_T4_T5_T6_T7_T9_mT8_P12ihipStream_tbDpT10_ENKUlT_T0_E_clISt17integral_constantIbLb1EES1B_IbLb0EEEEDaS17_S18_EUlS17_E_NS1_11comp_targetILNS1_3genE5ELNS1_11target_archE942ELNS1_3gpuE9ELNS1_3repE0EEENS1_30default_config_static_selectorELNS0_4arch9wavefront6targetE0EEEvT1_.private_seg_size, 0
	.set _ZN7rocprim17ROCPRIM_400000_NS6detail17trampoline_kernelINS0_14default_configENS1_25partition_config_selectorILNS1_17partition_subalgoE8ElNS0_10empty_typeEbEEZZNS1_14partition_implILS5_8ELb0ES3_jPlPS6_PKS6_NS0_5tupleIJS9_S6_EEENSD_IJSA_SA_EEENS0_18inequality_wrapperIZN2at6native12_GLOBAL__N_124unique_dim_cuda_templateIfEESt5tupleIJNSH_6TensorESM_SM_EERKSM_lbbbEUlllE0_EEPmJS6_EEE10hipError_tPvRmT3_T4_T5_T6_T7_T9_mT8_P12ihipStream_tbDpT10_ENKUlT_T0_E_clISt17integral_constantIbLb1EES1B_IbLb0EEEEDaS17_S18_EUlS17_E_NS1_11comp_targetILNS1_3genE5ELNS1_11target_archE942ELNS1_3gpuE9ELNS1_3repE0EEENS1_30default_config_static_selectorELNS0_4arch9wavefront6targetE0EEEvT1_.uses_vcc, 0
	.set _ZN7rocprim17ROCPRIM_400000_NS6detail17trampoline_kernelINS0_14default_configENS1_25partition_config_selectorILNS1_17partition_subalgoE8ElNS0_10empty_typeEbEEZZNS1_14partition_implILS5_8ELb0ES3_jPlPS6_PKS6_NS0_5tupleIJS9_S6_EEENSD_IJSA_SA_EEENS0_18inequality_wrapperIZN2at6native12_GLOBAL__N_124unique_dim_cuda_templateIfEESt5tupleIJNSH_6TensorESM_SM_EERKSM_lbbbEUlllE0_EEPmJS6_EEE10hipError_tPvRmT3_T4_T5_T6_T7_T9_mT8_P12ihipStream_tbDpT10_ENKUlT_T0_E_clISt17integral_constantIbLb1EES1B_IbLb0EEEEDaS17_S18_EUlS17_E_NS1_11comp_targetILNS1_3genE5ELNS1_11target_archE942ELNS1_3gpuE9ELNS1_3repE0EEENS1_30default_config_static_selectorELNS0_4arch9wavefront6targetE0EEEvT1_.uses_flat_scratch, 0
	.set _ZN7rocprim17ROCPRIM_400000_NS6detail17trampoline_kernelINS0_14default_configENS1_25partition_config_selectorILNS1_17partition_subalgoE8ElNS0_10empty_typeEbEEZZNS1_14partition_implILS5_8ELb0ES3_jPlPS6_PKS6_NS0_5tupleIJS9_S6_EEENSD_IJSA_SA_EEENS0_18inequality_wrapperIZN2at6native12_GLOBAL__N_124unique_dim_cuda_templateIfEESt5tupleIJNSH_6TensorESM_SM_EERKSM_lbbbEUlllE0_EEPmJS6_EEE10hipError_tPvRmT3_T4_T5_T6_T7_T9_mT8_P12ihipStream_tbDpT10_ENKUlT_T0_E_clISt17integral_constantIbLb1EES1B_IbLb0EEEEDaS17_S18_EUlS17_E_NS1_11comp_targetILNS1_3genE5ELNS1_11target_archE942ELNS1_3gpuE9ELNS1_3repE0EEENS1_30default_config_static_selectorELNS0_4arch9wavefront6targetE0EEEvT1_.has_dyn_sized_stack, 0
	.set _ZN7rocprim17ROCPRIM_400000_NS6detail17trampoline_kernelINS0_14default_configENS1_25partition_config_selectorILNS1_17partition_subalgoE8ElNS0_10empty_typeEbEEZZNS1_14partition_implILS5_8ELb0ES3_jPlPS6_PKS6_NS0_5tupleIJS9_S6_EEENSD_IJSA_SA_EEENS0_18inequality_wrapperIZN2at6native12_GLOBAL__N_124unique_dim_cuda_templateIfEESt5tupleIJNSH_6TensorESM_SM_EERKSM_lbbbEUlllE0_EEPmJS6_EEE10hipError_tPvRmT3_T4_T5_T6_T7_T9_mT8_P12ihipStream_tbDpT10_ENKUlT_T0_E_clISt17integral_constantIbLb1EES1B_IbLb0EEEEDaS17_S18_EUlS17_E_NS1_11comp_targetILNS1_3genE5ELNS1_11target_archE942ELNS1_3gpuE9ELNS1_3repE0EEENS1_30default_config_static_selectorELNS0_4arch9wavefront6targetE0EEEvT1_.has_recursion, 0
	.set _ZN7rocprim17ROCPRIM_400000_NS6detail17trampoline_kernelINS0_14default_configENS1_25partition_config_selectorILNS1_17partition_subalgoE8ElNS0_10empty_typeEbEEZZNS1_14partition_implILS5_8ELb0ES3_jPlPS6_PKS6_NS0_5tupleIJS9_S6_EEENSD_IJSA_SA_EEENS0_18inequality_wrapperIZN2at6native12_GLOBAL__N_124unique_dim_cuda_templateIfEESt5tupleIJNSH_6TensorESM_SM_EERKSM_lbbbEUlllE0_EEPmJS6_EEE10hipError_tPvRmT3_T4_T5_T6_T7_T9_mT8_P12ihipStream_tbDpT10_ENKUlT_T0_E_clISt17integral_constantIbLb1EES1B_IbLb0EEEEDaS17_S18_EUlS17_E_NS1_11comp_targetILNS1_3genE5ELNS1_11target_archE942ELNS1_3gpuE9ELNS1_3repE0EEENS1_30default_config_static_selectorELNS0_4arch9wavefront6targetE0EEEvT1_.has_indirect_call, 0
	.section	.AMDGPU.csdata,"",@progbits
; Kernel info:
; codeLenInByte = 0
; TotalNumSgprs: 0
; NumVgprs: 0
; ScratchSize: 0
; MemoryBound: 0
; FloatMode: 240
; IeeeMode: 1
; LDSByteSize: 0 bytes/workgroup (compile time only)
; SGPRBlocks: 0
; VGPRBlocks: 0
; NumSGPRsForWavesPerEU: 1
; NumVGPRsForWavesPerEU: 1
; NamedBarCnt: 0
; Occupancy: 16
; WaveLimiterHint : 0
; COMPUTE_PGM_RSRC2:SCRATCH_EN: 0
; COMPUTE_PGM_RSRC2:USER_SGPR: 2
; COMPUTE_PGM_RSRC2:TRAP_HANDLER: 0
; COMPUTE_PGM_RSRC2:TGID_X_EN: 1
; COMPUTE_PGM_RSRC2:TGID_Y_EN: 0
; COMPUTE_PGM_RSRC2:TGID_Z_EN: 0
; COMPUTE_PGM_RSRC2:TIDIG_COMP_CNT: 0
	.section	.text._ZN7rocprim17ROCPRIM_400000_NS6detail17trampoline_kernelINS0_14default_configENS1_25partition_config_selectorILNS1_17partition_subalgoE8ElNS0_10empty_typeEbEEZZNS1_14partition_implILS5_8ELb0ES3_jPlPS6_PKS6_NS0_5tupleIJS9_S6_EEENSD_IJSA_SA_EEENS0_18inequality_wrapperIZN2at6native12_GLOBAL__N_124unique_dim_cuda_templateIfEESt5tupleIJNSH_6TensorESM_SM_EERKSM_lbbbEUlllE0_EEPmJS6_EEE10hipError_tPvRmT3_T4_T5_T6_T7_T9_mT8_P12ihipStream_tbDpT10_ENKUlT_T0_E_clISt17integral_constantIbLb1EES1B_IbLb0EEEEDaS17_S18_EUlS17_E_NS1_11comp_targetILNS1_3genE4ELNS1_11target_archE910ELNS1_3gpuE8ELNS1_3repE0EEENS1_30default_config_static_selectorELNS0_4arch9wavefront6targetE0EEEvT1_,"axG",@progbits,_ZN7rocprim17ROCPRIM_400000_NS6detail17trampoline_kernelINS0_14default_configENS1_25partition_config_selectorILNS1_17partition_subalgoE8ElNS0_10empty_typeEbEEZZNS1_14partition_implILS5_8ELb0ES3_jPlPS6_PKS6_NS0_5tupleIJS9_S6_EEENSD_IJSA_SA_EEENS0_18inequality_wrapperIZN2at6native12_GLOBAL__N_124unique_dim_cuda_templateIfEESt5tupleIJNSH_6TensorESM_SM_EERKSM_lbbbEUlllE0_EEPmJS6_EEE10hipError_tPvRmT3_T4_T5_T6_T7_T9_mT8_P12ihipStream_tbDpT10_ENKUlT_T0_E_clISt17integral_constantIbLb1EES1B_IbLb0EEEEDaS17_S18_EUlS17_E_NS1_11comp_targetILNS1_3genE4ELNS1_11target_archE910ELNS1_3gpuE8ELNS1_3repE0EEENS1_30default_config_static_selectorELNS0_4arch9wavefront6targetE0EEEvT1_,comdat
	.globl	_ZN7rocprim17ROCPRIM_400000_NS6detail17trampoline_kernelINS0_14default_configENS1_25partition_config_selectorILNS1_17partition_subalgoE8ElNS0_10empty_typeEbEEZZNS1_14partition_implILS5_8ELb0ES3_jPlPS6_PKS6_NS0_5tupleIJS9_S6_EEENSD_IJSA_SA_EEENS0_18inequality_wrapperIZN2at6native12_GLOBAL__N_124unique_dim_cuda_templateIfEESt5tupleIJNSH_6TensorESM_SM_EERKSM_lbbbEUlllE0_EEPmJS6_EEE10hipError_tPvRmT3_T4_T5_T6_T7_T9_mT8_P12ihipStream_tbDpT10_ENKUlT_T0_E_clISt17integral_constantIbLb1EES1B_IbLb0EEEEDaS17_S18_EUlS17_E_NS1_11comp_targetILNS1_3genE4ELNS1_11target_archE910ELNS1_3gpuE8ELNS1_3repE0EEENS1_30default_config_static_selectorELNS0_4arch9wavefront6targetE0EEEvT1_ ; -- Begin function _ZN7rocprim17ROCPRIM_400000_NS6detail17trampoline_kernelINS0_14default_configENS1_25partition_config_selectorILNS1_17partition_subalgoE8ElNS0_10empty_typeEbEEZZNS1_14partition_implILS5_8ELb0ES3_jPlPS6_PKS6_NS0_5tupleIJS9_S6_EEENSD_IJSA_SA_EEENS0_18inequality_wrapperIZN2at6native12_GLOBAL__N_124unique_dim_cuda_templateIfEESt5tupleIJNSH_6TensorESM_SM_EERKSM_lbbbEUlllE0_EEPmJS6_EEE10hipError_tPvRmT3_T4_T5_T6_T7_T9_mT8_P12ihipStream_tbDpT10_ENKUlT_T0_E_clISt17integral_constantIbLb1EES1B_IbLb0EEEEDaS17_S18_EUlS17_E_NS1_11comp_targetILNS1_3genE4ELNS1_11target_archE910ELNS1_3gpuE8ELNS1_3repE0EEENS1_30default_config_static_selectorELNS0_4arch9wavefront6targetE0EEEvT1_
	.p2align	8
	.type	_ZN7rocprim17ROCPRIM_400000_NS6detail17trampoline_kernelINS0_14default_configENS1_25partition_config_selectorILNS1_17partition_subalgoE8ElNS0_10empty_typeEbEEZZNS1_14partition_implILS5_8ELb0ES3_jPlPS6_PKS6_NS0_5tupleIJS9_S6_EEENSD_IJSA_SA_EEENS0_18inequality_wrapperIZN2at6native12_GLOBAL__N_124unique_dim_cuda_templateIfEESt5tupleIJNSH_6TensorESM_SM_EERKSM_lbbbEUlllE0_EEPmJS6_EEE10hipError_tPvRmT3_T4_T5_T6_T7_T9_mT8_P12ihipStream_tbDpT10_ENKUlT_T0_E_clISt17integral_constantIbLb1EES1B_IbLb0EEEEDaS17_S18_EUlS17_E_NS1_11comp_targetILNS1_3genE4ELNS1_11target_archE910ELNS1_3gpuE8ELNS1_3repE0EEENS1_30default_config_static_selectorELNS0_4arch9wavefront6targetE0EEEvT1_,@function
_ZN7rocprim17ROCPRIM_400000_NS6detail17trampoline_kernelINS0_14default_configENS1_25partition_config_selectorILNS1_17partition_subalgoE8ElNS0_10empty_typeEbEEZZNS1_14partition_implILS5_8ELb0ES3_jPlPS6_PKS6_NS0_5tupleIJS9_S6_EEENSD_IJSA_SA_EEENS0_18inequality_wrapperIZN2at6native12_GLOBAL__N_124unique_dim_cuda_templateIfEESt5tupleIJNSH_6TensorESM_SM_EERKSM_lbbbEUlllE0_EEPmJS6_EEE10hipError_tPvRmT3_T4_T5_T6_T7_T9_mT8_P12ihipStream_tbDpT10_ENKUlT_T0_E_clISt17integral_constantIbLb1EES1B_IbLb0EEEEDaS17_S18_EUlS17_E_NS1_11comp_targetILNS1_3genE4ELNS1_11target_archE910ELNS1_3gpuE8ELNS1_3repE0EEENS1_30default_config_static_selectorELNS0_4arch9wavefront6targetE0EEEvT1_: ; @_ZN7rocprim17ROCPRIM_400000_NS6detail17trampoline_kernelINS0_14default_configENS1_25partition_config_selectorILNS1_17partition_subalgoE8ElNS0_10empty_typeEbEEZZNS1_14partition_implILS5_8ELb0ES3_jPlPS6_PKS6_NS0_5tupleIJS9_S6_EEENSD_IJSA_SA_EEENS0_18inequality_wrapperIZN2at6native12_GLOBAL__N_124unique_dim_cuda_templateIfEESt5tupleIJNSH_6TensorESM_SM_EERKSM_lbbbEUlllE0_EEPmJS6_EEE10hipError_tPvRmT3_T4_T5_T6_T7_T9_mT8_P12ihipStream_tbDpT10_ENKUlT_T0_E_clISt17integral_constantIbLb1EES1B_IbLb0EEEEDaS17_S18_EUlS17_E_NS1_11comp_targetILNS1_3genE4ELNS1_11target_archE910ELNS1_3gpuE8ELNS1_3repE0EEENS1_30default_config_static_selectorELNS0_4arch9wavefront6targetE0EEEvT1_
; %bb.0:
	.section	.rodata,"a",@progbits
	.p2align	6, 0x0
	.amdhsa_kernel _ZN7rocprim17ROCPRIM_400000_NS6detail17trampoline_kernelINS0_14default_configENS1_25partition_config_selectorILNS1_17partition_subalgoE8ElNS0_10empty_typeEbEEZZNS1_14partition_implILS5_8ELb0ES3_jPlPS6_PKS6_NS0_5tupleIJS9_S6_EEENSD_IJSA_SA_EEENS0_18inequality_wrapperIZN2at6native12_GLOBAL__N_124unique_dim_cuda_templateIfEESt5tupleIJNSH_6TensorESM_SM_EERKSM_lbbbEUlllE0_EEPmJS6_EEE10hipError_tPvRmT3_T4_T5_T6_T7_T9_mT8_P12ihipStream_tbDpT10_ENKUlT_T0_E_clISt17integral_constantIbLb1EES1B_IbLb0EEEEDaS17_S18_EUlS17_E_NS1_11comp_targetILNS1_3genE4ELNS1_11target_archE910ELNS1_3gpuE8ELNS1_3repE0EEENS1_30default_config_static_selectorELNS0_4arch9wavefront6targetE0EEEvT1_
		.amdhsa_group_segment_fixed_size 0
		.amdhsa_private_segment_fixed_size 0
		.amdhsa_kernarg_size 120
		.amdhsa_user_sgpr_count 2
		.amdhsa_user_sgpr_dispatch_ptr 0
		.amdhsa_user_sgpr_queue_ptr 0
		.amdhsa_user_sgpr_kernarg_segment_ptr 1
		.amdhsa_user_sgpr_dispatch_id 0
		.amdhsa_user_sgpr_kernarg_preload_length 0
		.amdhsa_user_sgpr_kernarg_preload_offset 0
		.amdhsa_user_sgpr_private_segment_size 0
		.amdhsa_wavefront_size32 1
		.amdhsa_uses_dynamic_stack 0
		.amdhsa_enable_private_segment 0
		.amdhsa_system_sgpr_workgroup_id_x 1
		.amdhsa_system_sgpr_workgroup_id_y 0
		.amdhsa_system_sgpr_workgroup_id_z 0
		.amdhsa_system_sgpr_workgroup_info 0
		.amdhsa_system_vgpr_workitem_id 0
		.amdhsa_next_free_vgpr 1
		.amdhsa_next_free_sgpr 1
		.amdhsa_named_barrier_count 0
		.amdhsa_reserve_vcc 0
		.amdhsa_float_round_mode_32 0
		.amdhsa_float_round_mode_16_64 0
		.amdhsa_float_denorm_mode_32 3
		.amdhsa_float_denorm_mode_16_64 3
		.amdhsa_fp16_overflow 0
		.amdhsa_memory_ordered 1
		.amdhsa_forward_progress 1
		.amdhsa_inst_pref_size 0
		.amdhsa_round_robin_scheduling 0
		.amdhsa_exception_fp_ieee_invalid_op 0
		.amdhsa_exception_fp_denorm_src 0
		.amdhsa_exception_fp_ieee_div_zero 0
		.amdhsa_exception_fp_ieee_overflow 0
		.amdhsa_exception_fp_ieee_underflow 0
		.amdhsa_exception_fp_ieee_inexact 0
		.amdhsa_exception_int_div_zero 0
	.end_amdhsa_kernel
	.section	.text._ZN7rocprim17ROCPRIM_400000_NS6detail17trampoline_kernelINS0_14default_configENS1_25partition_config_selectorILNS1_17partition_subalgoE8ElNS0_10empty_typeEbEEZZNS1_14partition_implILS5_8ELb0ES3_jPlPS6_PKS6_NS0_5tupleIJS9_S6_EEENSD_IJSA_SA_EEENS0_18inequality_wrapperIZN2at6native12_GLOBAL__N_124unique_dim_cuda_templateIfEESt5tupleIJNSH_6TensorESM_SM_EERKSM_lbbbEUlllE0_EEPmJS6_EEE10hipError_tPvRmT3_T4_T5_T6_T7_T9_mT8_P12ihipStream_tbDpT10_ENKUlT_T0_E_clISt17integral_constantIbLb1EES1B_IbLb0EEEEDaS17_S18_EUlS17_E_NS1_11comp_targetILNS1_3genE4ELNS1_11target_archE910ELNS1_3gpuE8ELNS1_3repE0EEENS1_30default_config_static_selectorELNS0_4arch9wavefront6targetE0EEEvT1_,"axG",@progbits,_ZN7rocprim17ROCPRIM_400000_NS6detail17trampoline_kernelINS0_14default_configENS1_25partition_config_selectorILNS1_17partition_subalgoE8ElNS0_10empty_typeEbEEZZNS1_14partition_implILS5_8ELb0ES3_jPlPS6_PKS6_NS0_5tupleIJS9_S6_EEENSD_IJSA_SA_EEENS0_18inequality_wrapperIZN2at6native12_GLOBAL__N_124unique_dim_cuda_templateIfEESt5tupleIJNSH_6TensorESM_SM_EERKSM_lbbbEUlllE0_EEPmJS6_EEE10hipError_tPvRmT3_T4_T5_T6_T7_T9_mT8_P12ihipStream_tbDpT10_ENKUlT_T0_E_clISt17integral_constantIbLb1EES1B_IbLb0EEEEDaS17_S18_EUlS17_E_NS1_11comp_targetILNS1_3genE4ELNS1_11target_archE910ELNS1_3gpuE8ELNS1_3repE0EEENS1_30default_config_static_selectorELNS0_4arch9wavefront6targetE0EEEvT1_,comdat
.Lfunc_end947:
	.size	_ZN7rocprim17ROCPRIM_400000_NS6detail17trampoline_kernelINS0_14default_configENS1_25partition_config_selectorILNS1_17partition_subalgoE8ElNS0_10empty_typeEbEEZZNS1_14partition_implILS5_8ELb0ES3_jPlPS6_PKS6_NS0_5tupleIJS9_S6_EEENSD_IJSA_SA_EEENS0_18inequality_wrapperIZN2at6native12_GLOBAL__N_124unique_dim_cuda_templateIfEESt5tupleIJNSH_6TensorESM_SM_EERKSM_lbbbEUlllE0_EEPmJS6_EEE10hipError_tPvRmT3_T4_T5_T6_T7_T9_mT8_P12ihipStream_tbDpT10_ENKUlT_T0_E_clISt17integral_constantIbLb1EES1B_IbLb0EEEEDaS17_S18_EUlS17_E_NS1_11comp_targetILNS1_3genE4ELNS1_11target_archE910ELNS1_3gpuE8ELNS1_3repE0EEENS1_30default_config_static_selectorELNS0_4arch9wavefront6targetE0EEEvT1_, .Lfunc_end947-_ZN7rocprim17ROCPRIM_400000_NS6detail17trampoline_kernelINS0_14default_configENS1_25partition_config_selectorILNS1_17partition_subalgoE8ElNS0_10empty_typeEbEEZZNS1_14partition_implILS5_8ELb0ES3_jPlPS6_PKS6_NS0_5tupleIJS9_S6_EEENSD_IJSA_SA_EEENS0_18inequality_wrapperIZN2at6native12_GLOBAL__N_124unique_dim_cuda_templateIfEESt5tupleIJNSH_6TensorESM_SM_EERKSM_lbbbEUlllE0_EEPmJS6_EEE10hipError_tPvRmT3_T4_T5_T6_T7_T9_mT8_P12ihipStream_tbDpT10_ENKUlT_T0_E_clISt17integral_constantIbLb1EES1B_IbLb0EEEEDaS17_S18_EUlS17_E_NS1_11comp_targetILNS1_3genE4ELNS1_11target_archE910ELNS1_3gpuE8ELNS1_3repE0EEENS1_30default_config_static_selectorELNS0_4arch9wavefront6targetE0EEEvT1_
                                        ; -- End function
	.set _ZN7rocprim17ROCPRIM_400000_NS6detail17trampoline_kernelINS0_14default_configENS1_25partition_config_selectorILNS1_17partition_subalgoE8ElNS0_10empty_typeEbEEZZNS1_14partition_implILS5_8ELb0ES3_jPlPS6_PKS6_NS0_5tupleIJS9_S6_EEENSD_IJSA_SA_EEENS0_18inequality_wrapperIZN2at6native12_GLOBAL__N_124unique_dim_cuda_templateIfEESt5tupleIJNSH_6TensorESM_SM_EERKSM_lbbbEUlllE0_EEPmJS6_EEE10hipError_tPvRmT3_T4_T5_T6_T7_T9_mT8_P12ihipStream_tbDpT10_ENKUlT_T0_E_clISt17integral_constantIbLb1EES1B_IbLb0EEEEDaS17_S18_EUlS17_E_NS1_11comp_targetILNS1_3genE4ELNS1_11target_archE910ELNS1_3gpuE8ELNS1_3repE0EEENS1_30default_config_static_selectorELNS0_4arch9wavefront6targetE0EEEvT1_.num_vgpr, 0
	.set _ZN7rocprim17ROCPRIM_400000_NS6detail17trampoline_kernelINS0_14default_configENS1_25partition_config_selectorILNS1_17partition_subalgoE8ElNS0_10empty_typeEbEEZZNS1_14partition_implILS5_8ELb0ES3_jPlPS6_PKS6_NS0_5tupleIJS9_S6_EEENSD_IJSA_SA_EEENS0_18inequality_wrapperIZN2at6native12_GLOBAL__N_124unique_dim_cuda_templateIfEESt5tupleIJNSH_6TensorESM_SM_EERKSM_lbbbEUlllE0_EEPmJS6_EEE10hipError_tPvRmT3_T4_T5_T6_T7_T9_mT8_P12ihipStream_tbDpT10_ENKUlT_T0_E_clISt17integral_constantIbLb1EES1B_IbLb0EEEEDaS17_S18_EUlS17_E_NS1_11comp_targetILNS1_3genE4ELNS1_11target_archE910ELNS1_3gpuE8ELNS1_3repE0EEENS1_30default_config_static_selectorELNS0_4arch9wavefront6targetE0EEEvT1_.num_agpr, 0
	.set _ZN7rocprim17ROCPRIM_400000_NS6detail17trampoline_kernelINS0_14default_configENS1_25partition_config_selectorILNS1_17partition_subalgoE8ElNS0_10empty_typeEbEEZZNS1_14partition_implILS5_8ELb0ES3_jPlPS6_PKS6_NS0_5tupleIJS9_S6_EEENSD_IJSA_SA_EEENS0_18inequality_wrapperIZN2at6native12_GLOBAL__N_124unique_dim_cuda_templateIfEESt5tupleIJNSH_6TensorESM_SM_EERKSM_lbbbEUlllE0_EEPmJS6_EEE10hipError_tPvRmT3_T4_T5_T6_T7_T9_mT8_P12ihipStream_tbDpT10_ENKUlT_T0_E_clISt17integral_constantIbLb1EES1B_IbLb0EEEEDaS17_S18_EUlS17_E_NS1_11comp_targetILNS1_3genE4ELNS1_11target_archE910ELNS1_3gpuE8ELNS1_3repE0EEENS1_30default_config_static_selectorELNS0_4arch9wavefront6targetE0EEEvT1_.numbered_sgpr, 0
	.set _ZN7rocprim17ROCPRIM_400000_NS6detail17trampoline_kernelINS0_14default_configENS1_25partition_config_selectorILNS1_17partition_subalgoE8ElNS0_10empty_typeEbEEZZNS1_14partition_implILS5_8ELb0ES3_jPlPS6_PKS6_NS0_5tupleIJS9_S6_EEENSD_IJSA_SA_EEENS0_18inequality_wrapperIZN2at6native12_GLOBAL__N_124unique_dim_cuda_templateIfEESt5tupleIJNSH_6TensorESM_SM_EERKSM_lbbbEUlllE0_EEPmJS6_EEE10hipError_tPvRmT3_T4_T5_T6_T7_T9_mT8_P12ihipStream_tbDpT10_ENKUlT_T0_E_clISt17integral_constantIbLb1EES1B_IbLb0EEEEDaS17_S18_EUlS17_E_NS1_11comp_targetILNS1_3genE4ELNS1_11target_archE910ELNS1_3gpuE8ELNS1_3repE0EEENS1_30default_config_static_selectorELNS0_4arch9wavefront6targetE0EEEvT1_.num_named_barrier, 0
	.set _ZN7rocprim17ROCPRIM_400000_NS6detail17trampoline_kernelINS0_14default_configENS1_25partition_config_selectorILNS1_17partition_subalgoE8ElNS0_10empty_typeEbEEZZNS1_14partition_implILS5_8ELb0ES3_jPlPS6_PKS6_NS0_5tupleIJS9_S6_EEENSD_IJSA_SA_EEENS0_18inequality_wrapperIZN2at6native12_GLOBAL__N_124unique_dim_cuda_templateIfEESt5tupleIJNSH_6TensorESM_SM_EERKSM_lbbbEUlllE0_EEPmJS6_EEE10hipError_tPvRmT3_T4_T5_T6_T7_T9_mT8_P12ihipStream_tbDpT10_ENKUlT_T0_E_clISt17integral_constantIbLb1EES1B_IbLb0EEEEDaS17_S18_EUlS17_E_NS1_11comp_targetILNS1_3genE4ELNS1_11target_archE910ELNS1_3gpuE8ELNS1_3repE0EEENS1_30default_config_static_selectorELNS0_4arch9wavefront6targetE0EEEvT1_.private_seg_size, 0
	.set _ZN7rocprim17ROCPRIM_400000_NS6detail17trampoline_kernelINS0_14default_configENS1_25partition_config_selectorILNS1_17partition_subalgoE8ElNS0_10empty_typeEbEEZZNS1_14partition_implILS5_8ELb0ES3_jPlPS6_PKS6_NS0_5tupleIJS9_S6_EEENSD_IJSA_SA_EEENS0_18inequality_wrapperIZN2at6native12_GLOBAL__N_124unique_dim_cuda_templateIfEESt5tupleIJNSH_6TensorESM_SM_EERKSM_lbbbEUlllE0_EEPmJS6_EEE10hipError_tPvRmT3_T4_T5_T6_T7_T9_mT8_P12ihipStream_tbDpT10_ENKUlT_T0_E_clISt17integral_constantIbLb1EES1B_IbLb0EEEEDaS17_S18_EUlS17_E_NS1_11comp_targetILNS1_3genE4ELNS1_11target_archE910ELNS1_3gpuE8ELNS1_3repE0EEENS1_30default_config_static_selectorELNS0_4arch9wavefront6targetE0EEEvT1_.uses_vcc, 0
	.set _ZN7rocprim17ROCPRIM_400000_NS6detail17trampoline_kernelINS0_14default_configENS1_25partition_config_selectorILNS1_17partition_subalgoE8ElNS0_10empty_typeEbEEZZNS1_14partition_implILS5_8ELb0ES3_jPlPS6_PKS6_NS0_5tupleIJS9_S6_EEENSD_IJSA_SA_EEENS0_18inequality_wrapperIZN2at6native12_GLOBAL__N_124unique_dim_cuda_templateIfEESt5tupleIJNSH_6TensorESM_SM_EERKSM_lbbbEUlllE0_EEPmJS6_EEE10hipError_tPvRmT3_T4_T5_T6_T7_T9_mT8_P12ihipStream_tbDpT10_ENKUlT_T0_E_clISt17integral_constantIbLb1EES1B_IbLb0EEEEDaS17_S18_EUlS17_E_NS1_11comp_targetILNS1_3genE4ELNS1_11target_archE910ELNS1_3gpuE8ELNS1_3repE0EEENS1_30default_config_static_selectorELNS0_4arch9wavefront6targetE0EEEvT1_.uses_flat_scratch, 0
	.set _ZN7rocprim17ROCPRIM_400000_NS6detail17trampoline_kernelINS0_14default_configENS1_25partition_config_selectorILNS1_17partition_subalgoE8ElNS0_10empty_typeEbEEZZNS1_14partition_implILS5_8ELb0ES3_jPlPS6_PKS6_NS0_5tupleIJS9_S6_EEENSD_IJSA_SA_EEENS0_18inequality_wrapperIZN2at6native12_GLOBAL__N_124unique_dim_cuda_templateIfEESt5tupleIJNSH_6TensorESM_SM_EERKSM_lbbbEUlllE0_EEPmJS6_EEE10hipError_tPvRmT3_T4_T5_T6_T7_T9_mT8_P12ihipStream_tbDpT10_ENKUlT_T0_E_clISt17integral_constantIbLb1EES1B_IbLb0EEEEDaS17_S18_EUlS17_E_NS1_11comp_targetILNS1_3genE4ELNS1_11target_archE910ELNS1_3gpuE8ELNS1_3repE0EEENS1_30default_config_static_selectorELNS0_4arch9wavefront6targetE0EEEvT1_.has_dyn_sized_stack, 0
	.set _ZN7rocprim17ROCPRIM_400000_NS6detail17trampoline_kernelINS0_14default_configENS1_25partition_config_selectorILNS1_17partition_subalgoE8ElNS0_10empty_typeEbEEZZNS1_14partition_implILS5_8ELb0ES3_jPlPS6_PKS6_NS0_5tupleIJS9_S6_EEENSD_IJSA_SA_EEENS0_18inequality_wrapperIZN2at6native12_GLOBAL__N_124unique_dim_cuda_templateIfEESt5tupleIJNSH_6TensorESM_SM_EERKSM_lbbbEUlllE0_EEPmJS6_EEE10hipError_tPvRmT3_T4_T5_T6_T7_T9_mT8_P12ihipStream_tbDpT10_ENKUlT_T0_E_clISt17integral_constantIbLb1EES1B_IbLb0EEEEDaS17_S18_EUlS17_E_NS1_11comp_targetILNS1_3genE4ELNS1_11target_archE910ELNS1_3gpuE8ELNS1_3repE0EEENS1_30default_config_static_selectorELNS0_4arch9wavefront6targetE0EEEvT1_.has_recursion, 0
	.set _ZN7rocprim17ROCPRIM_400000_NS6detail17trampoline_kernelINS0_14default_configENS1_25partition_config_selectorILNS1_17partition_subalgoE8ElNS0_10empty_typeEbEEZZNS1_14partition_implILS5_8ELb0ES3_jPlPS6_PKS6_NS0_5tupleIJS9_S6_EEENSD_IJSA_SA_EEENS0_18inequality_wrapperIZN2at6native12_GLOBAL__N_124unique_dim_cuda_templateIfEESt5tupleIJNSH_6TensorESM_SM_EERKSM_lbbbEUlllE0_EEPmJS6_EEE10hipError_tPvRmT3_T4_T5_T6_T7_T9_mT8_P12ihipStream_tbDpT10_ENKUlT_T0_E_clISt17integral_constantIbLb1EES1B_IbLb0EEEEDaS17_S18_EUlS17_E_NS1_11comp_targetILNS1_3genE4ELNS1_11target_archE910ELNS1_3gpuE8ELNS1_3repE0EEENS1_30default_config_static_selectorELNS0_4arch9wavefront6targetE0EEEvT1_.has_indirect_call, 0
	.section	.AMDGPU.csdata,"",@progbits
; Kernel info:
; codeLenInByte = 0
; TotalNumSgprs: 0
; NumVgprs: 0
; ScratchSize: 0
; MemoryBound: 0
; FloatMode: 240
; IeeeMode: 1
; LDSByteSize: 0 bytes/workgroup (compile time only)
; SGPRBlocks: 0
; VGPRBlocks: 0
; NumSGPRsForWavesPerEU: 1
; NumVGPRsForWavesPerEU: 1
; NamedBarCnt: 0
; Occupancy: 16
; WaveLimiterHint : 0
; COMPUTE_PGM_RSRC2:SCRATCH_EN: 0
; COMPUTE_PGM_RSRC2:USER_SGPR: 2
; COMPUTE_PGM_RSRC2:TRAP_HANDLER: 0
; COMPUTE_PGM_RSRC2:TGID_X_EN: 1
; COMPUTE_PGM_RSRC2:TGID_Y_EN: 0
; COMPUTE_PGM_RSRC2:TGID_Z_EN: 0
; COMPUTE_PGM_RSRC2:TIDIG_COMP_CNT: 0
	.section	.text._ZN7rocprim17ROCPRIM_400000_NS6detail17trampoline_kernelINS0_14default_configENS1_25partition_config_selectorILNS1_17partition_subalgoE8ElNS0_10empty_typeEbEEZZNS1_14partition_implILS5_8ELb0ES3_jPlPS6_PKS6_NS0_5tupleIJS9_S6_EEENSD_IJSA_SA_EEENS0_18inequality_wrapperIZN2at6native12_GLOBAL__N_124unique_dim_cuda_templateIfEESt5tupleIJNSH_6TensorESM_SM_EERKSM_lbbbEUlllE0_EEPmJS6_EEE10hipError_tPvRmT3_T4_T5_T6_T7_T9_mT8_P12ihipStream_tbDpT10_ENKUlT_T0_E_clISt17integral_constantIbLb1EES1B_IbLb0EEEEDaS17_S18_EUlS17_E_NS1_11comp_targetILNS1_3genE3ELNS1_11target_archE908ELNS1_3gpuE7ELNS1_3repE0EEENS1_30default_config_static_selectorELNS0_4arch9wavefront6targetE0EEEvT1_,"axG",@progbits,_ZN7rocprim17ROCPRIM_400000_NS6detail17trampoline_kernelINS0_14default_configENS1_25partition_config_selectorILNS1_17partition_subalgoE8ElNS0_10empty_typeEbEEZZNS1_14partition_implILS5_8ELb0ES3_jPlPS6_PKS6_NS0_5tupleIJS9_S6_EEENSD_IJSA_SA_EEENS0_18inequality_wrapperIZN2at6native12_GLOBAL__N_124unique_dim_cuda_templateIfEESt5tupleIJNSH_6TensorESM_SM_EERKSM_lbbbEUlllE0_EEPmJS6_EEE10hipError_tPvRmT3_T4_T5_T6_T7_T9_mT8_P12ihipStream_tbDpT10_ENKUlT_T0_E_clISt17integral_constantIbLb1EES1B_IbLb0EEEEDaS17_S18_EUlS17_E_NS1_11comp_targetILNS1_3genE3ELNS1_11target_archE908ELNS1_3gpuE7ELNS1_3repE0EEENS1_30default_config_static_selectorELNS0_4arch9wavefront6targetE0EEEvT1_,comdat
	.globl	_ZN7rocprim17ROCPRIM_400000_NS6detail17trampoline_kernelINS0_14default_configENS1_25partition_config_selectorILNS1_17partition_subalgoE8ElNS0_10empty_typeEbEEZZNS1_14partition_implILS5_8ELb0ES3_jPlPS6_PKS6_NS0_5tupleIJS9_S6_EEENSD_IJSA_SA_EEENS0_18inequality_wrapperIZN2at6native12_GLOBAL__N_124unique_dim_cuda_templateIfEESt5tupleIJNSH_6TensorESM_SM_EERKSM_lbbbEUlllE0_EEPmJS6_EEE10hipError_tPvRmT3_T4_T5_T6_T7_T9_mT8_P12ihipStream_tbDpT10_ENKUlT_T0_E_clISt17integral_constantIbLb1EES1B_IbLb0EEEEDaS17_S18_EUlS17_E_NS1_11comp_targetILNS1_3genE3ELNS1_11target_archE908ELNS1_3gpuE7ELNS1_3repE0EEENS1_30default_config_static_selectorELNS0_4arch9wavefront6targetE0EEEvT1_ ; -- Begin function _ZN7rocprim17ROCPRIM_400000_NS6detail17trampoline_kernelINS0_14default_configENS1_25partition_config_selectorILNS1_17partition_subalgoE8ElNS0_10empty_typeEbEEZZNS1_14partition_implILS5_8ELb0ES3_jPlPS6_PKS6_NS0_5tupleIJS9_S6_EEENSD_IJSA_SA_EEENS0_18inequality_wrapperIZN2at6native12_GLOBAL__N_124unique_dim_cuda_templateIfEESt5tupleIJNSH_6TensorESM_SM_EERKSM_lbbbEUlllE0_EEPmJS6_EEE10hipError_tPvRmT3_T4_T5_T6_T7_T9_mT8_P12ihipStream_tbDpT10_ENKUlT_T0_E_clISt17integral_constantIbLb1EES1B_IbLb0EEEEDaS17_S18_EUlS17_E_NS1_11comp_targetILNS1_3genE3ELNS1_11target_archE908ELNS1_3gpuE7ELNS1_3repE0EEENS1_30default_config_static_selectorELNS0_4arch9wavefront6targetE0EEEvT1_
	.p2align	8
	.type	_ZN7rocprim17ROCPRIM_400000_NS6detail17trampoline_kernelINS0_14default_configENS1_25partition_config_selectorILNS1_17partition_subalgoE8ElNS0_10empty_typeEbEEZZNS1_14partition_implILS5_8ELb0ES3_jPlPS6_PKS6_NS0_5tupleIJS9_S6_EEENSD_IJSA_SA_EEENS0_18inequality_wrapperIZN2at6native12_GLOBAL__N_124unique_dim_cuda_templateIfEESt5tupleIJNSH_6TensorESM_SM_EERKSM_lbbbEUlllE0_EEPmJS6_EEE10hipError_tPvRmT3_T4_T5_T6_T7_T9_mT8_P12ihipStream_tbDpT10_ENKUlT_T0_E_clISt17integral_constantIbLb1EES1B_IbLb0EEEEDaS17_S18_EUlS17_E_NS1_11comp_targetILNS1_3genE3ELNS1_11target_archE908ELNS1_3gpuE7ELNS1_3repE0EEENS1_30default_config_static_selectorELNS0_4arch9wavefront6targetE0EEEvT1_,@function
_ZN7rocprim17ROCPRIM_400000_NS6detail17trampoline_kernelINS0_14default_configENS1_25partition_config_selectorILNS1_17partition_subalgoE8ElNS0_10empty_typeEbEEZZNS1_14partition_implILS5_8ELb0ES3_jPlPS6_PKS6_NS0_5tupleIJS9_S6_EEENSD_IJSA_SA_EEENS0_18inequality_wrapperIZN2at6native12_GLOBAL__N_124unique_dim_cuda_templateIfEESt5tupleIJNSH_6TensorESM_SM_EERKSM_lbbbEUlllE0_EEPmJS6_EEE10hipError_tPvRmT3_T4_T5_T6_T7_T9_mT8_P12ihipStream_tbDpT10_ENKUlT_T0_E_clISt17integral_constantIbLb1EES1B_IbLb0EEEEDaS17_S18_EUlS17_E_NS1_11comp_targetILNS1_3genE3ELNS1_11target_archE908ELNS1_3gpuE7ELNS1_3repE0EEENS1_30default_config_static_selectorELNS0_4arch9wavefront6targetE0EEEvT1_: ; @_ZN7rocprim17ROCPRIM_400000_NS6detail17trampoline_kernelINS0_14default_configENS1_25partition_config_selectorILNS1_17partition_subalgoE8ElNS0_10empty_typeEbEEZZNS1_14partition_implILS5_8ELb0ES3_jPlPS6_PKS6_NS0_5tupleIJS9_S6_EEENSD_IJSA_SA_EEENS0_18inequality_wrapperIZN2at6native12_GLOBAL__N_124unique_dim_cuda_templateIfEESt5tupleIJNSH_6TensorESM_SM_EERKSM_lbbbEUlllE0_EEPmJS6_EEE10hipError_tPvRmT3_T4_T5_T6_T7_T9_mT8_P12ihipStream_tbDpT10_ENKUlT_T0_E_clISt17integral_constantIbLb1EES1B_IbLb0EEEEDaS17_S18_EUlS17_E_NS1_11comp_targetILNS1_3genE3ELNS1_11target_archE908ELNS1_3gpuE7ELNS1_3repE0EEENS1_30default_config_static_selectorELNS0_4arch9wavefront6targetE0EEEvT1_
; %bb.0:
	.section	.rodata,"a",@progbits
	.p2align	6, 0x0
	.amdhsa_kernel _ZN7rocprim17ROCPRIM_400000_NS6detail17trampoline_kernelINS0_14default_configENS1_25partition_config_selectorILNS1_17partition_subalgoE8ElNS0_10empty_typeEbEEZZNS1_14partition_implILS5_8ELb0ES3_jPlPS6_PKS6_NS0_5tupleIJS9_S6_EEENSD_IJSA_SA_EEENS0_18inequality_wrapperIZN2at6native12_GLOBAL__N_124unique_dim_cuda_templateIfEESt5tupleIJNSH_6TensorESM_SM_EERKSM_lbbbEUlllE0_EEPmJS6_EEE10hipError_tPvRmT3_T4_T5_T6_T7_T9_mT8_P12ihipStream_tbDpT10_ENKUlT_T0_E_clISt17integral_constantIbLb1EES1B_IbLb0EEEEDaS17_S18_EUlS17_E_NS1_11comp_targetILNS1_3genE3ELNS1_11target_archE908ELNS1_3gpuE7ELNS1_3repE0EEENS1_30default_config_static_selectorELNS0_4arch9wavefront6targetE0EEEvT1_
		.amdhsa_group_segment_fixed_size 0
		.amdhsa_private_segment_fixed_size 0
		.amdhsa_kernarg_size 120
		.amdhsa_user_sgpr_count 2
		.amdhsa_user_sgpr_dispatch_ptr 0
		.amdhsa_user_sgpr_queue_ptr 0
		.amdhsa_user_sgpr_kernarg_segment_ptr 1
		.amdhsa_user_sgpr_dispatch_id 0
		.amdhsa_user_sgpr_kernarg_preload_length 0
		.amdhsa_user_sgpr_kernarg_preload_offset 0
		.amdhsa_user_sgpr_private_segment_size 0
		.amdhsa_wavefront_size32 1
		.amdhsa_uses_dynamic_stack 0
		.amdhsa_enable_private_segment 0
		.amdhsa_system_sgpr_workgroup_id_x 1
		.amdhsa_system_sgpr_workgroup_id_y 0
		.amdhsa_system_sgpr_workgroup_id_z 0
		.amdhsa_system_sgpr_workgroup_info 0
		.amdhsa_system_vgpr_workitem_id 0
		.amdhsa_next_free_vgpr 1
		.amdhsa_next_free_sgpr 1
		.amdhsa_named_barrier_count 0
		.amdhsa_reserve_vcc 0
		.amdhsa_float_round_mode_32 0
		.amdhsa_float_round_mode_16_64 0
		.amdhsa_float_denorm_mode_32 3
		.amdhsa_float_denorm_mode_16_64 3
		.amdhsa_fp16_overflow 0
		.amdhsa_memory_ordered 1
		.amdhsa_forward_progress 1
		.amdhsa_inst_pref_size 0
		.amdhsa_round_robin_scheduling 0
		.amdhsa_exception_fp_ieee_invalid_op 0
		.amdhsa_exception_fp_denorm_src 0
		.amdhsa_exception_fp_ieee_div_zero 0
		.amdhsa_exception_fp_ieee_overflow 0
		.amdhsa_exception_fp_ieee_underflow 0
		.amdhsa_exception_fp_ieee_inexact 0
		.amdhsa_exception_int_div_zero 0
	.end_amdhsa_kernel
	.section	.text._ZN7rocprim17ROCPRIM_400000_NS6detail17trampoline_kernelINS0_14default_configENS1_25partition_config_selectorILNS1_17partition_subalgoE8ElNS0_10empty_typeEbEEZZNS1_14partition_implILS5_8ELb0ES3_jPlPS6_PKS6_NS0_5tupleIJS9_S6_EEENSD_IJSA_SA_EEENS0_18inequality_wrapperIZN2at6native12_GLOBAL__N_124unique_dim_cuda_templateIfEESt5tupleIJNSH_6TensorESM_SM_EERKSM_lbbbEUlllE0_EEPmJS6_EEE10hipError_tPvRmT3_T4_T5_T6_T7_T9_mT8_P12ihipStream_tbDpT10_ENKUlT_T0_E_clISt17integral_constantIbLb1EES1B_IbLb0EEEEDaS17_S18_EUlS17_E_NS1_11comp_targetILNS1_3genE3ELNS1_11target_archE908ELNS1_3gpuE7ELNS1_3repE0EEENS1_30default_config_static_selectorELNS0_4arch9wavefront6targetE0EEEvT1_,"axG",@progbits,_ZN7rocprim17ROCPRIM_400000_NS6detail17trampoline_kernelINS0_14default_configENS1_25partition_config_selectorILNS1_17partition_subalgoE8ElNS0_10empty_typeEbEEZZNS1_14partition_implILS5_8ELb0ES3_jPlPS6_PKS6_NS0_5tupleIJS9_S6_EEENSD_IJSA_SA_EEENS0_18inequality_wrapperIZN2at6native12_GLOBAL__N_124unique_dim_cuda_templateIfEESt5tupleIJNSH_6TensorESM_SM_EERKSM_lbbbEUlllE0_EEPmJS6_EEE10hipError_tPvRmT3_T4_T5_T6_T7_T9_mT8_P12ihipStream_tbDpT10_ENKUlT_T0_E_clISt17integral_constantIbLb1EES1B_IbLb0EEEEDaS17_S18_EUlS17_E_NS1_11comp_targetILNS1_3genE3ELNS1_11target_archE908ELNS1_3gpuE7ELNS1_3repE0EEENS1_30default_config_static_selectorELNS0_4arch9wavefront6targetE0EEEvT1_,comdat
.Lfunc_end948:
	.size	_ZN7rocprim17ROCPRIM_400000_NS6detail17trampoline_kernelINS0_14default_configENS1_25partition_config_selectorILNS1_17partition_subalgoE8ElNS0_10empty_typeEbEEZZNS1_14partition_implILS5_8ELb0ES3_jPlPS6_PKS6_NS0_5tupleIJS9_S6_EEENSD_IJSA_SA_EEENS0_18inequality_wrapperIZN2at6native12_GLOBAL__N_124unique_dim_cuda_templateIfEESt5tupleIJNSH_6TensorESM_SM_EERKSM_lbbbEUlllE0_EEPmJS6_EEE10hipError_tPvRmT3_T4_T5_T6_T7_T9_mT8_P12ihipStream_tbDpT10_ENKUlT_T0_E_clISt17integral_constantIbLb1EES1B_IbLb0EEEEDaS17_S18_EUlS17_E_NS1_11comp_targetILNS1_3genE3ELNS1_11target_archE908ELNS1_3gpuE7ELNS1_3repE0EEENS1_30default_config_static_selectorELNS0_4arch9wavefront6targetE0EEEvT1_, .Lfunc_end948-_ZN7rocprim17ROCPRIM_400000_NS6detail17trampoline_kernelINS0_14default_configENS1_25partition_config_selectorILNS1_17partition_subalgoE8ElNS0_10empty_typeEbEEZZNS1_14partition_implILS5_8ELb0ES3_jPlPS6_PKS6_NS0_5tupleIJS9_S6_EEENSD_IJSA_SA_EEENS0_18inequality_wrapperIZN2at6native12_GLOBAL__N_124unique_dim_cuda_templateIfEESt5tupleIJNSH_6TensorESM_SM_EERKSM_lbbbEUlllE0_EEPmJS6_EEE10hipError_tPvRmT3_T4_T5_T6_T7_T9_mT8_P12ihipStream_tbDpT10_ENKUlT_T0_E_clISt17integral_constantIbLb1EES1B_IbLb0EEEEDaS17_S18_EUlS17_E_NS1_11comp_targetILNS1_3genE3ELNS1_11target_archE908ELNS1_3gpuE7ELNS1_3repE0EEENS1_30default_config_static_selectorELNS0_4arch9wavefront6targetE0EEEvT1_
                                        ; -- End function
	.set _ZN7rocprim17ROCPRIM_400000_NS6detail17trampoline_kernelINS0_14default_configENS1_25partition_config_selectorILNS1_17partition_subalgoE8ElNS0_10empty_typeEbEEZZNS1_14partition_implILS5_8ELb0ES3_jPlPS6_PKS6_NS0_5tupleIJS9_S6_EEENSD_IJSA_SA_EEENS0_18inequality_wrapperIZN2at6native12_GLOBAL__N_124unique_dim_cuda_templateIfEESt5tupleIJNSH_6TensorESM_SM_EERKSM_lbbbEUlllE0_EEPmJS6_EEE10hipError_tPvRmT3_T4_T5_T6_T7_T9_mT8_P12ihipStream_tbDpT10_ENKUlT_T0_E_clISt17integral_constantIbLb1EES1B_IbLb0EEEEDaS17_S18_EUlS17_E_NS1_11comp_targetILNS1_3genE3ELNS1_11target_archE908ELNS1_3gpuE7ELNS1_3repE0EEENS1_30default_config_static_selectorELNS0_4arch9wavefront6targetE0EEEvT1_.num_vgpr, 0
	.set _ZN7rocprim17ROCPRIM_400000_NS6detail17trampoline_kernelINS0_14default_configENS1_25partition_config_selectorILNS1_17partition_subalgoE8ElNS0_10empty_typeEbEEZZNS1_14partition_implILS5_8ELb0ES3_jPlPS6_PKS6_NS0_5tupleIJS9_S6_EEENSD_IJSA_SA_EEENS0_18inequality_wrapperIZN2at6native12_GLOBAL__N_124unique_dim_cuda_templateIfEESt5tupleIJNSH_6TensorESM_SM_EERKSM_lbbbEUlllE0_EEPmJS6_EEE10hipError_tPvRmT3_T4_T5_T6_T7_T9_mT8_P12ihipStream_tbDpT10_ENKUlT_T0_E_clISt17integral_constantIbLb1EES1B_IbLb0EEEEDaS17_S18_EUlS17_E_NS1_11comp_targetILNS1_3genE3ELNS1_11target_archE908ELNS1_3gpuE7ELNS1_3repE0EEENS1_30default_config_static_selectorELNS0_4arch9wavefront6targetE0EEEvT1_.num_agpr, 0
	.set _ZN7rocprim17ROCPRIM_400000_NS6detail17trampoline_kernelINS0_14default_configENS1_25partition_config_selectorILNS1_17partition_subalgoE8ElNS0_10empty_typeEbEEZZNS1_14partition_implILS5_8ELb0ES3_jPlPS6_PKS6_NS0_5tupleIJS9_S6_EEENSD_IJSA_SA_EEENS0_18inequality_wrapperIZN2at6native12_GLOBAL__N_124unique_dim_cuda_templateIfEESt5tupleIJNSH_6TensorESM_SM_EERKSM_lbbbEUlllE0_EEPmJS6_EEE10hipError_tPvRmT3_T4_T5_T6_T7_T9_mT8_P12ihipStream_tbDpT10_ENKUlT_T0_E_clISt17integral_constantIbLb1EES1B_IbLb0EEEEDaS17_S18_EUlS17_E_NS1_11comp_targetILNS1_3genE3ELNS1_11target_archE908ELNS1_3gpuE7ELNS1_3repE0EEENS1_30default_config_static_selectorELNS0_4arch9wavefront6targetE0EEEvT1_.numbered_sgpr, 0
	.set _ZN7rocprim17ROCPRIM_400000_NS6detail17trampoline_kernelINS0_14default_configENS1_25partition_config_selectorILNS1_17partition_subalgoE8ElNS0_10empty_typeEbEEZZNS1_14partition_implILS5_8ELb0ES3_jPlPS6_PKS6_NS0_5tupleIJS9_S6_EEENSD_IJSA_SA_EEENS0_18inequality_wrapperIZN2at6native12_GLOBAL__N_124unique_dim_cuda_templateIfEESt5tupleIJNSH_6TensorESM_SM_EERKSM_lbbbEUlllE0_EEPmJS6_EEE10hipError_tPvRmT3_T4_T5_T6_T7_T9_mT8_P12ihipStream_tbDpT10_ENKUlT_T0_E_clISt17integral_constantIbLb1EES1B_IbLb0EEEEDaS17_S18_EUlS17_E_NS1_11comp_targetILNS1_3genE3ELNS1_11target_archE908ELNS1_3gpuE7ELNS1_3repE0EEENS1_30default_config_static_selectorELNS0_4arch9wavefront6targetE0EEEvT1_.num_named_barrier, 0
	.set _ZN7rocprim17ROCPRIM_400000_NS6detail17trampoline_kernelINS0_14default_configENS1_25partition_config_selectorILNS1_17partition_subalgoE8ElNS0_10empty_typeEbEEZZNS1_14partition_implILS5_8ELb0ES3_jPlPS6_PKS6_NS0_5tupleIJS9_S6_EEENSD_IJSA_SA_EEENS0_18inequality_wrapperIZN2at6native12_GLOBAL__N_124unique_dim_cuda_templateIfEESt5tupleIJNSH_6TensorESM_SM_EERKSM_lbbbEUlllE0_EEPmJS6_EEE10hipError_tPvRmT3_T4_T5_T6_T7_T9_mT8_P12ihipStream_tbDpT10_ENKUlT_T0_E_clISt17integral_constantIbLb1EES1B_IbLb0EEEEDaS17_S18_EUlS17_E_NS1_11comp_targetILNS1_3genE3ELNS1_11target_archE908ELNS1_3gpuE7ELNS1_3repE0EEENS1_30default_config_static_selectorELNS0_4arch9wavefront6targetE0EEEvT1_.private_seg_size, 0
	.set _ZN7rocprim17ROCPRIM_400000_NS6detail17trampoline_kernelINS0_14default_configENS1_25partition_config_selectorILNS1_17partition_subalgoE8ElNS0_10empty_typeEbEEZZNS1_14partition_implILS5_8ELb0ES3_jPlPS6_PKS6_NS0_5tupleIJS9_S6_EEENSD_IJSA_SA_EEENS0_18inequality_wrapperIZN2at6native12_GLOBAL__N_124unique_dim_cuda_templateIfEESt5tupleIJNSH_6TensorESM_SM_EERKSM_lbbbEUlllE0_EEPmJS6_EEE10hipError_tPvRmT3_T4_T5_T6_T7_T9_mT8_P12ihipStream_tbDpT10_ENKUlT_T0_E_clISt17integral_constantIbLb1EES1B_IbLb0EEEEDaS17_S18_EUlS17_E_NS1_11comp_targetILNS1_3genE3ELNS1_11target_archE908ELNS1_3gpuE7ELNS1_3repE0EEENS1_30default_config_static_selectorELNS0_4arch9wavefront6targetE0EEEvT1_.uses_vcc, 0
	.set _ZN7rocprim17ROCPRIM_400000_NS6detail17trampoline_kernelINS0_14default_configENS1_25partition_config_selectorILNS1_17partition_subalgoE8ElNS0_10empty_typeEbEEZZNS1_14partition_implILS5_8ELb0ES3_jPlPS6_PKS6_NS0_5tupleIJS9_S6_EEENSD_IJSA_SA_EEENS0_18inequality_wrapperIZN2at6native12_GLOBAL__N_124unique_dim_cuda_templateIfEESt5tupleIJNSH_6TensorESM_SM_EERKSM_lbbbEUlllE0_EEPmJS6_EEE10hipError_tPvRmT3_T4_T5_T6_T7_T9_mT8_P12ihipStream_tbDpT10_ENKUlT_T0_E_clISt17integral_constantIbLb1EES1B_IbLb0EEEEDaS17_S18_EUlS17_E_NS1_11comp_targetILNS1_3genE3ELNS1_11target_archE908ELNS1_3gpuE7ELNS1_3repE0EEENS1_30default_config_static_selectorELNS0_4arch9wavefront6targetE0EEEvT1_.uses_flat_scratch, 0
	.set _ZN7rocprim17ROCPRIM_400000_NS6detail17trampoline_kernelINS0_14default_configENS1_25partition_config_selectorILNS1_17partition_subalgoE8ElNS0_10empty_typeEbEEZZNS1_14partition_implILS5_8ELb0ES3_jPlPS6_PKS6_NS0_5tupleIJS9_S6_EEENSD_IJSA_SA_EEENS0_18inequality_wrapperIZN2at6native12_GLOBAL__N_124unique_dim_cuda_templateIfEESt5tupleIJNSH_6TensorESM_SM_EERKSM_lbbbEUlllE0_EEPmJS6_EEE10hipError_tPvRmT3_T4_T5_T6_T7_T9_mT8_P12ihipStream_tbDpT10_ENKUlT_T0_E_clISt17integral_constantIbLb1EES1B_IbLb0EEEEDaS17_S18_EUlS17_E_NS1_11comp_targetILNS1_3genE3ELNS1_11target_archE908ELNS1_3gpuE7ELNS1_3repE0EEENS1_30default_config_static_selectorELNS0_4arch9wavefront6targetE0EEEvT1_.has_dyn_sized_stack, 0
	.set _ZN7rocprim17ROCPRIM_400000_NS6detail17trampoline_kernelINS0_14default_configENS1_25partition_config_selectorILNS1_17partition_subalgoE8ElNS0_10empty_typeEbEEZZNS1_14partition_implILS5_8ELb0ES3_jPlPS6_PKS6_NS0_5tupleIJS9_S6_EEENSD_IJSA_SA_EEENS0_18inequality_wrapperIZN2at6native12_GLOBAL__N_124unique_dim_cuda_templateIfEESt5tupleIJNSH_6TensorESM_SM_EERKSM_lbbbEUlllE0_EEPmJS6_EEE10hipError_tPvRmT3_T4_T5_T6_T7_T9_mT8_P12ihipStream_tbDpT10_ENKUlT_T0_E_clISt17integral_constantIbLb1EES1B_IbLb0EEEEDaS17_S18_EUlS17_E_NS1_11comp_targetILNS1_3genE3ELNS1_11target_archE908ELNS1_3gpuE7ELNS1_3repE0EEENS1_30default_config_static_selectorELNS0_4arch9wavefront6targetE0EEEvT1_.has_recursion, 0
	.set _ZN7rocprim17ROCPRIM_400000_NS6detail17trampoline_kernelINS0_14default_configENS1_25partition_config_selectorILNS1_17partition_subalgoE8ElNS0_10empty_typeEbEEZZNS1_14partition_implILS5_8ELb0ES3_jPlPS6_PKS6_NS0_5tupleIJS9_S6_EEENSD_IJSA_SA_EEENS0_18inequality_wrapperIZN2at6native12_GLOBAL__N_124unique_dim_cuda_templateIfEESt5tupleIJNSH_6TensorESM_SM_EERKSM_lbbbEUlllE0_EEPmJS6_EEE10hipError_tPvRmT3_T4_T5_T6_T7_T9_mT8_P12ihipStream_tbDpT10_ENKUlT_T0_E_clISt17integral_constantIbLb1EES1B_IbLb0EEEEDaS17_S18_EUlS17_E_NS1_11comp_targetILNS1_3genE3ELNS1_11target_archE908ELNS1_3gpuE7ELNS1_3repE0EEENS1_30default_config_static_selectorELNS0_4arch9wavefront6targetE0EEEvT1_.has_indirect_call, 0
	.section	.AMDGPU.csdata,"",@progbits
; Kernel info:
; codeLenInByte = 0
; TotalNumSgprs: 0
; NumVgprs: 0
; ScratchSize: 0
; MemoryBound: 0
; FloatMode: 240
; IeeeMode: 1
; LDSByteSize: 0 bytes/workgroup (compile time only)
; SGPRBlocks: 0
; VGPRBlocks: 0
; NumSGPRsForWavesPerEU: 1
; NumVGPRsForWavesPerEU: 1
; NamedBarCnt: 0
; Occupancy: 16
; WaveLimiterHint : 0
; COMPUTE_PGM_RSRC2:SCRATCH_EN: 0
; COMPUTE_PGM_RSRC2:USER_SGPR: 2
; COMPUTE_PGM_RSRC2:TRAP_HANDLER: 0
; COMPUTE_PGM_RSRC2:TGID_X_EN: 1
; COMPUTE_PGM_RSRC2:TGID_Y_EN: 0
; COMPUTE_PGM_RSRC2:TGID_Z_EN: 0
; COMPUTE_PGM_RSRC2:TIDIG_COMP_CNT: 0
	.section	.text._ZN7rocprim17ROCPRIM_400000_NS6detail17trampoline_kernelINS0_14default_configENS1_25partition_config_selectorILNS1_17partition_subalgoE8ElNS0_10empty_typeEbEEZZNS1_14partition_implILS5_8ELb0ES3_jPlPS6_PKS6_NS0_5tupleIJS9_S6_EEENSD_IJSA_SA_EEENS0_18inequality_wrapperIZN2at6native12_GLOBAL__N_124unique_dim_cuda_templateIfEESt5tupleIJNSH_6TensorESM_SM_EERKSM_lbbbEUlllE0_EEPmJS6_EEE10hipError_tPvRmT3_T4_T5_T6_T7_T9_mT8_P12ihipStream_tbDpT10_ENKUlT_T0_E_clISt17integral_constantIbLb1EES1B_IbLb0EEEEDaS17_S18_EUlS17_E_NS1_11comp_targetILNS1_3genE2ELNS1_11target_archE906ELNS1_3gpuE6ELNS1_3repE0EEENS1_30default_config_static_selectorELNS0_4arch9wavefront6targetE0EEEvT1_,"axG",@progbits,_ZN7rocprim17ROCPRIM_400000_NS6detail17trampoline_kernelINS0_14default_configENS1_25partition_config_selectorILNS1_17partition_subalgoE8ElNS0_10empty_typeEbEEZZNS1_14partition_implILS5_8ELb0ES3_jPlPS6_PKS6_NS0_5tupleIJS9_S6_EEENSD_IJSA_SA_EEENS0_18inequality_wrapperIZN2at6native12_GLOBAL__N_124unique_dim_cuda_templateIfEESt5tupleIJNSH_6TensorESM_SM_EERKSM_lbbbEUlllE0_EEPmJS6_EEE10hipError_tPvRmT3_T4_T5_T6_T7_T9_mT8_P12ihipStream_tbDpT10_ENKUlT_T0_E_clISt17integral_constantIbLb1EES1B_IbLb0EEEEDaS17_S18_EUlS17_E_NS1_11comp_targetILNS1_3genE2ELNS1_11target_archE906ELNS1_3gpuE6ELNS1_3repE0EEENS1_30default_config_static_selectorELNS0_4arch9wavefront6targetE0EEEvT1_,comdat
	.globl	_ZN7rocprim17ROCPRIM_400000_NS6detail17trampoline_kernelINS0_14default_configENS1_25partition_config_selectorILNS1_17partition_subalgoE8ElNS0_10empty_typeEbEEZZNS1_14partition_implILS5_8ELb0ES3_jPlPS6_PKS6_NS0_5tupleIJS9_S6_EEENSD_IJSA_SA_EEENS0_18inequality_wrapperIZN2at6native12_GLOBAL__N_124unique_dim_cuda_templateIfEESt5tupleIJNSH_6TensorESM_SM_EERKSM_lbbbEUlllE0_EEPmJS6_EEE10hipError_tPvRmT3_T4_T5_T6_T7_T9_mT8_P12ihipStream_tbDpT10_ENKUlT_T0_E_clISt17integral_constantIbLb1EES1B_IbLb0EEEEDaS17_S18_EUlS17_E_NS1_11comp_targetILNS1_3genE2ELNS1_11target_archE906ELNS1_3gpuE6ELNS1_3repE0EEENS1_30default_config_static_selectorELNS0_4arch9wavefront6targetE0EEEvT1_ ; -- Begin function _ZN7rocprim17ROCPRIM_400000_NS6detail17trampoline_kernelINS0_14default_configENS1_25partition_config_selectorILNS1_17partition_subalgoE8ElNS0_10empty_typeEbEEZZNS1_14partition_implILS5_8ELb0ES3_jPlPS6_PKS6_NS0_5tupleIJS9_S6_EEENSD_IJSA_SA_EEENS0_18inequality_wrapperIZN2at6native12_GLOBAL__N_124unique_dim_cuda_templateIfEESt5tupleIJNSH_6TensorESM_SM_EERKSM_lbbbEUlllE0_EEPmJS6_EEE10hipError_tPvRmT3_T4_T5_T6_T7_T9_mT8_P12ihipStream_tbDpT10_ENKUlT_T0_E_clISt17integral_constantIbLb1EES1B_IbLb0EEEEDaS17_S18_EUlS17_E_NS1_11comp_targetILNS1_3genE2ELNS1_11target_archE906ELNS1_3gpuE6ELNS1_3repE0EEENS1_30default_config_static_selectorELNS0_4arch9wavefront6targetE0EEEvT1_
	.p2align	8
	.type	_ZN7rocprim17ROCPRIM_400000_NS6detail17trampoline_kernelINS0_14default_configENS1_25partition_config_selectorILNS1_17partition_subalgoE8ElNS0_10empty_typeEbEEZZNS1_14partition_implILS5_8ELb0ES3_jPlPS6_PKS6_NS0_5tupleIJS9_S6_EEENSD_IJSA_SA_EEENS0_18inequality_wrapperIZN2at6native12_GLOBAL__N_124unique_dim_cuda_templateIfEESt5tupleIJNSH_6TensorESM_SM_EERKSM_lbbbEUlllE0_EEPmJS6_EEE10hipError_tPvRmT3_T4_T5_T6_T7_T9_mT8_P12ihipStream_tbDpT10_ENKUlT_T0_E_clISt17integral_constantIbLb1EES1B_IbLb0EEEEDaS17_S18_EUlS17_E_NS1_11comp_targetILNS1_3genE2ELNS1_11target_archE906ELNS1_3gpuE6ELNS1_3repE0EEENS1_30default_config_static_selectorELNS0_4arch9wavefront6targetE0EEEvT1_,@function
_ZN7rocprim17ROCPRIM_400000_NS6detail17trampoline_kernelINS0_14default_configENS1_25partition_config_selectorILNS1_17partition_subalgoE8ElNS0_10empty_typeEbEEZZNS1_14partition_implILS5_8ELb0ES3_jPlPS6_PKS6_NS0_5tupleIJS9_S6_EEENSD_IJSA_SA_EEENS0_18inequality_wrapperIZN2at6native12_GLOBAL__N_124unique_dim_cuda_templateIfEESt5tupleIJNSH_6TensorESM_SM_EERKSM_lbbbEUlllE0_EEPmJS6_EEE10hipError_tPvRmT3_T4_T5_T6_T7_T9_mT8_P12ihipStream_tbDpT10_ENKUlT_T0_E_clISt17integral_constantIbLb1EES1B_IbLb0EEEEDaS17_S18_EUlS17_E_NS1_11comp_targetILNS1_3genE2ELNS1_11target_archE906ELNS1_3gpuE6ELNS1_3repE0EEENS1_30default_config_static_selectorELNS0_4arch9wavefront6targetE0EEEvT1_: ; @_ZN7rocprim17ROCPRIM_400000_NS6detail17trampoline_kernelINS0_14default_configENS1_25partition_config_selectorILNS1_17partition_subalgoE8ElNS0_10empty_typeEbEEZZNS1_14partition_implILS5_8ELb0ES3_jPlPS6_PKS6_NS0_5tupleIJS9_S6_EEENSD_IJSA_SA_EEENS0_18inequality_wrapperIZN2at6native12_GLOBAL__N_124unique_dim_cuda_templateIfEESt5tupleIJNSH_6TensorESM_SM_EERKSM_lbbbEUlllE0_EEPmJS6_EEE10hipError_tPvRmT3_T4_T5_T6_T7_T9_mT8_P12ihipStream_tbDpT10_ENKUlT_T0_E_clISt17integral_constantIbLb1EES1B_IbLb0EEEEDaS17_S18_EUlS17_E_NS1_11comp_targetILNS1_3genE2ELNS1_11target_archE906ELNS1_3gpuE6ELNS1_3repE0EEENS1_30default_config_static_selectorELNS0_4arch9wavefront6targetE0EEEvT1_
; %bb.0:
	.section	.rodata,"a",@progbits
	.p2align	6, 0x0
	.amdhsa_kernel _ZN7rocprim17ROCPRIM_400000_NS6detail17trampoline_kernelINS0_14default_configENS1_25partition_config_selectorILNS1_17partition_subalgoE8ElNS0_10empty_typeEbEEZZNS1_14partition_implILS5_8ELb0ES3_jPlPS6_PKS6_NS0_5tupleIJS9_S6_EEENSD_IJSA_SA_EEENS0_18inequality_wrapperIZN2at6native12_GLOBAL__N_124unique_dim_cuda_templateIfEESt5tupleIJNSH_6TensorESM_SM_EERKSM_lbbbEUlllE0_EEPmJS6_EEE10hipError_tPvRmT3_T4_T5_T6_T7_T9_mT8_P12ihipStream_tbDpT10_ENKUlT_T0_E_clISt17integral_constantIbLb1EES1B_IbLb0EEEEDaS17_S18_EUlS17_E_NS1_11comp_targetILNS1_3genE2ELNS1_11target_archE906ELNS1_3gpuE6ELNS1_3repE0EEENS1_30default_config_static_selectorELNS0_4arch9wavefront6targetE0EEEvT1_
		.amdhsa_group_segment_fixed_size 0
		.amdhsa_private_segment_fixed_size 0
		.amdhsa_kernarg_size 120
		.amdhsa_user_sgpr_count 2
		.amdhsa_user_sgpr_dispatch_ptr 0
		.amdhsa_user_sgpr_queue_ptr 0
		.amdhsa_user_sgpr_kernarg_segment_ptr 1
		.amdhsa_user_sgpr_dispatch_id 0
		.amdhsa_user_sgpr_kernarg_preload_length 0
		.amdhsa_user_sgpr_kernarg_preload_offset 0
		.amdhsa_user_sgpr_private_segment_size 0
		.amdhsa_wavefront_size32 1
		.amdhsa_uses_dynamic_stack 0
		.amdhsa_enable_private_segment 0
		.amdhsa_system_sgpr_workgroup_id_x 1
		.amdhsa_system_sgpr_workgroup_id_y 0
		.amdhsa_system_sgpr_workgroup_id_z 0
		.amdhsa_system_sgpr_workgroup_info 0
		.amdhsa_system_vgpr_workitem_id 0
		.amdhsa_next_free_vgpr 1
		.amdhsa_next_free_sgpr 1
		.amdhsa_named_barrier_count 0
		.amdhsa_reserve_vcc 0
		.amdhsa_float_round_mode_32 0
		.amdhsa_float_round_mode_16_64 0
		.amdhsa_float_denorm_mode_32 3
		.amdhsa_float_denorm_mode_16_64 3
		.amdhsa_fp16_overflow 0
		.amdhsa_memory_ordered 1
		.amdhsa_forward_progress 1
		.amdhsa_inst_pref_size 0
		.amdhsa_round_robin_scheduling 0
		.amdhsa_exception_fp_ieee_invalid_op 0
		.amdhsa_exception_fp_denorm_src 0
		.amdhsa_exception_fp_ieee_div_zero 0
		.amdhsa_exception_fp_ieee_overflow 0
		.amdhsa_exception_fp_ieee_underflow 0
		.amdhsa_exception_fp_ieee_inexact 0
		.amdhsa_exception_int_div_zero 0
	.end_amdhsa_kernel
	.section	.text._ZN7rocprim17ROCPRIM_400000_NS6detail17trampoline_kernelINS0_14default_configENS1_25partition_config_selectorILNS1_17partition_subalgoE8ElNS0_10empty_typeEbEEZZNS1_14partition_implILS5_8ELb0ES3_jPlPS6_PKS6_NS0_5tupleIJS9_S6_EEENSD_IJSA_SA_EEENS0_18inequality_wrapperIZN2at6native12_GLOBAL__N_124unique_dim_cuda_templateIfEESt5tupleIJNSH_6TensorESM_SM_EERKSM_lbbbEUlllE0_EEPmJS6_EEE10hipError_tPvRmT3_T4_T5_T6_T7_T9_mT8_P12ihipStream_tbDpT10_ENKUlT_T0_E_clISt17integral_constantIbLb1EES1B_IbLb0EEEEDaS17_S18_EUlS17_E_NS1_11comp_targetILNS1_3genE2ELNS1_11target_archE906ELNS1_3gpuE6ELNS1_3repE0EEENS1_30default_config_static_selectorELNS0_4arch9wavefront6targetE0EEEvT1_,"axG",@progbits,_ZN7rocprim17ROCPRIM_400000_NS6detail17trampoline_kernelINS0_14default_configENS1_25partition_config_selectorILNS1_17partition_subalgoE8ElNS0_10empty_typeEbEEZZNS1_14partition_implILS5_8ELb0ES3_jPlPS6_PKS6_NS0_5tupleIJS9_S6_EEENSD_IJSA_SA_EEENS0_18inequality_wrapperIZN2at6native12_GLOBAL__N_124unique_dim_cuda_templateIfEESt5tupleIJNSH_6TensorESM_SM_EERKSM_lbbbEUlllE0_EEPmJS6_EEE10hipError_tPvRmT3_T4_T5_T6_T7_T9_mT8_P12ihipStream_tbDpT10_ENKUlT_T0_E_clISt17integral_constantIbLb1EES1B_IbLb0EEEEDaS17_S18_EUlS17_E_NS1_11comp_targetILNS1_3genE2ELNS1_11target_archE906ELNS1_3gpuE6ELNS1_3repE0EEENS1_30default_config_static_selectorELNS0_4arch9wavefront6targetE0EEEvT1_,comdat
.Lfunc_end949:
	.size	_ZN7rocprim17ROCPRIM_400000_NS6detail17trampoline_kernelINS0_14default_configENS1_25partition_config_selectorILNS1_17partition_subalgoE8ElNS0_10empty_typeEbEEZZNS1_14partition_implILS5_8ELb0ES3_jPlPS6_PKS6_NS0_5tupleIJS9_S6_EEENSD_IJSA_SA_EEENS0_18inequality_wrapperIZN2at6native12_GLOBAL__N_124unique_dim_cuda_templateIfEESt5tupleIJNSH_6TensorESM_SM_EERKSM_lbbbEUlllE0_EEPmJS6_EEE10hipError_tPvRmT3_T4_T5_T6_T7_T9_mT8_P12ihipStream_tbDpT10_ENKUlT_T0_E_clISt17integral_constantIbLb1EES1B_IbLb0EEEEDaS17_S18_EUlS17_E_NS1_11comp_targetILNS1_3genE2ELNS1_11target_archE906ELNS1_3gpuE6ELNS1_3repE0EEENS1_30default_config_static_selectorELNS0_4arch9wavefront6targetE0EEEvT1_, .Lfunc_end949-_ZN7rocprim17ROCPRIM_400000_NS6detail17trampoline_kernelINS0_14default_configENS1_25partition_config_selectorILNS1_17partition_subalgoE8ElNS0_10empty_typeEbEEZZNS1_14partition_implILS5_8ELb0ES3_jPlPS6_PKS6_NS0_5tupleIJS9_S6_EEENSD_IJSA_SA_EEENS0_18inequality_wrapperIZN2at6native12_GLOBAL__N_124unique_dim_cuda_templateIfEESt5tupleIJNSH_6TensorESM_SM_EERKSM_lbbbEUlllE0_EEPmJS6_EEE10hipError_tPvRmT3_T4_T5_T6_T7_T9_mT8_P12ihipStream_tbDpT10_ENKUlT_T0_E_clISt17integral_constantIbLb1EES1B_IbLb0EEEEDaS17_S18_EUlS17_E_NS1_11comp_targetILNS1_3genE2ELNS1_11target_archE906ELNS1_3gpuE6ELNS1_3repE0EEENS1_30default_config_static_selectorELNS0_4arch9wavefront6targetE0EEEvT1_
                                        ; -- End function
	.set _ZN7rocprim17ROCPRIM_400000_NS6detail17trampoline_kernelINS0_14default_configENS1_25partition_config_selectorILNS1_17partition_subalgoE8ElNS0_10empty_typeEbEEZZNS1_14partition_implILS5_8ELb0ES3_jPlPS6_PKS6_NS0_5tupleIJS9_S6_EEENSD_IJSA_SA_EEENS0_18inequality_wrapperIZN2at6native12_GLOBAL__N_124unique_dim_cuda_templateIfEESt5tupleIJNSH_6TensorESM_SM_EERKSM_lbbbEUlllE0_EEPmJS6_EEE10hipError_tPvRmT3_T4_T5_T6_T7_T9_mT8_P12ihipStream_tbDpT10_ENKUlT_T0_E_clISt17integral_constantIbLb1EES1B_IbLb0EEEEDaS17_S18_EUlS17_E_NS1_11comp_targetILNS1_3genE2ELNS1_11target_archE906ELNS1_3gpuE6ELNS1_3repE0EEENS1_30default_config_static_selectorELNS0_4arch9wavefront6targetE0EEEvT1_.num_vgpr, 0
	.set _ZN7rocprim17ROCPRIM_400000_NS6detail17trampoline_kernelINS0_14default_configENS1_25partition_config_selectorILNS1_17partition_subalgoE8ElNS0_10empty_typeEbEEZZNS1_14partition_implILS5_8ELb0ES3_jPlPS6_PKS6_NS0_5tupleIJS9_S6_EEENSD_IJSA_SA_EEENS0_18inequality_wrapperIZN2at6native12_GLOBAL__N_124unique_dim_cuda_templateIfEESt5tupleIJNSH_6TensorESM_SM_EERKSM_lbbbEUlllE0_EEPmJS6_EEE10hipError_tPvRmT3_T4_T5_T6_T7_T9_mT8_P12ihipStream_tbDpT10_ENKUlT_T0_E_clISt17integral_constantIbLb1EES1B_IbLb0EEEEDaS17_S18_EUlS17_E_NS1_11comp_targetILNS1_3genE2ELNS1_11target_archE906ELNS1_3gpuE6ELNS1_3repE0EEENS1_30default_config_static_selectorELNS0_4arch9wavefront6targetE0EEEvT1_.num_agpr, 0
	.set _ZN7rocprim17ROCPRIM_400000_NS6detail17trampoline_kernelINS0_14default_configENS1_25partition_config_selectorILNS1_17partition_subalgoE8ElNS0_10empty_typeEbEEZZNS1_14partition_implILS5_8ELb0ES3_jPlPS6_PKS6_NS0_5tupleIJS9_S6_EEENSD_IJSA_SA_EEENS0_18inequality_wrapperIZN2at6native12_GLOBAL__N_124unique_dim_cuda_templateIfEESt5tupleIJNSH_6TensorESM_SM_EERKSM_lbbbEUlllE0_EEPmJS6_EEE10hipError_tPvRmT3_T4_T5_T6_T7_T9_mT8_P12ihipStream_tbDpT10_ENKUlT_T0_E_clISt17integral_constantIbLb1EES1B_IbLb0EEEEDaS17_S18_EUlS17_E_NS1_11comp_targetILNS1_3genE2ELNS1_11target_archE906ELNS1_3gpuE6ELNS1_3repE0EEENS1_30default_config_static_selectorELNS0_4arch9wavefront6targetE0EEEvT1_.numbered_sgpr, 0
	.set _ZN7rocprim17ROCPRIM_400000_NS6detail17trampoline_kernelINS0_14default_configENS1_25partition_config_selectorILNS1_17partition_subalgoE8ElNS0_10empty_typeEbEEZZNS1_14partition_implILS5_8ELb0ES3_jPlPS6_PKS6_NS0_5tupleIJS9_S6_EEENSD_IJSA_SA_EEENS0_18inequality_wrapperIZN2at6native12_GLOBAL__N_124unique_dim_cuda_templateIfEESt5tupleIJNSH_6TensorESM_SM_EERKSM_lbbbEUlllE0_EEPmJS6_EEE10hipError_tPvRmT3_T4_T5_T6_T7_T9_mT8_P12ihipStream_tbDpT10_ENKUlT_T0_E_clISt17integral_constantIbLb1EES1B_IbLb0EEEEDaS17_S18_EUlS17_E_NS1_11comp_targetILNS1_3genE2ELNS1_11target_archE906ELNS1_3gpuE6ELNS1_3repE0EEENS1_30default_config_static_selectorELNS0_4arch9wavefront6targetE0EEEvT1_.num_named_barrier, 0
	.set _ZN7rocprim17ROCPRIM_400000_NS6detail17trampoline_kernelINS0_14default_configENS1_25partition_config_selectorILNS1_17partition_subalgoE8ElNS0_10empty_typeEbEEZZNS1_14partition_implILS5_8ELb0ES3_jPlPS6_PKS6_NS0_5tupleIJS9_S6_EEENSD_IJSA_SA_EEENS0_18inequality_wrapperIZN2at6native12_GLOBAL__N_124unique_dim_cuda_templateIfEESt5tupleIJNSH_6TensorESM_SM_EERKSM_lbbbEUlllE0_EEPmJS6_EEE10hipError_tPvRmT3_T4_T5_T6_T7_T9_mT8_P12ihipStream_tbDpT10_ENKUlT_T0_E_clISt17integral_constantIbLb1EES1B_IbLb0EEEEDaS17_S18_EUlS17_E_NS1_11comp_targetILNS1_3genE2ELNS1_11target_archE906ELNS1_3gpuE6ELNS1_3repE0EEENS1_30default_config_static_selectorELNS0_4arch9wavefront6targetE0EEEvT1_.private_seg_size, 0
	.set _ZN7rocprim17ROCPRIM_400000_NS6detail17trampoline_kernelINS0_14default_configENS1_25partition_config_selectorILNS1_17partition_subalgoE8ElNS0_10empty_typeEbEEZZNS1_14partition_implILS5_8ELb0ES3_jPlPS6_PKS6_NS0_5tupleIJS9_S6_EEENSD_IJSA_SA_EEENS0_18inequality_wrapperIZN2at6native12_GLOBAL__N_124unique_dim_cuda_templateIfEESt5tupleIJNSH_6TensorESM_SM_EERKSM_lbbbEUlllE0_EEPmJS6_EEE10hipError_tPvRmT3_T4_T5_T6_T7_T9_mT8_P12ihipStream_tbDpT10_ENKUlT_T0_E_clISt17integral_constantIbLb1EES1B_IbLb0EEEEDaS17_S18_EUlS17_E_NS1_11comp_targetILNS1_3genE2ELNS1_11target_archE906ELNS1_3gpuE6ELNS1_3repE0EEENS1_30default_config_static_selectorELNS0_4arch9wavefront6targetE0EEEvT1_.uses_vcc, 0
	.set _ZN7rocprim17ROCPRIM_400000_NS6detail17trampoline_kernelINS0_14default_configENS1_25partition_config_selectorILNS1_17partition_subalgoE8ElNS0_10empty_typeEbEEZZNS1_14partition_implILS5_8ELb0ES3_jPlPS6_PKS6_NS0_5tupleIJS9_S6_EEENSD_IJSA_SA_EEENS0_18inequality_wrapperIZN2at6native12_GLOBAL__N_124unique_dim_cuda_templateIfEESt5tupleIJNSH_6TensorESM_SM_EERKSM_lbbbEUlllE0_EEPmJS6_EEE10hipError_tPvRmT3_T4_T5_T6_T7_T9_mT8_P12ihipStream_tbDpT10_ENKUlT_T0_E_clISt17integral_constantIbLb1EES1B_IbLb0EEEEDaS17_S18_EUlS17_E_NS1_11comp_targetILNS1_3genE2ELNS1_11target_archE906ELNS1_3gpuE6ELNS1_3repE0EEENS1_30default_config_static_selectorELNS0_4arch9wavefront6targetE0EEEvT1_.uses_flat_scratch, 0
	.set _ZN7rocprim17ROCPRIM_400000_NS6detail17trampoline_kernelINS0_14default_configENS1_25partition_config_selectorILNS1_17partition_subalgoE8ElNS0_10empty_typeEbEEZZNS1_14partition_implILS5_8ELb0ES3_jPlPS6_PKS6_NS0_5tupleIJS9_S6_EEENSD_IJSA_SA_EEENS0_18inequality_wrapperIZN2at6native12_GLOBAL__N_124unique_dim_cuda_templateIfEESt5tupleIJNSH_6TensorESM_SM_EERKSM_lbbbEUlllE0_EEPmJS6_EEE10hipError_tPvRmT3_T4_T5_T6_T7_T9_mT8_P12ihipStream_tbDpT10_ENKUlT_T0_E_clISt17integral_constantIbLb1EES1B_IbLb0EEEEDaS17_S18_EUlS17_E_NS1_11comp_targetILNS1_3genE2ELNS1_11target_archE906ELNS1_3gpuE6ELNS1_3repE0EEENS1_30default_config_static_selectorELNS0_4arch9wavefront6targetE0EEEvT1_.has_dyn_sized_stack, 0
	.set _ZN7rocprim17ROCPRIM_400000_NS6detail17trampoline_kernelINS0_14default_configENS1_25partition_config_selectorILNS1_17partition_subalgoE8ElNS0_10empty_typeEbEEZZNS1_14partition_implILS5_8ELb0ES3_jPlPS6_PKS6_NS0_5tupleIJS9_S6_EEENSD_IJSA_SA_EEENS0_18inequality_wrapperIZN2at6native12_GLOBAL__N_124unique_dim_cuda_templateIfEESt5tupleIJNSH_6TensorESM_SM_EERKSM_lbbbEUlllE0_EEPmJS6_EEE10hipError_tPvRmT3_T4_T5_T6_T7_T9_mT8_P12ihipStream_tbDpT10_ENKUlT_T0_E_clISt17integral_constantIbLb1EES1B_IbLb0EEEEDaS17_S18_EUlS17_E_NS1_11comp_targetILNS1_3genE2ELNS1_11target_archE906ELNS1_3gpuE6ELNS1_3repE0EEENS1_30default_config_static_selectorELNS0_4arch9wavefront6targetE0EEEvT1_.has_recursion, 0
	.set _ZN7rocprim17ROCPRIM_400000_NS6detail17trampoline_kernelINS0_14default_configENS1_25partition_config_selectorILNS1_17partition_subalgoE8ElNS0_10empty_typeEbEEZZNS1_14partition_implILS5_8ELb0ES3_jPlPS6_PKS6_NS0_5tupleIJS9_S6_EEENSD_IJSA_SA_EEENS0_18inequality_wrapperIZN2at6native12_GLOBAL__N_124unique_dim_cuda_templateIfEESt5tupleIJNSH_6TensorESM_SM_EERKSM_lbbbEUlllE0_EEPmJS6_EEE10hipError_tPvRmT3_T4_T5_T6_T7_T9_mT8_P12ihipStream_tbDpT10_ENKUlT_T0_E_clISt17integral_constantIbLb1EES1B_IbLb0EEEEDaS17_S18_EUlS17_E_NS1_11comp_targetILNS1_3genE2ELNS1_11target_archE906ELNS1_3gpuE6ELNS1_3repE0EEENS1_30default_config_static_selectorELNS0_4arch9wavefront6targetE0EEEvT1_.has_indirect_call, 0
	.section	.AMDGPU.csdata,"",@progbits
; Kernel info:
; codeLenInByte = 0
; TotalNumSgprs: 0
; NumVgprs: 0
; ScratchSize: 0
; MemoryBound: 0
; FloatMode: 240
; IeeeMode: 1
; LDSByteSize: 0 bytes/workgroup (compile time only)
; SGPRBlocks: 0
; VGPRBlocks: 0
; NumSGPRsForWavesPerEU: 1
; NumVGPRsForWavesPerEU: 1
; NamedBarCnt: 0
; Occupancy: 16
; WaveLimiterHint : 0
; COMPUTE_PGM_RSRC2:SCRATCH_EN: 0
; COMPUTE_PGM_RSRC2:USER_SGPR: 2
; COMPUTE_PGM_RSRC2:TRAP_HANDLER: 0
; COMPUTE_PGM_RSRC2:TGID_X_EN: 1
; COMPUTE_PGM_RSRC2:TGID_Y_EN: 0
; COMPUTE_PGM_RSRC2:TGID_Z_EN: 0
; COMPUTE_PGM_RSRC2:TIDIG_COMP_CNT: 0
	.section	.text._ZN7rocprim17ROCPRIM_400000_NS6detail17trampoline_kernelINS0_14default_configENS1_25partition_config_selectorILNS1_17partition_subalgoE8ElNS0_10empty_typeEbEEZZNS1_14partition_implILS5_8ELb0ES3_jPlPS6_PKS6_NS0_5tupleIJS9_S6_EEENSD_IJSA_SA_EEENS0_18inequality_wrapperIZN2at6native12_GLOBAL__N_124unique_dim_cuda_templateIfEESt5tupleIJNSH_6TensorESM_SM_EERKSM_lbbbEUlllE0_EEPmJS6_EEE10hipError_tPvRmT3_T4_T5_T6_T7_T9_mT8_P12ihipStream_tbDpT10_ENKUlT_T0_E_clISt17integral_constantIbLb1EES1B_IbLb0EEEEDaS17_S18_EUlS17_E_NS1_11comp_targetILNS1_3genE10ELNS1_11target_archE1200ELNS1_3gpuE4ELNS1_3repE0EEENS1_30default_config_static_selectorELNS0_4arch9wavefront6targetE0EEEvT1_,"axG",@progbits,_ZN7rocprim17ROCPRIM_400000_NS6detail17trampoline_kernelINS0_14default_configENS1_25partition_config_selectorILNS1_17partition_subalgoE8ElNS0_10empty_typeEbEEZZNS1_14partition_implILS5_8ELb0ES3_jPlPS6_PKS6_NS0_5tupleIJS9_S6_EEENSD_IJSA_SA_EEENS0_18inequality_wrapperIZN2at6native12_GLOBAL__N_124unique_dim_cuda_templateIfEESt5tupleIJNSH_6TensorESM_SM_EERKSM_lbbbEUlllE0_EEPmJS6_EEE10hipError_tPvRmT3_T4_T5_T6_T7_T9_mT8_P12ihipStream_tbDpT10_ENKUlT_T0_E_clISt17integral_constantIbLb1EES1B_IbLb0EEEEDaS17_S18_EUlS17_E_NS1_11comp_targetILNS1_3genE10ELNS1_11target_archE1200ELNS1_3gpuE4ELNS1_3repE0EEENS1_30default_config_static_selectorELNS0_4arch9wavefront6targetE0EEEvT1_,comdat
	.globl	_ZN7rocprim17ROCPRIM_400000_NS6detail17trampoline_kernelINS0_14default_configENS1_25partition_config_selectorILNS1_17partition_subalgoE8ElNS0_10empty_typeEbEEZZNS1_14partition_implILS5_8ELb0ES3_jPlPS6_PKS6_NS0_5tupleIJS9_S6_EEENSD_IJSA_SA_EEENS0_18inequality_wrapperIZN2at6native12_GLOBAL__N_124unique_dim_cuda_templateIfEESt5tupleIJNSH_6TensorESM_SM_EERKSM_lbbbEUlllE0_EEPmJS6_EEE10hipError_tPvRmT3_T4_T5_T6_T7_T9_mT8_P12ihipStream_tbDpT10_ENKUlT_T0_E_clISt17integral_constantIbLb1EES1B_IbLb0EEEEDaS17_S18_EUlS17_E_NS1_11comp_targetILNS1_3genE10ELNS1_11target_archE1200ELNS1_3gpuE4ELNS1_3repE0EEENS1_30default_config_static_selectorELNS0_4arch9wavefront6targetE0EEEvT1_ ; -- Begin function _ZN7rocprim17ROCPRIM_400000_NS6detail17trampoline_kernelINS0_14default_configENS1_25partition_config_selectorILNS1_17partition_subalgoE8ElNS0_10empty_typeEbEEZZNS1_14partition_implILS5_8ELb0ES3_jPlPS6_PKS6_NS0_5tupleIJS9_S6_EEENSD_IJSA_SA_EEENS0_18inequality_wrapperIZN2at6native12_GLOBAL__N_124unique_dim_cuda_templateIfEESt5tupleIJNSH_6TensorESM_SM_EERKSM_lbbbEUlllE0_EEPmJS6_EEE10hipError_tPvRmT3_T4_T5_T6_T7_T9_mT8_P12ihipStream_tbDpT10_ENKUlT_T0_E_clISt17integral_constantIbLb1EES1B_IbLb0EEEEDaS17_S18_EUlS17_E_NS1_11comp_targetILNS1_3genE10ELNS1_11target_archE1200ELNS1_3gpuE4ELNS1_3repE0EEENS1_30default_config_static_selectorELNS0_4arch9wavefront6targetE0EEEvT1_
	.p2align	8
	.type	_ZN7rocprim17ROCPRIM_400000_NS6detail17trampoline_kernelINS0_14default_configENS1_25partition_config_selectorILNS1_17partition_subalgoE8ElNS0_10empty_typeEbEEZZNS1_14partition_implILS5_8ELb0ES3_jPlPS6_PKS6_NS0_5tupleIJS9_S6_EEENSD_IJSA_SA_EEENS0_18inequality_wrapperIZN2at6native12_GLOBAL__N_124unique_dim_cuda_templateIfEESt5tupleIJNSH_6TensorESM_SM_EERKSM_lbbbEUlllE0_EEPmJS6_EEE10hipError_tPvRmT3_T4_T5_T6_T7_T9_mT8_P12ihipStream_tbDpT10_ENKUlT_T0_E_clISt17integral_constantIbLb1EES1B_IbLb0EEEEDaS17_S18_EUlS17_E_NS1_11comp_targetILNS1_3genE10ELNS1_11target_archE1200ELNS1_3gpuE4ELNS1_3repE0EEENS1_30default_config_static_selectorELNS0_4arch9wavefront6targetE0EEEvT1_,@function
_ZN7rocprim17ROCPRIM_400000_NS6detail17trampoline_kernelINS0_14default_configENS1_25partition_config_selectorILNS1_17partition_subalgoE8ElNS0_10empty_typeEbEEZZNS1_14partition_implILS5_8ELb0ES3_jPlPS6_PKS6_NS0_5tupleIJS9_S6_EEENSD_IJSA_SA_EEENS0_18inequality_wrapperIZN2at6native12_GLOBAL__N_124unique_dim_cuda_templateIfEESt5tupleIJNSH_6TensorESM_SM_EERKSM_lbbbEUlllE0_EEPmJS6_EEE10hipError_tPvRmT3_T4_T5_T6_T7_T9_mT8_P12ihipStream_tbDpT10_ENKUlT_T0_E_clISt17integral_constantIbLb1EES1B_IbLb0EEEEDaS17_S18_EUlS17_E_NS1_11comp_targetILNS1_3genE10ELNS1_11target_archE1200ELNS1_3gpuE4ELNS1_3repE0EEENS1_30default_config_static_selectorELNS0_4arch9wavefront6targetE0EEEvT1_: ; @_ZN7rocprim17ROCPRIM_400000_NS6detail17trampoline_kernelINS0_14default_configENS1_25partition_config_selectorILNS1_17partition_subalgoE8ElNS0_10empty_typeEbEEZZNS1_14partition_implILS5_8ELb0ES3_jPlPS6_PKS6_NS0_5tupleIJS9_S6_EEENSD_IJSA_SA_EEENS0_18inequality_wrapperIZN2at6native12_GLOBAL__N_124unique_dim_cuda_templateIfEESt5tupleIJNSH_6TensorESM_SM_EERKSM_lbbbEUlllE0_EEPmJS6_EEE10hipError_tPvRmT3_T4_T5_T6_T7_T9_mT8_P12ihipStream_tbDpT10_ENKUlT_T0_E_clISt17integral_constantIbLb1EES1B_IbLb0EEEEDaS17_S18_EUlS17_E_NS1_11comp_targetILNS1_3genE10ELNS1_11target_archE1200ELNS1_3gpuE4ELNS1_3repE0EEENS1_30default_config_static_selectorELNS0_4arch9wavefront6targetE0EEEvT1_
; %bb.0:
	.section	.rodata,"a",@progbits
	.p2align	6, 0x0
	.amdhsa_kernel _ZN7rocprim17ROCPRIM_400000_NS6detail17trampoline_kernelINS0_14default_configENS1_25partition_config_selectorILNS1_17partition_subalgoE8ElNS0_10empty_typeEbEEZZNS1_14partition_implILS5_8ELb0ES3_jPlPS6_PKS6_NS0_5tupleIJS9_S6_EEENSD_IJSA_SA_EEENS0_18inequality_wrapperIZN2at6native12_GLOBAL__N_124unique_dim_cuda_templateIfEESt5tupleIJNSH_6TensorESM_SM_EERKSM_lbbbEUlllE0_EEPmJS6_EEE10hipError_tPvRmT3_T4_T5_T6_T7_T9_mT8_P12ihipStream_tbDpT10_ENKUlT_T0_E_clISt17integral_constantIbLb1EES1B_IbLb0EEEEDaS17_S18_EUlS17_E_NS1_11comp_targetILNS1_3genE10ELNS1_11target_archE1200ELNS1_3gpuE4ELNS1_3repE0EEENS1_30default_config_static_selectorELNS0_4arch9wavefront6targetE0EEEvT1_
		.amdhsa_group_segment_fixed_size 0
		.amdhsa_private_segment_fixed_size 0
		.amdhsa_kernarg_size 120
		.amdhsa_user_sgpr_count 2
		.amdhsa_user_sgpr_dispatch_ptr 0
		.amdhsa_user_sgpr_queue_ptr 0
		.amdhsa_user_sgpr_kernarg_segment_ptr 1
		.amdhsa_user_sgpr_dispatch_id 0
		.amdhsa_user_sgpr_kernarg_preload_length 0
		.amdhsa_user_sgpr_kernarg_preload_offset 0
		.amdhsa_user_sgpr_private_segment_size 0
		.amdhsa_wavefront_size32 1
		.amdhsa_uses_dynamic_stack 0
		.amdhsa_enable_private_segment 0
		.amdhsa_system_sgpr_workgroup_id_x 1
		.amdhsa_system_sgpr_workgroup_id_y 0
		.amdhsa_system_sgpr_workgroup_id_z 0
		.amdhsa_system_sgpr_workgroup_info 0
		.amdhsa_system_vgpr_workitem_id 0
		.amdhsa_next_free_vgpr 1
		.amdhsa_next_free_sgpr 1
		.amdhsa_named_barrier_count 0
		.amdhsa_reserve_vcc 0
		.amdhsa_float_round_mode_32 0
		.amdhsa_float_round_mode_16_64 0
		.amdhsa_float_denorm_mode_32 3
		.amdhsa_float_denorm_mode_16_64 3
		.amdhsa_fp16_overflow 0
		.amdhsa_memory_ordered 1
		.amdhsa_forward_progress 1
		.amdhsa_inst_pref_size 0
		.amdhsa_round_robin_scheduling 0
		.amdhsa_exception_fp_ieee_invalid_op 0
		.amdhsa_exception_fp_denorm_src 0
		.amdhsa_exception_fp_ieee_div_zero 0
		.amdhsa_exception_fp_ieee_overflow 0
		.amdhsa_exception_fp_ieee_underflow 0
		.amdhsa_exception_fp_ieee_inexact 0
		.amdhsa_exception_int_div_zero 0
	.end_amdhsa_kernel
	.section	.text._ZN7rocprim17ROCPRIM_400000_NS6detail17trampoline_kernelINS0_14default_configENS1_25partition_config_selectorILNS1_17partition_subalgoE8ElNS0_10empty_typeEbEEZZNS1_14partition_implILS5_8ELb0ES3_jPlPS6_PKS6_NS0_5tupleIJS9_S6_EEENSD_IJSA_SA_EEENS0_18inequality_wrapperIZN2at6native12_GLOBAL__N_124unique_dim_cuda_templateIfEESt5tupleIJNSH_6TensorESM_SM_EERKSM_lbbbEUlllE0_EEPmJS6_EEE10hipError_tPvRmT3_T4_T5_T6_T7_T9_mT8_P12ihipStream_tbDpT10_ENKUlT_T0_E_clISt17integral_constantIbLb1EES1B_IbLb0EEEEDaS17_S18_EUlS17_E_NS1_11comp_targetILNS1_3genE10ELNS1_11target_archE1200ELNS1_3gpuE4ELNS1_3repE0EEENS1_30default_config_static_selectorELNS0_4arch9wavefront6targetE0EEEvT1_,"axG",@progbits,_ZN7rocprim17ROCPRIM_400000_NS6detail17trampoline_kernelINS0_14default_configENS1_25partition_config_selectorILNS1_17partition_subalgoE8ElNS0_10empty_typeEbEEZZNS1_14partition_implILS5_8ELb0ES3_jPlPS6_PKS6_NS0_5tupleIJS9_S6_EEENSD_IJSA_SA_EEENS0_18inequality_wrapperIZN2at6native12_GLOBAL__N_124unique_dim_cuda_templateIfEESt5tupleIJNSH_6TensorESM_SM_EERKSM_lbbbEUlllE0_EEPmJS6_EEE10hipError_tPvRmT3_T4_T5_T6_T7_T9_mT8_P12ihipStream_tbDpT10_ENKUlT_T0_E_clISt17integral_constantIbLb1EES1B_IbLb0EEEEDaS17_S18_EUlS17_E_NS1_11comp_targetILNS1_3genE10ELNS1_11target_archE1200ELNS1_3gpuE4ELNS1_3repE0EEENS1_30default_config_static_selectorELNS0_4arch9wavefront6targetE0EEEvT1_,comdat
.Lfunc_end950:
	.size	_ZN7rocprim17ROCPRIM_400000_NS6detail17trampoline_kernelINS0_14default_configENS1_25partition_config_selectorILNS1_17partition_subalgoE8ElNS0_10empty_typeEbEEZZNS1_14partition_implILS5_8ELb0ES3_jPlPS6_PKS6_NS0_5tupleIJS9_S6_EEENSD_IJSA_SA_EEENS0_18inequality_wrapperIZN2at6native12_GLOBAL__N_124unique_dim_cuda_templateIfEESt5tupleIJNSH_6TensorESM_SM_EERKSM_lbbbEUlllE0_EEPmJS6_EEE10hipError_tPvRmT3_T4_T5_T6_T7_T9_mT8_P12ihipStream_tbDpT10_ENKUlT_T0_E_clISt17integral_constantIbLb1EES1B_IbLb0EEEEDaS17_S18_EUlS17_E_NS1_11comp_targetILNS1_3genE10ELNS1_11target_archE1200ELNS1_3gpuE4ELNS1_3repE0EEENS1_30default_config_static_selectorELNS0_4arch9wavefront6targetE0EEEvT1_, .Lfunc_end950-_ZN7rocprim17ROCPRIM_400000_NS6detail17trampoline_kernelINS0_14default_configENS1_25partition_config_selectorILNS1_17partition_subalgoE8ElNS0_10empty_typeEbEEZZNS1_14partition_implILS5_8ELb0ES3_jPlPS6_PKS6_NS0_5tupleIJS9_S6_EEENSD_IJSA_SA_EEENS0_18inequality_wrapperIZN2at6native12_GLOBAL__N_124unique_dim_cuda_templateIfEESt5tupleIJNSH_6TensorESM_SM_EERKSM_lbbbEUlllE0_EEPmJS6_EEE10hipError_tPvRmT3_T4_T5_T6_T7_T9_mT8_P12ihipStream_tbDpT10_ENKUlT_T0_E_clISt17integral_constantIbLb1EES1B_IbLb0EEEEDaS17_S18_EUlS17_E_NS1_11comp_targetILNS1_3genE10ELNS1_11target_archE1200ELNS1_3gpuE4ELNS1_3repE0EEENS1_30default_config_static_selectorELNS0_4arch9wavefront6targetE0EEEvT1_
                                        ; -- End function
	.set _ZN7rocprim17ROCPRIM_400000_NS6detail17trampoline_kernelINS0_14default_configENS1_25partition_config_selectorILNS1_17partition_subalgoE8ElNS0_10empty_typeEbEEZZNS1_14partition_implILS5_8ELb0ES3_jPlPS6_PKS6_NS0_5tupleIJS9_S6_EEENSD_IJSA_SA_EEENS0_18inequality_wrapperIZN2at6native12_GLOBAL__N_124unique_dim_cuda_templateIfEESt5tupleIJNSH_6TensorESM_SM_EERKSM_lbbbEUlllE0_EEPmJS6_EEE10hipError_tPvRmT3_T4_T5_T6_T7_T9_mT8_P12ihipStream_tbDpT10_ENKUlT_T0_E_clISt17integral_constantIbLb1EES1B_IbLb0EEEEDaS17_S18_EUlS17_E_NS1_11comp_targetILNS1_3genE10ELNS1_11target_archE1200ELNS1_3gpuE4ELNS1_3repE0EEENS1_30default_config_static_selectorELNS0_4arch9wavefront6targetE0EEEvT1_.num_vgpr, 0
	.set _ZN7rocprim17ROCPRIM_400000_NS6detail17trampoline_kernelINS0_14default_configENS1_25partition_config_selectorILNS1_17partition_subalgoE8ElNS0_10empty_typeEbEEZZNS1_14partition_implILS5_8ELb0ES3_jPlPS6_PKS6_NS0_5tupleIJS9_S6_EEENSD_IJSA_SA_EEENS0_18inequality_wrapperIZN2at6native12_GLOBAL__N_124unique_dim_cuda_templateIfEESt5tupleIJNSH_6TensorESM_SM_EERKSM_lbbbEUlllE0_EEPmJS6_EEE10hipError_tPvRmT3_T4_T5_T6_T7_T9_mT8_P12ihipStream_tbDpT10_ENKUlT_T0_E_clISt17integral_constantIbLb1EES1B_IbLb0EEEEDaS17_S18_EUlS17_E_NS1_11comp_targetILNS1_3genE10ELNS1_11target_archE1200ELNS1_3gpuE4ELNS1_3repE0EEENS1_30default_config_static_selectorELNS0_4arch9wavefront6targetE0EEEvT1_.num_agpr, 0
	.set _ZN7rocprim17ROCPRIM_400000_NS6detail17trampoline_kernelINS0_14default_configENS1_25partition_config_selectorILNS1_17partition_subalgoE8ElNS0_10empty_typeEbEEZZNS1_14partition_implILS5_8ELb0ES3_jPlPS6_PKS6_NS0_5tupleIJS9_S6_EEENSD_IJSA_SA_EEENS0_18inequality_wrapperIZN2at6native12_GLOBAL__N_124unique_dim_cuda_templateIfEESt5tupleIJNSH_6TensorESM_SM_EERKSM_lbbbEUlllE0_EEPmJS6_EEE10hipError_tPvRmT3_T4_T5_T6_T7_T9_mT8_P12ihipStream_tbDpT10_ENKUlT_T0_E_clISt17integral_constantIbLb1EES1B_IbLb0EEEEDaS17_S18_EUlS17_E_NS1_11comp_targetILNS1_3genE10ELNS1_11target_archE1200ELNS1_3gpuE4ELNS1_3repE0EEENS1_30default_config_static_selectorELNS0_4arch9wavefront6targetE0EEEvT1_.numbered_sgpr, 0
	.set _ZN7rocprim17ROCPRIM_400000_NS6detail17trampoline_kernelINS0_14default_configENS1_25partition_config_selectorILNS1_17partition_subalgoE8ElNS0_10empty_typeEbEEZZNS1_14partition_implILS5_8ELb0ES3_jPlPS6_PKS6_NS0_5tupleIJS9_S6_EEENSD_IJSA_SA_EEENS0_18inequality_wrapperIZN2at6native12_GLOBAL__N_124unique_dim_cuda_templateIfEESt5tupleIJNSH_6TensorESM_SM_EERKSM_lbbbEUlllE0_EEPmJS6_EEE10hipError_tPvRmT3_T4_T5_T6_T7_T9_mT8_P12ihipStream_tbDpT10_ENKUlT_T0_E_clISt17integral_constantIbLb1EES1B_IbLb0EEEEDaS17_S18_EUlS17_E_NS1_11comp_targetILNS1_3genE10ELNS1_11target_archE1200ELNS1_3gpuE4ELNS1_3repE0EEENS1_30default_config_static_selectorELNS0_4arch9wavefront6targetE0EEEvT1_.num_named_barrier, 0
	.set _ZN7rocprim17ROCPRIM_400000_NS6detail17trampoline_kernelINS0_14default_configENS1_25partition_config_selectorILNS1_17partition_subalgoE8ElNS0_10empty_typeEbEEZZNS1_14partition_implILS5_8ELb0ES3_jPlPS6_PKS6_NS0_5tupleIJS9_S6_EEENSD_IJSA_SA_EEENS0_18inequality_wrapperIZN2at6native12_GLOBAL__N_124unique_dim_cuda_templateIfEESt5tupleIJNSH_6TensorESM_SM_EERKSM_lbbbEUlllE0_EEPmJS6_EEE10hipError_tPvRmT3_T4_T5_T6_T7_T9_mT8_P12ihipStream_tbDpT10_ENKUlT_T0_E_clISt17integral_constantIbLb1EES1B_IbLb0EEEEDaS17_S18_EUlS17_E_NS1_11comp_targetILNS1_3genE10ELNS1_11target_archE1200ELNS1_3gpuE4ELNS1_3repE0EEENS1_30default_config_static_selectorELNS0_4arch9wavefront6targetE0EEEvT1_.private_seg_size, 0
	.set _ZN7rocprim17ROCPRIM_400000_NS6detail17trampoline_kernelINS0_14default_configENS1_25partition_config_selectorILNS1_17partition_subalgoE8ElNS0_10empty_typeEbEEZZNS1_14partition_implILS5_8ELb0ES3_jPlPS6_PKS6_NS0_5tupleIJS9_S6_EEENSD_IJSA_SA_EEENS0_18inequality_wrapperIZN2at6native12_GLOBAL__N_124unique_dim_cuda_templateIfEESt5tupleIJNSH_6TensorESM_SM_EERKSM_lbbbEUlllE0_EEPmJS6_EEE10hipError_tPvRmT3_T4_T5_T6_T7_T9_mT8_P12ihipStream_tbDpT10_ENKUlT_T0_E_clISt17integral_constantIbLb1EES1B_IbLb0EEEEDaS17_S18_EUlS17_E_NS1_11comp_targetILNS1_3genE10ELNS1_11target_archE1200ELNS1_3gpuE4ELNS1_3repE0EEENS1_30default_config_static_selectorELNS0_4arch9wavefront6targetE0EEEvT1_.uses_vcc, 0
	.set _ZN7rocprim17ROCPRIM_400000_NS6detail17trampoline_kernelINS0_14default_configENS1_25partition_config_selectorILNS1_17partition_subalgoE8ElNS0_10empty_typeEbEEZZNS1_14partition_implILS5_8ELb0ES3_jPlPS6_PKS6_NS0_5tupleIJS9_S6_EEENSD_IJSA_SA_EEENS0_18inequality_wrapperIZN2at6native12_GLOBAL__N_124unique_dim_cuda_templateIfEESt5tupleIJNSH_6TensorESM_SM_EERKSM_lbbbEUlllE0_EEPmJS6_EEE10hipError_tPvRmT3_T4_T5_T6_T7_T9_mT8_P12ihipStream_tbDpT10_ENKUlT_T0_E_clISt17integral_constantIbLb1EES1B_IbLb0EEEEDaS17_S18_EUlS17_E_NS1_11comp_targetILNS1_3genE10ELNS1_11target_archE1200ELNS1_3gpuE4ELNS1_3repE0EEENS1_30default_config_static_selectorELNS0_4arch9wavefront6targetE0EEEvT1_.uses_flat_scratch, 0
	.set _ZN7rocprim17ROCPRIM_400000_NS6detail17trampoline_kernelINS0_14default_configENS1_25partition_config_selectorILNS1_17partition_subalgoE8ElNS0_10empty_typeEbEEZZNS1_14partition_implILS5_8ELb0ES3_jPlPS6_PKS6_NS0_5tupleIJS9_S6_EEENSD_IJSA_SA_EEENS0_18inequality_wrapperIZN2at6native12_GLOBAL__N_124unique_dim_cuda_templateIfEESt5tupleIJNSH_6TensorESM_SM_EERKSM_lbbbEUlllE0_EEPmJS6_EEE10hipError_tPvRmT3_T4_T5_T6_T7_T9_mT8_P12ihipStream_tbDpT10_ENKUlT_T0_E_clISt17integral_constantIbLb1EES1B_IbLb0EEEEDaS17_S18_EUlS17_E_NS1_11comp_targetILNS1_3genE10ELNS1_11target_archE1200ELNS1_3gpuE4ELNS1_3repE0EEENS1_30default_config_static_selectorELNS0_4arch9wavefront6targetE0EEEvT1_.has_dyn_sized_stack, 0
	.set _ZN7rocprim17ROCPRIM_400000_NS6detail17trampoline_kernelINS0_14default_configENS1_25partition_config_selectorILNS1_17partition_subalgoE8ElNS0_10empty_typeEbEEZZNS1_14partition_implILS5_8ELb0ES3_jPlPS6_PKS6_NS0_5tupleIJS9_S6_EEENSD_IJSA_SA_EEENS0_18inequality_wrapperIZN2at6native12_GLOBAL__N_124unique_dim_cuda_templateIfEESt5tupleIJNSH_6TensorESM_SM_EERKSM_lbbbEUlllE0_EEPmJS6_EEE10hipError_tPvRmT3_T4_T5_T6_T7_T9_mT8_P12ihipStream_tbDpT10_ENKUlT_T0_E_clISt17integral_constantIbLb1EES1B_IbLb0EEEEDaS17_S18_EUlS17_E_NS1_11comp_targetILNS1_3genE10ELNS1_11target_archE1200ELNS1_3gpuE4ELNS1_3repE0EEENS1_30default_config_static_selectorELNS0_4arch9wavefront6targetE0EEEvT1_.has_recursion, 0
	.set _ZN7rocprim17ROCPRIM_400000_NS6detail17trampoline_kernelINS0_14default_configENS1_25partition_config_selectorILNS1_17partition_subalgoE8ElNS0_10empty_typeEbEEZZNS1_14partition_implILS5_8ELb0ES3_jPlPS6_PKS6_NS0_5tupleIJS9_S6_EEENSD_IJSA_SA_EEENS0_18inequality_wrapperIZN2at6native12_GLOBAL__N_124unique_dim_cuda_templateIfEESt5tupleIJNSH_6TensorESM_SM_EERKSM_lbbbEUlllE0_EEPmJS6_EEE10hipError_tPvRmT3_T4_T5_T6_T7_T9_mT8_P12ihipStream_tbDpT10_ENKUlT_T0_E_clISt17integral_constantIbLb1EES1B_IbLb0EEEEDaS17_S18_EUlS17_E_NS1_11comp_targetILNS1_3genE10ELNS1_11target_archE1200ELNS1_3gpuE4ELNS1_3repE0EEENS1_30default_config_static_selectorELNS0_4arch9wavefront6targetE0EEEvT1_.has_indirect_call, 0
	.section	.AMDGPU.csdata,"",@progbits
; Kernel info:
; codeLenInByte = 0
; TotalNumSgprs: 0
; NumVgprs: 0
; ScratchSize: 0
; MemoryBound: 0
; FloatMode: 240
; IeeeMode: 1
; LDSByteSize: 0 bytes/workgroup (compile time only)
; SGPRBlocks: 0
; VGPRBlocks: 0
; NumSGPRsForWavesPerEU: 1
; NumVGPRsForWavesPerEU: 1
; NamedBarCnt: 0
; Occupancy: 16
; WaveLimiterHint : 0
; COMPUTE_PGM_RSRC2:SCRATCH_EN: 0
; COMPUTE_PGM_RSRC2:USER_SGPR: 2
; COMPUTE_PGM_RSRC2:TRAP_HANDLER: 0
; COMPUTE_PGM_RSRC2:TGID_X_EN: 1
; COMPUTE_PGM_RSRC2:TGID_Y_EN: 0
; COMPUTE_PGM_RSRC2:TGID_Z_EN: 0
; COMPUTE_PGM_RSRC2:TIDIG_COMP_CNT: 0
	.section	.text._ZN7rocprim17ROCPRIM_400000_NS6detail17trampoline_kernelINS0_14default_configENS1_25partition_config_selectorILNS1_17partition_subalgoE8ElNS0_10empty_typeEbEEZZNS1_14partition_implILS5_8ELb0ES3_jPlPS6_PKS6_NS0_5tupleIJS9_S6_EEENSD_IJSA_SA_EEENS0_18inequality_wrapperIZN2at6native12_GLOBAL__N_124unique_dim_cuda_templateIfEESt5tupleIJNSH_6TensorESM_SM_EERKSM_lbbbEUlllE0_EEPmJS6_EEE10hipError_tPvRmT3_T4_T5_T6_T7_T9_mT8_P12ihipStream_tbDpT10_ENKUlT_T0_E_clISt17integral_constantIbLb1EES1B_IbLb0EEEEDaS17_S18_EUlS17_E_NS1_11comp_targetILNS1_3genE9ELNS1_11target_archE1100ELNS1_3gpuE3ELNS1_3repE0EEENS1_30default_config_static_selectorELNS0_4arch9wavefront6targetE0EEEvT1_,"axG",@progbits,_ZN7rocprim17ROCPRIM_400000_NS6detail17trampoline_kernelINS0_14default_configENS1_25partition_config_selectorILNS1_17partition_subalgoE8ElNS0_10empty_typeEbEEZZNS1_14partition_implILS5_8ELb0ES3_jPlPS6_PKS6_NS0_5tupleIJS9_S6_EEENSD_IJSA_SA_EEENS0_18inequality_wrapperIZN2at6native12_GLOBAL__N_124unique_dim_cuda_templateIfEESt5tupleIJNSH_6TensorESM_SM_EERKSM_lbbbEUlllE0_EEPmJS6_EEE10hipError_tPvRmT3_T4_T5_T6_T7_T9_mT8_P12ihipStream_tbDpT10_ENKUlT_T0_E_clISt17integral_constantIbLb1EES1B_IbLb0EEEEDaS17_S18_EUlS17_E_NS1_11comp_targetILNS1_3genE9ELNS1_11target_archE1100ELNS1_3gpuE3ELNS1_3repE0EEENS1_30default_config_static_selectorELNS0_4arch9wavefront6targetE0EEEvT1_,comdat
	.globl	_ZN7rocprim17ROCPRIM_400000_NS6detail17trampoline_kernelINS0_14default_configENS1_25partition_config_selectorILNS1_17partition_subalgoE8ElNS0_10empty_typeEbEEZZNS1_14partition_implILS5_8ELb0ES3_jPlPS6_PKS6_NS0_5tupleIJS9_S6_EEENSD_IJSA_SA_EEENS0_18inequality_wrapperIZN2at6native12_GLOBAL__N_124unique_dim_cuda_templateIfEESt5tupleIJNSH_6TensorESM_SM_EERKSM_lbbbEUlllE0_EEPmJS6_EEE10hipError_tPvRmT3_T4_T5_T6_T7_T9_mT8_P12ihipStream_tbDpT10_ENKUlT_T0_E_clISt17integral_constantIbLb1EES1B_IbLb0EEEEDaS17_S18_EUlS17_E_NS1_11comp_targetILNS1_3genE9ELNS1_11target_archE1100ELNS1_3gpuE3ELNS1_3repE0EEENS1_30default_config_static_selectorELNS0_4arch9wavefront6targetE0EEEvT1_ ; -- Begin function _ZN7rocprim17ROCPRIM_400000_NS6detail17trampoline_kernelINS0_14default_configENS1_25partition_config_selectorILNS1_17partition_subalgoE8ElNS0_10empty_typeEbEEZZNS1_14partition_implILS5_8ELb0ES3_jPlPS6_PKS6_NS0_5tupleIJS9_S6_EEENSD_IJSA_SA_EEENS0_18inequality_wrapperIZN2at6native12_GLOBAL__N_124unique_dim_cuda_templateIfEESt5tupleIJNSH_6TensorESM_SM_EERKSM_lbbbEUlllE0_EEPmJS6_EEE10hipError_tPvRmT3_T4_T5_T6_T7_T9_mT8_P12ihipStream_tbDpT10_ENKUlT_T0_E_clISt17integral_constantIbLb1EES1B_IbLb0EEEEDaS17_S18_EUlS17_E_NS1_11comp_targetILNS1_3genE9ELNS1_11target_archE1100ELNS1_3gpuE3ELNS1_3repE0EEENS1_30default_config_static_selectorELNS0_4arch9wavefront6targetE0EEEvT1_
	.p2align	8
	.type	_ZN7rocprim17ROCPRIM_400000_NS6detail17trampoline_kernelINS0_14default_configENS1_25partition_config_selectorILNS1_17partition_subalgoE8ElNS0_10empty_typeEbEEZZNS1_14partition_implILS5_8ELb0ES3_jPlPS6_PKS6_NS0_5tupleIJS9_S6_EEENSD_IJSA_SA_EEENS0_18inequality_wrapperIZN2at6native12_GLOBAL__N_124unique_dim_cuda_templateIfEESt5tupleIJNSH_6TensorESM_SM_EERKSM_lbbbEUlllE0_EEPmJS6_EEE10hipError_tPvRmT3_T4_T5_T6_T7_T9_mT8_P12ihipStream_tbDpT10_ENKUlT_T0_E_clISt17integral_constantIbLb1EES1B_IbLb0EEEEDaS17_S18_EUlS17_E_NS1_11comp_targetILNS1_3genE9ELNS1_11target_archE1100ELNS1_3gpuE3ELNS1_3repE0EEENS1_30default_config_static_selectorELNS0_4arch9wavefront6targetE0EEEvT1_,@function
_ZN7rocprim17ROCPRIM_400000_NS6detail17trampoline_kernelINS0_14default_configENS1_25partition_config_selectorILNS1_17partition_subalgoE8ElNS0_10empty_typeEbEEZZNS1_14partition_implILS5_8ELb0ES3_jPlPS6_PKS6_NS0_5tupleIJS9_S6_EEENSD_IJSA_SA_EEENS0_18inequality_wrapperIZN2at6native12_GLOBAL__N_124unique_dim_cuda_templateIfEESt5tupleIJNSH_6TensorESM_SM_EERKSM_lbbbEUlllE0_EEPmJS6_EEE10hipError_tPvRmT3_T4_T5_T6_T7_T9_mT8_P12ihipStream_tbDpT10_ENKUlT_T0_E_clISt17integral_constantIbLb1EES1B_IbLb0EEEEDaS17_S18_EUlS17_E_NS1_11comp_targetILNS1_3genE9ELNS1_11target_archE1100ELNS1_3gpuE3ELNS1_3repE0EEENS1_30default_config_static_selectorELNS0_4arch9wavefront6targetE0EEEvT1_: ; @_ZN7rocprim17ROCPRIM_400000_NS6detail17trampoline_kernelINS0_14default_configENS1_25partition_config_selectorILNS1_17partition_subalgoE8ElNS0_10empty_typeEbEEZZNS1_14partition_implILS5_8ELb0ES3_jPlPS6_PKS6_NS0_5tupleIJS9_S6_EEENSD_IJSA_SA_EEENS0_18inequality_wrapperIZN2at6native12_GLOBAL__N_124unique_dim_cuda_templateIfEESt5tupleIJNSH_6TensorESM_SM_EERKSM_lbbbEUlllE0_EEPmJS6_EEE10hipError_tPvRmT3_T4_T5_T6_T7_T9_mT8_P12ihipStream_tbDpT10_ENKUlT_T0_E_clISt17integral_constantIbLb1EES1B_IbLb0EEEEDaS17_S18_EUlS17_E_NS1_11comp_targetILNS1_3genE9ELNS1_11target_archE1100ELNS1_3gpuE3ELNS1_3repE0EEENS1_30default_config_static_selectorELNS0_4arch9wavefront6targetE0EEEvT1_
; %bb.0:
	.section	.rodata,"a",@progbits
	.p2align	6, 0x0
	.amdhsa_kernel _ZN7rocprim17ROCPRIM_400000_NS6detail17trampoline_kernelINS0_14default_configENS1_25partition_config_selectorILNS1_17partition_subalgoE8ElNS0_10empty_typeEbEEZZNS1_14partition_implILS5_8ELb0ES3_jPlPS6_PKS6_NS0_5tupleIJS9_S6_EEENSD_IJSA_SA_EEENS0_18inequality_wrapperIZN2at6native12_GLOBAL__N_124unique_dim_cuda_templateIfEESt5tupleIJNSH_6TensorESM_SM_EERKSM_lbbbEUlllE0_EEPmJS6_EEE10hipError_tPvRmT3_T4_T5_T6_T7_T9_mT8_P12ihipStream_tbDpT10_ENKUlT_T0_E_clISt17integral_constantIbLb1EES1B_IbLb0EEEEDaS17_S18_EUlS17_E_NS1_11comp_targetILNS1_3genE9ELNS1_11target_archE1100ELNS1_3gpuE3ELNS1_3repE0EEENS1_30default_config_static_selectorELNS0_4arch9wavefront6targetE0EEEvT1_
		.amdhsa_group_segment_fixed_size 0
		.amdhsa_private_segment_fixed_size 0
		.amdhsa_kernarg_size 120
		.amdhsa_user_sgpr_count 2
		.amdhsa_user_sgpr_dispatch_ptr 0
		.amdhsa_user_sgpr_queue_ptr 0
		.amdhsa_user_sgpr_kernarg_segment_ptr 1
		.amdhsa_user_sgpr_dispatch_id 0
		.amdhsa_user_sgpr_kernarg_preload_length 0
		.amdhsa_user_sgpr_kernarg_preload_offset 0
		.amdhsa_user_sgpr_private_segment_size 0
		.amdhsa_wavefront_size32 1
		.amdhsa_uses_dynamic_stack 0
		.amdhsa_enable_private_segment 0
		.amdhsa_system_sgpr_workgroup_id_x 1
		.amdhsa_system_sgpr_workgroup_id_y 0
		.amdhsa_system_sgpr_workgroup_id_z 0
		.amdhsa_system_sgpr_workgroup_info 0
		.amdhsa_system_vgpr_workitem_id 0
		.amdhsa_next_free_vgpr 1
		.amdhsa_next_free_sgpr 1
		.amdhsa_named_barrier_count 0
		.amdhsa_reserve_vcc 0
		.amdhsa_float_round_mode_32 0
		.amdhsa_float_round_mode_16_64 0
		.amdhsa_float_denorm_mode_32 3
		.amdhsa_float_denorm_mode_16_64 3
		.amdhsa_fp16_overflow 0
		.amdhsa_memory_ordered 1
		.amdhsa_forward_progress 1
		.amdhsa_inst_pref_size 0
		.amdhsa_round_robin_scheduling 0
		.amdhsa_exception_fp_ieee_invalid_op 0
		.amdhsa_exception_fp_denorm_src 0
		.amdhsa_exception_fp_ieee_div_zero 0
		.amdhsa_exception_fp_ieee_overflow 0
		.amdhsa_exception_fp_ieee_underflow 0
		.amdhsa_exception_fp_ieee_inexact 0
		.amdhsa_exception_int_div_zero 0
	.end_amdhsa_kernel
	.section	.text._ZN7rocprim17ROCPRIM_400000_NS6detail17trampoline_kernelINS0_14default_configENS1_25partition_config_selectorILNS1_17partition_subalgoE8ElNS0_10empty_typeEbEEZZNS1_14partition_implILS5_8ELb0ES3_jPlPS6_PKS6_NS0_5tupleIJS9_S6_EEENSD_IJSA_SA_EEENS0_18inequality_wrapperIZN2at6native12_GLOBAL__N_124unique_dim_cuda_templateIfEESt5tupleIJNSH_6TensorESM_SM_EERKSM_lbbbEUlllE0_EEPmJS6_EEE10hipError_tPvRmT3_T4_T5_T6_T7_T9_mT8_P12ihipStream_tbDpT10_ENKUlT_T0_E_clISt17integral_constantIbLb1EES1B_IbLb0EEEEDaS17_S18_EUlS17_E_NS1_11comp_targetILNS1_3genE9ELNS1_11target_archE1100ELNS1_3gpuE3ELNS1_3repE0EEENS1_30default_config_static_selectorELNS0_4arch9wavefront6targetE0EEEvT1_,"axG",@progbits,_ZN7rocprim17ROCPRIM_400000_NS6detail17trampoline_kernelINS0_14default_configENS1_25partition_config_selectorILNS1_17partition_subalgoE8ElNS0_10empty_typeEbEEZZNS1_14partition_implILS5_8ELb0ES3_jPlPS6_PKS6_NS0_5tupleIJS9_S6_EEENSD_IJSA_SA_EEENS0_18inequality_wrapperIZN2at6native12_GLOBAL__N_124unique_dim_cuda_templateIfEESt5tupleIJNSH_6TensorESM_SM_EERKSM_lbbbEUlllE0_EEPmJS6_EEE10hipError_tPvRmT3_T4_T5_T6_T7_T9_mT8_P12ihipStream_tbDpT10_ENKUlT_T0_E_clISt17integral_constantIbLb1EES1B_IbLb0EEEEDaS17_S18_EUlS17_E_NS1_11comp_targetILNS1_3genE9ELNS1_11target_archE1100ELNS1_3gpuE3ELNS1_3repE0EEENS1_30default_config_static_selectorELNS0_4arch9wavefront6targetE0EEEvT1_,comdat
.Lfunc_end951:
	.size	_ZN7rocprim17ROCPRIM_400000_NS6detail17trampoline_kernelINS0_14default_configENS1_25partition_config_selectorILNS1_17partition_subalgoE8ElNS0_10empty_typeEbEEZZNS1_14partition_implILS5_8ELb0ES3_jPlPS6_PKS6_NS0_5tupleIJS9_S6_EEENSD_IJSA_SA_EEENS0_18inequality_wrapperIZN2at6native12_GLOBAL__N_124unique_dim_cuda_templateIfEESt5tupleIJNSH_6TensorESM_SM_EERKSM_lbbbEUlllE0_EEPmJS6_EEE10hipError_tPvRmT3_T4_T5_T6_T7_T9_mT8_P12ihipStream_tbDpT10_ENKUlT_T0_E_clISt17integral_constantIbLb1EES1B_IbLb0EEEEDaS17_S18_EUlS17_E_NS1_11comp_targetILNS1_3genE9ELNS1_11target_archE1100ELNS1_3gpuE3ELNS1_3repE0EEENS1_30default_config_static_selectorELNS0_4arch9wavefront6targetE0EEEvT1_, .Lfunc_end951-_ZN7rocprim17ROCPRIM_400000_NS6detail17trampoline_kernelINS0_14default_configENS1_25partition_config_selectorILNS1_17partition_subalgoE8ElNS0_10empty_typeEbEEZZNS1_14partition_implILS5_8ELb0ES3_jPlPS6_PKS6_NS0_5tupleIJS9_S6_EEENSD_IJSA_SA_EEENS0_18inequality_wrapperIZN2at6native12_GLOBAL__N_124unique_dim_cuda_templateIfEESt5tupleIJNSH_6TensorESM_SM_EERKSM_lbbbEUlllE0_EEPmJS6_EEE10hipError_tPvRmT3_T4_T5_T6_T7_T9_mT8_P12ihipStream_tbDpT10_ENKUlT_T0_E_clISt17integral_constantIbLb1EES1B_IbLb0EEEEDaS17_S18_EUlS17_E_NS1_11comp_targetILNS1_3genE9ELNS1_11target_archE1100ELNS1_3gpuE3ELNS1_3repE0EEENS1_30default_config_static_selectorELNS0_4arch9wavefront6targetE0EEEvT1_
                                        ; -- End function
	.set _ZN7rocprim17ROCPRIM_400000_NS6detail17trampoline_kernelINS0_14default_configENS1_25partition_config_selectorILNS1_17partition_subalgoE8ElNS0_10empty_typeEbEEZZNS1_14partition_implILS5_8ELb0ES3_jPlPS6_PKS6_NS0_5tupleIJS9_S6_EEENSD_IJSA_SA_EEENS0_18inequality_wrapperIZN2at6native12_GLOBAL__N_124unique_dim_cuda_templateIfEESt5tupleIJNSH_6TensorESM_SM_EERKSM_lbbbEUlllE0_EEPmJS6_EEE10hipError_tPvRmT3_T4_T5_T6_T7_T9_mT8_P12ihipStream_tbDpT10_ENKUlT_T0_E_clISt17integral_constantIbLb1EES1B_IbLb0EEEEDaS17_S18_EUlS17_E_NS1_11comp_targetILNS1_3genE9ELNS1_11target_archE1100ELNS1_3gpuE3ELNS1_3repE0EEENS1_30default_config_static_selectorELNS0_4arch9wavefront6targetE0EEEvT1_.num_vgpr, 0
	.set _ZN7rocprim17ROCPRIM_400000_NS6detail17trampoline_kernelINS0_14default_configENS1_25partition_config_selectorILNS1_17partition_subalgoE8ElNS0_10empty_typeEbEEZZNS1_14partition_implILS5_8ELb0ES3_jPlPS6_PKS6_NS0_5tupleIJS9_S6_EEENSD_IJSA_SA_EEENS0_18inequality_wrapperIZN2at6native12_GLOBAL__N_124unique_dim_cuda_templateIfEESt5tupleIJNSH_6TensorESM_SM_EERKSM_lbbbEUlllE0_EEPmJS6_EEE10hipError_tPvRmT3_T4_T5_T6_T7_T9_mT8_P12ihipStream_tbDpT10_ENKUlT_T0_E_clISt17integral_constantIbLb1EES1B_IbLb0EEEEDaS17_S18_EUlS17_E_NS1_11comp_targetILNS1_3genE9ELNS1_11target_archE1100ELNS1_3gpuE3ELNS1_3repE0EEENS1_30default_config_static_selectorELNS0_4arch9wavefront6targetE0EEEvT1_.num_agpr, 0
	.set _ZN7rocprim17ROCPRIM_400000_NS6detail17trampoline_kernelINS0_14default_configENS1_25partition_config_selectorILNS1_17partition_subalgoE8ElNS0_10empty_typeEbEEZZNS1_14partition_implILS5_8ELb0ES3_jPlPS6_PKS6_NS0_5tupleIJS9_S6_EEENSD_IJSA_SA_EEENS0_18inequality_wrapperIZN2at6native12_GLOBAL__N_124unique_dim_cuda_templateIfEESt5tupleIJNSH_6TensorESM_SM_EERKSM_lbbbEUlllE0_EEPmJS6_EEE10hipError_tPvRmT3_T4_T5_T6_T7_T9_mT8_P12ihipStream_tbDpT10_ENKUlT_T0_E_clISt17integral_constantIbLb1EES1B_IbLb0EEEEDaS17_S18_EUlS17_E_NS1_11comp_targetILNS1_3genE9ELNS1_11target_archE1100ELNS1_3gpuE3ELNS1_3repE0EEENS1_30default_config_static_selectorELNS0_4arch9wavefront6targetE0EEEvT1_.numbered_sgpr, 0
	.set _ZN7rocprim17ROCPRIM_400000_NS6detail17trampoline_kernelINS0_14default_configENS1_25partition_config_selectorILNS1_17partition_subalgoE8ElNS0_10empty_typeEbEEZZNS1_14partition_implILS5_8ELb0ES3_jPlPS6_PKS6_NS0_5tupleIJS9_S6_EEENSD_IJSA_SA_EEENS0_18inequality_wrapperIZN2at6native12_GLOBAL__N_124unique_dim_cuda_templateIfEESt5tupleIJNSH_6TensorESM_SM_EERKSM_lbbbEUlllE0_EEPmJS6_EEE10hipError_tPvRmT3_T4_T5_T6_T7_T9_mT8_P12ihipStream_tbDpT10_ENKUlT_T0_E_clISt17integral_constantIbLb1EES1B_IbLb0EEEEDaS17_S18_EUlS17_E_NS1_11comp_targetILNS1_3genE9ELNS1_11target_archE1100ELNS1_3gpuE3ELNS1_3repE0EEENS1_30default_config_static_selectorELNS0_4arch9wavefront6targetE0EEEvT1_.num_named_barrier, 0
	.set _ZN7rocprim17ROCPRIM_400000_NS6detail17trampoline_kernelINS0_14default_configENS1_25partition_config_selectorILNS1_17partition_subalgoE8ElNS0_10empty_typeEbEEZZNS1_14partition_implILS5_8ELb0ES3_jPlPS6_PKS6_NS0_5tupleIJS9_S6_EEENSD_IJSA_SA_EEENS0_18inequality_wrapperIZN2at6native12_GLOBAL__N_124unique_dim_cuda_templateIfEESt5tupleIJNSH_6TensorESM_SM_EERKSM_lbbbEUlllE0_EEPmJS6_EEE10hipError_tPvRmT3_T4_T5_T6_T7_T9_mT8_P12ihipStream_tbDpT10_ENKUlT_T0_E_clISt17integral_constantIbLb1EES1B_IbLb0EEEEDaS17_S18_EUlS17_E_NS1_11comp_targetILNS1_3genE9ELNS1_11target_archE1100ELNS1_3gpuE3ELNS1_3repE0EEENS1_30default_config_static_selectorELNS0_4arch9wavefront6targetE0EEEvT1_.private_seg_size, 0
	.set _ZN7rocprim17ROCPRIM_400000_NS6detail17trampoline_kernelINS0_14default_configENS1_25partition_config_selectorILNS1_17partition_subalgoE8ElNS0_10empty_typeEbEEZZNS1_14partition_implILS5_8ELb0ES3_jPlPS6_PKS6_NS0_5tupleIJS9_S6_EEENSD_IJSA_SA_EEENS0_18inequality_wrapperIZN2at6native12_GLOBAL__N_124unique_dim_cuda_templateIfEESt5tupleIJNSH_6TensorESM_SM_EERKSM_lbbbEUlllE0_EEPmJS6_EEE10hipError_tPvRmT3_T4_T5_T6_T7_T9_mT8_P12ihipStream_tbDpT10_ENKUlT_T0_E_clISt17integral_constantIbLb1EES1B_IbLb0EEEEDaS17_S18_EUlS17_E_NS1_11comp_targetILNS1_3genE9ELNS1_11target_archE1100ELNS1_3gpuE3ELNS1_3repE0EEENS1_30default_config_static_selectorELNS0_4arch9wavefront6targetE0EEEvT1_.uses_vcc, 0
	.set _ZN7rocprim17ROCPRIM_400000_NS6detail17trampoline_kernelINS0_14default_configENS1_25partition_config_selectorILNS1_17partition_subalgoE8ElNS0_10empty_typeEbEEZZNS1_14partition_implILS5_8ELb0ES3_jPlPS6_PKS6_NS0_5tupleIJS9_S6_EEENSD_IJSA_SA_EEENS0_18inequality_wrapperIZN2at6native12_GLOBAL__N_124unique_dim_cuda_templateIfEESt5tupleIJNSH_6TensorESM_SM_EERKSM_lbbbEUlllE0_EEPmJS6_EEE10hipError_tPvRmT3_T4_T5_T6_T7_T9_mT8_P12ihipStream_tbDpT10_ENKUlT_T0_E_clISt17integral_constantIbLb1EES1B_IbLb0EEEEDaS17_S18_EUlS17_E_NS1_11comp_targetILNS1_3genE9ELNS1_11target_archE1100ELNS1_3gpuE3ELNS1_3repE0EEENS1_30default_config_static_selectorELNS0_4arch9wavefront6targetE0EEEvT1_.uses_flat_scratch, 0
	.set _ZN7rocprim17ROCPRIM_400000_NS6detail17trampoline_kernelINS0_14default_configENS1_25partition_config_selectorILNS1_17partition_subalgoE8ElNS0_10empty_typeEbEEZZNS1_14partition_implILS5_8ELb0ES3_jPlPS6_PKS6_NS0_5tupleIJS9_S6_EEENSD_IJSA_SA_EEENS0_18inequality_wrapperIZN2at6native12_GLOBAL__N_124unique_dim_cuda_templateIfEESt5tupleIJNSH_6TensorESM_SM_EERKSM_lbbbEUlllE0_EEPmJS6_EEE10hipError_tPvRmT3_T4_T5_T6_T7_T9_mT8_P12ihipStream_tbDpT10_ENKUlT_T0_E_clISt17integral_constantIbLb1EES1B_IbLb0EEEEDaS17_S18_EUlS17_E_NS1_11comp_targetILNS1_3genE9ELNS1_11target_archE1100ELNS1_3gpuE3ELNS1_3repE0EEENS1_30default_config_static_selectorELNS0_4arch9wavefront6targetE0EEEvT1_.has_dyn_sized_stack, 0
	.set _ZN7rocprim17ROCPRIM_400000_NS6detail17trampoline_kernelINS0_14default_configENS1_25partition_config_selectorILNS1_17partition_subalgoE8ElNS0_10empty_typeEbEEZZNS1_14partition_implILS5_8ELb0ES3_jPlPS6_PKS6_NS0_5tupleIJS9_S6_EEENSD_IJSA_SA_EEENS0_18inequality_wrapperIZN2at6native12_GLOBAL__N_124unique_dim_cuda_templateIfEESt5tupleIJNSH_6TensorESM_SM_EERKSM_lbbbEUlllE0_EEPmJS6_EEE10hipError_tPvRmT3_T4_T5_T6_T7_T9_mT8_P12ihipStream_tbDpT10_ENKUlT_T0_E_clISt17integral_constantIbLb1EES1B_IbLb0EEEEDaS17_S18_EUlS17_E_NS1_11comp_targetILNS1_3genE9ELNS1_11target_archE1100ELNS1_3gpuE3ELNS1_3repE0EEENS1_30default_config_static_selectorELNS0_4arch9wavefront6targetE0EEEvT1_.has_recursion, 0
	.set _ZN7rocprim17ROCPRIM_400000_NS6detail17trampoline_kernelINS0_14default_configENS1_25partition_config_selectorILNS1_17partition_subalgoE8ElNS0_10empty_typeEbEEZZNS1_14partition_implILS5_8ELb0ES3_jPlPS6_PKS6_NS0_5tupleIJS9_S6_EEENSD_IJSA_SA_EEENS0_18inequality_wrapperIZN2at6native12_GLOBAL__N_124unique_dim_cuda_templateIfEESt5tupleIJNSH_6TensorESM_SM_EERKSM_lbbbEUlllE0_EEPmJS6_EEE10hipError_tPvRmT3_T4_T5_T6_T7_T9_mT8_P12ihipStream_tbDpT10_ENKUlT_T0_E_clISt17integral_constantIbLb1EES1B_IbLb0EEEEDaS17_S18_EUlS17_E_NS1_11comp_targetILNS1_3genE9ELNS1_11target_archE1100ELNS1_3gpuE3ELNS1_3repE0EEENS1_30default_config_static_selectorELNS0_4arch9wavefront6targetE0EEEvT1_.has_indirect_call, 0
	.section	.AMDGPU.csdata,"",@progbits
; Kernel info:
; codeLenInByte = 0
; TotalNumSgprs: 0
; NumVgprs: 0
; ScratchSize: 0
; MemoryBound: 0
; FloatMode: 240
; IeeeMode: 1
; LDSByteSize: 0 bytes/workgroup (compile time only)
; SGPRBlocks: 0
; VGPRBlocks: 0
; NumSGPRsForWavesPerEU: 1
; NumVGPRsForWavesPerEU: 1
; NamedBarCnt: 0
; Occupancy: 16
; WaveLimiterHint : 0
; COMPUTE_PGM_RSRC2:SCRATCH_EN: 0
; COMPUTE_PGM_RSRC2:USER_SGPR: 2
; COMPUTE_PGM_RSRC2:TRAP_HANDLER: 0
; COMPUTE_PGM_RSRC2:TGID_X_EN: 1
; COMPUTE_PGM_RSRC2:TGID_Y_EN: 0
; COMPUTE_PGM_RSRC2:TGID_Z_EN: 0
; COMPUTE_PGM_RSRC2:TIDIG_COMP_CNT: 0
	.section	.text._ZN7rocprim17ROCPRIM_400000_NS6detail17trampoline_kernelINS0_14default_configENS1_25partition_config_selectorILNS1_17partition_subalgoE8ElNS0_10empty_typeEbEEZZNS1_14partition_implILS5_8ELb0ES3_jPlPS6_PKS6_NS0_5tupleIJS9_S6_EEENSD_IJSA_SA_EEENS0_18inequality_wrapperIZN2at6native12_GLOBAL__N_124unique_dim_cuda_templateIfEESt5tupleIJNSH_6TensorESM_SM_EERKSM_lbbbEUlllE0_EEPmJS6_EEE10hipError_tPvRmT3_T4_T5_T6_T7_T9_mT8_P12ihipStream_tbDpT10_ENKUlT_T0_E_clISt17integral_constantIbLb1EES1B_IbLb0EEEEDaS17_S18_EUlS17_E_NS1_11comp_targetILNS1_3genE8ELNS1_11target_archE1030ELNS1_3gpuE2ELNS1_3repE0EEENS1_30default_config_static_selectorELNS0_4arch9wavefront6targetE0EEEvT1_,"axG",@progbits,_ZN7rocprim17ROCPRIM_400000_NS6detail17trampoline_kernelINS0_14default_configENS1_25partition_config_selectorILNS1_17partition_subalgoE8ElNS0_10empty_typeEbEEZZNS1_14partition_implILS5_8ELb0ES3_jPlPS6_PKS6_NS0_5tupleIJS9_S6_EEENSD_IJSA_SA_EEENS0_18inequality_wrapperIZN2at6native12_GLOBAL__N_124unique_dim_cuda_templateIfEESt5tupleIJNSH_6TensorESM_SM_EERKSM_lbbbEUlllE0_EEPmJS6_EEE10hipError_tPvRmT3_T4_T5_T6_T7_T9_mT8_P12ihipStream_tbDpT10_ENKUlT_T0_E_clISt17integral_constantIbLb1EES1B_IbLb0EEEEDaS17_S18_EUlS17_E_NS1_11comp_targetILNS1_3genE8ELNS1_11target_archE1030ELNS1_3gpuE2ELNS1_3repE0EEENS1_30default_config_static_selectorELNS0_4arch9wavefront6targetE0EEEvT1_,comdat
	.globl	_ZN7rocprim17ROCPRIM_400000_NS6detail17trampoline_kernelINS0_14default_configENS1_25partition_config_selectorILNS1_17partition_subalgoE8ElNS0_10empty_typeEbEEZZNS1_14partition_implILS5_8ELb0ES3_jPlPS6_PKS6_NS0_5tupleIJS9_S6_EEENSD_IJSA_SA_EEENS0_18inequality_wrapperIZN2at6native12_GLOBAL__N_124unique_dim_cuda_templateIfEESt5tupleIJNSH_6TensorESM_SM_EERKSM_lbbbEUlllE0_EEPmJS6_EEE10hipError_tPvRmT3_T4_T5_T6_T7_T9_mT8_P12ihipStream_tbDpT10_ENKUlT_T0_E_clISt17integral_constantIbLb1EES1B_IbLb0EEEEDaS17_S18_EUlS17_E_NS1_11comp_targetILNS1_3genE8ELNS1_11target_archE1030ELNS1_3gpuE2ELNS1_3repE0EEENS1_30default_config_static_selectorELNS0_4arch9wavefront6targetE0EEEvT1_ ; -- Begin function _ZN7rocprim17ROCPRIM_400000_NS6detail17trampoline_kernelINS0_14default_configENS1_25partition_config_selectorILNS1_17partition_subalgoE8ElNS0_10empty_typeEbEEZZNS1_14partition_implILS5_8ELb0ES3_jPlPS6_PKS6_NS0_5tupleIJS9_S6_EEENSD_IJSA_SA_EEENS0_18inequality_wrapperIZN2at6native12_GLOBAL__N_124unique_dim_cuda_templateIfEESt5tupleIJNSH_6TensorESM_SM_EERKSM_lbbbEUlllE0_EEPmJS6_EEE10hipError_tPvRmT3_T4_T5_T6_T7_T9_mT8_P12ihipStream_tbDpT10_ENKUlT_T0_E_clISt17integral_constantIbLb1EES1B_IbLb0EEEEDaS17_S18_EUlS17_E_NS1_11comp_targetILNS1_3genE8ELNS1_11target_archE1030ELNS1_3gpuE2ELNS1_3repE0EEENS1_30default_config_static_selectorELNS0_4arch9wavefront6targetE0EEEvT1_
	.p2align	8
	.type	_ZN7rocprim17ROCPRIM_400000_NS6detail17trampoline_kernelINS0_14default_configENS1_25partition_config_selectorILNS1_17partition_subalgoE8ElNS0_10empty_typeEbEEZZNS1_14partition_implILS5_8ELb0ES3_jPlPS6_PKS6_NS0_5tupleIJS9_S6_EEENSD_IJSA_SA_EEENS0_18inequality_wrapperIZN2at6native12_GLOBAL__N_124unique_dim_cuda_templateIfEESt5tupleIJNSH_6TensorESM_SM_EERKSM_lbbbEUlllE0_EEPmJS6_EEE10hipError_tPvRmT3_T4_T5_T6_T7_T9_mT8_P12ihipStream_tbDpT10_ENKUlT_T0_E_clISt17integral_constantIbLb1EES1B_IbLb0EEEEDaS17_S18_EUlS17_E_NS1_11comp_targetILNS1_3genE8ELNS1_11target_archE1030ELNS1_3gpuE2ELNS1_3repE0EEENS1_30default_config_static_selectorELNS0_4arch9wavefront6targetE0EEEvT1_,@function
_ZN7rocprim17ROCPRIM_400000_NS6detail17trampoline_kernelINS0_14default_configENS1_25partition_config_selectorILNS1_17partition_subalgoE8ElNS0_10empty_typeEbEEZZNS1_14partition_implILS5_8ELb0ES3_jPlPS6_PKS6_NS0_5tupleIJS9_S6_EEENSD_IJSA_SA_EEENS0_18inequality_wrapperIZN2at6native12_GLOBAL__N_124unique_dim_cuda_templateIfEESt5tupleIJNSH_6TensorESM_SM_EERKSM_lbbbEUlllE0_EEPmJS6_EEE10hipError_tPvRmT3_T4_T5_T6_T7_T9_mT8_P12ihipStream_tbDpT10_ENKUlT_T0_E_clISt17integral_constantIbLb1EES1B_IbLb0EEEEDaS17_S18_EUlS17_E_NS1_11comp_targetILNS1_3genE8ELNS1_11target_archE1030ELNS1_3gpuE2ELNS1_3repE0EEENS1_30default_config_static_selectorELNS0_4arch9wavefront6targetE0EEEvT1_: ; @_ZN7rocprim17ROCPRIM_400000_NS6detail17trampoline_kernelINS0_14default_configENS1_25partition_config_selectorILNS1_17partition_subalgoE8ElNS0_10empty_typeEbEEZZNS1_14partition_implILS5_8ELb0ES3_jPlPS6_PKS6_NS0_5tupleIJS9_S6_EEENSD_IJSA_SA_EEENS0_18inequality_wrapperIZN2at6native12_GLOBAL__N_124unique_dim_cuda_templateIfEESt5tupleIJNSH_6TensorESM_SM_EERKSM_lbbbEUlllE0_EEPmJS6_EEE10hipError_tPvRmT3_T4_T5_T6_T7_T9_mT8_P12ihipStream_tbDpT10_ENKUlT_T0_E_clISt17integral_constantIbLb1EES1B_IbLb0EEEEDaS17_S18_EUlS17_E_NS1_11comp_targetILNS1_3genE8ELNS1_11target_archE1030ELNS1_3gpuE2ELNS1_3repE0EEENS1_30default_config_static_selectorELNS0_4arch9wavefront6targetE0EEEvT1_
; %bb.0:
	.section	.rodata,"a",@progbits
	.p2align	6, 0x0
	.amdhsa_kernel _ZN7rocprim17ROCPRIM_400000_NS6detail17trampoline_kernelINS0_14default_configENS1_25partition_config_selectorILNS1_17partition_subalgoE8ElNS0_10empty_typeEbEEZZNS1_14partition_implILS5_8ELb0ES3_jPlPS6_PKS6_NS0_5tupleIJS9_S6_EEENSD_IJSA_SA_EEENS0_18inequality_wrapperIZN2at6native12_GLOBAL__N_124unique_dim_cuda_templateIfEESt5tupleIJNSH_6TensorESM_SM_EERKSM_lbbbEUlllE0_EEPmJS6_EEE10hipError_tPvRmT3_T4_T5_T6_T7_T9_mT8_P12ihipStream_tbDpT10_ENKUlT_T0_E_clISt17integral_constantIbLb1EES1B_IbLb0EEEEDaS17_S18_EUlS17_E_NS1_11comp_targetILNS1_3genE8ELNS1_11target_archE1030ELNS1_3gpuE2ELNS1_3repE0EEENS1_30default_config_static_selectorELNS0_4arch9wavefront6targetE0EEEvT1_
		.amdhsa_group_segment_fixed_size 0
		.amdhsa_private_segment_fixed_size 0
		.amdhsa_kernarg_size 120
		.amdhsa_user_sgpr_count 2
		.amdhsa_user_sgpr_dispatch_ptr 0
		.amdhsa_user_sgpr_queue_ptr 0
		.amdhsa_user_sgpr_kernarg_segment_ptr 1
		.amdhsa_user_sgpr_dispatch_id 0
		.amdhsa_user_sgpr_kernarg_preload_length 0
		.amdhsa_user_sgpr_kernarg_preload_offset 0
		.amdhsa_user_sgpr_private_segment_size 0
		.amdhsa_wavefront_size32 1
		.amdhsa_uses_dynamic_stack 0
		.amdhsa_enable_private_segment 0
		.amdhsa_system_sgpr_workgroup_id_x 1
		.amdhsa_system_sgpr_workgroup_id_y 0
		.amdhsa_system_sgpr_workgroup_id_z 0
		.amdhsa_system_sgpr_workgroup_info 0
		.amdhsa_system_vgpr_workitem_id 0
		.amdhsa_next_free_vgpr 1
		.amdhsa_next_free_sgpr 1
		.amdhsa_named_barrier_count 0
		.amdhsa_reserve_vcc 0
		.amdhsa_float_round_mode_32 0
		.amdhsa_float_round_mode_16_64 0
		.amdhsa_float_denorm_mode_32 3
		.amdhsa_float_denorm_mode_16_64 3
		.amdhsa_fp16_overflow 0
		.amdhsa_memory_ordered 1
		.amdhsa_forward_progress 1
		.amdhsa_inst_pref_size 0
		.amdhsa_round_robin_scheduling 0
		.amdhsa_exception_fp_ieee_invalid_op 0
		.amdhsa_exception_fp_denorm_src 0
		.amdhsa_exception_fp_ieee_div_zero 0
		.amdhsa_exception_fp_ieee_overflow 0
		.amdhsa_exception_fp_ieee_underflow 0
		.amdhsa_exception_fp_ieee_inexact 0
		.amdhsa_exception_int_div_zero 0
	.end_amdhsa_kernel
	.section	.text._ZN7rocprim17ROCPRIM_400000_NS6detail17trampoline_kernelINS0_14default_configENS1_25partition_config_selectorILNS1_17partition_subalgoE8ElNS0_10empty_typeEbEEZZNS1_14partition_implILS5_8ELb0ES3_jPlPS6_PKS6_NS0_5tupleIJS9_S6_EEENSD_IJSA_SA_EEENS0_18inequality_wrapperIZN2at6native12_GLOBAL__N_124unique_dim_cuda_templateIfEESt5tupleIJNSH_6TensorESM_SM_EERKSM_lbbbEUlllE0_EEPmJS6_EEE10hipError_tPvRmT3_T4_T5_T6_T7_T9_mT8_P12ihipStream_tbDpT10_ENKUlT_T0_E_clISt17integral_constantIbLb1EES1B_IbLb0EEEEDaS17_S18_EUlS17_E_NS1_11comp_targetILNS1_3genE8ELNS1_11target_archE1030ELNS1_3gpuE2ELNS1_3repE0EEENS1_30default_config_static_selectorELNS0_4arch9wavefront6targetE0EEEvT1_,"axG",@progbits,_ZN7rocprim17ROCPRIM_400000_NS6detail17trampoline_kernelINS0_14default_configENS1_25partition_config_selectorILNS1_17partition_subalgoE8ElNS0_10empty_typeEbEEZZNS1_14partition_implILS5_8ELb0ES3_jPlPS6_PKS6_NS0_5tupleIJS9_S6_EEENSD_IJSA_SA_EEENS0_18inequality_wrapperIZN2at6native12_GLOBAL__N_124unique_dim_cuda_templateIfEESt5tupleIJNSH_6TensorESM_SM_EERKSM_lbbbEUlllE0_EEPmJS6_EEE10hipError_tPvRmT3_T4_T5_T6_T7_T9_mT8_P12ihipStream_tbDpT10_ENKUlT_T0_E_clISt17integral_constantIbLb1EES1B_IbLb0EEEEDaS17_S18_EUlS17_E_NS1_11comp_targetILNS1_3genE8ELNS1_11target_archE1030ELNS1_3gpuE2ELNS1_3repE0EEENS1_30default_config_static_selectorELNS0_4arch9wavefront6targetE0EEEvT1_,comdat
.Lfunc_end952:
	.size	_ZN7rocprim17ROCPRIM_400000_NS6detail17trampoline_kernelINS0_14default_configENS1_25partition_config_selectorILNS1_17partition_subalgoE8ElNS0_10empty_typeEbEEZZNS1_14partition_implILS5_8ELb0ES3_jPlPS6_PKS6_NS0_5tupleIJS9_S6_EEENSD_IJSA_SA_EEENS0_18inequality_wrapperIZN2at6native12_GLOBAL__N_124unique_dim_cuda_templateIfEESt5tupleIJNSH_6TensorESM_SM_EERKSM_lbbbEUlllE0_EEPmJS6_EEE10hipError_tPvRmT3_T4_T5_T6_T7_T9_mT8_P12ihipStream_tbDpT10_ENKUlT_T0_E_clISt17integral_constantIbLb1EES1B_IbLb0EEEEDaS17_S18_EUlS17_E_NS1_11comp_targetILNS1_3genE8ELNS1_11target_archE1030ELNS1_3gpuE2ELNS1_3repE0EEENS1_30default_config_static_selectorELNS0_4arch9wavefront6targetE0EEEvT1_, .Lfunc_end952-_ZN7rocprim17ROCPRIM_400000_NS6detail17trampoline_kernelINS0_14default_configENS1_25partition_config_selectorILNS1_17partition_subalgoE8ElNS0_10empty_typeEbEEZZNS1_14partition_implILS5_8ELb0ES3_jPlPS6_PKS6_NS0_5tupleIJS9_S6_EEENSD_IJSA_SA_EEENS0_18inequality_wrapperIZN2at6native12_GLOBAL__N_124unique_dim_cuda_templateIfEESt5tupleIJNSH_6TensorESM_SM_EERKSM_lbbbEUlllE0_EEPmJS6_EEE10hipError_tPvRmT3_T4_T5_T6_T7_T9_mT8_P12ihipStream_tbDpT10_ENKUlT_T0_E_clISt17integral_constantIbLb1EES1B_IbLb0EEEEDaS17_S18_EUlS17_E_NS1_11comp_targetILNS1_3genE8ELNS1_11target_archE1030ELNS1_3gpuE2ELNS1_3repE0EEENS1_30default_config_static_selectorELNS0_4arch9wavefront6targetE0EEEvT1_
                                        ; -- End function
	.set _ZN7rocprim17ROCPRIM_400000_NS6detail17trampoline_kernelINS0_14default_configENS1_25partition_config_selectorILNS1_17partition_subalgoE8ElNS0_10empty_typeEbEEZZNS1_14partition_implILS5_8ELb0ES3_jPlPS6_PKS6_NS0_5tupleIJS9_S6_EEENSD_IJSA_SA_EEENS0_18inequality_wrapperIZN2at6native12_GLOBAL__N_124unique_dim_cuda_templateIfEESt5tupleIJNSH_6TensorESM_SM_EERKSM_lbbbEUlllE0_EEPmJS6_EEE10hipError_tPvRmT3_T4_T5_T6_T7_T9_mT8_P12ihipStream_tbDpT10_ENKUlT_T0_E_clISt17integral_constantIbLb1EES1B_IbLb0EEEEDaS17_S18_EUlS17_E_NS1_11comp_targetILNS1_3genE8ELNS1_11target_archE1030ELNS1_3gpuE2ELNS1_3repE0EEENS1_30default_config_static_selectorELNS0_4arch9wavefront6targetE0EEEvT1_.num_vgpr, 0
	.set _ZN7rocprim17ROCPRIM_400000_NS6detail17trampoline_kernelINS0_14default_configENS1_25partition_config_selectorILNS1_17partition_subalgoE8ElNS0_10empty_typeEbEEZZNS1_14partition_implILS5_8ELb0ES3_jPlPS6_PKS6_NS0_5tupleIJS9_S6_EEENSD_IJSA_SA_EEENS0_18inequality_wrapperIZN2at6native12_GLOBAL__N_124unique_dim_cuda_templateIfEESt5tupleIJNSH_6TensorESM_SM_EERKSM_lbbbEUlllE0_EEPmJS6_EEE10hipError_tPvRmT3_T4_T5_T6_T7_T9_mT8_P12ihipStream_tbDpT10_ENKUlT_T0_E_clISt17integral_constantIbLb1EES1B_IbLb0EEEEDaS17_S18_EUlS17_E_NS1_11comp_targetILNS1_3genE8ELNS1_11target_archE1030ELNS1_3gpuE2ELNS1_3repE0EEENS1_30default_config_static_selectorELNS0_4arch9wavefront6targetE0EEEvT1_.num_agpr, 0
	.set _ZN7rocprim17ROCPRIM_400000_NS6detail17trampoline_kernelINS0_14default_configENS1_25partition_config_selectorILNS1_17partition_subalgoE8ElNS0_10empty_typeEbEEZZNS1_14partition_implILS5_8ELb0ES3_jPlPS6_PKS6_NS0_5tupleIJS9_S6_EEENSD_IJSA_SA_EEENS0_18inequality_wrapperIZN2at6native12_GLOBAL__N_124unique_dim_cuda_templateIfEESt5tupleIJNSH_6TensorESM_SM_EERKSM_lbbbEUlllE0_EEPmJS6_EEE10hipError_tPvRmT3_T4_T5_T6_T7_T9_mT8_P12ihipStream_tbDpT10_ENKUlT_T0_E_clISt17integral_constantIbLb1EES1B_IbLb0EEEEDaS17_S18_EUlS17_E_NS1_11comp_targetILNS1_3genE8ELNS1_11target_archE1030ELNS1_3gpuE2ELNS1_3repE0EEENS1_30default_config_static_selectorELNS0_4arch9wavefront6targetE0EEEvT1_.numbered_sgpr, 0
	.set _ZN7rocprim17ROCPRIM_400000_NS6detail17trampoline_kernelINS0_14default_configENS1_25partition_config_selectorILNS1_17partition_subalgoE8ElNS0_10empty_typeEbEEZZNS1_14partition_implILS5_8ELb0ES3_jPlPS6_PKS6_NS0_5tupleIJS9_S6_EEENSD_IJSA_SA_EEENS0_18inequality_wrapperIZN2at6native12_GLOBAL__N_124unique_dim_cuda_templateIfEESt5tupleIJNSH_6TensorESM_SM_EERKSM_lbbbEUlllE0_EEPmJS6_EEE10hipError_tPvRmT3_T4_T5_T6_T7_T9_mT8_P12ihipStream_tbDpT10_ENKUlT_T0_E_clISt17integral_constantIbLb1EES1B_IbLb0EEEEDaS17_S18_EUlS17_E_NS1_11comp_targetILNS1_3genE8ELNS1_11target_archE1030ELNS1_3gpuE2ELNS1_3repE0EEENS1_30default_config_static_selectorELNS0_4arch9wavefront6targetE0EEEvT1_.num_named_barrier, 0
	.set _ZN7rocprim17ROCPRIM_400000_NS6detail17trampoline_kernelINS0_14default_configENS1_25partition_config_selectorILNS1_17partition_subalgoE8ElNS0_10empty_typeEbEEZZNS1_14partition_implILS5_8ELb0ES3_jPlPS6_PKS6_NS0_5tupleIJS9_S6_EEENSD_IJSA_SA_EEENS0_18inequality_wrapperIZN2at6native12_GLOBAL__N_124unique_dim_cuda_templateIfEESt5tupleIJNSH_6TensorESM_SM_EERKSM_lbbbEUlllE0_EEPmJS6_EEE10hipError_tPvRmT3_T4_T5_T6_T7_T9_mT8_P12ihipStream_tbDpT10_ENKUlT_T0_E_clISt17integral_constantIbLb1EES1B_IbLb0EEEEDaS17_S18_EUlS17_E_NS1_11comp_targetILNS1_3genE8ELNS1_11target_archE1030ELNS1_3gpuE2ELNS1_3repE0EEENS1_30default_config_static_selectorELNS0_4arch9wavefront6targetE0EEEvT1_.private_seg_size, 0
	.set _ZN7rocprim17ROCPRIM_400000_NS6detail17trampoline_kernelINS0_14default_configENS1_25partition_config_selectorILNS1_17partition_subalgoE8ElNS0_10empty_typeEbEEZZNS1_14partition_implILS5_8ELb0ES3_jPlPS6_PKS6_NS0_5tupleIJS9_S6_EEENSD_IJSA_SA_EEENS0_18inequality_wrapperIZN2at6native12_GLOBAL__N_124unique_dim_cuda_templateIfEESt5tupleIJNSH_6TensorESM_SM_EERKSM_lbbbEUlllE0_EEPmJS6_EEE10hipError_tPvRmT3_T4_T5_T6_T7_T9_mT8_P12ihipStream_tbDpT10_ENKUlT_T0_E_clISt17integral_constantIbLb1EES1B_IbLb0EEEEDaS17_S18_EUlS17_E_NS1_11comp_targetILNS1_3genE8ELNS1_11target_archE1030ELNS1_3gpuE2ELNS1_3repE0EEENS1_30default_config_static_selectorELNS0_4arch9wavefront6targetE0EEEvT1_.uses_vcc, 0
	.set _ZN7rocprim17ROCPRIM_400000_NS6detail17trampoline_kernelINS0_14default_configENS1_25partition_config_selectorILNS1_17partition_subalgoE8ElNS0_10empty_typeEbEEZZNS1_14partition_implILS5_8ELb0ES3_jPlPS6_PKS6_NS0_5tupleIJS9_S6_EEENSD_IJSA_SA_EEENS0_18inequality_wrapperIZN2at6native12_GLOBAL__N_124unique_dim_cuda_templateIfEESt5tupleIJNSH_6TensorESM_SM_EERKSM_lbbbEUlllE0_EEPmJS6_EEE10hipError_tPvRmT3_T4_T5_T6_T7_T9_mT8_P12ihipStream_tbDpT10_ENKUlT_T0_E_clISt17integral_constantIbLb1EES1B_IbLb0EEEEDaS17_S18_EUlS17_E_NS1_11comp_targetILNS1_3genE8ELNS1_11target_archE1030ELNS1_3gpuE2ELNS1_3repE0EEENS1_30default_config_static_selectorELNS0_4arch9wavefront6targetE0EEEvT1_.uses_flat_scratch, 0
	.set _ZN7rocprim17ROCPRIM_400000_NS6detail17trampoline_kernelINS0_14default_configENS1_25partition_config_selectorILNS1_17partition_subalgoE8ElNS0_10empty_typeEbEEZZNS1_14partition_implILS5_8ELb0ES3_jPlPS6_PKS6_NS0_5tupleIJS9_S6_EEENSD_IJSA_SA_EEENS0_18inequality_wrapperIZN2at6native12_GLOBAL__N_124unique_dim_cuda_templateIfEESt5tupleIJNSH_6TensorESM_SM_EERKSM_lbbbEUlllE0_EEPmJS6_EEE10hipError_tPvRmT3_T4_T5_T6_T7_T9_mT8_P12ihipStream_tbDpT10_ENKUlT_T0_E_clISt17integral_constantIbLb1EES1B_IbLb0EEEEDaS17_S18_EUlS17_E_NS1_11comp_targetILNS1_3genE8ELNS1_11target_archE1030ELNS1_3gpuE2ELNS1_3repE0EEENS1_30default_config_static_selectorELNS0_4arch9wavefront6targetE0EEEvT1_.has_dyn_sized_stack, 0
	.set _ZN7rocprim17ROCPRIM_400000_NS6detail17trampoline_kernelINS0_14default_configENS1_25partition_config_selectorILNS1_17partition_subalgoE8ElNS0_10empty_typeEbEEZZNS1_14partition_implILS5_8ELb0ES3_jPlPS6_PKS6_NS0_5tupleIJS9_S6_EEENSD_IJSA_SA_EEENS0_18inequality_wrapperIZN2at6native12_GLOBAL__N_124unique_dim_cuda_templateIfEESt5tupleIJNSH_6TensorESM_SM_EERKSM_lbbbEUlllE0_EEPmJS6_EEE10hipError_tPvRmT3_T4_T5_T6_T7_T9_mT8_P12ihipStream_tbDpT10_ENKUlT_T0_E_clISt17integral_constantIbLb1EES1B_IbLb0EEEEDaS17_S18_EUlS17_E_NS1_11comp_targetILNS1_3genE8ELNS1_11target_archE1030ELNS1_3gpuE2ELNS1_3repE0EEENS1_30default_config_static_selectorELNS0_4arch9wavefront6targetE0EEEvT1_.has_recursion, 0
	.set _ZN7rocprim17ROCPRIM_400000_NS6detail17trampoline_kernelINS0_14default_configENS1_25partition_config_selectorILNS1_17partition_subalgoE8ElNS0_10empty_typeEbEEZZNS1_14partition_implILS5_8ELb0ES3_jPlPS6_PKS6_NS0_5tupleIJS9_S6_EEENSD_IJSA_SA_EEENS0_18inequality_wrapperIZN2at6native12_GLOBAL__N_124unique_dim_cuda_templateIfEESt5tupleIJNSH_6TensorESM_SM_EERKSM_lbbbEUlllE0_EEPmJS6_EEE10hipError_tPvRmT3_T4_T5_T6_T7_T9_mT8_P12ihipStream_tbDpT10_ENKUlT_T0_E_clISt17integral_constantIbLb1EES1B_IbLb0EEEEDaS17_S18_EUlS17_E_NS1_11comp_targetILNS1_3genE8ELNS1_11target_archE1030ELNS1_3gpuE2ELNS1_3repE0EEENS1_30default_config_static_selectorELNS0_4arch9wavefront6targetE0EEEvT1_.has_indirect_call, 0
	.section	.AMDGPU.csdata,"",@progbits
; Kernel info:
; codeLenInByte = 0
; TotalNumSgprs: 0
; NumVgprs: 0
; ScratchSize: 0
; MemoryBound: 0
; FloatMode: 240
; IeeeMode: 1
; LDSByteSize: 0 bytes/workgroup (compile time only)
; SGPRBlocks: 0
; VGPRBlocks: 0
; NumSGPRsForWavesPerEU: 1
; NumVGPRsForWavesPerEU: 1
; NamedBarCnt: 0
; Occupancy: 16
; WaveLimiterHint : 0
; COMPUTE_PGM_RSRC2:SCRATCH_EN: 0
; COMPUTE_PGM_RSRC2:USER_SGPR: 2
; COMPUTE_PGM_RSRC2:TRAP_HANDLER: 0
; COMPUTE_PGM_RSRC2:TGID_X_EN: 1
; COMPUTE_PGM_RSRC2:TGID_Y_EN: 0
; COMPUTE_PGM_RSRC2:TGID_Z_EN: 0
; COMPUTE_PGM_RSRC2:TIDIG_COMP_CNT: 0
	.section	.text._ZN7rocprim17ROCPRIM_400000_NS6detail17trampoline_kernelINS0_14default_configENS1_25partition_config_selectorILNS1_17partition_subalgoE8ElNS0_10empty_typeEbEEZZNS1_14partition_implILS5_8ELb0ES3_jPlPS6_PKS6_NS0_5tupleIJS9_S6_EEENSD_IJSA_SA_EEENS0_18inequality_wrapperIZN2at6native12_GLOBAL__N_124unique_dim_cuda_templateIfEESt5tupleIJNSH_6TensorESM_SM_EERKSM_lbbbEUlllE0_EEPmJS6_EEE10hipError_tPvRmT3_T4_T5_T6_T7_T9_mT8_P12ihipStream_tbDpT10_ENKUlT_T0_E_clISt17integral_constantIbLb0EES1B_IbLb1EEEEDaS17_S18_EUlS17_E_NS1_11comp_targetILNS1_3genE0ELNS1_11target_archE4294967295ELNS1_3gpuE0ELNS1_3repE0EEENS1_30default_config_static_selectorELNS0_4arch9wavefront6targetE0EEEvT1_,"axG",@progbits,_ZN7rocprim17ROCPRIM_400000_NS6detail17trampoline_kernelINS0_14default_configENS1_25partition_config_selectorILNS1_17partition_subalgoE8ElNS0_10empty_typeEbEEZZNS1_14partition_implILS5_8ELb0ES3_jPlPS6_PKS6_NS0_5tupleIJS9_S6_EEENSD_IJSA_SA_EEENS0_18inequality_wrapperIZN2at6native12_GLOBAL__N_124unique_dim_cuda_templateIfEESt5tupleIJNSH_6TensorESM_SM_EERKSM_lbbbEUlllE0_EEPmJS6_EEE10hipError_tPvRmT3_T4_T5_T6_T7_T9_mT8_P12ihipStream_tbDpT10_ENKUlT_T0_E_clISt17integral_constantIbLb0EES1B_IbLb1EEEEDaS17_S18_EUlS17_E_NS1_11comp_targetILNS1_3genE0ELNS1_11target_archE4294967295ELNS1_3gpuE0ELNS1_3repE0EEENS1_30default_config_static_selectorELNS0_4arch9wavefront6targetE0EEEvT1_,comdat
	.globl	_ZN7rocprim17ROCPRIM_400000_NS6detail17trampoline_kernelINS0_14default_configENS1_25partition_config_selectorILNS1_17partition_subalgoE8ElNS0_10empty_typeEbEEZZNS1_14partition_implILS5_8ELb0ES3_jPlPS6_PKS6_NS0_5tupleIJS9_S6_EEENSD_IJSA_SA_EEENS0_18inequality_wrapperIZN2at6native12_GLOBAL__N_124unique_dim_cuda_templateIfEESt5tupleIJNSH_6TensorESM_SM_EERKSM_lbbbEUlllE0_EEPmJS6_EEE10hipError_tPvRmT3_T4_T5_T6_T7_T9_mT8_P12ihipStream_tbDpT10_ENKUlT_T0_E_clISt17integral_constantIbLb0EES1B_IbLb1EEEEDaS17_S18_EUlS17_E_NS1_11comp_targetILNS1_3genE0ELNS1_11target_archE4294967295ELNS1_3gpuE0ELNS1_3repE0EEENS1_30default_config_static_selectorELNS0_4arch9wavefront6targetE0EEEvT1_ ; -- Begin function _ZN7rocprim17ROCPRIM_400000_NS6detail17trampoline_kernelINS0_14default_configENS1_25partition_config_selectorILNS1_17partition_subalgoE8ElNS0_10empty_typeEbEEZZNS1_14partition_implILS5_8ELb0ES3_jPlPS6_PKS6_NS0_5tupleIJS9_S6_EEENSD_IJSA_SA_EEENS0_18inequality_wrapperIZN2at6native12_GLOBAL__N_124unique_dim_cuda_templateIfEESt5tupleIJNSH_6TensorESM_SM_EERKSM_lbbbEUlllE0_EEPmJS6_EEE10hipError_tPvRmT3_T4_T5_T6_T7_T9_mT8_P12ihipStream_tbDpT10_ENKUlT_T0_E_clISt17integral_constantIbLb0EES1B_IbLb1EEEEDaS17_S18_EUlS17_E_NS1_11comp_targetILNS1_3genE0ELNS1_11target_archE4294967295ELNS1_3gpuE0ELNS1_3repE0EEENS1_30default_config_static_selectorELNS0_4arch9wavefront6targetE0EEEvT1_
	.p2align	8
	.type	_ZN7rocprim17ROCPRIM_400000_NS6detail17trampoline_kernelINS0_14default_configENS1_25partition_config_selectorILNS1_17partition_subalgoE8ElNS0_10empty_typeEbEEZZNS1_14partition_implILS5_8ELb0ES3_jPlPS6_PKS6_NS0_5tupleIJS9_S6_EEENSD_IJSA_SA_EEENS0_18inequality_wrapperIZN2at6native12_GLOBAL__N_124unique_dim_cuda_templateIfEESt5tupleIJNSH_6TensorESM_SM_EERKSM_lbbbEUlllE0_EEPmJS6_EEE10hipError_tPvRmT3_T4_T5_T6_T7_T9_mT8_P12ihipStream_tbDpT10_ENKUlT_T0_E_clISt17integral_constantIbLb0EES1B_IbLb1EEEEDaS17_S18_EUlS17_E_NS1_11comp_targetILNS1_3genE0ELNS1_11target_archE4294967295ELNS1_3gpuE0ELNS1_3repE0EEENS1_30default_config_static_selectorELNS0_4arch9wavefront6targetE0EEEvT1_,@function
_ZN7rocprim17ROCPRIM_400000_NS6detail17trampoline_kernelINS0_14default_configENS1_25partition_config_selectorILNS1_17partition_subalgoE8ElNS0_10empty_typeEbEEZZNS1_14partition_implILS5_8ELb0ES3_jPlPS6_PKS6_NS0_5tupleIJS9_S6_EEENSD_IJSA_SA_EEENS0_18inequality_wrapperIZN2at6native12_GLOBAL__N_124unique_dim_cuda_templateIfEESt5tupleIJNSH_6TensorESM_SM_EERKSM_lbbbEUlllE0_EEPmJS6_EEE10hipError_tPvRmT3_T4_T5_T6_T7_T9_mT8_P12ihipStream_tbDpT10_ENKUlT_T0_E_clISt17integral_constantIbLb0EES1B_IbLb1EEEEDaS17_S18_EUlS17_E_NS1_11comp_targetILNS1_3genE0ELNS1_11target_archE4294967295ELNS1_3gpuE0ELNS1_3repE0EEENS1_30default_config_static_selectorELNS0_4arch9wavefront6targetE0EEEvT1_: ; @_ZN7rocprim17ROCPRIM_400000_NS6detail17trampoline_kernelINS0_14default_configENS1_25partition_config_selectorILNS1_17partition_subalgoE8ElNS0_10empty_typeEbEEZZNS1_14partition_implILS5_8ELb0ES3_jPlPS6_PKS6_NS0_5tupleIJS9_S6_EEENSD_IJSA_SA_EEENS0_18inequality_wrapperIZN2at6native12_GLOBAL__N_124unique_dim_cuda_templateIfEESt5tupleIJNSH_6TensorESM_SM_EERKSM_lbbbEUlllE0_EEPmJS6_EEE10hipError_tPvRmT3_T4_T5_T6_T7_T9_mT8_P12ihipStream_tbDpT10_ENKUlT_T0_E_clISt17integral_constantIbLb0EES1B_IbLb1EEEEDaS17_S18_EUlS17_E_NS1_11comp_targetILNS1_3genE0ELNS1_11target_archE4294967295ELNS1_3gpuE0ELNS1_3repE0EEENS1_30default_config_static_selectorELNS0_4arch9wavefront6targetE0EEEvT1_
; %bb.0:
	s_clause 0x1
	s_load_b256 s[12:19], s[0:1], 0x40
	s_load_b128 s[8:11], s[0:1], 0x60
	v_cmp_ne_u32_e64 s3, 0, v0
	v_cmp_eq_u32_e64 s2, 0, v0
	s_and_saveexec_b32 s4, s2
	s_cbranch_execz .LBB953_4
; %bb.1:
	s_mov_b32 s6, exec_lo
	s_mov_b32 s5, exec_lo
	v_mbcnt_lo_u32_b32 v1, s6, 0
                                        ; implicit-def: $vgpr2
	s_delay_alu instid0(VALU_DEP_1)
	v_cmpx_eq_u32_e32 0, v1
	s_cbranch_execz .LBB953_3
; %bb.2:
	s_load_b64 s[20:21], s[0:1], 0x78
	s_bcnt1_i32_b32 s6, s6
	s_delay_alu instid0(SALU_CYCLE_1)
	v_dual_mov_b32 v2, 0 :: v_dual_mov_b32 v3, s6
	s_wait_xcnt 0x0
	s_wait_kmcnt 0x0
	global_atomic_add_u32 v2, v2, v3, s[20:21] th:TH_ATOMIC_RETURN scope:SCOPE_DEV
.LBB953_3:
	s_wait_xcnt 0x0
	s_or_b32 exec_lo, exec_lo, s5
	s_wait_loadcnt 0x0
	v_readfirstlane_b32 s5, v2
	s_delay_alu instid0(VALU_DEP_1)
	v_dual_mov_b32 v2, 0 :: v_dual_add_nc_u32 v1, s5, v1
	ds_store_b32 v2, v1
.LBB953_4:
	s_or_b32 exec_lo, exec_lo, s4
	v_dual_mov_b32 v3, 0 :: v_dual_lshlrev_b32 v18, 3, v0
	s_clause 0x2
	s_load_b128 s[4:7], s[0:1], 0x8
	s_load_b64 s[20:21], s[0:1], 0x28
	s_load_b32 s22, s[0:1], 0x70
	s_wait_dscnt 0x0
	s_barrier_signal -1
	s_barrier_wait -1
	ds_load_b32 v1, v3
	s_wait_dscnt 0x0
	s_barrier_signal -1
	s_barrier_wait -1
	s_wait_kmcnt 0x0
	global_load_b64 v[4:5], v3, s[14:15]
	s_wait_xcnt 0x0
	s_mov_b32 s15, 0
	s_lshl_b64 s[0:1], s[6:7], 3
	s_mul_i32 s14, s22, 0xe00
	s_add_co_i32 s26, s22, -1
	s_add_nc_u64 s[24:25], s[6:7], s[14:15]
	s_add_co_i32 s14, s14, s6
	v_cmp_le_u64_e64 s15, s[16:17], s[24:25]
	v_mul_lo_u32 v2, 0xe00, v1
	v_readfirstlane_b32 s22, v1
	s_sub_co_i32 s23, s16, s14
	s_add_nc_u64 s[0:1], s[4:5], s[0:1]
	s_cmp_eq_u32 s22, s26
	s_cselect_b32 s16, -1, 0
	s_delay_alu instid0(SALU_CYCLE_1) | instskip(SKIP_2) | instid1(SALU_CYCLE_1)
	s_and_b32 s24, s15, s16
	v_lshlrev_b64_e32 v[2:3], 3, v[2:3]
	s_xor_b32 s17, s24, -1
	s_and_b32 vcc_lo, exec_lo, s17
	s_delay_alu instid0(VALU_DEP_1)
	v_add_nc_u64_e32 v[20:21], s[0:1], v[2:3]
	s_mov_b32 s0, -1
	s_wait_loadcnt 0x0
	v_readfirstlane_b32 s14, v4
	v_readfirstlane_b32 s15, v5
	s_cbranch_vccz .LBB953_6
; %bb.5:
	v_readfirstlane_b32 s0, v20
	v_readfirstlane_b32 s1, v21
	v_lshlrev_b32_e32 v1, 3, v0
	s_clause 0x6
	global_load_b64 v[2:3], v0, s[0:1] scale_offset
	global_load_b64 v[4:5], v0, s[0:1] offset:4096 scale_offset
	global_load_b64 v[6:7], v0, s[0:1] offset:8192 scale_offset
	;; [unrolled: 1-line block ×6, first 2 shown]
	s_wait_xcnt 0x0
	s_mov_b32 s0, 0
	s_wait_loadcnt 0x5
	ds_store_2addr_stride64_b64 v1, v[2:3], v[4:5] offset1:8
	s_wait_loadcnt 0x3
	ds_store_2addr_stride64_b64 v1, v[6:7], v[8:9] offset0:16 offset1:24
	s_wait_loadcnt 0x1
	ds_store_2addr_stride64_b64 v1, v[10:11], v[12:13] offset0:32 offset1:40
	s_wait_loadcnt 0x0
	ds_store_b64 v1, v[14:15] offset:24576
	s_wait_dscnt 0x0
	s_barrier_signal -1
	s_barrier_wait -1
.LBB953_6:
	s_and_not1_b32 vcc_lo, exec_lo, s0
	s_addk_co_i32 s23, 0xe00
	s_cbranch_vccnz .LBB953_22
; %bb.7:
	v_mov_b32_e32 v2, 0
	s_mov_b32 s0, exec_lo
	s_delay_alu instid0(VALU_DEP_1)
	v_dual_mov_b32 v3, v2 :: v_dual_mov_b32 v4, v2
	v_dual_mov_b32 v5, v2 :: v_dual_mov_b32 v6, v2
	;; [unrolled: 1-line block ×6, first 2 shown]
	v_mov_b32_e32 v15, v2
	v_cmpx_gt_u32_e64 s23, v0
	s_cbranch_execz .LBB953_9
; %bb.8:
	v_readfirstlane_b32 s4, v20
	v_readfirstlane_b32 s5, v21
	v_dual_mov_b32 v6, v2 :: v_dual_mov_b32 v7, v2
	v_dual_mov_b32 v8, v2 :: v_dual_mov_b32 v9, v2
	global_load_b64 v[4:5], v0, s[4:5] scale_offset
	v_dual_mov_b32 v10, v2 :: v_dual_mov_b32 v11, v2
	v_dual_mov_b32 v12, v2 :: v_dual_mov_b32 v13, v2
	;; [unrolled: 1-line block ×4, first 2 shown]
	s_wait_loadcnt 0x0
	v_mov_b64_e32 v[2:3], v[4:5]
	v_mov_b64_e32 v[4:5], v[6:7]
	;; [unrolled: 1-line block ×8, first 2 shown]
.LBB953_9:
	s_or_b32 exec_lo, exec_lo, s0
	v_or_b32_e32 v1, 0x200, v0
	s_mov_b32 s0, exec_lo
	s_delay_alu instid0(VALU_DEP_1)
	v_cmpx_gt_u32_e64 s23, v1
	s_cbranch_execz .LBB953_11
; %bb.10:
	v_readfirstlane_b32 s4, v20
	v_readfirstlane_b32 s5, v21
	global_load_b64 v[4:5], v0, s[4:5] offset:4096 scale_offset
.LBB953_11:
	s_wait_xcnt 0x0
	s_or_b32 exec_lo, exec_lo, s0
	v_or_b32_e32 v1, 0x400, v0
	s_mov_b32 s0, exec_lo
	s_delay_alu instid0(VALU_DEP_1)
	v_cmpx_gt_u32_e64 s23, v1
	s_cbranch_execz .LBB953_13
; %bb.12:
	v_readfirstlane_b32 s4, v20
	v_readfirstlane_b32 s5, v21
	global_load_b64 v[6:7], v0, s[4:5] offset:8192 scale_offset
.LBB953_13:
	s_wait_xcnt 0x0
	;; [unrolled: 12-line block ×6, first 2 shown]
	s_or_b32 exec_lo, exec_lo, s0
	v_lshlrev_b32_e32 v1, 3, v0
	s_wait_loadcnt 0x0
	ds_store_2addr_stride64_b64 v1, v[2:3], v[4:5] offset1:8
	ds_store_2addr_stride64_b64 v1, v[6:7], v[8:9] offset0:16 offset1:24
	ds_store_2addr_stride64_b64 v1, v[10:11], v[12:13] offset0:32 offset1:40
	ds_store_b64 v1, v[14:15] offset:24576
	s_wait_dscnt 0x0
	s_barrier_signal -1
	s_barrier_wait -1
.LBB953_22:
	v_mul_u32_u24_e32 v1, 7, v0
	s_cmp_lg_u32 s22, 0
	s_cselect_b32 s25, -1, 0
	s_delay_alu instid0(VALU_DEP_1)
	v_lshlrev_b32_e32 v26, 3, v1
	s_cmp_lg_u64 s[6:7], 0
	v_cmp_gt_i64_e64 s7, s[18:19], 0
	s_cselect_b32 s0, -1, 0
	s_mov_b32 s6, 0
	ds_load_2addr_b64 v[10:13], v26 offset1:1
	ds_load_2addr_b64 v[6:9], v26 offset0:2 offset1:3
	ds_load_2addr_b64 v[2:5], v26 offset0:4 offset1:5
	ds_load_b64 v[14:15], v26 offset:48
	s_or_b32 s0, s0, s25
	s_wait_dscnt 0x0
	s_and_b32 vcc_lo, exec_lo, s0
	s_barrier_signal -1
	s_barrier_wait -1
	s_cbranch_vccz .LBB953_38
; %bb.23:
	global_load_b64 v[20:21], v[20:21], off offset:-8
	v_cndmask_b32_e64 v27, 0, 1, s7
	v_lshlrev_b32_e32 v28, 3, v0
	s_and_b32 vcc_lo, exec_lo, s17
	s_delay_alu instid0(VALU_DEP_2)
	v_cmp_ne_u32_e64 s0, 1, v27
	ds_store_b64 v28, v[14:15]
	s_cbranch_vccz .LBB953_40
; %bb.24:
	s_and_b32 vcc_lo, exec_lo, s0
	s_cbranch_vccnz .LBB953_41
; %bb.25:
	v_mul_u64_e32 v[16:17], s[18:19], v[4:5]
	v_mul_u64_e32 v[22:23], s[18:19], v[14:15]
	s_add_nc_u64 s[4:5], s[18:19], -1
	s_mov_b32 s26, 0
	s_mov_b64 s[0:1], s[4:5]
                                        ; implicit-def: $sgpr6
	s_delay_alu instid0(VALU_DEP_2) | instskip(NEXT) | instid1(VALU_DEP_2)
	v_lshl_add_u64 v[16:17], v[16:17], 2, s[8:9]
	v_lshl_add_u64 v[22:23], v[22:23], 2, s[8:9]
	s_delay_alu instid0(VALU_DEP_2)
	v_mov_b64_e32 v[24:25], v[16:17]
.LBB953_26:                             ; =>This Inner Loop Header: Depth=1
	global_load_b32 v19, v[24:25], off
	global_load_b32 v29, v[22:23], off
	s_cmp_eq_u64 s[0:1], 0
	s_add_nc_u64 s[28:29], s[0:1], -1
	s_cselect_b32 s1, -1, 0
	s_wait_xcnt 0x1
	v_add_nc_u64_e32 v[24:25], 4, v[24:25]
	s_wait_xcnt 0x0
	v_add_nc_u64_e32 v[22:23], 4, v[22:23]
	s_wait_loadcnt 0x0
	v_cmp_neq_f32_e32 vcc_lo, v19, v29
	v_cmp_eq_f32_e64 s0, v19, v29
	s_or_b32 s1, vcc_lo, s1
	s_delay_alu instid0(SALU_CYCLE_1) | instskip(NEXT) | instid1(SALU_CYCLE_1)
	s_and_b32 s1, exec_lo, s1
	s_or_b32 s26, s1, s26
	s_and_not1_b32 s6, s6, exec_lo
	s_and_b32 s27, s0, exec_lo
	s_mov_b64 s[0:1], s[28:29]
	s_or_b32 s6, s6, s27
	s_and_not1_b32 exec_lo, exec_lo, s26
	s_cbranch_execnz .LBB953_26
; %bb.27:
	s_or_b32 exec_lo, exec_lo, s26
	v_mul_u64_e32 v[22:23], s[18:19], v[2:3]
	s_mov_b32 s27, 0
	s_mov_b64 s[0:1], s[4:5]
                                        ; implicit-def: $sgpr26
	s_delay_alu instid0(VALU_DEP_1) | instskip(NEXT) | instid1(VALU_DEP_1)
	v_lshl_add_u64 v[22:23], v[22:23], 2, s[8:9]
	v_mov_b64_e32 v[24:25], v[22:23]
.LBB953_28:                             ; =>This Inner Loop Header: Depth=1
	global_load_b32 v19, v[24:25], off
	global_load_b32 v29, v[16:17], off
	s_cmp_eq_u64 s[0:1], 0
	s_add_nc_u64 s[28:29], s[0:1], -1
	s_cselect_b32 s1, -1, 0
	s_wait_xcnt 0x1
	v_add_nc_u64_e32 v[24:25], 4, v[24:25]
	s_wait_xcnt 0x0
	v_add_nc_u64_e32 v[16:17], 4, v[16:17]
	s_wait_loadcnt 0x0
	v_cmp_neq_f32_e32 vcc_lo, v19, v29
	v_cmp_eq_f32_e64 s0, v19, v29
	s_or_b32 s1, vcc_lo, s1
	s_delay_alu instid0(SALU_CYCLE_1) | instskip(NEXT) | instid1(SALU_CYCLE_1)
	s_and_b32 s1, exec_lo, s1
	s_or_b32 s27, s1, s27
	s_and_not1_b32 s26, s26, exec_lo
	s_and_b32 s30, s0, exec_lo
	s_mov_b64 s[0:1], s[28:29]
	s_or_b32 s26, s26, s30
	s_and_not1_b32 exec_lo, exec_lo, s27
	s_cbranch_execnz .LBB953_28
; %bb.29:
	s_or_b32 exec_lo, exec_lo, s27
	v_mul_u64_e32 v[16:17], s[18:19], v[8:9]
	s_mov_b32 s28, 0
	s_mov_b64 s[0:1], s[4:5]
                                        ; implicit-def: $sgpr27
	s_delay_alu instid0(VALU_DEP_1) | instskip(NEXT) | instid1(VALU_DEP_1)
	v_lshl_add_u64 v[16:17], v[16:17], 2, s[8:9]
	v_mov_b64_e32 v[24:25], v[16:17]
.LBB953_30:                             ; =>This Inner Loop Header: Depth=1
	global_load_b32 v19, v[24:25], off
	global_load_b32 v29, v[22:23], off
	s_cmp_eq_u64 s[0:1], 0
	s_add_nc_u64 s[30:31], s[0:1], -1
	s_cselect_b32 s1, -1, 0
	s_wait_xcnt 0x1
	v_add_nc_u64_e32 v[24:25], 4, v[24:25]
	s_wait_xcnt 0x0
	v_add_nc_u64_e32 v[22:23], 4, v[22:23]
	s_wait_loadcnt 0x0
	v_cmp_neq_f32_e32 vcc_lo, v19, v29
	v_cmp_eq_f32_e64 s0, v19, v29
	s_or_b32 s1, vcc_lo, s1
	s_delay_alu instid0(SALU_CYCLE_1) | instskip(NEXT) | instid1(SALU_CYCLE_1)
	s_and_b32 s1, exec_lo, s1
	s_or_b32 s28, s1, s28
	s_and_not1_b32 s27, s27, exec_lo
	s_and_b32 s29, s0, exec_lo
	s_mov_b64 s[0:1], s[30:31]
	s_or_b32 s27, s27, s29
	s_and_not1_b32 exec_lo, exec_lo, s28
	s_cbranch_execnz .LBB953_30
; %bb.31:
	s_or_b32 exec_lo, exec_lo, s28
	v_mul_u64_e32 v[22:23], s[18:19], v[6:7]
	s_mov_b32 s29, 0
	s_mov_b64 s[0:1], s[4:5]
                                        ; implicit-def: $sgpr28
	s_delay_alu instid0(VALU_DEP_1) | instskip(NEXT) | instid1(VALU_DEP_1)
	v_lshl_add_u64 v[22:23], v[22:23], 2, s[8:9]
	v_mov_b64_e32 v[24:25], v[22:23]
.LBB953_32:                             ; =>This Inner Loop Header: Depth=1
	global_load_b32 v19, v[24:25], off
	global_load_b32 v29, v[16:17], off
	s_cmp_eq_u64 s[0:1], 0
	s_add_nc_u64 s[30:31], s[0:1], -1
	s_cselect_b32 s1, -1, 0
	s_wait_xcnt 0x1
	v_add_nc_u64_e32 v[24:25], 4, v[24:25]
	s_wait_xcnt 0x0
	v_add_nc_u64_e32 v[16:17], 4, v[16:17]
	s_wait_loadcnt 0x0
	v_cmp_neq_f32_e32 vcc_lo, v19, v29
	v_cmp_eq_f32_e64 s0, v19, v29
	s_or_b32 s1, vcc_lo, s1
	s_delay_alu instid0(SALU_CYCLE_1) | instskip(NEXT) | instid1(SALU_CYCLE_1)
	s_and_b32 s1, exec_lo, s1
	s_or_b32 s29, s1, s29
	s_and_not1_b32 s28, s28, exec_lo
	s_and_b32 s33, s0, exec_lo
	s_mov_b64 s[0:1], s[30:31]
	s_or_b32 s28, s28, s33
	s_and_not1_b32 exec_lo, exec_lo, s29
	s_cbranch_execnz .LBB953_32
; %bb.33:
	s_or_b32 exec_lo, exec_lo, s29
	v_mul_u64_e32 v[16:17], s[18:19], v[12:13]
	s_mov_b32 s30, 0
	s_mov_b64 s[0:1], s[4:5]
                                        ; implicit-def: $sgpr29
	s_delay_alu instid0(VALU_DEP_1) | instskip(NEXT) | instid1(VALU_DEP_1)
	v_lshl_add_u64 v[16:17], v[16:17], 2, s[8:9]
	v_mov_b64_e32 v[24:25], v[16:17]
.LBB953_34:                             ; =>This Inner Loop Header: Depth=1
	global_load_b32 v19, v[24:25], off
	global_load_b32 v29, v[22:23], off
	s_cmp_eq_u64 s[0:1], 0
	s_add_nc_u64 s[34:35], s[0:1], -1
	s_cselect_b32 s1, -1, 0
	s_wait_xcnt 0x1
	v_add_nc_u64_e32 v[24:25], 4, v[24:25]
	s_wait_xcnt 0x0
	v_add_nc_u64_e32 v[22:23], 4, v[22:23]
	s_wait_loadcnt 0x0
	v_cmp_neq_f32_e32 vcc_lo, v19, v29
	v_cmp_eq_f32_e64 s0, v19, v29
	s_or_b32 s1, vcc_lo, s1
	s_delay_alu instid0(SALU_CYCLE_1) | instskip(NEXT) | instid1(SALU_CYCLE_1)
	s_and_b32 s1, exec_lo, s1
	s_or_b32 s30, s1, s30
	s_and_not1_b32 s29, s29, exec_lo
	s_and_b32 s31, s0, exec_lo
	s_mov_b64 s[0:1], s[34:35]
	s_or_b32 s29, s29, s31
	s_and_not1_b32 exec_lo, exec_lo, s30
	s_cbranch_execnz .LBB953_34
; %bb.35:
	s_or_b32 exec_lo, exec_lo, s30
	v_mul_u64_e32 v[22:23], s[18:19], v[10:11]
	s_mov_b32 s30, 0
                                        ; implicit-def: $sgpr1
	s_delay_alu instid0(VALU_DEP_1)
	v_lshl_add_u64 v[22:23], v[22:23], 2, s[8:9]
.LBB953_36:                             ; =>This Inner Loop Header: Depth=1
	global_load_b32 v19, v[22:23], off
	global_load_b32 v24, v[16:17], off
	s_cmp_eq_u64 s[4:5], 0
	s_add_nc_u64 s[34:35], s[4:5], -1
	s_cselect_b32 s4, -1, 0
	s_wait_xcnt 0x1
	v_add_nc_u64_e32 v[22:23], 4, v[22:23]
	s_wait_xcnt 0x0
	v_add_nc_u64_e32 v[16:17], 4, v[16:17]
	s_wait_loadcnt 0x0
	v_cmp_neq_f32_e32 vcc_lo, v19, v24
	v_cmp_eq_f32_e64 s0, v19, v24
	s_or_b32 s4, vcc_lo, s4
	s_delay_alu instid0(SALU_CYCLE_1) | instskip(NEXT) | instid1(SALU_CYCLE_1)
	s_and_b32 s4, exec_lo, s4
	s_or_b32 s30, s4, s30
	s_and_not1_b32 s1, s1, exec_lo
	s_and_b32 s0, s0, exec_lo
	s_mov_b64 s[4:5], s[34:35]
	s_or_b32 s1, s1, s0
	s_and_not1_b32 exec_lo, exec_lo, s30
	s_cbranch_execnz .LBB953_36
; %bb.37:
	s_or_b32 exec_lo, exec_lo, s30
	s_xor_b32 s0, s28, -1
	s_delay_alu instid0(SALU_CYCLE_1) | instskip(SKIP_1) | instid1(SALU_CYCLE_1)
	v_cndmask_b32_e64 v16, 0, 1, s0
	s_xor_b32 s0, s29, -1
	v_cndmask_b32_e64 v17, 0, 1, s0
	s_xor_b32 s0, s26, -1
	s_delay_alu instid0(VALU_DEP_2) | instskip(SKIP_2) | instid1(SALU_CYCLE_1)
	v_lshlrev_b16 v16, 8, v16
	v_cndmask_b32_e64 v30, 0, 1, s0
	s_xor_b32 s0, s6, -1
	v_cndmask_b32_e64 v19, 0, 1, s0
	s_delay_alu instid0(VALU_DEP_3) | instskip(SKIP_1) | instid1(VALU_DEP_1)
	v_lshrrev_b32_e32 v16, 8, v16
	s_xor_b32 s0, s27, -1
	v_and_b32_e32 v16, 1, v16
	s_delay_alu instid0(VALU_DEP_1) | instskip(NEXT) | instid1(VALU_DEP_1)
	v_lshlrev_b16 v16, 8, v16
	v_or_b32_e32 v16, v17, v16
	v_cndmask_b32_e64 v17, 0, 1, s0
	s_xor_b32 s0, s1, -1
	s_delay_alu instid0(VALU_DEP_2)
	v_lshlrev_b32_e32 v16, 16, v16
	s_branch .LBB953_42
.LBB953_38:
                                        ; implicit-def: $sgpr0
                                        ; implicit-def: $vgpr19
                                        ; implicit-def: $vgpr30
                                        ; implicit-def: $vgpr17
                                        ; implicit-def: $vgpr22
	s_branch .LBB953_95
.LBB953_39:
                                        ; implicit-def: $vgpr32
                                        ; implicit-def: $vgpr31
                                        ; implicit-def: $vgpr20
	s_branch .LBB953_164
.LBB953_40:
                                        ; implicit-def: $sgpr0
                                        ; implicit-def: $vgpr19
                                        ; implicit-def: $vgpr30
                                        ; implicit-def: $vgpr17
                                        ; implicit-def: $vgpr22
	s_cbranch_execnz .LBB953_49
	s_branch .LBB953_94
.LBB953_41:
	v_dual_mov_b32 v16, 0 :: v_dual_mov_b32 v19, 0
	v_dual_mov_b32 v30, 0 :: v_dual_mov_b32 v17, 0
	s_mov_b32 s0, 0
.LBB953_42:
	s_wait_loadcnt 0x0
	v_mov_b64_e32 v[22:23], v[20:21]
	s_wait_dscnt 0x0
	s_barrier_signal -1
	s_barrier_wait -1
	s_and_saveexec_b32 s1, s3
; %bb.43:
	v_add_nc_u32_e32 v22, -8, v28
	ds_load_b64 v[22:23], v22
; %bb.44:
	s_or_b32 exec_lo, exec_lo, s1
	v_cndmask_b32_e64 v24, 0, 1, s0
	v_lshrrev_b32_e32 v25, 16, v16
	s_mov_b32 s4, 0
	s_and_not1_b32 vcc_lo, exec_lo, s7
	s_mov_b32 s0, 0
	v_lshlrev_b16 v24, 8, v24
	s_delay_alu instid0(VALU_DEP_1) | instskip(SKIP_1) | instid1(VALU_DEP_2)
	v_bitop3_b16 v24, v16, v24, 0xff bitop3:0xec
	v_perm_b32 v16, v25, v16, 0xc0c0304
	v_and_b32_e32 v29, 0xffff, v24
	s_cbranch_vccnz .LBB953_48
; %bb.45:
	s_wait_dscnt 0x0
	v_mul_u64_e32 v[22:23], s[18:19], v[22:23]
	v_mul_u64_e32 v[24:25], s[18:19], v[10:11]
	s_add_nc_u64 s[0:1], s[18:19], -1
	s_mov_b32 s5, 0
                                        ; implicit-def: $sgpr6
	s_delay_alu instid0(VALU_DEP_2) | instskip(NEXT) | instid1(VALU_DEP_2)
	v_lshl_add_u64 v[22:23], v[22:23], 2, s[8:9]
	v_lshl_add_u64 v[24:25], v[24:25], 2, s[8:9]
.LBB953_46:                             ; =>This Inner Loop Header: Depth=1
	global_load_b32 v31, v[22:23], off
	global_load_b32 v32, v[24:25], off
	s_cmp_eq_u64 s[0:1], 0
	s_add_nc_u64 s[26:27], s[0:1], -1
	s_cselect_b32 s1, -1, 0
	s_wait_xcnt 0x1
	v_add_nc_u64_e32 v[22:23], 4, v[22:23]
	s_wait_xcnt 0x0
	v_add_nc_u64_e32 v[24:25], 4, v[24:25]
	s_wait_loadcnt 0x0
	v_cmp_neq_f32_e32 vcc_lo, v31, v32
	v_cmp_eq_f32_e64 s0, v31, v32
	s_or_b32 s1, vcc_lo, s1
	s_delay_alu instid0(SALU_CYCLE_1) | instskip(NEXT) | instid1(SALU_CYCLE_1)
	s_and_b32 s1, exec_lo, s1
	s_or_b32 s5, s1, s5
	s_and_not1_b32 s6, s6, exec_lo
	s_and_b32 s28, s0, exec_lo
	s_mov_b64 s[0:1], s[26:27]
	s_or_b32 s6, s6, s28
	s_and_not1_b32 exec_lo, exec_lo, s5
	s_cbranch_execnz .LBB953_46
; %bb.47:
	s_or_b32 exec_lo, exec_lo, s5
	s_xor_b32 s0, s6, -1
.LBB953_48:
	s_wait_dscnt 0x0
	s_delay_alu instid0(VALU_DEP_1)
	v_lshl_or_b32 v22, v16, 16, v29
	s_and_b32 vcc_lo, exec_lo, s4
	s_cbranch_vccz .LBB953_94
.LBB953_49:
	v_add_nc_u32_e32 v16, 6, v1
	s_mov_b32 s5, 0
	s_mov_b32 s4, 0
	s_mov_b32 s6, exec_lo
	s_wait_xcnt 0x0
	v_cmpx_gt_u32_e64 s23, v16
	s_cbranch_execz .LBB953_55
; %bb.50:
	s_and_not1_b32 vcc_lo, exec_lo, s7
	s_mov_b32 s0, 0
	s_cbranch_vccnz .LBB953_54
; %bb.51:
	v_mul_u64_e32 v[16:17], s[18:19], v[4:5]
	v_mul_u64_e32 v[22:23], s[18:19], v[14:15]
	s_add_nc_u64 s[0:1], s[18:19], -1
                                        ; implicit-def: $sgpr7
	s_delay_alu instid0(VALU_DEP_2) | instskip(NEXT) | instid1(VALU_DEP_2)
	v_lshl_add_u64 v[16:17], v[16:17], 2, s[8:9]
	v_lshl_add_u64 v[22:23], v[22:23], 2, s[8:9]
.LBB953_52:                             ; =>This Inner Loop Header: Depth=1
	global_load_b32 v19, v[16:17], off
	global_load_b32 v24, v[22:23], off
	s_cmp_eq_u64 s[0:1], 0
	s_add_nc_u64 s[26:27], s[0:1], -1
	s_cselect_b32 s1, -1, 0
	s_wait_xcnt 0x1
	v_add_nc_u64_e32 v[16:17], 4, v[16:17]
	s_wait_xcnt 0x0
	v_add_nc_u64_e32 v[22:23], 4, v[22:23]
	s_wait_loadcnt 0x0
	v_cmp_neq_f32_e32 vcc_lo, v19, v24
	v_cmp_eq_f32_e64 s0, v19, v24
	s_or_b32 s1, vcc_lo, s1
	s_delay_alu instid0(SALU_CYCLE_1) | instskip(NEXT) | instid1(SALU_CYCLE_1)
	s_and_b32 s1, exec_lo, s1
	s_or_b32 s4, s1, s4
	s_and_not1_b32 s7, s7, exec_lo
	s_and_b32 s28, s0, exec_lo
	s_mov_b64 s[0:1], s[26:27]
	s_or_b32 s7, s7, s28
	s_and_not1_b32 exec_lo, exec_lo, s4
	s_cbranch_execnz .LBB953_52
; %bb.53:
	s_or_b32 exec_lo, exec_lo, s4
	s_xor_b32 s0, s7, -1
.LBB953_54:
	s_delay_alu instid0(SALU_CYCLE_1)
	s_and_b32 s4, s0, exec_lo
.LBB953_55:
	s_or_b32 exec_lo, exec_lo, s6
	v_add_nc_u32_e32 v16, 5, v1
	s_mov_b32 s6, exec_lo
	s_delay_alu instid0(VALU_DEP_1)
	v_cmpx_gt_u32_e64 s23, v16
	s_cbranch_execz .LBB953_61
; %bb.56:
	v_cmp_ne_u32_e32 vcc_lo, 1, v27
	s_mov_b32 s0, 0
	s_cbranch_vccnz .LBB953_60
; %bb.57:
	v_mul_u64_e32 v[16:17], s[18:19], v[2:3]
	v_mul_u64_e32 v[22:23], s[18:19], v[4:5]
	s_add_nc_u64 s[0:1], s[18:19], -1
	s_mov_b32 s5, 0
                                        ; implicit-def: $sgpr7
	s_delay_alu instid0(VALU_DEP_2) | instskip(NEXT) | instid1(VALU_DEP_2)
	v_lshl_add_u64 v[16:17], v[16:17], 2, s[8:9]
	v_lshl_add_u64 v[22:23], v[22:23], 2, s[8:9]
.LBB953_58:                             ; =>This Inner Loop Header: Depth=1
	global_load_b32 v19, v[16:17], off
	global_load_b32 v24, v[22:23], off
	s_cmp_eq_u64 s[0:1], 0
	s_add_nc_u64 s[26:27], s[0:1], -1
	s_cselect_b32 s1, -1, 0
	s_wait_xcnt 0x1
	v_add_nc_u64_e32 v[16:17], 4, v[16:17]
	s_wait_xcnt 0x0
	v_add_nc_u64_e32 v[22:23], 4, v[22:23]
	s_wait_loadcnt 0x0
	v_cmp_neq_f32_e32 vcc_lo, v19, v24
	v_cmp_eq_f32_e64 s0, v19, v24
	s_or_b32 s1, vcc_lo, s1
	s_delay_alu instid0(SALU_CYCLE_1) | instskip(NEXT) | instid1(SALU_CYCLE_1)
	s_and_b32 s1, exec_lo, s1
	s_or_b32 s5, s1, s5
	s_and_not1_b32 s7, s7, exec_lo
	s_and_b32 s28, s0, exec_lo
	s_mov_b64 s[0:1], s[26:27]
	s_or_b32 s7, s7, s28
	s_and_not1_b32 exec_lo, exec_lo, s5
	s_cbranch_execnz .LBB953_58
; %bb.59:
	s_or_b32 exec_lo, exec_lo, s5
	s_xor_b32 s0, s7, -1
.LBB953_60:
	s_delay_alu instid0(SALU_CYCLE_1)
	s_and_b32 s5, s0, exec_lo
.LBB953_61:
	s_or_b32 exec_lo, exec_lo, s6
	v_add_nc_u32_e32 v16, 4, v1
	s_mov_b32 s7, 0
	s_mov_b32 s6, 0
	s_mov_b32 s26, exec_lo
	s_delay_alu instid0(VALU_DEP_1)
	v_cmpx_gt_u32_e64 s23, v16
	s_cbranch_execz .LBB953_67
; %bb.62:
	v_cmp_ne_u32_e32 vcc_lo, 1, v27
	s_mov_b32 s0, 0
	s_cbranch_vccnz .LBB953_66
; %bb.63:
	v_mul_u64_e32 v[16:17], s[18:19], v[8:9]
	v_mul_u64_e32 v[22:23], s[18:19], v[2:3]
	s_add_nc_u64 s[0:1], s[18:19], -1
                                        ; implicit-def: $sgpr27
	s_delay_alu instid0(VALU_DEP_2) | instskip(NEXT) | instid1(VALU_DEP_2)
	v_lshl_add_u64 v[16:17], v[16:17], 2, s[8:9]
	v_lshl_add_u64 v[22:23], v[22:23], 2, s[8:9]
.LBB953_64:                             ; =>This Inner Loop Header: Depth=1
	global_load_b32 v19, v[16:17], off
	global_load_b32 v24, v[22:23], off
	s_cmp_eq_u64 s[0:1], 0
	s_add_nc_u64 s[28:29], s[0:1], -1
	s_cselect_b32 s1, -1, 0
	s_wait_xcnt 0x1
	v_add_nc_u64_e32 v[16:17], 4, v[16:17]
	s_wait_xcnt 0x0
	v_add_nc_u64_e32 v[22:23], 4, v[22:23]
	s_wait_loadcnt 0x0
	v_cmp_neq_f32_e32 vcc_lo, v19, v24
	v_cmp_eq_f32_e64 s0, v19, v24
	s_or_b32 s1, vcc_lo, s1
	s_delay_alu instid0(SALU_CYCLE_1) | instskip(NEXT) | instid1(SALU_CYCLE_1)
	s_and_b32 s1, exec_lo, s1
	s_or_b32 s6, s1, s6
	s_and_not1_b32 s27, s27, exec_lo
	s_and_b32 s30, s0, exec_lo
	s_mov_b64 s[0:1], s[28:29]
	s_or_b32 s27, s27, s30
	s_and_not1_b32 exec_lo, exec_lo, s6
	s_cbranch_execnz .LBB953_64
; %bb.65:
	s_or_b32 exec_lo, exec_lo, s6
	s_xor_b32 s0, s27, -1
.LBB953_66:
	s_delay_alu instid0(SALU_CYCLE_1)
	s_and_b32 s6, s0, exec_lo
.LBB953_67:
	s_or_b32 exec_lo, exec_lo, s26
	v_add_nc_u32_e32 v16, 3, v1
	s_mov_b32 s26, exec_lo
	s_delay_alu instid0(VALU_DEP_1)
	v_cmpx_gt_u32_e64 s23, v16
	s_cbranch_execz .LBB953_73
; %bb.68:
	v_cmp_ne_u32_e32 vcc_lo, 1, v27
	s_mov_b32 s0, 0
	s_cbranch_vccnz .LBB953_72
; %bb.69:
	v_mul_u64_e32 v[16:17], s[18:19], v[6:7]
	v_mul_u64_e32 v[22:23], s[18:19], v[8:9]
	s_add_nc_u64 s[0:1], s[18:19], -1
	s_mov_b32 s7, 0
                                        ; implicit-def: $sgpr27
	s_delay_alu instid0(VALU_DEP_2) | instskip(NEXT) | instid1(VALU_DEP_2)
	v_lshl_add_u64 v[16:17], v[16:17], 2, s[8:9]
	v_lshl_add_u64 v[22:23], v[22:23], 2, s[8:9]
.LBB953_70:                             ; =>This Inner Loop Header: Depth=1
	global_load_b32 v19, v[16:17], off
	global_load_b32 v24, v[22:23], off
	s_cmp_eq_u64 s[0:1], 0
	s_add_nc_u64 s[28:29], s[0:1], -1
	s_cselect_b32 s1, -1, 0
	s_wait_xcnt 0x1
	v_add_nc_u64_e32 v[16:17], 4, v[16:17]
	s_wait_xcnt 0x0
	v_add_nc_u64_e32 v[22:23], 4, v[22:23]
	s_wait_loadcnt 0x0
	v_cmp_neq_f32_e32 vcc_lo, v19, v24
	v_cmp_eq_f32_e64 s0, v19, v24
	s_or_b32 s1, vcc_lo, s1
	s_delay_alu instid0(SALU_CYCLE_1) | instskip(NEXT) | instid1(SALU_CYCLE_1)
	s_and_b32 s1, exec_lo, s1
	s_or_b32 s7, s1, s7
	s_and_not1_b32 s27, s27, exec_lo
	s_and_b32 s30, s0, exec_lo
	s_mov_b64 s[0:1], s[28:29]
	s_or_b32 s27, s27, s30
	s_and_not1_b32 exec_lo, exec_lo, s7
	s_cbranch_execnz .LBB953_70
; %bb.71:
	s_or_b32 exec_lo, exec_lo, s7
	s_xor_b32 s0, s27, -1
.LBB953_72:
	s_delay_alu instid0(SALU_CYCLE_1)
	s_and_b32 s7, s0, exec_lo
.LBB953_73:
	s_or_b32 exec_lo, exec_lo, s26
	v_add_nc_u32_e32 v16, 2, v1
	s_mov_b32 s26, 0
	s_mov_b32 s27, 0
	s_mov_b32 s28, exec_lo
	s_delay_alu instid0(VALU_DEP_1)
	v_cmpx_gt_u32_e64 s23, v16
	s_cbranch_execz .LBB953_79
; %bb.74:
	v_cmp_ne_u32_e32 vcc_lo, 1, v27
	s_mov_b32 s0, 0
	s_cbranch_vccnz .LBB953_78
; %bb.75:
	v_mul_u64_e32 v[16:17], s[18:19], v[12:13]
	v_mul_u64_e32 v[22:23], s[18:19], v[6:7]
	s_add_nc_u64 s[0:1], s[18:19], -1
                                        ; implicit-def: $sgpr29
	s_delay_alu instid0(VALU_DEP_2) | instskip(NEXT) | instid1(VALU_DEP_2)
	v_lshl_add_u64 v[16:17], v[16:17], 2, s[8:9]
	v_lshl_add_u64 v[22:23], v[22:23], 2, s[8:9]
.LBB953_76:                             ; =>This Inner Loop Header: Depth=1
	global_load_b32 v19, v[16:17], off
	global_load_b32 v24, v[22:23], off
	s_cmp_eq_u64 s[0:1], 0
	s_add_nc_u64 s[30:31], s[0:1], -1
	s_cselect_b32 s1, -1, 0
	s_wait_xcnt 0x1
	v_add_nc_u64_e32 v[16:17], 4, v[16:17]
	s_wait_xcnt 0x0
	v_add_nc_u64_e32 v[22:23], 4, v[22:23]
	s_wait_loadcnt 0x0
	v_cmp_neq_f32_e32 vcc_lo, v19, v24
	v_cmp_eq_f32_e64 s0, v19, v24
	s_or_b32 s1, vcc_lo, s1
	s_delay_alu instid0(SALU_CYCLE_1) | instskip(NEXT) | instid1(SALU_CYCLE_1)
	s_and_b32 s1, exec_lo, s1
	s_or_b32 s27, s1, s27
	s_and_not1_b32 s29, s29, exec_lo
	s_and_b32 s33, s0, exec_lo
	s_mov_b64 s[0:1], s[30:31]
	s_or_b32 s29, s29, s33
	s_and_not1_b32 exec_lo, exec_lo, s27
	s_cbranch_execnz .LBB953_76
; %bb.77:
	s_or_b32 exec_lo, exec_lo, s27
	s_xor_b32 s0, s29, -1
.LBB953_78:
	s_delay_alu instid0(SALU_CYCLE_1)
	s_and_b32 s27, s0, exec_lo
.LBB953_79:
	s_or_b32 exec_lo, exec_lo, s28
	v_add_nc_u32_e32 v16, 1, v1
	s_mov_b32 s28, exec_lo
	s_delay_alu instid0(VALU_DEP_1)
	v_cmpx_gt_u32_e64 s23, v16
	s_cbranch_execz .LBB953_85
; %bb.80:
	v_cmp_ne_u32_e32 vcc_lo, 1, v27
	s_mov_b32 s0, 0
	s_cbranch_vccnz .LBB953_84
; %bb.81:
	v_mul_u64_e32 v[16:17], s[18:19], v[10:11]
	v_mul_u64_e32 v[22:23], s[18:19], v[12:13]
	s_add_nc_u64 s[0:1], s[18:19], -1
	s_mov_b32 s26, 0
                                        ; implicit-def: $sgpr29
	s_delay_alu instid0(VALU_DEP_2) | instskip(NEXT) | instid1(VALU_DEP_2)
	v_lshl_add_u64 v[16:17], v[16:17], 2, s[8:9]
	v_lshl_add_u64 v[22:23], v[22:23], 2, s[8:9]
.LBB953_82:                             ; =>This Inner Loop Header: Depth=1
	global_load_b32 v19, v[16:17], off
	global_load_b32 v24, v[22:23], off
	s_cmp_eq_u64 s[0:1], 0
	s_add_nc_u64 s[30:31], s[0:1], -1
	s_cselect_b32 s1, -1, 0
	s_wait_xcnt 0x1
	v_add_nc_u64_e32 v[16:17], 4, v[16:17]
	s_wait_xcnt 0x0
	v_add_nc_u64_e32 v[22:23], 4, v[22:23]
	s_wait_loadcnt 0x0
	v_cmp_neq_f32_e32 vcc_lo, v19, v24
	v_cmp_eq_f32_e64 s0, v19, v24
	s_or_b32 s1, vcc_lo, s1
	s_delay_alu instid0(SALU_CYCLE_1) | instskip(NEXT) | instid1(SALU_CYCLE_1)
	s_and_b32 s1, exec_lo, s1
	s_or_b32 s26, s1, s26
	s_and_not1_b32 s29, s29, exec_lo
	s_and_b32 s33, s0, exec_lo
	s_mov_b64 s[0:1], s[30:31]
	s_or_b32 s29, s29, s33
	s_and_not1_b32 exec_lo, exec_lo, s26
	s_cbranch_execnz .LBB953_82
; %bb.83:
	s_or_b32 exec_lo, exec_lo, s26
	s_xor_b32 s0, s29, -1
.LBB953_84:
	s_delay_alu instid0(SALU_CYCLE_1)
	s_and_b32 s26, s0, exec_lo
.LBB953_85:
	s_or_b32 exec_lo, exec_lo, s28
	s_wait_loadcnt_dscnt 0x0
	s_barrier_signal -1
	s_barrier_wait -1
	s_and_saveexec_b32 s0, s3
; %bb.86:
	v_add_nc_u32_e32 v16, -8, v28
	ds_load_b64 v[20:21], v16
; %bb.87:
	s_or_b32 exec_lo, exec_lo, s0
	v_cndmask_b32_e64 v16, 0, 1, s7
	v_cndmask_b32_e64 v17, 0, 1, s27
	;; [unrolled: 1-line block ×3, first 2 shown]
	s_mov_b32 s0, 0
	s_mov_b32 s7, exec_lo
	v_lshlrev_b16 v16, 8, v16
	s_delay_alu instid0(VALU_DEP_2) | instskip(NEXT) | instid1(VALU_DEP_2)
	v_lshlrev_b16 v19, 8, v19
	v_or_b32_e32 v16, v17, v16
	s_delay_alu instid0(VALU_DEP_2) | instskip(NEXT) | instid1(VALU_DEP_2)
	v_and_b32_e32 v22, 0xffff, v19
	v_lshlrev_b32_e32 v23, 16, v16
	v_cmpx_gt_u32_e64 s23, v1
	s_cbranch_execz .LBB953_93
; %bb.88:
	v_cmp_ne_u32_e32 vcc_lo, 1, v27
	s_cbranch_vccnz .LBB953_92
; %bb.89:
	s_wait_dscnt 0x0
	v_mul_u64_e32 v[16:17], s[18:19], v[20:21]
	v_mul_u64_e32 v[20:21], s[18:19], v[10:11]
	s_add_nc_u64 s[0:1], s[18:19], -1
	s_mov_b32 s26, 0
                                        ; implicit-def: $sgpr27
	s_delay_alu instid0(VALU_DEP_2) | instskip(NEXT) | instid1(VALU_DEP_2)
	v_lshl_add_u64 v[16:17], v[16:17], 2, s[8:9]
	v_lshl_add_u64 v[20:21], v[20:21], 2, s[8:9]
.LBB953_90:                             ; =>This Inner Loop Header: Depth=1
	global_load_b32 v19, v[16:17], off
	global_load_b32 v24, v[20:21], off
	s_cmp_eq_u64 s[0:1], 0
	s_add_nc_u64 s[28:29], s[0:1], -1
	s_cselect_b32 s1, -1, 0
	s_wait_xcnt 0x1
	v_add_nc_u64_e32 v[16:17], 4, v[16:17]
	s_wait_xcnt 0x0
	v_add_nc_u64_e32 v[20:21], 4, v[20:21]
	s_wait_loadcnt 0x0
	v_cmp_neq_f32_e32 vcc_lo, v19, v24
	v_cmp_eq_f32_e64 s0, v19, v24
	s_or_b32 s1, vcc_lo, s1
	s_delay_alu instid0(SALU_CYCLE_1) | instskip(NEXT) | instid1(SALU_CYCLE_1)
	s_and_b32 s1, exec_lo, s1
	s_or_b32 s26, s1, s26
	s_and_not1_b32 s27, s27, exec_lo
	s_and_b32 s30, s0, exec_lo
	s_mov_b64 s[0:1], s[28:29]
	s_or_b32 s27, s27, s30
	s_and_not1_b32 exec_lo, exec_lo, s26
	s_cbranch_execnz .LBB953_90
; %bb.91:
	s_or_b32 exec_lo, exec_lo, s26
	s_xor_b32 s0, s27, -1
.LBB953_92:
	s_delay_alu instid0(SALU_CYCLE_1)
	s_and_b32 s0, s0, exec_lo
.LBB953_93:
	s_or_b32 exec_lo, exec_lo, s7
	v_cndmask_b32_e64 v17, 0, 1, s6
	v_cndmask_b32_e64 v30, 0, 1, s5
	v_cndmask_b32_e64 v19, 0, 1, s4
	v_or_b32_e32 v22, v22, v23
.LBB953_94:
	s_mov_b32 s6, -1
	s_cbranch_execnz .LBB953_39
.LBB953_95:
	v_cmp_gt_i64_e64 s7, s[18:19], 0
	v_mad_i32_i24 v26, 0xffffffd0, v0, v26
	s_and_b32 vcc_lo, exec_lo, s17
	ds_store_b64 v26, v[14:15]
	s_cbranch_vccz .LBB953_110
; %bb.96:
	s_and_not1_b32 vcc_lo, exec_lo, s7
	s_cbranch_vccnz .LBB953_111
; %bb.97:
	v_mul_u64_e32 v[16:17], s[18:19], v[4:5]
	s_wait_loadcnt_dscnt 0x1
	v_mul_u64_e32 v[20:21], s[18:19], v[14:15]
	s_add_nc_u64 s[4:5], s[18:19], -1
	s_mov_b32 s27, 0
	s_mov_b64 s[0:1], s[4:5]
                                        ; implicit-def: $sgpr26
	s_delay_alu instid0(VALU_DEP_2) | instskip(NEXT) | instid1(VALU_DEP_2)
	v_lshl_add_u64 v[16:17], v[16:17], 2, s[8:9]
	v_lshl_add_u64 v[20:21], v[20:21], 2, s[8:9]
	s_delay_alu instid0(VALU_DEP_2)
	v_mov_b64_e32 v[22:23], v[16:17]
.LBB953_98:                             ; =>This Inner Loop Header: Depth=1
	global_load_b32 v19, v[22:23], off
	global_load_b32 v24, v[20:21], off
	s_cmp_eq_u64 s[0:1], 0
	s_add_nc_u64 s[28:29], s[0:1], -1
	s_cselect_b32 s1, -1, 0
	s_wait_xcnt 0x1
	v_add_nc_u64_e32 v[22:23], 4, v[22:23]
	s_wait_xcnt 0x0
	v_add_nc_u64_e32 v[20:21], 4, v[20:21]
	s_wait_loadcnt 0x0
	v_cmp_neq_f32_e32 vcc_lo, v19, v24
	v_cmp_eq_f32_e64 s0, v19, v24
	s_or_b32 s1, vcc_lo, s1
	s_delay_alu instid0(SALU_CYCLE_1) | instskip(NEXT) | instid1(SALU_CYCLE_1)
	s_and_b32 s1, exec_lo, s1
	s_or_b32 s27, s1, s27
	s_and_not1_b32 s26, s26, exec_lo
	s_and_b32 s30, s0, exec_lo
	s_mov_b64 s[0:1], s[28:29]
	s_or_b32 s26, s26, s30
	s_and_not1_b32 exec_lo, exec_lo, s27
	s_cbranch_execnz .LBB953_98
; %bb.99:
	s_or_b32 exec_lo, exec_lo, s27
	v_mul_u64_e32 v[20:21], s[18:19], v[2:3]
	s_mov_b32 s28, 0
	s_mov_b64 s[0:1], s[4:5]
                                        ; implicit-def: $sgpr27
	s_delay_alu instid0(VALU_DEP_1) | instskip(NEXT) | instid1(VALU_DEP_1)
	v_lshl_add_u64 v[20:21], v[20:21], 2, s[8:9]
	v_mov_b64_e32 v[22:23], v[20:21]
.LBB953_100:                            ; =>This Inner Loop Header: Depth=1
	global_load_b32 v19, v[22:23], off
	global_load_b32 v24, v[16:17], off
	s_cmp_eq_u64 s[0:1], 0
	s_add_nc_u64 s[30:31], s[0:1], -1
	s_cselect_b32 s1, -1, 0
	s_wait_xcnt 0x1
	v_add_nc_u64_e32 v[22:23], 4, v[22:23]
	s_wait_xcnt 0x0
	v_add_nc_u64_e32 v[16:17], 4, v[16:17]
	s_wait_loadcnt 0x0
	v_cmp_neq_f32_e32 vcc_lo, v19, v24
	v_cmp_eq_f32_e64 s0, v19, v24
	s_or_b32 s1, vcc_lo, s1
	s_delay_alu instid0(SALU_CYCLE_1) | instskip(NEXT) | instid1(SALU_CYCLE_1)
	s_and_b32 s1, exec_lo, s1
	s_or_b32 s28, s1, s28
	s_and_not1_b32 s27, s27, exec_lo
	s_and_b32 s29, s0, exec_lo
	s_mov_b64 s[0:1], s[30:31]
	s_or_b32 s27, s27, s29
	s_and_not1_b32 exec_lo, exec_lo, s28
	s_cbranch_execnz .LBB953_100
; %bb.101:
	s_or_b32 exec_lo, exec_lo, s28
	v_mul_u64_e32 v[16:17], s[18:19], v[8:9]
	s_mov_b32 s29, 0
	s_mov_b64 s[0:1], s[4:5]
                                        ; implicit-def: $sgpr28
	s_delay_alu instid0(VALU_DEP_1) | instskip(NEXT) | instid1(VALU_DEP_1)
	v_lshl_add_u64 v[16:17], v[16:17], 2, s[8:9]
	v_mov_b64_e32 v[22:23], v[16:17]
.LBB953_102:                            ; =>This Inner Loop Header: Depth=1
	global_load_b32 v19, v[22:23], off
	global_load_b32 v24, v[20:21], off
	s_cmp_eq_u64 s[0:1], 0
	s_add_nc_u64 s[30:31], s[0:1], -1
	s_cselect_b32 s1, -1, 0
	s_wait_xcnt 0x1
	v_add_nc_u64_e32 v[22:23], 4, v[22:23]
	s_wait_xcnt 0x0
	v_add_nc_u64_e32 v[20:21], 4, v[20:21]
	s_wait_loadcnt 0x0
	v_cmp_neq_f32_e32 vcc_lo, v19, v24
	v_cmp_eq_f32_e64 s0, v19, v24
	s_or_b32 s1, vcc_lo, s1
	s_delay_alu instid0(SALU_CYCLE_1) | instskip(NEXT) | instid1(SALU_CYCLE_1)
	s_and_b32 s1, exec_lo, s1
	s_or_b32 s29, s1, s29
	s_and_not1_b32 s28, s28, exec_lo
	s_and_b32 s33, s0, exec_lo
	s_mov_b64 s[0:1], s[30:31]
	s_or_b32 s28, s28, s33
	s_and_not1_b32 exec_lo, exec_lo, s29
	s_cbranch_execnz .LBB953_102
; %bb.103:
	s_or_b32 exec_lo, exec_lo, s29
	v_mul_u64_e32 v[20:21], s[18:19], v[6:7]
	s_mov_b32 s30, 0
	s_mov_b64 s[0:1], s[4:5]
                                        ; implicit-def: $sgpr29
	s_delay_alu instid0(VALU_DEP_1) | instskip(NEXT) | instid1(VALU_DEP_1)
	v_lshl_add_u64 v[20:21], v[20:21], 2, s[8:9]
	v_mov_b64_e32 v[22:23], v[20:21]
.LBB953_104:                            ; =>This Inner Loop Header: Depth=1
	global_load_b32 v19, v[22:23], off
	global_load_b32 v24, v[16:17], off
	s_cmp_eq_u64 s[0:1], 0
	s_add_nc_u64 s[34:35], s[0:1], -1
	s_cselect_b32 s1, -1, 0
	s_wait_xcnt 0x1
	v_add_nc_u64_e32 v[22:23], 4, v[22:23]
	s_wait_xcnt 0x0
	v_add_nc_u64_e32 v[16:17], 4, v[16:17]
	s_wait_loadcnt 0x0
	v_cmp_neq_f32_e32 vcc_lo, v19, v24
	v_cmp_eq_f32_e64 s0, v19, v24
	s_or_b32 s1, vcc_lo, s1
	s_delay_alu instid0(SALU_CYCLE_1) | instskip(NEXT) | instid1(SALU_CYCLE_1)
	s_and_b32 s1, exec_lo, s1
	s_or_b32 s30, s1, s30
	s_and_not1_b32 s29, s29, exec_lo
	s_and_b32 s31, s0, exec_lo
	s_mov_b64 s[0:1], s[34:35]
	s_or_b32 s29, s29, s31
	s_and_not1_b32 exec_lo, exec_lo, s30
	s_cbranch_execnz .LBB953_104
; %bb.105:
	s_or_b32 exec_lo, exec_lo, s30
	v_mul_u64_e32 v[16:17], s[18:19], v[12:13]
	s_mov_b32 s31, 0
	s_mov_b64 s[0:1], s[4:5]
                                        ; implicit-def: $sgpr30
	s_delay_alu instid0(VALU_DEP_1) | instskip(NEXT) | instid1(VALU_DEP_1)
	v_lshl_add_u64 v[16:17], v[16:17], 2, s[8:9]
	v_mov_b64_e32 v[22:23], v[16:17]
.LBB953_106:                            ; =>This Inner Loop Header: Depth=1
	global_load_b32 v19, v[22:23], off
	global_load_b32 v24, v[20:21], off
	s_cmp_eq_u64 s[0:1], 0
	s_add_nc_u64 s[34:35], s[0:1], -1
	s_cselect_b32 s1, -1, 0
	s_wait_xcnt 0x1
	v_add_nc_u64_e32 v[22:23], 4, v[22:23]
	s_wait_xcnt 0x0
	v_add_nc_u64_e32 v[20:21], 4, v[20:21]
	s_wait_loadcnt 0x0
	v_cmp_neq_f32_e32 vcc_lo, v19, v24
	v_cmp_eq_f32_e64 s0, v19, v24
	s_or_b32 s1, vcc_lo, s1
	s_delay_alu instid0(SALU_CYCLE_1) | instskip(NEXT) | instid1(SALU_CYCLE_1)
	s_and_b32 s1, exec_lo, s1
	s_or_b32 s31, s1, s31
	s_and_not1_b32 s30, s30, exec_lo
	s_and_b32 s33, s0, exec_lo
	s_mov_b64 s[0:1], s[34:35]
	s_or_b32 s30, s30, s33
	s_and_not1_b32 exec_lo, exec_lo, s31
	s_cbranch_execnz .LBB953_106
; %bb.107:
	s_or_b32 exec_lo, exec_lo, s31
	v_mul_u64_e32 v[20:21], s[18:19], v[10:11]
	s_mov_b32 s31, 0
                                        ; implicit-def: $sgpr1
	s_delay_alu instid0(VALU_DEP_1)
	v_lshl_add_u64 v[20:21], v[20:21], 2, s[8:9]
.LBB953_108:                            ; =>This Inner Loop Header: Depth=1
	global_load_b32 v19, v[20:21], off
	global_load_b32 v22, v[16:17], off
	s_cmp_eq_u64 s[4:5], 0
	s_add_nc_u64 s[34:35], s[4:5], -1
	s_cselect_b32 s4, -1, 0
	s_wait_xcnt 0x1
	v_add_nc_u64_e32 v[20:21], 4, v[20:21]
	s_wait_xcnt 0x0
	v_add_nc_u64_e32 v[16:17], 4, v[16:17]
	s_wait_loadcnt 0x0
	v_cmp_neq_f32_e32 vcc_lo, v19, v22
	v_cmp_eq_f32_e64 s0, v19, v22
	s_or_b32 s4, vcc_lo, s4
	s_delay_alu instid0(SALU_CYCLE_1) | instskip(NEXT) | instid1(SALU_CYCLE_1)
	s_and_b32 s4, exec_lo, s4
	s_or_b32 s31, s4, s31
	s_and_not1_b32 s1, s1, exec_lo
	s_and_b32 s0, s0, exec_lo
	s_mov_b64 s[4:5], s[34:35]
	s_or_b32 s1, s1, s0
	s_and_not1_b32 exec_lo, exec_lo, s31
	s_cbranch_execnz .LBB953_108
; %bb.109:
	s_or_b32 exec_lo, exec_lo, s31
	s_xor_b32 s0, s29, -1
	s_delay_alu instid0(SALU_CYCLE_1) | instskip(SKIP_1) | instid1(SALU_CYCLE_1)
	v_cndmask_b32_e64 v16, 0, 1, s0
	s_xor_b32 s0, s30, -1
	v_cndmask_b32_e64 v17, 0, 1, s0
	s_xor_b32 s0, s27, -1
	s_delay_alu instid0(VALU_DEP_2) | instskip(SKIP_2) | instid1(SALU_CYCLE_1)
	v_lshlrev_b16 v16, 8, v16
	v_cndmask_b32_e64 v30, 0, 1, s0
	s_xor_b32 s0, s26, -1
	v_cndmask_b32_e64 v19, 0, 1, s0
	s_delay_alu instid0(VALU_DEP_3) | instskip(SKIP_1) | instid1(VALU_DEP_1)
	v_lshrrev_b32_e32 v16, 8, v16
	s_xor_b32 s0, s28, -1
	v_and_b32_e32 v16, 1, v16
	s_delay_alu instid0(VALU_DEP_1) | instskip(NEXT) | instid1(VALU_DEP_1)
	v_lshlrev_b16 v16, 8, v16
	v_or_b32_e32 v16, v17, v16
	v_cndmask_b32_e64 v17, 0, 1, s0
	s_xor_b32 s0, s1, -1
	s_delay_alu instid0(VALU_DEP_2)
	v_lshlrev_b32_e32 v16, 16, v16
	s_branch .LBB953_112
.LBB953_110:
                                        ; implicit-def: $sgpr0
                                        ; implicit-def: $vgpr19
                                        ; implicit-def: $vgpr30
                                        ; implicit-def: $vgpr17
                                        ; implicit-def: $vgpr22
                                        ; implicit-def: $vgpr32
                                        ; implicit-def: $vgpr31
                                        ; implicit-def: $vgpr20
	s_cbranch_execnz .LBB953_119
	s_branch .LBB953_164
.LBB953_111:
	v_dual_mov_b32 v16, 0 :: v_dual_mov_b32 v19, 0
	v_dual_mov_b32 v30, 0 :: v_dual_mov_b32 v17, 0
	s_mov_b32 s0, 0
.LBB953_112:
	s_wait_loadcnt_dscnt 0x1
	s_delay_alu instid0(VALU_DEP_1)
	v_dual_lshrrev_b32 v31, 16, v16 :: v_dual_lshrrev_b32 v20, 24, v16
	v_cndmask_b32_e64 v32, 0, 1, s0
	v_mov_b32_e32 v16, 1
	s_wait_dscnt 0x0
	s_barrier_signal -1
	s_barrier_wait -1
                                        ; implicit-def: $sgpr0
                                        ; implicit-def: $vgpr22
	s_and_saveexec_b32 s1, s3
	s_delay_alu instid0(SALU_CYCLE_1)
	s_xor_b32 s4, exec_lo, s1
	s_cbranch_execz .LBB953_118
; %bb.113:
	v_lshlrev_b16 v21, 8, v20
	v_lshlrev_b16 v22, 8, v32
	s_and_not1_b32 vcc_lo, exec_lo, s7
	s_mov_b32 s0, 0
	s_delay_alu instid0(VALU_DEP_2) | instskip(NEXT) | instid1(VALU_DEP_1)
	v_bitop3_b16 v21, v31, v21, 0xff bitop3:0xec
	v_dual_lshlrev_b32 v21, 16, v21 :: v_dual_bitop2_b32 v22, 1, v22 bitop3:0x54
	s_delay_alu instid0(VALU_DEP_1) | instskip(NEXT) | instid1(VALU_DEP_1)
	v_and_b32_e32 v22, 0xffff, v22
	v_or_b32_e32 v21, v22, v21
	s_cbranch_vccnz .LBB953_117
; %bb.114:
	v_add_nc_u32_e32 v22, -8, v26
	v_mul_u64_e32 v[24:25], s[18:19], v[10:11]
	s_add_nc_u64 s[0:1], s[18:19], -1
	s_mov_b32 s5, 0
                                        ; implicit-def: $sgpr26
	ds_load_b64 v[22:23], v22
	s_wait_dscnt 0x0
	v_mul_u64_e32 v[22:23], s[18:19], v[22:23]
	v_lshl_add_u64 v[24:25], v[24:25], 2, s[8:9]
	s_delay_alu instid0(VALU_DEP_2)
	v_lshl_add_u64 v[22:23], v[22:23], 2, s[8:9]
.LBB953_115:                            ; =>This Inner Loop Header: Depth=1
	global_load_b32 v27, v[22:23], off
	global_load_b32 v28, v[24:25], off
	s_cmp_eq_u64 s[0:1], 0
	s_add_nc_u64 s[28:29], s[0:1], -1
	s_cselect_b32 s1, -1, 0
	s_wait_xcnt 0x1
	v_add_nc_u64_e32 v[22:23], 4, v[22:23]
	s_wait_xcnt 0x0
	v_add_nc_u64_e32 v[24:25], 4, v[24:25]
	s_wait_loadcnt 0x0
	v_cmp_neq_f32_e32 vcc_lo, v27, v28
	v_cmp_eq_f32_e64 s0, v27, v28
	s_or_b32 s1, vcc_lo, s1
	s_delay_alu instid0(SALU_CYCLE_1) | instskip(NEXT) | instid1(SALU_CYCLE_1)
	s_and_b32 s1, exec_lo, s1
	s_or_b32 s5, s1, s5
	s_and_not1_b32 s26, s26, exec_lo
	s_and_b32 s27, s0, exec_lo
	s_mov_b64 s[0:1], s[28:29]
	s_or_b32 s26, s26, s27
	s_and_not1_b32 exec_lo, exec_lo, s5
	s_cbranch_execnz .LBB953_115
; %bb.116:
	s_or_b32 exec_lo, exec_lo, s5
	s_xor_b32 s0, s26, -1
.LBB953_117:
	s_delay_alu instid0(VALU_DEP_1)
	v_perm_b32 v22, v21, v21, 0x3020104
	s_or_b32 s6, s6, exec_lo
.LBB953_118:
	s_or_b32 exec_lo, exec_lo, s4
	s_branch .LBB953_164
.LBB953_119:
	v_add_nc_u32_e32 v16, 6, v1
	s_mov_b32 s5, 0
	s_mov_b32 s4, 0
	s_mov_b32 s26, exec_lo
	s_wait_xcnt 0x0
	v_cmpx_gt_u32_e64 s23, v16
	s_cbranch_execz .LBB953_125
; %bb.120:
	s_and_not1_b32 vcc_lo, exec_lo, s7
	s_mov_b32 s0, 0
	s_cbranch_vccnz .LBB953_124
; %bb.121:
	v_mul_u64_e32 v[16:17], s[18:19], v[4:5]
	s_wait_loadcnt_dscnt 0x1
	v_mul_u64_e32 v[20:21], s[18:19], v[14:15]
	s_add_nc_u64 s[0:1], s[18:19], -1
                                        ; implicit-def: $sgpr27
	s_delay_alu instid0(VALU_DEP_2) | instskip(NEXT) | instid1(VALU_DEP_2)
	v_lshl_add_u64 v[16:17], v[16:17], 2, s[8:9]
	v_lshl_add_u64 v[20:21], v[20:21], 2, s[8:9]
.LBB953_122:                            ; =>This Inner Loop Header: Depth=1
	global_load_b32 v19, v[16:17], off
	global_load_b32 v22, v[20:21], off
	s_cmp_eq_u64 s[0:1], 0
	s_add_nc_u64 s[28:29], s[0:1], -1
	s_cselect_b32 s1, -1, 0
	s_wait_xcnt 0x1
	v_add_nc_u64_e32 v[16:17], 4, v[16:17]
	s_wait_xcnt 0x0
	v_add_nc_u64_e32 v[20:21], 4, v[20:21]
	s_wait_loadcnt 0x0
	v_cmp_neq_f32_e32 vcc_lo, v19, v22
	v_cmp_eq_f32_e64 s0, v19, v22
	s_or_b32 s1, vcc_lo, s1
	s_delay_alu instid0(SALU_CYCLE_1) | instskip(NEXT) | instid1(SALU_CYCLE_1)
	s_and_b32 s1, exec_lo, s1
	s_or_b32 s4, s1, s4
	s_and_not1_b32 s27, s27, exec_lo
	s_and_b32 s30, s0, exec_lo
	s_mov_b64 s[0:1], s[28:29]
	s_or_b32 s27, s27, s30
	s_and_not1_b32 exec_lo, exec_lo, s4
	s_cbranch_execnz .LBB953_122
; %bb.123:
	s_or_b32 exec_lo, exec_lo, s4
	s_xor_b32 s0, s27, -1
.LBB953_124:
	s_delay_alu instid0(SALU_CYCLE_1)
	s_and_b32 s4, s0, exec_lo
.LBB953_125:
	s_or_b32 exec_lo, exec_lo, s26
	v_add_nc_u32_e32 v16, 5, v1
	s_mov_b32 s26, exec_lo
	s_delay_alu instid0(VALU_DEP_1)
	v_cmpx_gt_u32_e64 s23, v16
	s_cbranch_execz .LBB953_131
; %bb.126:
	s_and_not1_b32 vcc_lo, exec_lo, s7
	s_mov_b32 s0, 0
	s_cbranch_vccnz .LBB953_130
; %bb.127:
	v_mul_u64_e32 v[16:17], s[18:19], v[2:3]
	s_wait_loadcnt_dscnt 0x1
	v_mul_u64_e32 v[20:21], s[18:19], v[4:5]
	s_add_nc_u64 s[0:1], s[18:19], -1
	s_mov_b32 s5, 0
                                        ; implicit-def: $sgpr27
	s_delay_alu instid0(VALU_DEP_2) | instskip(NEXT) | instid1(VALU_DEP_2)
	v_lshl_add_u64 v[16:17], v[16:17], 2, s[8:9]
	v_lshl_add_u64 v[20:21], v[20:21], 2, s[8:9]
.LBB953_128:                            ; =>This Inner Loop Header: Depth=1
	global_load_b32 v19, v[16:17], off
	global_load_b32 v22, v[20:21], off
	s_cmp_eq_u64 s[0:1], 0
	s_add_nc_u64 s[28:29], s[0:1], -1
	s_cselect_b32 s1, -1, 0
	s_wait_xcnt 0x1
	v_add_nc_u64_e32 v[16:17], 4, v[16:17]
	s_wait_xcnt 0x0
	v_add_nc_u64_e32 v[20:21], 4, v[20:21]
	s_wait_loadcnt 0x0
	v_cmp_neq_f32_e32 vcc_lo, v19, v22
	v_cmp_eq_f32_e64 s0, v19, v22
	s_or_b32 s1, vcc_lo, s1
	s_delay_alu instid0(SALU_CYCLE_1) | instskip(NEXT) | instid1(SALU_CYCLE_1)
	s_and_b32 s1, exec_lo, s1
	s_or_b32 s5, s1, s5
	s_and_not1_b32 s27, s27, exec_lo
	s_and_b32 s30, s0, exec_lo
	s_mov_b64 s[0:1], s[28:29]
	s_or_b32 s27, s27, s30
	s_and_not1_b32 exec_lo, exec_lo, s5
	s_cbranch_execnz .LBB953_128
; %bb.129:
	s_or_b32 exec_lo, exec_lo, s5
	s_xor_b32 s0, s27, -1
.LBB953_130:
	s_delay_alu instid0(SALU_CYCLE_1)
	s_and_b32 s5, s0, exec_lo
.LBB953_131:
	s_or_b32 exec_lo, exec_lo, s26
	v_add_nc_u32_e32 v16, 4, v1
	s_mov_b32 s26, 0
	s_mov_b32 s27, 0
	s_mov_b32 s28, exec_lo
	s_delay_alu instid0(VALU_DEP_1)
	v_cmpx_gt_u32_e64 s23, v16
	s_cbranch_execz .LBB953_137
; %bb.132:
	s_and_not1_b32 vcc_lo, exec_lo, s7
	s_mov_b32 s0, 0
	s_cbranch_vccnz .LBB953_136
; %bb.133:
	v_mul_u64_e32 v[16:17], s[18:19], v[8:9]
	s_wait_loadcnt_dscnt 0x1
	v_mul_u64_e32 v[20:21], s[18:19], v[2:3]
	s_add_nc_u64 s[0:1], s[18:19], -1
                                        ; implicit-def: $sgpr29
	s_delay_alu instid0(VALU_DEP_2) | instskip(NEXT) | instid1(VALU_DEP_2)
	v_lshl_add_u64 v[16:17], v[16:17], 2, s[8:9]
	v_lshl_add_u64 v[20:21], v[20:21], 2, s[8:9]
.LBB953_134:                            ; =>This Inner Loop Header: Depth=1
	global_load_b32 v19, v[16:17], off
	global_load_b32 v22, v[20:21], off
	s_cmp_eq_u64 s[0:1], 0
	s_add_nc_u64 s[30:31], s[0:1], -1
	s_cselect_b32 s1, -1, 0
	s_wait_xcnt 0x1
	v_add_nc_u64_e32 v[16:17], 4, v[16:17]
	s_wait_xcnt 0x0
	v_add_nc_u64_e32 v[20:21], 4, v[20:21]
	s_wait_loadcnt 0x0
	v_cmp_neq_f32_e32 vcc_lo, v19, v22
	v_cmp_eq_f32_e64 s0, v19, v22
	s_or_b32 s1, vcc_lo, s1
	s_delay_alu instid0(SALU_CYCLE_1) | instskip(NEXT) | instid1(SALU_CYCLE_1)
	s_and_b32 s1, exec_lo, s1
	s_or_b32 s27, s1, s27
	s_and_not1_b32 s29, s29, exec_lo
	s_and_b32 s33, s0, exec_lo
	s_mov_b64 s[0:1], s[30:31]
	s_or_b32 s29, s29, s33
	s_and_not1_b32 exec_lo, exec_lo, s27
	s_cbranch_execnz .LBB953_134
; %bb.135:
	s_or_b32 exec_lo, exec_lo, s27
	s_xor_b32 s0, s29, -1
.LBB953_136:
	s_delay_alu instid0(SALU_CYCLE_1)
	s_and_b32 s27, s0, exec_lo
.LBB953_137:
	s_or_b32 exec_lo, exec_lo, s28
	v_add_nc_u32_e32 v16, 3, v1
	s_mov_b32 s28, exec_lo
	s_delay_alu instid0(VALU_DEP_1)
	v_cmpx_gt_u32_e64 s23, v16
	s_cbranch_execz .LBB953_143
; %bb.138:
	s_and_not1_b32 vcc_lo, exec_lo, s7
	s_mov_b32 s0, 0
	s_cbranch_vccnz .LBB953_142
; %bb.139:
	v_mul_u64_e32 v[16:17], s[18:19], v[6:7]
	s_wait_loadcnt_dscnt 0x1
	v_mul_u64_e32 v[20:21], s[18:19], v[8:9]
	s_add_nc_u64 s[0:1], s[18:19], -1
	s_mov_b32 s26, 0
                                        ; implicit-def: $sgpr29
	s_delay_alu instid0(VALU_DEP_2) | instskip(NEXT) | instid1(VALU_DEP_2)
	v_lshl_add_u64 v[16:17], v[16:17], 2, s[8:9]
	v_lshl_add_u64 v[20:21], v[20:21], 2, s[8:9]
.LBB953_140:                            ; =>This Inner Loop Header: Depth=1
	global_load_b32 v19, v[16:17], off
	global_load_b32 v22, v[20:21], off
	s_cmp_eq_u64 s[0:1], 0
	s_add_nc_u64 s[30:31], s[0:1], -1
	s_cselect_b32 s1, -1, 0
	s_wait_xcnt 0x1
	v_add_nc_u64_e32 v[16:17], 4, v[16:17]
	s_wait_xcnt 0x0
	v_add_nc_u64_e32 v[20:21], 4, v[20:21]
	s_wait_loadcnt 0x0
	v_cmp_neq_f32_e32 vcc_lo, v19, v22
	v_cmp_eq_f32_e64 s0, v19, v22
	s_or_b32 s1, vcc_lo, s1
	s_delay_alu instid0(SALU_CYCLE_1) | instskip(NEXT) | instid1(SALU_CYCLE_1)
	s_and_b32 s1, exec_lo, s1
	s_or_b32 s26, s1, s26
	s_and_not1_b32 s29, s29, exec_lo
	s_and_b32 s33, s0, exec_lo
	s_mov_b64 s[0:1], s[30:31]
	s_or_b32 s29, s29, s33
	s_and_not1_b32 exec_lo, exec_lo, s26
	s_cbranch_execnz .LBB953_140
; %bb.141:
	s_or_b32 exec_lo, exec_lo, s26
	s_xor_b32 s0, s29, -1
.LBB953_142:
	s_delay_alu instid0(SALU_CYCLE_1)
	s_and_b32 s26, s0, exec_lo
.LBB953_143:
	s_or_b32 exec_lo, exec_lo, s28
	v_add_nc_u32_e32 v16, 2, v1
	s_mov_b32 s28, 0
	s_mov_b32 s29, 0
	s_mov_b32 s30, exec_lo
	s_delay_alu instid0(VALU_DEP_1)
	v_cmpx_gt_u32_e64 s23, v16
	s_cbranch_execz .LBB953_149
; %bb.144:
	s_and_not1_b32 vcc_lo, exec_lo, s7
	s_mov_b32 s0, 0
	s_cbranch_vccnz .LBB953_148
; %bb.145:
	v_mul_u64_e32 v[16:17], s[18:19], v[12:13]
	s_wait_loadcnt_dscnt 0x1
	v_mul_u64_e32 v[20:21], s[18:19], v[6:7]
	s_add_nc_u64 s[0:1], s[18:19], -1
                                        ; implicit-def: $sgpr31
	s_delay_alu instid0(VALU_DEP_2) | instskip(NEXT) | instid1(VALU_DEP_2)
	v_lshl_add_u64 v[16:17], v[16:17], 2, s[8:9]
	v_lshl_add_u64 v[20:21], v[20:21], 2, s[8:9]
.LBB953_146:                            ; =>This Inner Loop Header: Depth=1
	global_load_b32 v19, v[16:17], off
	global_load_b32 v22, v[20:21], off
	s_cmp_eq_u64 s[0:1], 0
	s_add_nc_u64 s[34:35], s[0:1], -1
	s_cselect_b32 s1, -1, 0
	s_wait_xcnt 0x1
	v_add_nc_u64_e32 v[16:17], 4, v[16:17]
	s_wait_xcnt 0x0
	v_add_nc_u64_e32 v[20:21], 4, v[20:21]
	s_wait_loadcnt 0x0
	v_cmp_neq_f32_e32 vcc_lo, v19, v22
	v_cmp_eq_f32_e64 s0, v19, v22
	s_or_b32 s1, vcc_lo, s1
	s_delay_alu instid0(SALU_CYCLE_1) | instskip(NEXT) | instid1(SALU_CYCLE_1)
	s_and_b32 s1, exec_lo, s1
	s_or_b32 s29, s1, s29
	s_and_not1_b32 s31, s31, exec_lo
	s_and_b32 s33, s0, exec_lo
	s_mov_b64 s[0:1], s[34:35]
	s_or_b32 s31, s31, s33
	s_and_not1_b32 exec_lo, exec_lo, s29
	s_cbranch_execnz .LBB953_146
; %bb.147:
	s_or_b32 exec_lo, exec_lo, s29
	s_xor_b32 s0, s31, -1
.LBB953_148:
	s_delay_alu instid0(SALU_CYCLE_1)
	s_and_b32 s29, s0, exec_lo
.LBB953_149:
	s_or_b32 exec_lo, exec_lo, s30
	v_add_nc_u32_e32 v16, 1, v1
	s_mov_b32 s30, exec_lo
	s_delay_alu instid0(VALU_DEP_1)
	v_cmpx_gt_u32_e64 s23, v16
	s_cbranch_execz .LBB953_155
; %bb.150:
	s_and_not1_b32 vcc_lo, exec_lo, s7
	s_mov_b32 s0, 0
	s_cbranch_vccnz .LBB953_154
; %bb.151:
	v_mul_u64_e32 v[16:17], s[18:19], v[10:11]
	s_wait_loadcnt_dscnt 0x1
	v_mul_u64_e32 v[20:21], s[18:19], v[12:13]
	s_add_nc_u64 s[0:1], s[18:19], -1
	s_mov_b32 s28, 0
                                        ; implicit-def: $sgpr31
	s_delay_alu instid0(VALU_DEP_2) | instskip(NEXT) | instid1(VALU_DEP_2)
	v_lshl_add_u64 v[16:17], v[16:17], 2, s[8:9]
	v_lshl_add_u64 v[20:21], v[20:21], 2, s[8:9]
.LBB953_152:                            ; =>This Inner Loop Header: Depth=1
	global_load_b32 v19, v[16:17], off
	global_load_b32 v22, v[20:21], off
	s_cmp_eq_u64 s[0:1], 0
	s_add_nc_u64 s[34:35], s[0:1], -1
	s_cselect_b32 s1, -1, 0
	s_wait_xcnt 0x1
	v_add_nc_u64_e32 v[16:17], 4, v[16:17]
	s_wait_xcnt 0x0
	v_add_nc_u64_e32 v[20:21], 4, v[20:21]
	s_wait_loadcnt 0x0
	v_cmp_neq_f32_e32 vcc_lo, v19, v22
	v_cmp_eq_f32_e64 s0, v19, v22
	s_or_b32 s1, vcc_lo, s1
	s_delay_alu instid0(SALU_CYCLE_1) | instskip(NEXT) | instid1(SALU_CYCLE_1)
	s_and_b32 s1, exec_lo, s1
	s_or_b32 s28, s1, s28
	s_and_not1_b32 s31, s31, exec_lo
	s_and_b32 s33, s0, exec_lo
	s_mov_b64 s[0:1], s[34:35]
	s_or_b32 s31, s31, s33
	s_and_not1_b32 exec_lo, exec_lo, s28
	s_cbranch_execnz .LBB953_152
; %bb.153:
	s_or_b32 exec_lo, exec_lo, s28
	s_xor_b32 s0, s31, -1
.LBB953_154:
	s_delay_alu instid0(SALU_CYCLE_1)
	s_and_b32 s28, s0, exec_lo
.LBB953_155:
	s_or_b32 exec_lo, exec_lo, s30
	v_cndmask_b32_e64 v17, 0, 1, s27
	v_cndmask_b32_e64 v30, 0, 1, s5
	;; [unrolled: 1-line block ×4, first 2 shown]
	s_wait_loadcnt_dscnt 0x1
	v_cndmask_b32_e64 v20, 0, 1, s26
	v_cndmask_b32_e64 v32, 0, 1, s28
	v_mov_b32_e32 v16, 1
	s_wait_dscnt 0x0
	s_barrier_signal -1
	s_barrier_wait -1
                                        ; implicit-def: $sgpr0
                                        ; implicit-def: $vgpr22
	s_and_saveexec_b32 s4, s3
	s_cbranch_execz .LBB953_163
; %bb.156:
	v_lshlrev_b16 v21, 8, v32
	v_lshlrev_b16 v22, 8, v20
	s_mov_b32 s0, 0
	s_mov_b32 s3, exec_lo
	s_delay_alu instid0(VALU_DEP_1) | instskip(NEXT) | instid1(VALU_DEP_1)
	v_or_b32_e32 v22, v31, v22
	v_dual_lshlrev_b32 v22, 16, v22 :: v_dual_bitop2_b32 v21, 1, v21 bitop3:0x54
	s_delay_alu instid0(VALU_DEP_1) | instskip(NEXT) | instid1(VALU_DEP_1)
	v_and_b32_e32 v21, 0xffff, v21
	v_or_b32_e32 v21, v21, v22
	v_cmpx_gt_u32_e64 s23, v1
	s_cbranch_execz .LBB953_162
; %bb.157:
	s_and_not1_b32 vcc_lo, exec_lo, s7
	s_cbranch_vccnz .LBB953_161
; %bb.158:
	v_add_nc_u32_e32 v22, -8, v26
	v_mul_u64_e32 v[24:25], s[18:19], v[10:11]
	s_add_nc_u64 s[0:1], s[18:19], -1
	s_mov_b32 s5, 0
                                        ; implicit-def: $sgpr7
	ds_load_b64 v[22:23], v22
	s_wait_dscnt 0x0
	v_mul_u64_e32 v[22:23], s[18:19], v[22:23]
	v_lshl_add_u64 v[24:25], v[24:25], 2, s[8:9]
	s_delay_alu instid0(VALU_DEP_2)
	v_lshl_add_u64 v[22:23], v[22:23], 2, s[8:9]
.LBB953_159:                            ; =>This Inner Loop Header: Depth=1
	global_load_b32 v26, v[22:23], off
	global_load_b32 v27, v[24:25], off
	s_cmp_eq_u64 s[0:1], 0
	s_add_nc_u64 s[8:9], s[0:1], -1
	s_cselect_b32 s1, -1, 0
	s_wait_xcnt 0x1
	v_add_nc_u64_e32 v[22:23], 4, v[22:23]
	s_wait_xcnt 0x0
	v_add_nc_u64_e32 v[24:25], 4, v[24:25]
	s_wait_loadcnt 0x0
	v_cmp_neq_f32_e32 vcc_lo, v26, v27
	v_cmp_eq_f32_e64 s0, v26, v27
	s_or_b32 s1, vcc_lo, s1
	s_delay_alu instid0(SALU_CYCLE_1) | instskip(NEXT) | instid1(SALU_CYCLE_1)
	s_and_b32 s1, exec_lo, s1
	s_or_b32 s5, s1, s5
	s_and_not1_b32 s7, s7, exec_lo
	s_and_b32 s18, s0, exec_lo
	s_mov_b64 s[0:1], s[8:9]
	s_or_b32 s7, s7, s18
	s_and_not1_b32 exec_lo, exec_lo, s5
	s_cbranch_execnz .LBB953_159
; %bb.160:
	s_or_b32 exec_lo, exec_lo, s5
	s_xor_b32 s0, s7, -1
.LBB953_161:
	s_delay_alu instid0(SALU_CYCLE_1)
	s_and_b32 s0, s0, exec_lo
.LBB953_162:
	s_or_b32 exec_lo, exec_lo, s3
	s_delay_alu instid0(VALU_DEP_2)
	v_perm_b32 v22, v21, v21, 0x3020104
	s_or_b32 s6, s6, exec_lo
.LBB953_163:
	s_or_b32 exec_lo, exec_lo, s4
.LBB953_164:
	s_wait_xcnt 0x0
	s_and_saveexec_b32 s1, s6
	s_cbranch_execz .LBB953_166
; %bb.165:
	s_wait_loadcnt_dscnt 0x0
	v_dual_lshrrev_b32 v20, 24, v22 :: v_dual_lshrrev_b32 v31, 16, v22
	v_lshrrev_b32_e32 v32, 8, v22
	v_cndmask_b32_e64 v16, 0, 1, s0
.LBB953_166:
	s_or_b32 exec_lo, exec_lo, s1
	s_delay_alu instid0(SALU_CYCLE_1)
	s_and_not1_b32 vcc_lo, exec_lo, s24
	s_cbranch_vccnz .LBB953_170
; %bb.167:
	s_delay_alu instid0(VALU_DEP_1)
	v_perm_b32 v16, v16, v32, 0xc0c0004
	s_wait_loadcnt_dscnt 0x0
	v_perm_b32 v20, v31, v20, 0xc0c0004
	v_cmp_gt_u32_e32 vcc_lo, s23, v1
	v_and_b32_e32 v19, 0xff, v19
	v_perm_b32 v17, v17, v30, 0xc0c0004
	v_add_nc_u32_e32 v21, 1, v1
	v_lshl_or_b32 v16, v20, 16, v16
	s_delay_alu instid0(VALU_DEP_4) | instskip(NEXT) | instid1(VALU_DEP_2)
	v_dual_add_nc_u32 v22, 4, v1 :: v_dual_lshlrev_b32 v19, 16, v19
	v_cndmask_b32_e32 v20, 0, v16, vcc_lo
	s_delay_alu instid0(VALU_DEP_4) | instskip(SKIP_1) | instid1(VALU_DEP_3)
	v_cmp_gt_u32_e32 vcc_lo, s23, v21
	v_add_nc_u32_e32 v21, 2, v1
	v_and_b32_e32 v20, 0xff, v20
	s_delay_alu instid0(VALU_DEP_1) | instskip(NEXT) | instid1(VALU_DEP_3)
	v_cndmask_b32_e32 v20, v20, v16, vcc_lo
	v_cmp_gt_u32_e32 vcc_lo, s23, v21
	s_delay_alu instid0(VALU_DEP_2) | instskip(SKIP_2) | instid1(VALU_DEP_3)
	v_and_b32_e32 v20, 0xffff, v20
	v_or_b32_e32 v23, v17, v19
	v_bitop3_b32 v17, v17, 0xffff00, v19 bitop3:0xc8
	v_cndmask_b32_e32 v19, v20, v16, vcc_lo
	v_cmp_gt_u32_e32 vcc_lo, s23, v22
	v_add_nc_u32_e32 v20, 5, v1
	s_delay_alu instid0(VALU_DEP_3) | instskip(SKIP_1) | instid1(VALU_DEP_3)
	v_and_b32_e32 v19, 0xffffff, v19
	v_dual_add_nc_u32 v21, 3, v1 :: v_dual_cndmask_b32 v17, v17, v23, vcc_lo
	v_cmp_gt_u32_e64 s0, s23, v20
	s_delay_alu instid0(VALU_DEP_2) | instskip(NEXT) | instid1(VALU_DEP_3)
	v_cmp_gt_u32_e64 s1, s23, v21
	v_and_b32_e32 v17, 0xffff00ff, v17
	s_or_b32 vcc_lo, s0, vcc_lo
	s_delay_alu instid0(VALU_DEP_1) | instskip(SKIP_1) | instid1(VALU_DEP_1)
	v_dual_cndmask_b32 v19, v19, v16, s1 :: v_dual_cndmask_b32 v17, v17, v23, s0
	s_mov_b32 s0, exec_lo
	v_dual_cndmask_b32 v16, v19, v16 :: v_dual_add_nc_u32 v1, 6, v1
	s_delay_alu instid0(VALU_DEP_2) | instskip(NEXT) | instid1(VALU_DEP_2)
	v_dual_lshrrev_b32 v30, 8, v17 :: v_dual_lshrrev_b32 v19, 16, v17
	v_lshrrev_b32_e32 v32, 8, v16
	v_lshrrev_b64 v[20:21], 24, v[16:17]
	v_lshrrev_b32_e32 v31, 16, v16
	v_cmpx_le_u32_e64 s23, v1
; %bb.168:
	v_mov_b32_e32 v19, 0
; %bb.169:
	s_or_b32 exec_lo, exec_lo, s0
.LBB953_170:
	s_delay_alu instid0(VALU_DEP_1)
	v_and_b32_e32 v1, 0xff, v16
	s_wait_loadcnt_dscnt 0x0
	v_and_b32_e32 v21, 0xff, v32
	v_and_b32_e32 v33, 0xff, v31
	;; [unrolled: 1-line block ×4, first 2 shown]
	v_mbcnt_lo_u32_b32 v37, -1, 0
	v_and_b32_e32 v36, 0xff, v30
	v_add3_u32 v22, v21, v1, v33
	v_and_b32_e32 v23, 0xff, v19
	s_delay_alu instid0(VALU_DEP_4) | instskip(SKIP_1) | instid1(VALU_DEP_3)
	v_dual_lshrrev_b32 v38, 5, v0 :: v_dual_bitop2_b32 v24, 15, v37 bitop3:0x40
	s_and_b32 vcc_lo, exec_lo, s25
	v_add3_u32 v22, v22, v34, v35
	s_mov_b32 s7, -1
	s_delay_alu instid0(VALU_DEP_2) | instskip(SKIP_1) | instid1(VALU_DEP_3)
	v_cmp_eq_u32_e64 s0, 0, v24
	v_cmp_lt_u32_e64 s3, 1, v24
	v_add3_u32 v39, v22, v36, v23
	v_and_b32_e32 v22, 16, v37
	v_or_b32_e32 v23, 31, v0
	v_cmp_lt_u32_e64 s4, 3, v24
	v_cmp_lt_u32_e64 s1, 7, v24
	s_barrier_signal -1
	v_cmp_eq_u32_e64 s6, 0, v22
	v_cmp_eq_u32_e64 s5, v0, v23
	s_barrier_wait -1
                                        ; implicit-def: $vgpr25
                                        ; implicit-def: $vgpr26
                                        ; implicit-def: $vgpr27
                                        ; implicit-def: $vgpr28
                                        ; implicit-def: $vgpr29
                                        ; implicit-def: $vgpr40
                                        ; implicit-def: $vgpr41
                                        ; implicit-def: $vgpr24
                                        ; implicit-def: $vgpr22
	s_cbranch_vccz .LBB953_197
; %bb.171:
	v_mov_b32_dpp v22, v39 row_shr:1 row_mask:0xf bank_mask:0xf
	s_delay_alu instid0(VALU_DEP_1) | instskip(NEXT) | instid1(VALU_DEP_1)
	v_cndmask_b32_e64 v22, v22, 0, s0
	v_add_nc_u32_e32 v22, v22, v39
	s_delay_alu instid0(VALU_DEP_1) | instskip(NEXT) | instid1(VALU_DEP_1)
	v_mov_b32_dpp v23, v22 row_shr:2 row_mask:0xf bank_mask:0xf
	v_cndmask_b32_e64 v23, 0, v23, s3
	s_delay_alu instid0(VALU_DEP_1) | instskip(NEXT) | instid1(VALU_DEP_1)
	v_add_nc_u32_e32 v22, v22, v23
	v_mov_b32_dpp v23, v22 row_shr:4 row_mask:0xf bank_mask:0xf
	s_delay_alu instid0(VALU_DEP_1) | instskip(NEXT) | instid1(VALU_DEP_1)
	v_cndmask_b32_e64 v23, 0, v23, s4
	v_add_nc_u32_e32 v22, v22, v23
	s_delay_alu instid0(VALU_DEP_1) | instskip(NEXT) | instid1(VALU_DEP_1)
	v_mov_b32_dpp v23, v22 row_shr:8 row_mask:0xf bank_mask:0xf
	v_cndmask_b32_e64 v23, 0, v23, s1
	s_delay_alu instid0(VALU_DEP_1) | instskip(SKIP_3) | instid1(VALU_DEP_1)
	v_add_nc_u32_e32 v22, v22, v23
	ds_swizzle_b32 v23, v22 offset:swizzle(BROADCAST,32,15)
	s_wait_dscnt 0x0
	v_cndmask_b32_e64 v23, v23, 0, s6
	v_add_nc_u32_e32 v22, v22, v23
	s_and_saveexec_b32 s7, s5
; %bb.172:
	v_lshlrev_b32_e32 v23, 2, v38
	ds_store_b32 v23, v22
; %bb.173:
	s_or_b32 exec_lo, exec_lo, s7
	s_delay_alu instid0(SALU_CYCLE_1)
	s_mov_b32 s7, exec_lo
	s_wait_dscnt 0x0
	s_barrier_signal -1
	s_barrier_wait -1
	v_cmpx_gt_u32_e32 16, v0
	s_cbranch_execz .LBB953_175
; %bb.174:
	v_lshlrev_b32_e32 v23, 2, v0
	ds_load_b32 v24, v23
	s_wait_dscnt 0x0
	v_mov_b32_dpp v25, v24 row_shr:1 row_mask:0xf bank_mask:0xf
	s_delay_alu instid0(VALU_DEP_1) | instskip(NEXT) | instid1(VALU_DEP_1)
	v_cndmask_b32_e64 v25, v25, 0, s0
	v_add_nc_u32_e32 v24, v25, v24
	s_delay_alu instid0(VALU_DEP_1) | instskip(NEXT) | instid1(VALU_DEP_1)
	v_mov_b32_dpp v25, v24 row_shr:2 row_mask:0xf bank_mask:0xf
	v_cndmask_b32_e64 v25, 0, v25, s3
	s_delay_alu instid0(VALU_DEP_1) | instskip(NEXT) | instid1(VALU_DEP_1)
	v_add_nc_u32_e32 v24, v24, v25
	v_mov_b32_dpp v25, v24 row_shr:4 row_mask:0xf bank_mask:0xf
	s_delay_alu instid0(VALU_DEP_1) | instskip(NEXT) | instid1(VALU_DEP_1)
	v_cndmask_b32_e64 v25, 0, v25, s4
	v_add_nc_u32_e32 v24, v24, v25
	s_delay_alu instid0(VALU_DEP_1) | instskip(NEXT) | instid1(VALU_DEP_1)
	v_mov_b32_dpp v25, v24 row_shr:8 row_mask:0xf bank_mask:0xf
	v_cndmask_b32_e64 v25, 0, v25, s1
	s_delay_alu instid0(VALU_DEP_1)
	v_add_nc_u32_e32 v24, v24, v25
	ds_store_b32 v23, v24
.LBB953_175:
	s_or_b32 exec_lo, exec_lo, s7
	s_delay_alu instid0(SALU_CYCLE_1)
	s_mov_b32 s8, exec_lo
	v_cmp_gt_u32_e32 vcc_lo, 32, v0
	s_wait_dscnt 0x0
	s_barrier_signal -1
	s_barrier_wait -1
                                        ; implicit-def: $vgpr40
	v_cmpx_lt_u32_e32 31, v0
	s_cbranch_execz .LBB953_177
; %bb.176:
	v_lshl_add_u32 v23, v38, 2, -4
	ds_load_b32 v40, v23
	s_wait_dscnt 0x0
	v_add_nc_u32_e32 v22, v40, v22
.LBB953_177:
	s_or_b32 exec_lo, exec_lo, s8
	v_sub_co_u32 v23, s7, v37, 1
	s_delay_alu instid0(VALU_DEP_1) | instskip(NEXT) | instid1(VALU_DEP_1)
	v_cmp_gt_i32_e64 s8, 0, v23
	v_cndmask_b32_e64 v23, v23, v37, s8
	s_delay_alu instid0(VALU_DEP_1)
	v_lshlrev_b32_e32 v23, 2, v23
	ds_bpermute_b32 v41, v23, v22
	s_and_saveexec_b32 s8, vcc_lo
	s_cbranch_execz .LBB953_196
; %bb.178:
	v_mov_b32_e32 v29, 0
	ds_load_b32 v22, v29 offset:60
	s_and_saveexec_b32 s9, s7
	s_cbranch_execz .LBB953_180
; %bb.179:
	s_add_co_i32 s18, s22, 32
	s_delay_alu instid0(SALU_CYCLE_1)
	v_dual_mov_b32 v23, 1 :: v_dual_mov_b32 v24, s18
	s_wait_dscnt 0x0
	global_store_b64 v24, v[22:23], s[10:11] scale_offset scope:SCOPE_DEV
.LBB953_180:
	s_wait_xcnt 0x0
	s_or_b32 exec_lo, exec_lo, s9
	v_xad_u32 v24, v37, -1, s22
	s_mov_b32 s18, 0
	s_mov_b32 s9, exec_lo
	s_delay_alu instid0(VALU_DEP_1) | instskip(SKIP_4) | instid1(VALU_DEP_1)
	v_add_nc_u32_e32 v28, 32, v24
	global_load_b64 v[26:27], v28, s[10:11] scale_offset scope:SCOPE_DEV
	s_wait_loadcnt 0x0
	v_and_b32_e32 v23, 0xff, v27
	s_wait_xcnt 0x0
	v_cmpx_eq_u16_e32 0, v23
	s_cbranch_execz .LBB953_184
; %bb.181:
	v_lshl_add_u64 v[28:29], v[28:29], 3, s[10:11]
.LBB953_182:                            ; =>This Inner Loop Header: Depth=1
	global_load_b64 v[26:27], v[28:29], off scope:SCOPE_DEV
	s_wait_loadcnt 0x0
	v_and_b32_e32 v23, 0xff, v27
	s_delay_alu instid0(VALU_DEP_1)
	v_cmp_ne_u16_e32 vcc_lo, 0, v23
	s_or_b32 s18, vcc_lo, s18
	s_wait_xcnt 0x0
	s_and_not1_b32 exec_lo, exec_lo, s18
	s_cbranch_execnz .LBB953_182
; %bb.183:
	s_or_b32 exec_lo, exec_lo, s18
.LBB953_184:
	s_delay_alu instid0(SALU_CYCLE_1)
	s_or_b32 exec_lo, exec_lo, s9
	v_cmp_ne_u32_e32 vcc_lo, 31, v37
	v_lshlrev_b32_e64 v43, v37, -1
	v_lshl_or_b32 v50, v37, 2, 64
	v_dual_add_nc_u32 v45, 2, v37 :: v_dual_add_nc_u32 v47, 4, v37
	v_add_co_ci_u32_e64 v23, null, 0, v37, vcc_lo
	v_dual_add_nc_u32 v49, 8, v37 :: v_dual_add_nc_u32 v51, 16, v37
	s_delay_alu instid0(VALU_DEP_2)
	v_lshlrev_b32_e32 v42, 2, v23
	v_and_b32_e32 v23, 0xff, v27
	ds_bpermute_b32 v25, v42, v26
	v_cmp_eq_u16_e32 vcc_lo, 2, v23
	v_and_or_b32 v23, vcc_lo, v43, 0x80000000
	v_cmp_gt_u32_e32 vcc_lo, 30, v37
	s_delay_alu instid0(VALU_DEP_2) | instskip(SKIP_1) | instid1(VALU_DEP_2)
	v_ctz_i32_b32_e32 v23, v23
	v_cndmask_b32_e64 v28, 0, 2, vcc_lo
	v_cmp_lt_u32_e32 vcc_lo, v37, v23
	s_delay_alu instid0(VALU_DEP_2) | instskip(SKIP_3) | instid1(VALU_DEP_2)
	v_add_lshl_u32 v44, v28, v37, 2
	s_wait_dscnt 0x0
	v_cndmask_b32_e32 v25, 0, v25, vcc_lo
	v_cmp_gt_u32_e32 vcc_lo, 28, v37
	v_add_nc_u32_e32 v25, v25, v26
	v_cndmask_b32_e64 v28, 0, 4, vcc_lo
	v_cmp_le_u32_e32 vcc_lo, v45, v23
	ds_bpermute_b32 v26, v44, v25
	v_add_lshl_u32 v46, v28, v37, 2
	s_wait_dscnt 0x0
	v_cndmask_b32_e32 v26, 0, v26, vcc_lo
	v_cmp_gt_u32_e32 vcc_lo, 24, v37
	v_cndmask_b32_e64 v28, 0, 8, vcc_lo
	v_cmp_le_u32_e32 vcc_lo, v47, v23
	s_delay_alu instid0(VALU_DEP_4) | instskip(NEXT) | instid1(VALU_DEP_3)
	v_add_nc_u32_e32 v25, v25, v26
	v_add_lshl_u32 v48, v28, v37, 2
	ds_bpermute_b32 v26, v46, v25
	s_wait_dscnt 0x0
	v_cndmask_b32_e32 v26, 0, v26, vcc_lo
	v_cmp_le_u32_e32 vcc_lo, v49, v23
	s_delay_alu instid0(VALU_DEP_2) | instskip(SKIP_4) | instid1(VALU_DEP_2)
	v_add_nc_u32_e32 v25, v25, v26
	ds_bpermute_b32 v26, v48, v25
	s_wait_dscnt 0x0
	v_cndmask_b32_e32 v26, 0, v26, vcc_lo
	v_cmp_le_u32_e32 vcc_lo, v51, v23
	v_add_nc_u32_e32 v25, v25, v26
	ds_bpermute_b32 v26, v50, v25
	s_wait_dscnt 0x0
	v_cndmask_b32_e32 v23, 0, v26, vcc_lo
	s_delay_alu instid0(VALU_DEP_1)
	v_dual_mov_b32 v25, 0 :: v_dual_add_nc_u32 v26, v25, v23
	s_branch .LBB953_187
.LBB953_185:                            ;   in Loop: Header=BB953_187 Depth=1
	s_or_b32 exec_lo, exec_lo, s9
	v_and_b32_e32 v28, 0xff, v27
	ds_bpermute_b32 v29, v42, v26
	v_subrev_nc_u32_e32 v24, 32, v24
	s_mov_b32 s9, 0
	v_cmp_eq_u16_e32 vcc_lo, 2, v28
	v_and_or_b32 v28, vcc_lo, v43, 0x80000000
	s_delay_alu instid0(VALU_DEP_1) | instskip(NEXT) | instid1(VALU_DEP_1)
	v_ctz_i32_b32_e32 v28, v28
	v_cmp_lt_u32_e32 vcc_lo, v37, v28
	s_wait_dscnt 0x0
	v_cndmask_b32_e32 v29, 0, v29, vcc_lo
	v_cmp_le_u32_e32 vcc_lo, v45, v28
	s_delay_alu instid0(VALU_DEP_2) | instskip(SKIP_4) | instid1(VALU_DEP_2)
	v_add_nc_u32_e32 v26, v29, v26
	ds_bpermute_b32 v29, v44, v26
	s_wait_dscnt 0x0
	v_cndmask_b32_e32 v29, 0, v29, vcc_lo
	v_cmp_le_u32_e32 vcc_lo, v47, v28
	v_add_nc_u32_e32 v26, v26, v29
	ds_bpermute_b32 v29, v46, v26
	s_wait_dscnt 0x0
	v_cndmask_b32_e32 v29, 0, v29, vcc_lo
	v_cmp_le_u32_e32 vcc_lo, v49, v28
	s_delay_alu instid0(VALU_DEP_2) | instskip(SKIP_4) | instid1(VALU_DEP_2)
	v_add_nc_u32_e32 v26, v26, v29
	ds_bpermute_b32 v29, v48, v26
	s_wait_dscnt 0x0
	v_cndmask_b32_e32 v29, 0, v29, vcc_lo
	v_cmp_le_u32_e32 vcc_lo, v51, v28
	v_add_nc_u32_e32 v26, v26, v29
	ds_bpermute_b32 v29, v50, v26
	s_wait_dscnt 0x0
	v_cndmask_b32_e32 v28, 0, v29, vcc_lo
	s_delay_alu instid0(VALU_DEP_1)
	v_add3_u32 v26, v28, v23, v26
.LBB953_186:                            ;   in Loop: Header=BB953_187 Depth=1
	s_and_b32 vcc_lo, exec_lo, s9
	s_cbranch_vccnz .LBB953_192
.LBB953_187:                            ; =>This Loop Header: Depth=1
                                        ;     Child Loop BB953_190 Depth 2
	v_and_b32_e32 v23, 0xff, v27
	s_mov_b32 s9, -1
                                        ; implicit-def: $vgpr27
	s_delay_alu instid0(VALU_DEP_1)
	v_cmp_ne_u16_e32 vcc_lo, 2, v23
	v_mov_b32_e32 v23, v26
                                        ; implicit-def: $vgpr26
	s_cmp_lg_u32 vcc_lo, exec_lo
	s_cbranch_scc1 .LBB953_186
; %bb.188:                              ;   in Loop: Header=BB953_187 Depth=1
	global_load_b64 v[26:27], v24, s[10:11] scale_offset scope:SCOPE_DEV
	s_mov_b32 s9, exec_lo
	s_wait_loadcnt 0x0
	v_and_b32_e32 v28, 0xff, v27
	s_wait_xcnt 0x0
	s_delay_alu instid0(VALU_DEP_1)
	v_cmpx_eq_u16_e32 0, v28
	s_cbranch_execz .LBB953_185
; %bb.189:                              ;   in Loop: Header=BB953_187 Depth=1
	v_lshl_add_u64 v[28:29], v[24:25], 3, s[10:11]
	s_mov_b32 s18, 0
.LBB953_190:                            ;   Parent Loop BB953_187 Depth=1
                                        ; =>  This Inner Loop Header: Depth=2
	global_load_b64 v[26:27], v[28:29], off scope:SCOPE_DEV
	s_wait_loadcnt 0x0
	v_and_b32_e32 v52, 0xff, v27
	s_delay_alu instid0(VALU_DEP_1)
	v_cmp_ne_u16_e32 vcc_lo, 0, v52
	s_or_b32 s18, vcc_lo, s18
	s_wait_xcnt 0x0
	s_and_not1_b32 exec_lo, exec_lo, s18
	s_cbranch_execnz .LBB953_190
; %bb.191:                              ;   in Loop: Header=BB953_187 Depth=1
	s_or_b32 exec_lo, exec_lo, s18
	s_branch .LBB953_185
.LBB953_192:
	s_and_saveexec_b32 s9, s7
	s_cbranch_execz .LBB953_194
; %bb.193:
	s_add_co_i32 s18, s22, 32
	v_dual_mov_b32 v25, 2 :: v_dual_add_nc_u32 v24, v23, v22
	v_dual_mov_b32 v26, s18 :: v_dual_mov_b32 v27, 0
	global_store_b64 v26, v[24:25], s[10:11] scale_offset scope:SCOPE_DEV
	ds_store_b64 v27, v[22:23] offset:28672
.LBB953_194:
	s_wait_xcnt 0x0
	s_or_b32 exec_lo, exec_lo, s9
	s_delay_alu instid0(SALU_CYCLE_1)
	s_and_b32 exec_lo, exec_lo, s2
; %bb.195:
	v_mov_b32_e32 v22, 0
	ds_store_b32 v22, v23 offset:60
.LBB953_196:
	s_or_b32 exec_lo, exec_lo, s8
	s_wait_dscnt 0x0
	v_dual_mov_b32 v22, 0 :: v_dual_cndmask_b32 v24, v41, v40, s7
	s_wait_storecnt 0x0
	s_barrier_signal -1
	s_barrier_wait -1
	ds_load_b32 v23, v22 offset:60
	v_cndmask_b32_e64 v24, v24, 0, s2
	s_wait_dscnt 0x0
	s_barrier_signal -1
	s_barrier_wait -1
	s_mov_b32 s7, 0
	v_add_nc_u32_e32 v41, v23, v24
	ds_load_b64 v[22:23], v22 offset:28672
	v_add_nc_u32_e32 v40, v41, v1
	s_delay_alu instid0(VALU_DEP_1) | instskip(NEXT) | instid1(VALU_DEP_1)
	v_add_nc_u32_e32 v29, v40, v21
	v_add_nc_u32_e32 v28, v29, v33
	s_wait_dscnt 0x0
	s_delay_alu instid0(VALU_DEP_1) | instskip(NEXT) | instid1(VALU_DEP_1)
	v_dual_mov_b32 v24, v23 :: v_dual_add_nc_u32 v27, v28, v34
	v_add_nc_u32_e32 v26, v27, v35
	s_delay_alu instid0(VALU_DEP_1)
	v_add_nc_u32_e32 v25, v26, v36
.LBB953_197:
	s_and_b32 vcc_lo, exec_lo, s7
	s_cbranch_vccz .LBB953_207
; %bb.198:
	v_mov_b32_dpp v22, v39 row_shr:1 row_mask:0xf bank_mask:0xf
	s_delay_alu instid0(VALU_DEP_1) | instskip(NEXT) | instid1(VALU_DEP_1)
	v_cndmask_b32_e64 v22, v22, 0, s0
	v_add_nc_u32_e32 v22, v22, v39
	s_delay_alu instid0(VALU_DEP_1) | instskip(NEXT) | instid1(VALU_DEP_1)
	v_mov_b32_dpp v23, v22 row_shr:2 row_mask:0xf bank_mask:0xf
	v_cndmask_b32_e64 v23, 0, v23, s3
	s_delay_alu instid0(VALU_DEP_1) | instskip(NEXT) | instid1(VALU_DEP_1)
	v_add_nc_u32_e32 v22, v22, v23
	v_mov_b32_dpp v23, v22 row_shr:4 row_mask:0xf bank_mask:0xf
	s_delay_alu instid0(VALU_DEP_1) | instskip(NEXT) | instid1(VALU_DEP_1)
	v_cndmask_b32_e64 v23, 0, v23, s4
	v_add_nc_u32_e32 v22, v22, v23
	s_delay_alu instid0(VALU_DEP_1) | instskip(NEXT) | instid1(VALU_DEP_1)
	v_mov_b32_dpp v23, v22 row_shr:8 row_mask:0xf bank_mask:0xf
	v_cndmask_b32_e64 v23, 0, v23, s1
	s_delay_alu instid0(VALU_DEP_1) | instskip(SKIP_3) | instid1(VALU_DEP_1)
	v_add_nc_u32_e32 v22, v22, v23
	ds_swizzle_b32 v23, v22 offset:swizzle(BROADCAST,32,15)
	s_wait_dscnt 0x0
	v_cndmask_b32_e64 v23, v23, 0, s6
	v_add_nc_u32_e32 v22, v22, v23
	s_and_saveexec_b32 s6, s5
; %bb.199:
	v_lshlrev_b32_e32 v23, 2, v38
	ds_store_b32 v23, v22
; %bb.200:
	s_or_b32 exec_lo, exec_lo, s6
	s_delay_alu instid0(SALU_CYCLE_1)
	s_mov_b32 s5, exec_lo
	s_wait_dscnt 0x0
	s_barrier_signal -1
	s_barrier_wait -1
	v_cmpx_gt_u32_e32 16, v0
	s_cbranch_execz .LBB953_202
; %bb.201:
	v_lshlrev_b32_e32 v23, 2, v0
	ds_load_b32 v24, v23
	s_wait_dscnt 0x0
	v_mov_b32_dpp v25, v24 row_shr:1 row_mask:0xf bank_mask:0xf
	s_delay_alu instid0(VALU_DEP_1) | instskip(NEXT) | instid1(VALU_DEP_1)
	v_cndmask_b32_e64 v25, v25, 0, s0
	v_add_nc_u32_e32 v24, v25, v24
	s_delay_alu instid0(VALU_DEP_1) | instskip(NEXT) | instid1(VALU_DEP_1)
	v_mov_b32_dpp v25, v24 row_shr:2 row_mask:0xf bank_mask:0xf
	v_cndmask_b32_e64 v25, 0, v25, s3
	s_delay_alu instid0(VALU_DEP_1) | instskip(NEXT) | instid1(VALU_DEP_1)
	v_add_nc_u32_e32 v24, v24, v25
	v_mov_b32_dpp v25, v24 row_shr:4 row_mask:0xf bank_mask:0xf
	s_delay_alu instid0(VALU_DEP_1) | instskip(NEXT) | instid1(VALU_DEP_1)
	v_cndmask_b32_e64 v25, 0, v25, s4
	v_add_nc_u32_e32 v24, v24, v25
	s_delay_alu instid0(VALU_DEP_1) | instskip(NEXT) | instid1(VALU_DEP_1)
	v_mov_b32_dpp v25, v24 row_shr:8 row_mask:0xf bank_mask:0xf
	v_cndmask_b32_e64 v25, 0, v25, s1
	s_delay_alu instid0(VALU_DEP_1)
	v_add_nc_u32_e32 v24, v24, v25
	ds_store_b32 v23, v24
.LBB953_202:
	s_or_b32 exec_lo, exec_lo, s5
	v_dual_mov_b32 v23, 0 :: v_dual_mov_b32 v24, 0
	s_mov_b32 s0, exec_lo
	s_wait_dscnt 0x0
	s_barrier_signal -1
	s_barrier_wait -1
	v_cmpx_lt_u32_e32 31, v0
; %bb.203:
	v_lshl_add_u32 v24, v38, 2, -4
	ds_load_b32 v24, v24
; %bb.204:
	s_or_b32 exec_lo, exec_lo, s0
	v_sub_co_u32 v25, vcc_lo, v37, 1
	s_wait_dscnt 0x0
	v_add_nc_u32_e32 v22, v24, v22
	s_delay_alu instid0(VALU_DEP_2) | instskip(NEXT) | instid1(VALU_DEP_1)
	v_cmp_gt_i32_e64 s0, 0, v25
	v_cndmask_b32_e64 v25, v25, v37, s0
	s_delay_alu instid0(VALU_DEP_1)
	v_lshlrev_b32_e32 v25, 2, v25
	ds_bpermute_b32 v25, v25, v22
	ds_load_b32 v22, v23 offset:60
	s_and_saveexec_b32 s0, s2
	s_cbranch_execz .LBB953_206
; %bb.205:
	v_dual_mov_b32 v26, 0 :: v_dual_mov_b32 v23, 2
	s_wait_dscnt 0x0
	global_store_b64 v26, v[22:23], s[10:11] offset:256 scope:SCOPE_DEV
.LBB953_206:
	s_wait_xcnt 0x0
	s_or_b32 exec_lo, exec_lo, s0
	s_wait_dscnt 0x1
	v_cndmask_b32_e32 v23, v25, v24, vcc_lo
	s_wait_storecnt_dscnt 0x0
	s_barrier_signal -1
	s_barrier_wait -1
	s_delay_alu instid0(VALU_DEP_1) | instskip(NEXT) | instid1(VALU_DEP_1)
	v_cndmask_b32_e64 v41, v23, 0, s2
	v_dual_mov_b32 v24, 0 :: v_dual_add_nc_u32 v40, v41, v1
	s_delay_alu instid0(VALU_DEP_1) | instskip(NEXT) | instid1(VALU_DEP_1)
	v_add_nc_u32_e32 v29, v40, v21
	v_add_nc_u32_e32 v28, v29, v33
	s_delay_alu instid0(VALU_DEP_1) | instskip(NEXT) | instid1(VALU_DEP_1)
	v_add_nc_u32_e32 v27, v28, v34
	v_add_nc_u32_e32 v26, v27, v35
	s_delay_alu instid0(VALU_DEP_1)
	v_add_nc_u32_e32 v25, v26, v36
.LBB953_207:
	v_and_b32_e32 v1, 1, v16
	v_cmp_gt_u32_e32 vcc_lo, 0x201, v22
	s_mov_b32 s1, -1
	s_delay_alu instid0(VALU_DEP_2)
	v_cmp_eq_u32_e64 s0, 1, v1
	s_cbranch_vccnz .LBB953_211
; %bb.208:
	s_and_b32 vcc_lo, exec_lo, s1
	s_cbranch_vccnz .LBB953_226
.LBB953_209:
	s_and_b32 s0, s2, s16
	s_delay_alu instid0(SALU_CYCLE_1)
	s_and_saveexec_b32 s1, s0
	s_cbranch_execnz .LBB953_243
.LBB953_210:
	s_endpgm
.LBB953_211:
	v_add_nc_u32_e32 v16, v24, v22
	s_delay_alu instid0(VALU_DEP_1) | instskip(SKIP_1) | instid1(SALU_CYCLE_1)
	v_cmp_lt_u32_e32 vcc_lo, v41, v16
	s_or_b32 s1, s17, vcc_lo
	s_and_b32 s1, s1, s0
	s_delay_alu instid0(SALU_CYCLE_1)
	s_and_saveexec_b32 s0, s1
	s_cbranch_execz .LBB953_213
; %bb.212:
	s_lshl_b64 s[4:5], s[14:15], 3
	s_delay_alu instid0(SALU_CYCLE_1)
	s_add_nc_u64 s[4:5], s[20:21], s[4:5]
	global_store_b64 v41, v[10:11], s[4:5] scale_offset
.LBB953_213:
	s_wait_xcnt 0x0
	s_or_b32 exec_lo, exec_lo, s0
	v_and_b32_e32 v21, 1, v32
	v_cmp_lt_u32_e32 vcc_lo, v40, v16
	s_delay_alu instid0(VALU_DEP_2) | instskip(SKIP_1) | instid1(SALU_CYCLE_1)
	v_cmp_eq_u32_e64 s0, 1, v21
	s_or_b32 s1, s17, vcc_lo
	s_and_b32 s1, s1, s0
	s_delay_alu instid0(SALU_CYCLE_1)
	s_and_saveexec_b32 s0, s1
	s_cbranch_execz .LBB953_215
; %bb.214:
	s_lshl_b64 s[4:5], s[14:15], 3
	s_delay_alu instid0(SALU_CYCLE_1)
	s_add_nc_u64 s[4:5], s[20:21], s[4:5]
	global_store_b64 v40, v[12:13], s[4:5] scale_offset
.LBB953_215:
	s_wait_xcnt 0x0
	s_or_b32 exec_lo, exec_lo, s0
	v_and_b32_e32 v21, 1, v31
	v_cmp_lt_u32_e32 vcc_lo, v29, v16
	s_delay_alu instid0(VALU_DEP_2) | instskip(SKIP_1) | instid1(SALU_CYCLE_1)
	v_cmp_eq_u32_e64 s0, 1, v21
	;; [unrolled: 17-line block ×6, first 2 shown]
	s_or_b32 s1, s17, vcc_lo
	s_and_b32 s1, s1, s0
	s_delay_alu instid0(SALU_CYCLE_1)
	s_and_saveexec_b32 s0, s1
	s_cbranch_execz .LBB953_225
; %bb.224:
	s_lshl_b64 s[4:5], s[14:15], 3
	s_delay_alu instid0(SALU_CYCLE_1)
	s_add_nc_u64 s[4:5], s[20:21], s[4:5]
	global_store_b64 v25, v[14:15], s[4:5] scale_offset
.LBB953_225:
	s_wait_xcnt 0x0
	s_or_b32 exec_lo, exec_lo, s0
	s_branch .LBB953_209
.LBB953_226:
	s_mov_b32 s0, exec_lo
	v_cmpx_eq_u32_e32 1, v1
; %bb.227:
	v_sub_nc_u32_e32 v1, v41, v24
	s_delay_alu instid0(VALU_DEP_1)
	v_lshlrev_b32_e32 v1, 3, v1
	ds_store_b64 v1, v[10:11]
; %bb.228:
	s_or_b32 exec_lo, exec_lo, s0
	v_and_b32_e32 v1, 1, v32
	s_mov_b32 s0, exec_lo
	s_delay_alu instid0(VALU_DEP_1)
	v_cmpx_eq_u32_e32 1, v1
; %bb.229:
	v_sub_nc_u32_e32 v1, v40, v24
	s_delay_alu instid0(VALU_DEP_1)
	v_lshlrev_b32_e32 v1, 3, v1
	ds_store_b64 v1, v[12:13]
; %bb.230:
	s_or_b32 exec_lo, exec_lo, s0
	v_and_b32_e32 v1, 1, v31
	s_mov_b32 s0, exec_lo
	s_delay_alu instid0(VALU_DEP_1)
	;; [unrolled: 11-line block ×6, first 2 shown]
	v_cmpx_eq_u32_e32 1, v1
; %bb.239:
	v_sub_nc_u32_e32 v1, v25, v24
	s_delay_alu instid0(VALU_DEP_1)
	v_lshlrev_b32_e32 v1, 3, v1
	ds_store_b64 v1, v[14:15]
; %bb.240:
	s_or_b32 exec_lo, exec_lo, s0
	v_mov_b32_e32 v25, 0
	s_lshl_b64 s[0:1], s[14:15], 3
	s_wait_storecnt_dscnt 0x0
	s_barrier_signal -1
	s_barrier_wait -1
	v_lshlrev_b64_e32 v[2:3], 3, v[24:25]
	v_mov_b32_e32 v19, v25
	s_delay_alu instid0(VALU_DEP_2) | instskip(SKIP_1) | instid1(VALU_DEP_1)
	v_add_nc_u64_e32 v[2:3], s[0:1], v[2:3]
	s_mov_b32 s0, 0
	v_add_nc_u64_e32 v[2:3], s[20:21], v[2:3]
	s_delay_alu instid0(VALU_DEP_1)
	v_add_nc_u64_e32 v[2:3], v[2:3], v[18:19]
.LBB953_241:                            ; =>This Inner Loop Header: Depth=1
	ds_load_b64 v[4:5], v18
	v_add_nc_u32_e32 v0, 0x200, v0
	v_add_nc_u32_e32 v18, 0x1000, v18
	s_delay_alu instid0(VALU_DEP_2)
	v_cmp_ge_u32_e32 vcc_lo, v0, v22
	s_or_b32 s0, vcc_lo, s0
	s_wait_dscnt 0x0
	global_store_b64 v[2:3], v[4:5], off
	s_wait_xcnt 0x0
	v_add_nc_u64_e32 v[2:3], 0x1000, v[2:3]
	s_and_not1_b32 exec_lo, exec_lo, s0
	s_cbranch_execnz .LBB953_241
; %bb.242:
	s_or_b32 exec_lo, exec_lo, s0
	s_and_b32 s0, s2, s16
	s_delay_alu instid0(SALU_CYCLE_1)
	s_and_saveexec_b32 s1, s0
	s_cbranch_execz .LBB953_210
.LBB953_243:
	v_mov_b32_e32 v23, 0
	s_delay_alu instid0(VALU_DEP_1) | instskip(SKIP_1) | instid1(VALU_DEP_1)
	v_add_nc_u64_e32 v[0:1], s[14:15], v[22:23]
	v_mov_b32_e32 v25, v23
	v_add_nc_u64_e32 v[0:1], v[0:1], v[24:25]
	global_store_b64 v23, v[0:1], s[12:13]
	s_endpgm
	.section	.rodata,"a",@progbits
	.p2align	6, 0x0
	.amdhsa_kernel _ZN7rocprim17ROCPRIM_400000_NS6detail17trampoline_kernelINS0_14default_configENS1_25partition_config_selectorILNS1_17partition_subalgoE8ElNS0_10empty_typeEbEEZZNS1_14partition_implILS5_8ELb0ES3_jPlPS6_PKS6_NS0_5tupleIJS9_S6_EEENSD_IJSA_SA_EEENS0_18inequality_wrapperIZN2at6native12_GLOBAL__N_124unique_dim_cuda_templateIfEESt5tupleIJNSH_6TensorESM_SM_EERKSM_lbbbEUlllE0_EEPmJS6_EEE10hipError_tPvRmT3_T4_T5_T6_T7_T9_mT8_P12ihipStream_tbDpT10_ENKUlT_T0_E_clISt17integral_constantIbLb0EES1B_IbLb1EEEEDaS17_S18_EUlS17_E_NS1_11comp_targetILNS1_3genE0ELNS1_11target_archE4294967295ELNS1_3gpuE0ELNS1_3repE0EEENS1_30default_config_static_selectorELNS0_4arch9wavefront6targetE0EEEvT1_
		.amdhsa_group_segment_fixed_size 28680
		.amdhsa_private_segment_fixed_size 0
		.amdhsa_kernarg_size 136
		.amdhsa_user_sgpr_count 2
		.amdhsa_user_sgpr_dispatch_ptr 0
		.amdhsa_user_sgpr_queue_ptr 0
		.amdhsa_user_sgpr_kernarg_segment_ptr 1
		.amdhsa_user_sgpr_dispatch_id 0
		.amdhsa_user_sgpr_kernarg_preload_length 0
		.amdhsa_user_sgpr_kernarg_preload_offset 0
		.amdhsa_user_sgpr_private_segment_size 0
		.amdhsa_wavefront_size32 1
		.amdhsa_uses_dynamic_stack 0
		.amdhsa_enable_private_segment 0
		.amdhsa_system_sgpr_workgroup_id_x 1
		.amdhsa_system_sgpr_workgroup_id_y 0
		.amdhsa_system_sgpr_workgroup_id_z 0
		.amdhsa_system_sgpr_workgroup_info 0
		.amdhsa_system_vgpr_workitem_id 0
		.amdhsa_next_free_vgpr 53
		.amdhsa_next_free_sgpr 36
		.amdhsa_named_barrier_count 0
		.amdhsa_reserve_vcc 1
		.amdhsa_float_round_mode_32 0
		.amdhsa_float_round_mode_16_64 0
		.amdhsa_float_denorm_mode_32 3
		.amdhsa_float_denorm_mode_16_64 3
		.amdhsa_fp16_overflow 0
		.amdhsa_memory_ordered 1
		.amdhsa_forward_progress 1
		.amdhsa_inst_pref_size 83
		.amdhsa_round_robin_scheduling 0
		.amdhsa_exception_fp_ieee_invalid_op 0
		.amdhsa_exception_fp_denorm_src 0
		.amdhsa_exception_fp_ieee_div_zero 0
		.amdhsa_exception_fp_ieee_overflow 0
		.amdhsa_exception_fp_ieee_underflow 0
		.amdhsa_exception_fp_ieee_inexact 0
		.amdhsa_exception_int_div_zero 0
	.end_amdhsa_kernel
	.section	.text._ZN7rocprim17ROCPRIM_400000_NS6detail17trampoline_kernelINS0_14default_configENS1_25partition_config_selectorILNS1_17partition_subalgoE8ElNS0_10empty_typeEbEEZZNS1_14partition_implILS5_8ELb0ES3_jPlPS6_PKS6_NS0_5tupleIJS9_S6_EEENSD_IJSA_SA_EEENS0_18inequality_wrapperIZN2at6native12_GLOBAL__N_124unique_dim_cuda_templateIfEESt5tupleIJNSH_6TensorESM_SM_EERKSM_lbbbEUlllE0_EEPmJS6_EEE10hipError_tPvRmT3_T4_T5_T6_T7_T9_mT8_P12ihipStream_tbDpT10_ENKUlT_T0_E_clISt17integral_constantIbLb0EES1B_IbLb1EEEEDaS17_S18_EUlS17_E_NS1_11comp_targetILNS1_3genE0ELNS1_11target_archE4294967295ELNS1_3gpuE0ELNS1_3repE0EEENS1_30default_config_static_selectorELNS0_4arch9wavefront6targetE0EEEvT1_,"axG",@progbits,_ZN7rocprim17ROCPRIM_400000_NS6detail17trampoline_kernelINS0_14default_configENS1_25partition_config_selectorILNS1_17partition_subalgoE8ElNS0_10empty_typeEbEEZZNS1_14partition_implILS5_8ELb0ES3_jPlPS6_PKS6_NS0_5tupleIJS9_S6_EEENSD_IJSA_SA_EEENS0_18inequality_wrapperIZN2at6native12_GLOBAL__N_124unique_dim_cuda_templateIfEESt5tupleIJNSH_6TensorESM_SM_EERKSM_lbbbEUlllE0_EEPmJS6_EEE10hipError_tPvRmT3_T4_T5_T6_T7_T9_mT8_P12ihipStream_tbDpT10_ENKUlT_T0_E_clISt17integral_constantIbLb0EES1B_IbLb1EEEEDaS17_S18_EUlS17_E_NS1_11comp_targetILNS1_3genE0ELNS1_11target_archE4294967295ELNS1_3gpuE0ELNS1_3repE0EEENS1_30default_config_static_selectorELNS0_4arch9wavefront6targetE0EEEvT1_,comdat
.Lfunc_end953:
	.size	_ZN7rocprim17ROCPRIM_400000_NS6detail17trampoline_kernelINS0_14default_configENS1_25partition_config_selectorILNS1_17partition_subalgoE8ElNS0_10empty_typeEbEEZZNS1_14partition_implILS5_8ELb0ES3_jPlPS6_PKS6_NS0_5tupleIJS9_S6_EEENSD_IJSA_SA_EEENS0_18inequality_wrapperIZN2at6native12_GLOBAL__N_124unique_dim_cuda_templateIfEESt5tupleIJNSH_6TensorESM_SM_EERKSM_lbbbEUlllE0_EEPmJS6_EEE10hipError_tPvRmT3_T4_T5_T6_T7_T9_mT8_P12ihipStream_tbDpT10_ENKUlT_T0_E_clISt17integral_constantIbLb0EES1B_IbLb1EEEEDaS17_S18_EUlS17_E_NS1_11comp_targetILNS1_3genE0ELNS1_11target_archE4294967295ELNS1_3gpuE0ELNS1_3repE0EEENS1_30default_config_static_selectorELNS0_4arch9wavefront6targetE0EEEvT1_, .Lfunc_end953-_ZN7rocprim17ROCPRIM_400000_NS6detail17trampoline_kernelINS0_14default_configENS1_25partition_config_selectorILNS1_17partition_subalgoE8ElNS0_10empty_typeEbEEZZNS1_14partition_implILS5_8ELb0ES3_jPlPS6_PKS6_NS0_5tupleIJS9_S6_EEENSD_IJSA_SA_EEENS0_18inequality_wrapperIZN2at6native12_GLOBAL__N_124unique_dim_cuda_templateIfEESt5tupleIJNSH_6TensorESM_SM_EERKSM_lbbbEUlllE0_EEPmJS6_EEE10hipError_tPvRmT3_T4_T5_T6_T7_T9_mT8_P12ihipStream_tbDpT10_ENKUlT_T0_E_clISt17integral_constantIbLb0EES1B_IbLb1EEEEDaS17_S18_EUlS17_E_NS1_11comp_targetILNS1_3genE0ELNS1_11target_archE4294967295ELNS1_3gpuE0ELNS1_3repE0EEENS1_30default_config_static_selectorELNS0_4arch9wavefront6targetE0EEEvT1_
                                        ; -- End function
	.set _ZN7rocprim17ROCPRIM_400000_NS6detail17trampoline_kernelINS0_14default_configENS1_25partition_config_selectorILNS1_17partition_subalgoE8ElNS0_10empty_typeEbEEZZNS1_14partition_implILS5_8ELb0ES3_jPlPS6_PKS6_NS0_5tupleIJS9_S6_EEENSD_IJSA_SA_EEENS0_18inequality_wrapperIZN2at6native12_GLOBAL__N_124unique_dim_cuda_templateIfEESt5tupleIJNSH_6TensorESM_SM_EERKSM_lbbbEUlllE0_EEPmJS6_EEE10hipError_tPvRmT3_T4_T5_T6_T7_T9_mT8_P12ihipStream_tbDpT10_ENKUlT_T0_E_clISt17integral_constantIbLb0EES1B_IbLb1EEEEDaS17_S18_EUlS17_E_NS1_11comp_targetILNS1_3genE0ELNS1_11target_archE4294967295ELNS1_3gpuE0ELNS1_3repE0EEENS1_30default_config_static_selectorELNS0_4arch9wavefront6targetE0EEEvT1_.num_vgpr, 53
	.set _ZN7rocprim17ROCPRIM_400000_NS6detail17trampoline_kernelINS0_14default_configENS1_25partition_config_selectorILNS1_17partition_subalgoE8ElNS0_10empty_typeEbEEZZNS1_14partition_implILS5_8ELb0ES3_jPlPS6_PKS6_NS0_5tupleIJS9_S6_EEENSD_IJSA_SA_EEENS0_18inequality_wrapperIZN2at6native12_GLOBAL__N_124unique_dim_cuda_templateIfEESt5tupleIJNSH_6TensorESM_SM_EERKSM_lbbbEUlllE0_EEPmJS6_EEE10hipError_tPvRmT3_T4_T5_T6_T7_T9_mT8_P12ihipStream_tbDpT10_ENKUlT_T0_E_clISt17integral_constantIbLb0EES1B_IbLb1EEEEDaS17_S18_EUlS17_E_NS1_11comp_targetILNS1_3genE0ELNS1_11target_archE4294967295ELNS1_3gpuE0ELNS1_3repE0EEENS1_30default_config_static_selectorELNS0_4arch9wavefront6targetE0EEEvT1_.num_agpr, 0
	.set _ZN7rocprim17ROCPRIM_400000_NS6detail17trampoline_kernelINS0_14default_configENS1_25partition_config_selectorILNS1_17partition_subalgoE8ElNS0_10empty_typeEbEEZZNS1_14partition_implILS5_8ELb0ES3_jPlPS6_PKS6_NS0_5tupleIJS9_S6_EEENSD_IJSA_SA_EEENS0_18inequality_wrapperIZN2at6native12_GLOBAL__N_124unique_dim_cuda_templateIfEESt5tupleIJNSH_6TensorESM_SM_EERKSM_lbbbEUlllE0_EEPmJS6_EEE10hipError_tPvRmT3_T4_T5_T6_T7_T9_mT8_P12ihipStream_tbDpT10_ENKUlT_T0_E_clISt17integral_constantIbLb0EES1B_IbLb1EEEEDaS17_S18_EUlS17_E_NS1_11comp_targetILNS1_3genE0ELNS1_11target_archE4294967295ELNS1_3gpuE0ELNS1_3repE0EEENS1_30default_config_static_selectorELNS0_4arch9wavefront6targetE0EEEvT1_.numbered_sgpr, 36
	.set _ZN7rocprim17ROCPRIM_400000_NS6detail17trampoline_kernelINS0_14default_configENS1_25partition_config_selectorILNS1_17partition_subalgoE8ElNS0_10empty_typeEbEEZZNS1_14partition_implILS5_8ELb0ES3_jPlPS6_PKS6_NS0_5tupleIJS9_S6_EEENSD_IJSA_SA_EEENS0_18inequality_wrapperIZN2at6native12_GLOBAL__N_124unique_dim_cuda_templateIfEESt5tupleIJNSH_6TensorESM_SM_EERKSM_lbbbEUlllE0_EEPmJS6_EEE10hipError_tPvRmT3_T4_T5_T6_T7_T9_mT8_P12ihipStream_tbDpT10_ENKUlT_T0_E_clISt17integral_constantIbLb0EES1B_IbLb1EEEEDaS17_S18_EUlS17_E_NS1_11comp_targetILNS1_3genE0ELNS1_11target_archE4294967295ELNS1_3gpuE0ELNS1_3repE0EEENS1_30default_config_static_selectorELNS0_4arch9wavefront6targetE0EEEvT1_.num_named_barrier, 0
	.set _ZN7rocprim17ROCPRIM_400000_NS6detail17trampoline_kernelINS0_14default_configENS1_25partition_config_selectorILNS1_17partition_subalgoE8ElNS0_10empty_typeEbEEZZNS1_14partition_implILS5_8ELb0ES3_jPlPS6_PKS6_NS0_5tupleIJS9_S6_EEENSD_IJSA_SA_EEENS0_18inequality_wrapperIZN2at6native12_GLOBAL__N_124unique_dim_cuda_templateIfEESt5tupleIJNSH_6TensorESM_SM_EERKSM_lbbbEUlllE0_EEPmJS6_EEE10hipError_tPvRmT3_T4_T5_T6_T7_T9_mT8_P12ihipStream_tbDpT10_ENKUlT_T0_E_clISt17integral_constantIbLb0EES1B_IbLb1EEEEDaS17_S18_EUlS17_E_NS1_11comp_targetILNS1_3genE0ELNS1_11target_archE4294967295ELNS1_3gpuE0ELNS1_3repE0EEENS1_30default_config_static_selectorELNS0_4arch9wavefront6targetE0EEEvT1_.private_seg_size, 0
	.set _ZN7rocprim17ROCPRIM_400000_NS6detail17trampoline_kernelINS0_14default_configENS1_25partition_config_selectorILNS1_17partition_subalgoE8ElNS0_10empty_typeEbEEZZNS1_14partition_implILS5_8ELb0ES3_jPlPS6_PKS6_NS0_5tupleIJS9_S6_EEENSD_IJSA_SA_EEENS0_18inequality_wrapperIZN2at6native12_GLOBAL__N_124unique_dim_cuda_templateIfEESt5tupleIJNSH_6TensorESM_SM_EERKSM_lbbbEUlllE0_EEPmJS6_EEE10hipError_tPvRmT3_T4_T5_T6_T7_T9_mT8_P12ihipStream_tbDpT10_ENKUlT_T0_E_clISt17integral_constantIbLb0EES1B_IbLb1EEEEDaS17_S18_EUlS17_E_NS1_11comp_targetILNS1_3genE0ELNS1_11target_archE4294967295ELNS1_3gpuE0ELNS1_3repE0EEENS1_30default_config_static_selectorELNS0_4arch9wavefront6targetE0EEEvT1_.uses_vcc, 1
	.set _ZN7rocprim17ROCPRIM_400000_NS6detail17trampoline_kernelINS0_14default_configENS1_25partition_config_selectorILNS1_17partition_subalgoE8ElNS0_10empty_typeEbEEZZNS1_14partition_implILS5_8ELb0ES3_jPlPS6_PKS6_NS0_5tupleIJS9_S6_EEENSD_IJSA_SA_EEENS0_18inequality_wrapperIZN2at6native12_GLOBAL__N_124unique_dim_cuda_templateIfEESt5tupleIJNSH_6TensorESM_SM_EERKSM_lbbbEUlllE0_EEPmJS6_EEE10hipError_tPvRmT3_T4_T5_T6_T7_T9_mT8_P12ihipStream_tbDpT10_ENKUlT_T0_E_clISt17integral_constantIbLb0EES1B_IbLb1EEEEDaS17_S18_EUlS17_E_NS1_11comp_targetILNS1_3genE0ELNS1_11target_archE4294967295ELNS1_3gpuE0ELNS1_3repE0EEENS1_30default_config_static_selectorELNS0_4arch9wavefront6targetE0EEEvT1_.uses_flat_scratch, 0
	.set _ZN7rocprim17ROCPRIM_400000_NS6detail17trampoline_kernelINS0_14default_configENS1_25partition_config_selectorILNS1_17partition_subalgoE8ElNS0_10empty_typeEbEEZZNS1_14partition_implILS5_8ELb0ES3_jPlPS6_PKS6_NS0_5tupleIJS9_S6_EEENSD_IJSA_SA_EEENS0_18inequality_wrapperIZN2at6native12_GLOBAL__N_124unique_dim_cuda_templateIfEESt5tupleIJNSH_6TensorESM_SM_EERKSM_lbbbEUlllE0_EEPmJS6_EEE10hipError_tPvRmT3_T4_T5_T6_T7_T9_mT8_P12ihipStream_tbDpT10_ENKUlT_T0_E_clISt17integral_constantIbLb0EES1B_IbLb1EEEEDaS17_S18_EUlS17_E_NS1_11comp_targetILNS1_3genE0ELNS1_11target_archE4294967295ELNS1_3gpuE0ELNS1_3repE0EEENS1_30default_config_static_selectorELNS0_4arch9wavefront6targetE0EEEvT1_.has_dyn_sized_stack, 0
	.set _ZN7rocprim17ROCPRIM_400000_NS6detail17trampoline_kernelINS0_14default_configENS1_25partition_config_selectorILNS1_17partition_subalgoE8ElNS0_10empty_typeEbEEZZNS1_14partition_implILS5_8ELb0ES3_jPlPS6_PKS6_NS0_5tupleIJS9_S6_EEENSD_IJSA_SA_EEENS0_18inequality_wrapperIZN2at6native12_GLOBAL__N_124unique_dim_cuda_templateIfEESt5tupleIJNSH_6TensorESM_SM_EERKSM_lbbbEUlllE0_EEPmJS6_EEE10hipError_tPvRmT3_T4_T5_T6_T7_T9_mT8_P12ihipStream_tbDpT10_ENKUlT_T0_E_clISt17integral_constantIbLb0EES1B_IbLb1EEEEDaS17_S18_EUlS17_E_NS1_11comp_targetILNS1_3genE0ELNS1_11target_archE4294967295ELNS1_3gpuE0ELNS1_3repE0EEENS1_30default_config_static_selectorELNS0_4arch9wavefront6targetE0EEEvT1_.has_recursion, 0
	.set _ZN7rocprim17ROCPRIM_400000_NS6detail17trampoline_kernelINS0_14default_configENS1_25partition_config_selectorILNS1_17partition_subalgoE8ElNS0_10empty_typeEbEEZZNS1_14partition_implILS5_8ELb0ES3_jPlPS6_PKS6_NS0_5tupleIJS9_S6_EEENSD_IJSA_SA_EEENS0_18inequality_wrapperIZN2at6native12_GLOBAL__N_124unique_dim_cuda_templateIfEESt5tupleIJNSH_6TensorESM_SM_EERKSM_lbbbEUlllE0_EEPmJS6_EEE10hipError_tPvRmT3_T4_T5_T6_T7_T9_mT8_P12ihipStream_tbDpT10_ENKUlT_T0_E_clISt17integral_constantIbLb0EES1B_IbLb1EEEEDaS17_S18_EUlS17_E_NS1_11comp_targetILNS1_3genE0ELNS1_11target_archE4294967295ELNS1_3gpuE0ELNS1_3repE0EEENS1_30default_config_static_selectorELNS0_4arch9wavefront6targetE0EEEvT1_.has_indirect_call, 0
	.section	.AMDGPU.csdata,"",@progbits
; Kernel info:
; codeLenInByte = 10604
; TotalNumSgprs: 38
; NumVgprs: 53
; ScratchSize: 0
; MemoryBound: 0
; FloatMode: 240
; IeeeMode: 1
; LDSByteSize: 28680 bytes/workgroup (compile time only)
; SGPRBlocks: 0
; VGPRBlocks: 3
; NumSGPRsForWavesPerEU: 38
; NumVGPRsForWavesPerEU: 53
; NamedBarCnt: 0
; Occupancy: 16
; WaveLimiterHint : 1
; COMPUTE_PGM_RSRC2:SCRATCH_EN: 0
; COMPUTE_PGM_RSRC2:USER_SGPR: 2
; COMPUTE_PGM_RSRC2:TRAP_HANDLER: 0
; COMPUTE_PGM_RSRC2:TGID_X_EN: 1
; COMPUTE_PGM_RSRC2:TGID_Y_EN: 0
; COMPUTE_PGM_RSRC2:TGID_Z_EN: 0
; COMPUTE_PGM_RSRC2:TIDIG_COMP_CNT: 0
	.section	.text._ZN7rocprim17ROCPRIM_400000_NS6detail17trampoline_kernelINS0_14default_configENS1_25partition_config_selectorILNS1_17partition_subalgoE8ElNS0_10empty_typeEbEEZZNS1_14partition_implILS5_8ELb0ES3_jPlPS6_PKS6_NS0_5tupleIJS9_S6_EEENSD_IJSA_SA_EEENS0_18inequality_wrapperIZN2at6native12_GLOBAL__N_124unique_dim_cuda_templateIfEESt5tupleIJNSH_6TensorESM_SM_EERKSM_lbbbEUlllE0_EEPmJS6_EEE10hipError_tPvRmT3_T4_T5_T6_T7_T9_mT8_P12ihipStream_tbDpT10_ENKUlT_T0_E_clISt17integral_constantIbLb0EES1B_IbLb1EEEEDaS17_S18_EUlS17_E_NS1_11comp_targetILNS1_3genE5ELNS1_11target_archE942ELNS1_3gpuE9ELNS1_3repE0EEENS1_30default_config_static_selectorELNS0_4arch9wavefront6targetE0EEEvT1_,"axG",@progbits,_ZN7rocprim17ROCPRIM_400000_NS6detail17trampoline_kernelINS0_14default_configENS1_25partition_config_selectorILNS1_17partition_subalgoE8ElNS0_10empty_typeEbEEZZNS1_14partition_implILS5_8ELb0ES3_jPlPS6_PKS6_NS0_5tupleIJS9_S6_EEENSD_IJSA_SA_EEENS0_18inequality_wrapperIZN2at6native12_GLOBAL__N_124unique_dim_cuda_templateIfEESt5tupleIJNSH_6TensorESM_SM_EERKSM_lbbbEUlllE0_EEPmJS6_EEE10hipError_tPvRmT3_T4_T5_T6_T7_T9_mT8_P12ihipStream_tbDpT10_ENKUlT_T0_E_clISt17integral_constantIbLb0EES1B_IbLb1EEEEDaS17_S18_EUlS17_E_NS1_11comp_targetILNS1_3genE5ELNS1_11target_archE942ELNS1_3gpuE9ELNS1_3repE0EEENS1_30default_config_static_selectorELNS0_4arch9wavefront6targetE0EEEvT1_,comdat
	.globl	_ZN7rocprim17ROCPRIM_400000_NS6detail17trampoline_kernelINS0_14default_configENS1_25partition_config_selectorILNS1_17partition_subalgoE8ElNS0_10empty_typeEbEEZZNS1_14partition_implILS5_8ELb0ES3_jPlPS6_PKS6_NS0_5tupleIJS9_S6_EEENSD_IJSA_SA_EEENS0_18inequality_wrapperIZN2at6native12_GLOBAL__N_124unique_dim_cuda_templateIfEESt5tupleIJNSH_6TensorESM_SM_EERKSM_lbbbEUlllE0_EEPmJS6_EEE10hipError_tPvRmT3_T4_T5_T6_T7_T9_mT8_P12ihipStream_tbDpT10_ENKUlT_T0_E_clISt17integral_constantIbLb0EES1B_IbLb1EEEEDaS17_S18_EUlS17_E_NS1_11comp_targetILNS1_3genE5ELNS1_11target_archE942ELNS1_3gpuE9ELNS1_3repE0EEENS1_30default_config_static_selectorELNS0_4arch9wavefront6targetE0EEEvT1_ ; -- Begin function _ZN7rocprim17ROCPRIM_400000_NS6detail17trampoline_kernelINS0_14default_configENS1_25partition_config_selectorILNS1_17partition_subalgoE8ElNS0_10empty_typeEbEEZZNS1_14partition_implILS5_8ELb0ES3_jPlPS6_PKS6_NS0_5tupleIJS9_S6_EEENSD_IJSA_SA_EEENS0_18inequality_wrapperIZN2at6native12_GLOBAL__N_124unique_dim_cuda_templateIfEESt5tupleIJNSH_6TensorESM_SM_EERKSM_lbbbEUlllE0_EEPmJS6_EEE10hipError_tPvRmT3_T4_T5_T6_T7_T9_mT8_P12ihipStream_tbDpT10_ENKUlT_T0_E_clISt17integral_constantIbLb0EES1B_IbLb1EEEEDaS17_S18_EUlS17_E_NS1_11comp_targetILNS1_3genE5ELNS1_11target_archE942ELNS1_3gpuE9ELNS1_3repE0EEENS1_30default_config_static_selectorELNS0_4arch9wavefront6targetE0EEEvT1_
	.p2align	8
	.type	_ZN7rocprim17ROCPRIM_400000_NS6detail17trampoline_kernelINS0_14default_configENS1_25partition_config_selectorILNS1_17partition_subalgoE8ElNS0_10empty_typeEbEEZZNS1_14partition_implILS5_8ELb0ES3_jPlPS6_PKS6_NS0_5tupleIJS9_S6_EEENSD_IJSA_SA_EEENS0_18inequality_wrapperIZN2at6native12_GLOBAL__N_124unique_dim_cuda_templateIfEESt5tupleIJNSH_6TensorESM_SM_EERKSM_lbbbEUlllE0_EEPmJS6_EEE10hipError_tPvRmT3_T4_T5_T6_T7_T9_mT8_P12ihipStream_tbDpT10_ENKUlT_T0_E_clISt17integral_constantIbLb0EES1B_IbLb1EEEEDaS17_S18_EUlS17_E_NS1_11comp_targetILNS1_3genE5ELNS1_11target_archE942ELNS1_3gpuE9ELNS1_3repE0EEENS1_30default_config_static_selectorELNS0_4arch9wavefront6targetE0EEEvT1_,@function
_ZN7rocprim17ROCPRIM_400000_NS6detail17trampoline_kernelINS0_14default_configENS1_25partition_config_selectorILNS1_17partition_subalgoE8ElNS0_10empty_typeEbEEZZNS1_14partition_implILS5_8ELb0ES3_jPlPS6_PKS6_NS0_5tupleIJS9_S6_EEENSD_IJSA_SA_EEENS0_18inequality_wrapperIZN2at6native12_GLOBAL__N_124unique_dim_cuda_templateIfEESt5tupleIJNSH_6TensorESM_SM_EERKSM_lbbbEUlllE0_EEPmJS6_EEE10hipError_tPvRmT3_T4_T5_T6_T7_T9_mT8_P12ihipStream_tbDpT10_ENKUlT_T0_E_clISt17integral_constantIbLb0EES1B_IbLb1EEEEDaS17_S18_EUlS17_E_NS1_11comp_targetILNS1_3genE5ELNS1_11target_archE942ELNS1_3gpuE9ELNS1_3repE0EEENS1_30default_config_static_selectorELNS0_4arch9wavefront6targetE0EEEvT1_: ; @_ZN7rocprim17ROCPRIM_400000_NS6detail17trampoline_kernelINS0_14default_configENS1_25partition_config_selectorILNS1_17partition_subalgoE8ElNS0_10empty_typeEbEEZZNS1_14partition_implILS5_8ELb0ES3_jPlPS6_PKS6_NS0_5tupleIJS9_S6_EEENSD_IJSA_SA_EEENS0_18inequality_wrapperIZN2at6native12_GLOBAL__N_124unique_dim_cuda_templateIfEESt5tupleIJNSH_6TensorESM_SM_EERKSM_lbbbEUlllE0_EEPmJS6_EEE10hipError_tPvRmT3_T4_T5_T6_T7_T9_mT8_P12ihipStream_tbDpT10_ENKUlT_T0_E_clISt17integral_constantIbLb0EES1B_IbLb1EEEEDaS17_S18_EUlS17_E_NS1_11comp_targetILNS1_3genE5ELNS1_11target_archE942ELNS1_3gpuE9ELNS1_3repE0EEENS1_30default_config_static_selectorELNS0_4arch9wavefront6targetE0EEEvT1_
; %bb.0:
	.section	.rodata,"a",@progbits
	.p2align	6, 0x0
	.amdhsa_kernel _ZN7rocprim17ROCPRIM_400000_NS6detail17trampoline_kernelINS0_14default_configENS1_25partition_config_selectorILNS1_17partition_subalgoE8ElNS0_10empty_typeEbEEZZNS1_14partition_implILS5_8ELb0ES3_jPlPS6_PKS6_NS0_5tupleIJS9_S6_EEENSD_IJSA_SA_EEENS0_18inequality_wrapperIZN2at6native12_GLOBAL__N_124unique_dim_cuda_templateIfEESt5tupleIJNSH_6TensorESM_SM_EERKSM_lbbbEUlllE0_EEPmJS6_EEE10hipError_tPvRmT3_T4_T5_T6_T7_T9_mT8_P12ihipStream_tbDpT10_ENKUlT_T0_E_clISt17integral_constantIbLb0EES1B_IbLb1EEEEDaS17_S18_EUlS17_E_NS1_11comp_targetILNS1_3genE5ELNS1_11target_archE942ELNS1_3gpuE9ELNS1_3repE0EEENS1_30default_config_static_selectorELNS0_4arch9wavefront6targetE0EEEvT1_
		.amdhsa_group_segment_fixed_size 0
		.amdhsa_private_segment_fixed_size 0
		.amdhsa_kernarg_size 136
		.amdhsa_user_sgpr_count 2
		.amdhsa_user_sgpr_dispatch_ptr 0
		.amdhsa_user_sgpr_queue_ptr 0
		.amdhsa_user_sgpr_kernarg_segment_ptr 1
		.amdhsa_user_sgpr_dispatch_id 0
		.amdhsa_user_sgpr_kernarg_preload_length 0
		.amdhsa_user_sgpr_kernarg_preload_offset 0
		.amdhsa_user_sgpr_private_segment_size 0
		.amdhsa_wavefront_size32 1
		.amdhsa_uses_dynamic_stack 0
		.amdhsa_enable_private_segment 0
		.amdhsa_system_sgpr_workgroup_id_x 1
		.amdhsa_system_sgpr_workgroup_id_y 0
		.amdhsa_system_sgpr_workgroup_id_z 0
		.amdhsa_system_sgpr_workgroup_info 0
		.amdhsa_system_vgpr_workitem_id 0
		.amdhsa_next_free_vgpr 1
		.amdhsa_next_free_sgpr 1
		.amdhsa_named_barrier_count 0
		.amdhsa_reserve_vcc 0
		.amdhsa_float_round_mode_32 0
		.amdhsa_float_round_mode_16_64 0
		.amdhsa_float_denorm_mode_32 3
		.amdhsa_float_denorm_mode_16_64 3
		.amdhsa_fp16_overflow 0
		.amdhsa_memory_ordered 1
		.amdhsa_forward_progress 1
		.amdhsa_inst_pref_size 0
		.amdhsa_round_robin_scheduling 0
		.amdhsa_exception_fp_ieee_invalid_op 0
		.amdhsa_exception_fp_denorm_src 0
		.amdhsa_exception_fp_ieee_div_zero 0
		.amdhsa_exception_fp_ieee_overflow 0
		.amdhsa_exception_fp_ieee_underflow 0
		.amdhsa_exception_fp_ieee_inexact 0
		.amdhsa_exception_int_div_zero 0
	.end_amdhsa_kernel
	.section	.text._ZN7rocprim17ROCPRIM_400000_NS6detail17trampoline_kernelINS0_14default_configENS1_25partition_config_selectorILNS1_17partition_subalgoE8ElNS0_10empty_typeEbEEZZNS1_14partition_implILS5_8ELb0ES3_jPlPS6_PKS6_NS0_5tupleIJS9_S6_EEENSD_IJSA_SA_EEENS0_18inequality_wrapperIZN2at6native12_GLOBAL__N_124unique_dim_cuda_templateIfEESt5tupleIJNSH_6TensorESM_SM_EERKSM_lbbbEUlllE0_EEPmJS6_EEE10hipError_tPvRmT3_T4_T5_T6_T7_T9_mT8_P12ihipStream_tbDpT10_ENKUlT_T0_E_clISt17integral_constantIbLb0EES1B_IbLb1EEEEDaS17_S18_EUlS17_E_NS1_11comp_targetILNS1_3genE5ELNS1_11target_archE942ELNS1_3gpuE9ELNS1_3repE0EEENS1_30default_config_static_selectorELNS0_4arch9wavefront6targetE0EEEvT1_,"axG",@progbits,_ZN7rocprim17ROCPRIM_400000_NS6detail17trampoline_kernelINS0_14default_configENS1_25partition_config_selectorILNS1_17partition_subalgoE8ElNS0_10empty_typeEbEEZZNS1_14partition_implILS5_8ELb0ES3_jPlPS6_PKS6_NS0_5tupleIJS9_S6_EEENSD_IJSA_SA_EEENS0_18inequality_wrapperIZN2at6native12_GLOBAL__N_124unique_dim_cuda_templateIfEESt5tupleIJNSH_6TensorESM_SM_EERKSM_lbbbEUlllE0_EEPmJS6_EEE10hipError_tPvRmT3_T4_T5_T6_T7_T9_mT8_P12ihipStream_tbDpT10_ENKUlT_T0_E_clISt17integral_constantIbLb0EES1B_IbLb1EEEEDaS17_S18_EUlS17_E_NS1_11comp_targetILNS1_3genE5ELNS1_11target_archE942ELNS1_3gpuE9ELNS1_3repE0EEENS1_30default_config_static_selectorELNS0_4arch9wavefront6targetE0EEEvT1_,comdat
.Lfunc_end954:
	.size	_ZN7rocprim17ROCPRIM_400000_NS6detail17trampoline_kernelINS0_14default_configENS1_25partition_config_selectorILNS1_17partition_subalgoE8ElNS0_10empty_typeEbEEZZNS1_14partition_implILS5_8ELb0ES3_jPlPS6_PKS6_NS0_5tupleIJS9_S6_EEENSD_IJSA_SA_EEENS0_18inequality_wrapperIZN2at6native12_GLOBAL__N_124unique_dim_cuda_templateIfEESt5tupleIJNSH_6TensorESM_SM_EERKSM_lbbbEUlllE0_EEPmJS6_EEE10hipError_tPvRmT3_T4_T5_T6_T7_T9_mT8_P12ihipStream_tbDpT10_ENKUlT_T0_E_clISt17integral_constantIbLb0EES1B_IbLb1EEEEDaS17_S18_EUlS17_E_NS1_11comp_targetILNS1_3genE5ELNS1_11target_archE942ELNS1_3gpuE9ELNS1_3repE0EEENS1_30default_config_static_selectorELNS0_4arch9wavefront6targetE0EEEvT1_, .Lfunc_end954-_ZN7rocprim17ROCPRIM_400000_NS6detail17trampoline_kernelINS0_14default_configENS1_25partition_config_selectorILNS1_17partition_subalgoE8ElNS0_10empty_typeEbEEZZNS1_14partition_implILS5_8ELb0ES3_jPlPS6_PKS6_NS0_5tupleIJS9_S6_EEENSD_IJSA_SA_EEENS0_18inequality_wrapperIZN2at6native12_GLOBAL__N_124unique_dim_cuda_templateIfEESt5tupleIJNSH_6TensorESM_SM_EERKSM_lbbbEUlllE0_EEPmJS6_EEE10hipError_tPvRmT3_T4_T5_T6_T7_T9_mT8_P12ihipStream_tbDpT10_ENKUlT_T0_E_clISt17integral_constantIbLb0EES1B_IbLb1EEEEDaS17_S18_EUlS17_E_NS1_11comp_targetILNS1_3genE5ELNS1_11target_archE942ELNS1_3gpuE9ELNS1_3repE0EEENS1_30default_config_static_selectorELNS0_4arch9wavefront6targetE0EEEvT1_
                                        ; -- End function
	.set _ZN7rocprim17ROCPRIM_400000_NS6detail17trampoline_kernelINS0_14default_configENS1_25partition_config_selectorILNS1_17partition_subalgoE8ElNS0_10empty_typeEbEEZZNS1_14partition_implILS5_8ELb0ES3_jPlPS6_PKS6_NS0_5tupleIJS9_S6_EEENSD_IJSA_SA_EEENS0_18inequality_wrapperIZN2at6native12_GLOBAL__N_124unique_dim_cuda_templateIfEESt5tupleIJNSH_6TensorESM_SM_EERKSM_lbbbEUlllE0_EEPmJS6_EEE10hipError_tPvRmT3_T4_T5_T6_T7_T9_mT8_P12ihipStream_tbDpT10_ENKUlT_T0_E_clISt17integral_constantIbLb0EES1B_IbLb1EEEEDaS17_S18_EUlS17_E_NS1_11comp_targetILNS1_3genE5ELNS1_11target_archE942ELNS1_3gpuE9ELNS1_3repE0EEENS1_30default_config_static_selectorELNS0_4arch9wavefront6targetE0EEEvT1_.num_vgpr, 0
	.set _ZN7rocprim17ROCPRIM_400000_NS6detail17trampoline_kernelINS0_14default_configENS1_25partition_config_selectorILNS1_17partition_subalgoE8ElNS0_10empty_typeEbEEZZNS1_14partition_implILS5_8ELb0ES3_jPlPS6_PKS6_NS0_5tupleIJS9_S6_EEENSD_IJSA_SA_EEENS0_18inequality_wrapperIZN2at6native12_GLOBAL__N_124unique_dim_cuda_templateIfEESt5tupleIJNSH_6TensorESM_SM_EERKSM_lbbbEUlllE0_EEPmJS6_EEE10hipError_tPvRmT3_T4_T5_T6_T7_T9_mT8_P12ihipStream_tbDpT10_ENKUlT_T0_E_clISt17integral_constantIbLb0EES1B_IbLb1EEEEDaS17_S18_EUlS17_E_NS1_11comp_targetILNS1_3genE5ELNS1_11target_archE942ELNS1_3gpuE9ELNS1_3repE0EEENS1_30default_config_static_selectorELNS0_4arch9wavefront6targetE0EEEvT1_.num_agpr, 0
	.set _ZN7rocprim17ROCPRIM_400000_NS6detail17trampoline_kernelINS0_14default_configENS1_25partition_config_selectorILNS1_17partition_subalgoE8ElNS0_10empty_typeEbEEZZNS1_14partition_implILS5_8ELb0ES3_jPlPS6_PKS6_NS0_5tupleIJS9_S6_EEENSD_IJSA_SA_EEENS0_18inequality_wrapperIZN2at6native12_GLOBAL__N_124unique_dim_cuda_templateIfEESt5tupleIJNSH_6TensorESM_SM_EERKSM_lbbbEUlllE0_EEPmJS6_EEE10hipError_tPvRmT3_T4_T5_T6_T7_T9_mT8_P12ihipStream_tbDpT10_ENKUlT_T0_E_clISt17integral_constantIbLb0EES1B_IbLb1EEEEDaS17_S18_EUlS17_E_NS1_11comp_targetILNS1_3genE5ELNS1_11target_archE942ELNS1_3gpuE9ELNS1_3repE0EEENS1_30default_config_static_selectorELNS0_4arch9wavefront6targetE0EEEvT1_.numbered_sgpr, 0
	.set _ZN7rocprim17ROCPRIM_400000_NS6detail17trampoline_kernelINS0_14default_configENS1_25partition_config_selectorILNS1_17partition_subalgoE8ElNS0_10empty_typeEbEEZZNS1_14partition_implILS5_8ELb0ES3_jPlPS6_PKS6_NS0_5tupleIJS9_S6_EEENSD_IJSA_SA_EEENS0_18inequality_wrapperIZN2at6native12_GLOBAL__N_124unique_dim_cuda_templateIfEESt5tupleIJNSH_6TensorESM_SM_EERKSM_lbbbEUlllE0_EEPmJS6_EEE10hipError_tPvRmT3_T4_T5_T6_T7_T9_mT8_P12ihipStream_tbDpT10_ENKUlT_T0_E_clISt17integral_constantIbLb0EES1B_IbLb1EEEEDaS17_S18_EUlS17_E_NS1_11comp_targetILNS1_3genE5ELNS1_11target_archE942ELNS1_3gpuE9ELNS1_3repE0EEENS1_30default_config_static_selectorELNS0_4arch9wavefront6targetE0EEEvT1_.num_named_barrier, 0
	.set _ZN7rocprim17ROCPRIM_400000_NS6detail17trampoline_kernelINS0_14default_configENS1_25partition_config_selectorILNS1_17partition_subalgoE8ElNS0_10empty_typeEbEEZZNS1_14partition_implILS5_8ELb0ES3_jPlPS6_PKS6_NS0_5tupleIJS9_S6_EEENSD_IJSA_SA_EEENS0_18inequality_wrapperIZN2at6native12_GLOBAL__N_124unique_dim_cuda_templateIfEESt5tupleIJNSH_6TensorESM_SM_EERKSM_lbbbEUlllE0_EEPmJS6_EEE10hipError_tPvRmT3_T4_T5_T6_T7_T9_mT8_P12ihipStream_tbDpT10_ENKUlT_T0_E_clISt17integral_constantIbLb0EES1B_IbLb1EEEEDaS17_S18_EUlS17_E_NS1_11comp_targetILNS1_3genE5ELNS1_11target_archE942ELNS1_3gpuE9ELNS1_3repE0EEENS1_30default_config_static_selectorELNS0_4arch9wavefront6targetE0EEEvT1_.private_seg_size, 0
	.set _ZN7rocprim17ROCPRIM_400000_NS6detail17trampoline_kernelINS0_14default_configENS1_25partition_config_selectorILNS1_17partition_subalgoE8ElNS0_10empty_typeEbEEZZNS1_14partition_implILS5_8ELb0ES3_jPlPS6_PKS6_NS0_5tupleIJS9_S6_EEENSD_IJSA_SA_EEENS0_18inequality_wrapperIZN2at6native12_GLOBAL__N_124unique_dim_cuda_templateIfEESt5tupleIJNSH_6TensorESM_SM_EERKSM_lbbbEUlllE0_EEPmJS6_EEE10hipError_tPvRmT3_T4_T5_T6_T7_T9_mT8_P12ihipStream_tbDpT10_ENKUlT_T0_E_clISt17integral_constantIbLb0EES1B_IbLb1EEEEDaS17_S18_EUlS17_E_NS1_11comp_targetILNS1_3genE5ELNS1_11target_archE942ELNS1_3gpuE9ELNS1_3repE0EEENS1_30default_config_static_selectorELNS0_4arch9wavefront6targetE0EEEvT1_.uses_vcc, 0
	.set _ZN7rocprim17ROCPRIM_400000_NS6detail17trampoline_kernelINS0_14default_configENS1_25partition_config_selectorILNS1_17partition_subalgoE8ElNS0_10empty_typeEbEEZZNS1_14partition_implILS5_8ELb0ES3_jPlPS6_PKS6_NS0_5tupleIJS9_S6_EEENSD_IJSA_SA_EEENS0_18inequality_wrapperIZN2at6native12_GLOBAL__N_124unique_dim_cuda_templateIfEESt5tupleIJNSH_6TensorESM_SM_EERKSM_lbbbEUlllE0_EEPmJS6_EEE10hipError_tPvRmT3_T4_T5_T6_T7_T9_mT8_P12ihipStream_tbDpT10_ENKUlT_T0_E_clISt17integral_constantIbLb0EES1B_IbLb1EEEEDaS17_S18_EUlS17_E_NS1_11comp_targetILNS1_3genE5ELNS1_11target_archE942ELNS1_3gpuE9ELNS1_3repE0EEENS1_30default_config_static_selectorELNS0_4arch9wavefront6targetE0EEEvT1_.uses_flat_scratch, 0
	.set _ZN7rocprim17ROCPRIM_400000_NS6detail17trampoline_kernelINS0_14default_configENS1_25partition_config_selectorILNS1_17partition_subalgoE8ElNS0_10empty_typeEbEEZZNS1_14partition_implILS5_8ELb0ES3_jPlPS6_PKS6_NS0_5tupleIJS9_S6_EEENSD_IJSA_SA_EEENS0_18inequality_wrapperIZN2at6native12_GLOBAL__N_124unique_dim_cuda_templateIfEESt5tupleIJNSH_6TensorESM_SM_EERKSM_lbbbEUlllE0_EEPmJS6_EEE10hipError_tPvRmT3_T4_T5_T6_T7_T9_mT8_P12ihipStream_tbDpT10_ENKUlT_T0_E_clISt17integral_constantIbLb0EES1B_IbLb1EEEEDaS17_S18_EUlS17_E_NS1_11comp_targetILNS1_3genE5ELNS1_11target_archE942ELNS1_3gpuE9ELNS1_3repE0EEENS1_30default_config_static_selectorELNS0_4arch9wavefront6targetE0EEEvT1_.has_dyn_sized_stack, 0
	.set _ZN7rocprim17ROCPRIM_400000_NS6detail17trampoline_kernelINS0_14default_configENS1_25partition_config_selectorILNS1_17partition_subalgoE8ElNS0_10empty_typeEbEEZZNS1_14partition_implILS5_8ELb0ES3_jPlPS6_PKS6_NS0_5tupleIJS9_S6_EEENSD_IJSA_SA_EEENS0_18inequality_wrapperIZN2at6native12_GLOBAL__N_124unique_dim_cuda_templateIfEESt5tupleIJNSH_6TensorESM_SM_EERKSM_lbbbEUlllE0_EEPmJS6_EEE10hipError_tPvRmT3_T4_T5_T6_T7_T9_mT8_P12ihipStream_tbDpT10_ENKUlT_T0_E_clISt17integral_constantIbLb0EES1B_IbLb1EEEEDaS17_S18_EUlS17_E_NS1_11comp_targetILNS1_3genE5ELNS1_11target_archE942ELNS1_3gpuE9ELNS1_3repE0EEENS1_30default_config_static_selectorELNS0_4arch9wavefront6targetE0EEEvT1_.has_recursion, 0
	.set _ZN7rocprim17ROCPRIM_400000_NS6detail17trampoline_kernelINS0_14default_configENS1_25partition_config_selectorILNS1_17partition_subalgoE8ElNS0_10empty_typeEbEEZZNS1_14partition_implILS5_8ELb0ES3_jPlPS6_PKS6_NS0_5tupleIJS9_S6_EEENSD_IJSA_SA_EEENS0_18inequality_wrapperIZN2at6native12_GLOBAL__N_124unique_dim_cuda_templateIfEESt5tupleIJNSH_6TensorESM_SM_EERKSM_lbbbEUlllE0_EEPmJS6_EEE10hipError_tPvRmT3_T4_T5_T6_T7_T9_mT8_P12ihipStream_tbDpT10_ENKUlT_T0_E_clISt17integral_constantIbLb0EES1B_IbLb1EEEEDaS17_S18_EUlS17_E_NS1_11comp_targetILNS1_3genE5ELNS1_11target_archE942ELNS1_3gpuE9ELNS1_3repE0EEENS1_30default_config_static_selectorELNS0_4arch9wavefront6targetE0EEEvT1_.has_indirect_call, 0
	.section	.AMDGPU.csdata,"",@progbits
; Kernel info:
; codeLenInByte = 0
; TotalNumSgprs: 0
; NumVgprs: 0
; ScratchSize: 0
; MemoryBound: 0
; FloatMode: 240
; IeeeMode: 1
; LDSByteSize: 0 bytes/workgroup (compile time only)
; SGPRBlocks: 0
; VGPRBlocks: 0
; NumSGPRsForWavesPerEU: 1
; NumVGPRsForWavesPerEU: 1
; NamedBarCnt: 0
; Occupancy: 16
; WaveLimiterHint : 0
; COMPUTE_PGM_RSRC2:SCRATCH_EN: 0
; COMPUTE_PGM_RSRC2:USER_SGPR: 2
; COMPUTE_PGM_RSRC2:TRAP_HANDLER: 0
; COMPUTE_PGM_RSRC2:TGID_X_EN: 1
; COMPUTE_PGM_RSRC2:TGID_Y_EN: 0
; COMPUTE_PGM_RSRC2:TGID_Z_EN: 0
; COMPUTE_PGM_RSRC2:TIDIG_COMP_CNT: 0
	.section	.text._ZN7rocprim17ROCPRIM_400000_NS6detail17trampoline_kernelINS0_14default_configENS1_25partition_config_selectorILNS1_17partition_subalgoE8ElNS0_10empty_typeEbEEZZNS1_14partition_implILS5_8ELb0ES3_jPlPS6_PKS6_NS0_5tupleIJS9_S6_EEENSD_IJSA_SA_EEENS0_18inequality_wrapperIZN2at6native12_GLOBAL__N_124unique_dim_cuda_templateIfEESt5tupleIJNSH_6TensorESM_SM_EERKSM_lbbbEUlllE0_EEPmJS6_EEE10hipError_tPvRmT3_T4_T5_T6_T7_T9_mT8_P12ihipStream_tbDpT10_ENKUlT_T0_E_clISt17integral_constantIbLb0EES1B_IbLb1EEEEDaS17_S18_EUlS17_E_NS1_11comp_targetILNS1_3genE4ELNS1_11target_archE910ELNS1_3gpuE8ELNS1_3repE0EEENS1_30default_config_static_selectorELNS0_4arch9wavefront6targetE0EEEvT1_,"axG",@progbits,_ZN7rocprim17ROCPRIM_400000_NS6detail17trampoline_kernelINS0_14default_configENS1_25partition_config_selectorILNS1_17partition_subalgoE8ElNS0_10empty_typeEbEEZZNS1_14partition_implILS5_8ELb0ES3_jPlPS6_PKS6_NS0_5tupleIJS9_S6_EEENSD_IJSA_SA_EEENS0_18inequality_wrapperIZN2at6native12_GLOBAL__N_124unique_dim_cuda_templateIfEESt5tupleIJNSH_6TensorESM_SM_EERKSM_lbbbEUlllE0_EEPmJS6_EEE10hipError_tPvRmT3_T4_T5_T6_T7_T9_mT8_P12ihipStream_tbDpT10_ENKUlT_T0_E_clISt17integral_constantIbLb0EES1B_IbLb1EEEEDaS17_S18_EUlS17_E_NS1_11comp_targetILNS1_3genE4ELNS1_11target_archE910ELNS1_3gpuE8ELNS1_3repE0EEENS1_30default_config_static_selectorELNS0_4arch9wavefront6targetE0EEEvT1_,comdat
	.globl	_ZN7rocprim17ROCPRIM_400000_NS6detail17trampoline_kernelINS0_14default_configENS1_25partition_config_selectorILNS1_17partition_subalgoE8ElNS0_10empty_typeEbEEZZNS1_14partition_implILS5_8ELb0ES3_jPlPS6_PKS6_NS0_5tupleIJS9_S6_EEENSD_IJSA_SA_EEENS0_18inequality_wrapperIZN2at6native12_GLOBAL__N_124unique_dim_cuda_templateIfEESt5tupleIJNSH_6TensorESM_SM_EERKSM_lbbbEUlllE0_EEPmJS6_EEE10hipError_tPvRmT3_T4_T5_T6_T7_T9_mT8_P12ihipStream_tbDpT10_ENKUlT_T0_E_clISt17integral_constantIbLb0EES1B_IbLb1EEEEDaS17_S18_EUlS17_E_NS1_11comp_targetILNS1_3genE4ELNS1_11target_archE910ELNS1_3gpuE8ELNS1_3repE0EEENS1_30default_config_static_selectorELNS0_4arch9wavefront6targetE0EEEvT1_ ; -- Begin function _ZN7rocprim17ROCPRIM_400000_NS6detail17trampoline_kernelINS0_14default_configENS1_25partition_config_selectorILNS1_17partition_subalgoE8ElNS0_10empty_typeEbEEZZNS1_14partition_implILS5_8ELb0ES3_jPlPS6_PKS6_NS0_5tupleIJS9_S6_EEENSD_IJSA_SA_EEENS0_18inequality_wrapperIZN2at6native12_GLOBAL__N_124unique_dim_cuda_templateIfEESt5tupleIJNSH_6TensorESM_SM_EERKSM_lbbbEUlllE0_EEPmJS6_EEE10hipError_tPvRmT3_T4_T5_T6_T7_T9_mT8_P12ihipStream_tbDpT10_ENKUlT_T0_E_clISt17integral_constantIbLb0EES1B_IbLb1EEEEDaS17_S18_EUlS17_E_NS1_11comp_targetILNS1_3genE4ELNS1_11target_archE910ELNS1_3gpuE8ELNS1_3repE0EEENS1_30default_config_static_selectorELNS0_4arch9wavefront6targetE0EEEvT1_
	.p2align	8
	.type	_ZN7rocprim17ROCPRIM_400000_NS6detail17trampoline_kernelINS0_14default_configENS1_25partition_config_selectorILNS1_17partition_subalgoE8ElNS0_10empty_typeEbEEZZNS1_14partition_implILS5_8ELb0ES3_jPlPS6_PKS6_NS0_5tupleIJS9_S6_EEENSD_IJSA_SA_EEENS0_18inequality_wrapperIZN2at6native12_GLOBAL__N_124unique_dim_cuda_templateIfEESt5tupleIJNSH_6TensorESM_SM_EERKSM_lbbbEUlllE0_EEPmJS6_EEE10hipError_tPvRmT3_T4_T5_T6_T7_T9_mT8_P12ihipStream_tbDpT10_ENKUlT_T0_E_clISt17integral_constantIbLb0EES1B_IbLb1EEEEDaS17_S18_EUlS17_E_NS1_11comp_targetILNS1_3genE4ELNS1_11target_archE910ELNS1_3gpuE8ELNS1_3repE0EEENS1_30default_config_static_selectorELNS0_4arch9wavefront6targetE0EEEvT1_,@function
_ZN7rocprim17ROCPRIM_400000_NS6detail17trampoline_kernelINS0_14default_configENS1_25partition_config_selectorILNS1_17partition_subalgoE8ElNS0_10empty_typeEbEEZZNS1_14partition_implILS5_8ELb0ES3_jPlPS6_PKS6_NS0_5tupleIJS9_S6_EEENSD_IJSA_SA_EEENS0_18inequality_wrapperIZN2at6native12_GLOBAL__N_124unique_dim_cuda_templateIfEESt5tupleIJNSH_6TensorESM_SM_EERKSM_lbbbEUlllE0_EEPmJS6_EEE10hipError_tPvRmT3_T4_T5_T6_T7_T9_mT8_P12ihipStream_tbDpT10_ENKUlT_T0_E_clISt17integral_constantIbLb0EES1B_IbLb1EEEEDaS17_S18_EUlS17_E_NS1_11comp_targetILNS1_3genE4ELNS1_11target_archE910ELNS1_3gpuE8ELNS1_3repE0EEENS1_30default_config_static_selectorELNS0_4arch9wavefront6targetE0EEEvT1_: ; @_ZN7rocprim17ROCPRIM_400000_NS6detail17trampoline_kernelINS0_14default_configENS1_25partition_config_selectorILNS1_17partition_subalgoE8ElNS0_10empty_typeEbEEZZNS1_14partition_implILS5_8ELb0ES3_jPlPS6_PKS6_NS0_5tupleIJS9_S6_EEENSD_IJSA_SA_EEENS0_18inequality_wrapperIZN2at6native12_GLOBAL__N_124unique_dim_cuda_templateIfEESt5tupleIJNSH_6TensorESM_SM_EERKSM_lbbbEUlllE0_EEPmJS6_EEE10hipError_tPvRmT3_T4_T5_T6_T7_T9_mT8_P12ihipStream_tbDpT10_ENKUlT_T0_E_clISt17integral_constantIbLb0EES1B_IbLb1EEEEDaS17_S18_EUlS17_E_NS1_11comp_targetILNS1_3genE4ELNS1_11target_archE910ELNS1_3gpuE8ELNS1_3repE0EEENS1_30default_config_static_selectorELNS0_4arch9wavefront6targetE0EEEvT1_
; %bb.0:
	.section	.rodata,"a",@progbits
	.p2align	6, 0x0
	.amdhsa_kernel _ZN7rocprim17ROCPRIM_400000_NS6detail17trampoline_kernelINS0_14default_configENS1_25partition_config_selectorILNS1_17partition_subalgoE8ElNS0_10empty_typeEbEEZZNS1_14partition_implILS5_8ELb0ES3_jPlPS6_PKS6_NS0_5tupleIJS9_S6_EEENSD_IJSA_SA_EEENS0_18inequality_wrapperIZN2at6native12_GLOBAL__N_124unique_dim_cuda_templateIfEESt5tupleIJNSH_6TensorESM_SM_EERKSM_lbbbEUlllE0_EEPmJS6_EEE10hipError_tPvRmT3_T4_T5_T6_T7_T9_mT8_P12ihipStream_tbDpT10_ENKUlT_T0_E_clISt17integral_constantIbLb0EES1B_IbLb1EEEEDaS17_S18_EUlS17_E_NS1_11comp_targetILNS1_3genE4ELNS1_11target_archE910ELNS1_3gpuE8ELNS1_3repE0EEENS1_30default_config_static_selectorELNS0_4arch9wavefront6targetE0EEEvT1_
		.amdhsa_group_segment_fixed_size 0
		.amdhsa_private_segment_fixed_size 0
		.amdhsa_kernarg_size 136
		.amdhsa_user_sgpr_count 2
		.amdhsa_user_sgpr_dispatch_ptr 0
		.amdhsa_user_sgpr_queue_ptr 0
		.amdhsa_user_sgpr_kernarg_segment_ptr 1
		.amdhsa_user_sgpr_dispatch_id 0
		.amdhsa_user_sgpr_kernarg_preload_length 0
		.amdhsa_user_sgpr_kernarg_preload_offset 0
		.amdhsa_user_sgpr_private_segment_size 0
		.amdhsa_wavefront_size32 1
		.amdhsa_uses_dynamic_stack 0
		.amdhsa_enable_private_segment 0
		.amdhsa_system_sgpr_workgroup_id_x 1
		.amdhsa_system_sgpr_workgroup_id_y 0
		.amdhsa_system_sgpr_workgroup_id_z 0
		.amdhsa_system_sgpr_workgroup_info 0
		.amdhsa_system_vgpr_workitem_id 0
		.amdhsa_next_free_vgpr 1
		.amdhsa_next_free_sgpr 1
		.amdhsa_named_barrier_count 0
		.amdhsa_reserve_vcc 0
		.amdhsa_float_round_mode_32 0
		.amdhsa_float_round_mode_16_64 0
		.amdhsa_float_denorm_mode_32 3
		.amdhsa_float_denorm_mode_16_64 3
		.amdhsa_fp16_overflow 0
		.amdhsa_memory_ordered 1
		.amdhsa_forward_progress 1
		.amdhsa_inst_pref_size 0
		.amdhsa_round_robin_scheduling 0
		.amdhsa_exception_fp_ieee_invalid_op 0
		.amdhsa_exception_fp_denorm_src 0
		.amdhsa_exception_fp_ieee_div_zero 0
		.amdhsa_exception_fp_ieee_overflow 0
		.amdhsa_exception_fp_ieee_underflow 0
		.amdhsa_exception_fp_ieee_inexact 0
		.amdhsa_exception_int_div_zero 0
	.end_amdhsa_kernel
	.section	.text._ZN7rocprim17ROCPRIM_400000_NS6detail17trampoline_kernelINS0_14default_configENS1_25partition_config_selectorILNS1_17partition_subalgoE8ElNS0_10empty_typeEbEEZZNS1_14partition_implILS5_8ELb0ES3_jPlPS6_PKS6_NS0_5tupleIJS9_S6_EEENSD_IJSA_SA_EEENS0_18inequality_wrapperIZN2at6native12_GLOBAL__N_124unique_dim_cuda_templateIfEESt5tupleIJNSH_6TensorESM_SM_EERKSM_lbbbEUlllE0_EEPmJS6_EEE10hipError_tPvRmT3_T4_T5_T6_T7_T9_mT8_P12ihipStream_tbDpT10_ENKUlT_T0_E_clISt17integral_constantIbLb0EES1B_IbLb1EEEEDaS17_S18_EUlS17_E_NS1_11comp_targetILNS1_3genE4ELNS1_11target_archE910ELNS1_3gpuE8ELNS1_3repE0EEENS1_30default_config_static_selectorELNS0_4arch9wavefront6targetE0EEEvT1_,"axG",@progbits,_ZN7rocprim17ROCPRIM_400000_NS6detail17trampoline_kernelINS0_14default_configENS1_25partition_config_selectorILNS1_17partition_subalgoE8ElNS0_10empty_typeEbEEZZNS1_14partition_implILS5_8ELb0ES3_jPlPS6_PKS6_NS0_5tupleIJS9_S6_EEENSD_IJSA_SA_EEENS0_18inequality_wrapperIZN2at6native12_GLOBAL__N_124unique_dim_cuda_templateIfEESt5tupleIJNSH_6TensorESM_SM_EERKSM_lbbbEUlllE0_EEPmJS6_EEE10hipError_tPvRmT3_T4_T5_T6_T7_T9_mT8_P12ihipStream_tbDpT10_ENKUlT_T0_E_clISt17integral_constantIbLb0EES1B_IbLb1EEEEDaS17_S18_EUlS17_E_NS1_11comp_targetILNS1_3genE4ELNS1_11target_archE910ELNS1_3gpuE8ELNS1_3repE0EEENS1_30default_config_static_selectorELNS0_4arch9wavefront6targetE0EEEvT1_,comdat
.Lfunc_end955:
	.size	_ZN7rocprim17ROCPRIM_400000_NS6detail17trampoline_kernelINS0_14default_configENS1_25partition_config_selectorILNS1_17partition_subalgoE8ElNS0_10empty_typeEbEEZZNS1_14partition_implILS5_8ELb0ES3_jPlPS6_PKS6_NS0_5tupleIJS9_S6_EEENSD_IJSA_SA_EEENS0_18inequality_wrapperIZN2at6native12_GLOBAL__N_124unique_dim_cuda_templateIfEESt5tupleIJNSH_6TensorESM_SM_EERKSM_lbbbEUlllE0_EEPmJS6_EEE10hipError_tPvRmT3_T4_T5_T6_T7_T9_mT8_P12ihipStream_tbDpT10_ENKUlT_T0_E_clISt17integral_constantIbLb0EES1B_IbLb1EEEEDaS17_S18_EUlS17_E_NS1_11comp_targetILNS1_3genE4ELNS1_11target_archE910ELNS1_3gpuE8ELNS1_3repE0EEENS1_30default_config_static_selectorELNS0_4arch9wavefront6targetE0EEEvT1_, .Lfunc_end955-_ZN7rocprim17ROCPRIM_400000_NS6detail17trampoline_kernelINS0_14default_configENS1_25partition_config_selectorILNS1_17partition_subalgoE8ElNS0_10empty_typeEbEEZZNS1_14partition_implILS5_8ELb0ES3_jPlPS6_PKS6_NS0_5tupleIJS9_S6_EEENSD_IJSA_SA_EEENS0_18inequality_wrapperIZN2at6native12_GLOBAL__N_124unique_dim_cuda_templateIfEESt5tupleIJNSH_6TensorESM_SM_EERKSM_lbbbEUlllE0_EEPmJS6_EEE10hipError_tPvRmT3_T4_T5_T6_T7_T9_mT8_P12ihipStream_tbDpT10_ENKUlT_T0_E_clISt17integral_constantIbLb0EES1B_IbLb1EEEEDaS17_S18_EUlS17_E_NS1_11comp_targetILNS1_3genE4ELNS1_11target_archE910ELNS1_3gpuE8ELNS1_3repE0EEENS1_30default_config_static_selectorELNS0_4arch9wavefront6targetE0EEEvT1_
                                        ; -- End function
	.set _ZN7rocprim17ROCPRIM_400000_NS6detail17trampoline_kernelINS0_14default_configENS1_25partition_config_selectorILNS1_17partition_subalgoE8ElNS0_10empty_typeEbEEZZNS1_14partition_implILS5_8ELb0ES3_jPlPS6_PKS6_NS0_5tupleIJS9_S6_EEENSD_IJSA_SA_EEENS0_18inequality_wrapperIZN2at6native12_GLOBAL__N_124unique_dim_cuda_templateIfEESt5tupleIJNSH_6TensorESM_SM_EERKSM_lbbbEUlllE0_EEPmJS6_EEE10hipError_tPvRmT3_T4_T5_T6_T7_T9_mT8_P12ihipStream_tbDpT10_ENKUlT_T0_E_clISt17integral_constantIbLb0EES1B_IbLb1EEEEDaS17_S18_EUlS17_E_NS1_11comp_targetILNS1_3genE4ELNS1_11target_archE910ELNS1_3gpuE8ELNS1_3repE0EEENS1_30default_config_static_selectorELNS0_4arch9wavefront6targetE0EEEvT1_.num_vgpr, 0
	.set _ZN7rocprim17ROCPRIM_400000_NS6detail17trampoline_kernelINS0_14default_configENS1_25partition_config_selectorILNS1_17partition_subalgoE8ElNS0_10empty_typeEbEEZZNS1_14partition_implILS5_8ELb0ES3_jPlPS6_PKS6_NS0_5tupleIJS9_S6_EEENSD_IJSA_SA_EEENS0_18inequality_wrapperIZN2at6native12_GLOBAL__N_124unique_dim_cuda_templateIfEESt5tupleIJNSH_6TensorESM_SM_EERKSM_lbbbEUlllE0_EEPmJS6_EEE10hipError_tPvRmT3_T4_T5_T6_T7_T9_mT8_P12ihipStream_tbDpT10_ENKUlT_T0_E_clISt17integral_constantIbLb0EES1B_IbLb1EEEEDaS17_S18_EUlS17_E_NS1_11comp_targetILNS1_3genE4ELNS1_11target_archE910ELNS1_3gpuE8ELNS1_3repE0EEENS1_30default_config_static_selectorELNS0_4arch9wavefront6targetE0EEEvT1_.num_agpr, 0
	.set _ZN7rocprim17ROCPRIM_400000_NS6detail17trampoline_kernelINS0_14default_configENS1_25partition_config_selectorILNS1_17partition_subalgoE8ElNS0_10empty_typeEbEEZZNS1_14partition_implILS5_8ELb0ES3_jPlPS6_PKS6_NS0_5tupleIJS9_S6_EEENSD_IJSA_SA_EEENS0_18inequality_wrapperIZN2at6native12_GLOBAL__N_124unique_dim_cuda_templateIfEESt5tupleIJNSH_6TensorESM_SM_EERKSM_lbbbEUlllE0_EEPmJS6_EEE10hipError_tPvRmT3_T4_T5_T6_T7_T9_mT8_P12ihipStream_tbDpT10_ENKUlT_T0_E_clISt17integral_constantIbLb0EES1B_IbLb1EEEEDaS17_S18_EUlS17_E_NS1_11comp_targetILNS1_3genE4ELNS1_11target_archE910ELNS1_3gpuE8ELNS1_3repE0EEENS1_30default_config_static_selectorELNS0_4arch9wavefront6targetE0EEEvT1_.numbered_sgpr, 0
	.set _ZN7rocprim17ROCPRIM_400000_NS6detail17trampoline_kernelINS0_14default_configENS1_25partition_config_selectorILNS1_17partition_subalgoE8ElNS0_10empty_typeEbEEZZNS1_14partition_implILS5_8ELb0ES3_jPlPS6_PKS6_NS0_5tupleIJS9_S6_EEENSD_IJSA_SA_EEENS0_18inequality_wrapperIZN2at6native12_GLOBAL__N_124unique_dim_cuda_templateIfEESt5tupleIJNSH_6TensorESM_SM_EERKSM_lbbbEUlllE0_EEPmJS6_EEE10hipError_tPvRmT3_T4_T5_T6_T7_T9_mT8_P12ihipStream_tbDpT10_ENKUlT_T0_E_clISt17integral_constantIbLb0EES1B_IbLb1EEEEDaS17_S18_EUlS17_E_NS1_11comp_targetILNS1_3genE4ELNS1_11target_archE910ELNS1_3gpuE8ELNS1_3repE0EEENS1_30default_config_static_selectorELNS0_4arch9wavefront6targetE0EEEvT1_.num_named_barrier, 0
	.set _ZN7rocprim17ROCPRIM_400000_NS6detail17trampoline_kernelINS0_14default_configENS1_25partition_config_selectorILNS1_17partition_subalgoE8ElNS0_10empty_typeEbEEZZNS1_14partition_implILS5_8ELb0ES3_jPlPS6_PKS6_NS0_5tupleIJS9_S6_EEENSD_IJSA_SA_EEENS0_18inequality_wrapperIZN2at6native12_GLOBAL__N_124unique_dim_cuda_templateIfEESt5tupleIJNSH_6TensorESM_SM_EERKSM_lbbbEUlllE0_EEPmJS6_EEE10hipError_tPvRmT3_T4_T5_T6_T7_T9_mT8_P12ihipStream_tbDpT10_ENKUlT_T0_E_clISt17integral_constantIbLb0EES1B_IbLb1EEEEDaS17_S18_EUlS17_E_NS1_11comp_targetILNS1_3genE4ELNS1_11target_archE910ELNS1_3gpuE8ELNS1_3repE0EEENS1_30default_config_static_selectorELNS0_4arch9wavefront6targetE0EEEvT1_.private_seg_size, 0
	.set _ZN7rocprim17ROCPRIM_400000_NS6detail17trampoline_kernelINS0_14default_configENS1_25partition_config_selectorILNS1_17partition_subalgoE8ElNS0_10empty_typeEbEEZZNS1_14partition_implILS5_8ELb0ES3_jPlPS6_PKS6_NS0_5tupleIJS9_S6_EEENSD_IJSA_SA_EEENS0_18inequality_wrapperIZN2at6native12_GLOBAL__N_124unique_dim_cuda_templateIfEESt5tupleIJNSH_6TensorESM_SM_EERKSM_lbbbEUlllE0_EEPmJS6_EEE10hipError_tPvRmT3_T4_T5_T6_T7_T9_mT8_P12ihipStream_tbDpT10_ENKUlT_T0_E_clISt17integral_constantIbLb0EES1B_IbLb1EEEEDaS17_S18_EUlS17_E_NS1_11comp_targetILNS1_3genE4ELNS1_11target_archE910ELNS1_3gpuE8ELNS1_3repE0EEENS1_30default_config_static_selectorELNS0_4arch9wavefront6targetE0EEEvT1_.uses_vcc, 0
	.set _ZN7rocprim17ROCPRIM_400000_NS6detail17trampoline_kernelINS0_14default_configENS1_25partition_config_selectorILNS1_17partition_subalgoE8ElNS0_10empty_typeEbEEZZNS1_14partition_implILS5_8ELb0ES3_jPlPS6_PKS6_NS0_5tupleIJS9_S6_EEENSD_IJSA_SA_EEENS0_18inequality_wrapperIZN2at6native12_GLOBAL__N_124unique_dim_cuda_templateIfEESt5tupleIJNSH_6TensorESM_SM_EERKSM_lbbbEUlllE0_EEPmJS6_EEE10hipError_tPvRmT3_T4_T5_T6_T7_T9_mT8_P12ihipStream_tbDpT10_ENKUlT_T0_E_clISt17integral_constantIbLb0EES1B_IbLb1EEEEDaS17_S18_EUlS17_E_NS1_11comp_targetILNS1_3genE4ELNS1_11target_archE910ELNS1_3gpuE8ELNS1_3repE0EEENS1_30default_config_static_selectorELNS0_4arch9wavefront6targetE0EEEvT1_.uses_flat_scratch, 0
	.set _ZN7rocprim17ROCPRIM_400000_NS6detail17trampoline_kernelINS0_14default_configENS1_25partition_config_selectorILNS1_17partition_subalgoE8ElNS0_10empty_typeEbEEZZNS1_14partition_implILS5_8ELb0ES3_jPlPS6_PKS6_NS0_5tupleIJS9_S6_EEENSD_IJSA_SA_EEENS0_18inequality_wrapperIZN2at6native12_GLOBAL__N_124unique_dim_cuda_templateIfEESt5tupleIJNSH_6TensorESM_SM_EERKSM_lbbbEUlllE0_EEPmJS6_EEE10hipError_tPvRmT3_T4_T5_T6_T7_T9_mT8_P12ihipStream_tbDpT10_ENKUlT_T0_E_clISt17integral_constantIbLb0EES1B_IbLb1EEEEDaS17_S18_EUlS17_E_NS1_11comp_targetILNS1_3genE4ELNS1_11target_archE910ELNS1_3gpuE8ELNS1_3repE0EEENS1_30default_config_static_selectorELNS0_4arch9wavefront6targetE0EEEvT1_.has_dyn_sized_stack, 0
	.set _ZN7rocprim17ROCPRIM_400000_NS6detail17trampoline_kernelINS0_14default_configENS1_25partition_config_selectorILNS1_17partition_subalgoE8ElNS0_10empty_typeEbEEZZNS1_14partition_implILS5_8ELb0ES3_jPlPS6_PKS6_NS0_5tupleIJS9_S6_EEENSD_IJSA_SA_EEENS0_18inequality_wrapperIZN2at6native12_GLOBAL__N_124unique_dim_cuda_templateIfEESt5tupleIJNSH_6TensorESM_SM_EERKSM_lbbbEUlllE0_EEPmJS6_EEE10hipError_tPvRmT3_T4_T5_T6_T7_T9_mT8_P12ihipStream_tbDpT10_ENKUlT_T0_E_clISt17integral_constantIbLb0EES1B_IbLb1EEEEDaS17_S18_EUlS17_E_NS1_11comp_targetILNS1_3genE4ELNS1_11target_archE910ELNS1_3gpuE8ELNS1_3repE0EEENS1_30default_config_static_selectorELNS0_4arch9wavefront6targetE0EEEvT1_.has_recursion, 0
	.set _ZN7rocprim17ROCPRIM_400000_NS6detail17trampoline_kernelINS0_14default_configENS1_25partition_config_selectorILNS1_17partition_subalgoE8ElNS0_10empty_typeEbEEZZNS1_14partition_implILS5_8ELb0ES3_jPlPS6_PKS6_NS0_5tupleIJS9_S6_EEENSD_IJSA_SA_EEENS0_18inequality_wrapperIZN2at6native12_GLOBAL__N_124unique_dim_cuda_templateIfEESt5tupleIJNSH_6TensorESM_SM_EERKSM_lbbbEUlllE0_EEPmJS6_EEE10hipError_tPvRmT3_T4_T5_T6_T7_T9_mT8_P12ihipStream_tbDpT10_ENKUlT_T0_E_clISt17integral_constantIbLb0EES1B_IbLb1EEEEDaS17_S18_EUlS17_E_NS1_11comp_targetILNS1_3genE4ELNS1_11target_archE910ELNS1_3gpuE8ELNS1_3repE0EEENS1_30default_config_static_selectorELNS0_4arch9wavefront6targetE0EEEvT1_.has_indirect_call, 0
	.section	.AMDGPU.csdata,"",@progbits
; Kernel info:
; codeLenInByte = 0
; TotalNumSgprs: 0
; NumVgprs: 0
; ScratchSize: 0
; MemoryBound: 0
; FloatMode: 240
; IeeeMode: 1
; LDSByteSize: 0 bytes/workgroup (compile time only)
; SGPRBlocks: 0
; VGPRBlocks: 0
; NumSGPRsForWavesPerEU: 1
; NumVGPRsForWavesPerEU: 1
; NamedBarCnt: 0
; Occupancy: 16
; WaveLimiterHint : 0
; COMPUTE_PGM_RSRC2:SCRATCH_EN: 0
; COMPUTE_PGM_RSRC2:USER_SGPR: 2
; COMPUTE_PGM_RSRC2:TRAP_HANDLER: 0
; COMPUTE_PGM_RSRC2:TGID_X_EN: 1
; COMPUTE_PGM_RSRC2:TGID_Y_EN: 0
; COMPUTE_PGM_RSRC2:TGID_Z_EN: 0
; COMPUTE_PGM_RSRC2:TIDIG_COMP_CNT: 0
	.section	.text._ZN7rocprim17ROCPRIM_400000_NS6detail17trampoline_kernelINS0_14default_configENS1_25partition_config_selectorILNS1_17partition_subalgoE8ElNS0_10empty_typeEbEEZZNS1_14partition_implILS5_8ELb0ES3_jPlPS6_PKS6_NS0_5tupleIJS9_S6_EEENSD_IJSA_SA_EEENS0_18inequality_wrapperIZN2at6native12_GLOBAL__N_124unique_dim_cuda_templateIfEESt5tupleIJNSH_6TensorESM_SM_EERKSM_lbbbEUlllE0_EEPmJS6_EEE10hipError_tPvRmT3_T4_T5_T6_T7_T9_mT8_P12ihipStream_tbDpT10_ENKUlT_T0_E_clISt17integral_constantIbLb0EES1B_IbLb1EEEEDaS17_S18_EUlS17_E_NS1_11comp_targetILNS1_3genE3ELNS1_11target_archE908ELNS1_3gpuE7ELNS1_3repE0EEENS1_30default_config_static_selectorELNS0_4arch9wavefront6targetE0EEEvT1_,"axG",@progbits,_ZN7rocprim17ROCPRIM_400000_NS6detail17trampoline_kernelINS0_14default_configENS1_25partition_config_selectorILNS1_17partition_subalgoE8ElNS0_10empty_typeEbEEZZNS1_14partition_implILS5_8ELb0ES3_jPlPS6_PKS6_NS0_5tupleIJS9_S6_EEENSD_IJSA_SA_EEENS0_18inequality_wrapperIZN2at6native12_GLOBAL__N_124unique_dim_cuda_templateIfEESt5tupleIJNSH_6TensorESM_SM_EERKSM_lbbbEUlllE0_EEPmJS6_EEE10hipError_tPvRmT3_T4_T5_T6_T7_T9_mT8_P12ihipStream_tbDpT10_ENKUlT_T0_E_clISt17integral_constantIbLb0EES1B_IbLb1EEEEDaS17_S18_EUlS17_E_NS1_11comp_targetILNS1_3genE3ELNS1_11target_archE908ELNS1_3gpuE7ELNS1_3repE0EEENS1_30default_config_static_selectorELNS0_4arch9wavefront6targetE0EEEvT1_,comdat
	.globl	_ZN7rocprim17ROCPRIM_400000_NS6detail17trampoline_kernelINS0_14default_configENS1_25partition_config_selectorILNS1_17partition_subalgoE8ElNS0_10empty_typeEbEEZZNS1_14partition_implILS5_8ELb0ES3_jPlPS6_PKS6_NS0_5tupleIJS9_S6_EEENSD_IJSA_SA_EEENS0_18inequality_wrapperIZN2at6native12_GLOBAL__N_124unique_dim_cuda_templateIfEESt5tupleIJNSH_6TensorESM_SM_EERKSM_lbbbEUlllE0_EEPmJS6_EEE10hipError_tPvRmT3_T4_T5_T6_T7_T9_mT8_P12ihipStream_tbDpT10_ENKUlT_T0_E_clISt17integral_constantIbLb0EES1B_IbLb1EEEEDaS17_S18_EUlS17_E_NS1_11comp_targetILNS1_3genE3ELNS1_11target_archE908ELNS1_3gpuE7ELNS1_3repE0EEENS1_30default_config_static_selectorELNS0_4arch9wavefront6targetE0EEEvT1_ ; -- Begin function _ZN7rocprim17ROCPRIM_400000_NS6detail17trampoline_kernelINS0_14default_configENS1_25partition_config_selectorILNS1_17partition_subalgoE8ElNS0_10empty_typeEbEEZZNS1_14partition_implILS5_8ELb0ES3_jPlPS6_PKS6_NS0_5tupleIJS9_S6_EEENSD_IJSA_SA_EEENS0_18inequality_wrapperIZN2at6native12_GLOBAL__N_124unique_dim_cuda_templateIfEESt5tupleIJNSH_6TensorESM_SM_EERKSM_lbbbEUlllE0_EEPmJS6_EEE10hipError_tPvRmT3_T4_T5_T6_T7_T9_mT8_P12ihipStream_tbDpT10_ENKUlT_T0_E_clISt17integral_constantIbLb0EES1B_IbLb1EEEEDaS17_S18_EUlS17_E_NS1_11comp_targetILNS1_3genE3ELNS1_11target_archE908ELNS1_3gpuE7ELNS1_3repE0EEENS1_30default_config_static_selectorELNS0_4arch9wavefront6targetE0EEEvT1_
	.p2align	8
	.type	_ZN7rocprim17ROCPRIM_400000_NS6detail17trampoline_kernelINS0_14default_configENS1_25partition_config_selectorILNS1_17partition_subalgoE8ElNS0_10empty_typeEbEEZZNS1_14partition_implILS5_8ELb0ES3_jPlPS6_PKS6_NS0_5tupleIJS9_S6_EEENSD_IJSA_SA_EEENS0_18inequality_wrapperIZN2at6native12_GLOBAL__N_124unique_dim_cuda_templateIfEESt5tupleIJNSH_6TensorESM_SM_EERKSM_lbbbEUlllE0_EEPmJS6_EEE10hipError_tPvRmT3_T4_T5_T6_T7_T9_mT8_P12ihipStream_tbDpT10_ENKUlT_T0_E_clISt17integral_constantIbLb0EES1B_IbLb1EEEEDaS17_S18_EUlS17_E_NS1_11comp_targetILNS1_3genE3ELNS1_11target_archE908ELNS1_3gpuE7ELNS1_3repE0EEENS1_30default_config_static_selectorELNS0_4arch9wavefront6targetE0EEEvT1_,@function
_ZN7rocprim17ROCPRIM_400000_NS6detail17trampoline_kernelINS0_14default_configENS1_25partition_config_selectorILNS1_17partition_subalgoE8ElNS0_10empty_typeEbEEZZNS1_14partition_implILS5_8ELb0ES3_jPlPS6_PKS6_NS0_5tupleIJS9_S6_EEENSD_IJSA_SA_EEENS0_18inequality_wrapperIZN2at6native12_GLOBAL__N_124unique_dim_cuda_templateIfEESt5tupleIJNSH_6TensorESM_SM_EERKSM_lbbbEUlllE0_EEPmJS6_EEE10hipError_tPvRmT3_T4_T5_T6_T7_T9_mT8_P12ihipStream_tbDpT10_ENKUlT_T0_E_clISt17integral_constantIbLb0EES1B_IbLb1EEEEDaS17_S18_EUlS17_E_NS1_11comp_targetILNS1_3genE3ELNS1_11target_archE908ELNS1_3gpuE7ELNS1_3repE0EEENS1_30default_config_static_selectorELNS0_4arch9wavefront6targetE0EEEvT1_: ; @_ZN7rocprim17ROCPRIM_400000_NS6detail17trampoline_kernelINS0_14default_configENS1_25partition_config_selectorILNS1_17partition_subalgoE8ElNS0_10empty_typeEbEEZZNS1_14partition_implILS5_8ELb0ES3_jPlPS6_PKS6_NS0_5tupleIJS9_S6_EEENSD_IJSA_SA_EEENS0_18inequality_wrapperIZN2at6native12_GLOBAL__N_124unique_dim_cuda_templateIfEESt5tupleIJNSH_6TensorESM_SM_EERKSM_lbbbEUlllE0_EEPmJS6_EEE10hipError_tPvRmT3_T4_T5_T6_T7_T9_mT8_P12ihipStream_tbDpT10_ENKUlT_T0_E_clISt17integral_constantIbLb0EES1B_IbLb1EEEEDaS17_S18_EUlS17_E_NS1_11comp_targetILNS1_3genE3ELNS1_11target_archE908ELNS1_3gpuE7ELNS1_3repE0EEENS1_30default_config_static_selectorELNS0_4arch9wavefront6targetE0EEEvT1_
; %bb.0:
	.section	.rodata,"a",@progbits
	.p2align	6, 0x0
	.amdhsa_kernel _ZN7rocprim17ROCPRIM_400000_NS6detail17trampoline_kernelINS0_14default_configENS1_25partition_config_selectorILNS1_17partition_subalgoE8ElNS0_10empty_typeEbEEZZNS1_14partition_implILS5_8ELb0ES3_jPlPS6_PKS6_NS0_5tupleIJS9_S6_EEENSD_IJSA_SA_EEENS0_18inequality_wrapperIZN2at6native12_GLOBAL__N_124unique_dim_cuda_templateIfEESt5tupleIJNSH_6TensorESM_SM_EERKSM_lbbbEUlllE0_EEPmJS6_EEE10hipError_tPvRmT3_T4_T5_T6_T7_T9_mT8_P12ihipStream_tbDpT10_ENKUlT_T0_E_clISt17integral_constantIbLb0EES1B_IbLb1EEEEDaS17_S18_EUlS17_E_NS1_11comp_targetILNS1_3genE3ELNS1_11target_archE908ELNS1_3gpuE7ELNS1_3repE0EEENS1_30default_config_static_selectorELNS0_4arch9wavefront6targetE0EEEvT1_
		.amdhsa_group_segment_fixed_size 0
		.amdhsa_private_segment_fixed_size 0
		.amdhsa_kernarg_size 136
		.amdhsa_user_sgpr_count 2
		.amdhsa_user_sgpr_dispatch_ptr 0
		.amdhsa_user_sgpr_queue_ptr 0
		.amdhsa_user_sgpr_kernarg_segment_ptr 1
		.amdhsa_user_sgpr_dispatch_id 0
		.amdhsa_user_sgpr_kernarg_preload_length 0
		.amdhsa_user_sgpr_kernarg_preload_offset 0
		.amdhsa_user_sgpr_private_segment_size 0
		.amdhsa_wavefront_size32 1
		.amdhsa_uses_dynamic_stack 0
		.amdhsa_enable_private_segment 0
		.amdhsa_system_sgpr_workgroup_id_x 1
		.amdhsa_system_sgpr_workgroup_id_y 0
		.amdhsa_system_sgpr_workgroup_id_z 0
		.amdhsa_system_sgpr_workgroup_info 0
		.amdhsa_system_vgpr_workitem_id 0
		.amdhsa_next_free_vgpr 1
		.amdhsa_next_free_sgpr 1
		.amdhsa_named_barrier_count 0
		.amdhsa_reserve_vcc 0
		.amdhsa_float_round_mode_32 0
		.amdhsa_float_round_mode_16_64 0
		.amdhsa_float_denorm_mode_32 3
		.amdhsa_float_denorm_mode_16_64 3
		.amdhsa_fp16_overflow 0
		.amdhsa_memory_ordered 1
		.amdhsa_forward_progress 1
		.amdhsa_inst_pref_size 0
		.amdhsa_round_robin_scheduling 0
		.amdhsa_exception_fp_ieee_invalid_op 0
		.amdhsa_exception_fp_denorm_src 0
		.amdhsa_exception_fp_ieee_div_zero 0
		.amdhsa_exception_fp_ieee_overflow 0
		.amdhsa_exception_fp_ieee_underflow 0
		.amdhsa_exception_fp_ieee_inexact 0
		.amdhsa_exception_int_div_zero 0
	.end_amdhsa_kernel
	.section	.text._ZN7rocprim17ROCPRIM_400000_NS6detail17trampoline_kernelINS0_14default_configENS1_25partition_config_selectorILNS1_17partition_subalgoE8ElNS0_10empty_typeEbEEZZNS1_14partition_implILS5_8ELb0ES3_jPlPS6_PKS6_NS0_5tupleIJS9_S6_EEENSD_IJSA_SA_EEENS0_18inequality_wrapperIZN2at6native12_GLOBAL__N_124unique_dim_cuda_templateIfEESt5tupleIJNSH_6TensorESM_SM_EERKSM_lbbbEUlllE0_EEPmJS6_EEE10hipError_tPvRmT3_T4_T5_T6_T7_T9_mT8_P12ihipStream_tbDpT10_ENKUlT_T0_E_clISt17integral_constantIbLb0EES1B_IbLb1EEEEDaS17_S18_EUlS17_E_NS1_11comp_targetILNS1_3genE3ELNS1_11target_archE908ELNS1_3gpuE7ELNS1_3repE0EEENS1_30default_config_static_selectorELNS0_4arch9wavefront6targetE0EEEvT1_,"axG",@progbits,_ZN7rocprim17ROCPRIM_400000_NS6detail17trampoline_kernelINS0_14default_configENS1_25partition_config_selectorILNS1_17partition_subalgoE8ElNS0_10empty_typeEbEEZZNS1_14partition_implILS5_8ELb0ES3_jPlPS6_PKS6_NS0_5tupleIJS9_S6_EEENSD_IJSA_SA_EEENS0_18inequality_wrapperIZN2at6native12_GLOBAL__N_124unique_dim_cuda_templateIfEESt5tupleIJNSH_6TensorESM_SM_EERKSM_lbbbEUlllE0_EEPmJS6_EEE10hipError_tPvRmT3_T4_T5_T6_T7_T9_mT8_P12ihipStream_tbDpT10_ENKUlT_T0_E_clISt17integral_constantIbLb0EES1B_IbLb1EEEEDaS17_S18_EUlS17_E_NS1_11comp_targetILNS1_3genE3ELNS1_11target_archE908ELNS1_3gpuE7ELNS1_3repE0EEENS1_30default_config_static_selectorELNS0_4arch9wavefront6targetE0EEEvT1_,comdat
.Lfunc_end956:
	.size	_ZN7rocprim17ROCPRIM_400000_NS6detail17trampoline_kernelINS0_14default_configENS1_25partition_config_selectorILNS1_17partition_subalgoE8ElNS0_10empty_typeEbEEZZNS1_14partition_implILS5_8ELb0ES3_jPlPS6_PKS6_NS0_5tupleIJS9_S6_EEENSD_IJSA_SA_EEENS0_18inequality_wrapperIZN2at6native12_GLOBAL__N_124unique_dim_cuda_templateIfEESt5tupleIJNSH_6TensorESM_SM_EERKSM_lbbbEUlllE0_EEPmJS6_EEE10hipError_tPvRmT3_T4_T5_T6_T7_T9_mT8_P12ihipStream_tbDpT10_ENKUlT_T0_E_clISt17integral_constantIbLb0EES1B_IbLb1EEEEDaS17_S18_EUlS17_E_NS1_11comp_targetILNS1_3genE3ELNS1_11target_archE908ELNS1_3gpuE7ELNS1_3repE0EEENS1_30default_config_static_selectorELNS0_4arch9wavefront6targetE0EEEvT1_, .Lfunc_end956-_ZN7rocprim17ROCPRIM_400000_NS6detail17trampoline_kernelINS0_14default_configENS1_25partition_config_selectorILNS1_17partition_subalgoE8ElNS0_10empty_typeEbEEZZNS1_14partition_implILS5_8ELb0ES3_jPlPS6_PKS6_NS0_5tupleIJS9_S6_EEENSD_IJSA_SA_EEENS0_18inequality_wrapperIZN2at6native12_GLOBAL__N_124unique_dim_cuda_templateIfEESt5tupleIJNSH_6TensorESM_SM_EERKSM_lbbbEUlllE0_EEPmJS6_EEE10hipError_tPvRmT3_T4_T5_T6_T7_T9_mT8_P12ihipStream_tbDpT10_ENKUlT_T0_E_clISt17integral_constantIbLb0EES1B_IbLb1EEEEDaS17_S18_EUlS17_E_NS1_11comp_targetILNS1_3genE3ELNS1_11target_archE908ELNS1_3gpuE7ELNS1_3repE0EEENS1_30default_config_static_selectorELNS0_4arch9wavefront6targetE0EEEvT1_
                                        ; -- End function
	.set _ZN7rocprim17ROCPRIM_400000_NS6detail17trampoline_kernelINS0_14default_configENS1_25partition_config_selectorILNS1_17partition_subalgoE8ElNS0_10empty_typeEbEEZZNS1_14partition_implILS5_8ELb0ES3_jPlPS6_PKS6_NS0_5tupleIJS9_S6_EEENSD_IJSA_SA_EEENS0_18inequality_wrapperIZN2at6native12_GLOBAL__N_124unique_dim_cuda_templateIfEESt5tupleIJNSH_6TensorESM_SM_EERKSM_lbbbEUlllE0_EEPmJS6_EEE10hipError_tPvRmT3_T4_T5_T6_T7_T9_mT8_P12ihipStream_tbDpT10_ENKUlT_T0_E_clISt17integral_constantIbLb0EES1B_IbLb1EEEEDaS17_S18_EUlS17_E_NS1_11comp_targetILNS1_3genE3ELNS1_11target_archE908ELNS1_3gpuE7ELNS1_3repE0EEENS1_30default_config_static_selectorELNS0_4arch9wavefront6targetE0EEEvT1_.num_vgpr, 0
	.set _ZN7rocprim17ROCPRIM_400000_NS6detail17trampoline_kernelINS0_14default_configENS1_25partition_config_selectorILNS1_17partition_subalgoE8ElNS0_10empty_typeEbEEZZNS1_14partition_implILS5_8ELb0ES3_jPlPS6_PKS6_NS0_5tupleIJS9_S6_EEENSD_IJSA_SA_EEENS0_18inequality_wrapperIZN2at6native12_GLOBAL__N_124unique_dim_cuda_templateIfEESt5tupleIJNSH_6TensorESM_SM_EERKSM_lbbbEUlllE0_EEPmJS6_EEE10hipError_tPvRmT3_T4_T5_T6_T7_T9_mT8_P12ihipStream_tbDpT10_ENKUlT_T0_E_clISt17integral_constantIbLb0EES1B_IbLb1EEEEDaS17_S18_EUlS17_E_NS1_11comp_targetILNS1_3genE3ELNS1_11target_archE908ELNS1_3gpuE7ELNS1_3repE0EEENS1_30default_config_static_selectorELNS0_4arch9wavefront6targetE0EEEvT1_.num_agpr, 0
	.set _ZN7rocprim17ROCPRIM_400000_NS6detail17trampoline_kernelINS0_14default_configENS1_25partition_config_selectorILNS1_17partition_subalgoE8ElNS0_10empty_typeEbEEZZNS1_14partition_implILS5_8ELb0ES3_jPlPS6_PKS6_NS0_5tupleIJS9_S6_EEENSD_IJSA_SA_EEENS0_18inequality_wrapperIZN2at6native12_GLOBAL__N_124unique_dim_cuda_templateIfEESt5tupleIJNSH_6TensorESM_SM_EERKSM_lbbbEUlllE0_EEPmJS6_EEE10hipError_tPvRmT3_T4_T5_T6_T7_T9_mT8_P12ihipStream_tbDpT10_ENKUlT_T0_E_clISt17integral_constantIbLb0EES1B_IbLb1EEEEDaS17_S18_EUlS17_E_NS1_11comp_targetILNS1_3genE3ELNS1_11target_archE908ELNS1_3gpuE7ELNS1_3repE0EEENS1_30default_config_static_selectorELNS0_4arch9wavefront6targetE0EEEvT1_.numbered_sgpr, 0
	.set _ZN7rocprim17ROCPRIM_400000_NS6detail17trampoline_kernelINS0_14default_configENS1_25partition_config_selectorILNS1_17partition_subalgoE8ElNS0_10empty_typeEbEEZZNS1_14partition_implILS5_8ELb0ES3_jPlPS6_PKS6_NS0_5tupleIJS9_S6_EEENSD_IJSA_SA_EEENS0_18inequality_wrapperIZN2at6native12_GLOBAL__N_124unique_dim_cuda_templateIfEESt5tupleIJNSH_6TensorESM_SM_EERKSM_lbbbEUlllE0_EEPmJS6_EEE10hipError_tPvRmT3_T4_T5_T6_T7_T9_mT8_P12ihipStream_tbDpT10_ENKUlT_T0_E_clISt17integral_constantIbLb0EES1B_IbLb1EEEEDaS17_S18_EUlS17_E_NS1_11comp_targetILNS1_3genE3ELNS1_11target_archE908ELNS1_3gpuE7ELNS1_3repE0EEENS1_30default_config_static_selectorELNS0_4arch9wavefront6targetE0EEEvT1_.num_named_barrier, 0
	.set _ZN7rocprim17ROCPRIM_400000_NS6detail17trampoline_kernelINS0_14default_configENS1_25partition_config_selectorILNS1_17partition_subalgoE8ElNS0_10empty_typeEbEEZZNS1_14partition_implILS5_8ELb0ES3_jPlPS6_PKS6_NS0_5tupleIJS9_S6_EEENSD_IJSA_SA_EEENS0_18inequality_wrapperIZN2at6native12_GLOBAL__N_124unique_dim_cuda_templateIfEESt5tupleIJNSH_6TensorESM_SM_EERKSM_lbbbEUlllE0_EEPmJS6_EEE10hipError_tPvRmT3_T4_T5_T6_T7_T9_mT8_P12ihipStream_tbDpT10_ENKUlT_T0_E_clISt17integral_constantIbLb0EES1B_IbLb1EEEEDaS17_S18_EUlS17_E_NS1_11comp_targetILNS1_3genE3ELNS1_11target_archE908ELNS1_3gpuE7ELNS1_3repE0EEENS1_30default_config_static_selectorELNS0_4arch9wavefront6targetE0EEEvT1_.private_seg_size, 0
	.set _ZN7rocprim17ROCPRIM_400000_NS6detail17trampoline_kernelINS0_14default_configENS1_25partition_config_selectorILNS1_17partition_subalgoE8ElNS0_10empty_typeEbEEZZNS1_14partition_implILS5_8ELb0ES3_jPlPS6_PKS6_NS0_5tupleIJS9_S6_EEENSD_IJSA_SA_EEENS0_18inequality_wrapperIZN2at6native12_GLOBAL__N_124unique_dim_cuda_templateIfEESt5tupleIJNSH_6TensorESM_SM_EERKSM_lbbbEUlllE0_EEPmJS6_EEE10hipError_tPvRmT3_T4_T5_T6_T7_T9_mT8_P12ihipStream_tbDpT10_ENKUlT_T0_E_clISt17integral_constantIbLb0EES1B_IbLb1EEEEDaS17_S18_EUlS17_E_NS1_11comp_targetILNS1_3genE3ELNS1_11target_archE908ELNS1_3gpuE7ELNS1_3repE0EEENS1_30default_config_static_selectorELNS0_4arch9wavefront6targetE0EEEvT1_.uses_vcc, 0
	.set _ZN7rocprim17ROCPRIM_400000_NS6detail17trampoline_kernelINS0_14default_configENS1_25partition_config_selectorILNS1_17partition_subalgoE8ElNS0_10empty_typeEbEEZZNS1_14partition_implILS5_8ELb0ES3_jPlPS6_PKS6_NS0_5tupleIJS9_S6_EEENSD_IJSA_SA_EEENS0_18inequality_wrapperIZN2at6native12_GLOBAL__N_124unique_dim_cuda_templateIfEESt5tupleIJNSH_6TensorESM_SM_EERKSM_lbbbEUlllE0_EEPmJS6_EEE10hipError_tPvRmT3_T4_T5_T6_T7_T9_mT8_P12ihipStream_tbDpT10_ENKUlT_T0_E_clISt17integral_constantIbLb0EES1B_IbLb1EEEEDaS17_S18_EUlS17_E_NS1_11comp_targetILNS1_3genE3ELNS1_11target_archE908ELNS1_3gpuE7ELNS1_3repE0EEENS1_30default_config_static_selectorELNS0_4arch9wavefront6targetE0EEEvT1_.uses_flat_scratch, 0
	.set _ZN7rocprim17ROCPRIM_400000_NS6detail17trampoline_kernelINS0_14default_configENS1_25partition_config_selectorILNS1_17partition_subalgoE8ElNS0_10empty_typeEbEEZZNS1_14partition_implILS5_8ELb0ES3_jPlPS6_PKS6_NS0_5tupleIJS9_S6_EEENSD_IJSA_SA_EEENS0_18inequality_wrapperIZN2at6native12_GLOBAL__N_124unique_dim_cuda_templateIfEESt5tupleIJNSH_6TensorESM_SM_EERKSM_lbbbEUlllE0_EEPmJS6_EEE10hipError_tPvRmT3_T4_T5_T6_T7_T9_mT8_P12ihipStream_tbDpT10_ENKUlT_T0_E_clISt17integral_constantIbLb0EES1B_IbLb1EEEEDaS17_S18_EUlS17_E_NS1_11comp_targetILNS1_3genE3ELNS1_11target_archE908ELNS1_3gpuE7ELNS1_3repE0EEENS1_30default_config_static_selectorELNS0_4arch9wavefront6targetE0EEEvT1_.has_dyn_sized_stack, 0
	.set _ZN7rocprim17ROCPRIM_400000_NS6detail17trampoline_kernelINS0_14default_configENS1_25partition_config_selectorILNS1_17partition_subalgoE8ElNS0_10empty_typeEbEEZZNS1_14partition_implILS5_8ELb0ES3_jPlPS6_PKS6_NS0_5tupleIJS9_S6_EEENSD_IJSA_SA_EEENS0_18inequality_wrapperIZN2at6native12_GLOBAL__N_124unique_dim_cuda_templateIfEESt5tupleIJNSH_6TensorESM_SM_EERKSM_lbbbEUlllE0_EEPmJS6_EEE10hipError_tPvRmT3_T4_T5_T6_T7_T9_mT8_P12ihipStream_tbDpT10_ENKUlT_T0_E_clISt17integral_constantIbLb0EES1B_IbLb1EEEEDaS17_S18_EUlS17_E_NS1_11comp_targetILNS1_3genE3ELNS1_11target_archE908ELNS1_3gpuE7ELNS1_3repE0EEENS1_30default_config_static_selectorELNS0_4arch9wavefront6targetE0EEEvT1_.has_recursion, 0
	.set _ZN7rocprim17ROCPRIM_400000_NS6detail17trampoline_kernelINS0_14default_configENS1_25partition_config_selectorILNS1_17partition_subalgoE8ElNS0_10empty_typeEbEEZZNS1_14partition_implILS5_8ELb0ES3_jPlPS6_PKS6_NS0_5tupleIJS9_S6_EEENSD_IJSA_SA_EEENS0_18inequality_wrapperIZN2at6native12_GLOBAL__N_124unique_dim_cuda_templateIfEESt5tupleIJNSH_6TensorESM_SM_EERKSM_lbbbEUlllE0_EEPmJS6_EEE10hipError_tPvRmT3_T4_T5_T6_T7_T9_mT8_P12ihipStream_tbDpT10_ENKUlT_T0_E_clISt17integral_constantIbLb0EES1B_IbLb1EEEEDaS17_S18_EUlS17_E_NS1_11comp_targetILNS1_3genE3ELNS1_11target_archE908ELNS1_3gpuE7ELNS1_3repE0EEENS1_30default_config_static_selectorELNS0_4arch9wavefront6targetE0EEEvT1_.has_indirect_call, 0
	.section	.AMDGPU.csdata,"",@progbits
; Kernel info:
; codeLenInByte = 0
; TotalNumSgprs: 0
; NumVgprs: 0
; ScratchSize: 0
; MemoryBound: 0
; FloatMode: 240
; IeeeMode: 1
; LDSByteSize: 0 bytes/workgroup (compile time only)
; SGPRBlocks: 0
; VGPRBlocks: 0
; NumSGPRsForWavesPerEU: 1
; NumVGPRsForWavesPerEU: 1
; NamedBarCnt: 0
; Occupancy: 16
; WaveLimiterHint : 0
; COMPUTE_PGM_RSRC2:SCRATCH_EN: 0
; COMPUTE_PGM_RSRC2:USER_SGPR: 2
; COMPUTE_PGM_RSRC2:TRAP_HANDLER: 0
; COMPUTE_PGM_RSRC2:TGID_X_EN: 1
; COMPUTE_PGM_RSRC2:TGID_Y_EN: 0
; COMPUTE_PGM_RSRC2:TGID_Z_EN: 0
; COMPUTE_PGM_RSRC2:TIDIG_COMP_CNT: 0
	.section	.text._ZN7rocprim17ROCPRIM_400000_NS6detail17trampoline_kernelINS0_14default_configENS1_25partition_config_selectorILNS1_17partition_subalgoE8ElNS0_10empty_typeEbEEZZNS1_14partition_implILS5_8ELb0ES3_jPlPS6_PKS6_NS0_5tupleIJS9_S6_EEENSD_IJSA_SA_EEENS0_18inequality_wrapperIZN2at6native12_GLOBAL__N_124unique_dim_cuda_templateIfEESt5tupleIJNSH_6TensorESM_SM_EERKSM_lbbbEUlllE0_EEPmJS6_EEE10hipError_tPvRmT3_T4_T5_T6_T7_T9_mT8_P12ihipStream_tbDpT10_ENKUlT_T0_E_clISt17integral_constantIbLb0EES1B_IbLb1EEEEDaS17_S18_EUlS17_E_NS1_11comp_targetILNS1_3genE2ELNS1_11target_archE906ELNS1_3gpuE6ELNS1_3repE0EEENS1_30default_config_static_selectorELNS0_4arch9wavefront6targetE0EEEvT1_,"axG",@progbits,_ZN7rocprim17ROCPRIM_400000_NS6detail17trampoline_kernelINS0_14default_configENS1_25partition_config_selectorILNS1_17partition_subalgoE8ElNS0_10empty_typeEbEEZZNS1_14partition_implILS5_8ELb0ES3_jPlPS6_PKS6_NS0_5tupleIJS9_S6_EEENSD_IJSA_SA_EEENS0_18inequality_wrapperIZN2at6native12_GLOBAL__N_124unique_dim_cuda_templateIfEESt5tupleIJNSH_6TensorESM_SM_EERKSM_lbbbEUlllE0_EEPmJS6_EEE10hipError_tPvRmT3_T4_T5_T6_T7_T9_mT8_P12ihipStream_tbDpT10_ENKUlT_T0_E_clISt17integral_constantIbLb0EES1B_IbLb1EEEEDaS17_S18_EUlS17_E_NS1_11comp_targetILNS1_3genE2ELNS1_11target_archE906ELNS1_3gpuE6ELNS1_3repE0EEENS1_30default_config_static_selectorELNS0_4arch9wavefront6targetE0EEEvT1_,comdat
	.globl	_ZN7rocprim17ROCPRIM_400000_NS6detail17trampoline_kernelINS0_14default_configENS1_25partition_config_selectorILNS1_17partition_subalgoE8ElNS0_10empty_typeEbEEZZNS1_14partition_implILS5_8ELb0ES3_jPlPS6_PKS6_NS0_5tupleIJS9_S6_EEENSD_IJSA_SA_EEENS0_18inequality_wrapperIZN2at6native12_GLOBAL__N_124unique_dim_cuda_templateIfEESt5tupleIJNSH_6TensorESM_SM_EERKSM_lbbbEUlllE0_EEPmJS6_EEE10hipError_tPvRmT3_T4_T5_T6_T7_T9_mT8_P12ihipStream_tbDpT10_ENKUlT_T0_E_clISt17integral_constantIbLb0EES1B_IbLb1EEEEDaS17_S18_EUlS17_E_NS1_11comp_targetILNS1_3genE2ELNS1_11target_archE906ELNS1_3gpuE6ELNS1_3repE0EEENS1_30default_config_static_selectorELNS0_4arch9wavefront6targetE0EEEvT1_ ; -- Begin function _ZN7rocprim17ROCPRIM_400000_NS6detail17trampoline_kernelINS0_14default_configENS1_25partition_config_selectorILNS1_17partition_subalgoE8ElNS0_10empty_typeEbEEZZNS1_14partition_implILS5_8ELb0ES3_jPlPS6_PKS6_NS0_5tupleIJS9_S6_EEENSD_IJSA_SA_EEENS0_18inequality_wrapperIZN2at6native12_GLOBAL__N_124unique_dim_cuda_templateIfEESt5tupleIJNSH_6TensorESM_SM_EERKSM_lbbbEUlllE0_EEPmJS6_EEE10hipError_tPvRmT3_T4_T5_T6_T7_T9_mT8_P12ihipStream_tbDpT10_ENKUlT_T0_E_clISt17integral_constantIbLb0EES1B_IbLb1EEEEDaS17_S18_EUlS17_E_NS1_11comp_targetILNS1_3genE2ELNS1_11target_archE906ELNS1_3gpuE6ELNS1_3repE0EEENS1_30default_config_static_selectorELNS0_4arch9wavefront6targetE0EEEvT1_
	.p2align	8
	.type	_ZN7rocprim17ROCPRIM_400000_NS6detail17trampoline_kernelINS0_14default_configENS1_25partition_config_selectorILNS1_17partition_subalgoE8ElNS0_10empty_typeEbEEZZNS1_14partition_implILS5_8ELb0ES3_jPlPS6_PKS6_NS0_5tupleIJS9_S6_EEENSD_IJSA_SA_EEENS0_18inequality_wrapperIZN2at6native12_GLOBAL__N_124unique_dim_cuda_templateIfEESt5tupleIJNSH_6TensorESM_SM_EERKSM_lbbbEUlllE0_EEPmJS6_EEE10hipError_tPvRmT3_T4_T5_T6_T7_T9_mT8_P12ihipStream_tbDpT10_ENKUlT_T0_E_clISt17integral_constantIbLb0EES1B_IbLb1EEEEDaS17_S18_EUlS17_E_NS1_11comp_targetILNS1_3genE2ELNS1_11target_archE906ELNS1_3gpuE6ELNS1_3repE0EEENS1_30default_config_static_selectorELNS0_4arch9wavefront6targetE0EEEvT1_,@function
_ZN7rocprim17ROCPRIM_400000_NS6detail17trampoline_kernelINS0_14default_configENS1_25partition_config_selectorILNS1_17partition_subalgoE8ElNS0_10empty_typeEbEEZZNS1_14partition_implILS5_8ELb0ES3_jPlPS6_PKS6_NS0_5tupleIJS9_S6_EEENSD_IJSA_SA_EEENS0_18inequality_wrapperIZN2at6native12_GLOBAL__N_124unique_dim_cuda_templateIfEESt5tupleIJNSH_6TensorESM_SM_EERKSM_lbbbEUlllE0_EEPmJS6_EEE10hipError_tPvRmT3_T4_T5_T6_T7_T9_mT8_P12ihipStream_tbDpT10_ENKUlT_T0_E_clISt17integral_constantIbLb0EES1B_IbLb1EEEEDaS17_S18_EUlS17_E_NS1_11comp_targetILNS1_3genE2ELNS1_11target_archE906ELNS1_3gpuE6ELNS1_3repE0EEENS1_30default_config_static_selectorELNS0_4arch9wavefront6targetE0EEEvT1_: ; @_ZN7rocprim17ROCPRIM_400000_NS6detail17trampoline_kernelINS0_14default_configENS1_25partition_config_selectorILNS1_17partition_subalgoE8ElNS0_10empty_typeEbEEZZNS1_14partition_implILS5_8ELb0ES3_jPlPS6_PKS6_NS0_5tupleIJS9_S6_EEENSD_IJSA_SA_EEENS0_18inequality_wrapperIZN2at6native12_GLOBAL__N_124unique_dim_cuda_templateIfEESt5tupleIJNSH_6TensorESM_SM_EERKSM_lbbbEUlllE0_EEPmJS6_EEE10hipError_tPvRmT3_T4_T5_T6_T7_T9_mT8_P12ihipStream_tbDpT10_ENKUlT_T0_E_clISt17integral_constantIbLb0EES1B_IbLb1EEEEDaS17_S18_EUlS17_E_NS1_11comp_targetILNS1_3genE2ELNS1_11target_archE906ELNS1_3gpuE6ELNS1_3repE0EEENS1_30default_config_static_selectorELNS0_4arch9wavefront6targetE0EEEvT1_
; %bb.0:
	.section	.rodata,"a",@progbits
	.p2align	6, 0x0
	.amdhsa_kernel _ZN7rocprim17ROCPRIM_400000_NS6detail17trampoline_kernelINS0_14default_configENS1_25partition_config_selectorILNS1_17partition_subalgoE8ElNS0_10empty_typeEbEEZZNS1_14partition_implILS5_8ELb0ES3_jPlPS6_PKS6_NS0_5tupleIJS9_S6_EEENSD_IJSA_SA_EEENS0_18inequality_wrapperIZN2at6native12_GLOBAL__N_124unique_dim_cuda_templateIfEESt5tupleIJNSH_6TensorESM_SM_EERKSM_lbbbEUlllE0_EEPmJS6_EEE10hipError_tPvRmT3_T4_T5_T6_T7_T9_mT8_P12ihipStream_tbDpT10_ENKUlT_T0_E_clISt17integral_constantIbLb0EES1B_IbLb1EEEEDaS17_S18_EUlS17_E_NS1_11comp_targetILNS1_3genE2ELNS1_11target_archE906ELNS1_3gpuE6ELNS1_3repE0EEENS1_30default_config_static_selectorELNS0_4arch9wavefront6targetE0EEEvT1_
		.amdhsa_group_segment_fixed_size 0
		.amdhsa_private_segment_fixed_size 0
		.amdhsa_kernarg_size 136
		.amdhsa_user_sgpr_count 2
		.amdhsa_user_sgpr_dispatch_ptr 0
		.amdhsa_user_sgpr_queue_ptr 0
		.amdhsa_user_sgpr_kernarg_segment_ptr 1
		.amdhsa_user_sgpr_dispatch_id 0
		.amdhsa_user_sgpr_kernarg_preload_length 0
		.amdhsa_user_sgpr_kernarg_preload_offset 0
		.amdhsa_user_sgpr_private_segment_size 0
		.amdhsa_wavefront_size32 1
		.amdhsa_uses_dynamic_stack 0
		.amdhsa_enable_private_segment 0
		.amdhsa_system_sgpr_workgroup_id_x 1
		.amdhsa_system_sgpr_workgroup_id_y 0
		.amdhsa_system_sgpr_workgroup_id_z 0
		.amdhsa_system_sgpr_workgroup_info 0
		.amdhsa_system_vgpr_workitem_id 0
		.amdhsa_next_free_vgpr 1
		.amdhsa_next_free_sgpr 1
		.amdhsa_named_barrier_count 0
		.amdhsa_reserve_vcc 0
		.amdhsa_float_round_mode_32 0
		.amdhsa_float_round_mode_16_64 0
		.amdhsa_float_denorm_mode_32 3
		.amdhsa_float_denorm_mode_16_64 3
		.amdhsa_fp16_overflow 0
		.amdhsa_memory_ordered 1
		.amdhsa_forward_progress 1
		.amdhsa_inst_pref_size 0
		.amdhsa_round_robin_scheduling 0
		.amdhsa_exception_fp_ieee_invalid_op 0
		.amdhsa_exception_fp_denorm_src 0
		.amdhsa_exception_fp_ieee_div_zero 0
		.amdhsa_exception_fp_ieee_overflow 0
		.amdhsa_exception_fp_ieee_underflow 0
		.amdhsa_exception_fp_ieee_inexact 0
		.amdhsa_exception_int_div_zero 0
	.end_amdhsa_kernel
	.section	.text._ZN7rocprim17ROCPRIM_400000_NS6detail17trampoline_kernelINS0_14default_configENS1_25partition_config_selectorILNS1_17partition_subalgoE8ElNS0_10empty_typeEbEEZZNS1_14partition_implILS5_8ELb0ES3_jPlPS6_PKS6_NS0_5tupleIJS9_S6_EEENSD_IJSA_SA_EEENS0_18inequality_wrapperIZN2at6native12_GLOBAL__N_124unique_dim_cuda_templateIfEESt5tupleIJNSH_6TensorESM_SM_EERKSM_lbbbEUlllE0_EEPmJS6_EEE10hipError_tPvRmT3_T4_T5_T6_T7_T9_mT8_P12ihipStream_tbDpT10_ENKUlT_T0_E_clISt17integral_constantIbLb0EES1B_IbLb1EEEEDaS17_S18_EUlS17_E_NS1_11comp_targetILNS1_3genE2ELNS1_11target_archE906ELNS1_3gpuE6ELNS1_3repE0EEENS1_30default_config_static_selectorELNS0_4arch9wavefront6targetE0EEEvT1_,"axG",@progbits,_ZN7rocprim17ROCPRIM_400000_NS6detail17trampoline_kernelINS0_14default_configENS1_25partition_config_selectorILNS1_17partition_subalgoE8ElNS0_10empty_typeEbEEZZNS1_14partition_implILS5_8ELb0ES3_jPlPS6_PKS6_NS0_5tupleIJS9_S6_EEENSD_IJSA_SA_EEENS0_18inequality_wrapperIZN2at6native12_GLOBAL__N_124unique_dim_cuda_templateIfEESt5tupleIJNSH_6TensorESM_SM_EERKSM_lbbbEUlllE0_EEPmJS6_EEE10hipError_tPvRmT3_T4_T5_T6_T7_T9_mT8_P12ihipStream_tbDpT10_ENKUlT_T0_E_clISt17integral_constantIbLb0EES1B_IbLb1EEEEDaS17_S18_EUlS17_E_NS1_11comp_targetILNS1_3genE2ELNS1_11target_archE906ELNS1_3gpuE6ELNS1_3repE0EEENS1_30default_config_static_selectorELNS0_4arch9wavefront6targetE0EEEvT1_,comdat
.Lfunc_end957:
	.size	_ZN7rocprim17ROCPRIM_400000_NS6detail17trampoline_kernelINS0_14default_configENS1_25partition_config_selectorILNS1_17partition_subalgoE8ElNS0_10empty_typeEbEEZZNS1_14partition_implILS5_8ELb0ES3_jPlPS6_PKS6_NS0_5tupleIJS9_S6_EEENSD_IJSA_SA_EEENS0_18inequality_wrapperIZN2at6native12_GLOBAL__N_124unique_dim_cuda_templateIfEESt5tupleIJNSH_6TensorESM_SM_EERKSM_lbbbEUlllE0_EEPmJS6_EEE10hipError_tPvRmT3_T4_T5_T6_T7_T9_mT8_P12ihipStream_tbDpT10_ENKUlT_T0_E_clISt17integral_constantIbLb0EES1B_IbLb1EEEEDaS17_S18_EUlS17_E_NS1_11comp_targetILNS1_3genE2ELNS1_11target_archE906ELNS1_3gpuE6ELNS1_3repE0EEENS1_30default_config_static_selectorELNS0_4arch9wavefront6targetE0EEEvT1_, .Lfunc_end957-_ZN7rocprim17ROCPRIM_400000_NS6detail17trampoline_kernelINS0_14default_configENS1_25partition_config_selectorILNS1_17partition_subalgoE8ElNS0_10empty_typeEbEEZZNS1_14partition_implILS5_8ELb0ES3_jPlPS6_PKS6_NS0_5tupleIJS9_S6_EEENSD_IJSA_SA_EEENS0_18inequality_wrapperIZN2at6native12_GLOBAL__N_124unique_dim_cuda_templateIfEESt5tupleIJNSH_6TensorESM_SM_EERKSM_lbbbEUlllE0_EEPmJS6_EEE10hipError_tPvRmT3_T4_T5_T6_T7_T9_mT8_P12ihipStream_tbDpT10_ENKUlT_T0_E_clISt17integral_constantIbLb0EES1B_IbLb1EEEEDaS17_S18_EUlS17_E_NS1_11comp_targetILNS1_3genE2ELNS1_11target_archE906ELNS1_3gpuE6ELNS1_3repE0EEENS1_30default_config_static_selectorELNS0_4arch9wavefront6targetE0EEEvT1_
                                        ; -- End function
	.set _ZN7rocprim17ROCPRIM_400000_NS6detail17trampoline_kernelINS0_14default_configENS1_25partition_config_selectorILNS1_17partition_subalgoE8ElNS0_10empty_typeEbEEZZNS1_14partition_implILS5_8ELb0ES3_jPlPS6_PKS6_NS0_5tupleIJS9_S6_EEENSD_IJSA_SA_EEENS0_18inequality_wrapperIZN2at6native12_GLOBAL__N_124unique_dim_cuda_templateIfEESt5tupleIJNSH_6TensorESM_SM_EERKSM_lbbbEUlllE0_EEPmJS6_EEE10hipError_tPvRmT3_T4_T5_T6_T7_T9_mT8_P12ihipStream_tbDpT10_ENKUlT_T0_E_clISt17integral_constantIbLb0EES1B_IbLb1EEEEDaS17_S18_EUlS17_E_NS1_11comp_targetILNS1_3genE2ELNS1_11target_archE906ELNS1_3gpuE6ELNS1_3repE0EEENS1_30default_config_static_selectorELNS0_4arch9wavefront6targetE0EEEvT1_.num_vgpr, 0
	.set _ZN7rocprim17ROCPRIM_400000_NS6detail17trampoline_kernelINS0_14default_configENS1_25partition_config_selectorILNS1_17partition_subalgoE8ElNS0_10empty_typeEbEEZZNS1_14partition_implILS5_8ELb0ES3_jPlPS6_PKS6_NS0_5tupleIJS9_S6_EEENSD_IJSA_SA_EEENS0_18inequality_wrapperIZN2at6native12_GLOBAL__N_124unique_dim_cuda_templateIfEESt5tupleIJNSH_6TensorESM_SM_EERKSM_lbbbEUlllE0_EEPmJS6_EEE10hipError_tPvRmT3_T4_T5_T6_T7_T9_mT8_P12ihipStream_tbDpT10_ENKUlT_T0_E_clISt17integral_constantIbLb0EES1B_IbLb1EEEEDaS17_S18_EUlS17_E_NS1_11comp_targetILNS1_3genE2ELNS1_11target_archE906ELNS1_3gpuE6ELNS1_3repE0EEENS1_30default_config_static_selectorELNS0_4arch9wavefront6targetE0EEEvT1_.num_agpr, 0
	.set _ZN7rocprim17ROCPRIM_400000_NS6detail17trampoline_kernelINS0_14default_configENS1_25partition_config_selectorILNS1_17partition_subalgoE8ElNS0_10empty_typeEbEEZZNS1_14partition_implILS5_8ELb0ES3_jPlPS6_PKS6_NS0_5tupleIJS9_S6_EEENSD_IJSA_SA_EEENS0_18inequality_wrapperIZN2at6native12_GLOBAL__N_124unique_dim_cuda_templateIfEESt5tupleIJNSH_6TensorESM_SM_EERKSM_lbbbEUlllE0_EEPmJS6_EEE10hipError_tPvRmT3_T4_T5_T6_T7_T9_mT8_P12ihipStream_tbDpT10_ENKUlT_T0_E_clISt17integral_constantIbLb0EES1B_IbLb1EEEEDaS17_S18_EUlS17_E_NS1_11comp_targetILNS1_3genE2ELNS1_11target_archE906ELNS1_3gpuE6ELNS1_3repE0EEENS1_30default_config_static_selectorELNS0_4arch9wavefront6targetE0EEEvT1_.numbered_sgpr, 0
	.set _ZN7rocprim17ROCPRIM_400000_NS6detail17trampoline_kernelINS0_14default_configENS1_25partition_config_selectorILNS1_17partition_subalgoE8ElNS0_10empty_typeEbEEZZNS1_14partition_implILS5_8ELb0ES3_jPlPS6_PKS6_NS0_5tupleIJS9_S6_EEENSD_IJSA_SA_EEENS0_18inequality_wrapperIZN2at6native12_GLOBAL__N_124unique_dim_cuda_templateIfEESt5tupleIJNSH_6TensorESM_SM_EERKSM_lbbbEUlllE0_EEPmJS6_EEE10hipError_tPvRmT3_T4_T5_T6_T7_T9_mT8_P12ihipStream_tbDpT10_ENKUlT_T0_E_clISt17integral_constantIbLb0EES1B_IbLb1EEEEDaS17_S18_EUlS17_E_NS1_11comp_targetILNS1_3genE2ELNS1_11target_archE906ELNS1_3gpuE6ELNS1_3repE0EEENS1_30default_config_static_selectorELNS0_4arch9wavefront6targetE0EEEvT1_.num_named_barrier, 0
	.set _ZN7rocprim17ROCPRIM_400000_NS6detail17trampoline_kernelINS0_14default_configENS1_25partition_config_selectorILNS1_17partition_subalgoE8ElNS0_10empty_typeEbEEZZNS1_14partition_implILS5_8ELb0ES3_jPlPS6_PKS6_NS0_5tupleIJS9_S6_EEENSD_IJSA_SA_EEENS0_18inequality_wrapperIZN2at6native12_GLOBAL__N_124unique_dim_cuda_templateIfEESt5tupleIJNSH_6TensorESM_SM_EERKSM_lbbbEUlllE0_EEPmJS6_EEE10hipError_tPvRmT3_T4_T5_T6_T7_T9_mT8_P12ihipStream_tbDpT10_ENKUlT_T0_E_clISt17integral_constantIbLb0EES1B_IbLb1EEEEDaS17_S18_EUlS17_E_NS1_11comp_targetILNS1_3genE2ELNS1_11target_archE906ELNS1_3gpuE6ELNS1_3repE0EEENS1_30default_config_static_selectorELNS0_4arch9wavefront6targetE0EEEvT1_.private_seg_size, 0
	.set _ZN7rocprim17ROCPRIM_400000_NS6detail17trampoline_kernelINS0_14default_configENS1_25partition_config_selectorILNS1_17partition_subalgoE8ElNS0_10empty_typeEbEEZZNS1_14partition_implILS5_8ELb0ES3_jPlPS6_PKS6_NS0_5tupleIJS9_S6_EEENSD_IJSA_SA_EEENS0_18inequality_wrapperIZN2at6native12_GLOBAL__N_124unique_dim_cuda_templateIfEESt5tupleIJNSH_6TensorESM_SM_EERKSM_lbbbEUlllE0_EEPmJS6_EEE10hipError_tPvRmT3_T4_T5_T6_T7_T9_mT8_P12ihipStream_tbDpT10_ENKUlT_T0_E_clISt17integral_constantIbLb0EES1B_IbLb1EEEEDaS17_S18_EUlS17_E_NS1_11comp_targetILNS1_3genE2ELNS1_11target_archE906ELNS1_3gpuE6ELNS1_3repE0EEENS1_30default_config_static_selectorELNS0_4arch9wavefront6targetE0EEEvT1_.uses_vcc, 0
	.set _ZN7rocprim17ROCPRIM_400000_NS6detail17trampoline_kernelINS0_14default_configENS1_25partition_config_selectorILNS1_17partition_subalgoE8ElNS0_10empty_typeEbEEZZNS1_14partition_implILS5_8ELb0ES3_jPlPS6_PKS6_NS0_5tupleIJS9_S6_EEENSD_IJSA_SA_EEENS0_18inequality_wrapperIZN2at6native12_GLOBAL__N_124unique_dim_cuda_templateIfEESt5tupleIJNSH_6TensorESM_SM_EERKSM_lbbbEUlllE0_EEPmJS6_EEE10hipError_tPvRmT3_T4_T5_T6_T7_T9_mT8_P12ihipStream_tbDpT10_ENKUlT_T0_E_clISt17integral_constantIbLb0EES1B_IbLb1EEEEDaS17_S18_EUlS17_E_NS1_11comp_targetILNS1_3genE2ELNS1_11target_archE906ELNS1_3gpuE6ELNS1_3repE0EEENS1_30default_config_static_selectorELNS0_4arch9wavefront6targetE0EEEvT1_.uses_flat_scratch, 0
	.set _ZN7rocprim17ROCPRIM_400000_NS6detail17trampoline_kernelINS0_14default_configENS1_25partition_config_selectorILNS1_17partition_subalgoE8ElNS0_10empty_typeEbEEZZNS1_14partition_implILS5_8ELb0ES3_jPlPS6_PKS6_NS0_5tupleIJS9_S6_EEENSD_IJSA_SA_EEENS0_18inequality_wrapperIZN2at6native12_GLOBAL__N_124unique_dim_cuda_templateIfEESt5tupleIJNSH_6TensorESM_SM_EERKSM_lbbbEUlllE0_EEPmJS6_EEE10hipError_tPvRmT3_T4_T5_T6_T7_T9_mT8_P12ihipStream_tbDpT10_ENKUlT_T0_E_clISt17integral_constantIbLb0EES1B_IbLb1EEEEDaS17_S18_EUlS17_E_NS1_11comp_targetILNS1_3genE2ELNS1_11target_archE906ELNS1_3gpuE6ELNS1_3repE0EEENS1_30default_config_static_selectorELNS0_4arch9wavefront6targetE0EEEvT1_.has_dyn_sized_stack, 0
	.set _ZN7rocprim17ROCPRIM_400000_NS6detail17trampoline_kernelINS0_14default_configENS1_25partition_config_selectorILNS1_17partition_subalgoE8ElNS0_10empty_typeEbEEZZNS1_14partition_implILS5_8ELb0ES3_jPlPS6_PKS6_NS0_5tupleIJS9_S6_EEENSD_IJSA_SA_EEENS0_18inequality_wrapperIZN2at6native12_GLOBAL__N_124unique_dim_cuda_templateIfEESt5tupleIJNSH_6TensorESM_SM_EERKSM_lbbbEUlllE0_EEPmJS6_EEE10hipError_tPvRmT3_T4_T5_T6_T7_T9_mT8_P12ihipStream_tbDpT10_ENKUlT_T0_E_clISt17integral_constantIbLb0EES1B_IbLb1EEEEDaS17_S18_EUlS17_E_NS1_11comp_targetILNS1_3genE2ELNS1_11target_archE906ELNS1_3gpuE6ELNS1_3repE0EEENS1_30default_config_static_selectorELNS0_4arch9wavefront6targetE0EEEvT1_.has_recursion, 0
	.set _ZN7rocprim17ROCPRIM_400000_NS6detail17trampoline_kernelINS0_14default_configENS1_25partition_config_selectorILNS1_17partition_subalgoE8ElNS0_10empty_typeEbEEZZNS1_14partition_implILS5_8ELb0ES3_jPlPS6_PKS6_NS0_5tupleIJS9_S6_EEENSD_IJSA_SA_EEENS0_18inequality_wrapperIZN2at6native12_GLOBAL__N_124unique_dim_cuda_templateIfEESt5tupleIJNSH_6TensorESM_SM_EERKSM_lbbbEUlllE0_EEPmJS6_EEE10hipError_tPvRmT3_T4_T5_T6_T7_T9_mT8_P12ihipStream_tbDpT10_ENKUlT_T0_E_clISt17integral_constantIbLb0EES1B_IbLb1EEEEDaS17_S18_EUlS17_E_NS1_11comp_targetILNS1_3genE2ELNS1_11target_archE906ELNS1_3gpuE6ELNS1_3repE0EEENS1_30default_config_static_selectorELNS0_4arch9wavefront6targetE0EEEvT1_.has_indirect_call, 0
	.section	.AMDGPU.csdata,"",@progbits
; Kernel info:
; codeLenInByte = 0
; TotalNumSgprs: 0
; NumVgprs: 0
; ScratchSize: 0
; MemoryBound: 0
; FloatMode: 240
; IeeeMode: 1
; LDSByteSize: 0 bytes/workgroup (compile time only)
; SGPRBlocks: 0
; VGPRBlocks: 0
; NumSGPRsForWavesPerEU: 1
; NumVGPRsForWavesPerEU: 1
; NamedBarCnt: 0
; Occupancy: 16
; WaveLimiterHint : 0
; COMPUTE_PGM_RSRC2:SCRATCH_EN: 0
; COMPUTE_PGM_RSRC2:USER_SGPR: 2
; COMPUTE_PGM_RSRC2:TRAP_HANDLER: 0
; COMPUTE_PGM_RSRC2:TGID_X_EN: 1
; COMPUTE_PGM_RSRC2:TGID_Y_EN: 0
; COMPUTE_PGM_RSRC2:TGID_Z_EN: 0
; COMPUTE_PGM_RSRC2:TIDIG_COMP_CNT: 0
	.section	.text._ZN7rocprim17ROCPRIM_400000_NS6detail17trampoline_kernelINS0_14default_configENS1_25partition_config_selectorILNS1_17partition_subalgoE8ElNS0_10empty_typeEbEEZZNS1_14partition_implILS5_8ELb0ES3_jPlPS6_PKS6_NS0_5tupleIJS9_S6_EEENSD_IJSA_SA_EEENS0_18inequality_wrapperIZN2at6native12_GLOBAL__N_124unique_dim_cuda_templateIfEESt5tupleIJNSH_6TensorESM_SM_EERKSM_lbbbEUlllE0_EEPmJS6_EEE10hipError_tPvRmT3_T4_T5_T6_T7_T9_mT8_P12ihipStream_tbDpT10_ENKUlT_T0_E_clISt17integral_constantIbLb0EES1B_IbLb1EEEEDaS17_S18_EUlS17_E_NS1_11comp_targetILNS1_3genE10ELNS1_11target_archE1200ELNS1_3gpuE4ELNS1_3repE0EEENS1_30default_config_static_selectorELNS0_4arch9wavefront6targetE0EEEvT1_,"axG",@progbits,_ZN7rocprim17ROCPRIM_400000_NS6detail17trampoline_kernelINS0_14default_configENS1_25partition_config_selectorILNS1_17partition_subalgoE8ElNS0_10empty_typeEbEEZZNS1_14partition_implILS5_8ELb0ES3_jPlPS6_PKS6_NS0_5tupleIJS9_S6_EEENSD_IJSA_SA_EEENS0_18inequality_wrapperIZN2at6native12_GLOBAL__N_124unique_dim_cuda_templateIfEESt5tupleIJNSH_6TensorESM_SM_EERKSM_lbbbEUlllE0_EEPmJS6_EEE10hipError_tPvRmT3_T4_T5_T6_T7_T9_mT8_P12ihipStream_tbDpT10_ENKUlT_T0_E_clISt17integral_constantIbLb0EES1B_IbLb1EEEEDaS17_S18_EUlS17_E_NS1_11comp_targetILNS1_3genE10ELNS1_11target_archE1200ELNS1_3gpuE4ELNS1_3repE0EEENS1_30default_config_static_selectorELNS0_4arch9wavefront6targetE0EEEvT1_,comdat
	.globl	_ZN7rocprim17ROCPRIM_400000_NS6detail17trampoline_kernelINS0_14default_configENS1_25partition_config_selectorILNS1_17partition_subalgoE8ElNS0_10empty_typeEbEEZZNS1_14partition_implILS5_8ELb0ES3_jPlPS6_PKS6_NS0_5tupleIJS9_S6_EEENSD_IJSA_SA_EEENS0_18inequality_wrapperIZN2at6native12_GLOBAL__N_124unique_dim_cuda_templateIfEESt5tupleIJNSH_6TensorESM_SM_EERKSM_lbbbEUlllE0_EEPmJS6_EEE10hipError_tPvRmT3_T4_T5_T6_T7_T9_mT8_P12ihipStream_tbDpT10_ENKUlT_T0_E_clISt17integral_constantIbLb0EES1B_IbLb1EEEEDaS17_S18_EUlS17_E_NS1_11comp_targetILNS1_3genE10ELNS1_11target_archE1200ELNS1_3gpuE4ELNS1_3repE0EEENS1_30default_config_static_selectorELNS0_4arch9wavefront6targetE0EEEvT1_ ; -- Begin function _ZN7rocprim17ROCPRIM_400000_NS6detail17trampoline_kernelINS0_14default_configENS1_25partition_config_selectorILNS1_17partition_subalgoE8ElNS0_10empty_typeEbEEZZNS1_14partition_implILS5_8ELb0ES3_jPlPS6_PKS6_NS0_5tupleIJS9_S6_EEENSD_IJSA_SA_EEENS0_18inequality_wrapperIZN2at6native12_GLOBAL__N_124unique_dim_cuda_templateIfEESt5tupleIJNSH_6TensorESM_SM_EERKSM_lbbbEUlllE0_EEPmJS6_EEE10hipError_tPvRmT3_T4_T5_T6_T7_T9_mT8_P12ihipStream_tbDpT10_ENKUlT_T0_E_clISt17integral_constantIbLb0EES1B_IbLb1EEEEDaS17_S18_EUlS17_E_NS1_11comp_targetILNS1_3genE10ELNS1_11target_archE1200ELNS1_3gpuE4ELNS1_3repE0EEENS1_30default_config_static_selectorELNS0_4arch9wavefront6targetE0EEEvT1_
	.p2align	8
	.type	_ZN7rocprim17ROCPRIM_400000_NS6detail17trampoline_kernelINS0_14default_configENS1_25partition_config_selectorILNS1_17partition_subalgoE8ElNS0_10empty_typeEbEEZZNS1_14partition_implILS5_8ELb0ES3_jPlPS6_PKS6_NS0_5tupleIJS9_S6_EEENSD_IJSA_SA_EEENS0_18inequality_wrapperIZN2at6native12_GLOBAL__N_124unique_dim_cuda_templateIfEESt5tupleIJNSH_6TensorESM_SM_EERKSM_lbbbEUlllE0_EEPmJS6_EEE10hipError_tPvRmT3_T4_T5_T6_T7_T9_mT8_P12ihipStream_tbDpT10_ENKUlT_T0_E_clISt17integral_constantIbLb0EES1B_IbLb1EEEEDaS17_S18_EUlS17_E_NS1_11comp_targetILNS1_3genE10ELNS1_11target_archE1200ELNS1_3gpuE4ELNS1_3repE0EEENS1_30default_config_static_selectorELNS0_4arch9wavefront6targetE0EEEvT1_,@function
_ZN7rocprim17ROCPRIM_400000_NS6detail17trampoline_kernelINS0_14default_configENS1_25partition_config_selectorILNS1_17partition_subalgoE8ElNS0_10empty_typeEbEEZZNS1_14partition_implILS5_8ELb0ES3_jPlPS6_PKS6_NS0_5tupleIJS9_S6_EEENSD_IJSA_SA_EEENS0_18inequality_wrapperIZN2at6native12_GLOBAL__N_124unique_dim_cuda_templateIfEESt5tupleIJNSH_6TensorESM_SM_EERKSM_lbbbEUlllE0_EEPmJS6_EEE10hipError_tPvRmT3_T4_T5_T6_T7_T9_mT8_P12ihipStream_tbDpT10_ENKUlT_T0_E_clISt17integral_constantIbLb0EES1B_IbLb1EEEEDaS17_S18_EUlS17_E_NS1_11comp_targetILNS1_3genE10ELNS1_11target_archE1200ELNS1_3gpuE4ELNS1_3repE0EEENS1_30default_config_static_selectorELNS0_4arch9wavefront6targetE0EEEvT1_: ; @_ZN7rocprim17ROCPRIM_400000_NS6detail17trampoline_kernelINS0_14default_configENS1_25partition_config_selectorILNS1_17partition_subalgoE8ElNS0_10empty_typeEbEEZZNS1_14partition_implILS5_8ELb0ES3_jPlPS6_PKS6_NS0_5tupleIJS9_S6_EEENSD_IJSA_SA_EEENS0_18inequality_wrapperIZN2at6native12_GLOBAL__N_124unique_dim_cuda_templateIfEESt5tupleIJNSH_6TensorESM_SM_EERKSM_lbbbEUlllE0_EEPmJS6_EEE10hipError_tPvRmT3_T4_T5_T6_T7_T9_mT8_P12ihipStream_tbDpT10_ENKUlT_T0_E_clISt17integral_constantIbLb0EES1B_IbLb1EEEEDaS17_S18_EUlS17_E_NS1_11comp_targetILNS1_3genE10ELNS1_11target_archE1200ELNS1_3gpuE4ELNS1_3repE0EEENS1_30default_config_static_selectorELNS0_4arch9wavefront6targetE0EEEvT1_
; %bb.0:
	.section	.rodata,"a",@progbits
	.p2align	6, 0x0
	.amdhsa_kernel _ZN7rocprim17ROCPRIM_400000_NS6detail17trampoline_kernelINS0_14default_configENS1_25partition_config_selectorILNS1_17partition_subalgoE8ElNS0_10empty_typeEbEEZZNS1_14partition_implILS5_8ELb0ES3_jPlPS6_PKS6_NS0_5tupleIJS9_S6_EEENSD_IJSA_SA_EEENS0_18inequality_wrapperIZN2at6native12_GLOBAL__N_124unique_dim_cuda_templateIfEESt5tupleIJNSH_6TensorESM_SM_EERKSM_lbbbEUlllE0_EEPmJS6_EEE10hipError_tPvRmT3_T4_T5_T6_T7_T9_mT8_P12ihipStream_tbDpT10_ENKUlT_T0_E_clISt17integral_constantIbLb0EES1B_IbLb1EEEEDaS17_S18_EUlS17_E_NS1_11comp_targetILNS1_3genE10ELNS1_11target_archE1200ELNS1_3gpuE4ELNS1_3repE0EEENS1_30default_config_static_selectorELNS0_4arch9wavefront6targetE0EEEvT1_
		.amdhsa_group_segment_fixed_size 0
		.amdhsa_private_segment_fixed_size 0
		.amdhsa_kernarg_size 136
		.amdhsa_user_sgpr_count 2
		.amdhsa_user_sgpr_dispatch_ptr 0
		.amdhsa_user_sgpr_queue_ptr 0
		.amdhsa_user_sgpr_kernarg_segment_ptr 1
		.amdhsa_user_sgpr_dispatch_id 0
		.amdhsa_user_sgpr_kernarg_preload_length 0
		.amdhsa_user_sgpr_kernarg_preload_offset 0
		.amdhsa_user_sgpr_private_segment_size 0
		.amdhsa_wavefront_size32 1
		.amdhsa_uses_dynamic_stack 0
		.amdhsa_enable_private_segment 0
		.amdhsa_system_sgpr_workgroup_id_x 1
		.amdhsa_system_sgpr_workgroup_id_y 0
		.amdhsa_system_sgpr_workgroup_id_z 0
		.amdhsa_system_sgpr_workgroup_info 0
		.amdhsa_system_vgpr_workitem_id 0
		.amdhsa_next_free_vgpr 1
		.amdhsa_next_free_sgpr 1
		.amdhsa_named_barrier_count 0
		.amdhsa_reserve_vcc 0
		.amdhsa_float_round_mode_32 0
		.amdhsa_float_round_mode_16_64 0
		.amdhsa_float_denorm_mode_32 3
		.amdhsa_float_denorm_mode_16_64 3
		.amdhsa_fp16_overflow 0
		.amdhsa_memory_ordered 1
		.amdhsa_forward_progress 1
		.amdhsa_inst_pref_size 0
		.amdhsa_round_robin_scheduling 0
		.amdhsa_exception_fp_ieee_invalid_op 0
		.amdhsa_exception_fp_denorm_src 0
		.amdhsa_exception_fp_ieee_div_zero 0
		.amdhsa_exception_fp_ieee_overflow 0
		.amdhsa_exception_fp_ieee_underflow 0
		.amdhsa_exception_fp_ieee_inexact 0
		.amdhsa_exception_int_div_zero 0
	.end_amdhsa_kernel
	.section	.text._ZN7rocprim17ROCPRIM_400000_NS6detail17trampoline_kernelINS0_14default_configENS1_25partition_config_selectorILNS1_17partition_subalgoE8ElNS0_10empty_typeEbEEZZNS1_14partition_implILS5_8ELb0ES3_jPlPS6_PKS6_NS0_5tupleIJS9_S6_EEENSD_IJSA_SA_EEENS0_18inequality_wrapperIZN2at6native12_GLOBAL__N_124unique_dim_cuda_templateIfEESt5tupleIJNSH_6TensorESM_SM_EERKSM_lbbbEUlllE0_EEPmJS6_EEE10hipError_tPvRmT3_T4_T5_T6_T7_T9_mT8_P12ihipStream_tbDpT10_ENKUlT_T0_E_clISt17integral_constantIbLb0EES1B_IbLb1EEEEDaS17_S18_EUlS17_E_NS1_11comp_targetILNS1_3genE10ELNS1_11target_archE1200ELNS1_3gpuE4ELNS1_3repE0EEENS1_30default_config_static_selectorELNS0_4arch9wavefront6targetE0EEEvT1_,"axG",@progbits,_ZN7rocprim17ROCPRIM_400000_NS6detail17trampoline_kernelINS0_14default_configENS1_25partition_config_selectorILNS1_17partition_subalgoE8ElNS0_10empty_typeEbEEZZNS1_14partition_implILS5_8ELb0ES3_jPlPS6_PKS6_NS0_5tupleIJS9_S6_EEENSD_IJSA_SA_EEENS0_18inequality_wrapperIZN2at6native12_GLOBAL__N_124unique_dim_cuda_templateIfEESt5tupleIJNSH_6TensorESM_SM_EERKSM_lbbbEUlllE0_EEPmJS6_EEE10hipError_tPvRmT3_T4_T5_T6_T7_T9_mT8_P12ihipStream_tbDpT10_ENKUlT_T0_E_clISt17integral_constantIbLb0EES1B_IbLb1EEEEDaS17_S18_EUlS17_E_NS1_11comp_targetILNS1_3genE10ELNS1_11target_archE1200ELNS1_3gpuE4ELNS1_3repE0EEENS1_30default_config_static_selectorELNS0_4arch9wavefront6targetE0EEEvT1_,comdat
.Lfunc_end958:
	.size	_ZN7rocprim17ROCPRIM_400000_NS6detail17trampoline_kernelINS0_14default_configENS1_25partition_config_selectorILNS1_17partition_subalgoE8ElNS0_10empty_typeEbEEZZNS1_14partition_implILS5_8ELb0ES3_jPlPS6_PKS6_NS0_5tupleIJS9_S6_EEENSD_IJSA_SA_EEENS0_18inequality_wrapperIZN2at6native12_GLOBAL__N_124unique_dim_cuda_templateIfEESt5tupleIJNSH_6TensorESM_SM_EERKSM_lbbbEUlllE0_EEPmJS6_EEE10hipError_tPvRmT3_T4_T5_T6_T7_T9_mT8_P12ihipStream_tbDpT10_ENKUlT_T0_E_clISt17integral_constantIbLb0EES1B_IbLb1EEEEDaS17_S18_EUlS17_E_NS1_11comp_targetILNS1_3genE10ELNS1_11target_archE1200ELNS1_3gpuE4ELNS1_3repE0EEENS1_30default_config_static_selectorELNS0_4arch9wavefront6targetE0EEEvT1_, .Lfunc_end958-_ZN7rocprim17ROCPRIM_400000_NS6detail17trampoline_kernelINS0_14default_configENS1_25partition_config_selectorILNS1_17partition_subalgoE8ElNS0_10empty_typeEbEEZZNS1_14partition_implILS5_8ELb0ES3_jPlPS6_PKS6_NS0_5tupleIJS9_S6_EEENSD_IJSA_SA_EEENS0_18inequality_wrapperIZN2at6native12_GLOBAL__N_124unique_dim_cuda_templateIfEESt5tupleIJNSH_6TensorESM_SM_EERKSM_lbbbEUlllE0_EEPmJS6_EEE10hipError_tPvRmT3_T4_T5_T6_T7_T9_mT8_P12ihipStream_tbDpT10_ENKUlT_T0_E_clISt17integral_constantIbLb0EES1B_IbLb1EEEEDaS17_S18_EUlS17_E_NS1_11comp_targetILNS1_3genE10ELNS1_11target_archE1200ELNS1_3gpuE4ELNS1_3repE0EEENS1_30default_config_static_selectorELNS0_4arch9wavefront6targetE0EEEvT1_
                                        ; -- End function
	.set _ZN7rocprim17ROCPRIM_400000_NS6detail17trampoline_kernelINS0_14default_configENS1_25partition_config_selectorILNS1_17partition_subalgoE8ElNS0_10empty_typeEbEEZZNS1_14partition_implILS5_8ELb0ES3_jPlPS6_PKS6_NS0_5tupleIJS9_S6_EEENSD_IJSA_SA_EEENS0_18inequality_wrapperIZN2at6native12_GLOBAL__N_124unique_dim_cuda_templateIfEESt5tupleIJNSH_6TensorESM_SM_EERKSM_lbbbEUlllE0_EEPmJS6_EEE10hipError_tPvRmT3_T4_T5_T6_T7_T9_mT8_P12ihipStream_tbDpT10_ENKUlT_T0_E_clISt17integral_constantIbLb0EES1B_IbLb1EEEEDaS17_S18_EUlS17_E_NS1_11comp_targetILNS1_3genE10ELNS1_11target_archE1200ELNS1_3gpuE4ELNS1_3repE0EEENS1_30default_config_static_selectorELNS0_4arch9wavefront6targetE0EEEvT1_.num_vgpr, 0
	.set _ZN7rocprim17ROCPRIM_400000_NS6detail17trampoline_kernelINS0_14default_configENS1_25partition_config_selectorILNS1_17partition_subalgoE8ElNS0_10empty_typeEbEEZZNS1_14partition_implILS5_8ELb0ES3_jPlPS6_PKS6_NS0_5tupleIJS9_S6_EEENSD_IJSA_SA_EEENS0_18inequality_wrapperIZN2at6native12_GLOBAL__N_124unique_dim_cuda_templateIfEESt5tupleIJNSH_6TensorESM_SM_EERKSM_lbbbEUlllE0_EEPmJS6_EEE10hipError_tPvRmT3_T4_T5_T6_T7_T9_mT8_P12ihipStream_tbDpT10_ENKUlT_T0_E_clISt17integral_constantIbLb0EES1B_IbLb1EEEEDaS17_S18_EUlS17_E_NS1_11comp_targetILNS1_3genE10ELNS1_11target_archE1200ELNS1_3gpuE4ELNS1_3repE0EEENS1_30default_config_static_selectorELNS0_4arch9wavefront6targetE0EEEvT1_.num_agpr, 0
	.set _ZN7rocprim17ROCPRIM_400000_NS6detail17trampoline_kernelINS0_14default_configENS1_25partition_config_selectorILNS1_17partition_subalgoE8ElNS0_10empty_typeEbEEZZNS1_14partition_implILS5_8ELb0ES3_jPlPS6_PKS6_NS0_5tupleIJS9_S6_EEENSD_IJSA_SA_EEENS0_18inequality_wrapperIZN2at6native12_GLOBAL__N_124unique_dim_cuda_templateIfEESt5tupleIJNSH_6TensorESM_SM_EERKSM_lbbbEUlllE0_EEPmJS6_EEE10hipError_tPvRmT3_T4_T5_T6_T7_T9_mT8_P12ihipStream_tbDpT10_ENKUlT_T0_E_clISt17integral_constantIbLb0EES1B_IbLb1EEEEDaS17_S18_EUlS17_E_NS1_11comp_targetILNS1_3genE10ELNS1_11target_archE1200ELNS1_3gpuE4ELNS1_3repE0EEENS1_30default_config_static_selectorELNS0_4arch9wavefront6targetE0EEEvT1_.numbered_sgpr, 0
	.set _ZN7rocprim17ROCPRIM_400000_NS6detail17trampoline_kernelINS0_14default_configENS1_25partition_config_selectorILNS1_17partition_subalgoE8ElNS0_10empty_typeEbEEZZNS1_14partition_implILS5_8ELb0ES3_jPlPS6_PKS6_NS0_5tupleIJS9_S6_EEENSD_IJSA_SA_EEENS0_18inequality_wrapperIZN2at6native12_GLOBAL__N_124unique_dim_cuda_templateIfEESt5tupleIJNSH_6TensorESM_SM_EERKSM_lbbbEUlllE0_EEPmJS6_EEE10hipError_tPvRmT3_T4_T5_T6_T7_T9_mT8_P12ihipStream_tbDpT10_ENKUlT_T0_E_clISt17integral_constantIbLb0EES1B_IbLb1EEEEDaS17_S18_EUlS17_E_NS1_11comp_targetILNS1_3genE10ELNS1_11target_archE1200ELNS1_3gpuE4ELNS1_3repE0EEENS1_30default_config_static_selectorELNS0_4arch9wavefront6targetE0EEEvT1_.num_named_barrier, 0
	.set _ZN7rocprim17ROCPRIM_400000_NS6detail17trampoline_kernelINS0_14default_configENS1_25partition_config_selectorILNS1_17partition_subalgoE8ElNS0_10empty_typeEbEEZZNS1_14partition_implILS5_8ELb0ES3_jPlPS6_PKS6_NS0_5tupleIJS9_S6_EEENSD_IJSA_SA_EEENS0_18inequality_wrapperIZN2at6native12_GLOBAL__N_124unique_dim_cuda_templateIfEESt5tupleIJNSH_6TensorESM_SM_EERKSM_lbbbEUlllE0_EEPmJS6_EEE10hipError_tPvRmT3_T4_T5_T6_T7_T9_mT8_P12ihipStream_tbDpT10_ENKUlT_T0_E_clISt17integral_constantIbLb0EES1B_IbLb1EEEEDaS17_S18_EUlS17_E_NS1_11comp_targetILNS1_3genE10ELNS1_11target_archE1200ELNS1_3gpuE4ELNS1_3repE0EEENS1_30default_config_static_selectorELNS0_4arch9wavefront6targetE0EEEvT1_.private_seg_size, 0
	.set _ZN7rocprim17ROCPRIM_400000_NS6detail17trampoline_kernelINS0_14default_configENS1_25partition_config_selectorILNS1_17partition_subalgoE8ElNS0_10empty_typeEbEEZZNS1_14partition_implILS5_8ELb0ES3_jPlPS6_PKS6_NS0_5tupleIJS9_S6_EEENSD_IJSA_SA_EEENS0_18inequality_wrapperIZN2at6native12_GLOBAL__N_124unique_dim_cuda_templateIfEESt5tupleIJNSH_6TensorESM_SM_EERKSM_lbbbEUlllE0_EEPmJS6_EEE10hipError_tPvRmT3_T4_T5_T6_T7_T9_mT8_P12ihipStream_tbDpT10_ENKUlT_T0_E_clISt17integral_constantIbLb0EES1B_IbLb1EEEEDaS17_S18_EUlS17_E_NS1_11comp_targetILNS1_3genE10ELNS1_11target_archE1200ELNS1_3gpuE4ELNS1_3repE0EEENS1_30default_config_static_selectorELNS0_4arch9wavefront6targetE0EEEvT1_.uses_vcc, 0
	.set _ZN7rocprim17ROCPRIM_400000_NS6detail17trampoline_kernelINS0_14default_configENS1_25partition_config_selectorILNS1_17partition_subalgoE8ElNS0_10empty_typeEbEEZZNS1_14partition_implILS5_8ELb0ES3_jPlPS6_PKS6_NS0_5tupleIJS9_S6_EEENSD_IJSA_SA_EEENS0_18inequality_wrapperIZN2at6native12_GLOBAL__N_124unique_dim_cuda_templateIfEESt5tupleIJNSH_6TensorESM_SM_EERKSM_lbbbEUlllE0_EEPmJS6_EEE10hipError_tPvRmT3_T4_T5_T6_T7_T9_mT8_P12ihipStream_tbDpT10_ENKUlT_T0_E_clISt17integral_constantIbLb0EES1B_IbLb1EEEEDaS17_S18_EUlS17_E_NS1_11comp_targetILNS1_3genE10ELNS1_11target_archE1200ELNS1_3gpuE4ELNS1_3repE0EEENS1_30default_config_static_selectorELNS0_4arch9wavefront6targetE0EEEvT1_.uses_flat_scratch, 0
	.set _ZN7rocprim17ROCPRIM_400000_NS6detail17trampoline_kernelINS0_14default_configENS1_25partition_config_selectorILNS1_17partition_subalgoE8ElNS0_10empty_typeEbEEZZNS1_14partition_implILS5_8ELb0ES3_jPlPS6_PKS6_NS0_5tupleIJS9_S6_EEENSD_IJSA_SA_EEENS0_18inequality_wrapperIZN2at6native12_GLOBAL__N_124unique_dim_cuda_templateIfEESt5tupleIJNSH_6TensorESM_SM_EERKSM_lbbbEUlllE0_EEPmJS6_EEE10hipError_tPvRmT3_T4_T5_T6_T7_T9_mT8_P12ihipStream_tbDpT10_ENKUlT_T0_E_clISt17integral_constantIbLb0EES1B_IbLb1EEEEDaS17_S18_EUlS17_E_NS1_11comp_targetILNS1_3genE10ELNS1_11target_archE1200ELNS1_3gpuE4ELNS1_3repE0EEENS1_30default_config_static_selectorELNS0_4arch9wavefront6targetE0EEEvT1_.has_dyn_sized_stack, 0
	.set _ZN7rocprim17ROCPRIM_400000_NS6detail17trampoline_kernelINS0_14default_configENS1_25partition_config_selectorILNS1_17partition_subalgoE8ElNS0_10empty_typeEbEEZZNS1_14partition_implILS5_8ELb0ES3_jPlPS6_PKS6_NS0_5tupleIJS9_S6_EEENSD_IJSA_SA_EEENS0_18inequality_wrapperIZN2at6native12_GLOBAL__N_124unique_dim_cuda_templateIfEESt5tupleIJNSH_6TensorESM_SM_EERKSM_lbbbEUlllE0_EEPmJS6_EEE10hipError_tPvRmT3_T4_T5_T6_T7_T9_mT8_P12ihipStream_tbDpT10_ENKUlT_T0_E_clISt17integral_constantIbLb0EES1B_IbLb1EEEEDaS17_S18_EUlS17_E_NS1_11comp_targetILNS1_3genE10ELNS1_11target_archE1200ELNS1_3gpuE4ELNS1_3repE0EEENS1_30default_config_static_selectorELNS0_4arch9wavefront6targetE0EEEvT1_.has_recursion, 0
	.set _ZN7rocprim17ROCPRIM_400000_NS6detail17trampoline_kernelINS0_14default_configENS1_25partition_config_selectorILNS1_17partition_subalgoE8ElNS0_10empty_typeEbEEZZNS1_14partition_implILS5_8ELb0ES3_jPlPS6_PKS6_NS0_5tupleIJS9_S6_EEENSD_IJSA_SA_EEENS0_18inequality_wrapperIZN2at6native12_GLOBAL__N_124unique_dim_cuda_templateIfEESt5tupleIJNSH_6TensorESM_SM_EERKSM_lbbbEUlllE0_EEPmJS6_EEE10hipError_tPvRmT3_T4_T5_T6_T7_T9_mT8_P12ihipStream_tbDpT10_ENKUlT_T0_E_clISt17integral_constantIbLb0EES1B_IbLb1EEEEDaS17_S18_EUlS17_E_NS1_11comp_targetILNS1_3genE10ELNS1_11target_archE1200ELNS1_3gpuE4ELNS1_3repE0EEENS1_30default_config_static_selectorELNS0_4arch9wavefront6targetE0EEEvT1_.has_indirect_call, 0
	.section	.AMDGPU.csdata,"",@progbits
; Kernel info:
; codeLenInByte = 0
; TotalNumSgprs: 0
; NumVgprs: 0
; ScratchSize: 0
; MemoryBound: 0
; FloatMode: 240
; IeeeMode: 1
; LDSByteSize: 0 bytes/workgroup (compile time only)
; SGPRBlocks: 0
; VGPRBlocks: 0
; NumSGPRsForWavesPerEU: 1
; NumVGPRsForWavesPerEU: 1
; NamedBarCnt: 0
; Occupancy: 16
; WaveLimiterHint : 0
; COMPUTE_PGM_RSRC2:SCRATCH_EN: 0
; COMPUTE_PGM_RSRC2:USER_SGPR: 2
; COMPUTE_PGM_RSRC2:TRAP_HANDLER: 0
; COMPUTE_PGM_RSRC2:TGID_X_EN: 1
; COMPUTE_PGM_RSRC2:TGID_Y_EN: 0
; COMPUTE_PGM_RSRC2:TGID_Z_EN: 0
; COMPUTE_PGM_RSRC2:TIDIG_COMP_CNT: 0
	.section	.text._ZN7rocprim17ROCPRIM_400000_NS6detail17trampoline_kernelINS0_14default_configENS1_25partition_config_selectorILNS1_17partition_subalgoE8ElNS0_10empty_typeEbEEZZNS1_14partition_implILS5_8ELb0ES3_jPlPS6_PKS6_NS0_5tupleIJS9_S6_EEENSD_IJSA_SA_EEENS0_18inequality_wrapperIZN2at6native12_GLOBAL__N_124unique_dim_cuda_templateIfEESt5tupleIJNSH_6TensorESM_SM_EERKSM_lbbbEUlllE0_EEPmJS6_EEE10hipError_tPvRmT3_T4_T5_T6_T7_T9_mT8_P12ihipStream_tbDpT10_ENKUlT_T0_E_clISt17integral_constantIbLb0EES1B_IbLb1EEEEDaS17_S18_EUlS17_E_NS1_11comp_targetILNS1_3genE9ELNS1_11target_archE1100ELNS1_3gpuE3ELNS1_3repE0EEENS1_30default_config_static_selectorELNS0_4arch9wavefront6targetE0EEEvT1_,"axG",@progbits,_ZN7rocprim17ROCPRIM_400000_NS6detail17trampoline_kernelINS0_14default_configENS1_25partition_config_selectorILNS1_17partition_subalgoE8ElNS0_10empty_typeEbEEZZNS1_14partition_implILS5_8ELb0ES3_jPlPS6_PKS6_NS0_5tupleIJS9_S6_EEENSD_IJSA_SA_EEENS0_18inequality_wrapperIZN2at6native12_GLOBAL__N_124unique_dim_cuda_templateIfEESt5tupleIJNSH_6TensorESM_SM_EERKSM_lbbbEUlllE0_EEPmJS6_EEE10hipError_tPvRmT3_T4_T5_T6_T7_T9_mT8_P12ihipStream_tbDpT10_ENKUlT_T0_E_clISt17integral_constantIbLb0EES1B_IbLb1EEEEDaS17_S18_EUlS17_E_NS1_11comp_targetILNS1_3genE9ELNS1_11target_archE1100ELNS1_3gpuE3ELNS1_3repE0EEENS1_30default_config_static_selectorELNS0_4arch9wavefront6targetE0EEEvT1_,comdat
	.globl	_ZN7rocprim17ROCPRIM_400000_NS6detail17trampoline_kernelINS0_14default_configENS1_25partition_config_selectorILNS1_17partition_subalgoE8ElNS0_10empty_typeEbEEZZNS1_14partition_implILS5_8ELb0ES3_jPlPS6_PKS6_NS0_5tupleIJS9_S6_EEENSD_IJSA_SA_EEENS0_18inequality_wrapperIZN2at6native12_GLOBAL__N_124unique_dim_cuda_templateIfEESt5tupleIJNSH_6TensorESM_SM_EERKSM_lbbbEUlllE0_EEPmJS6_EEE10hipError_tPvRmT3_T4_T5_T6_T7_T9_mT8_P12ihipStream_tbDpT10_ENKUlT_T0_E_clISt17integral_constantIbLb0EES1B_IbLb1EEEEDaS17_S18_EUlS17_E_NS1_11comp_targetILNS1_3genE9ELNS1_11target_archE1100ELNS1_3gpuE3ELNS1_3repE0EEENS1_30default_config_static_selectorELNS0_4arch9wavefront6targetE0EEEvT1_ ; -- Begin function _ZN7rocprim17ROCPRIM_400000_NS6detail17trampoline_kernelINS0_14default_configENS1_25partition_config_selectorILNS1_17partition_subalgoE8ElNS0_10empty_typeEbEEZZNS1_14partition_implILS5_8ELb0ES3_jPlPS6_PKS6_NS0_5tupleIJS9_S6_EEENSD_IJSA_SA_EEENS0_18inequality_wrapperIZN2at6native12_GLOBAL__N_124unique_dim_cuda_templateIfEESt5tupleIJNSH_6TensorESM_SM_EERKSM_lbbbEUlllE0_EEPmJS6_EEE10hipError_tPvRmT3_T4_T5_T6_T7_T9_mT8_P12ihipStream_tbDpT10_ENKUlT_T0_E_clISt17integral_constantIbLb0EES1B_IbLb1EEEEDaS17_S18_EUlS17_E_NS1_11comp_targetILNS1_3genE9ELNS1_11target_archE1100ELNS1_3gpuE3ELNS1_3repE0EEENS1_30default_config_static_selectorELNS0_4arch9wavefront6targetE0EEEvT1_
	.p2align	8
	.type	_ZN7rocprim17ROCPRIM_400000_NS6detail17trampoline_kernelINS0_14default_configENS1_25partition_config_selectorILNS1_17partition_subalgoE8ElNS0_10empty_typeEbEEZZNS1_14partition_implILS5_8ELb0ES3_jPlPS6_PKS6_NS0_5tupleIJS9_S6_EEENSD_IJSA_SA_EEENS0_18inequality_wrapperIZN2at6native12_GLOBAL__N_124unique_dim_cuda_templateIfEESt5tupleIJNSH_6TensorESM_SM_EERKSM_lbbbEUlllE0_EEPmJS6_EEE10hipError_tPvRmT3_T4_T5_T6_T7_T9_mT8_P12ihipStream_tbDpT10_ENKUlT_T0_E_clISt17integral_constantIbLb0EES1B_IbLb1EEEEDaS17_S18_EUlS17_E_NS1_11comp_targetILNS1_3genE9ELNS1_11target_archE1100ELNS1_3gpuE3ELNS1_3repE0EEENS1_30default_config_static_selectorELNS0_4arch9wavefront6targetE0EEEvT1_,@function
_ZN7rocprim17ROCPRIM_400000_NS6detail17trampoline_kernelINS0_14default_configENS1_25partition_config_selectorILNS1_17partition_subalgoE8ElNS0_10empty_typeEbEEZZNS1_14partition_implILS5_8ELb0ES3_jPlPS6_PKS6_NS0_5tupleIJS9_S6_EEENSD_IJSA_SA_EEENS0_18inequality_wrapperIZN2at6native12_GLOBAL__N_124unique_dim_cuda_templateIfEESt5tupleIJNSH_6TensorESM_SM_EERKSM_lbbbEUlllE0_EEPmJS6_EEE10hipError_tPvRmT3_T4_T5_T6_T7_T9_mT8_P12ihipStream_tbDpT10_ENKUlT_T0_E_clISt17integral_constantIbLb0EES1B_IbLb1EEEEDaS17_S18_EUlS17_E_NS1_11comp_targetILNS1_3genE9ELNS1_11target_archE1100ELNS1_3gpuE3ELNS1_3repE0EEENS1_30default_config_static_selectorELNS0_4arch9wavefront6targetE0EEEvT1_: ; @_ZN7rocprim17ROCPRIM_400000_NS6detail17trampoline_kernelINS0_14default_configENS1_25partition_config_selectorILNS1_17partition_subalgoE8ElNS0_10empty_typeEbEEZZNS1_14partition_implILS5_8ELb0ES3_jPlPS6_PKS6_NS0_5tupleIJS9_S6_EEENSD_IJSA_SA_EEENS0_18inequality_wrapperIZN2at6native12_GLOBAL__N_124unique_dim_cuda_templateIfEESt5tupleIJNSH_6TensorESM_SM_EERKSM_lbbbEUlllE0_EEPmJS6_EEE10hipError_tPvRmT3_T4_T5_T6_T7_T9_mT8_P12ihipStream_tbDpT10_ENKUlT_T0_E_clISt17integral_constantIbLb0EES1B_IbLb1EEEEDaS17_S18_EUlS17_E_NS1_11comp_targetILNS1_3genE9ELNS1_11target_archE1100ELNS1_3gpuE3ELNS1_3repE0EEENS1_30default_config_static_selectorELNS0_4arch9wavefront6targetE0EEEvT1_
; %bb.0:
	.section	.rodata,"a",@progbits
	.p2align	6, 0x0
	.amdhsa_kernel _ZN7rocprim17ROCPRIM_400000_NS6detail17trampoline_kernelINS0_14default_configENS1_25partition_config_selectorILNS1_17partition_subalgoE8ElNS0_10empty_typeEbEEZZNS1_14partition_implILS5_8ELb0ES3_jPlPS6_PKS6_NS0_5tupleIJS9_S6_EEENSD_IJSA_SA_EEENS0_18inequality_wrapperIZN2at6native12_GLOBAL__N_124unique_dim_cuda_templateIfEESt5tupleIJNSH_6TensorESM_SM_EERKSM_lbbbEUlllE0_EEPmJS6_EEE10hipError_tPvRmT3_T4_T5_T6_T7_T9_mT8_P12ihipStream_tbDpT10_ENKUlT_T0_E_clISt17integral_constantIbLb0EES1B_IbLb1EEEEDaS17_S18_EUlS17_E_NS1_11comp_targetILNS1_3genE9ELNS1_11target_archE1100ELNS1_3gpuE3ELNS1_3repE0EEENS1_30default_config_static_selectorELNS0_4arch9wavefront6targetE0EEEvT1_
		.amdhsa_group_segment_fixed_size 0
		.amdhsa_private_segment_fixed_size 0
		.amdhsa_kernarg_size 136
		.amdhsa_user_sgpr_count 2
		.amdhsa_user_sgpr_dispatch_ptr 0
		.amdhsa_user_sgpr_queue_ptr 0
		.amdhsa_user_sgpr_kernarg_segment_ptr 1
		.amdhsa_user_sgpr_dispatch_id 0
		.amdhsa_user_sgpr_kernarg_preload_length 0
		.amdhsa_user_sgpr_kernarg_preload_offset 0
		.amdhsa_user_sgpr_private_segment_size 0
		.amdhsa_wavefront_size32 1
		.amdhsa_uses_dynamic_stack 0
		.amdhsa_enable_private_segment 0
		.amdhsa_system_sgpr_workgroup_id_x 1
		.amdhsa_system_sgpr_workgroup_id_y 0
		.amdhsa_system_sgpr_workgroup_id_z 0
		.amdhsa_system_sgpr_workgroup_info 0
		.amdhsa_system_vgpr_workitem_id 0
		.amdhsa_next_free_vgpr 1
		.amdhsa_next_free_sgpr 1
		.amdhsa_named_barrier_count 0
		.amdhsa_reserve_vcc 0
		.amdhsa_float_round_mode_32 0
		.amdhsa_float_round_mode_16_64 0
		.amdhsa_float_denorm_mode_32 3
		.amdhsa_float_denorm_mode_16_64 3
		.amdhsa_fp16_overflow 0
		.amdhsa_memory_ordered 1
		.amdhsa_forward_progress 1
		.amdhsa_inst_pref_size 0
		.amdhsa_round_robin_scheduling 0
		.amdhsa_exception_fp_ieee_invalid_op 0
		.amdhsa_exception_fp_denorm_src 0
		.amdhsa_exception_fp_ieee_div_zero 0
		.amdhsa_exception_fp_ieee_overflow 0
		.amdhsa_exception_fp_ieee_underflow 0
		.amdhsa_exception_fp_ieee_inexact 0
		.amdhsa_exception_int_div_zero 0
	.end_amdhsa_kernel
	.section	.text._ZN7rocprim17ROCPRIM_400000_NS6detail17trampoline_kernelINS0_14default_configENS1_25partition_config_selectorILNS1_17partition_subalgoE8ElNS0_10empty_typeEbEEZZNS1_14partition_implILS5_8ELb0ES3_jPlPS6_PKS6_NS0_5tupleIJS9_S6_EEENSD_IJSA_SA_EEENS0_18inequality_wrapperIZN2at6native12_GLOBAL__N_124unique_dim_cuda_templateIfEESt5tupleIJNSH_6TensorESM_SM_EERKSM_lbbbEUlllE0_EEPmJS6_EEE10hipError_tPvRmT3_T4_T5_T6_T7_T9_mT8_P12ihipStream_tbDpT10_ENKUlT_T0_E_clISt17integral_constantIbLb0EES1B_IbLb1EEEEDaS17_S18_EUlS17_E_NS1_11comp_targetILNS1_3genE9ELNS1_11target_archE1100ELNS1_3gpuE3ELNS1_3repE0EEENS1_30default_config_static_selectorELNS0_4arch9wavefront6targetE0EEEvT1_,"axG",@progbits,_ZN7rocprim17ROCPRIM_400000_NS6detail17trampoline_kernelINS0_14default_configENS1_25partition_config_selectorILNS1_17partition_subalgoE8ElNS0_10empty_typeEbEEZZNS1_14partition_implILS5_8ELb0ES3_jPlPS6_PKS6_NS0_5tupleIJS9_S6_EEENSD_IJSA_SA_EEENS0_18inequality_wrapperIZN2at6native12_GLOBAL__N_124unique_dim_cuda_templateIfEESt5tupleIJNSH_6TensorESM_SM_EERKSM_lbbbEUlllE0_EEPmJS6_EEE10hipError_tPvRmT3_T4_T5_T6_T7_T9_mT8_P12ihipStream_tbDpT10_ENKUlT_T0_E_clISt17integral_constantIbLb0EES1B_IbLb1EEEEDaS17_S18_EUlS17_E_NS1_11comp_targetILNS1_3genE9ELNS1_11target_archE1100ELNS1_3gpuE3ELNS1_3repE0EEENS1_30default_config_static_selectorELNS0_4arch9wavefront6targetE0EEEvT1_,comdat
.Lfunc_end959:
	.size	_ZN7rocprim17ROCPRIM_400000_NS6detail17trampoline_kernelINS0_14default_configENS1_25partition_config_selectorILNS1_17partition_subalgoE8ElNS0_10empty_typeEbEEZZNS1_14partition_implILS5_8ELb0ES3_jPlPS6_PKS6_NS0_5tupleIJS9_S6_EEENSD_IJSA_SA_EEENS0_18inequality_wrapperIZN2at6native12_GLOBAL__N_124unique_dim_cuda_templateIfEESt5tupleIJNSH_6TensorESM_SM_EERKSM_lbbbEUlllE0_EEPmJS6_EEE10hipError_tPvRmT3_T4_T5_T6_T7_T9_mT8_P12ihipStream_tbDpT10_ENKUlT_T0_E_clISt17integral_constantIbLb0EES1B_IbLb1EEEEDaS17_S18_EUlS17_E_NS1_11comp_targetILNS1_3genE9ELNS1_11target_archE1100ELNS1_3gpuE3ELNS1_3repE0EEENS1_30default_config_static_selectorELNS0_4arch9wavefront6targetE0EEEvT1_, .Lfunc_end959-_ZN7rocprim17ROCPRIM_400000_NS6detail17trampoline_kernelINS0_14default_configENS1_25partition_config_selectorILNS1_17partition_subalgoE8ElNS0_10empty_typeEbEEZZNS1_14partition_implILS5_8ELb0ES3_jPlPS6_PKS6_NS0_5tupleIJS9_S6_EEENSD_IJSA_SA_EEENS0_18inequality_wrapperIZN2at6native12_GLOBAL__N_124unique_dim_cuda_templateIfEESt5tupleIJNSH_6TensorESM_SM_EERKSM_lbbbEUlllE0_EEPmJS6_EEE10hipError_tPvRmT3_T4_T5_T6_T7_T9_mT8_P12ihipStream_tbDpT10_ENKUlT_T0_E_clISt17integral_constantIbLb0EES1B_IbLb1EEEEDaS17_S18_EUlS17_E_NS1_11comp_targetILNS1_3genE9ELNS1_11target_archE1100ELNS1_3gpuE3ELNS1_3repE0EEENS1_30default_config_static_selectorELNS0_4arch9wavefront6targetE0EEEvT1_
                                        ; -- End function
	.set _ZN7rocprim17ROCPRIM_400000_NS6detail17trampoline_kernelINS0_14default_configENS1_25partition_config_selectorILNS1_17partition_subalgoE8ElNS0_10empty_typeEbEEZZNS1_14partition_implILS5_8ELb0ES3_jPlPS6_PKS6_NS0_5tupleIJS9_S6_EEENSD_IJSA_SA_EEENS0_18inequality_wrapperIZN2at6native12_GLOBAL__N_124unique_dim_cuda_templateIfEESt5tupleIJNSH_6TensorESM_SM_EERKSM_lbbbEUlllE0_EEPmJS6_EEE10hipError_tPvRmT3_T4_T5_T6_T7_T9_mT8_P12ihipStream_tbDpT10_ENKUlT_T0_E_clISt17integral_constantIbLb0EES1B_IbLb1EEEEDaS17_S18_EUlS17_E_NS1_11comp_targetILNS1_3genE9ELNS1_11target_archE1100ELNS1_3gpuE3ELNS1_3repE0EEENS1_30default_config_static_selectorELNS0_4arch9wavefront6targetE0EEEvT1_.num_vgpr, 0
	.set _ZN7rocprim17ROCPRIM_400000_NS6detail17trampoline_kernelINS0_14default_configENS1_25partition_config_selectorILNS1_17partition_subalgoE8ElNS0_10empty_typeEbEEZZNS1_14partition_implILS5_8ELb0ES3_jPlPS6_PKS6_NS0_5tupleIJS9_S6_EEENSD_IJSA_SA_EEENS0_18inequality_wrapperIZN2at6native12_GLOBAL__N_124unique_dim_cuda_templateIfEESt5tupleIJNSH_6TensorESM_SM_EERKSM_lbbbEUlllE0_EEPmJS6_EEE10hipError_tPvRmT3_T4_T5_T6_T7_T9_mT8_P12ihipStream_tbDpT10_ENKUlT_T0_E_clISt17integral_constantIbLb0EES1B_IbLb1EEEEDaS17_S18_EUlS17_E_NS1_11comp_targetILNS1_3genE9ELNS1_11target_archE1100ELNS1_3gpuE3ELNS1_3repE0EEENS1_30default_config_static_selectorELNS0_4arch9wavefront6targetE0EEEvT1_.num_agpr, 0
	.set _ZN7rocprim17ROCPRIM_400000_NS6detail17trampoline_kernelINS0_14default_configENS1_25partition_config_selectorILNS1_17partition_subalgoE8ElNS0_10empty_typeEbEEZZNS1_14partition_implILS5_8ELb0ES3_jPlPS6_PKS6_NS0_5tupleIJS9_S6_EEENSD_IJSA_SA_EEENS0_18inequality_wrapperIZN2at6native12_GLOBAL__N_124unique_dim_cuda_templateIfEESt5tupleIJNSH_6TensorESM_SM_EERKSM_lbbbEUlllE0_EEPmJS6_EEE10hipError_tPvRmT3_T4_T5_T6_T7_T9_mT8_P12ihipStream_tbDpT10_ENKUlT_T0_E_clISt17integral_constantIbLb0EES1B_IbLb1EEEEDaS17_S18_EUlS17_E_NS1_11comp_targetILNS1_3genE9ELNS1_11target_archE1100ELNS1_3gpuE3ELNS1_3repE0EEENS1_30default_config_static_selectorELNS0_4arch9wavefront6targetE0EEEvT1_.numbered_sgpr, 0
	.set _ZN7rocprim17ROCPRIM_400000_NS6detail17trampoline_kernelINS0_14default_configENS1_25partition_config_selectorILNS1_17partition_subalgoE8ElNS0_10empty_typeEbEEZZNS1_14partition_implILS5_8ELb0ES3_jPlPS6_PKS6_NS0_5tupleIJS9_S6_EEENSD_IJSA_SA_EEENS0_18inequality_wrapperIZN2at6native12_GLOBAL__N_124unique_dim_cuda_templateIfEESt5tupleIJNSH_6TensorESM_SM_EERKSM_lbbbEUlllE0_EEPmJS6_EEE10hipError_tPvRmT3_T4_T5_T6_T7_T9_mT8_P12ihipStream_tbDpT10_ENKUlT_T0_E_clISt17integral_constantIbLb0EES1B_IbLb1EEEEDaS17_S18_EUlS17_E_NS1_11comp_targetILNS1_3genE9ELNS1_11target_archE1100ELNS1_3gpuE3ELNS1_3repE0EEENS1_30default_config_static_selectorELNS0_4arch9wavefront6targetE0EEEvT1_.num_named_barrier, 0
	.set _ZN7rocprim17ROCPRIM_400000_NS6detail17trampoline_kernelINS0_14default_configENS1_25partition_config_selectorILNS1_17partition_subalgoE8ElNS0_10empty_typeEbEEZZNS1_14partition_implILS5_8ELb0ES3_jPlPS6_PKS6_NS0_5tupleIJS9_S6_EEENSD_IJSA_SA_EEENS0_18inequality_wrapperIZN2at6native12_GLOBAL__N_124unique_dim_cuda_templateIfEESt5tupleIJNSH_6TensorESM_SM_EERKSM_lbbbEUlllE0_EEPmJS6_EEE10hipError_tPvRmT3_T4_T5_T6_T7_T9_mT8_P12ihipStream_tbDpT10_ENKUlT_T0_E_clISt17integral_constantIbLb0EES1B_IbLb1EEEEDaS17_S18_EUlS17_E_NS1_11comp_targetILNS1_3genE9ELNS1_11target_archE1100ELNS1_3gpuE3ELNS1_3repE0EEENS1_30default_config_static_selectorELNS0_4arch9wavefront6targetE0EEEvT1_.private_seg_size, 0
	.set _ZN7rocprim17ROCPRIM_400000_NS6detail17trampoline_kernelINS0_14default_configENS1_25partition_config_selectorILNS1_17partition_subalgoE8ElNS0_10empty_typeEbEEZZNS1_14partition_implILS5_8ELb0ES3_jPlPS6_PKS6_NS0_5tupleIJS9_S6_EEENSD_IJSA_SA_EEENS0_18inequality_wrapperIZN2at6native12_GLOBAL__N_124unique_dim_cuda_templateIfEESt5tupleIJNSH_6TensorESM_SM_EERKSM_lbbbEUlllE0_EEPmJS6_EEE10hipError_tPvRmT3_T4_T5_T6_T7_T9_mT8_P12ihipStream_tbDpT10_ENKUlT_T0_E_clISt17integral_constantIbLb0EES1B_IbLb1EEEEDaS17_S18_EUlS17_E_NS1_11comp_targetILNS1_3genE9ELNS1_11target_archE1100ELNS1_3gpuE3ELNS1_3repE0EEENS1_30default_config_static_selectorELNS0_4arch9wavefront6targetE0EEEvT1_.uses_vcc, 0
	.set _ZN7rocprim17ROCPRIM_400000_NS6detail17trampoline_kernelINS0_14default_configENS1_25partition_config_selectorILNS1_17partition_subalgoE8ElNS0_10empty_typeEbEEZZNS1_14partition_implILS5_8ELb0ES3_jPlPS6_PKS6_NS0_5tupleIJS9_S6_EEENSD_IJSA_SA_EEENS0_18inequality_wrapperIZN2at6native12_GLOBAL__N_124unique_dim_cuda_templateIfEESt5tupleIJNSH_6TensorESM_SM_EERKSM_lbbbEUlllE0_EEPmJS6_EEE10hipError_tPvRmT3_T4_T5_T6_T7_T9_mT8_P12ihipStream_tbDpT10_ENKUlT_T0_E_clISt17integral_constantIbLb0EES1B_IbLb1EEEEDaS17_S18_EUlS17_E_NS1_11comp_targetILNS1_3genE9ELNS1_11target_archE1100ELNS1_3gpuE3ELNS1_3repE0EEENS1_30default_config_static_selectorELNS0_4arch9wavefront6targetE0EEEvT1_.uses_flat_scratch, 0
	.set _ZN7rocprim17ROCPRIM_400000_NS6detail17trampoline_kernelINS0_14default_configENS1_25partition_config_selectorILNS1_17partition_subalgoE8ElNS0_10empty_typeEbEEZZNS1_14partition_implILS5_8ELb0ES3_jPlPS6_PKS6_NS0_5tupleIJS9_S6_EEENSD_IJSA_SA_EEENS0_18inequality_wrapperIZN2at6native12_GLOBAL__N_124unique_dim_cuda_templateIfEESt5tupleIJNSH_6TensorESM_SM_EERKSM_lbbbEUlllE0_EEPmJS6_EEE10hipError_tPvRmT3_T4_T5_T6_T7_T9_mT8_P12ihipStream_tbDpT10_ENKUlT_T0_E_clISt17integral_constantIbLb0EES1B_IbLb1EEEEDaS17_S18_EUlS17_E_NS1_11comp_targetILNS1_3genE9ELNS1_11target_archE1100ELNS1_3gpuE3ELNS1_3repE0EEENS1_30default_config_static_selectorELNS0_4arch9wavefront6targetE0EEEvT1_.has_dyn_sized_stack, 0
	.set _ZN7rocprim17ROCPRIM_400000_NS6detail17trampoline_kernelINS0_14default_configENS1_25partition_config_selectorILNS1_17partition_subalgoE8ElNS0_10empty_typeEbEEZZNS1_14partition_implILS5_8ELb0ES3_jPlPS6_PKS6_NS0_5tupleIJS9_S6_EEENSD_IJSA_SA_EEENS0_18inequality_wrapperIZN2at6native12_GLOBAL__N_124unique_dim_cuda_templateIfEESt5tupleIJNSH_6TensorESM_SM_EERKSM_lbbbEUlllE0_EEPmJS6_EEE10hipError_tPvRmT3_T4_T5_T6_T7_T9_mT8_P12ihipStream_tbDpT10_ENKUlT_T0_E_clISt17integral_constantIbLb0EES1B_IbLb1EEEEDaS17_S18_EUlS17_E_NS1_11comp_targetILNS1_3genE9ELNS1_11target_archE1100ELNS1_3gpuE3ELNS1_3repE0EEENS1_30default_config_static_selectorELNS0_4arch9wavefront6targetE0EEEvT1_.has_recursion, 0
	.set _ZN7rocprim17ROCPRIM_400000_NS6detail17trampoline_kernelINS0_14default_configENS1_25partition_config_selectorILNS1_17partition_subalgoE8ElNS0_10empty_typeEbEEZZNS1_14partition_implILS5_8ELb0ES3_jPlPS6_PKS6_NS0_5tupleIJS9_S6_EEENSD_IJSA_SA_EEENS0_18inequality_wrapperIZN2at6native12_GLOBAL__N_124unique_dim_cuda_templateIfEESt5tupleIJNSH_6TensorESM_SM_EERKSM_lbbbEUlllE0_EEPmJS6_EEE10hipError_tPvRmT3_T4_T5_T6_T7_T9_mT8_P12ihipStream_tbDpT10_ENKUlT_T0_E_clISt17integral_constantIbLb0EES1B_IbLb1EEEEDaS17_S18_EUlS17_E_NS1_11comp_targetILNS1_3genE9ELNS1_11target_archE1100ELNS1_3gpuE3ELNS1_3repE0EEENS1_30default_config_static_selectorELNS0_4arch9wavefront6targetE0EEEvT1_.has_indirect_call, 0
	.section	.AMDGPU.csdata,"",@progbits
; Kernel info:
; codeLenInByte = 0
; TotalNumSgprs: 0
; NumVgprs: 0
; ScratchSize: 0
; MemoryBound: 0
; FloatMode: 240
; IeeeMode: 1
; LDSByteSize: 0 bytes/workgroup (compile time only)
; SGPRBlocks: 0
; VGPRBlocks: 0
; NumSGPRsForWavesPerEU: 1
; NumVGPRsForWavesPerEU: 1
; NamedBarCnt: 0
; Occupancy: 16
; WaveLimiterHint : 0
; COMPUTE_PGM_RSRC2:SCRATCH_EN: 0
; COMPUTE_PGM_RSRC2:USER_SGPR: 2
; COMPUTE_PGM_RSRC2:TRAP_HANDLER: 0
; COMPUTE_PGM_RSRC2:TGID_X_EN: 1
; COMPUTE_PGM_RSRC2:TGID_Y_EN: 0
; COMPUTE_PGM_RSRC2:TGID_Z_EN: 0
; COMPUTE_PGM_RSRC2:TIDIG_COMP_CNT: 0
	.section	.text._ZN7rocprim17ROCPRIM_400000_NS6detail17trampoline_kernelINS0_14default_configENS1_25partition_config_selectorILNS1_17partition_subalgoE8ElNS0_10empty_typeEbEEZZNS1_14partition_implILS5_8ELb0ES3_jPlPS6_PKS6_NS0_5tupleIJS9_S6_EEENSD_IJSA_SA_EEENS0_18inequality_wrapperIZN2at6native12_GLOBAL__N_124unique_dim_cuda_templateIfEESt5tupleIJNSH_6TensorESM_SM_EERKSM_lbbbEUlllE0_EEPmJS6_EEE10hipError_tPvRmT3_T4_T5_T6_T7_T9_mT8_P12ihipStream_tbDpT10_ENKUlT_T0_E_clISt17integral_constantIbLb0EES1B_IbLb1EEEEDaS17_S18_EUlS17_E_NS1_11comp_targetILNS1_3genE8ELNS1_11target_archE1030ELNS1_3gpuE2ELNS1_3repE0EEENS1_30default_config_static_selectorELNS0_4arch9wavefront6targetE0EEEvT1_,"axG",@progbits,_ZN7rocprim17ROCPRIM_400000_NS6detail17trampoline_kernelINS0_14default_configENS1_25partition_config_selectorILNS1_17partition_subalgoE8ElNS0_10empty_typeEbEEZZNS1_14partition_implILS5_8ELb0ES3_jPlPS6_PKS6_NS0_5tupleIJS9_S6_EEENSD_IJSA_SA_EEENS0_18inequality_wrapperIZN2at6native12_GLOBAL__N_124unique_dim_cuda_templateIfEESt5tupleIJNSH_6TensorESM_SM_EERKSM_lbbbEUlllE0_EEPmJS6_EEE10hipError_tPvRmT3_T4_T5_T6_T7_T9_mT8_P12ihipStream_tbDpT10_ENKUlT_T0_E_clISt17integral_constantIbLb0EES1B_IbLb1EEEEDaS17_S18_EUlS17_E_NS1_11comp_targetILNS1_3genE8ELNS1_11target_archE1030ELNS1_3gpuE2ELNS1_3repE0EEENS1_30default_config_static_selectorELNS0_4arch9wavefront6targetE0EEEvT1_,comdat
	.globl	_ZN7rocprim17ROCPRIM_400000_NS6detail17trampoline_kernelINS0_14default_configENS1_25partition_config_selectorILNS1_17partition_subalgoE8ElNS0_10empty_typeEbEEZZNS1_14partition_implILS5_8ELb0ES3_jPlPS6_PKS6_NS0_5tupleIJS9_S6_EEENSD_IJSA_SA_EEENS0_18inequality_wrapperIZN2at6native12_GLOBAL__N_124unique_dim_cuda_templateIfEESt5tupleIJNSH_6TensorESM_SM_EERKSM_lbbbEUlllE0_EEPmJS6_EEE10hipError_tPvRmT3_T4_T5_T6_T7_T9_mT8_P12ihipStream_tbDpT10_ENKUlT_T0_E_clISt17integral_constantIbLb0EES1B_IbLb1EEEEDaS17_S18_EUlS17_E_NS1_11comp_targetILNS1_3genE8ELNS1_11target_archE1030ELNS1_3gpuE2ELNS1_3repE0EEENS1_30default_config_static_selectorELNS0_4arch9wavefront6targetE0EEEvT1_ ; -- Begin function _ZN7rocprim17ROCPRIM_400000_NS6detail17trampoline_kernelINS0_14default_configENS1_25partition_config_selectorILNS1_17partition_subalgoE8ElNS0_10empty_typeEbEEZZNS1_14partition_implILS5_8ELb0ES3_jPlPS6_PKS6_NS0_5tupleIJS9_S6_EEENSD_IJSA_SA_EEENS0_18inequality_wrapperIZN2at6native12_GLOBAL__N_124unique_dim_cuda_templateIfEESt5tupleIJNSH_6TensorESM_SM_EERKSM_lbbbEUlllE0_EEPmJS6_EEE10hipError_tPvRmT3_T4_T5_T6_T7_T9_mT8_P12ihipStream_tbDpT10_ENKUlT_T0_E_clISt17integral_constantIbLb0EES1B_IbLb1EEEEDaS17_S18_EUlS17_E_NS1_11comp_targetILNS1_3genE8ELNS1_11target_archE1030ELNS1_3gpuE2ELNS1_3repE0EEENS1_30default_config_static_selectorELNS0_4arch9wavefront6targetE0EEEvT1_
	.p2align	8
	.type	_ZN7rocprim17ROCPRIM_400000_NS6detail17trampoline_kernelINS0_14default_configENS1_25partition_config_selectorILNS1_17partition_subalgoE8ElNS0_10empty_typeEbEEZZNS1_14partition_implILS5_8ELb0ES3_jPlPS6_PKS6_NS0_5tupleIJS9_S6_EEENSD_IJSA_SA_EEENS0_18inequality_wrapperIZN2at6native12_GLOBAL__N_124unique_dim_cuda_templateIfEESt5tupleIJNSH_6TensorESM_SM_EERKSM_lbbbEUlllE0_EEPmJS6_EEE10hipError_tPvRmT3_T4_T5_T6_T7_T9_mT8_P12ihipStream_tbDpT10_ENKUlT_T0_E_clISt17integral_constantIbLb0EES1B_IbLb1EEEEDaS17_S18_EUlS17_E_NS1_11comp_targetILNS1_3genE8ELNS1_11target_archE1030ELNS1_3gpuE2ELNS1_3repE0EEENS1_30default_config_static_selectorELNS0_4arch9wavefront6targetE0EEEvT1_,@function
_ZN7rocprim17ROCPRIM_400000_NS6detail17trampoline_kernelINS0_14default_configENS1_25partition_config_selectorILNS1_17partition_subalgoE8ElNS0_10empty_typeEbEEZZNS1_14partition_implILS5_8ELb0ES3_jPlPS6_PKS6_NS0_5tupleIJS9_S6_EEENSD_IJSA_SA_EEENS0_18inequality_wrapperIZN2at6native12_GLOBAL__N_124unique_dim_cuda_templateIfEESt5tupleIJNSH_6TensorESM_SM_EERKSM_lbbbEUlllE0_EEPmJS6_EEE10hipError_tPvRmT3_T4_T5_T6_T7_T9_mT8_P12ihipStream_tbDpT10_ENKUlT_T0_E_clISt17integral_constantIbLb0EES1B_IbLb1EEEEDaS17_S18_EUlS17_E_NS1_11comp_targetILNS1_3genE8ELNS1_11target_archE1030ELNS1_3gpuE2ELNS1_3repE0EEENS1_30default_config_static_selectorELNS0_4arch9wavefront6targetE0EEEvT1_: ; @_ZN7rocprim17ROCPRIM_400000_NS6detail17trampoline_kernelINS0_14default_configENS1_25partition_config_selectorILNS1_17partition_subalgoE8ElNS0_10empty_typeEbEEZZNS1_14partition_implILS5_8ELb0ES3_jPlPS6_PKS6_NS0_5tupleIJS9_S6_EEENSD_IJSA_SA_EEENS0_18inequality_wrapperIZN2at6native12_GLOBAL__N_124unique_dim_cuda_templateIfEESt5tupleIJNSH_6TensorESM_SM_EERKSM_lbbbEUlllE0_EEPmJS6_EEE10hipError_tPvRmT3_T4_T5_T6_T7_T9_mT8_P12ihipStream_tbDpT10_ENKUlT_T0_E_clISt17integral_constantIbLb0EES1B_IbLb1EEEEDaS17_S18_EUlS17_E_NS1_11comp_targetILNS1_3genE8ELNS1_11target_archE1030ELNS1_3gpuE2ELNS1_3repE0EEENS1_30default_config_static_selectorELNS0_4arch9wavefront6targetE0EEEvT1_
; %bb.0:
	.section	.rodata,"a",@progbits
	.p2align	6, 0x0
	.amdhsa_kernel _ZN7rocprim17ROCPRIM_400000_NS6detail17trampoline_kernelINS0_14default_configENS1_25partition_config_selectorILNS1_17partition_subalgoE8ElNS0_10empty_typeEbEEZZNS1_14partition_implILS5_8ELb0ES3_jPlPS6_PKS6_NS0_5tupleIJS9_S6_EEENSD_IJSA_SA_EEENS0_18inequality_wrapperIZN2at6native12_GLOBAL__N_124unique_dim_cuda_templateIfEESt5tupleIJNSH_6TensorESM_SM_EERKSM_lbbbEUlllE0_EEPmJS6_EEE10hipError_tPvRmT3_T4_T5_T6_T7_T9_mT8_P12ihipStream_tbDpT10_ENKUlT_T0_E_clISt17integral_constantIbLb0EES1B_IbLb1EEEEDaS17_S18_EUlS17_E_NS1_11comp_targetILNS1_3genE8ELNS1_11target_archE1030ELNS1_3gpuE2ELNS1_3repE0EEENS1_30default_config_static_selectorELNS0_4arch9wavefront6targetE0EEEvT1_
		.amdhsa_group_segment_fixed_size 0
		.amdhsa_private_segment_fixed_size 0
		.amdhsa_kernarg_size 136
		.amdhsa_user_sgpr_count 2
		.amdhsa_user_sgpr_dispatch_ptr 0
		.amdhsa_user_sgpr_queue_ptr 0
		.amdhsa_user_sgpr_kernarg_segment_ptr 1
		.amdhsa_user_sgpr_dispatch_id 0
		.amdhsa_user_sgpr_kernarg_preload_length 0
		.amdhsa_user_sgpr_kernarg_preload_offset 0
		.amdhsa_user_sgpr_private_segment_size 0
		.amdhsa_wavefront_size32 1
		.amdhsa_uses_dynamic_stack 0
		.amdhsa_enable_private_segment 0
		.amdhsa_system_sgpr_workgroup_id_x 1
		.amdhsa_system_sgpr_workgroup_id_y 0
		.amdhsa_system_sgpr_workgroup_id_z 0
		.amdhsa_system_sgpr_workgroup_info 0
		.amdhsa_system_vgpr_workitem_id 0
		.amdhsa_next_free_vgpr 1
		.amdhsa_next_free_sgpr 1
		.amdhsa_named_barrier_count 0
		.amdhsa_reserve_vcc 0
		.amdhsa_float_round_mode_32 0
		.amdhsa_float_round_mode_16_64 0
		.amdhsa_float_denorm_mode_32 3
		.amdhsa_float_denorm_mode_16_64 3
		.amdhsa_fp16_overflow 0
		.amdhsa_memory_ordered 1
		.amdhsa_forward_progress 1
		.amdhsa_inst_pref_size 0
		.amdhsa_round_robin_scheduling 0
		.amdhsa_exception_fp_ieee_invalid_op 0
		.amdhsa_exception_fp_denorm_src 0
		.amdhsa_exception_fp_ieee_div_zero 0
		.amdhsa_exception_fp_ieee_overflow 0
		.amdhsa_exception_fp_ieee_underflow 0
		.amdhsa_exception_fp_ieee_inexact 0
		.amdhsa_exception_int_div_zero 0
	.end_amdhsa_kernel
	.section	.text._ZN7rocprim17ROCPRIM_400000_NS6detail17trampoline_kernelINS0_14default_configENS1_25partition_config_selectorILNS1_17partition_subalgoE8ElNS0_10empty_typeEbEEZZNS1_14partition_implILS5_8ELb0ES3_jPlPS6_PKS6_NS0_5tupleIJS9_S6_EEENSD_IJSA_SA_EEENS0_18inequality_wrapperIZN2at6native12_GLOBAL__N_124unique_dim_cuda_templateIfEESt5tupleIJNSH_6TensorESM_SM_EERKSM_lbbbEUlllE0_EEPmJS6_EEE10hipError_tPvRmT3_T4_T5_T6_T7_T9_mT8_P12ihipStream_tbDpT10_ENKUlT_T0_E_clISt17integral_constantIbLb0EES1B_IbLb1EEEEDaS17_S18_EUlS17_E_NS1_11comp_targetILNS1_3genE8ELNS1_11target_archE1030ELNS1_3gpuE2ELNS1_3repE0EEENS1_30default_config_static_selectorELNS0_4arch9wavefront6targetE0EEEvT1_,"axG",@progbits,_ZN7rocprim17ROCPRIM_400000_NS6detail17trampoline_kernelINS0_14default_configENS1_25partition_config_selectorILNS1_17partition_subalgoE8ElNS0_10empty_typeEbEEZZNS1_14partition_implILS5_8ELb0ES3_jPlPS6_PKS6_NS0_5tupleIJS9_S6_EEENSD_IJSA_SA_EEENS0_18inequality_wrapperIZN2at6native12_GLOBAL__N_124unique_dim_cuda_templateIfEESt5tupleIJNSH_6TensorESM_SM_EERKSM_lbbbEUlllE0_EEPmJS6_EEE10hipError_tPvRmT3_T4_T5_T6_T7_T9_mT8_P12ihipStream_tbDpT10_ENKUlT_T0_E_clISt17integral_constantIbLb0EES1B_IbLb1EEEEDaS17_S18_EUlS17_E_NS1_11comp_targetILNS1_3genE8ELNS1_11target_archE1030ELNS1_3gpuE2ELNS1_3repE0EEENS1_30default_config_static_selectorELNS0_4arch9wavefront6targetE0EEEvT1_,comdat
.Lfunc_end960:
	.size	_ZN7rocprim17ROCPRIM_400000_NS6detail17trampoline_kernelINS0_14default_configENS1_25partition_config_selectorILNS1_17partition_subalgoE8ElNS0_10empty_typeEbEEZZNS1_14partition_implILS5_8ELb0ES3_jPlPS6_PKS6_NS0_5tupleIJS9_S6_EEENSD_IJSA_SA_EEENS0_18inequality_wrapperIZN2at6native12_GLOBAL__N_124unique_dim_cuda_templateIfEESt5tupleIJNSH_6TensorESM_SM_EERKSM_lbbbEUlllE0_EEPmJS6_EEE10hipError_tPvRmT3_T4_T5_T6_T7_T9_mT8_P12ihipStream_tbDpT10_ENKUlT_T0_E_clISt17integral_constantIbLb0EES1B_IbLb1EEEEDaS17_S18_EUlS17_E_NS1_11comp_targetILNS1_3genE8ELNS1_11target_archE1030ELNS1_3gpuE2ELNS1_3repE0EEENS1_30default_config_static_selectorELNS0_4arch9wavefront6targetE0EEEvT1_, .Lfunc_end960-_ZN7rocprim17ROCPRIM_400000_NS6detail17trampoline_kernelINS0_14default_configENS1_25partition_config_selectorILNS1_17partition_subalgoE8ElNS0_10empty_typeEbEEZZNS1_14partition_implILS5_8ELb0ES3_jPlPS6_PKS6_NS0_5tupleIJS9_S6_EEENSD_IJSA_SA_EEENS0_18inequality_wrapperIZN2at6native12_GLOBAL__N_124unique_dim_cuda_templateIfEESt5tupleIJNSH_6TensorESM_SM_EERKSM_lbbbEUlllE0_EEPmJS6_EEE10hipError_tPvRmT3_T4_T5_T6_T7_T9_mT8_P12ihipStream_tbDpT10_ENKUlT_T0_E_clISt17integral_constantIbLb0EES1B_IbLb1EEEEDaS17_S18_EUlS17_E_NS1_11comp_targetILNS1_3genE8ELNS1_11target_archE1030ELNS1_3gpuE2ELNS1_3repE0EEENS1_30default_config_static_selectorELNS0_4arch9wavefront6targetE0EEEvT1_
                                        ; -- End function
	.set _ZN7rocprim17ROCPRIM_400000_NS6detail17trampoline_kernelINS0_14default_configENS1_25partition_config_selectorILNS1_17partition_subalgoE8ElNS0_10empty_typeEbEEZZNS1_14partition_implILS5_8ELb0ES3_jPlPS6_PKS6_NS0_5tupleIJS9_S6_EEENSD_IJSA_SA_EEENS0_18inequality_wrapperIZN2at6native12_GLOBAL__N_124unique_dim_cuda_templateIfEESt5tupleIJNSH_6TensorESM_SM_EERKSM_lbbbEUlllE0_EEPmJS6_EEE10hipError_tPvRmT3_T4_T5_T6_T7_T9_mT8_P12ihipStream_tbDpT10_ENKUlT_T0_E_clISt17integral_constantIbLb0EES1B_IbLb1EEEEDaS17_S18_EUlS17_E_NS1_11comp_targetILNS1_3genE8ELNS1_11target_archE1030ELNS1_3gpuE2ELNS1_3repE0EEENS1_30default_config_static_selectorELNS0_4arch9wavefront6targetE0EEEvT1_.num_vgpr, 0
	.set _ZN7rocprim17ROCPRIM_400000_NS6detail17trampoline_kernelINS0_14default_configENS1_25partition_config_selectorILNS1_17partition_subalgoE8ElNS0_10empty_typeEbEEZZNS1_14partition_implILS5_8ELb0ES3_jPlPS6_PKS6_NS0_5tupleIJS9_S6_EEENSD_IJSA_SA_EEENS0_18inequality_wrapperIZN2at6native12_GLOBAL__N_124unique_dim_cuda_templateIfEESt5tupleIJNSH_6TensorESM_SM_EERKSM_lbbbEUlllE0_EEPmJS6_EEE10hipError_tPvRmT3_T4_T5_T6_T7_T9_mT8_P12ihipStream_tbDpT10_ENKUlT_T0_E_clISt17integral_constantIbLb0EES1B_IbLb1EEEEDaS17_S18_EUlS17_E_NS1_11comp_targetILNS1_3genE8ELNS1_11target_archE1030ELNS1_3gpuE2ELNS1_3repE0EEENS1_30default_config_static_selectorELNS0_4arch9wavefront6targetE0EEEvT1_.num_agpr, 0
	.set _ZN7rocprim17ROCPRIM_400000_NS6detail17trampoline_kernelINS0_14default_configENS1_25partition_config_selectorILNS1_17partition_subalgoE8ElNS0_10empty_typeEbEEZZNS1_14partition_implILS5_8ELb0ES3_jPlPS6_PKS6_NS0_5tupleIJS9_S6_EEENSD_IJSA_SA_EEENS0_18inequality_wrapperIZN2at6native12_GLOBAL__N_124unique_dim_cuda_templateIfEESt5tupleIJNSH_6TensorESM_SM_EERKSM_lbbbEUlllE0_EEPmJS6_EEE10hipError_tPvRmT3_T4_T5_T6_T7_T9_mT8_P12ihipStream_tbDpT10_ENKUlT_T0_E_clISt17integral_constantIbLb0EES1B_IbLb1EEEEDaS17_S18_EUlS17_E_NS1_11comp_targetILNS1_3genE8ELNS1_11target_archE1030ELNS1_3gpuE2ELNS1_3repE0EEENS1_30default_config_static_selectorELNS0_4arch9wavefront6targetE0EEEvT1_.numbered_sgpr, 0
	.set _ZN7rocprim17ROCPRIM_400000_NS6detail17trampoline_kernelINS0_14default_configENS1_25partition_config_selectorILNS1_17partition_subalgoE8ElNS0_10empty_typeEbEEZZNS1_14partition_implILS5_8ELb0ES3_jPlPS6_PKS6_NS0_5tupleIJS9_S6_EEENSD_IJSA_SA_EEENS0_18inequality_wrapperIZN2at6native12_GLOBAL__N_124unique_dim_cuda_templateIfEESt5tupleIJNSH_6TensorESM_SM_EERKSM_lbbbEUlllE0_EEPmJS6_EEE10hipError_tPvRmT3_T4_T5_T6_T7_T9_mT8_P12ihipStream_tbDpT10_ENKUlT_T0_E_clISt17integral_constantIbLb0EES1B_IbLb1EEEEDaS17_S18_EUlS17_E_NS1_11comp_targetILNS1_3genE8ELNS1_11target_archE1030ELNS1_3gpuE2ELNS1_3repE0EEENS1_30default_config_static_selectorELNS0_4arch9wavefront6targetE0EEEvT1_.num_named_barrier, 0
	.set _ZN7rocprim17ROCPRIM_400000_NS6detail17trampoline_kernelINS0_14default_configENS1_25partition_config_selectorILNS1_17partition_subalgoE8ElNS0_10empty_typeEbEEZZNS1_14partition_implILS5_8ELb0ES3_jPlPS6_PKS6_NS0_5tupleIJS9_S6_EEENSD_IJSA_SA_EEENS0_18inequality_wrapperIZN2at6native12_GLOBAL__N_124unique_dim_cuda_templateIfEESt5tupleIJNSH_6TensorESM_SM_EERKSM_lbbbEUlllE0_EEPmJS6_EEE10hipError_tPvRmT3_T4_T5_T6_T7_T9_mT8_P12ihipStream_tbDpT10_ENKUlT_T0_E_clISt17integral_constantIbLb0EES1B_IbLb1EEEEDaS17_S18_EUlS17_E_NS1_11comp_targetILNS1_3genE8ELNS1_11target_archE1030ELNS1_3gpuE2ELNS1_3repE0EEENS1_30default_config_static_selectorELNS0_4arch9wavefront6targetE0EEEvT1_.private_seg_size, 0
	.set _ZN7rocprim17ROCPRIM_400000_NS6detail17trampoline_kernelINS0_14default_configENS1_25partition_config_selectorILNS1_17partition_subalgoE8ElNS0_10empty_typeEbEEZZNS1_14partition_implILS5_8ELb0ES3_jPlPS6_PKS6_NS0_5tupleIJS9_S6_EEENSD_IJSA_SA_EEENS0_18inequality_wrapperIZN2at6native12_GLOBAL__N_124unique_dim_cuda_templateIfEESt5tupleIJNSH_6TensorESM_SM_EERKSM_lbbbEUlllE0_EEPmJS6_EEE10hipError_tPvRmT3_T4_T5_T6_T7_T9_mT8_P12ihipStream_tbDpT10_ENKUlT_T0_E_clISt17integral_constantIbLb0EES1B_IbLb1EEEEDaS17_S18_EUlS17_E_NS1_11comp_targetILNS1_3genE8ELNS1_11target_archE1030ELNS1_3gpuE2ELNS1_3repE0EEENS1_30default_config_static_selectorELNS0_4arch9wavefront6targetE0EEEvT1_.uses_vcc, 0
	.set _ZN7rocprim17ROCPRIM_400000_NS6detail17trampoline_kernelINS0_14default_configENS1_25partition_config_selectorILNS1_17partition_subalgoE8ElNS0_10empty_typeEbEEZZNS1_14partition_implILS5_8ELb0ES3_jPlPS6_PKS6_NS0_5tupleIJS9_S6_EEENSD_IJSA_SA_EEENS0_18inequality_wrapperIZN2at6native12_GLOBAL__N_124unique_dim_cuda_templateIfEESt5tupleIJNSH_6TensorESM_SM_EERKSM_lbbbEUlllE0_EEPmJS6_EEE10hipError_tPvRmT3_T4_T5_T6_T7_T9_mT8_P12ihipStream_tbDpT10_ENKUlT_T0_E_clISt17integral_constantIbLb0EES1B_IbLb1EEEEDaS17_S18_EUlS17_E_NS1_11comp_targetILNS1_3genE8ELNS1_11target_archE1030ELNS1_3gpuE2ELNS1_3repE0EEENS1_30default_config_static_selectorELNS0_4arch9wavefront6targetE0EEEvT1_.uses_flat_scratch, 0
	.set _ZN7rocprim17ROCPRIM_400000_NS6detail17trampoline_kernelINS0_14default_configENS1_25partition_config_selectorILNS1_17partition_subalgoE8ElNS0_10empty_typeEbEEZZNS1_14partition_implILS5_8ELb0ES3_jPlPS6_PKS6_NS0_5tupleIJS9_S6_EEENSD_IJSA_SA_EEENS0_18inequality_wrapperIZN2at6native12_GLOBAL__N_124unique_dim_cuda_templateIfEESt5tupleIJNSH_6TensorESM_SM_EERKSM_lbbbEUlllE0_EEPmJS6_EEE10hipError_tPvRmT3_T4_T5_T6_T7_T9_mT8_P12ihipStream_tbDpT10_ENKUlT_T0_E_clISt17integral_constantIbLb0EES1B_IbLb1EEEEDaS17_S18_EUlS17_E_NS1_11comp_targetILNS1_3genE8ELNS1_11target_archE1030ELNS1_3gpuE2ELNS1_3repE0EEENS1_30default_config_static_selectorELNS0_4arch9wavefront6targetE0EEEvT1_.has_dyn_sized_stack, 0
	.set _ZN7rocprim17ROCPRIM_400000_NS6detail17trampoline_kernelINS0_14default_configENS1_25partition_config_selectorILNS1_17partition_subalgoE8ElNS0_10empty_typeEbEEZZNS1_14partition_implILS5_8ELb0ES3_jPlPS6_PKS6_NS0_5tupleIJS9_S6_EEENSD_IJSA_SA_EEENS0_18inequality_wrapperIZN2at6native12_GLOBAL__N_124unique_dim_cuda_templateIfEESt5tupleIJNSH_6TensorESM_SM_EERKSM_lbbbEUlllE0_EEPmJS6_EEE10hipError_tPvRmT3_T4_T5_T6_T7_T9_mT8_P12ihipStream_tbDpT10_ENKUlT_T0_E_clISt17integral_constantIbLb0EES1B_IbLb1EEEEDaS17_S18_EUlS17_E_NS1_11comp_targetILNS1_3genE8ELNS1_11target_archE1030ELNS1_3gpuE2ELNS1_3repE0EEENS1_30default_config_static_selectorELNS0_4arch9wavefront6targetE0EEEvT1_.has_recursion, 0
	.set _ZN7rocprim17ROCPRIM_400000_NS6detail17trampoline_kernelINS0_14default_configENS1_25partition_config_selectorILNS1_17partition_subalgoE8ElNS0_10empty_typeEbEEZZNS1_14partition_implILS5_8ELb0ES3_jPlPS6_PKS6_NS0_5tupleIJS9_S6_EEENSD_IJSA_SA_EEENS0_18inequality_wrapperIZN2at6native12_GLOBAL__N_124unique_dim_cuda_templateIfEESt5tupleIJNSH_6TensorESM_SM_EERKSM_lbbbEUlllE0_EEPmJS6_EEE10hipError_tPvRmT3_T4_T5_T6_T7_T9_mT8_P12ihipStream_tbDpT10_ENKUlT_T0_E_clISt17integral_constantIbLb0EES1B_IbLb1EEEEDaS17_S18_EUlS17_E_NS1_11comp_targetILNS1_3genE8ELNS1_11target_archE1030ELNS1_3gpuE2ELNS1_3repE0EEENS1_30default_config_static_selectorELNS0_4arch9wavefront6targetE0EEEvT1_.has_indirect_call, 0
	.section	.AMDGPU.csdata,"",@progbits
; Kernel info:
; codeLenInByte = 0
; TotalNumSgprs: 0
; NumVgprs: 0
; ScratchSize: 0
; MemoryBound: 0
; FloatMode: 240
; IeeeMode: 1
; LDSByteSize: 0 bytes/workgroup (compile time only)
; SGPRBlocks: 0
; VGPRBlocks: 0
; NumSGPRsForWavesPerEU: 1
; NumVGPRsForWavesPerEU: 1
; NamedBarCnt: 0
; Occupancy: 16
; WaveLimiterHint : 0
; COMPUTE_PGM_RSRC2:SCRATCH_EN: 0
; COMPUTE_PGM_RSRC2:USER_SGPR: 2
; COMPUTE_PGM_RSRC2:TRAP_HANDLER: 0
; COMPUTE_PGM_RSRC2:TGID_X_EN: 1
; COMPUTE_PGM_RSRC2:TGID_Y_EN: 0
; COMPUTE_PGM_RSRC2:TGID_Z_EN: 0
; COMPUTE_PGM_RSRC2:TIDIG_COMP_CNT: 0
	.section	.text._ZN7rocprim17ROCPRIM_400000_NS6detail17trampoline_kernelINS0_14default_configENS1_25partition_config_selectorILNS1_17partition_subalgoE9EllbEEZZNS1_14partition_implILS5_9ELb0ES3_jPlS8_PNS0_10empty_typeENS0_5tupleIJS8_S9_EEENSB_IJS8_SA_EEENS0_18inequality_wrapperIZN2at6native12_GLOBAL__N_124unique_dim_cuda_templateIfEESt5tupleIJNSF_6TensorESK_SK_EERKSK_lbbbEUlllE0_EEPmJS9_EEE10hipError_tPvRmT3_T4_T5_T6_T7_T9_mT8_P12ihipStream_tbDpT10_ENKUlT_T0_E_clISt17integral_constantIbLb0EES1A_EEDaS15_S16_EUlS15_E_NS1_11comp_targetILNS1_3genE0ELNS1_11target_archE4294967295ELNS1_3gpuE0ELNS1_3repE0EEENS1_30default_config_static_selectorELNS0_4arch9wavefront6targetE0EEEvT1_,"axG",@progbits,_ZN7rocprim17ROCPRIM_400000_NS6detail17trampoline_kernelINS0_14default_configENS1_25partition_config_selectorILNS1_17partition_subalgoE9EllbEEZZNS1_14partition_implILS5_9ELb0ES3_jPlS8_PNS0_10empty_typeENS0_5tupleIJS8_S9_EEENSB_IJS8_SA_EEENS0_18inequality_wrapperIZN2at6native12_GLOBAL__N_124unique_dim_cuda_templateIfEESt5tupleIJNSF_6TensorESK_SK_EERKSK_lbbbEUlllE0_EEPmJS9_EEE10hipError_tPvRmT3_T4_T5_T6_T7_T9_mT8_P12ihipStream_tbDpT10_ENKUlT_T0_E_clISt17integral_constantIbLb0EES1A_EEDaS15_S16_EUlS15_E_NS1_11comp_targetILNS1_3genE0ELNS1_11target_archE4294967295ELNS1_3gpuE0ELNS1_3repE0EEENS1_30default_config_static_selectorELNS0_4arch9wavefront6targetE0EEEvT1_,comdat
	.globl	_ZN7rocprim17ROCPRIM_400000_NS6detail17trampoline_kernelINS0_14default_configENS1_25partition_config_selectorILNS1_17partition_subalgoE9EllbEEZZNS1_14partition_implILS5_9ELb0ES3_jPlS8_PNS0_10empty_typeENS0_5tupleIJS8_S9_EEENSB_IJS8_SA_EEENS0_18inequality_wrapperIZN2at6native12_GLOBAL__N_124unique_dim_cuda_templateIfEESt5tupleIJNSF_6TensorESK_SK_EERKSK_lbbbEUlllE0_EEPmJS9_EEE10hipError_tPvRmT3_T4_T5_T6_T7_T9_mT8_P12ihipStream_tbDpT10_ENKUlT_T0_E_clISt17integral_constantIbLb0EES1A_EEDaS15_S16_EUlS15_E_NS1_11comp_targetILNS1_3genE0ELNS1_11target_archE4294967295ELNS1_3gpuE0ELNS1_3repE0EEENS1_30default_config_static_selectorELNS0_4arch9wavefront6targetE0EEEvT1_ ; -- Begin function _ZN7rocprim17ROCPRIM_400000_NS6detail17trampoline_kernelINS0_14default_configENS1_25partition_config_selectorILNS1_17partition_subalgoE9EllbEEZZNS1_14partition_implILS5_9ELb0ES3_jPlS8_PNS0_10empty_typeENS0_5tupleIJS8_S9_EEENSB_IJS8_SA_EEENS0_18inequality_wrapperIZN2at6native12_GLOBAL__N_124unique_dim_cuda_templateIfEESt5tupleIJNSF_6TensorESK_SK_EERKSK_lbbbEUlllE0_EEPmJS9_EEE10hipError_tPvRmT3_T4_T5_T6_T7_T9_mT8_P12ihipStream_tbDpT10_ENKUlT_T0_E_clISt17integral_constantIbLb0EES1A_EEDaS15_S16_EUlS15_E_NS1_11comp_targetILNS1_3genE0ELNS1_11target_archE4294967295ELNS1_3gpuE0ELNS1_3repE0EEENS1_30default_config_static_selectorELNS0_4arch9wavefront6targetE0EEEvT1_
	.p2align	8
	.type	_ZN7rocprim17ROCPRIM_400000_NS6detail17trampoline_kernelINS0_14default_configENS1_25partition_config_selectorILNS1_17partition_subalgoE9EllbEEZZNS1_14partition_implILS5_9ELb0ES3_jPlS8_PNS0_10empty_typeENS0_5tupleIJS8_S9_EEENSB_IJS8_SA_EEENS0_18inequality_wrapperIZN2at6native12_GLOBAL__N_124unique_dim_cuda_templateIfEESt5tupleIJNSF_6TensorESK_SK_EERKSK_lbbbEUlllE0_EEPmJS9_EEE10hipError_tPvRmT3_T4_T5_T6_T7_T9_mT8_P12ihipStream_tbDpT10_ENKUlT_T0_E_clISt17integral_constantIbLb0EES1A_EEDaS15_S16_EUlS15_E_NS1_11comp_targetILNS1_3genE0ELNS1_11target_archE4294967295ELNS1_3gpuE0ELNS1_3repE0EEENS1_30default_config_static_selectorELNS0_4arch9wavefront6targetE0EEEvT1_,@function
_ZN7rocprim17ROCPRIM_400000_NS6detail17trampoline_kernelINS0_14default_configENS1_25partition_config_selectorILNS1_17partition_subalgoE9EllbEEZZNS1_14partition_implILS5_9ELb0ES3_jPlS8_PNS0_10empty_typeENS0_5tupleIJS8_S9_EEENSB_IJS8_SA_EEENS0_18inequality_wrapperIZN2at6native12_GLOBAL__N_124unique_dim_cuda_templateIfEESt5tupleIJNSF_6TensorESK_SK_EERKSK_lbbbEUlllE0_EEPmJS9_EEE10hipError_tPvRmT3_T4_T5_T6_T7_T9_mT8_P12ihipStream_tbDpT10_ENKUlT_T0_E_clISt17integral_constantIbLb0EES1A_EEDaS15_S16_EUlS15_E_NS1_11comp_targetILNS1_3genE0ELNS1_11target_archE4294967295ELNS1_3gpuE0ELNS1_3repE0EEENS1_30default_config_static_selectorELNS0_4arch9wavefront6targetE0EEEvT1_: ; @_ZN7rocprim17ROCPRIM_400000_NS6detail17trampoline_kernelINS0_14default_configENS1_25partition_config_selectorILNS1_17partition_subalgoE9EllbEEZZNS1_14partition_implILS5_9ELb0ES3_jPlS8_PNS0_10empty_typeENS0_5tupleIJS8_S9_EEENSB_IJS8_SA_EEENS0_18inequality_wrapperIZN2at6native12_GLOBAL__N_124unique_dim_cuda_templateIfEESt5tupleIJNSF_6TensorESK_SK_EERKSK_lbbbEUlllE0_EEPmJS9_EEE10hipError_tPvRmT3_T4_T5_T6_T7_T9_mT8_P12ihipStream_tbDpT10_ENKUlT_T0_E_clISt17integral_constantIbLb0EES1A_EEDaS15_S16_EUlS15_E_NS1_11comp_targetILNS1_3genE0ELNS1_11target_archE4294967295ELNS1_3gpuE0ELNS1_3repE0EEENS1_30default_config_static_selectorELNS0_4arch9wavefront6targetE0EEEvT1_
; %bb.0:
	s_clause 0x2
	s_load_b128 s[4:7], s[0:1], 0x8
	s_load_b256 s[12:19], s[0:1], 0x40
	s_load_b32 s2, s[0:1], 0x70
	s_bfe_u32 s10, ttmp6, 0x4000c
	s_and_b32 s8, ttmp6, 15
	s_add_co_i32 s10, s10, 1
	s_load_b64 s[20:21], s[0:1], 0x18
	s_mul_i32 s10, ttmp9, s10
	s_getreg_b32 s24, hwreg(HW_REG_IB_STS2, 6, 4)
	s_add_co_i32 s10, s8, s10
	s_mov_b32 s9, 0
	v_dual_mov_b32 v1, v0 :: v_dual_lshlrev_b32 v34, 3, v0
	s_mov_b32 s11, s9
	s_mov_b32 s3, -1
	s_wait_kmcnt 0x0
	s_lshl_b64 s[22:23], s[6:7], 3
	s_load_b64 s[14:15], s[14:15], 0x0
	s_mul_i32 s8, s2, 0x280
	s_cmp_eq_u32 s24, 0
	s_add_nc_u64 s[24:25], s[6:7], s[8:9]
	s_cselect_b32 s26, ttmp9, s10
	s_add_co_i32 s8, s8, s6
	v_cmp_le_u64_e64 s9, s[16:17], s[24:25]
	s_sub_co_i32 s27, s16, s8
	s_add_co_i32 s2, s2, -1
	s_addk_co_i32 s27, 0x280
	s_cmp_eq_u32 s26, s2
	s_mul_i32 s10, s26, 0x280
	s_cselect_b32 s24, -1, 0
	s_add_nc_u64 s[4:5], s[4:5], s[22:23]
	s_and_b32 s28, s24, s9
	s_lshl_b64 s[16:17], s[10:11], 3
	s_xor_b32 s25, s28, -1
	s_add_nc_u64 s[4:5], s[4:5], s[16:17]
	s_and_b32 vcc_lo, exec_lo, s25
	s_cbranch_vccz .LBB961_2
; %bb.1:
	s_clause 0x4
	global_load_b64 v[2:3], v0, s[4:5] scale_offset
	global_load_b64 v[4:5], v0, s[4:5] offset:1024 scale_offset
	global_load_b64 v[6:7], v0, s[4:5] offset:2048 scale_offset
	;; [unrolled: 1-line block ×4, first 2 shown]
	v_lshlrev_b32_e32 v12, 3, v0
	s_mov_b32 s3, 0
	s_wait_loadcnt 0x3
	ds_store_2addr_stride64_b64 v12, v[2:3], v[4:5] offset1:2
	s_wait_loadcnt 0x1
	ds_store_2addr_stride64_b64 v12, v[6:7], v[8:9] offset0:4 offset1:6
	s_wait_loadcnt 0x0
	ds_store_b64 v12, v[10:11] offset:4096
	s_wait_dscnt 0x0
	s_barrier_signal -1
	s_barrier_wait -1
.LBB961_2:
	s_load_b128 s[8:11], s[0:1], 0x60
	v_cmp_gt_u32_e64 s2, s27, v0
	s_and_not1_b32 vcc_lo, exec_lo, s3
	s_cbranch_vccnz .LBB961_14
; %bb.3:
	v_mov_b32_e32 v2, 0
	s_delay_alu instid0(VALU_DEP_1)
	v_dual_mov_b32 v3, v2 :: v_dual_mov_b32 v4, v2
	v_dual_mov_b32 v5, v2 :: v_dual_mov_b32 v6, v2
	;; [unrolled: 1-line block ×4, first 2 shown]
	v_mov_b32_e32 v11, v2
	s_and_saveexec_b32 s3, s2
	s_cbranch_execz .LBB961_5
; %bb.4:
	global_load_b64 v[4:5], v0, s[4:5] scale_offset
	v_dual_mov_b32 v6, v2 :: v_dual_mov_b32 v7, v2
	v_dual_mov_b32 v8, v2 :: v_dual_mov_b32 v9, v2
	v_dual_mov_b32 v10, v2 :: v_dual_mov_b32 v11, v2
	v_dual_mov_b32 v12, v2 :: v_dual_mov_b32 v13, v2
	s_wait_loadcnt 0x0
	v_mov_b64_e32 v[2:3], v[4:5]
	v_mov_b64_e32 v[4:5], v[6:7]
	;; [unrolled: 1-line block ×8, first 2 shown]
.LBB961_5:
	s_or_b32 exec_lo, exec_lo, s3
	v_or_b32_e32 v12, 0x80, v0
	s_mov_b32 s2, exec_lo
	s_delay_alu instid0(VALU_DEP_1)
	v_cmpx_gt_u32_e64 s27, v12
	s_cbranch_execz .LBB961_7
; %bb.6:
	global_load_b64 v[4:5], v0, s[4:5] offset:1024 scale_offset
.LBB961_7:
	s_wait_xcnt 0x0
	s_or_b32 exec_lo, exec_lo, s2
	v_or_b32_e32 v12, 0x100, v0
	s_mov_b32 s2, exec_lo
	s_delay_alu instid0(VALU_DEP_1)
	v_cmpx_gt_u32_e64 s27, v12
	s_cbranch_execz .LBB961_9
; %bb.8:
	global_load_b64 v[6:7], v0, s[4:5] offset:2048 scale_offset
.LBB961_9:
	s_wait_xcnt 0x0
	;; [unrolled: 10-line block ×4, first 2 shown]
	s_or_b32 exec_lo, exec_lo, s2
	v_lshlrev_b32_e32 v12, 3, v0
	s_wait_loadcnt 0x0
	ds_store_2addr_stride64_b64 v12, v[2:3], v[4:5] offset1:2
	ds_store_2addr_stride64_b64 v12, v[6:7], v[8:9] offset0:4 offset1:6
	ds_store_b64 v12, v[10:11] offset:4096
	s_wait_dscnt 0x0
	s_barrier_signal -1
	s_barrier_wait -1
.LBB961_14:
	v_mul_u32_u24_e32 v30, 5, v0
	s_add_nc_u64 s[2:3], s[20:21], s[22:23]
	s_and_b32 vcc_lo, exec_lo, s25
	s_add_nc_u64 s[2:3], s[2:3], s[16:17]
	s_delay_alu instid0(VALU_DEP_1)
	v_lshlrev_b32_e32 v28, 3, v30
	s_mov_b32 s16, -1
	ds_load_2addr_b64 v[14:17], v28 offset1:1
	ds_load_2addr_b64 v[10:13], v28 offset0:2 offset1:3
	ds_load_b64 v[20:21], v28 offset:32
	s_wait_dscnt 0x0
	s_barrier_signal -1
	s_barrier_wait -1
	s_cbranch_vccz .LBB961_16
; %bb.15:
	s_clause 0x4
	global_load_b64 v[2:3], v0, s[2:3] scale_offset
	global_load_b64 v[4:5], v0, s[2:3] offset:1024 scale_offset
	global_load_b64 v[6:7], v0, s[2:3] offset:2048 scale_offset
	;; [unrolled: 1-line block ×4, first 2 shown]
	v_lshlrev_b32_e32 v22, 3, v0
	s_mov_b32 s16, 0
	s_wait_loadcnt 0x3
	ds_store_2addr_stride64_b64 v22, v[2:3], v[4:5] offset1:2
	s_wait_loadcnt 0x1
	ds_store_2addr_stride64_b64 v22, v[6:7], v[8:9] offset0:4 offset1:6
	s_wait_loadcnt 0x0
	ds_store_b64 v22, v[18:19] offset:4096
	s_wait_dscnt 0x0
	s_barrier_signal -1
	s_barrier_wait -1
.LBB961_16:
	s_and_not1_b32 vcc_lo, exec_lo, s16
	s_cbranch_vccnz .LBB961_28
; %bb.17:
	s_mov_b32 s16, exec_lo
                                        ; implicit-def: $vgpr2_vgpr3
	v_cmpx_gt_u32_e64 s27, v0
	s_cbranch_execz .LBB961_19
; %bb.18:
	global_load_b64 v[2:3], v0, s[2:3] scale_offset
.LBB961_19:
	s_wait_xcnt 0x0
	s_or_b32 exec_lo, exec_lo, s16
	v_or_b32_e32 v4, 0x80, v0
	s_delay_alu instid0(VALU_DEP_1)
	v_cmp_gt_u32_e32 vcc_lo, s27, v4
                                        ; implicit-def: $vgpr4_vgpr5
	s_and_saveexec_b32 s16, vcc_lo
	s_cbranch_execz .LBB961_21
; %bb.20:
	global_load_b64 v[4:5], v0, s[2:3] offset:1024 scale_offset
.LBB961_21:
	s_wait_xcnt 0x0
	s_or_b32 exec_lo, exec_lo, s16
	v_or_b32_e32 v6, 0x100, v0
	s_delay_alu instid0(VALU_DEP_1)
	v_cmp_gt_u32_e32 vcc_lo, s27, v6
                                        ; implicit-def: $vgpr6_vgpr7
	s_and_saveexec_b32 s16, vcc_lo
	s_cbranch_execz .LBB961_23
; %bb.22:
	global_load_b64 v[6:7], v0, s[2:3] offset:2048 scale_offset
.LBB961_23:
	s_wait_xcnt 0x0
	s_or_b32 exec_lo, exec_lo, s16
	v_or_b32_e32 v8, 0x180, v0
	s_delay_alu instid0(VALU_DEP_1)
	v_cmp_gt_u32_e32 vcc_lo, s27, v8
                                        ; implicit-def: $vgpr8_vgpr9
	s_and_saveexec_b32 s16, vcc_lo
	s_cbranch_execz .LBB961_25
; %bb.24:
	global_load_b64 v[8:9], v0, s[2:3] offset:3072 scale_offset
.LBB961_25:
	s_wait_xcnt 0x0
	s_or_b32 exec_lo, exec_lo, s16
	v_or_b32_e32 v18, 0x200, v0
	s_delay_alu instid0(VALU_DEP_1)
	v_cmp_gt_u32_e32 vcc_lo, s27, v18
                                        ; implicit-def: $vgpr18_vgpr19
	s_and_saveexec_b32 s16, vcc_lo
	s_cbranch_execz .LBB961_27
; %bb.26:
	global_load_b64 v[18:19], v0, s[2:3] offset:4096 scale_offset
.LBB961_27:
	s_wait_xcnt 0x0
	s_or_b32 exec_lo, exec_lo, s16
	v_lshlrev_b32_e32 v22, 5, v0
	s_delay_alu instid0(VALU_DEP_1)
	v_sub_nc_u32_e32 v22, v28, v22
	s_wait_loadcnt 0x0
	ds_store_2addr_stride64_b64 v22, v[2:3], v[4:5] offset1:2
	ds_store_2addr_stride64_b64 v22, v[6:7], v[8:9] offset0:4 offset1:6
	ds_store_b64 v22, v[18:19] offset:4096
	s_wait_dscnt 0x0
	s_barrier_signal -1
	s_barrier_wait -1
.LBB961_28:
	ds_load_b64 v[18:19], v28 offset:32
	ds_load_2addr_b64 v[2:5], v28 offset0:2 offset1:3
	ds_load_2addr_b64 v[6:9], v28 offset1:1
	s_cmp_lg_u32 s26, 0
	v_cmp_gt_i64_e64 s17, s[18:19], 0
	s_cselect_b32 s16, -1, 0
	s_cmp_lg_u64 s[6:7], 0
	s_mov_b32 s6, 0
	s_cselect_b32 s2, -1, 0
	s_wait_dscnt 0x0
	s_or_b32 s2, s16, s2
	s_barrier_signal -1
	s_and_b32 vcc_lo, exec_lo, s2
	s_barrier_wait -1
	s_cbranch_vccz .LBB961_40
; %bb.29:
	s_add_nc_u64 s[2:3], s[4:5], -8
	v_cndmask_b32_e64 v29, 0, 1, s17
	s_load_b64 s[4:5], s[2:3], 0x0
	v_lshlrev_b32_e32 v31, 3, v0
	s_and_b32 vcc_lo, exec_lo, s25
	s_wait_xcnt 0x0
	v_cmp_ne_u32_e64 s2, 1, v29
	ds_store_b64 v31, v[20:21]
	s_cbranch_vccz .LBB961_42
; %bb.30:
	s_and_b32 vcc_lo, exec_lo, s2
	s_cbranch_vccnz .LBB961_43
; %bb.31:
	v_mul_u64_e32 v[22:23], s[18:19], v[12:13]
	v_mul_u64_e32 v[24:25], s[18:19], v[20:21]
	s_add_nc_u64 s[6:7], s[18:19], -1
	s_mov_b32 s21, 0
	s_mov_b64 s[2:3], s[6:7]
                                        ; implicit-def: $sgpr20
	s_wait_kmcnt 0x0
	s_delay_alu instid0(VALU_DEP_2) | instskip(NEXT) | instid1(VALU_DEP_2)
	v_lshl_add_u64 v[22:23], v[22:23], 2, s[8:9]
	v_lshl_add_u64 v[24:25], v[24:25], 2, s[8:9]
	s_delay_alu instid0(VALU_DEP_2)
	v_mov_b64_e32 v[26:27], v[22:23]
.LBB961_32:                             ; =>This Inner Loop Header: Depth=1
	global_load_b32 v32, v[26:27], off
	global_load_b32 v33, v[24:25], off
	s_cmp_eq_u64 s[2:3], 0
	s_add_nc_u64 s[22:23], s[2:3], -1
	s_cselect_b32 s3, -1, 0
	s_wait_xcnt 0x1
	v_add_nc_u64_e32 v[26:27], 4, v[26:27]
	s_wait_xcnt 0x0
	v_add_nc_u64_e32 v[24:25], 4, v[24:25]
	s_wait_loadcnt 0x0
	v_cmp_neq_f32_e32 vcc_lo, v32, v33
	v_cmp_eq_f32_e64 s2, v32, v33
	s_or_b32 s3, vcc_lo, s3
	s_delay_alu instid0(SALU_CYCLE_1) | instskip(NEXT) | instid1(SALU_CYCLE_1)
	s_and_b32 s3, exec_lo, s3
	s_or_b32 s21, s3, s21
	s_and_not1_b32 s20, s20, exec_lo
	s_and_b32 s29, s2, exec_lo
	s_mov_b64 s[2:3], s[22:23]
	s_or_b32 s20, s20, s29
	s_and_not1_b32 exec_lo, exec_lo, s21
	s_cbranch_execnz .LBB961_32
; %bb.33:
	s_or_b32 exec_lo, exec_lo, s21
	v_mul_u64_e32 v[24:25], s[18:19], v[10:11]
	s_mov_b32 s22, 0
	s_mov_b64 s[2:3], s[6:7]
                                        ; implicit-def: $sgpr21
	s_delay_alu instid0(VALU_DEP_1) | instskip(NEXT) | instid1(VALU_DEP_1)
	v_lshl_add_u64 v[24:25], v[24:25], 2, s[8:9]
	v_mov_b64_e32 v[26:27], v[24:25]
.LBB961_34:                             ; =>This Inner Loop Header: Depth=1
	global_load_b32 v32, v[26:27], off
	global_load_b32 v33, v[22:23], off
	s_cmp_eq_u64 s[2:3], 0
	s_add_nc_u64 s[30:31], s[2:3], -1
	s_cselect_b32 s3, -1, 0
	s_wait_xcnt 0x1
	v_add_nc_u64_e32 v[26:27], 4, v[26:27]
	s_wait_xcnt 0x0
	v_add_nc_u64_e32 v[22:23], 4, v[22:23]
	s_wait_loadcnt 0x0
	v_cmp_neq_f32_e32 vcc_lo, v32, v33
	v_cmp_eq_f32_e64 s2, v32, v33
	s_or_b32 s3, vcc_lo, s3
	s_delay_alu instid0(SALU_CYCLE_1) | instskip(NEXT) | instid1(SALU_CYCLE_1)
	s_and_b32 s3, exec_lo, s3
	s_or_b32 s22, s3, s22
	s_and_not1_b32 s21, s21, exec_lo
	s_and_b32 s23, s2, exec_lo
	s_mov_b64 s[2:3], s[30:31]
	s_or_b32 s21, s21, s23
	s_and_not1_b32 exec_lo, exec_lo, s22
	s_cbranch_execnz .LBB961_34
; %bb.35:
	s_or_b32 exec_lo, exec_lo, s22
	v_mul_u64_e32 v[22:23], s[18:19], v[16:17]
	s_mov_b32 s23, 0
	s_mov_b64 s[2:3], s[6:7]
                                        ; implicit-def: $sgpr22
	s_delay_alu instid0(VALU_DEP_1) | instskip(NEXT) | instid1(VALU_DEP_1)
	v_lshl_add_u64 v[22:23], v[22:23], 2, s[8:9]
	v_mov_b64_e32 v[26:27], v[22:23]
.LBB961_36:                             ; =>This Inner Loop Header: Depth=1
	global_load_b32 v32, v[26:27], off
	global_load_b32 v33, v[24:25], off
	s_cmp_eq_u64 s[2:3], 0
	s_add_nc_u64 s[30:31], s[2:3], -1
	s_cselect_b32 s3, -1, 0
	s_wait_xcnt 0x1
	v_add_nc_u64_e32 v[26:27], 4, v[26:27]
	s_wait_xcnt 0x0
	v_add_nc_u64_e32 v[24:25], 4, v[24:25]
	s_wait_loadcnt 0x0
	v_cmp_neq_f32_e32 vcc_lo, v32, v33
	v_cmp_eq_f32_e64 s2, v32, v33
	s_or_b32 s3, vcc_lo, s3
	s_delay_alu instid0(SALU_CYCLE_1) | instskip(NEXT) | instid1(SALU_CYCLE_1)
	s_and_b32 s3, exec_lo, s3
	s_or_b32 s23, s3, s23
	s_and_not1_b32 s22, s22, exec_lo
	s_and_b32 s29, s2, exec_lo
	s_mov_b64 s[2:3], s[30:31]
	s_or_b32 s22, s22, s29
	s_and_not1_b32 exec_lo, exec_lo, s23
	s_cbranch_execnz .LBB961_36
; %bb.37:
	s_or_b32 exec_lo, exec_lo, s23
	v_mul_u64_e32 v[24:25], s[18:19], v[14:15]
	s_mov_b32 s23, 0
                                        ; implicit-def: $sgpr3
	s_delay_alu instid0(VALU_DEP_1)
	v_lshl_add_u64 v[24:25], v[24:25], 2, s[8:9]
.LBB961_38:                             ; =>This Inner Loop Header: Depth=1
	global_load_b32 v26, v[24:25], off
	global_load_b32 v27, v[22:23], off
	s_cmp_eq_u64 s[6:7], 0
	s_add_nc_u64 s[30:31], s[6:7], -1
	s_cselect_b32 s6, -1, 0
	s_wait_xcnt 0x1
	v_add_nc_u64_e32 v[24:25], 4, v[24:25]
	s_wait_xcnt 0x0
	v_add_nc_u64_e32 v[22:23], 4, v[22:23]
	s_wait_loadcnt 0x0
	v_cmp_neq_f32_e32 vcc_lo, v26, v27
	v_cmp_eq_f32_e64 s2, v26, v27
	s_or_b32 s6, vcc_lo, s6
	s_delay_alu instid0(SALU_CYCLE_1) | instskip(NEXT) | instid1(SALU_CYCLE_1)
	s_and_b32 s6, exec_lo, s6
	s_or_b32 s23, s6, s23
	s_and_not1_b32 s3, s3, exec_lo
	s_and_b32 s2, s2, exec_lo
	s_mov_b64 s[6:7], s[30:31]
	s_or_b32 s3, s3, s2
	s_and_not1_b32 exec_lo, exec_lo, s23
	s_cbranch_execnz .LBB961_38
; %bb.39:
	s_or_b32 exec_lo, exec_lo, s23
	s_xor_b32 s2, s21, -1
	s_xor_b32 s3, s3, -1
	v_cndmask_b32_e64 v22, 0, 1, s2
	s_xor_b32 s2, s22, -1
	s_delay_alu instid0(SALU_CYCLE_1) | instskip(SKIP_1) | instid1(VALU_DEP_2)
	v_cndmask_b32_e64 v23, 0, 1, s2
	s_xor_b32 s2, s20, -1
	v_lshlrev_b16 v22, 8, v22
	v_cndmask_b32_e64 v35, 0, 1, s2
	s_delay_alu instid0(VALU_DEP_2) | instskip(NEXT) | instid1(VALU_DEP_1)
	v_lshrrev_b32_e32 v22, 8, v22
	v_lshlrev_b16 v22, 8, v22
	s_delay_alu instid0(VALU_DEP_1) | instskip(NEXT) | instid1(VALU_DEP_1)
	v_or_b32_e32 v22, v23, v22
	v_lshlrev_b32_e32 v24, 16, v22
	s_branch .LBB961_44
.LBB961_40:
                                        ; implicit-def: $sgpr2
                                        ; implicit-def: $vgpr35
                                        ; implicit-def: $vgpr25
	s_branch .LBB961_85
.LBB961_41:
                                        ; implicit-def: $vgpr24
                                        ; implicit-def: $vgpr23
                                        ; implicit-def: $vgpr36
                                        ; implicit-def: $vgpr22
	s_branch .LBB961_138
.LBB961_42:
                                        ; implicit-def: $sgpr2
                                        ; implicit-def: $vgpr35
                                        ; implicit-def: $vgpr25
	s_cbranch_execnz .LBB961_51
	s_branch .LBB961_84
.LBB961_43:
	v_dual_mov_b32 v24, 0 :: v_dual_mov_b32 v35, 0
	s_mov_b32 s3, 0
.LBB961_44:
	s_wait_kmcnt 0x0
	v_mov_b64_e32 v[22:23], s[4:5]
	s_mov_b32 s2, 0
	s_mov_b32 s6, exec_lo
	s_wait_dscnt 0x0
	s_barrier_signal -1
	s_barrier_wait -1
	v_cmpx_ne_u32_e32 0, v0
; %bb.45:
	v_add_nc_u32_e32 v22, -8, v31
	ds_load_b64 v[22:23], v22
; %bb.46:
	s_or_b32 exec_lo, exec_lo, s6
	v_cndmask_b32_e64 v25, 0, 1, s3
	v_lshrrev_b32_e32 v26, 16, v24
	s_and_not1_b32 vcc_lo, exec_lo, s17
	s_delay_alu instid0(VALU_DEP_2) | instskip(NEXT) | instid1(VALU_DEP_2)
	v_lshlrev_b16 v25, 8, v25
	v_perm_b32 v26, v26, v24, 0xc0c0304
	s_delay_alu instid0(VALU_DEP_2) | instskip(NEXT) | instid1(VALU_DEP_1)
	v_bitop3_b16 v25, v24, v25, 0xff bitop3:0xec
	v_and_b32_e32 v27, 0xffff, v25
	s_cbranch_vccnz .LBB961_50
; %bb.47:
	s_wait_dscnt 0x0
	v_mul_u64_e32 v[22:23], s[18:19], v[22:23]
	v_mul_u64_e32 v[24:25], s[18:19], v[14:15]
	s_add_nc_u64 s[2:3], s[18:19], -1
	s_mov_b32 s6, 0
                                        ; implicit-def: $sgpr7
	s_delay_alu instid0(VALU_DEP_2) | instskip(NEXT) | instid1(VALU_DEP_2)
	v_lshl_add_u64 v[22:23], v[22:23], 2, s[8:9]
	v_lshl_add_u64 v[24:25], v[24:25], 2, s[8:9]
.LBB961_48:                             ; =>This Inner Loop Header: Depth=1
	global_load_b32 v32, v[22:23], off
	global_load_b32 v33, v[24:25], off
	s_cmp_eq_u64 s[2:3], 0
	s_add_nc_u64 s[20:21], s[2:3], -1
	s_cselect_b32 s3, -1, 0
	s_wait_xcnt 0x1
	v_add_nc_u64_e32 v[22:23], 4, v[22:23]
	s_wait_xcnt 0x0
	v_add_nc_u64_e32 v[24:25], 4, v[24:25]
	s_wait_loadcnt 0x0
	v_cmp_neq_f32_e32 vcc_lo, v32, v33
	v_cmp_eq_f32_e64 s2, v32, v33
	s_or_b32 s3, vcc_lo, s3
	s_delay_alu instid0(SALU_CYCLE_1) | instskip(NEXT) | instid1(SALU_CYCLE_1)
	s_and_b32 s3, exec_lo, s3
	s_or_b32 s6, s3, s6
	s_and_not1_b32 s7, s7, exec_lo
	s_and_b32 s22, s2, exec_lo
	s_mov_b64 s[2:3], s[20:21]
	s_or_b32 s7, s7, s22
	s_and_not1_b32 exec_lo, exec_lo, s6
	s_cbranch_execnz .LBB961_48
; %bb.49:
	s_or_b32 exec_lo, exec_lo, s6
	s_xor_b32 s2, s7, -1
.LBB961_50:
	s_delay_alu instid0(VALU_DEP_1)
	v_lshl_or_b32 v25, v26, 16, v27
	s_branch .LBB961_84
.LBB961_51:
	s_wait_dscnt 0x0
	v_add_nc_u32_e32 v22, 4, v30
	s_mov_b32 s7, 0
	s_mov_b32 s6, 0
	s_mov_b32 s20, exec_lo
	s_delay_alu instid0(VALU_DEP_1)
	v_cmpx_gt_u32_e64 s27, v22
	s_cbranch_execz .LBB961_57
; %bb.52:
	s_and_not1_b32 vcc_lo, exec_lo, s17
	s_mov_b32 s2, 0
	s_cbranch_vccnz .LBB961_56
; %bb.53:
	v_mul_u64_e32 v[22:23], s[18:19], v[12:13]
	v_mul_u64_e32 v[24:25], s[18:19], v[20:21]
	s_add_nc_u64 s[2:3], s[18:19], -1
                                        ; implicit-def: $sgpr17
	s_wait_kmcnt 0x0
	s_delay_alu instid0(VALU_DEP_2) | instskip(NEXT) | instid1(VALU_DEP_2)
	v_lshl_add_u64 v[22:23], v[22:23], 2, s[8:9]
	v_lshl_add_u64 v[24:25], v[24:25], 2, s[8:9]
.LBB961_54:                             ; =>This Inner Loop Header: Depth=1
	global_load_b32 v26, v[22:23], off
	global_load_b32 v27, v[24:25], off
	s_cmp_eq_u64 s[2:3], 0
	s_add_nc_u64 s[22:23], s[2:3], -1
	s_cselect_b32 s3, -1, 0
	s_wait_xcnt 0x1
	v_add_nc_u64_e32 v[22:23], 4, v[22:23]
	s_wait_xcnt 0x0
	v_add_nc_u64_e32 v[24:25], 4, v[24:25]
	s_wait_loadcnt 0x0
	v_cmp_neq_f32_e32 vcc_lo, v26, v27
	v_cmp_eq_f32_e64 s2, v26, v27
	s_or_b32 s3, vcc_lo, s3
	s_delay_alu instid0(SALU_CYCLE_1) | instskip(NEXT) | instid1(SALU_CYCLE_1)
	s_and_b32 s3, exec_lo, s3
	s_or_b32 s6, s3, s6
	s_and_not1_b32 s17, s17, exec_lo
	s_and_b32 s21, s2, exec_lo
	s_mov_b64 s[2:3], s[22:23]
	s_or_b32 s17, s17, s21
	s_and_not1_b32 exec_lo, exec_lo, s6
	s_cbranch_execnz .LBB961_54
; %bb.55:
	s_or_b32 exec_lo, exec_lo, s6
	s_xor_b32 s2, s17, -1
.LBB961_56:
	s_delay_alu instid0(SALU_CYCLE_1)
	s_and_b32 s6, s2, exec_lo
.LBB961_57:
	s_or_b32 exec_lo, exec_lo, s20
	v_add_nc_u32_e32 v22, 3, v30
	s_mov_b32 s17, exec_lo
	s_delay_alu instid0(VALU_DEP_1)
	v_cmpx_gt_u32_e64 s27, v22
	s_cbranch_execz .LBB961_63
; %bb.58:
	v_cmp_ne_u32_e32 vcc_lo, 1, v29
	s_mov_b32 s2, 0
	s_cbranch_vccnz .LBB961_62
; %bb.59:
	v_mul_u64_e32 v[22:23], s[18:19], v[10:11]
	v_mul_u64_e32 v[24:25], s[18:19], v[12:13]
	s_add_nc_u64 s[2:3], s[18:19], -1
	s_mov_b32 s7, 0
                                        ; implicit-def: $sgpr20
	s_wait_kmcnt 0x0
	s_delay_alu instid0(VALU_DEP_2) | instskip(NEXT) | instid1(VALU_DEP_2)
	v_lshl_add_u64 v[22:23], v[22:23], 2, s[8:9]
	v_lshl_add_u64 v[24:25], v[24:25], 2, s[8:9]
.LBB961_60:                             ; =>This Inner Loop Header: Depth=1
	global_load_b32 v26, v[22:23], off
	global_load_b32 v27, v[24:25], off
	s_cmp_eq_u64 s[2:3], 0
	s_add_nc_u64 s[22:23], s[2:3], -1
	s_cselect_b32 s3, -1, 0
	s_wait_xcnt 0x1
	v_add_nc_u64_e32 v[22:23], 4, v[22:23]
	s_wait_xcnt 0x0
	v_add_nc_u64_e32 v[24:25], 4, v[24:25]
	s_wait_loadcnt 0x0
	v_cmp_neq_f32_e32 vcc_lo, v26, v27
	v_cmp_eq_f32_e64 s2, v26, v27
	s_or_b32 s3, vcc_lo, s3
	s_delay_alu instid0(SALU_CYCLE_1) | instskip(NEXT) | instid1(SALU_CYCLE_1)
	s_and_b32 s3, exec_lo, s3
	s_or_b32 s7, s3, s7
	s_and_not1_b32 s20, s20, exec_lo
	s_and_b32 s21, s2, exec_lo
	s_mov_b64 s[2:3], s[22:23]
	s_or_b32 s20, s20, s21
	s_and_not1_b32 exec_lo, exec_lo, s7
	s_cbranch_execnz .LBB961_60
; %bb.61:
	s_or_b32 exec_lo, exec_lo, s7
	s_xor_b32 s2, s20, -1
.LBB961_62:
	s_delay_alu instid0(SALU_CYCLE_1)
	s_and_b32 s7, s2, exec_lo
.LBB961_63:
	s_or_b32 exec_lo, exec_lo, s17
	v_add_nc_u32_e32 v22, 2, v30
	s_mov_b32 s17, 0
	s_mov_b32 s20, 0
	s_mov_b32 s21, exec_lo
	s_delay_alu instid0(VALU_DEP_1)
	v_cmpx_gt_u32_e64 s27, v22
	s_cbranch_execz .LBB961_69
; %bb.64:
	v_cmp_ne_u32_e32 vcc_lo, 1, v29
	s_mov_b32 s2, 0
	s_cbranch_vccnz .LBB961_68
; %bb.65:
	v_mul_u64_e32 v[22:23], s[18:19], v[16:17]
	v_mul_u64_e32 v[24:25], s[18:19], v[10:11]
	s_add_nc_u64 s[2:3], s[18:19], -1
                                        ; implicit-def: $sgpr22
	s_wait_kmcnt 0x0
	s_delay_alu instid0(VALU_DEP_2) | instskip(NEXT) | instid1(VALU_DEP_2)
	v_lshl_add_u64 v[22:23], v[22:23], 2, s[8:9]
	v_lshl_add_u64 v[24:25], v[24:25], 2, s[8:9]
.LBB961_66:                             ; =>This Inner Loop Header: Depth=1
	global_load_b32 v26, v[22:23], off
	global_load_b32 v27, v[24:25], off
	s_cmp_eq_u64 s[2:3], 0
	s_add_nc_u64 s[30:31], s[2:3], -1
	s_cselect_b32 s3, -1, 0
	s_wait_xcnt 0x1
	v_add_nc_u64_e32 v[22:23], 4, v[22:23]
	s_wait_xcnt 0x0
	v_add_nc_u64_e32 v[24:25], 4, v[24:25]
	s_wait_loadcnt 0x0
	v_cmp_neq_f32_e32 vcc_lo, v26, v27
	v_cmp_eq_f32_e64 s2, v26, v27
	s_or_b32 s3, vcc_lo, s3
	s_delay_alu instid0(SALU_CYCLE_1) | instskip(NEXT) | instid1(SALU_CYCLE_1)
	s_and_b32 s3, exec_lo, s3
	s_or_b32 s20, s3, s20
	s_and_not1_b32 s22, s22, exec_lo
	s_and_b32 s23, s2, exec_lo
	s_mov_b64 s[2:3], s[30:31]
	s_or_b32 s22, s22, s23
	s_and_not1_b32 exec_lo, exec_lo, s20
	s_cbranch_execnz .LBB961_66
; %bb.67:
	s_or_b32 exec_lo, exec_lo, s20
	s_xor_b32 s2, s22, -1
.LBB961_68:
	s_delay_alu instid0(SALU_CYCLE_1)
	s_and_b32 s20, s2, exec_lo
.LBB961_69:
	s_or_b32 exec_lo, exec_lo, s21
	v_add_nc_u32_e32 v22, 1, v30
	s_mov_b32 s21, exec_lo
	s_delay_alu instid0(VALU_DEP_1)
	v_cmpx_gt_u32_e64 s27, v22
	s_cbranch_execz .LBB961_75
; %bb.70:
	v_cmp_ne_u32_e32 vcc_lo, 1, v29
	s_mov_b32 s2, 0
	s_cbranch_vccnz .LBB961_74
; %bb.71:
	v_mul_u64_e32 v[22:23], s[18:19], v[14:15]
	v_mul_u64_e32 v[24:25], s[18:19], v[16:17]
	s_add_nc_u64 s[2:3], s[18:19], -1
	s_mov_b32 s17, 0
                                        ; implicit-def: $sgpr22
	s_wait_kmcnt 0x0
	s_delay_alu instid0(VALU_DEP_2) | instskip(NEXT) | instid1(VALU_DEP_2)
	v_lshl_add_u64 v[22:23], v[22:23], 2, s[8:9]
	v_lshl_add_u64 v[24:25], v[24:25], 2, s[8:9]
.LBB961_72:                             ; =>This Inner Loop Header: Depth=1
	global_load_b32 v26, v[22:23], off
	global_load_b32 v27, v[24:25], off
	s_cmp_eq_u64 s[2:3], 0
	s_add_nc_u64 s[30:31], s[2:3], -1
	s_cselect_b32 s3, -1, 0
	s_wait_xcnt 0x1
	v_add_nc_u64_e32 v[22:23], 4, v[22:23]
	s_wait_xcnt 0x0
	v_add_nc_u64_e32 v[24:25], 4, v[24:25]
	s_wait_loadcnt 0x0
	v_cmp_neq_f32_e32 vcc_lo, v26, v27
	v_cmp_eq_f32_e64 s2, v26, v27
	s_or_b32 s3, vcc_lo, s3
	s_delay_alu instid0(SALU_CYCLE_1) | instskip(NEXT) | instid1(SALU_CYCLE_1)
	s_and_b32 s3, exec_lo, s3
	s_or_b32 s17, s3, s17
	s_and_not1_b32 s22, s22, exec_lo
	s_and_b32 s23, s2, exec_lo
	s_mov_b64 s[2:3], s[30:31]
	s_or_b32 s22, s22, s23
	s_and_not1_b32 exec_lo, exec_lo, s17
	s_cbranch_execnz .LBB961_72
; %bb.73:
	s_or_b32 exec_lo, exec_lo, s17
	s_xor_b32 s2, s22, -1
.LBB961_74:
	s_delay_alu instid0(SALU_CYCLE_1)
	s_and_b32 s17, s2, exec_lo
.LBB961_75:
	s_or_b32 exec_lo, exec_lo, s21
	s_wait_kmcnt 0x0
	v_mov_b64_e32 v[22:23], s[4:5]
	s_mov_b32 s2, 0
	s_mov_b32 s3, exec_lo
	s_barrier_signal -1
	s_barrier_wait -1
	v_cmpx_ne_u32_e32 0, v0
; %bb.76:
	v_add_nc_u32_e32 v22, -8, v31
	ds_load_b64 v[22:23], v22
; %bb.77:
	s_or_b32 exec_lo, exec_lo, s3
	v_cndmask_b32_e64 v24, 0, 1, s7
	v_cndmask_b32_e64 v25, 0, 1, s20
	;; [unrolled: 1-line block ×3, first 2 shown]
	s_mov_b32 s4, exec_lo
	s_delay_alu instid0(VALU_DEP_3) | instskip(NEXT) | instid1(VALU_DEP_2)
	v_lshlrev_b16 v24, 8, v24
	v_lshlrev_b16 v26, 8, v26
	s_delay_alu instid0(VALU_DEP_2) | instskip(NEXT) | instid1(VALU_DEP_2)
	v_or_b32_e32 v24, v25, v24
	v_and_b32_e32 v26, 0xffff, v26
	s_delay_alu instid0(VALU_DEP_2)
	v_lshlrev_b32_e32 v27, 16, v24
	v_cmpx_gt_u32_e64 s27, v30
	s_cbranch_execz .LBB961_83
; %bb.78:
	v_cmp_ne_u32_e32 vcc_lo, 1, v29
	s_cbranch_vccnz .LBB961_82
; %bb.79:
	s_wait_dscnt 0x0
	v_mul_u64_e32 v[22:23], s[18:19], v[22:23]
	v_mul_u64_e32 v[24:25], s[18:19], v[14:15]
	s_add_nc_u64 s[2:3], s[18:19], -1
	s_mov_b32 s5, 0
                                        ; implicit-def: $sgpr7
	s_delay_alu instid0(VALU_DEP_2) | instskip(NEXT) | instid1(VALU_DEP_2)
	v_lshl_add_u64 v[22:23], v[22:23], 2, s[8:9]
	v_lshl_add_u64 v[24:25], v[24:25], 2, s[8:9]
.LBB961_80:                             ; =>This Inner Loop Header: Depth=1
	global_load_b32 v29, v[22:23], off
	global_load_b32 v31, v[24:25], off
	s_cmp_eq_u64 s[2:3], 0
	s_add_nc_u64 s[20:21], s[2:3], -1
	s_cselect_b32 s3, -1, 0
	s_wait_xcnt 0x1
	v_add_nc_u64_e32 v[22:23], 4, v[22:23]
	s_wait_xcnt 0x0
	v_add_nc_u64_e32 v[24:25], 4, v[24:25]
	s_wait_loadcnt 0x0
	v_cmp_neq_f32_e32 vcc_lo, v29, v31
	v_cmp_eq_f32_e64 s2, v29, v31
	s_or_b32 s3, vcc_lo, s3
	s_delay_alu instid0(SALU_CYCLE_1) | instskip(NEXT) | instid1(SALU_CYCLE_1)
	s_and_b32 s3, exec_lo, s3
	s_or_b32 s5, s3, s5
	s_and_not1_b32 s7, s7, exec_lo
	s_and_b32 s17, s2, exec_lo
	s_mov_b64 s[2:3], s[20:21]
	s_or_b32 s7, s7, s17
	s_and_not1_b32 exec_lo, exec_lo, s5
	s_cbranch_execnz .LBB961_80
; %bb.81:
	s_or_b32 exec_lo, exec_lo, s5
	s_xor_b32 s2, s7, -1
.LBB961_82:
	s_delay_alu instid0(SALU_CYCLE_1)
	s_and_b32 s2, s2, exec_lo
.LBB961_83:
	s_or_b32 exec_lo, exec_lo, s4
	v_cndmask_b32_e64 v35, 0, 1, s6
	v_or_b32_e32 v25, v26, v27
.LBB961_84:
	s_mov_b32 s6, -1
	s_cbranch_execnz .LBB961_41
.LBB961_85:
	s_wait_dscnt 0x0
	v_lshlrev_b32_e32 v22, 5, v0
	v_cmp_gt_i64_e64 s7, s[18:19], 0
	s_and_b32 vcc_lo, exec_lo, s25
	v_sub_nc_u32_e32 v31, v28, v22
	ds_store_b64 v31, v[20:21]
	s_cbranch_vccz .LBB961_96
; %bb.86:
	s_and_not1_b32 vcc_lo, exec_lo, s7
	s_cbranch_vccnz .LBB961_97
; %bb.87:
	v_mul_u64_e32 v[22:23], s[18:19], v[12:13]
	v_mul_u64_e32 v[24:25], s[18:19], v[20:21]
	s_wait_kmcnt 0x0
	s_add_nc_u64 s[4:5], s[18:19], -1
	s_mov_b32 s20, 0
	s_mov_b64 s[2:3], s[4:5]
                                        ; implicit-def: $sgpr17
	s_delay_alu instid0(VALU_DEP_2) | instskip(NEXT) | instid1(VALU_DEP_2)
	v_lshl_add_u64 v[22:23], v[22:23], 2, s[8:9]
	v_lshl_add_u64 v[24:25], v[24:25], 2, s[8:9]
	s_delay_alu instid0(VALU_DEP_2)
	v_mov_b64_e32 v[26:27], v[22:23]
.LBB961_88:                             ; =>This Inner Loop Header: Depth=1
	global_load_b32 v28, v[26:27], off
	global_load_b32 v29, v[24:25], off
	s_cmp_eq_u64 s[2:3], 0
	s_add_nc_u64 s[22:23], s[2:3], -1
	s_cselect_b32 s3, -1, 0
	s_wait_xcnt 0x1
	v_add_nc_u64_e32 v[26:27], 4, v[26:27]
	s_wait_xcnt 0x0
	v_add_nc_u64_e32 v[24:25], 4, v[24:25]
	s_wait_loadcnt 0x0
	v_cmp_neq_f32_e32 vcc_lo, v28, v29
	v_cmp_eq_f32_e64 s2, v28, v29
	s_or_b32 s3, vcc_lo, s3
	s_delay_alu instid0(SALU_CYCLE_1) | instskip(NEXT) | instid1(SALU_CYCLE_1)
	s_and_b32 s3, exec_lo, s3
	s_or_b32 s20, s3, s20
	s_and_not1_b32 s17, s17, exec_lo
	s_and_b32 s21, s2, exec_lo
	s_mov_b64 s[2:3], s[22:23]
	s_or_b32 s17, s17, s21
	s_and_not1_b32 exec_lo, exec_lo, s20
	s_cbranch_execnz .LBB961_88
; %bb.89:
	s_or_b32 exec_lo, exec_lo, s20
	v_mul_u64_e32 v[24:25], s[18:19], v[10:11]
	s_mov_b32 s21, 0
	s_mov_b64 s[2:3], s[4:5]
                                        ; implicit-def: $sgpr20
	s_delay_alu instid0(VALU_DEP_1) | instskip(NEXT) | instid1(VALU_DEP_1)
	v_lshl_add_u64 v[24:25], v[24:25], 2, s[8:9]
	v_mov_b64_e32 v[26:27], v[24:25]
.LBB961_90:                             ; =>This Inner Loop Header: Depth=1
	global_load_b32 v28, v[26:27], off
	global_load_b32 v29, v[22:23], off
	s_cmp_eq_u64 s[2:3], 0
	s_add_nc_u64 s[22:23], s[2:3], -1
	s_cselect_b32 s3, -1, 0
	s_wait_xcnt 0x1
	v_add_nc_u64_e32 v[26:27], 4, v[26:27]
	s_wait_xcnt 0x0
	v_add_nc_u64_e32 v[22:23], 4, v[22:23]
	s_wait_loadcnt 0x0
	v_cmp_neq_f32_e32 vcc_lo, v28, v29
	v_cmp_eq_f32_e64 s2, v28, v29
	s_or_b32 s3, vcc_lo, s3
	s_delay_alu instid0(SALU_CYCLE_1) | instskip(NEXT) | instid1(SALU_CYCLE_1)
	s_and_b32 s3, exec_lo, s3
	s_or_b32 s21, s3, s21
	s_and_not1_b32 s20, s20, exec_lo
	s_and_b32 s29, s2, exec_lo
	s_mov_b64 s[2:3], s[22:23]
	s_or_b32 s20, s20, s29
	s_and_not1_b32 exec_lo, exec_lo, s21
	s_cbranch_execnz .LBB961_90
; %bb.91:
	s_or_b32 exec_lo, exec_lo, s21
	v_mul_u64_e32 v[22:23], s[18:19], v[16:17]
	s_mov_b32 s22, 0
	s_mov_b64 s[2:3], s[4:5]
                                        ; implicit-def: $sgpr21
	s_delay_alu instid0(VALU_DEP_1) | instskip(NEXT) | instid1(VALU_DEP_1)
	v_lshl_add_u64 v[22:23], v[22:23], 2, s[8:9]
	v_mov_b64_e32 v[26:27], v[22:23]
.LBB961_92:                             ; =>This Inner Loop Header: Depth=1
	global_load_b32 v28, v[26:27], off
	global_load_b32 v29, v[24:25], off
	s_cmp_eq_u64 s[2:3], 0
	s_add_nc_u64 s[30:31], s[2:3], -1
	s_cselect_b32 s3, -1, 0
	s_wait_xcnt 0x1
	v_add_nc_u64_e32 v[26:27], 4, v[26:27]
	s_wait_xcnt 0x0
	v_add_nc_u64_e32 v[24:25], 4, v[24:25]
	s_wait_loadcnt 0x0
	v_cmp_neq_f32_e32 vcc_lo, v28, v29
	v_cmp_eq_f32_e64 s2, v28, v29
	s_or_b32 s3, vcc_lo, s3
	s_delay_alu instid0(SALU_CYCLE_1) | instskip(NEXT) | instid1(SALU_CYCLE_1)
	s_and_b32 s3, exec_lo, s3
	s_or_b32 s22, s3, s22
	s_and_not1_b32 s21, s21, exec_lo
	s_and_b32 s23, s2, exec_lo
	s_mov_b64 s[2:3], s[30:31]
	s_or_b32 s21, s21, s23
	s_and_not1_b32 exec_lo, exec_lo, s22
	s_cbranch_execnz .LBB961_92
; %bb.93:
	s_or_b32 exec_lo, exec_lo, s22
	v_mul_u64_e32 v[24:25], s[18:19], v[14:15]
	s_mov_b32 s22, 0
                                        ; implicit-def: $sgpr3
	s_delay_alu instid0(VALU_DEP_1)
	v_lshl_add_u64 v[24:25], v[24:25], 2, s[8:9]
.LBB961_94:                             ; =>This Inner Loop Header: Depth=1
	global_load_b32 v26, v[24:25], off
	global_load_b32 v27, v[22:23], off
	s_cmp_eq_u64 s[4:5], 0
	s_add_nc_u64 s[30:31], s[4:5], -1
	s_cselect_b32 s4, -1, 0
	s_wait_xcnt 0x1
	v_add_nc_u64_e32 v[24:25], 4, v[24:25]
	s_wait_xcnt 0x0
	v_add_nc_u64_e32 v[22:23], 4, v[22:23]
	s_wait_loadcnt 0x0
	v_cmp_neq_f32_e32 vcc_lo, v26, v27
	v_cmp_eq_f32_e64 s2, v26, v27
	s_or_b32 s4, vcc_lo, s4
	s_delay_alu instid0(SALU_CYCLE_1) | instskip(NEXT) | instid1(SALU_CYCLE_1)
	s_and_b32 s4, exec_lo, s4
	s_or_b32 s22, s4, s22
	s_and_not1_b32 s3, s3, exec_lo
	s_and_b32 s2, s2, exec_lo
	s_mov_b64 s[4:5], s[30:31]
	s_or_b32 s3, s3, s2
	s_and_not1_b32 exec_lo, exec_lo, s22
	s_cbranch_execnz .LBB961_94
; %bb.95:
	s_or_b32 exec_lo, exec_lo, s22
	s_xor_b32 s2, s20, -1
	s_delay_alu instid0(SALU_CYCLE_1) | instskip(SKIP_1) | instid1(SALU_CYCLE_1)
	v_cndmask_b32_e64 v22, 0, 1, s2
	s_xor_b32 s2, s21, -1
	v_cndmask_b32_e64 v23, 0, 1, s2
	s_xor_b32 s2, s17, -1
	s_delay_alu instid0(VALU_DEP_2) | instskip(SKIP_2) | instid1(VALU_DEP_2)
	v_lshlrev_b16 v22, 8, v22
	v_cndmask_b32_e64 v35, 0, 1, s2
	s_xor_b32 s2, s3, -1
	v_lshrrev_b32_e32 v22, 8, v22
	s_delay_alu instid0(VALU_DEP_1) | instskip(NEXT) | instid1(VALU_DEP_1)
	v_lshlrev_b16 v22, 8, v22
	v_or_b32_e32 v22, v23, v22
	s_delay_alu instid0(VALU_DEP_1)
	v_lshlrev_b32_e32 v22, 16, v22
	s_branch .LBB961_98
.LBB961_96:
	s_wait_kmcnt 0x0
                                        ; implicit-def: $sgpr2
                                        ; implicit-def: $vgpr35
                                        ; implicit-def: $vgpr25
                                        ; implicit-def: $vgpr24
                                        ; implicit-def: $vgpr23
                                        ; implicit-def: $vgpr36
                                        ; implicit-def: $vgpr22
	s_cbranch_execnz .LBB961_105
	s_branch .LBB961_138
.LBB961_97:
	v_dual_mov_b32 v22, 0 :: v_dual_mov_b32 v35, 0
	s_mov_b32 s2, 0
.LBB961_98:
	s_delay_alu instid0(VALU_DEP_1)
	v_dual_lshrrev_b32 v36, 16, v22 :: v_dual_lshrrev_b32 v22, 24, v22
	v_cndmask_b32_e64 v23, 0, 1, s2
	v_mov_b32_e32 v24, 1
	s_wait_kmcnt 0x0
	s_mov_b32 s4, 0
	s_wait_dscnt 0x0
	s_barrier_signal -1
	s_barrier_wait -1
                                        ; implicit-def: $sgpr2
                                        ; implicit-def: $vgpr25
	s_mov_b32 s3, exec_lo
	v_cmpx_ne_u32_e32 0, v0
	s_xor_b32 s5, exec_lo, s3
	s_cbranch_execz .LBB961_104
; %bb.99:
	v_lshlrev_b16 v25, 8, v22
	v_lshlrev_b16 v26, 8, v23
	s_and_not1_b32 vcc_lo, exec_lo, s7
	s_mov_b32 s2, 0
	s_delay_alu instid0(VALU_DEP_2) | instskip(NEXT) | instid1(VALU_DEP_1)
	v_bitop3_b16 v25, v36, v25, 0xff bitop3:0xec
	v_dual_lshlrev_b32 v25, 16, v25 :: v_dual_bitop2_b32 v26, 1, v26 bitop3:0x54
	s_delay_alu instid0(VALU_DEP_1) | instskip(NEXT) | instid1(VALU_DEP_1)
	v_and_b32_e32 v26, 0xffff, v26
	v_or_b32_e32 v25, v26, v25
	s_cbranch_vccnz .LBB961_103
; %bb.100:
	v_add_nc_u32_e32 v26, -8, v31
	v_mul_u64_e32 v[28:29], s[18:19], v[14:15]
	s_add_nc_u64 s[2:3], s[18:19], -1
	s_mov_b32 s17, 0
                                        ; implicit-def: $sgpr20
	ds_load_b64 v[26:27], v26
	s_wait_dscnt 0x0
	v_mul_u64_e32 v[26:27], s[18:19], v[26:27]
	v_lshl_add_u64 v[28:29], v[28:29], 2, s[8:9]
	s_delay_alu instid0(VALU_DEP_2)
	v_lshl_add_u64 v[26:27], v[26:27], 2, s[8:9]
.LBB961_101:                            ; =>This Inner Loop Header: Depth=1
	global_load_b32 v32, v[26:27], off
	global_load_b32 v33, v[28:29], off
	s_cmp_eq_u64 s[2:3], 0
	s_add_nc_u64 s[22:23], s[2:3], -1
	s_cselect_b32 s3, -1, 0
	s_wait_xcnt 0x1
	v_add_nc_u64_e32 v[26:27], 4, v[26:27]
	s_wait_xcnt 0x0
	v_add_nc_u64_e32 v[28:29], 4, v[28:29]
	s_wait_loadcnt 0x0
	v_cmp_neq_f32_e32 vcc_lo, v32, v33
	v_cmp_eq_f32_e64 s2, v32, v33
	s_or_b32 s3, vcc_lo, s3
	s_delay_alu instid0(SALU_CYCLE_1) | instskip(NEXT) | instid1(SALU_CYCLE_1)
	s_and_b32 s3, exec_lo, s3
	s_or_b32 s17, s3, s17
	s_and_not1_b32 s20, s20, exec_lo
	s_and_b32 s21, s2, exec_lo
	s_mov_b64 s[2:3], s[22:23]
	s_or_b32 s20, s20, s21
	s_and_not1_b32 exec_lo, exec_lo, s17
	s_cbranch_execnz .LBB961_101
; %bb.102:
	s_or_b32 exec_lo, exec_lo, s17
	s_xor_b32 s2, s20, -1
.LBB961_103:
	s_delay_alu instid0(VALU_DEP_1)
	v_perm_b32 v25, v25, v25, 0x3020104
	s_or_b32 s6, s6, exec_lo
.LBB961_104:
	s_or_b32 exec_lo, exec_lo, s5
	s_delay_alu instid0(SALU_CYCLE_1)
	s_and_b32 vcc_lo, exec_lo, s4
	s_cbranch_vccz .LBB961_138
.LBB961_105:
	v_add_nc_u32_e32 v22, 4, v30
	s_mov_b32 s4, 0
	s_mov_b32 s5, 0
	s_mov_b32 s17, exec_lo
	s_delay_alu instid0(VALU_DEP_1)
	v_cmpx_gt_u32_e64 s27, v22
	s_cbranch_execz .LBB961_111
; %bb.106:
	s_and_not1_b32 vcc_lo, exec_lo, s7
	s_mov_b32 s2, 0
	s_cbranch_vccnz .LBB961_110
; %bb.107:
	v_mul_u64_e32 v[22:23], s[18:19], v[12:13]
	v_mul_u64_e32 v[24:25], s[18:19], v[20:21]
	s_add_nc_u64 s[2:3], s[18:19], -1
                                        ; implicit-def: $sgpr20
	s_delay_alu instid0(VALU_DEP_2) | instskip(NEXT) | instid1(VALU_DEP_2)
	v_lshl_add_u64 v[22:23], v[22:23], 2, s[8:9]
	v_lshl_add_u64 v[24:25], v[24:25], 2, s[8:9]
.LBB961_108:                            ; =>This Inner Loop Header: Depth=1
	global_load_b32 v26, v[22:23], off
	global_load_b32 v27, v[24:25], off
	s_cmp_eq_u64 s[2:3], 0
	s_add_nc_u64 s[22:23], s[2:3], -1
	s_cselect_b32 s3, -1, 0
	s_wait_xcnt 0x1
	v_add_nc_u64_e32 v[22:23], 4, v[22:23]
	s_wait_xcnt 0x0
	v_add_nc_u64_e32 v[24:25], 4, v[24:25]
	s_wait_loadcnt 0x0
	v_cmp_neq_f32_e32 vcc_lo, v26, v27
	v_cmp_eq_f32_e64 s2, v26, v27
	s_or_b32 s3, vcc_lo, s3
	s_delay_alu instid0(SALU_CYCLE_1) | instskip(NEXT) | instid1(SALU_CYCLE_1)
	s_and_b32 s3, exec_lo, s3
	s_or_b32 s5, s3, s5
	s_and_not1_b32 s20, s20, exec_lo
	s_and_b32 s21, s2, exec_lo
	s_mov_b64 s[2:3], s[22:23]
	s_or_b32 s20, s20, s21
	s_and_not1_b32 exec_lo, exec_lo, s5
	s_cbranch_execnz .LBB961_108
; %bb.109:
	s_or_b32 exec_lo, exec_lo, s5
	s_xor_b32 s2, s20, -1
.LBB961_110:
	s_delay_alu instid0(SALU_CYCLE_1)
	s_and_b32 s5, s2, exec_lo
.LBB961_111:
	s_or_b32 exec_lo, exec_lo, s17
	v_add_nc_u32_e32 v22, 3, v30
	s_mov_b32 s17, exec_lo
	s_delay_alu instid0(VALU_DEP_1)
	v_cmpx_gt_u32_e64 s27, v22
	s_cbranch_execz .LBB961_117
; %bb.112:
	s_and_not1_b32 vcc_lo, exec_lo, s7
	s_mov_b32 s2, 0
	s_cbranch_vccnz .LBB961_116
; %bb.113:
	v_mul_u64_e32 v[22:23], s[18:19], v[10:11]
	v_mul_u64_e32 v[24:25], s[18:19], v[12:13]
	s_add_nc_u64 s[2:3], s[18:19], -1
	s_mov_b32 s4, 0
                                        ; implicit-def: $sgpr20
	s_delay_alu instid0(VALU_DEP_2) | instskip(NEXT) | instid1(VALU_DEP_2)
	v_lshl_add_u64 v[22:23], v[22:23], 2, s[8:9]
	v_lshl_add_u64 v[24:25], v[24:25], 2, s[8:9]
.LBB961_114:                            ; =>This Inner Loop Header: Depth=1
	global_load_b32 v26, v[22:23], off
	global_load_b32 v27, v[24:25], off
	s_cmp_eq_u64 s[2:3], 0
	s_add_nc_u64 s[22:23], s[2:3], -1
	s_cselect_b32 s3, -1, 0
	s_wait_xcnt 0x1
	v_add_nc_u64_e32 v[22:23], 4, v[22:23]
	s_wait_xcnt 0x0
	v_add_nc_u64_e32 v[24:25], 4, v[24:25]
	s_wait_loadcnt 0x0
	v_cmp_neq_f32_e32 vcc_lo, v26, v27
	v_cmp_eq_f32_e64 s2, v26, v27
	s_or_b32 s3, vcc_lo, s3
	s_delay_alu instid0(SALU_CYCLE_1) | instskip(NEXT) | instid1(SALU_CYCLE_1)
	s_and_b32 s3, exec_lo, s3
	s_or_b32 s4, s3, s4
	s_and_not1_b32 s20, s20, exec_lo
	s_and_b32 s21, s2, exec_lo
	s_mov_b64 s[2:3], s[22:23]
	s_or_b32 s20, s20, s21
	s_and_not1_b32 exec_lo, exec_lo, s4
	s_cbranch_execnz .LBB961_114
; %bb.115:
	s_or_b32 exec_lo, exec_lo, s4
	s_xor_b32 s2, s20, -1
.LBB961_116:
	s_delay_alu instid0(SALU_CYCLE_1)
	s_and_b32 s4, s2, exec_lo
.LBB961_117:
	s_or_b32 exec_lo, exec_lo, s17
	v_add_nc_u32_e32 v22, 2, v30
	s_mov_b32 s17, 0
	s_mov_b32 s20, 0
	s_mov_b32 s21, exec_lo
	s_delay_alu instid0(VALU_DEP_1)
	v_cmpx_gt_u32_e64 s27, v22
	s_cbranch_execz .LBB961_123
; %bb.118:
	s_and_not1_b32 vcc_lo, exec_lo, s7
	s_mov_b32 s2, 0
	s_cbranch_vccnz .LBB961_122
; %bb.119:
	v_mul_u64_e32 v[22:23], s[18:19], v[16:17]
	v_mul_u64_e32 v[24:25], s[18:19], v[10:11]
	s_add_nc_u64 s[2:3], s[18:19], -1
                                        ; implicit-def: $sgpr22
	s_delay_alu instid0(VALU_DEP_2) | instskip(NEXT) | instid1(VALU_DEP_2)
	v_lshl_add_u64 v[22:23], v[22:23], 2, s[8:9]
	v_lshl_add_u64 v[24:25], v[24:25], 2, s[8:9]
.LBB961_120:                            ; =>This Inner Loop Header: Depth=1
	global_load_b32 v26, v[22:23], off
	global_load_b32 v27, v[24:25], off
	s_cmp_eq_u64 s[2:3], 0
	s_add_nc_u64 s[30:31], s[2:3], -1
	s_cselect_b32 s3, -1, 0
	s_wait_xcnt 0x1
	v_add_nc_u64_e32 v[22:23], 4, v[22:23]
	s_wait_xcnt 0x0
	v_add_nc_u64_e32 v[24:25], 4, v[24:25]
	s_wait_loadcnt 0x0
	v_cmp_neq_f32_e32 vcc_lo, v26, v27
	v_cmp_eq_f32_e64 s2, v26, v27
	s_or_b32 s3, vcc_lo, s3
	s_delay_alu instid0(SALU_CYCLE_1) | instskip(NEXT) | instid1(SALU_CYCLE_1)
	s_and_b32 s3, exec_lo, s3
	s_or_b32 s20, s3, s20
	s_and_not1_b32 s22, s22, exec_lo
	s_and_b32 s23, s2, exec_lo
	s_mov_b64 s[2:3], s[30:31]
	s_or_b32 s22, s22, s23
	s_and_not1_b32 exec_lo, exec_lo, s20
	s_cbranch_execnz .LBB961_120
; %bb.121:
	s_or_b32 exec_lo, exec_lo, s20
	s_xor_b32 s2, s22, -1
.LBB961_122:
	s_delay_alu instid0(SALU_CYCLE_1)
	s_and_b32 s20, s2, exec_lo
.LBB961_123:
	s_or_b32 exec_lo, exec_lo, s21
	v_add_nc_u32_e32 v22, 1, v30
	s_mov_b32 s21, exec_lo
	s_delay_alu instid0(VALU_DEP_1)
	v_cmpx_gt_u32_e64 s27, v22
	s_cbranch_execz .LBB961_129
; %bb.124:
	s_and_not1_b32 vcc_lo, exec_lo, s7
	s_mov_b32 s2, 0
	s_cbranch_vccnz .LBB961_128
; %bb.125:
	v_mul_u64_e32 v[22:23], s[18:19], v[14:15]
	v_mul_u64_e32 v[24:25], s[18:19], v[16:17]
	s_add_nc_u64 s[2:3], s[18:19], -1
	s_mov_b32 s17, 0
                                        ; implicit-def: $sgpr22
	s_delay_alu instid0(VALU_DEP_2) | instskip(NEXT) | instid1(VALU_DEP_2)
	v_lshl_add_u64 v[22:23], v[22:23], 2, s[8:9]
	v_lshl_add_u64 v[24:25], v[24:25], 2, s[8:9]
.LBB961_126:                            ; =>This Inner Loop Header: Depth=1
	global_load_b32 v26, v[22:23], off
	global_load_b32 v27, v[24:25], off
	s_cmp_eq_u64 s[2:3], 0
	s_add_nc_u64 s[30:31], s[2:3], -1
	s_cselect_b32 s3, -1, 0
	s_wait_xcnt 0x1
	v_add_nc_u64_e32 v[22:23], 4, v[22:23]
	s_wait_xcnt 0x0
	v_add_nc_u64_e32 v[24:25], 4, v[24:25]
	s_wait_loadcnt 0x0
	v_cmp_neq_f32_e32 vcc_lo, v26, v27
	v_cmp_eq_f32_e64 s2, v26, v27
	s_or_b32 s3, vcc_lo, s3
	s_delay_alu instid0(SALU_CYCLE_1) | instskip(NEXT) | instid1(SALU_CYCLE_1)
	s_and_b32 s3, exec_lo, s3
	s_or_b32 s17, s3, s17
	s_and_not1_b32 s22, s22, exec_lo
	s_and_b32 s23, s2, exec_lo
	s_mov_b64 s[2:3], s[30:31]
	s_or_b32 s22, s22, s23
	s_and_not1_b32 exec_lo, exec_lo, s17
	s_cbranch_execnz .LBB961_126
; %bb.127:
	s_or_b32 exec_lo, exec_lo, s17
	s_xor_b32 s2, s22, -1
.LBB961_128:
	s_delay_alu instid0(SALU_CYCLE_1)
	s_and_b32 s17, s2, exec_lo
.LBB961_129:
	s_or_b32 exec_lo, exec_lo, s21
	v_cndmask_b32_e64 v35, 0, 1, s5
	v_cndmask_b32_e64 v36, 0, 1, s20
	;; [unrolled: 1-line block ×4, first 2 shown]
	v_mov_b32_e32 v24, 1
	s_mov_b32 s2, 0
	s_mov_b32 s4, exec_lo
	s_wait_dscnt 0x0
	s_barrier_signal -1
	s_barrier_wait -1
                                        ; implicit-def: $vgpr25
	v_cmpx_ne_u32_e32 0, v0
	s_cbranch_execz .LBB961_137
; %bb.130:
	v_lshlrev_b16 v25, 8, v23
	v_lshlrev_b16 v26, 8, v22
	s_mov_b32 s5, exec_lo
	s_delay_alu instid0(VALU_DEP_1) | instskip(NEXT) | instid1(VALU_DEP_1)
	v_or_b32_e32 v26, v36, v26
	v_dual_lshlrev_b32 v26, 16, v26 :: v_dual_bitop2_b32 v25, 1, v25 bitop3:0x54
	s_delay_alu instid0(VALU_DEP_1) | instskip(NEXT) | instid1(VALU_DEP_1)
	v_and_b32_e32 v25, 0xffff, v25
	v_or_b32_e32 v25, v25, v26
	v_cmpx_gt_u32_e64 s27, v30
	s_cbranch_execz .LBB961_136
; %bb.131:
	s_and_not1_b32 vcc_lo, exec_lo, s7
	s_cbranch_vccnz .LBB961_135
; %bb.132:
	v_add_nc_u32_e32 v26, -8, v31
	v_mul_u64_e32 v[28:29], s[18:19], v[14:15]
	s_add_nc_u64 s[2:3], s[18:19], -1
	s_mov_b32 s7, 0
	ds_load_b64 v[26:27], v26
	s_wait_dscnt 0x0
	v_mul_u64_e32 v[26:27], s[18:19], v[26:27]
	v_lshl_add_u64 v[28:29], v[28:29], 2, s[8:9]
	s_delay_alu instid0(VALU_DEP_2)
	v_lshl_add_u64 v[26:27], v[26:27], 2, s[8:9]
                                        ; implicit-def: $sgpr8
.LBB961_133:                            ; =>This Inner Loop Header: Depth=1
	global_load_b32 v31, v[26:27], off
	global_load_b32 v32, v[28:29], off
	s_cmp_eq_u64 s[2:3], 0
	s_add_nc_u64 s[18:19], s[2:3], -1
	s_cselect_b32 s3, -1, 0
	s_wait_xcnt 0x1
	v_add_nc_u64_e32 v[26:27], 4, v[26:27]
	s_wait_xcnt 0x0
	v_add_nc_u64_e32 v[28:29], 4, v[28:29]
	s_wait_loadcnt 0x0
	v_cmp_neq_f32_e32 vcc_lo, v31, v32
	v_cmp_eq_f32_e64 s2, v31, v32
	s_or_b32 s3, vcc_lo, s3
	s_delay_alu instid0(SALU_CYCLE_1) | instskip(NEXT) | instid1(SALU_CYCLE_1)
	s_and_b32 s3, exec_lo, s3
	s_or_b32 s7, s3, s7
	s_and_not1_b32 s8, s8, exec_lo
	s_and_b32 s9, s2, exec_lo
	s_mov_b64 s[2:3], s[18:19]
	s_or_b32 s8, s8, s9
	s_and_not1_b32 exec_lo, exec_lo, s7
	s_cbranch_execnz .LBB961_133
; %bb.134:
	s_or_b32 exec_lo, exec_lo, s7
	s_xor_b32 s2, s8, -1
.LBB961_135:
	s_delay_alu instid0(SALU_CYCLE_1)
	s_and_b32 s2, s2, exec_lo
.LBB961_136:
	s_or_b32 exec_lo, exec_lo, s5
	s_delay_alu instid0(VALU_DEP_2)
	v_perm_b32 v25, v25, v25, 0x3020104
	s_or_b32 s6, s6, exec_lo
.LBB961_137:
	s_or_b32 exec_lo, exec_lo, s4
.LBB961_138:
	s_and_saveexec_b32 s3, s6
	s_cbranch_execz .LBB961_140
; %bb.139:
	s_wait_dscnt 0x0
	v_dual_lshrrev_b32 v22, 24, v25 :: v_dual_lshrrev_b32 v36, 16, v25
	v_lshrrev_b32_e32 v23, 8, v25
	v_cndmask_b32_e64 v24, 0, 1, s2
.LBB961_140:
	s_or_b32 exec_lo, exec_lo, s3
	s_delay_alu instid0(SALU_CYCLE_1)
	s_and_not1_b32 vcc_lo, exec_lo, s28
	s_cbranch_vccnz .LBB961_144
; %bb.141:
	s_wait_dscnt 0x0
	v_perm_b32 v23, v24, v23, 0xc0c0004
	v_perm_b32 v22, v36, v22, 0xc0c0004
	v_cmp_gt_u32_e32 vcc_lo, s27, v30
	v_dual_add_nc_u32 v24, 1, v30 :: v_dual_add_nc_u32 v26, 4, v30
	v_and_b32_e32 v35, 0xff, v35
	s_delay_alu instid0(VALU_DEP_4) | instskip(SKIP_1) | instid1(VALU_DEP_2)
	v_lshl_or_b32 v22, v22, 16, v23
	s_mov_b32 s2, exec_lo
	v_and_b32_e32 v25, 0xffff, v35
	s_delay_alu instid0(VALU_DEP_2) | instskip(SKIP_2) | instid1(VALU_DEP_3)
	v_cndmask_b32_e32 v23, 0, v22, vcc_lo
	v_cmp_gt_u32_e32 vcc_lo, s27, v24
	v_add_nc_u32_e32 v24, 2, v30
	v_and_b32_e32 v23, 0xff, v23
	s_delay_alu instid0(VALU_DEP_1) | instskip(NEXT) | instid1(VALU_DEP_3)
	v_cndmask_b32_e32 v23, v23, v22, vcc_lo
	v_cmp_gt_u32_e32 vcc_lo, s27, v24
	v_add_nc_u32_e32 v24, 3, v30
	s_delay_alu instid0(VALU_DEP_3) | instskip(NEXT) | instid1(VALU_DEP_1)
	v_and_b32_e32 v23, 0xffff, v23
	v_cndmask_b32_e32 v23, v23, v22, vcc_lo
	s_delay_alu instid0(VALU_DEP_3) | instskip(NEXT) | instid1(VALU_DEP_2)
	v_cmp_gt_u32_e32 vcc_lo, s27, v24
	v_and_b32_e32 v23, 0xffffff, v23
	s_delay_alu instid0(VALU_DEP_1) | instskip(NEXT) | instid1(VALU_DEP_1)
	v_cndmask_b32_e32 v24, v23, v22, vcc_lo
	v_lshrrev_b64 v[22:23], 24, v[24:25]
	v_dual_lshrrev_b32 v36, 16, v24 :: v_dual_lshrrev_b32 v23, 8, v24
	v_cmpx_le_u32_e64 s27, v26
; %bb.142:
	v_mov_b32_e32 v35, 0
; %bb.143:
	s_or_b32 exec_lo, exec_lo, s2
.LBB961_144:
	s_delay_alu instid0(VALU_DEP_1)
	v_and_b32_e32 v25, 0xff, v24
	s_wait_dscnt 0x0
	v_and_b32_e32 v37, 0xff, v23
	v_and_b32_e32 v38, 0xff, v36
	v_mbcnt_lo_u32_b32 v40, -1, 0
	v_and_b32_e32 v39, 0xff, v22
	v_and_b32_e32 v26, 0xff, v35
	s_wait_kmcnt 0x0
	v_readfirstlane_b32 s8, v0
	v_add3_u32 v27, v37, v25, v38
	v_and_b32_e32 v28, 15, v40
	s_and_b32 vcc_lo, exec_lo, s16
	v_lshrrev_b32_e32 v41, 5, v0
	s_mov_b32 s9, -1
	v_add3_u32 v42, v27, v39, v26
	v_and_b32_e32 v26, 16, v40
	v_or_b32_e32 v27, 31, v0
	v_cmp_eq_u32_e64 s4, 0, v28
	v_cmp_lt_u32_e64 s6, 1, v28
	v_cmp_lt_u32_e64 s7, 3, v28
	;; [unrolled: 1-line block ×3, first 2 shown]
	v_cmp_eq_u32_e64 s3, 0, v26
	v_cmp_eq_u32_e64 s2, v0, v27
	s_barrier_signal -1
	s_barrier_wait -1
                                        ; implicit-def: $vgpr28
                                        ; implicit-def: $vgpr29
                                        ; implicit-def: $vgpr30
                                        ; implicit-def: $vgpr31
                                        ; implicit-def: $vgpr32
                                        ; implicit-def: $vgpr26
	s_cbranch_vccz .LBB961_171
; %bb.145:
	v_mov_b32_dpp v26, v42 row_shr:1 row_mask:0xf bank_mask:0xf
	s_delay_alu instid0(VALU_DEP_1) | instskip(NEXT) | instid1(VALU_DEP_1)
	v_cndmask_b32_e64 v26, v26, 0, s4
	v_add_nc_u32_e32 v26, v26, v42
	s_delay_alu instid0(VALU_DEP_1) | instskip(NEXT) | instid1(VALU_DEP_1)
	v_mov_b32_dpp v27, v26 row_shr:2 row_mask:0xf bank_mask:0xf
	v_cndmask_b32_e64 v27, 0, v27, s6
	s_delay_alu instid0(VALU_DEP_1) | instskip(NEXT) | instid1(VALU_DEP_1)
	v_add_nc_u32_e32 v26, v26, v27
	v_mov_b32_dpp v27, v26 row_shr:4 row_mask:0xf bank_mask:0xf
	s_delay_alu instid0(VALU_DEP_1) | instskip(NEXT) | instid1(VALU_DEP_1)
	v_cndmask_b32_e64 v27, 0, v27, s7
	v_add_nc_u32_e32 v26, v26, v27
	s_delay_alu instid0(VALU_DEP_1) | instskip(NEXT) | instid1(VALU_DEP_1)
	v_mov_b32_dpp v27, v26 row_shr:8 row_mask:0xf bank_mask:0xf
	v_cndmask_b32_e64 v27, 0, v27, s5
	s_delay_alu instid0(VALU_DEP_1) | instskip(SKIP_3) | instid1(VALU_DEP_1)
	v_add_nc_u32_e32 v26, v26, v27
	ds_swizzle_b32 v27, v26 offset:swizzle(BROADCAST,32,15)
	s_wait_dscnt 0x0
	v_cndmask_b32_e64 v27, v27, 0, s3
	v_add_nc_u32_e32 v26, v26, v27
	s_and_saveexec_b32 s8, s2
; %bb.146:
	v_lshlrev_b32_e32 v27, 2, v41
	ds_store_b32 v27, v26
; %bb.147:
	s_or_b32 exec_lo, exec_lo, s8
	s_delay_alu instid0(SALU_CYCLE_1)
	s_mov_b32 s8, exec_lo
	s_wait_dscnt 0x0
	s_barrier_signal -1
	s_barrier_wait -1
	v_cmpx_gt_u32_e32 4, v0
	s_cbranch_execz .LBB961_149
; %bb.148:
	v_and_b32_e32 v29, 3, v40
	s_delay_alu instid0(VALU_DEP_1) | instskip(SKIP_4) | instid1(VALU_DEP_1)
	v_cmp_ne_u32_e32 vcc_lo, 0, v29
	v_lshlrev_b32_e32 v27, 2, v0
	ds_load_b32 v28, v27
	s_wait_dscnt 0x0
	v_mov_b32_dpp v30, v28 row_shr:1 row_mask:0xf bank_mask:0xf
	v_cndmask_b32_e32 v30, 0, v30, vcc_lo
	v_cmp_lt_u32_e32 vcc_lo, 1, v29
	s_delay_alu instid0(VALU_DEP_2) | instskip(NEXT) | instid1(VALU_DEP_1)
	v_add_nc_u32_e32 v28, v30, v28
	v_mov_b32_dpp v30, v28 row_shr:2 row_mask:0xf bank_mask:0xf
	s_delay_alu instid0(VALU_DEP_1) | instskip(NEXT) | instid1(VALU_DEP_1)
	v_cndmask_b32_e32 v29, 0, v30, vcc_lo
	v_add_nc_u32_e32 v28, v28, v29
	ds_store_b32 v27, v28
.LBB961_149:
	s_or_b32 exec_lo, exec_lo, s8
	s_delay_alu instid0(SALU_CYCLE_1)
	s_mov_b32 s9, exec_lo
	v_cmp_gt_u32_e32 vcc_lo, 32, v0
	s_wait_dscnt 0x0
	s_barrier_signal -1
	s_barrier_wait -1
                                        ; implicit-def: $vgpr43
	v_cmpx_lt_u32_e32 31, v0
	s_cbranch_execz .LBB961_151
; %bb.150:
	v_lshl_add_u32 v27, v41, 2, -4
	ds_load_b32 v43, v27
	s_wait_dscnt 0x0
	v_add_nc_u32_e32 v26, v43, v26
.LBB961_151:
	s_or_b32 exec_lo, exec_lo, s9
	v_sub_co_u32 v27, s8, v40, 1
	s_delay_alu instid0(VALU_DEP_1) | instskip(NEXT) | instid1(VALU_DEP_1)
	v_cmp_gt_i32_e64 s9, 0, v27
	v_cndmask_b32_e64 v27, v27, v40, s9
	s_delay_alu instid0(VALU_DEP_1)
	v_lshlrev_b32_e32 v27, 2, v27
	ds_bpermute_b32 v44, v27, v26
	s_and_saveexec_b32 s9, vcc_lo
	s_cbranch_execz .LBB961_170
; %bb.152:
	v_mov_b32_e32 v33, 0
	ds_load_b32 v26, v33 offset:12
	s_and_saveexec_b32 s16, s8
	s_cbranch_execz .LBB961_154
; %bb.153:
	s_add_co_i32 s17, s26, 32
	s_delay_alu instid0(SALU_CYCLE_1)
	v_dual_mov_b32 v27, 1 :: v_dual_mov_b32 v28, s17
	s_wait_dscnt 0x0
	global_store_b64 v28, v[26:27], s[10:11] scale_offset scope:SCOPE_DEV
.LBB961_154:
	s_wait_xcnt 0x0
	s_or_b32 exec_lo, exec_lo, s16
	v_xad_u32 v28, v40, -1, s26
	s_mov_b32 s17, 0
	s_mov_b32 s16, exec_lo
	s_delay_alu instid0(VALU_DEP_1) | instskip(SKIP_4) | instid1(VALU_DEP_1)
	v_add_nc_u32_e32 v32, 32, v28
	global_load_b64 v[30:31], v32, s[10:11] scale_offset scope:SCOPE_DEV
	s_wait_loadcnt 0x0
	v_and_b32_e32 v27, 0xff, v31
	s_wait_xcnt 0x0
	v_cmpx_eq_u16_e32 0, v27
	s_cbranch_execz .LBB961_158
; %bb.155:
	v_lshl_add_u64 v[32:33], v[32:33], 3, s[10:11]
.LBB961_156:                            ; =>This Inner Loop Header: Depth=1
	global_load_b64 v[30:31], v[32:33], off scope:SCOPE_DEV
	s_wait_loadcnt 0x0
	v_and_b32_e32 v27, 0xff, v31
	s_delay_alu instid0(VALU_DEP_1)
	v_cmp_ne_u16_e32 vcc_lo, 0, v27
	s_or_b32 s17, vcc_lo, s17
	s_wait_xcnt 0x0
	s_and_not1_b32 exec_lo, exec_lo, s17
	s_cbranch_execnz .LBB961_156
; %bb.157:
	s_or_b32 exec_lo, exec_lo, s17
.LBB961_158:
	s_delay_alu instid0(SALU_CYCLE_1)
	s_or_b32 exec_lo, exec_lo, s16
	v_cmp_ne_u32_e32 vcc_lo, 31, v40
	v_lshlrev_b32_e64 v46, v40, -1
	v_lshl_or_b32 v53, v40, 2, 64
	v_dual_add_nc_u32 v48, 2, v40 :: v_dual_add_nc_u32 v50, 4, v40
	v_add_co_ci_u32_e64 v27, null, 0, v40, vcc_lo
	v_dual_add_nc_u32 v52, 8, v40 :: v_dual_add_nc_u32 v54, 16, v40
	s_delay_alu instid0(VALU_DEP_2)
	v_lshlrev_b32_e32 v45, 2, v27
	v_and_b32_e32 v27, 0xff, v31
	ds_bpermute_b32 v29, v45, v30
	v_cmp_eq_u16_e32 vcc_lo, 2, v27
	v_and_or_b32 v27, vcc_lo, v46, 0x80000000
	v_cmp_gt_u32_e32 vcc_lo, 30, v40
	s_delay_alu instid0(VALU_DEP_2) | instskip(SKIP_1) | instid1(VALU_DEP_2)
	v_ctz_i32_b32_e32 v27, v27
	v_cndmask_b32_e64 v32, 0, 2, vcc_lo
	v_cmp_lt_u32_e32 vcc_lo, v40, v27
	s_delay_alu instid0(VALU_DEP_2) | instskip(SKIP_3) | instid1(VALU_DEP_2)
	v_add_lshl_u32 v47, v32, v40, 2
	s_wait_dscnt 0x0
	v_cndmask_b32_e32 v29, 0, v29, vcc_lo
	v_cmp_gt_u32_e32 vcc_lo, 28, v40
	v_add_nc_u32_e32 v29, v29, v30
	v_cndmask_b32_e64 v32, 0, 4, vcc_lo
	v_cmp_le_u32_e32 vcc_lo, v48, v27
	ds_bpermute_b32 v30, v47, v29
	v_add_lshl_u32 v49, v32, v40, 2
	s_wait_dscnt 0x0
	v_cndmask_b32_e32 v30, 0, v30, vcc_lo
	v_cmp_gt_u32_e32 vcc_lo, 24, v40
	v_cndmask_b32_e64 v32, 0, 8, vcc_lo
	v_cmp_le_u32_e32 vcc_lo, v50, v27
	s_delay_alu instid0(VALU_DEP_4) | instskip(NEXT) | instid1(VALU_DEP_3)
	v_add_nc_u32_e32 v29, v29, v30
	v_add_lshl_u32 v51, v32, v40, 2
	ds_bpermute_b32 v30, v49, v29
	s_wait_dscnt 0x0
	v_cndmask_b32_e32 v30, 0, v30, vcc_lo
	v_cmp_le_u32_e32 vcc_lo, v52, v27
	s_delay_alu instid0(VALU_DEP_2) | instskip(SKIP_4) | instid1(VALU_DEP_2)
	v_add_nc_u32_e32 v29, v29, v30
	ds_bpermute_b32 v30, v51, v29
	s_wait_dscnt 0x0
	v_cndmask_b32_e32 v30, 0, v30, vcc_lo
	v_cmp_le_u32_e32 vcc_lo, v54, v27
	v_add_nc_u32_e32 v29, v29, v30
	ds_bpermute_b32 v30, v53, v29
	s_wait_dscnt 0x0
	v_cndmask_b32_e32 v27, 0, v30, vcc_lo
	s_delay_alu instid0(VALU_DEP_1)
	v_dual_mov_b32 v29, 0 :: v_dual_add_nc_u32 v30, v29, v27
	s_branch .LBB961_161
.LBB961_159:                            ;   in Loop: Header=BB961_161 Depth=1
	s_or_b32 exec_lo, exec_lo, s16
	v_and_b32_e32 v32, 0xff, v31
	ds_bpermute_b32 v33, v45, v30
	v_subrev_nc_u32_e32 v28, 32, v28
	s_mov_b32 s16, 0
	v_cmp_eq_u16_e32 vcc_lo, 2, v32
	v_and_or_b32 v32, vcc_lo, v46, 0x80000000
	s_delay_alu instid0(VALU_DEP_1) | instskip(NEXT) | instid1(VALU_DEP_1)
	v_ctz_i32_b32_e32 v32, v32
	v_cmp_lt_u32_e32 vcc_lo, v40, v32
	s_wait_dscnt 0x0
	v_cndmask_b32_e32 v33, 0, v33, vcc_lo
	v_cmp_le_u32_e32 vcc_lo, v48, v32
	s_delay_alu instid0(VALU_DEP_2) | instskip(SKIP_4) | instid1(VALU_DEP_2)
	v_add_nc_u32_e32 v30, v33, v30
	ds_bpermute_b32 v33, v47, v30
	s_wait_dscnt 0x0
	v_cndmask_b32_e32 v33, 0, v33, vcc_lo
	v_cmp_le_u32_e32 vcc_lo, v50, v32
	v_add_nc_u32_e32 v30, v30, v33
	ds_bpermute_b32 v33, v49, v30
	s_wait_dscnt 0x0
	v_cndmask_b32_e32 v33, 0, v33, vcc_lo
	v_cmp_le_u32_e32 vcc_lo, v52, v32
	s_delay_alu instid0(VALU_DEP_2) | instskip(SKIP_4) | instid1(VALU_DEP_2)
	v_add_nc_u32_e32 v30, v30, v33
	ds_bpermute_b32 v33, v51, v30
	s_wait_dscnt 0x0
	v_cndmask_b32_e32 v33, 0, v33, vcc_lo
	v_cmp_le_u32_e32 vcc_lo, v54, v32
	v_add_nc_u32_e32 v30, v30, v33
	ds_bpermute_b32 v33, v53, v30
	s_wait_dscnt 0x0
	v_cndmask_b32_e32 v32, 0, v33, vcc_lo
	s_delay_alu instid0(VALU_DEP_1)
	v_add3_u32 v30, v32, v27, v30
.LBB961_160:                            ;   in Loop: Header=BB961_161 Depth=1
	s_and_b32 vcc_lo, exec_lo, s16
	s_cbranch_vccnz .LBB961_166
.LBB961_161:                            ; =>This Loop Header: Depth=1
                                        ;     Child Loop BB961_164 Depth 2
	v_and_b32_e32 v27, 0xff, v31
	s_mov_b32 s16, -1
                                        ; implicit-def: $vgpr31
	s_delay_alu instid0(VALU_DEP_1)
	v_cmp_ne_u16_e32 vcc_lo, 2, v27
	v_mov_b32_e32 v27, v30
                                        ; implicit-def: $vgpr30
	s_cmp_lg_u32 vcc_lo, exec_lo
	s_cbranch_scc1 .LBB961_160
; %bb.162:                              ;   in Loop: Header=BB961_161 Depth=1
	global_load_b64 v[30:31], v28, s[10:11] scale_offset scope:SCOPE_DEV
	s_mov_b32 s16, exec_lo
	s_wait_loadcnt 0x0
	v_and_b32_e32 v32, 0xff, v31
	s_wait_xcnt 0x0
	s_delay_alu instid0(VALU_DEP_1)
	v_cmpx_eq_u16_e32 0, v32
	s_cbranch_execz .LBB961_159
; %bb.163:                              ;   in Loop: Header=BB961_161 Depth=1
	v_lshl_add_u64 v[32:33], v[28:29], 3, s[10:11]
	s_mov_b32 s17, 0
.LBB961_164:                            ;   Parent Loop BB961_161 Depth=1
                                        ; =>  This Inner Loop Header: Depth=2
	global_load_b64 v[30:31], v[32:33], off scope:SCOPE_DEV
	s_wait_loadcnt 0x0
	v_and_b32_e32 v55, 0xff, v31
	s_delay_alu instid0(VALU_DEP_1)
	v_cmp_ne_u16_e32 vcc_lo, 0, v55
	s_or_b32 s17, vcc_lo, s17
	s_wait_xcnt 0x0
	s_and_not1_b32 exec_lo, exec_lo, s17
	s_cbranch_execnz .LBB961_164
; %bb.165:                              ;   in Loop: Header=BB961_161 Depth=1
	s_or_b32 exec_lo, exec_lo, s17
	s_branch .LBB961_159
.LBB961_166:
	s_and_saveexec_b32 s16, s8
	s_cbranch_execz .LBB961_168
; %bb.167:
	s_add_co_i32 s17, s26, 32
	v_dual_mov_b32 v29, 2 :: v_dual_add_nc_u32 v28, v27, v26
	v_dual_mov_b32 v30, s17 :: v_dual_mov_b32 v31, 0
	global_store_b64 v30, v[28:29], s[10:11] scale_offset scope:SCOPE_DEV
	ds_store_b64 v31, v[26:27] offset:5120
.LBB961_168:
	s_wait_xcnt 0x0
	s_or_b32 exec_lo, exec_lo, s16
	v_cmp_eq_u32_e32 vcc_lo, 0, v0
	s_and_b32 exec_lo, exec_lo, vcc_lo
; %bb.169:
	v_mov_b32_e32 v26, 0
	ds_store_b32 v26, v27 offset:12
.LBB961_170:
	s_or_b32 exec_lo, exec_lo, s9
	s_wait_dscnt 0x0
	v_dual_mov_b32 v26, 0 :: v_dual_cndmask_b32 v28, v44, v43, s8
	s_wait_storecnt 0x0
	s_barrier_signal -1
	s_barrier_wait -1
	ds_load_b32 v27, v26 offset:12
	v_cmp_ne_u32_e32 vcc_lo, 0, v0
	s_wait_dscnt 0x0
	s_barrier_signal -1
	s_barrier_wait -1
	v_cndmask_b32_e32 v28, 0, v28, vcc_lo
	s_mov_b32 s9, 0
	s_delay_alu instid0(VALU_DEP_1) | instskip(SKIP_2) | instid1(VALU_DEP_1)
	v_add_nc_u32_e32 v32, v27, v28
	ds_load_b64 v[26:27], v26 offset:5120
	v_add_nc_u32_e32 v31, v32, v25
	v_add_nc_u32_e32 v30, v31, v37
	s_delay_alu instid0(VALU_DEP_1) | instskip(NEXT) | instid1(VALU_DEP_1)
	v_add_nc_u32_e32 v29, v30, v38
	v_add_nc_u32_e32 v28, v29, v39
	s_wait_dscnt 0x0
	v_readfirstlane_b32 s8, v27
.LBB961_171:
	s_and_b32 vcc_lo, exec_lo, s9
	s_cbranch_vccz .LBB961_181
; %bb.172:
	v_mov_b32_dpp v26, v42 row_shr:1 row_mask:0xf bank_mask:0xf
	s_delay_alu instid0(VALU_DEP_1) | instskip(NEXT) | instid1(VALU_DEP_1)
	v_cndmask_b32_e64 v26, v26, 0, s4
	v_add_nc_u32_e32 v26, v26, v42
	s_delay_alu instid0(VALU_DEP_1) | instskip(NEXT) | instid1(VALU_DEP_1)
	v_mov_b32_dpp v27, v26 row_shr:2 row_mask:0xf bank_mask:0xf
	v_cndmask_b32_e64 v27, 0, v27, s6
	s_delay_alu instid0(VALU_DEP_1) | instskip(NEXT) | instid1(VALU_DEP_1)
	v_add_nc_u32_e32 v26, v26, v27
	v_mov_b32_dpp v27, v26 row_shr:4 row_mask:0xf bank_mask:0xf
	s_delay_alu instid0(VALU_DEP_1) | instskip(NEXT) | instid1(VALU_DEP_1)
	v_cndmask_b32_e64 v27, 0, v27, s7
	v_add_nc_u32_e32 v26, v26, v27
	s_delay_alu instid0(VALU_DEP_1) | instskip(NEXT) | instid1(VALU_DEP_1)
	v_mov_b32_dpp v27, v26 row_shr:8 row_mask:0xf bank_mask:0xf
	v_cndmask_b32_e64 v27, 0, v27, s5
	s_delay_alu instid0(VALU_DEP_1) | instskip(SKIP_3) | instid1(VALU_DEP_1)
	v_add_nc_u32_e32 v26, v26, v27
	ds_swizzle_b32 v27, v26 offset:swizzle(BROADCAST,32,15)
	s_wait_dscnt 0x0
	v_cndmask_b32_e64 v27, v27, 0, s3
	v_add_nc_u32_e32 v26, v26, v27
	s_and_saveexec_b32 s3, s2
; %bb.173:
	v_lshlrev_b32_e32 v27, 2, v41
	ds_store_b32 v27, v26
; %bb.174:
	s_or_b32 exec_lo, exec_lo, s3
	s_delay_alu instid0(SALU_CYCLE_1)
	s_mov_b32 s2, exec_lo
	s_wait_dscnt 0x0
	s_barrier_signal -1
	s_barrier_wait -1
	v_cmpx_gt_u32_e32 4, v0
	s_cbranch_execz .LBB961_176
; %bb.175:
	v_and_b32_e32 v29, 3, v40
	s_delay_alu instid0(VALU_DEP_1) | instskip(SKIP_4) | instid1(VALU_DEP_1)
	v_cmp_ne_u32_e32 vcc_lo, 0, v29
	v_lshlrev_b32_e32 v27, 2, v0
	ds_load_b32 v28, v27
	s_wait_dscnt 0x0
	v_mov_b32_dpp v30, v28 row_shr:1 row_mask:0xf bank_mask:0xf
	v_cndmask_b32_e32 v30, 0, v30, vcc_lo
	v_cmp_lt_u32_e32 vcc_lo, 1, v29
	s_delay_alu instid0(VALU_DEP_2) | instskip(NEXT) | instid1(VALU_DEP_1)
	v_add_nc_u32_e32 v28, v30, v28
	v_mov_b32_dpp v30, v28 row_shr:2 row_mask:0xf bank_mask:0xf
	s_delay_alu instid0(VALU_DEP_1) | instskip(NEXT) | instid1(VALU_DEP_1)
	v_cndmask_b32_e32 v29, 0, v30, vcc_lo
	v_add_nc_u32_e32 v28, v28, v29
	ds_store_b32 v27, v28
.LBB961_176:
	s_or_b32 exec_lo, exec_lo, s2
	v_dual_mov_b32 v27, 0 :: v_dual_mov_b32 v28, 0
	s_mov_b32 s2, exec_lo
	s_wait_dscnt 0x0
	s_barrier_signal -1
	s_barrier_wait -1
	v_cmpx_lt_u32_e32 31, v0
; %bb.177:
	v_lshl_add_u32 v28, v41, 2, -4
	ds_load_b32 v28, v28
; %bb.178:
	s_or_b32 exec_lo, exec_lo, s2
	v_sub_co_u32 v29, vcc_lo, v40, 1
	s_mov_b32 s8, 0
	s_wait_dscnt 0x0
	v_add_nc_u32_e32 v26, v28, v26
	v_cmp_gt_i32_e64 s2, 0, v29
	s_delay_alu instid0(VALU_DEP_1) | instskip(SKIP_1) | instid1(VALU_DEP_2)
	v_cndmask_b32_e64 v29, v29, v40, s2
	v_cmp_eq_u32_e64 s2, 0, v0
	v_lshlrev_b32_e32 v29, 2, v29
	ds_bpermute_b32 v29, v29, v26
	ds_load_b32 v26, v27 offset:12
	s_and_saveexec_b32 s3, s2
	s_cbranch_execz .LBB961_180
; %bb.179:
	v_dual_mov_b32 v30, 0 :: v_dual_mov_b32 v27, 2
	s_wait_dscnt 0x0
	global_store_b64 v30, v[26:27], s[10:11] offset:256 scope:SCOPE_DEV
.LBB961_180:
	s_wait_xcnt 0x0
	s_or_b32 exec_lo, exec_lo, s3
	s_wait_dscnt 0x1
	v_cndmask_b32_e32 v27, v29, v28, vcc_lo
	s_wait_storecnt_dscnt 0x0
	s_barrier_signal -1
	s_barrier_wait -1
	s_delay_alu instid0(VALU_DEP_1) | instskip(NEXT) | instid1(VALU_DEP_1)
	v_cndmask_b32_e64 v32, v27, 0, s2
	v_add_nc_u32_e32 v31, v32, v25
	s_delay_alu instid0(VALU_DEP_1) | instskip(NEXT) | instid1(VALU_DEP_1)
	v_add_nc_u32_e32 v30, v31, v37
	v_add_nc_u32_e32 v29, v30, v38
	s_delay_alu instid0(VALU_DEP_1)
	v_add_nc_u32_e32 v28, v29, v39
.LBB961_181:
	s_load_b128 s[4:7], s[0:1], 0x28
	s_delay_alu instid0(VALU_DEP_1)
	v_dual_add_nc_u32 v25, s8, v26 :: v_dual_bitop2_b32 v24, 1, v24 bitop3:0x40
	s_wait_xcnt 0x0
	v_cmp_gt_u32_e64 s0, 0x81, v26
	s_mov_b32 s3, -1
	v_cmp_lt_u32_e64 s1, v32, v25
	v_cmp_eq_u32_e64 s2, 1, v24
	s_and_b32 vcc_lo, exec_lo, s0
	s_cbranch_vccz .LBB961_193
; %bb.182:
	s_or_b32 s1, s25, s1
	s_delay_alu instid0(SALU_CYCLE_1) | instskip(NEXT) | instid1(SALU_CYCLE_1)
	s_and_b32 s2, s1, s2
	s_and_saveexec_b32 s1, s2
	s_cbranch_execz .LBB961_184
; %bb.183:
	s_lshl_b64 s[2:3], s[14:15], 3
	s_wait_kmcnt 0x0
	s_add_nc_u64 s[2:3], s[4:5], s[2:3]
	global_store_b64 v32, v[14:15], s[2:3] scale_offset
.LBB961_184:
	s_wait_xcnt 0x0
	s_or_b32 exec_lo, exec_lo, s1
	v_and_b32_e32 v27, 1, v23
	v_cmp_lt_u32_e32 vcc_lo, v31, v25
	s_delay_alu instid0(VALU_DEP_2) | instskip(SKIP_1) | instid1(SALU_CYCLE_1)
	v_cmp_eq_u32_e64 s1, 1, v27
	s_or_b32 s2, s25, vcc_lo
	s_and_b32 s2, s2, s1
	s_delay_alu instid0(SALU_CYCLE_1)
	s_and_saveexec_b32 s1, s2
	s_cbranch_execz .LBB961_186
; %bb.185:
	s_lshl_b64 s[2:3], s[14:15], 3
	s_wait_kmcnt 0x0
	s_add_nc_u64 s[2:3], s[4:5], s[2:3]
	global_store_b64 v31, v[16:17], s[2:3] scale_offset
.LBB961_186:
	s_wait_xcnt 0x0
	s_or_b32 exec_lo, exec_lo, s1
	v_and_b32_e32 v27, 1, v36
	v_cmp_lt_u32_e32 vcc_lo, v30, v25
	s_delay_alu instid0(VALU_DEP_2) | instskip(SKIP_1) | instid1(SALU_CYCLE_1)
	v_cmp_eq_u32_e64 s1, 1, v27
	s_or_b32 s2, s25, vcc_lo
	s_and_b32 s2, s2, s1
	s_delay_alu instid0(SALU_CYCLE_1)
	;; [unrolled: 17-line block ×4, first 2 shown]
	s_and_saveexec_b32 s1, s2
	s_cbranch_execz .LBB961_192
; %bb.191:
	s_lshl_b64 s[2:3], s[14:15], 3
	s_wait_kmcnt 0x0
	s_add_nc_u64 s[2:3], s[4:5], s[2:3]
	global_store_b64 v28, v[20:21], s[2:3] scale_offset
.LBB961_192:
	s_wait_xcnt 0x0
	s_or_b32 exec_lo, exec_lo, s1
	s_mov_b32 s3, 0
.LBB961_193:
	s_delay_alu instid0(SALU_CYCLE_1)
	s_and_b32 vcc_lo, exec_lo, s3
	s_cbranch_vccz .LBB961_207
; %bb.194:
	s_mov_b32 s1, exec_lo
	v_cmpx_eq_u32_e32 1, v24
; %bb.195:
	v_subrev_nc_u32_e32 v27, s8, v32
	s_delay_alu instid0(VALU_DEP_1)
	v_lshlrev_b32_e32 v27, 3, v27
	ds_store_b64 v27, v[14:15]
; %bb.196:
	s_or_b32 exec_lo, exec_lo, s1
	v_and_b32_e32 v14, 1, v23
	s_mov_b32 s1, exec_lo
	s_delay_alu instid0(VALU_DEP_1)
	v_cmpx_eq_u32_e32 1, v14
; %bb.197:
	v_subrev_nc_u32_e32 v14, s8, v31
	s_delay_alu instid0(VALU_DEP_1)
	v_lshlrev_b32_e32 v14, 3, v14
	ds_store_b64 v14, v[16:17]
; %bb.198:
	s_or_b32 exec_lo, exec_lo, s1
	v_and_b32_e32 v14, 1, v36
	s_mov_b32 s1, exec_lo
	s_delay_alu instid0(VALU_DEP_1)
	;; [unrolled: 11-line block ×4, first 2 shown]
	v_cmpx_eq_u32_e32 1, v10
; %bb.203:
	v_subrev_nc_u32_e32 v10, s8, v28
	s_delay_alu instid0(VALU_DEP_1)
	v_lshlrev_b32_e32 v10, 3, v10
	ds_store_b64 v10, v[20:21]
; %bb.204:
	s_or_b32 exec_lo, exec_lo, s1
	s_mov_b32 s9, 0
	v_dual_mov_b32 v11, v1 :: v_dual_lshlrev_b32 v10, 3, v0
	s_lshl_b64 s[2:3], s[8:9], 3
	s_wait_storecnt_dscnt 0x0
	s_wait_kmcnt 0x0
	s_add_nc_u64 s[2:3], s[4:5], s[2:3]
	s_lshl_b64 s[4:5], s[14:15], 3
	s_barrier_signal -1
	s_add_nc_u64 s[2:3], s[2:3], s[4:5]
	s_barrier_wait -1
.LBB961_205:                            ; =>This Inner Loop Header: Depth=1
	ds_load_b64 v[12:13], v10
	v_add_nc_u32_e32 v10, 0x400, v10
	s_wait_dscnt 0x0
	global_store_b64 v11, v[12:13], s[2:3] scale_offset
	s_wait_xcnt 0x0
	v_add_nc_u32_e32 v11, 0x80, v11
	s_delay_alu instid0(VALU_DEP_1) | instskip(SKIP_1) | instid1(SALU_CYCLE_1)
	v_cmp_ge_u32_e32 vcc_lo, v11, v26
	s_or_b32 s9, vcc_lo, s9
	s_and_not1_b32 exec_lo, exec_lo, s9
	s_cbranch_execnz .LBB961_205
; %bb.206:
	s_or_b32 exec_lo, exec_lo, s9
.LBB961_207:
	s_delay_alu instid0(SALU_CYCLE_1)
	s_and_b32 vcc_lo, exec_lo, s0
	s_mov_b32 s0, -1
	s_wait_storecnt 0x0
	s_barrier_signal -1
	s_barrier_wait -1
	s_cbranch_vccz .LBB961_219
; %bb.208:
	v_cmp_lt_u32_e32 vcc_lo, v32, v25
	v_cmp_eq_u32_e64 s0, 1, v24
	s_or_b32 s1, s25, vcc_lo
	s_delay_alu instid0(SALU_CYCLE_1) | instskip(NEXT) | instid1(SALU_CYCLE_1)
	s_and_b32 s1, s1, s0
	s_and_saveexec_b32 s0, s1
	s_cbranch_execz .LBB961_210
; %bb.209:
	s_lshl_b64 s[2:3], s[14:15], 3
	s_wait_kmcnt 0x0
	s_add_nc_u64 s[2:3], s[6:7], s[2:3]
	global_store_b64 v32, v[6:7], s[2:3] scale_offset
.LBB961_210:
	s_wait_xcnt 0x0
	s_or_b32 exec_lo, exec_lo, s0
	v_and_b32_e32 v10, 1, v23
	v_cmp_lt_u32_e32 vcc_lo, v31, v25
	s_delay_alu instid0(VALU_DEP_2) | instskip(SKIP_1) | instid1(SALU_CYCLE_1)
	v_cmp_eq_u32_e64 s0, 1, v10
	s_or_b32 s1, s25, vcc_lo
	s_and_b32 s1, s1, s0
	s_delay_alu instid0(SALU_CYCLE_1)
	s_and_saveexec_b32 s0, s1
	s_cbranch_execz .LBB961_212
; %bb.211:
	s_lshl_b64 s[2:3], s[14:15], 3
	s_wait_kmcnt 0x0
	s_add_nc_u64 s[2:3], s[6:7], s[2:3]
	global_store_b64 v31, v[8:9], s[2:3] scale_offset
.LBB961_212:
	s_wait_xcnt 0x0
	s_or_b32 exec_lo, exec_lo, s0
	v_and_b32_e32 v10, 1, v36
	v_cmp_lt_u32_e32 vcc_lo, v30, v25
	s_delay_alu instid0(VALU_DEP_2) | instskip(SKIP_1) | instid1(SALU_CYCLE_1)
	v_cmp_eq_u32_e64 s0, 1, v10
	s_or_b32 s1, s25, vcc_lo
	s_and_b32 s1, s1, s0
	s_delay_alu instid0(SALU_CYCLE_1)
	;; [unrolled: 17-line block ×4, first 2 shown]
	s_and_saveexec_b32 s0, s1
	s_cbranch_execz .LBB961_218
; %bb.217:
	s_lshl_b64 s[2:3], s[14:15], 3
	s_wait_kmcnt 0x0
	s_add_nc_u64 s[2:3], s[6:7], s[2:3]
	global_store_b64 v28, v[18:19], s[2:3] scale_offset
.LBB961_218:
	s_wait_xcnt 0x0
	s_or_b32 exec_lo, exec_lo, s0
	s_mov_b32 s0, 0
.LBB961_219:
	s_delay_alu instid0(SALU_CYCLE_1)
	s_and_b32 vcc_lo, exec_lo, s0
	s_cbranch_vccz .LBB961_233
; %bb.220:
	s_mov_b32 s0, exec_lo
	v_cmpx_eq_u32_e32 1, v24
; %bb.221:
	v_subrev_nc_u32_e32 v10, s8, v32
	s_delay_alu instid0(VALU_DEP_1)
	v_lshlrev_b32_e32 v10, 3, v10
	ds_store_b64 v10, v[6:7]
; %bb.222:
	s_or_b32 exec_lo, exec_lo, s0
	v_and_b32_e32 v6, 1, v23
	s_mov_b32 s0, exec_lo
	s_delay_alu instid0(VALU_DEP_1)
	v_cmpx_eq_u32_e32 1, v6
; %bb.223:
	v_subrev_nc_u32_e32 v6, s8, v31
	s_delay_alu instid0(VALU_DEP_1)
	v_lshlrev_b32_e32 v6, 3, v6
	ds_store_b64 v6, v[8:9]
; %bb.224:
	s_or_b32 exec_lo, exec_lo, s0
	v_and_b32_e32 v6, 1, v36
	s_mov_b32 s0, exec_lo
	s_delay_alu instid0(VALU_DEP_1)
	;; [unrolled: 11-line block ×4, first 2 shown]
	v_cmpx_eq_u32_e32 1, v2
; %bb.229:
	v_subrev_nc_u32_e32 v2, s8, v28
	s_delay_alu instid0(VALU_DEP_1)
	v_lshlrev_b32_e32 v2, 3, v2
	ds_store_b64 v2, v[18:19]
; %bb.230:
	s_or_b32 exec_lo, exec_lo, s0
	s_mov_b32 s9, 0
	s_lshl_b64 s[2:3], s[14:15], 3
	s_lshl_b64 s[0:1], s[8:9], 3
	s_wait_storecnt_dscnt 0x0
	s_wait_kmcnt 0x0
	s_add_nc_u64 s[0:1], s[6:7], s[0:1]
	s_barrier_signal -1
	s_add_nc_u64 s[0:1], s[0:1], s[2:3]
	s_barrier_wait -1
.LBB961_231:                            ; =>This Inner Loop Header: Depth=1
	ds_load_b64 v[2:3], v34
	v_add_nc_u32_e32 v34, 0x400, v34
	s_wait_dscnt 0x0
	global_store_b64 v1, v[2:3], s[0:1] scale_offset
	s_wait_xcnt 0x0
	v_add_nc_u32_e32 v1, 0x80, v1
	s_delay_alu instid0(VALU_DEP_1) | instskip(SKIP_1) | instid1(SALU_CYCLE_1)
	v_cmp_ge_u32_e32 vcc_lo, v1, v26
	s_or_b32 s9, vcc_lo, s9
	s_and_not1_b32 exec_lo, exec_lo, s9
	s_cbranch_execnz .LBB961_231
; %bb.232:
	s_or_b32 exec_lo, exec_lo, s9
.LBB961_233:
	v_cmp_eq_u32_e32 vcc_lo, 0, v0
	s_mov_b32 s9, 0
	s_and_b32 s0, vcc_lo, s24
	s_delay_alu instid0(SALU_CYCLE_1)
	s_and_saveexec_b32 s1, s0
	s_cbranch_execz .LBB961_235
; %bb.234:
	v_mov_b32_e32 v27, 0
	s_delay_alu instid0(VALU_DEP_1) | instskip(NEXT) | instid1(VALU_DEP_1)
	v_add_nc_u64_e32 v[0:1], s[14:15], v[26:27]
	v_add_nc_u64_e32 v[0:1], s[8:9], v[0:1]
	global_store_b64 v27, v[0:1], s[12:13]
.LBB961_235:
	s_endpgm
	.section	.rodata,"a",@progbits
	.p2align	6, 0x0
	.amdhsa_kernel _ZN7rocprim17ROCPRIM_400000_NS6detail17trampoline_kernelINS0_14default_configENS1_25partition_config_selectorILNS1_17partition_subalgoE9EllbEEZZNS1_14partition_implILS5_9ELb0ES3_jPlS8_PNS0_10empty_typeENS0_5tupleIJS8_S9_EEENSB_IJS8_SA_EEENS0_18inequality_wrapperIZN2at6native12_GLOBAL__N_124unique_dim_cuda_templateIfEESt5tupleIJNSF_6TensorESK_SK_EERKSK_lbbbEUlllE0_EEPmJS9_EEE10hipError_tPvRmT3_T4_T5_T6_T7_T9_mT8_P12ihipStream_tbDpT10_ENKUlT_T0_E_clISt17integral_constantIbLb0EES1A_EEDaS15_S16_EUlS15_E_NS1_11comp_targetILNS1_3genE0ELNS1_11target_archE4294967295ELNS1_3gpuE0ELNS1_3repE0EEENS1_30default_config_static_selectorELNS0_4arch9wavefront6targetE0EEEvT1_
		.amdhsa_group_segment_fixed_size 5128
		.amdhsa_private_segment_fixed_size 0
		.amdhsa_kernarg_size 120
		.amdhsa_user_sgpr_count 2
		.amdhsa_user_sgpr_dispatch_ptr 0
		.amdhsa_user_sgpr_queue_ptr 0
		.amdhsa_user_sgpr_kernarg_segment_ptr 1
		.amdhsa_user_sgpr_dispatch_id 0
		.amdhsa_user_sgpr_kernarg_preload_length 0
		.amdhsa_user_sgpr_kernarg_preload_offset 0
		.amdhsa_user_sgpr_private_segment_size 0
		.amdhsa_wavefront_size32 1
		.amdhsa_uses_dynamic_stack 0
		.amdhsa_enable_private_segment 0
		.amdhsa_system_sgpr_workgroup_id_x 1
		.amdhsa_system_sgpr_workgroup_id_y 0
		.amdhsa_system_sgpr_workgroup_id_z 0
		.amdhsa_system_sgpr_workgroup_info 0
		.amdhsa_system_vgpr_workitem_id 0
		.amdhsa_next_free_vgpr 56
		.amdhsa_next_free_sgpr 32
		.amdhsa_named_barrier_count 0
		.amdhsa_reserve_vcc 1
		.amdhsa_float_round_mode_32 0
		.amdhsa_float_round_mode_16_64 0
		.amdhsa_float_denorm_mode_32 3
		.amdhsa_float_denorm_mode_16_64 3
		.amdhsa_fp16_overflow 0
		.amdhsa_memory_ordered 1
		.amdhsa_forward_progress 1
		.amdhsa_inst_pref_size 74
		.amdhsa_round_robin_scheduling 0
		.amdhsa_exception_fp_ieee_invalid_op 0
		.amdhsa_exception_fp_denorm_src 0
		.amdhsa_exception_fp_ieee_div_zero 0
		.amdhsa_exception_fp_ieee_overflow 0
		.amdhsa_exception_fp_ieee_underflow 0
		.amdhsa_exception_fp_ieee_inexact 0
		.amdhsa_exception_int_div_zero 0
	.end_amdhsa_kernel
	.section	.text._ZN7rocprim17ROCPRIM_400000_NS6detail17trampoline_kernelINS0_14default_configENS1_25partition_config_selectorILNS1_17partition_subalgoE9EllbEEZZNS1_14partition_implILS5_9ELb0ES3_jPlS8_PNS0_10empty_typeENS0_5tupleIJS8_S9_EEENSB_IJS8_SA_EEENS0_18inequality_wrapperIZN2at6native12_GLOBAL__N_124unique_dim_cuda_templateIfEESt5tupleIJNSF_6TensorESK_SK_EERKSK_lbbbEUlllE0_EEPmJS9_EEE10hipError_tPvRmT3_T4_T5_T6_T7_T9_mT8_P12ihipStream_tbDpT10_ENKUlT_T0_E_clISt17integral_constantIbLb0EES1A_EEDaS15_S16_EUlS15_E_NS1_11comp_targetILNS1_3genE0ELNS1_11target_archE4294967295ELNS1_3gpuE0ELNS1_3repE0EEENS1_30default_config_static_selectorELNS0_4arch9wavefront6targetE0EEEvT1_,"axG",@progbits,_ZN7rocprim17ROCPRIM_400000_NS6detail17trampoline_kernelINS0_14default_configENS1_25partition_config_selectorILNS1_17partition_subalgoE9EllbEEZZNS1_14partition_implILS5_9ELb0ES3_jPlS8_PNS0_10empty_typeENS0_5tupleIJS8_S9_EEENSB_IJS8_SA_EEENS0_18inequality_wrapperIZN2at6native12_GLOBAL__N_124unique_dim_cuda_templateIfEESt5tupleIJNSF_6TensorESK_SK_EERKSK_lbbbEUlllE0_EEPmJS9_EEE10hipError_tPvRmT3_T4_T5_T6_T7_T9_mT8_P12ihipStream_tbDpT10_ENKUlT_T0_E_clISt17integral_constantIbLb0EES1A_EEDaS15_S16_EUlS15_E_NS1_11comp_targetILNS1_3genE0ELNS1_11target_archE4294967295ELNS1_3gpuE0ELNS1_3repE0EEENS1_30default_config_static_selectorELNS0_4arch9wavefront6targetE0EEEvT1_,comdat
.Lfunc_end961:
	.size	_ZN7rocprim17ROCPRIM_400000_NS6detail17trampoline_kernelINS0_14default_configENS1_25partition_config_selectorILNS1_17partition_subalgoE9EllbEEZZNS1_14partition_implILS5_9ELb0ES3_jPlS8_PNS0_10empty_typeENS0_5tupleIJS8_S9_EEENSB_IJS8_SA_EEENS0_18inequality_wrapperIZN2at6native12_GLOBAL__N_124unique_dim_cuda_templateIfEESt5tupleIJNSF_6TensorESK_SK_EERKSK_lbbbEUlllE0_EEPmJS9_EEE10hipError_tPvRmT3_T4_T5_T6_T7_T9_mT8_P12ihipStream_tbDpT10_ENKUlT_T0_E_clISt17integral_constantIbLb0EES1A_EEDaS15_S16_EUlS15_E_NS1_11comp_targetILNS1_3genE0ELNS1_11target_archE4294967295ELNS1_3gpuE0ELNS1_3repE0EEENS1_30default_config_static_selectorELNS0_4arch9wavefront6targetE0EEEvT1_, .Lfunc_end961-_ZN7rocprim17ROCPRIM_400000_NS6detail17trampoline_kernelINS0_14default_configENS1_25partition_config_selectorILNS1_17partition_subalgoE9EllbEEZZNS1_14partition_implILS5_9ELb0ES3_jPlS8_PNS0_10empty_typeENS0_5tupleIJS8_S9_EEENSB_IJS8_SA_EEENS0_18inequality_wrapperIZN2at6native12_GLOBAL__N_124unique_dim_cuda_templateIfEESt5tupleIJNSF_6TensorESK_SK_EERKSK_lbbbEUlllE0_EEPmJS9_EEE10hipError_tPvRmT3_T4_T5_T6_T7_T9_mT8_P12ihipStream_tbDpT10_ENKUlT_T0_E_clISt17integral_constantIbLb0EES1A_EEDaS15_S16_EUlS15_E_NS1_11comp_targetILNS1_3genE0ELNS1_11target_archE4294967295ELNS1_3gpuE0ELNS1_3repE0EEENS1_30default_config_static_selectorELNS0_4arch9wavefront6targetE0EEEvT1_
                                        ; -- End function
	.set _ZN7rocprim17ROCPRIM_400000_NS6detail17trampoline_kernelINS0_14default_configENS1_25partition_config_selectorILNS1_17partition_subalgoE9EllbEEZZNS1_14partition_implILS5_9ELb0ES3_jPlS8_PNS0_10empty_typeENS0_5tupleIJS8_S9_EEENSB_IJS8_SA_EEENS0_18inequality_wrapperIZN2at6native12_GLOBAL__N_124unique_dim_cuda_templateIfEESt5tupleIJNSF_6TensorESK_SK_EERKSK_lbbbEUlllE0_EEPmJS9_EEE10hipError_tPvRmT3_T4_T5_T6_T7_T9_mT8_P12ihipStream_tbDpT10_ENKUlT_T0_E_clISt17integral_constantIbLb0EES1A_EEDaS15_S16_EUlS15_E_NS1_11comp_targetILNS1_3genE0ELNS1_11target_archE4294967295ELNS1_3gpuE0ELNS1_3repE0EEENS1_30default_config_static_selectorELNS0_4arch9wavefront6targetE0EEEvT1_.num_vgpr, 56
	.set _ZN7rocprim17ROCPRIM_400000_NS6detail17trampoline_kernelINS0_14default_configENS1_25partition_config_selectorILNS1_17partition_subalgoE9EllbEEZZNS1_14partition_implILS5_9ELb0ES3_jPlS8_PNS0_10empty_typeENS0_5tupleIJS8_S9_EEENSB_IJS8_SA_EEENS0_18inequality_wrapperIZN2at6native12_GLOBAL__N_124unique_dim_cuda_templateIfEESt5tupleIJNSF_6TensorESK_SK_EERKSK_lbbbEUlllE0_EEPmJS9_EEE10hipError_tPvRmT3_T4_T5_T6_T7_T9_mT8_P12ihipStream_tbDpT10_ENKUlT_T0_E_clISt17integral_constantIbLb0EES1A_EEDaS15_S16_EUlS15_E_NS1_11comp_targetILNS1_3genE0ELNS1_11target_archE4294967295ELNS1_3gpuE0ELNS1_3repE0EEENS1_30default_config_static_selectorELNS0_4arch9wavefront6targetE0EEEvT1_.num_agpr, 0
	.set _ZN7rocprim17ROCPRIM_400000_NS6detail17trampoline_kernelINS0_14default_configENS1_25partition_config_selectorILNS1_17partition_subalgoE9EllbEEZZNS1_14partition_implILS5_9ELb0ES3_jPlS8_PNS0_10empty_typeENS0_5tupleIJS8_S9_EEENSB_IJS8_SA_EEENS0_18inequality_wrapperIZN2at6native12_GLOBAL__N_124unique_dim_cuda_templateIfEESt5tupleIJNSF_6TensorESK_SK_EERKSK_lbbbEUlllE0_EEPmJS9_EEE10hipError_tPvRmT3_T4_T5_T6_T7_T9_mT8_P12ihipStream_tbDpT10_ENKUlT_T0_E_clISt17integral_constantIbLb0EES1A_EEDaS15_S16_EUlS15_E_NS1_11comp_targetILNS1_3genE0ELNS1_11target_archE4294967295ELNS1_3gpuE0ELNS1_3repE0EEENS1_30default_config_static_selectorELNS0_4arch9wavefront6targetE0EEEvT1_.numbered_sgpr, 32
	.set _ZN7rocprim17ROCPRIM_400000_NS6detail17trampoline_kernelINS0_14default_configENS1_25partition_config_selectorILNS1_17partition_subalgoE9EllbEEZZNS1_14partition_implILS5_9ELb0ES3_jPlS8_PNS0_10empty_typeENS0_5tupleIJS8_S9_EEENSB_IJS8_SA_EEENS0_18inequality_wrapperIZN2at6native12_GLOBAL__N_124unique_dim_cuda_templateIfEESt5tupleIJNSF_6TensorESK_SK_EERKSK_lbbbEUlllE0_EEPmJS9_EEE10hipError_tPvRmT3_T4_T5_T6_T7_T9_mT8_P12ihipStream_tbDpT10_ENKUlT_T0_E_clISt17integral_constantIbLb0EES1A_EEDaS15_S16_EUlS15_E_NS1_11comp_targetILNS1_3genE0ELNS1_11target_archE4294967295ELNS1_3gpuE0ELNS1_3repE0EEENS1_30default_config_static_selectorELNS0_4arch9wavefront6targetE0EEEvT1_.num_named_barrier, 0
	.set _ZN7rocprim17ROCPRIM_400000_NS6detail17trampoline_kernelINS0_14default_configENS1_25partition_config_selectorILNS1_17partition_subalgoE9EllbEEZZNS1_14partition_implILS5_9ELb0ES3_jPlS8_PNS0_10empty_typeENS0_5tupleIJS8_S9_EEENSB_IJS8_SA_EEENS0_18inequality_wrapperIZN2at6native12_GLOBAL__N_124unique_dim_cuda_templateIfEESt5tupleIJNSF_6TensorESK_SK_EERKSK_lbbbEUlllE0_EEPmJS9_EEE10hipError_tPvRmT3_T4_T5_T6_T7_T9_mT8_P12ihipStream_tbDpT10_ENKUlT_T0_E_clISt17integral_constantIbLb0EES1A_EEDaS15_S16_EUlS15_E_NS1_11comp_targetILNS1_3genE0ELNS1_11target_archE4294967295ELNS1_3gpuE0ELNS1_3repE0EEENS1_30default_config_static_selectorELNS0_4arch9wavefront6targetE0EEEvT1_.private_seg_size, 0
	.set _ZN7rocprim17ROCPRIM_400000_NS6detail17trampoline_kernelINS0_14default_configENS1_25partition_config_selectorILNS1_17partition_subalgoE9EllbEEZZNS1_14partition_implILS5_9ELb0ES3_jPlS8_PNS0_10empty_typeENS0_5tupleIJS8_S9_EEENSB_IJS8_SA_EEENS0_18inequality_wrapperIZN2at6native12_GLOBAL__N_124unique_dim_cuda_templateIfEESt5tupleIJNSF_6TensorESK_SK_EERKSK_lbbbEUlllE0_EEPmJS9_EEE10hipError_tPvRmT3_T4_T5_T6_T7_T9_mT8_P12ihipStream_tbDpT10_ENKUlT_T0_E_clISt17integral_constantIbLb0EES1A_EEDaS15_S16_EUlS15_E_NS1_11comp_targetILNS1_3genE0ELNS1_11target_archE4294967295ELNS1_3gpuE0ELNS1_3repE0EEENS1_30default_config_static_selectorELNS0_4arch9wavefront6targetE0EEEvT1_.uses_vcc, 1
	.set _ZN7rocprim17ROCPRIM_400000_NS6detail17trampoline_kernelINS0_14default_configENS1_25partition_config_selectorILNS1_17partition_subalgoE9EllbEEZZNS1_14partition_implILS5_9ELb0ES3_jPlS8_PNS0_10empty_typeENS0_5tupleIJS8_S9_EEENSB_IJS8_SA_EEENS0_18inequality_wrapperIZN2at6native12_GLOBAL__N_124unique_dim_cuda_templateIfEESt5tupleIJNSF_6TensorESK_SK_EERKSK_lbbbEUlllE0_EEPmJS9_EEE10hipError_tPvRmT3_T4_T5_T6_T7_T9_mT8_P12ihipStream_tbDpT10_ENKUlT_T0_E_clISt17integral_constantIbLb0EES1A_EEDaS15_S16_EUlS15_E_NS1_11comp_targetILNS1_3genE0ELNS1_11target_archE4294967295ELNS1_3gpuE0ELNS1_3repE0EEENS1_30default_config_static_selectorELNS0_4arch9wavefront6targetE0EEEvT1_.uses_flat_scratch, 0
	.set _ZN7rocprim17ROCPRIM_400000_NS6detail17trampoline_kernelINS0_14default_configENS1_25partition_config_selectorILNS1_17partition_subalgoE9EllbEEZZNS1_14partition_implILS5_9ELb0ES3_jPlS8_PNS0_10empty_typeENS0_5tupleIJS8_S9_EEENSB_IJS8_SA_EEENS0_18inequality_wrapperIZN2at6native12_GLOBAL__N_124unique_dim_cuda_templateIfEESt5tupleIJNSF_6TensorESK_SK_EERKSK_lbbbEUlllE0_EEPmJS9_EEE10hipError_tPvRmT3_T4_T5_T6_T7_T9_mT8_P12ihipStream_tbDpT10_ENKUlT_T0_E_clISt17integral_constantIbLb0EES1A_EEDaS15_S16_EUlS15_E_NS1_11comp_targetILNS1_3genE0ELNS1_11target_archE4294967295ELNS1_3gpuE0ELNS1_3repE0EEENS1_30default_config_static_selectorELNS0_4arch9wavefront6targetE0EEEvT1_.has_dyn_sized_stack, 0
	.set _ZN7rocprim17ROCPRIM_400000_NS6detail17trampoline_kernelINS0_14default_configENS1_25partition_config_selectorILNS1_17partition_subalgoE9EllbEEZZNS1_14partition_implILS5_9ELb0ES3_jPlS8_PNS0_10empty_typeENS0_5tupleIJS8_S9_EEENSB_IJS8_SA_EEENS0_18inequality_wrapperIZN2at6native12_GLOBAL__N_124unique_dim_cuda_templateIfEESt5tupleIJNSF_6TensorESK_SK_EERKSK_lbbbEUlllE0_EEPmJS9_EEE10hipError_tPvRmT3_T4_T5_T6_T7_T9_mT8_P12ihipStream_tbDpT10_ENKUlT_T0_E_clISt17integral_constantIbLb0EES1A_EEDaS15_S16_EUlS15_E_NS1_11comp_targetILNS1_3genE0ELNS1_11target_archE4294967295ELNS1_3gpuE0ELNS1_3repE0EEENS1_30default_config_static_selectorELNS0_4arch9wavefront6targetE0EEEvT1_.has_recursion, 0
	.set _ZN7rocprim17ROCPRIM_400000_NS6detail17trampoline_kernelINS0_14default_configENS1_25partition_config_selectorILNS1_17partition_subalgoE9EllbEEZZNS1_14partition_implILS5_9ELb0ES3_jPlS8_PNS0_10empty_typeENS0_5tupleIJS8_S9_EEENSB_IJS8_SA_EEENS0_18inequality_wrapperIZN2at6native12_GLOBAL__N_124unique_dim_cuda_templateIfEESt5tupleIJNSF_6TensorESK_SK_EERKSK_lbbbEUlllE0_EEPmJS9_EEE10hipError_tPvRmT3_T4_T5_T6_T7_T9_mT8_P12ihipStream_tbDpT10_ENKUlT_T0_E_clISt17integral_constantIbLb0EES1A_EEDaS15_S16_EUlS15_E_NS1_11comp_targetILNS1_3genE0ELNS1_11target_archE4294967295ELNS1_3gpuE0ELNS1_3repE0EEENS1_30default_config_static_selectorELNS0_4arch9wavefront6targetE0EEEvT1_.has_indirect_call, 0
	.section	.AMDGPU.csdata,"",@progbits
; Kernel info:
; codeLenInByte = 9388
; TotalNumSgprs: 34
; NumVgprs: 56
; ScratchSize: 0
; MemoryBound: 0
; FloatMode: 240
; IeeeMode: 1
; LDSByteSize: 5128 bytes/workgroup (compile time only)
; SGPRBlocks: 0
; VGPRBlocks: 3
; NumSGPRsForWavesPerEU: 34
; NumVGPRsForWavesPerEU: 56
; NamedBarCnt: 0
; Occupancy: 16
; WaveLimiterHint : 1
; COMPUTE_PGM_RSRC2:SCRATCH_EN: 0
; COMPUTE_PGM_RSRC2:USER_SGPR: 2
; COMPUTE_PGM_RSRC2:TRAP_HANDLER: 0
; COMPUTE_PGM_RSRC2:TGID_X_EN: 1
; COMPUTE_PGM_RSRC2:TGID_Y_EN: 0
; COMPUTE_PGM_RSRC2:TGID_Z_EN: 0
; COMPUTE_PGM_RSRC2:TIDIG_COMP_CNT: 0
	.section	.text._ZN7rocprim17ROCPRIM_400000_NS6detail17trampoline_kernelINS0_14default_configENS1_25partition_config_selectorILNS1_17partition_subalgoE9EllbEEZZNS1_14partition_implILS5_9ELb0ES3_jPlS8_PNS0_10empty_typeENS0_5tupleIJS8_S9_EEENSB_IJS8_SA_EEENS0_18inequality_wrapperIZN2at6native12_GLOBAL__N_124unique_dim_cuda_templateIfEESt5tupleIJNSF_6TensorESK_SK_EERKSK_lbbbEUlllE0_EEPmJS9_EEE10hipError_tPvRmT3_T4_T5_T6_T7_T9_mT8_P12ihipStream_tbDpT10_ENKUlT_T0_E_clISt17integral_constantIbLb0EES1A_EEDaS15_S16_EUlS15_E_NS1_11comp_targetILNS1_3genE5ELNS1_11target_archE942ELNS1_3gpuE9ELNS1_3repE0EEENS1_30default_config_static_selectorELNS0_4arch9wavefront6targetE0EEEvT1_,"axG",@progbits,_ZN7rocprim17ROCPRIM_400000_NS6detail17trampoline_kernelINS0_14default_configENS1_25partition_config_selectorILNS1_17partition_subalgoE9EllbEEZZNS1_14partition_implILS5_9ELb0ES3_jPlS8_PNS0_10empty_typeENS0_5tupleIJS8_S9_EEENSB_IJS8_SA_EEENS0_18inequality_wrapperIZN2at6native12_GLOBAL__N_124unique_dim_cuda_templateIfEESt5tupleIJNSF_6TensorESK_SK_EERKSK_lbbbEUlllE0_EEPmJS9_EEE10hipError_tPvRmT3_T4_T5_T6_T7_T9_mT8_P12ihipStream_tbDpT10_ENKUlT_T0_E_clISt17integral_constantIbLb0EES1A_EEDaS15_S16_EUlS15_E_NS1_11comp_targetILNS1_3genE5ELNS1_11target_archE942ELNS1_3gpuE9ELNS1_3repE0EEENS1_30default_config_static_selectorELNS0_4arch9wavefront6targetE0EEEvT1_,comdat
	.globl	_ZN7rocprim17ROCPRIM_400000_NS6detail17trampoline_kernelINS0_14default_configENS1_25partition_config_selectorILNS1_17partition_subalgoE9EllbEEZZNS1_14partition_implILS5_9ELb0ES3_jPlS8_PNS0_10empty_typeENS0_5tupleIJS8_S9_EEENSB_IJS8_SA_EEENS0_18inequality_wrapperIZN2at6native12_GLOBAL__N_124unique_dim_cuda_templateIfEESt5tupleIJNSF_6TensorESK_SK_EERKSK_lbbbEUlllE0_EEPmJS9_EEE10hipError_tPvRmT3_T4_T5_T6_T7_T9_mT8_P12ihipStream_tbDpT10_ENKUlT_T0_E_clISt17integral_constantIbLb0EES1A_EEDaS15_S16_EUlS15_E_NS1_11comp_targetILNS1_3genE5ELNS1_11target_archE942ELNS1_3gpuE9ELNS1_3repE0EEENS1_30default_config_static_selectorELNS0_4arch9wavefront6targetE0EEEvT1_ ; -- Begin function _ZN7rocprim17ROCPRIM_400000_NS6detail17trampoline_kernelINS0_14default_configENS1_25partition_config_selectorILNS1_17partition_subalgoE9EllbEEZZNS1_14partition_implILS5_9ELb0ES3_jPlS8_PNS0_10empty_typeENS0_5tupleIJS8_S9_EEENSB_IJS8_SA_EEENS0_18inequality_wrapperIZN2at6native12_GLOBAL__N_124unique_dim_cuda_templateIfEESt5tupleIJNSF_6TensorESK_SK_EERKSK_lbbbEUlllE0_EEPmJS9_EEE10hipError_tPvRmT3_T4_T5_T6_T7_T9_mT8_P12ihipStream_tbDpT10_ENKUlT_T0_E_clISt17integral_constantIbLb0EES1A_EEDaS15_S16_EUlS15_E_NS1_11comp_targetILNS1_3genE5ELNS1_11target_archE942ELNS1_3gpuE9ELNS1_3repE0EEENS1_30default_config_static_selectorELNS0_4arch9wavefront6targetE0EEEvT1_
	.p2align	8
	.type	_ZN7rocprim17ROCPRIM_400000_NS6detail17trampoline_kernelINS0_14default_configENS1_25partition_config_selectorILNS1_17partition_subalgoE9EllbEEZZNS1_14partition_implILS5_9ELb0ES3_jPlS8_PNS0_10empty_typeENS0_5tupleIJS8_S9_EEENSB_IJS8_SA_EEENS0_18inequality_wrapperIZN2at6native12_GLOBAL__N_124unique_dim_cuda_templateIfEESt5tupleIJNSF_6TensorESK_SK_EERKSK_lbbbEUlllE0_EEPmJS9_EEE10hipError_tPvRmT3_T4_T5_T6_T7_T9_mT8_P12ihipStream_tbDpT10_ENKUlT_T0_E_clISt17integral_constantIbLb0EES1A_EEDaS15_S16_EUlS15_E_NS1_11comp_targetILNS1_3genE5ELNS1_11target_archE942ELNS1_3gpuE9ELNS1_3repE0EEENS1_30default_config_static_selectorELNS0_4arch9wavefront6targetE0EEEvT1_,@function
_ZN7rocprim17ROCPRIM_400000_NS6detail17trampoline_kernelINS0_14default_configENS1_25partition_config_selectorILNS1_17partition_subalgoE9EllbEEZZNS1_14partition_implILS5_9ELb0ES3_jPlS8_PNS0_10empty_typeENS0_5tupleIJS8_S9_EEENSB_IJS8_SA_EEENS0_18inequality_wrapperIZN2at6native12_GLOBAL__N_124unique_dim_cuda_templateIfEESt5tupleIJNSF_6TensorESK_SK_EERKSK_lbbbEUlllE0_EEPmJS9_EEE10hipError_tPvRmT3_T4_T5_T6_T7_T9_mT8_P12ihipStream_tbDpT10_ENKUlT_T0_E_clISt17integral_constantIbLb0EES1A_EEDaS15_S16_EUlS15_E_NS1_11comp_targetILNS1_3genE5ELNS1_11target_archE942ELNS1_3gpuE9ELNS1_3repE0EEENS1_30default_config_static_selectorELNS0_4arch9wavefront6targetE0EEEvT1_: ; @_ZN7rocprim17ROCPRIM_400000_NS6detail17trampoline_kernelINS0_14default_configENS1_25partition_config_selectorILNS1_17partition_subalgoE9EllbEEZZNS1_14partition_implILS5_9ELb0ES3_jPlS8_PNS0_10empty_typeENS0_5tupleIJS8_S9_EEENSB_IJS8_SA_EEENS0_18inequality_wrapperIZN2at6native12_GLOBAL__N_124unique_dim_cuda_templateIfEESt5tupleIJNSF_6TensorESK_SK_EERKSK_lbbbEUlllE0_EEPmJS9_EEE10hipError_tPvRmT3_T4_T5_T6_T7_T9_mT8_P12ihipStream_tbDpT10_ENKUlT_T0_E_clISt17integral_constantIbLb0EES1A_EEDaS15_S16_EUlS15_E_NS1_11comp_targetILNS1_3genE5ELNS1_11target_archE942ELNS1_3gpuE9ELNS1_3repE0EEENS1_30default_config_static_selectorELNS0_4arch9wavefront6targetE0EEEvT1_
; %bb.0:
	.section	.rodata,"a",@progbits
	.p2align	6, 0x0
	.amdhsa_kernel _ZN7rocprim17ROCPRIM_400000_NS6detail17trampoline_kernelINS0_14default_configENS1_25partition_config_selectorILNS1_17partition_subalgoE9EllbEEZZNS1_14partition_implILS5_9ELb0ES3_jPlS8_PNS0_10empty_typeENS0_5tupleIJS8_S9_EEENSB_IJS8_SA_EEENS0_18inequality_wrapperIZN2at6native12_GLOBAL__N_124unique_dim_cuda_templateIfEESt5tupleIJNSF_6TensorESK_SK_EERKSK_lbbbEUlllE0_EEPmJS9_EEE10hipError_tPvRmT3_T4_T5_T6_T7_T9_mT8_P12ihipStream_tbDpT10_ENKUlT_T0_E_clISt17integral_constantIbLb0EES1A_EEDaS15_S16_EUlS15_E_NS1_11comp_targetILNS1_3genE5ELNS1_11target_archE942ELNS1_3gpuE9ELNS1_3repE0EEENS1_30default_config_static_selectorELNS0_4arch9wavefront6targetE0EEEvT1_
		.amdhsa_group_segment_fixed_size 0
		.amdhsa_private_segment_fixed_size 0
		.amdhsa_kernarg_size 120
		.amdhsa_user_sgpr_count 2
		.amdhsa_user_sgpr_dispatch_ptr 0
		.amdhsa_user_sgpr_queue_ptr 0
		.amdhsa_user_sgpr_kernarg_segment_ptr 1
		.amdhsa_user_sgpr_dispatch_id 0
		.amdhsa_user_sgpr_kernarg_preload_length 0
		.amdhsa_user_sgpr_kernarg_preload_offset 0
		.amdhsa_user_sgpr_private_segment_size 0
		.amdhsa_wavefront_size32 1
		.amdhsa_uses_dynamic_stack 0
		.amdhsa_enable_private_segment 0
		.amdhsa_system_sgpr_workgroup_id_x 1
		.amdhsa_system_sgpr_workgroup_id_y 0
		.amdhsa_system_sgpr_workgroup_id_z 0
		.amdhsa_system_sgpr_workgroup_info 0
		.amdhsa_system_vgpr_workitem_id 0
		.amdhsa_next_free_vgpr 1
		.amdhsa_next_free_sgpr 1
		.amdhsa_named_barrier_count 0
		.amdhsa_reserve_vcc 0
		.amdhsa_float_round_mode_32 0
		.amdhsa_float_round_mode_16_64 0
		.amdhsa_float_denorm_mode_32 3
		.amdhsa_float_denorm_mode_16_64 3
		.amdhsa_fp16_overflow 0
		.amdhsa_memory_ordered 1
		.amdhsa_forward_progress 1
		.amdhsa_inst_pref_size 0
		.amdhsa_round_robin_scheduling 0
		.amdhsa_exception_fp_ieee_invalid_op 0
		.amdhsa_exception_fp_denorm_src 0
		.amdhsa_exception_fp_ieee_div_zero 0
		.amdhsa_exception_fp_ieee_overflow 0
		.amdhsa_exception_fp_ieee_underflow 0
		.amdhsa_exception_fp_ieee_inexact 0
		.amdhsa_exception_int_div_zero 0
	.end_amdhsa_kernel
	.section	.text._ZN7rocprim17ROCPRIM_400000_NS6detail17trampoline_kernelINS0_14default_configENS1_25partition_config_selectorILNS1_17partition_subalgoE9EllbEEZZNS1_14partition_implILS5_9ELb0ES3_jPlS8_PNS0_10empty_typeENS0_5tupleIJS8_S9_EEENSB_IJS8_SA_EEENS0_18inequality_wrapperIZN2at6native12_GLOBAL__N_124unique_dim_cuda_templateIfEESt5tupleIJNSF_6TensorESK_SK_EERKSK_lbbbEUlllE0_EEPmJS9_EEE10hipError_tPvRmT3_T4_T5_T6_T7_T9_mT8_P12ihipStream_tbDpT10_ENKUlT_T0_E_clISt17integral_constantIbLb0EES1A_EEDaS15_S16_EUlS15_E_NS1_11comp_targetILNS1_3genE5ELNS1_11target_archE942ELNS1_3gpuE9ELNS1_3repE0EEENS1_30default_config_static_selectorELNS0_4arch9wavefront6targetE0EEEvT1_,"axG",@progbits,_ZN7rocprim17ROCPRIM_400000_NS6detail17trampoline_kernelINS0_14default_configENS1_25partition_config_selectorILNS1_17partition_subalgoE9EllbEEZZNS1_14partition_implILS5_9ELb0ES3_jPlS8_PNS0_10empty_typeENS0_5tupleIJS8_S9_EEENSB_IJS8_SA_EEENS0_18inequality_wrapperIZN2at6native12_GLOBAL__N_124unique_dim_cuda_templateIfEESt5tupleIJNSF_6TensorESK_SK_EERKSK_lbbbEUlllE0_EEPmJS9_EEE10hipError_tPvRmT3_T4_T5_T6_T7_T9_mT8_P12ihipStream_tbDpT10_ENKUlT_T0_E_clISt17integral_constantIbLb0EES1A_EEDaS15_S16_EUlS15_E_NS1_11comp_targetILNS1_3genE5ELNS1_11target_archE942ELNS1_3gpuE9ELNS1_3repE0EEENS1_30default_config_static_selectorELNS0_4arch9wavefront6targetE0EEEvT1_,comdat
.Lfunc_end962:
	.size	_ZN7rocprim17ROCPRIM_400000_NS6detail17trampoline_kernelINS0_14default_configENS1_25partition_config_selectorILNS1_17partition_subalgoE9EllbEEZZNS1_14partition_implILS5_9ELb0ES3_jPlS8_PNS0_10empty_typeENS0_5tupleIJS8_S9_EEENSB_IJS8_SA_EEENS0_18inequality_wrapperIZN2at6native12_GLOBAL__N_124unique_dim_cuda_templateIfEESt5tupleIJNSF_6TensorESK_SK_EERKSK_lbbbEUlllE0_EEPmJS9_EEE10hipError_tPvRmT3_T4_T5_T6_T7_T9_mT8_P12ihipStream_tbDpT10_ENKUlT_T0_E_clISt17integral_constantIbLb0EES1A_EEDaS15_S16_EUlS15_E_NS1_11comp_targetILNS1_3genE5ELNS1_11target_archE942ELNS1_3gpuE9ELNS1_3repE0EEENS1_30default_config_static_selectorELNS0_4arch9wavefront6targetE0EEEvT1_, .Lfunc_end962-_ZN7rocprim17ROCPRIM_400000_NS6detail17trampoline_kernelINS0_14default_configENS1_25partition_config_selectorILNS1_17partition_subalgoE9EllbEEZZNS1_14partition_implILS5_9ELb0ES3_jPlS8_PNS0_10empty_typeENS0_5tupleIJS8_S9_EEENSB_IJS8_SA_EEENS0_18inequality_wrapperIZN2at6native12_GLOBAL__N_124unique_dim_cuda_templateIfEESt5tupleIJNSF_6TensorESK_SK_EERKSK_lbbbEUlllE0_EEPmJS9_EEE10hipError_tPvRmT3_T4_T5_T6_T7_T9_mT8_P12ihipStream_tbDpT10_ENKUlT_T0_E_clISt17integral_constantIbLb0EES1A_EEDaS15_S16_EUlS15_E_NS1_11comp_targetILNS1_3genE5ELNS1_11target_archE942ELNS1_3gpuE9ELNS1_3repE0EEENS1_30default_config_static_selectorELNS0_4arch9wavefront6targetE0EEEvT1_
                                        ; -- End function
	.set _ZN7rocprim17ROCPRIM_400000_NS6detail17trampoline_kernelINS0_14default_configENS1_25partition_config_selectorILNS1_17partition_subalgoE9EllbEEZZNS1_14partition_implILS5_9ELb0ES3_jPlS8_PNS0_10empty_typeENS0_5tupleIJS8_S9_EEENSB_IJS8_SA_EEENS0_18inequality_wrapperIZN2at6native12_GLOBAL__N_124unique_dim_cuda_templateIfEESt5tupleIJNSF_6TensorESK_SK_EERKSK_lbbbEUlllE0_EEPmJS9_EEE10hipError_tPvRmT3_T4_T5_T6_T7_T9_mT8_P12ihipStream_tbDpT10_ENKUlT_T0_E_clISt17integral_constantIbLb0EES1A_EEDaS15_S16_EUlS15_E_NS1_11comp_targetILNS1_3genE5ELNS1_11target_archE942ELNS1_3gpuE9ELNS1_3repE0EEENS1_30default_config_static_selectorELNS0_4arch9wavefront6targetE0EEEvT1_.num_vgpr, 0
	.set _ZN7rocprim17ROCPRIM_400000_NS6detail17trampoline_kernelINS0_14default_configENS1_25partition_config_selectorILNS1_17partition_subalgoE9EllbEEZZNS1_14partition_implILS5_9ELb0ES3_jPlS8_PNS0_10empty_typeENS0_5tupleIJS8_S9_EEENSB_IJS8_SA_EEENS0_18inequality_wrapperIZN2at6native12_GLOBAL__N_124unique_dim_cuda_templateIfEESt5tupleIJNSF_6TensorESK_SK_EERKSK_lbbbEUlllE0_EEPmJS9_EEE10hipError_tPvRmT3_T4_T5_T6_T7_T9_mT8_P12ihipStream_tbDpT10_ENKUlT_T0_E_clISt17integral_constantIbLb0EES1A_EEDaS15_S16_EUlS15_E_NS1_11comp_targetILNS1_3genE5ELNS1_11target_archE942ELNS1_3gpuE9ELNS1_3repE0EEENS1_30default_config_static_selectorELNS0_4arch9wavefront6targetE0EEEvT1_.num_agpr, 0
	.set _ZN7rocprim17ROCPRIM_400000_NS6detail17trampoline_kernelINS0_14default_configENS1_25partition_config_selectorILNS1_17partition_subalgoE9EllbEEZZNS1_14partition_implILS5_9ELb0ES3_jPlS8_PNS0_10empty_typeENS0_5tupleIJS8_S9_EEENSB_IJS8_SA_EEENS0_18inequality_wrapperIZN2at6native12_GLOBAL__N_124unique_dim_cuda_templateIfEESt5tupleIJNSF_6TensorESK_SK_EERKSK_lbbbEUlllE0_EEPmJS9_EEE10hipError_tPvRmT3_T4_T5_T6_T7_T9_mT8_P12ihipStream_tbDpT10_ENKUlT_T0_E_clISt17integral_constantIbLb0EES1A_EEDaS15_S16_EUlS15_E_NS1_11comp_targetILNS1_3genE5ELNS1_11target_archE942ELNS1_3gpuE9ELNS1_3repE0EEENS1_30default_config_static_selectorELNS0_4arch9wavefront6targetE0EEEvT1_.numbered_sgpr, 0
	.set _ZN7rocprim17ROCPRIM_400000_NS6detail17trampoline_kernelINS0_14default_configENS1_25partition_config_selectorILNS1_17partition_subalgoE9EllbEEZZNS1_14partition_implILS5_9ELb0ES3_jPlS8_PNS0_10empty_typeENS0_5tupleIJS8_S9_EEENSB_IJS8_SA_EEENS0_18inequality_wrapperIZN2at6native12_GLOBAL__N_124unique_dim_cuda_templateIfEESt5tupleIJNSF_6TensorESK_SK_EERKSK_lbbbEUlllE0_EEPmJS9_EEE10hipError_tPvRmT3_T4_T5_T6_T7_T9_mT8_P12ihipStream_tbDpT10_ENKUlT_T0_E_clISt17integral_constantIbLb0EES1A_EEDaS15_S16_EUlS15_E_NS1_11comp_targetILNS1_3genE5ELNS1_11target_archE942ELNS1_3gpuE9ELNS1_3repE0EEENS1_30default_config_static_selectorELNS0_4arch9wavefront6targetE0EEEvT1_.num_named_barrier, 0
	.set _ZN7rocprim17ROCPRIM_400000_NS6detail17trampoline_kernelINS0_14default_configENS1_25partition_config_selectorILNS1_17partition_subalgoE9EllbEEZZNS1_14partition_implILS5_9ELb0ES3_jPlS8_PNS0_10empty_typeENS0_5tupleIJS8_S9_EEENSB_IJS8_SA_EEENS0_18inequality_wrapperIZN2at6native12_GLOBAL__N_124unique_dim_cuda_templateIfEESt5tupleIJNSF_6TensorESK_SK_EERKSK_lbbbEUlllE0_EEPmJS9_EEE10hipError_tPvRmT3_T4_T5_T6_T7_T9_mT8_P12ihipStream_tbDpT10_ENKUlT_T0_E_clISt17integral_constantIbLb0EES1A_EEDaS15_S16_EUlS15_E_NS1_11comp_targetILNS1_3genE5ELNS1_11target_archE942ELNS1_3gpuE9ELNS1_3repE0EEENS1_30default_config_static_selectorELNS0_4arch9wavefront6targetE0EEEvT1_.private_seg_size, 0
	.set _ZN7rocprim17ROCPRIM_400000_NS6detail17trampoline_kernelINS0_14default_configENS1_25partition_config_selectorILNS1_17partition_subalgoE9EllbEEZZNS1_14partition_implILS5_9ELb0ES3_jPlS8_PNS0_10empty_typeENS0_5tupleIJS8_S9_EEENSB_IJS8_SA_EEENS0_18inequality_wrapperIZN2at6native12_GLOBAL__N_124unique_dim_cuda_templateIfEESt5tupleIJNSF_6TensorESK_SK_EERKSK_lbbbEUlllE0_EEPmJS9_EEE10hipError_tPvRmT3_T4_T5_T6_T7_T9_mT8_P12ihipStream_tbDpT10_ENKUlT_T0_E_clISt17integral_constantIbLb0EES1A_EEDaS15_S16_EUlS15_E_NS1_11comp_targetILNS1_3genE5ELNS1_11target_archE942ELNS1_3gpuE9ELNS1_3repE0EEENS1_30default_config_static_selectorELNS0_4arch9wavefront6targetE0EEEvT1_.uses_vcc, 0
	.set _ZN7rocprim17ROCPRIM_400000_NS6detail17trampoline_kernelINS0_14default_configENS1_25partition_config_selectorILNS1_17partition_subalgoE9EllbEEZZNS1_14partition_implILS5_9ELb0ES3_jPlS8_PNS0_10empty_typeENS0_5tupleIJS8_S9_EEENSB_IJS8_SA_EEENS0_18inequality_wrapperIZN2at6native12_GLOBAL__N_124unique_dim_cuda_templateIfEESt5tupleIJNSF_6TensorESK_SK_EERKSK_lbbbEUlllE0_EEPmJS9_EEE10hipError_tPvRmT3_T4_T5_T6_T7_T9_mT8_P12ihipStream_tbDpT10_ENKUlT_T0_E_clISt17integral_constantIbLb0EES1A_EEDaS15_S16_EUlS15_E_NS1_11comp_targetILNS1_3genE5ELNS1_11target_archE942ELNS1_3gpuE9ELNS1_3repE0EEENS1_30default_config_static_selectorELNS0_4arch9wavefront6targetE0EEEvT1_.uses_flat_scratch, 0
	.set _ZN7rocprim17ROCPRIM_400000_NS6detail17trampoline_kernelINS0_14default_configENS1_25partition_config_selectorILNS1_17partition_subalgoE9EllbEEZZNS1_14partition_implILS5_9ELb0ES3_jPlS8_PNS0_10empty_typeENS0_5tupleIJS8_S9_EEENSB_IJS8_SA_EEENS0_18inequality_wrapperIZN2at6native12_GLOBAL__N_124unique_dim_cuda_templateIfEESt5tupleIJNSF_6TensorESK_SK_EERKSK_lbbbEUlllE0_EEPmJS9_EEE10hipError_tPvRmT3_T4_T5_T6_T7_T9_mT8_P12ihipStream_tbDpT10_ENKUlT_T0_E_clISt17integral_constantIbLb0EES1A_EEDaS15_S16_EUlS15_E_NS1_11comp_targetILNS1_3genE5ELNS1_11target_archE942ELNS1_3gpuE9ELNS1_3repE0EEENS1_30default_config_static_selectorELNS0_4arch9wavefront6targetE0EEEvT1_.has_dyn_sized_stack, 0
	.set _ZN7rocprim17ROCPRIM_400000_NS6detail17trampoline_kernelINS0_14default_configENS1_25partition_config_selectorILNS1_17partition_subalgoE9EllbEEZZNS1_14partition_implILS5_9ELb0ES3_jPlS8_PNS0_10empty_typeENS0_5tupleIJS8_S9_EEENSB_IJS8_SA_EEENS0_18inequality_wrapperIZN2at6native12_GLOBAL__N_124unique_dim_cuda_templateIfEESt5tupleIJNSF_6TensorESK_SK_EERKSK_lbbbEUlllE0_EEPmJS9_EEE10hipError_tPvRmT3_T4_T5_T6_T7_T9_mT8_P12ihipStream_tbDpT10_ENKUlT_T0_E_clISt17integral_constantIbLb0EES1A_EEDaS15_S16_EUlS15_E_NS1_11comp_targetILNS1_3genE5ELNS1_11target_archE942ELNS1_3gpuE9ELNS1_3repE0EEENS1_30default_config_static_selectorELNS0_4arch9wavefront6targetE0EEEvT1_.has_recursion, 0
	.set _ZN7rocprim17ROCPRIM_400000_NS6detail17trampoline_kernelINS0_14default_configENS1_25partition_config_selectorILNS1_17partition_subalgoE9EllbEEZZNS1_14partition_implILS5_9ELb0ES3_jPlS8_PNS0_10empty_typeENS0_5tupleIJS8_S9_EEENSB_IJS8_SA_EEENS0_18inequality_wrapperIZN2at6native12_GLOBAL__N_124unique_dim_cuda_templateIfEESt5tupleIJNSF_6TensorESK_SK_EERKSK_lbbbEUlllE0_EEPmJS9_EEE10hipError_tPvRmT3_T4_T5_T6_T7_T9_mT8_P12ihipStream_tbDpT10_ENKUlT_T0_E_clISt17integral_constantIbLb0EES1A_EEDaS15_S16_EUlS15_E_NS1_11comp_targetILNS1_3genE5ELNS1_11target_archE942ELNS1_3gpuE9ELNS1_3repE0EEENS1_30default_config_static_selectorELNS0_4arch9wavefront6targetE0EEEvT1_.has_indirect_call, 0
	.section	.AMDGPU.csdata,"",@progbits
; Kernel info:
; codeLenInByte = 0
; TotalNumSgprs: 0
; NumVgprs: 0
; ScratchSize: 0
; MemoryBound: 0
; FloatMode: 240
; IeeeMode: 1
; LDSByteSize: 0 bytes/workgroup (compile time only)
; SGPRBlocks: 0
; VGPRBlocks: 0
; NumSGPRsForWavesPerEU: 1
; NumVGPRsForWavesPerEU: 1
; NamedBarCnt: 0
; Occupancy: 16
; WaveLimiterHint : 0
; COMPUTE_PGM_RSRC2:SCRATCH_EN: 0
; COMPUTE_PGM_RSRC2:USER_SGPR: 2
; COMPUTE_PGM_RSRC2:TRAP_HANDLER: 0
; COMPUTE_PGM_RSRC2:TGID_X_EN: 1
; COMPUTE_PGM_RSRC2:TGID_Y_EN: 0
; COMPUTE_PGM_RSRC2:TGID_Z_EN: 0
; COMPUTE_PGM_RSRC2:TIDIG_COMP_CNT: 0
	.section	.text._ZN7rocprim17ROCPRIM_400000_NS6detail17trampoline_kernelINS0_14default_configENS1_25partition_config_selectorILNS1_17partition_subalgoE9EllbEEZZNS1_14partition_implILS5_9ELb0ES3_jPlS8_PNS0_10empty_typeENS0_5tupleIJS8_S9_EEENSB_IJS8_SA_EEENS0_18inequality_wrapperIZN2at6native12_GLOBAL__N_124unique_dim_cuda_templateIfEESt5tupleIJNSF_6TensorESK_SK_EERKSK_lbbbEUlllE0_EEPmJS9_EEE10hipError_tPvRmT3_T4_T5_T6_T7_T9_mT8_P12ihipStream_tbDpT10_ENKUlT_T0_E_clISt17integral_constantIbLb0EES1A_EEDaS15_S16_EUlS15_E_NS1_11comp_targetILNS1_3genE4ELNS1_11target_archE910ELNS1_3gpuE8ELNS1_3repE0EEENS1_30default_config_static_selectorELNS0_4arch9wavefront6targetE0EEEvT1_,"axG",@progbits,_ZN7rocprim17ROCPRIM_400000_NS6detail17trampoline_kernelINS0_14default_configENS1_25partition_config_selectorILNS1_17partition_subalgoE9EllbEEZZNS1_14partition_implILS5_9ELb0ES3_jPlS8_PNS0_10empty_typeENS0_5tupleIJS8_S9_EEENSB_IJS8_SA_EEENS0_18inequality_wrapperIZN2at6native12_GLOBAL__N_124unique_dim_cuda_templateIfEESt5tupleIJNSF_6TensorESK_SK_EERKSK_lbbbEUlllE0_EEPmJS9_EEE10hipError_tPvRmT3_T4_T5_T6_T7_T9_mT8_P12ihipStream_tbDpT10_ENKUlT_T0_E_clISt17integral_constantIbLb0EES1A_EEDaS15_S16_EUlS15_E_NS1_11comp_targetILNS1_3genE4ELNS1_11target_archE910ELNS1_3gpuE8ELNS1_3repE0EEENS1_30default_config_static_selectorELNS0_4arch9wavefront6targetE0EEEvT1_,comdat
	.globl	_ZN7rocprim17ROCPRIM_400000_NS6detail17trampoline_kernelINS0_14default_configENS1_25partition_config_selectorILNS1_17partition_subalgoE9EllbEEZZNS1_14partition_implILS5_9ELb0ES3_jPlS8_PNS0_10empty_typeENS0_5tupleIJS8_S9_EEENSB_IJS8_SA_EEENS0_18inequality_wrapperIZN2at6native12_GLOBAL__N_124unique_dim_cuda_templateIfEESt5tupleIJNSF_6TensorESK_SK_EERKSK_lbbbEUlllE0_EEPmJS9_EEE10hipError_tPvRmT3_T4_T5_T6_T7_T9_mT8_P12ihipStream_tbDpT10_ENKUlT_T0_E_clISt17integral_constantIbLb0EES1A_EEDaS15_S16_EUlS15_E_NS1_11comp_targetILNS1_3genE4ELNS1_11target_archE910ELNS1_3gpuE8ELNS1_3repE0EEENS1_30default_config_static_selectorELNS0_4arch9wavefront6targetE0EEEvT1_ ; -- Begin function _ZN7rocprim17ROCPRIM_400000_NS6detail17trampoline_kernelINS0_14default_configENS1_25partition_config_selectorILNS1_17partition_subalgoE9EllbEEZZNS1_14partition_implILS5_9ELb0ES3_jPlS8_PNS0_10empty_typeENS0_5tupleIJS8_S9_EEENSB_IJS8_SA_EEENS0_18inequality_wrapperIZN2at6native12_GLOBAL__N_124unique_dim_cuda_templateIfEESt5tupleIJNSF_6TensorESK_SK_EERKSK_lbbbEUlllE0_EEPmJS9_EEE10hipError_tPvRmT3_T4_T5_T6_T7_T9_mT8_P12ihipStream_tbDpT10_ENKUlT_T0_E_clISt17integral_constantIbLb0EES1A_EEDaS15_S16_EUlS15_E_NS1_11comp_targetILNS1_3genE4ELNS1_11target_archE910ELNS1_3gpuE8ELNS1_3repE0EEENS1_30default_config_static_selectorELNS0_4arch9wavefront6targetE0EEEvT1_
	.p2align	8
	.type	_ZN7rocprim17ROCPRIM_400000_NS6detail17trampoline_kernelINS0_14default_configENS1_25partition_config_selectorILNS1_17partition_subalgoE9EllbEEZZNS1_14partition_implILS5_9ELb0ES3_jPlS8_PNS0_10empty_typeENS0_5tupleIJS8_S9_EEENSB_IJS8_SA_EEENS0_18inequality_wrapperIZN2at6native12_GLOBAL__N_124unique_dim_cuda_templateIfEESt5tupleIJNSF_6TensorESK_SK_EERKSK_lbbbEUlllE0_EEPmJS9_EEE10hipError_tPvRmT3_T4_T5_T6_T7_T9_mT8_P12ihipStream_tbDpT10_ENKUlT_T0_E_clISt17integral_constantIbLb0EES1A_EEDaS15_S16_EUlS15_E_NS1_11comp_targetILNS1_3genE4ELNS1_11target_archE910ELNS1_3gpuE8ELNS1_3repE0EEENS1_30default_config_static_selectorELNS0_4arch9wavefront6targetE0EEEvT1_,@function
_ZN7rocprim17ROCPRIM_400000_NS6detail17trampoline_kernelINS0_14default_configENS1_25partition_config_selectorILNS1_17partition_subalgoE9EllbEEZZNS1_14partition_implILS5_9ELb0ES3_jPlS8_PNS0_10empty_typeENS0_5tupleIJS8_S9_EEENSB_IJS8_SA_EEENS0_18inequality_wrapperIZN2at6native12_GLOBAL__N_124unique_dim_cuda_templateIfEESt5tupleIJNSF_6TensorESK_SK_EERKSK_lbbbEUlllE0_EEPmJS9_EEE10hipError_tPvRmT3_T4_T5_T6_T7_T9_mT8_P12ihipStream_tbDpT10_ENKUlT_T0_E_clISt17integral_constantIbLb0EES1A_EEDaS15_S16_EUlS15_E_NS1_11comp_targetILNS1_3genE4ELNS1_11target_archE910ELNS1_3gpuE8ELNS1_3repE0EEENS1_30default_config_static_selectorELNS0_4arch9wavefront6targetE0EEEvT1_: ; @_ZN7rocprim17ROCPRIM_400000_NS6detail17trampoline_kernelINS0_14default_configENS1_25partition_config_selectorILNS1_17partition_subalgoE9EllbEEZZNS1_14partition_implILS5_9ELb0ES3_jPlS8_PNS0_10empty_typeENS0_5tupleIJS8_S9_EEENSB_IJS8_SA_EEENS0_18inequality_wrapperIZN2at6native12_GLOBAL__N_124unique_dim_cuda_templateIfEESt5tupleIJNSF_6TensorESK_SK_EERKSK_lbbbEUlllE0_EEPmJS9_EEE10hipError_tPvRmT3_T4_T5_T6_T7_T9_mT8_P12ihipStream_tbDpT10_ENKUlT_T0_E_clISt17integral_constantIbLb0EES1A_EEDaS15_S16_EUlS15_E_NS1_11comp_targetILNS1_3genE4ELNS1_11target_archE910ELNS1_3gpuE8ELNS1_3repE0EEENS1_30default_config_static_selectorELNS0_4arch9wavefront6targetE0EEEvT1_
; %bb.0:
	.section	.rodata,"a",@progbits
	.p2align	6, 0x0
	.amdhsa_kernel _ZN7rocprim17ROCPRIM_400000_NS6detail17trampoline_kernelINS0_14default_configENS1_25partition_config_selectorILNS1_17partition_subalgoE9EllbEEZZNS1_14partition_implILS5_9ELb0ES3_jPlS8_PNS0_10empty_typeENS0_5tupleIJS8_S9_EEENSB_IJS8_SA_EEENS0_18inequality_wrapperIZN2at6native12_GLOBAL__N_124unique_dim_cuda_templateIfEESt5tupleIJNSF_6TensorESK_SK_EERKSK_lbbbEUlllE0_EEPmJS9_EEE10hipError_tPvRmT3_T4_T5_T6_T7_T9_mT8_P12ihipStream_tbDpT10_ENKUlT_T0_E_clISt17integral_constantIbLb0EES1A_EEDaS15_S16_EUlS15_E_NS1_11comp_targetILNS1_3genE4ELNS1_11target_archE910ELNS1_3gpuE8ELNS1_3repE0EEENS1_30default_config_static_selectorELNS0_4arch9wavefront6targetE0EEEvT1_
		.amdhsa_group_segment_fixed_size 0
		.amdhsa_private_segment_fixed_size 0
		.amdhsa_kernarg_size 120
		.amdhsa_user_sgpr_count 2
		.amdhsa_user_sgpr_dispatch_ptr 0
		.amdhsa_user_sgpr_queue_ptr 0
		.amdhsa_user_sgpr_kernarg_segment_ptr 1
		.amdhsa_user_sgpr_dispatch_id 0
		.amdhsa_user_sgpr_kernarg_preload_length 0
		.amdhsa_user_sgpr_kernarg_preload_offset 0
		.amdhsa_user_sgpr_private_segment_size 0
		.amdhsa_wavefront_size32 1
		.amdhsa_uses_dynamic_stack 0
		.amdhsa_enable_private_segment 0
		.amdhsa_system_sgpr_workgroup_id_x 1
		.amdhsa_system_sgpr_workgroup_id_y 0
		.amdhsa_system_sgpr_workgroup_id_z 0
		.amdhsa_system_sgpr_workgroup_info 0
		.amdhsa_system_vgpr_workitem_id 0
		.amdhsa_next_free_vgpr 1
		.amdhsa_next_free_sgpr 1
		.amdhsa_named_barrier_count 0
		.amdhsa_reserve_vcc 0
		.amdhsa_float_round_mode_32 0
		.amdhsa_float_round_mode_16_64 0
		.amdhsa_float_denorm_mode_32 3
		.amdhsa_float_denorm_mode_16_64 3
		.amdhsa_fp16_overflow 0
		.amdhsa_memory_ordered 1
		.amdhsa_forward_progress 1
		.amdhsa_inst_pref_size 0
		.amdhsa_round_robin_scheduling 0
		.amdhsa_exception_fp_ieee_invalid_op 0
		.amdhsa_exception_fp_denorm_src 0
		.amdhsa_exception_fp_ieee_div_zero 0
		.amdhsa_exception_fp_ieee_overflow 0
		.amdhsa_exception_fp_ieee_underflow 0
		.amdhsa_exception_fp_ieee_inexact 0
		.amdhsa_exception_int_div_zero 0
	.end_amdhsa_kernel
	.section	.text._ZN7rocprim17ROCPRIM_400000_NS6detail17trampoline_kernelINS0_14default_configENS1_25partition_config_selectorILNS1_17partition_subalgoE9EllbEEZZNS1_14partition_implILS5_9ELb0ES3_jPlS8_PNS0_10empty_typeENS0_5tupleIJS8_S9_EEENSB_IJS8_SA_EEENS0_18inequality_wrapperIZN2at6native12_GLOBAL__N_124unique_dim_cuda_templateIfEESt5tupleIJNSF_6TensorESK_SK_EERKSK_lbbbEUlllE0_EEPmJS9_EEE10hipError_tPvRmT3_T4_T5_T6_T7_T9_mT8_P12ihipStream_tbDpT10_ENKUlT_T0_E_clISt17integral_constantIbLb0EES1A_EEDaS15_S16_EUlS15_E_NS1_11comp_targetILNS1_3genE4ELNS1_11target_archE910ELNS1_3gpuE8ELNS1_3repE0EEENS1_30default_config_static_selectorELNS0_4arch9wavefront6targetE0EEEvT1_,"axG",@progbits,_ZN7rocprim17ROCPRIM_400000_NS6detail17trampoline_kernelINS0_14default_configENS1_25partition_config_selectorILNS1_17partition_subalgoE9EllbEEZZNS1_14partition_implILS5_9ELb0ES3_jPlS8_PNS0_10empty_typeENS0_5tupleIJS8_S9_EEENSB_IJS8_SA_EEENS0_18inequality_wrapperIZN2at6native12_GLOBAL__N_124unique_dim_cuda_templateIfEESt5tupleIJNSF_6TensorESK_SK_EERKSK_lbbbEUlllE0_EEPmJS9_EEE10hipError_tPvRmT3_T4_T5_T6_T7_T9_mT8_P12ihipStream_tbDpT10_ENKUlT_T0_E_clISt17integral_constantIbLb0EES1A_EEDaS15_S16_EUlS15_E_NS1_11comp_targetILNS1_3genE4ELNS1_11target_archE910ELNS1_3gpuE8ELNS1_3repE0EEENS1_30default_config_static_selectorELNS0_4arch9wavefront6targetE0EEEvT1_,comdat
.Lfunc_end963:
	.size	_ZN7rocprim17ROCPRIM_400000_NS6detail17trampoline_kernelINS0_14default_configENS1_25partition_config_selectorILNS1_17partition_subalgoE9EllbEEZZNS1_14partition_implILS5_9ELb0ES3_jPlS8_PNS0_10empty_typeENS0_5tupleIJS8_S9_EEENSB_IJS8_SA_EEENS0_18inequality_wrapperIZN2at6native12_GLOBAL__N_124unique_dim_cuda_templateIfEESt5tupleIJNSF_6TensorESK_SK_EERKSK_lbbbEUlllE0_EEPmJS9_EEE10hipError_tPvRmT3_T4_T5_T6_T7_T9_mT8_P12ihipStream_tbDpT10_ENKUlT_T0_E_clISt17integral_constantIbLb0EES1A_EEDaS15_S16_EUlS15_E_NS1_11comp_targetILNS1_3genE4ELNS1_11target_archE910ELNS1_3gpuE8ELNS1_3repE0EEENS1_30default_config_static_selectorELNS0_4arch9wavefront6targetE0EEEvT1_, .Lfunc_end963-_ZN7rocprim17ROCPRIM_400000_NS6detail17trampoline_kernelINS0_14default_configENS1_25partition_config_selectorILNS1_17partition_subalgoE9EllbEEZZNS1_14partition_implILS5_9ELb0ES3_jPlS8_PNS0_10empty_typeENS0_5tupleIJS8_S9_EEENSB_IJS8_SA_EEENS0_18inequality_wrapperIZN2at6native12_GLOBAL__N_124unique_dim_cuda_templateIfEESt5tupleIJNSF_6TensorESK_SK_EERKSK_lbbbEUlllE0_EEPmJS9_EEE10hipError_tPvRmT3_T4_T5_T6_T7_T9_mT8_P12ihipStream_tbDpT10_ENKUlT_T0_E_clISt17integral_constantIbLb0EES1A_EEDaS15_S16_EUlS15_E_NS1_11comp_targetILNS1_3genE4ELNS1_11target_archE910ELNS1_3gpuE8ELNS1_3repE0EEENS1_30default_config_static_selectorELNS0_4arch9wavefront6targetE0EEEvT1_
                                        ; -- End function
	.set _ZN7rocprim17ROCPRIM_400000_NS6detail17trampoline_kernelINS0_14default_configENS1_25partition_config_selectorILNS1_17partition_subalgoE9EllbEEZZNS1_14partition_implILS5_9ELb0ES3_jPlS8_PNS0_10empty_typeENS0_5tupleIJS8_S9_EEENSB_IJS8_SA_EEENS0_18inequality_wrapperIZN2at6native12_GLOBAL__N_124unique_dim_cuda_templateIfEESt5tupleIJNSF_6TensorESK_SK_EERKSK_lbbbEUlllE0_EEPmJS9_EEE10hipError_tPvRmT3_T4_T5_T6_T7_T9_mT8_P12ihipStream_tbDpT10_ENKUlT_T0_E_clISt17integral_constantIbLb0EES1A_EEDaS15_S16_EUlS15_E_NS1_11comp_targetILNS1_3genE4ELNS1_11target_archE910ELNS1_3gpuE8ELNS1_3repE0EEENS1_30default_config_static_selectorELNS0_4arch9wavefront6targetE0EEEvT1_.num_vgpr, 0
	.set _ZN7rocprim17ROCPRIM_400000_NS6detail17trampoline_kernelINS0_14default_configENS1_25partition_config_selectorILNS1_17partition_subalgoE9EllbEEZZNS1_14partition_implILS5_9ELb0ES3_jPlS8_PNS0_10empty_typeENS0_5tupleIJS8_S9_EEENSB_IJS8_SA_EEENS0_18inequality_wrapperIZN2at6native12_GLOBAL__N_124unique_dim_cuda_templateIfEESt5tupleIJNSF_6TensorESK_SK_EERKSK_lbbbEUlllE0_EEPmJS9_EEE10hipError_tPvRmT3_T4_T5_T6_T7_T9_mT8_P12ihipStream_tbDpT10_ENKUlT_T0_E_clISt17integral_constantIbLb0EES1A_EEDaS15_S16_EUlS15_E_NS1_11comp_targetILNS1_3genE4ELNS1_11target_archE910ELNS1_3gpuE8ELNS1_3repE0EEENS1_30default_config_static_selectorELNS0_4arch9wavefront6targetE0EEEvT1_.num_agpr, 0
	.set _ZN7rocprim17ROCPRIM_400000_NS6detail17trampoline_kernelINS0_14default_configENS1_25partition_config_selectorILNS1_17partition_subalgoE9EllbEEZZNS1_14partition_implILS5_9ELb0ES3_jPlS8_PNS0_10empty_typeENS0_5tupleIJS8_S9_EEENSB_IJS8_SA_EEENS0_18inequality_wrapperIZN2at6native12_GLOBAL__N_124unique_dim_cuda_templateIfEESt5tupleIJNSF_6TensorESK_SK_EERKSK_lbbbEUlllE0_EEPmJS9_EEE10hipError_tPvRmT3_T4_T5_T6_T7_T9_mT8_P12ihipStream_tbDpT10_ENKUlT_T0_E_clISt17integral_constantIbLb0EES1A_EEDaS15_S16_EUlS15_E_NS1_11comp_targetILNS1_3genE4ELNS1_11target_archE910ELNS1_3gpuE8ELNS1_3repE0EEENS1_30default_config_static_selectorELNS0_4arch9wavefront6targetE0EEEvT1_.numbered_sgpr, 0
	.set _ZN7rocprim17ROCPRIM_400000_NS6detail17trampoline_kernelINS0_14default_configENS1_25partition_config_selectorILNS1_17partition_subalgoE9EllbEEZZNS1_14partition_implILS5_9ELb0ES3_jPlS8_PNS0_10empty_typeENS0_5tupleIJS8_S9_EEENSB_IJS8_SA_EEENS0_18inequality_wrapperIZN2at6native12_GLOBAL__N_124unique_dim_cuda_templateIfEESt5tupleIJNSF_6TensorESK_SK_EERKSK_lbbbEUlllE0_EEPmJS9_EEE10hipError_tPvRmT3_T4_T5_T6_T7_T9_mT8_P12ihipStream_tbDpT10_ENKUlT_T0_E_clISt17integral_constantIbLb0EES1A_EEDaS15_S16_EUlS15_E_NS1_11comp_targetILNS1_3genE4ELNS1_11target_archE910ELNS1_3gpuE8ELNS1_3repE0EEENS1_30default_config_static_selectorELNS0_4arch9wavefront6targetE0EEEvT1_.num_named_barrier, 0
	.set _ZN7rocprim17ROCPRIM_400000_NS6detail17trampoline_kernelINS0_14default_configENS1_25partition_config_selectorILNS1_17partition_subalgoE9EllbEEZZNS1_14partition_implILS5_9ELb0ES3_jPlS8_PNS0_10empty_typeENS0_5tupleIJS8_S9_EEENSB_IJS8_SA_EEENS0_18inequality_wrapperIZN2at6native12_GLOBAL__N_124unique_dim_cuda_templateIfEESt5tupleIJNSF_6TensorESK_SK_EERKSK_lbbbEUlllE0_EEPmJS9_EEE10hipError_tPvRmT3_T4_T5_T6_T7_T9_mT8_P12ihipStream_tbDpT10_ENKUlT_T0_E_clISt17integral_constantIbLb0EES1A_EEDaS15_S16_EUlS15_E_NS1_11comp_targetILNS1_3genE4ELNS1_11target_archE910ELNS1_3gpuE8ELNS1_3repE0EEENS1_30default_config_static_selectorELNS0_4arch9wavefront6targetE0EEEvT1_.private_seg_size, 0
	.set _ZN7rocprim17ROCPRIM_400000_NS6detail17trampoline_kernelINS0_14default_configENS1_25partition_config_selectorILNS1_17partition_subalgoE9EllbEEZZNS1_14partition_implILS5_9ELb0ES3_jPlS8_PNS0_10empty_typeENS0_5tupleIJS8_S9_EEENSB_IJS8_SA_EEENS0_18inequality_wrapperIZN2at6native12_GLOBAL__N_124unique_dim_cuda_templateIfEESt5tupleIJNSF_6TensorESK_SK_EERKSK_lbbbEUlllE0_EEPmJS9_EEE10hipError_tPvRmT3_T4_T5_T6_T7_T9_mT8_P12ihipStream_tbDpT10_ENKUlT_T0_E_clISt17integral_constantIbLb0EES1A_EEDaS15_S16_EUlS15_E_NS1_11comp_targetILNS1_3genE4ELNS1_11target_archE910ELNS1_3gpuE8ELNS1_3repE0EEENS1_30default_config_static_selectorELNS0_4arch9wavefront6targetE0EEEvT1_.uses_vcc, 0
	.set _ZN7rocprim17ROCPRIM_400000_NS6detail17trampoline_kernelINS0_14default_configENS1_25partition_config_selectorILNS1_17partition_subalgoE9EllbEEZZNS1_14partition_implILS5_9ELb0ES3_jPlS8_PNS0_10empty_typeENS0_5tupleIJS8_S9_EEENSB_IJS8_SA_EEENS0_18inequality_wrapperIZN2at6native12_GLOBAL__N_124unique_dim_cuda_templateIfEESt5tupleIJNSF_6TensorESK_SK_EERKSK_lbbbEUlllE0_EEPmJS9_EEE10hipError_tPvRmT3_T4_T5_T6_T7_T9_mT8_P12ihipStream_tbDpT10_ENKUlT_T0_E_clISt17integral_constantIbLb0EES1A_EEDaS15_S16_EUlS15_E_NS1_11comp_targetILNS1_3genE4ELNS1_11target_archE910ELNS1_3gpuE8ELNS1_3repE0EEENS1_30default_config_static_selectorELNS0_4arch9wavefront6targetE0EEEvT1_.uses_flat_scratch, 0
	.set _ZN7rocprim17ROCPRIM_400000_NS6detail17trampoline_kernelINS0_14default_configENS1_25partition_config_selectorILNS1_17partition_subalgoE9EllbEEZZNS1_14partition_implILS5_9ELb0ES3_jPlS8_PNS0_10empty_typeENS0_5tupleIJS8_S9_EEENSB_IJS8_SA_EEENS0_18inequality_wrapperIZN2at6native12_GLOBAL__N_124unique_dim_cuda_templateIfEESt5tupleIJNSF_6TensorESK_SK_EERKSK_lbbbEUlllE0_EEPmJS9_EEE10hipError_tPvRmT3_T4_T5_T6_T7_T9_mT8_P12ihipStream_tbDpT10_ENKUlT_T0_E_clISt17integral_constantIbLb0EES1A_EEDaS15_S16_EUlS15_E_NS1_11comp_targetILNS1_3genE4ELNS1_11target_archE910ELNS1_3gpuE8ELNS1_3repE0EEENS1_30default_config_static_selectorELNS0_4arch9wavefront6targetE0EEEvT1_.has_dyn_sized_stack, 0
	.set _ZN7rocprim17ROCPRIM_400000_NS6detail17trampoline_kernelINS0_14default_configENS1_25partition_config_selectorILNS1_17partition_subalgoE9EllbEEZZNS1_14partition_implILS5_9ELb0ES3_jPlS8_PNS0_10empty_typeENS0_5tupleIJS8_S9_EEENSB_IJS8_SA_EEENS0_18inequality_wrapperIZN2at6native12_GLOBAL__N_124unique_dim_cuda_templateIfEESt5tupleIJNSF_6TensorESK_SK_EERKSK_lbbbEUlllE0_EEPmJS9_EEE10hipError_tPvRmT3_T4_T5_T6_T7_T9_mT8_P12ihipStream_tbDpT10_ENKUlT_T0_E_clISt17integral_constantIbLb0EES1A_EEDaS15_S16_EUlS15_E_NS1_11comp_targetILNS1_3genE4ELNS1_11target_archE910ELNS1_3gpuE8ELNS1_3repE0EEENS1_30default_config_static_selectorELNS0_4arch9wavefront6targetE0EEEvT1_.has_recursion, 0
	.set _ZN7rocprim17ROCPRIM_400000_NS6detail17trampoline_kernelINS0_14default_configENS1_25partition_config_selectorILNS1_17partition_subalgoE9EllbEEZZNS1_14partition_implILS5_9ELb0ES3_jPlS8_PNS0_10empty_typeENS0_5tupleIJS8_S9_EEENSB_IJS8_SA_EEENS0_18inequality_wrapperIZN2at6native12_GLOBAL__N_124unique_dim_cuda_templateIfEESt5tupleIJNSF_6TensorESK_SK_EERKSK_lbbbEUlllE0_EEPmJS9_EEE10hipError_tPvRmT3_T4_T5_T6_T7_T9_mT8_P12ihipStream_tbDpT10_ENKUlT_T0_E_clISt17integral_constantIbLb0EES1A_EEDaS15_S16_EUlS15_E_NS1_11comp_targetILNS1_3genE4ELNS1_11target_archE910ELNS1_3gpuE8ELNS1_3repE0EEENS1_30default_config_static_selectorELNS0_4arch9wavefront6targetE0EEEvT1_.has_indirect_call, 0
	.section	.AMDGPU.csdata,"",@progbits
; Kernel info:
; codeLenInByte = 0
; TotalNumSgprs: 0
; NumVgprs: 0
; ScratchSize: 0
; MemoryBound: 0
; FloatMode: 240
; IeeeMode: 1
; LDSByteSize: 0 bytes/workgroup (compile time only)
; SGPRBlocks: 0
; VGPRBlocks: 0
; NumSGPRsForWavesPerEU: 1
; NumVGPRsForWavesPerEU: 1
; NamedBarCnt: 0
; Occupancy: 16
; WaveLimiterHint : 0
; COMPUTE_PGM_RSRC2:SCRATCH_EN: 0
; COMPUTE_PGM_RSRC2:USER_SGPR: 2
; COMPUTE_PGM_RSRC2:TRAP_HANDLER: 0
; COMPUTE_PGM_RSRC2:TGID_X_EN: 1
; COMPUTE_PGM_RSRC2:TGID_Y_EN: 0
; COMPUTE_PGM_RSRC2:TGID_Z_EN: 0
; COMPUTE_PGM_RSRC2:TIDIG_COMP_CNT: 0
	.section	.text._ZN7rocprim17ROCPRIM_400000_NS6detail17trampoline_kernelINS0_14default_configENS1_25partition_config_selectorILNS1_17partition_subalgoE9EllbEEZZNS1_14partition_implILS5_9ELb0ES3_jPlS8_PNS0_10empty_typeENS0_5tupleIJS8_S9_EEENSB_IJS8_SA_EEENS0_18inequality_wrapperIZN2at6native12_GLOBAL__N_124unique_dim_cuda_templateIfEESt5tupleIJNSF_6TensorESK_SK_EERKSK_lbbbEUlllE0_EEPmJS9_EEE10hipError_tPvRmT3_T4_T5_T6_T7_T9_mT8_P12ihipStream_tbDpT10_ENKUlT_T0_E_clISt17integral_constantIbLb0EES1A_EEDaS15_S16_EUlS15_E_NS1_11comp_targetILNS1_3genE3ELNS1_11target_archE908ELNS1_3gpuE7ELNS1_3repE0EEENS1_30default_config_static_selectorELNS0_4arch9wavefront6targetE0EEEvT1_,"axG",@progbits,_ZN7rocprim17ROCPRIM_400000_NS6detail17trampoline_kernelINS0_14default_configENS1_25partition_config_selectorILNS1_17partition_subalgoE9EllbEEZZNS1_14partition_implILS5_9ELb0ES3_jPlS8_PNS0_10empty_typeENS0_5tupleIJS8_S9_EEENSB_IJS8_SA_EEENS0_18inequality_wrapperIZN2at6native12_GLOBAL__N_124unique_dim_cuda_templateIfEESt5tupleIJNSF_6TensorESK_SK_EERKSK_lbbbEUlllE0_EEPmJS9_EEE10hipError_tPvRmT3_T4_T5_T6_T7_T9_mT8_P12ihipStream_tbDpT10_ENKUlT_T0_E_clISt17integral_constantIbLb0EES1A_EEDaS15_S16_EUlS15_E_NS1_11comp_targetILNS1_3genE3ELNS1_11target_archE908ELNS1_3gpuE7ELNS1_3repE0EEENS1_30default_config_static_selectorELNS0_4arch9wavefront6targetE0EEEvT1_,comdat
	.globl	_ZN7rocprim17ROCPRIM_400000_NS6detail17trampoline_kernelINS0_14default_configENS1_25partition_config_selectorILNS1_17partition_subalgoE9EllbEEZZNS1_14partition_implILS5_9ELb0ES3_jPlS8_PNS0_10empty_typeENS0_5tupleIJS8_S9_EEENSB_IJS8_SA_EEENS0_18inequality_wrapperIZN2at6native12_GLOBAL__N_124unique_dim_cuda_templateIfEESt5tupleIJNSF_6TensorESK_SK_EERKSK_lbbbEUlllE0_EEPmJS9_EEE10hipError_tPvRmT3_T4_T5_T6_T7_T9_mT8_P12ihipStream_tbDpT10_ENKUlT_T0_E_clISt17integral_constantIbLb0EES1A_EEDaS15_S16_EUlS15_E_NS1_11comp_targetILNS1_3genE3ELNS1_11target_archE908ELNS1_3gpuE7ELNS1_3repE0EEENS1_30default_config_static_selectorELNS0_4arch9wavefront6targetE0EEEvT1_ ; -- Begin function _ZN7rocprim17ROCPRIM_400000_NS6detail17trampoline_kernelINS0_14default_configENS1_25partition_config_selectorILNS1_17partition_subalgoE9EllbEEZZNS1_14partition_implILS5_9ELb0ES3_jPlS8_PNS0_10empty_typeENS0_5tupleIJS8_S9_EEENSB_IJS8_SA_EEENS0_18inequality_wrapperIZN2at6native12_GLOBAL__N_124unique_dim_cuda_templateIfEESt5tupleIJNSF_6TensorESK_SK_EERKSK_lbbbEUlllE0_EEPmJS9_EEE10hipError_tPvRmT3_T4_T5_T6_T7_T9_mT8_P12ihipStream_tbDpT10_ENKUlT_T0_E_clISt17integral_constantIbLb0EES1A_EEDaS15_S16_EUlS15_E_NS1_11comp_targetILNS1_3genE3ELNS1_11target_archE908ELNS1_3gpuE7ELNS1_3repE0EEENS1_30default_config_static_selectorELNS0_4arch9wavefront6targetE0EEEvT1_
	.p2align	8
	.type	_ZN7rocprim17ROCPRIM_400000_NS6detail17trampoline_kernelINS0_14default_configENS1_25partition_config_selectorILNS1_17partition_subalgoE9EllbEEZZNS1_14partition_implILS5_9ELb0ES3_jPlS8_PNS0_10empty_typeENS0_5tupleIJS8_S9_EEENSB_IJS8_SA_EEENS0_18inequality_wrapperIZN2at6native12_GLOBAL__N_124unique_dim_cuda_templateIfEESt5tupleIJNSF_6TensorESK_SK_EERKSK_lbbbEUlllE0_EEPmJS9_EEE10hipError_tPvRmT3_T4_T5_T6_T7_T9_mT8_P12ihipStream_tbDpT10_ENKUlT_T0_E_clISt17integral_constantIbLb0EES1A_EEDaS15_S16_EUlS15_E_NS1_11comp_targetILNS1_3genE3ELNS1_11target_archE908ELNS1_3gpuE7ELNS1_3repE0EEENS1_30default_config_static_selectorELNS0_4arch9wavefront6targetE0EEEvT1_,@function
_ZN7rocprim17ROCPRIM_400000_NS6detail17trampoline_kernelINS0_14default_configENS1_25partition_config_selectorILNS1_17partition_subalgoE9EllbEEZZNS1_14partition_implILS5_9ELb0ES3_jPlS8_PNS0_10empty_typeENS0_5tupleIJS8_S9_EEENSB_IJS8_SA_EEENS0_18inequality_wrapperIZN2at6native12_GLOBAL__N_124unique_dim_cuda_templateIfEESt5tupleIJNSF_6TensorESK_SK_EERKSK_lbbbEUlllE0_EEPmJS9_EEE10hipError_tPvRmT3_T4_T5_T6_T7_T9_mT8_P12ihipStream_tbDpT10_ENKUlT_T0_E_clISt17integral_constantIbLb0EES1A_EEDaS15_S16_EUlS15_E_NS1_11comp_targetILNS1_3genE3ELNS1_11target_archE908ELNS1_3gpuE7ELNS1_3repE0EEENS1_30default_config_static_selectorELNS0_4arch9wavefront6targetE0EEEvT1_: ; @_ZN7rocprim17ROCPRIM_400000_NS6detail17trampoline_kernelINS0_14default_configENS1_25partition_config_selectorILNS1_17partition_subalgoE9EllbEEZZNS1_14partition_implILS5_9ELb0ES3_jPlS8_PNS0_10empty_typeENS0_5tupleIJS8_S9_EEENSB_IJS8_SA_EEENS0_18inequality_wrapperIZN2at6native12_GLOBAL__N_124unique_dim_cuda_templateIfEESt5tupleIJNSF_6TensorESK_SK_EERKSK_lbbbEUlllE0_EEPmJS9_EEE10hipError_tPvRmT3_T4_T5_T6_T7_T9_mT8_P12ihipStream_tbDpT10_ENKUlT_T0_E_clISt17integral_constantIbLb0EES1A_EEDaS15_S16_EUlS15_E_NS1_11comp_targetILNS1_3genE3ELNS1_11target_archE908ELNS1_3gpuE7ELNS1_3repE0EEENS1_30default_config_static_selectorELNS0_4arch9wavefront6targetE0EEEvT1_
; %bb.0:
	.section	.rodata,"a",@progbits
	.p2align	6, 0x0
	.amdhsa_kernel _ZN7rocprim17ROCPRIM_400000_NS6detail17trampoline_kernelINS0_14default_configENS1_25partition_config_selectorILNS1_17partition_subalgoE9EllbEEZZNS1_14partition_implILS5_9ELb0ES3_jPlS8_PNS0_10empty_typeENS0_5tupleIJS8_S9_EEENSB_IJS8_SA_EEENS0_18inequality_wrapperIZN2at6native12_GLOBAL__N_124unique_dim_cuda_templateIfEESt5tupleIJNSF_6TensorESK_SK_EERKSK_lbbbEUlllE0_EEPmJS9_EEE10hipError_tPvRmT3_T4_T5_T6_T7_T9_mT8_P12ihipStream_tbDpT10_ENKUlT_T0_E_clISt17integral_constantIbLb0EES1A_EEDaS15_S16_EUlS15_E_NS1_11comp_targetILNS1_3genE3ELNS1_11target_archE908ELNS1_3gpuE7ELNS1_3repE0EEENS1_30default_config_static_selectorELNS0_4arch9wavefront6targetE0EEEvT1_
		.amdhsa_group_segment_fixed_size 0
		.amdhsa_private_segment_fixed_size 0
		.amdhsa_kernarg_size 120
		.amdhsa_user_sgpr_count 2
		.amdhsa_user_sgpr_dispatch_ptr 0
		.amdhsa_user_sgpr_queue_ptr 0
		.amdhsa_user_sgpr_kernarg_segment_ptr 1
		.amdhsa_user_sgpr_dispatch_id 0
		.amdhsa_user_sgpr_kernarg_preload_length 0
		.amdhsa_user_sgpr_kernarg_preload_offset 0
		.amdhsa_user_sgpr_private_segment_size 0
		.amdhsa_wavefront_size32 1
		.amdhsa_uses_dynamic_stack 0
		.amdhsa_enable_private_segment 0
		.amdhsa_system_sgpr_workgroup_id_x 1
		.amdhsa_system_sgpr_workgroup_id_y 0
		.amdhsa_system_sgpr_workgroup_id_z 0
		.amdhsa_system_sgpr_workgroup_info 0
		.amdhsa_system_vgpr_workitem_id 0
		.amdhsa_next_free_vgpr 1
		.amdhsa_next_free_sgpr 1
		.amdhsa_named_barrier_count 0
		.amdhsa_reserve_vcc 0
		.amdhsa_float_round_mode_32 0
		.amdhsa_float_round_mode_16_64 0
		.amdhsa_float_denorm_mode_32 3
		.amdhsa_float_denorm_mode_16_64 3
		.amdhsa_fp16_overflow 0
		.amdhsa_memory_ordered 1
		.amdhsa_forward_progress 1
		.amdhsa_inst_pref_size 0
		.amdhsa_round_robin_scheduling 0
		.amdhsa_exception_fp_ieee_invalid_op 0
		.amdhsa_exception_fp_denorm_src 0
		.amdhsa_exception_fp_ieee_div_zero 0
		.amdhsa_exception_fp_ieee_overflow 0
		.amdhsa_exception_fp_ieee_underflow 0
		.amdhsa_exception_fp_ieee_inexact 0
		.amdhsa_exception_int_div_zero 0
	.end_amdhsa_kernel
	.section	.text._ZN7rocprim17ROCPRIM_400000_NS6detail17trampoline_kernelINS0_14default_configENS1_25partition_config_selectorILNS1_17partition_subalgoE9EllbEEZZNS1_14partition_implILS5_9ELb0ES3_jPlS8_PNS0_10empty_typeENS0_5tupleIJS8_S9_EEENSB_IJS8_SA_EEENS0_18inequality_wrapperIZN2at6native12_GLOBAL__N_124unique_dim_cuda_templateIfEESt5tupleIJNSF_6TensorESK_SK_EERKSK_lbbbEUlllE0_EEPmJS9_EEE10hipError_tPvRmT3_T4_T5_T6_T7_T9_mT8_P12ihipStream_tbDpT10_ENKUlT_T0_E_clISt17integral_constantIbLb0EES1A_EEDaS15_S16_EUlS15_E_NS1_11comp_targetILNS1_3genE3ELNS1_11target_archE908ELNS1_3gpuE7ELNS1_3repE0EEENS1_30default_config_static_selectorELNS0_4arch9wavefront6targetE0EEEvT1_,"axG",@progbits,_ZN7rocprim17ROCPRIM_400000_NS6detail17trampoline_kernelINS0_14default_configENS1_25partition_config_selectorILNS1_17partition_subalgoE9EllbEEZZNS1_14partition_implILS5_9ELb0ES3_jPlS8_PNS0_10empty_typeENS0_5tupleIJS8_S9_EEENSB_IJS8_SA_EEENS0_18inequality_wrapperIZN2at6native12_GLOBAL__N_124unique_dim_cuda_templateIfEESt5tupleIJNSF_6TensorESK_SK_EERKSK_lbbbEUlllE0_EEPmJS9_EEE10hipError_tPvRmT3_T4_T5_T6_T7_T9_mT8_P12ihipStream_tbDpT10_ENKUlT_T0_E_clISt17integral_constantIbLb0EES1A_EEDaS15_S16_EUlS15_E_NS1_11comp_targetILNS1_3genE3ELNS1_11target_archE908ELNS1_3gpuE7ELNS1_3repE0EEENS1_30default_config_static_selectorELNS0_4arch9wavefront6targetE0EEEvT1_,comdat
.Lfunc_end964:
	.size	_ZN7rocprim17ROCPRIM_400000_NS6detail17trampoline_kernelINS0_14default_configENS1_25partition_config_selectorILNS1_17partition_subalgoE9EllbEEZZNS1_14partition_implILS5_9ELb0ES3_jPlS8_PNS0_10empty_typeENS0_5tupleIJS8_S9_EEENSB_IJS8_SA_EEENS0_18inequality_wrapperIZN2at6native12_GLOBAL__N_124unique_dim_cuda_templateIfEESt5tupleIJNSF_6TensorESK_SK_EERKSK_lbbbEUlllE0_EEPmJS9_EEE10hipError_tPvRmT3_T4_T5_T6_T7_T9_mT8_P12ihipStream_tbDpT10_ENKUlT_T0_E_clISt17integral_constantIbLb0EES1A_EEDaS15_S16_EUlS15_E_NS1_11comp_targetILNS1_3genE3ELNS1_11target_archE908ELNS1_3gpuE7ELNS1_3repE0EEENS1_30default_config_static_selectorELNS0_4arch9wavefront6targetE0EEEvT1_, .Lfunc_end964-_ZN7rocprim17ROCPRIM_400000_NS6detail17trampoline_kernelINS0_14default_configENS1_25partition_config_selectorILNS1_17partition_subalgoE9EllbEEZZNS1_14partition_implILS5_9ELb0ES3_jPlS8_PNS0_10empty_typeENS0_5tupleIJS8_S9_EEENSB_IJS8_SA_EEENS0_18inequality_wrapperIZN2at6native12_GLOBAL__N_124unique_dim_cuda_templateIfEESt5tupleIJNSF_6TensorESK_SK_EERKSK_lbbbEUlllE0_EEPmJS9_EEE10hipError_tPvRmT3_T4_T5_T6_T7_T9_mT8_P12ihipStream_tbDpT10_ENKUlT_T0_E_clISt17integral_constantIbLb0EES1A_EEDaS15_S16_EUlS15_E_NS1_11comp_targetILNS1_3genE3ELNS1_11target_archE908ELNS1_3gpuE7ELNS1_3repE0EEENS1_30default_config_static_selectorELNS0_4arch9wavefront6targetE0EEEvT1_
                                        ; -- End function
	.set _ZN7rocprim17ROCPRIM_400000_NS6detail17trampoline_kernelINS0_14default_configENS1_25partition_config_selectorILNS1_17partition_subalgoE9EllbEEZZNS1_14partition_implILS5_9ELb0ES3_jPlS8_PNS0_10empty_typeENS0_5tupleIJS8_S9_EEENSB_IJS8_SA_EEENS0_18inequality_wrapperIZN2at6native12_GLOBAL__N_124unique_dim_cuda_templateIfEESt5tupleIJNSF_6TensorESK_SK_EERKSK_lbbbEUlllE0_EEPmJS9_EEE10hipError_tPvRmT3_T4_T5_T6_T7_T9_mT8_P12ihipStream_tbDpT10_ENKUlT_T0_E_clISt17integral_constantIbLb0EES1A_EEDaS15_S16_EUlS15_E_NS1_11comp_targetILNS1_3genE3ELNS1_11target_archE908ELNS1_3gpuE7ELNS1_3repE0EEENS1_30default_config_static_selectorELNS0_4arch9wavefront6targetE0EEEvT1_.num_vgpr, 0
	.set _ZN7rocprim17ROCPRIM_400000_NS6detail17trampoline_kernelINS0_14default_configENS1_25partition_config_selectorILNS1_17partition_subalgoE9EllbEEZZNS1_14partition_implILS5_9ELb0ES3_jPlS8_PNS0_10empty_typeENS0_5tupleIJS8_S9_EEENSB_IJS8_SA_EEENS0_18inequality_wrapperIZN2at6native12_GLOBAL__N_124unique_dim_cuda_templateIfEESt5tupleIJNSF_6TensorESK_SK_EERKSK_lbbbEUlllE0_EEPmJS9_EEE10hipError_tPvRmT3_T4_T5_T6_T7_T9_mT8_P12ihipStream_tbDpT10_ENKUlT_T0_E_clISt17integral_constantIbLb0EES1A_EEDaS15_S16_EUlS15_E_NS1_11comp_targetILNS1_3genE3ELNS1_11target_archE908ELNS1_3gpuE7ELNS1_3repE0EEENS1_30default_config_static_selectorELNS0_4arch9wavefront6targetE0EEEvT1_.num_agpr, 0
	.set _ZN7rocprim17ROCPRIM_400000_NS6detail17trampoline_kernelINS0_14default_configENS1_25partition_config_selectorILNS1_17partition_subalgoE9EllbEEZZNS1_14partition_implILS5_9ELb0ES3_jPlS8_PNS0_10empty_typeENS0_5tupleIJS8_S9_EEENSB_IJS8_SA_EEENS0_18inequality_wrapperIZN2at6native12_GLOBAL__N_124unique_dim_cuda_templateIfEESt5tupleIJNSF_6TensorESK_SK_EERKSK_lbbbEUlllE0_EEPmJS9_EEE10hipError_tPvRmT3_T4_T5_T6_T7_T9_mT8_P12ihipStream_tbDpT10_ENKUlT_T0_E_clISt17integral_constantIbLb0EES1A_EEDaS15_S16_EUlS15_E_NS1_11comp_targetILNS1_3genE3ELNS1_11target_archE908ELNS1_3gpuE7ELNS1_3repE0EEENS1_30default_config_static_selectorELNS0_4arch9wavefront6targetE0EEEvT1_.numbered_sgpr, 0
	.set _ZN7rocprim17ROCPRIM_400000_NS6detail17trampoline_kernelINS0_14default_configENS1_25partition_config_selectorILNS1_17partition_subalgoE9EllbEEZZNS1_14partition_implILS5_9ELb0ES3_jPlS8_PNS0_10empty_typeENS0_5tupleIJS8_S9_EEENSB_IJS8_SA_EEENS0_18inequality_wrapperIZN2at6native12_GLOBAL__N_124unique_dim_cuda_templateIfEESt5tupleIJNSF_6TensorESK_SK_EERKSK_lbbbEUlllE0_EEPmJS9_EEE10hipError_tPvRmT3_T4_T5_T6_T7_T9_mT8_P12ihipStream_tbDpT10_ENKUlT_T0_E_clISt17integral_constantIbLb0EES1A_EEDaS15_S16_EUlS15_E_NS1_11comp_targetILNS1_3genE3ELNS1_11target_archE908ELNS1_3gpuE7ELNS1_3repE0EEENS1_30default_config_static_selectorELNS0_4arch9wavefront6targetE0EEEvT1_.num_named_barrier, 0
	.set _ZN7rocprim17ROCPRIM_400000_NS6detail17trampoline_kernelINS0_14default_configENS1_25partition_config_selectorILNS1_17partition_subalgoE9EllbEEZZNS1_14partition_implILS5_9ELb0ES3_jPlS8_PNS0_10empty_typeENS0_5tupleIJS8_S9_EEENSB_IJS8_SA_EEENS0_18inequality_wrapperIZN2at6native12_GLOBAL__N_124unique_dim_cuda_templateIfEESt5tupleIJNSF_6TensorESK_SK_EERKSK_lbbbEUlllE0_EEPmJS9_EEE10hipError_tPvRmT3_T4_T5_T6_T7_T9_mT8_P12ihipStream_tbDpT10_ENKUlT_T0_E_clISt17integral_constantIbLb0EES1A_EEDaS15_S16_EUlS15_E_NS1_11comp_targetILNS1_3genE3ELNS1_11target_archE908ELNS1_3gpuE7ELNS1_3repE0EEENS1_30default_config_static_selectorELNS0_4arch9wavefront6targetE0EEEvT1_.private_seg_size, 0
	.set _ZN7rocprim17ROCPRIM_400000_NS6detail17trampoline_kernelINS0_14default_configENS1_25partition_config_selectorILNS1_17partition_subalgoE9EllbEEZZNS1_14partition_implILS5_9ELb0ES3_jPlS8_PNS0_10empty_typeENS0_5tupleIJS8_S9_EEENSB_IJS8_SA_EEENS0_18inequality_wrapperIZN2at6native12_GLOBAL__N_124unique_dim_cuda_templateIfEESt5tupleIJNSF_6TensorESK_SK_EERKSK_lbbbEUlllE0_EEPmJS9_EEE10hipError_tPvRmT3_T4_T5_T6_T7_T9_mT8_P12ihipStream_tbDpT10_ENKUlT_T0_E_clISt17integral_constantIbLb0EES1A_EEDaS15_S16_EUlS15_E_NS1_11comp_targetILNS1_3genE3ELNS1_11target_archE908ELNS1_3gpuE7ELNS1_3repE0EEENS1_30default_config_static_selectorELNS0_4arch9wavefront6targetE0EEEvT1_.uses_vcc, 0
	.set _ZN7rocprim17ROCPRIM_400000_NS6detail17trampoline_kernelINS0_14default_configENS1_25partition_config_selectorILNS1_17partition_subalgoE9EllbEEZZNS1_14partition_implILS5_9ELb0ES3_jPlS8_PNS0_10empty_typeENS0_5tupleIJS8_S9_EEENSB_IJS8_SA_EEENS0_18inequality_wrapperIZN2at6native12_GLOBAL__N_124unique_dim_cuda_templateIfEESt5tupleIJNSF_6TensorESK_SK_EERKSK_lbbbEUlllE0_EEPmJS9_EEE10hipError_tPvRmT3_T4_T5_T6_T7_T9_mT8_P12ihipStream_tbDpT10_ENKUlT_T0_E_clISt17integral_constantIbLb0EES1A_EEDaS15_S16_EUlS15_E_NS1_11comp_targetILNS1_3genE3ELNS1_11target_archE908ELNS1_3gpuE7ELNS1_3repE0EEENS1_30default_config_static_selectorELNS0_4arch9wavefront6targetE0EEEvT1_.uses_flat_scratch, 0
	.set _ZN7rocprim17ROCPRIM_400000_NS6detail17trampoline_kernelINS0_14default_configENS1_25partition_config_selectorILNS1_17partition_subalgoE9EllbEEZZNS1_14partition_implILS5_9ELb0ES3_jPlS8_PNS0_10empty_typeENS0_5tupleIJS8_S9_EEENSB_IJS8_SA_EEENS0_18inequality_wrapperIZN2at6native12_GLOBAL__N_124unique_dim_cuda_templateIfEESt5tupleIJNSF_6TensorESK_SK_EERKSK_lbbbEUlllE0_EEPmJS9_EEE10hipError_tPvRmT3_T4_T5_T6_T7_T9_mT8_P12ihipStream_tbDpT10_ENKUlT_T0_E_clISt17integral_constantIbLb0EES1A_EEDaS15_S16_EUlS15_E_NS1_11comp_targetILNS1_3genE3ELNS1_11target_archE908ELNS1_3gpuE7ELNS1_3repE0EEENS1_30default_config_static_selectorELNS0_4arch9wavefront6targetE0EEEvT1_.has_dyn_sized_stack, 0
	.set _ZN7rocprim17ROCPRIM_400000_NS6detail17trampoline_kernelINS0_14default_configENS1_25partition_config_selectorILNS1_17partition_subalgoE9EllbEEZZNS1_14partition_implILS5_9ELb0ES3_jPlS8_PNS0_10empty_typeENS0_5tupleIJS8_S9_EEENSB_IJS8_SA_EEENS0_18inequality_wrapperIZN2at6native12_GLOBAL__N_124unique_dim_cuda_templateIfEESt5tupleIJNSF_6TensorESK_SK_EERKSK_lbbbEUlllE0_EEPmJS9_EEE10hipError_tPvRmT3_T4_T5_T6_T7_T9_mT8_P12ihipStream_tbDpT10_ENKUlT_T0_E_clISt17integral_constantIbLb0EES1A_EEDaS15_S16_EUlS15_E_NS1_11comp_targetILNS1_3genE3ELNS1_11target_archE908ELNS1_3gpuE7ELNS1_3repE0EEENS1_30default_config_static_selectorELNS0_4arch9wavefront6targetE0EEEvT1_.has_recursion, 0
	.set _ZN7rocprim17ROCPRIM_400000_NS6detail17trampoline_kernelINS0_14default_configENS1_25partition_config_selectorILNS1_17partition_subalgoE9EllbEEZZNS1_14partition_implILS5_9ELb0ES3_jPlS8_PNS0_10empty_typeENS0_5tupleIJS8_S9_EEENSB_IJS8_SA_EEENS0_18inequality_wrapperIZN2at6native12_GLOBAL__N_124unique_dim_cuda_templateIfEESt5tupleIJNSF_6TensorESK_SK_EERKSK_lbbbEUlllE0_EEPmJS9_EEE10hipError_tPvRmT3_T4_T5_T6_T7_T9_mT8_P12ihipStream_tbDpT10_ENKUlT_T0_E_clISt17integral_constantIbLb0EES1A_EEDaS15_S16_EUlS15_E_NS1_11comp_targetILNS1_3genE3ELNS1_11target_archE908ELNS1_3gpuE7ELNS1_3repE0EEENS1_30default_config_static_selectorELNS0_4arch9wavefront6targetE0EEEvT1_.has_indirect_call, 0
	.section	.AMDGPU.csdata,"",@progbits
; Kernel info:
; codeLenInByte = 0
; TotalNumSgprs: 0
; NumVgprs: 0
; ScratchSize: 0
; MemoryBound: 0
; FloatMode: 240
; IeeeMode: 1
; LDSByteSize: 0 bytes/workgroup (compile time only)
; SGPRBlocks: 0
; VGPRBlocks: 0
; NumSGPRsForWavesPerEU: 1
; NumVGPRsForWavesPerEU: 1
; NamedBarCnt: 0
; Occupancy: 16
; WaveLimiterHint : 0
; COMPUTE_PGM_RSRC2:SCRATCH_EN: 0
; COMPUTE_PGM_RSRC2:USER_SGPR: 2
; COMPUTE_PGM_RSRC2:TRAP_HANDLER: 0
; COMPUTE_PGM_RSRC2:TGID_X_EN: 1
; COMPUTE_PGM_RSRC2:TGID_Y_EN: 0
; COMPUTE_PGM_RSRC2:TGID_Z_EN: 0
; COMPUTE_PGM_RSRC2:TIDIG_COMP_CNT: 0
	.section	.text._ZN7rocprim17ROCPRIM_400000_NS6detail17trampoline_kernelINS0_14default_configENS1_25partition_config_selectorILNS1_17partition_subalgoE9EllbEEZZNS1_14partition_implILS5_9ELb0ES3_jPlS8_PNS0_10empty_typeENS0_5tupleIJS8_S9_EEENSB_IJS8_SA_EEENS0_18inequality_wrapperIZN2at6native12_GLOBAL__N_124unique_dim_cuda_templateIfEESt5tupleIJNSF_6TensorESK_SK_EERKSK_lbbbEUlllE0_EEPmJS9_EEE10hipError_tPvRmT3_T4_T5_T6_T7_T9_mT8_P12ihipStream_tbDpT10_ENKUlT_T0_E_clISt17integral_constantIbLb0EES1A_EEDaS15_S16_EUlS15_E_NS1_11comp_targetILNS1_3genE2ELNS1_11target_archE906ELNS1_3gpuE6ELNS1_3repE0EEENS1_30default_config_static_selectorELNS0_4arch9wavefront6targetE0EEEvT1_,"axG",@progbits,_ZN7rocprim17ROCPRIM_400000_NS6detail17trampoline_kernelINS0_14default_configENS1_25partition_config_selectorILNS1_17partition_subalgoE9EllbEEZZNS1_14partition_implILS5_9ELb0ES3_jPlS8_PNS0_10empty_typeENS0_5tupleIJS8_S9_EEENSB_IJS8_SA_EEENS0_18inequality_wrapperIZN2at6native12_GLOBAL__N_124unique_dim_cuda_templateIfEESt5tupleIJNSF_6TensorESK_SK_EERKSK_lbbbEUlllE0_EEPmJS9_EEE10hipError_tPvRmT3_T4_T5_T6_T7_T9_mT8_P12ihipStream_tbDpT10_ENKUlT_T0_E_clISt17integral_constantIbLb0EES1A_EEDaS15_S16_EUlS15_E_NS1_11comp_targetILNS1_3genE2ELNS1_11target_archE906ELNS1_3gpuE6ELNS1_3repE0EEENS1_30default_config_static_selectorELNS0_4arch9wavefront6targetE0EEEvT1_,comdat
	.globl	_ZN7rocprim17ROCPRIM_400000_NS6detail17trampoline_kernelINS0_14default_configENS1_25partition_config_selectorILNS1_17partition_subalgoE9EllbEEZZNS1_14partition_implILS5_9ELb0ES3_jPlS8_PNS0_10empty_typeENS0_5tupleIJS8_S9_EEENSB_IJS8_SA_EEENS0_18inequality_wrapperIZN2at6native12_GLOBAL__N_124unique_dim_cuda_templateIfEESt5tupleIJNSF_6TensorESK_SK_EERKSK_lbbbEUlllE0_EEPmJS9_EEE10hipError_tPvRmT3_T4_T5_T6_T7_T9_mT8_P12ihipStream_tbDpT10_ENKUlT_T0_E_clISt17integral_constantIbLb0EES1A_EEDaS15_S16_EUlS15_E_NS1_11comp_targetILNS1_3genE2ELNS1_11target_archE906ELNS1_3gpuE6ELNS1_3repE0EEENS1_30default_config_static_selectorELNS0_4arch9wavefront6targetE0EEEvT1_ ; -- Begin function _ZN7rocprim17ROCPRIM_400000_NS6detail17trampoline_kernelINS0_14default_configENS1_25partition_config_selectorILNS1_17partition_subalgoE9EllbEEZZNS1_14partition_implILS5_9ELb0ES3_jPlS8_PNS0_10empty_typeENS0_5tupleIJS8_S9_EEENSB_IJS8_SA_EEENS0_18inequality_wrapperIZN2at6native12_GLOBAL__N_124unique_dim_cuda_templateIfEESt5tupleIJNSF_6TensorESK_SK_EERKSK_lbbbEUlllE0_EEPmJS9_EEE10hipError_tPvRmT3_T4_T5_T6_T7_T9_mT8_P12ihipStream_tbDpT10_ENKUlT_T0_E_clISt17integral_constantIbLb0EES1A_EEDaS15_S16_EUlS15_E_NS1_11comp_targetILNS1_3genE2ELNS1_11target_archE906ELNS1_3gpuE6ELNS1_3repE0EEENS1_30default_config_static_selectorELNS0_4arch9wavefront6targetE0EEEvT1_
	.p2align	8
	.type	_ZN7rocprim17ROCPRIM_400000_NS6detail17trampoline_kernelINS0_14default_configENS1_25partition_config_selectorILNS1_17partition_subalgoE9EllbEEZZNS1_14partition_implILS5_9ELb0ES3_jPlS8_PNS0_10empty_typeENS0_5tupleIJS8_S9_EEENSB_IJS8_SA_EEENS0_18inequality_wrapperIZN2at6native12_GLOBAL__N_124unique_dim_cuda_templateIfEESt5tupleIJNSF_6TensorESK_SK_EERKSK_lbbbEUlllE0_EEPmJS9_EEE10hipError_tPvRmT3_T4_T5_T6_T7_T9_mT8_P12ihipStream_tbDpT10_ENKUlT_T0_E_clISt17integral_constantIbLb0EES1A_EEDaS15_S16_EUlS15_E_NS1_11comp_targetILNS1_3genE2ELNS1_11target_archE906ELNS1_3gpuE6ELNS1_3repE0EEENS1_30default_config_static_selectorELNS0_4arch9wavefront6targetE0EEEvT1_,@function
_ZN7rocprim17ROCPRIM_400000_NS6detail17trampoline_kernelINS0_14default_configENS1_25partition_config_selectorILNS1_17partition_subalgoE9EllbEEZZNS1_14partition_implILS5_9ELb0ES3_jPlS8_PNS0_10empty_typeENS0_5tupleIJS8_S9_EEENSB_IJS8_SA_EEENS0_18inequality_wrapperIZN2at6native12_GLOBAL__N_124unique_dim_cuda_templateIfEESt5tupleIJNSF_6TensorESK_SK_EERKSK_lbbbEUlllE0_EEPmJS9_EEE10hipError_tPvRmT3_T4_T5_T6_T7_T9_mT8_P12ihipStream_tbDpT10_ENKUlT_T0_E_clISt17integral_constantIbLb0EES1A_EEDaS15_S16_EUlS15_E_NS1_11comp_targetILNS1_3genE2ELNS1_11target_archE906ELNS1_3gpuE6ELNS1_3repE0EEENS1_30default_config_static_selectorELNS0_4arch9wavefront6targetE0EEEvT1_: ; @_ZN7rocprim17ROCPRIM_400000_NS6detail17trampoline_kernelINS0_14default_configENS1_25partition_config_selectorILNS1_17partition_subalgoE9EllbEEZZNS1_14partition_implILS5_9ELb0ES3_jPlS8_PNS0_10empty_typeENS0_5tupleIJS8_S9_EEENSB_IJS8_SA_EEENS0_18inequality_wrapperIZN2at6native12_GLOBAL__N_124unique_dim_cuda_templateIfEESt5tupleIJNSF_6TensorESK_SK_EERKSK_lbbbEUlllE0_EEPmJS9_EEE10hipError_tPvRmT3_T4_T5_T6_T7_T9_mT8_P12ihipStream_tbDpT10_ENKUlT_T0_E_clISt17integral_constantIbLb0EES1A_EEDaS15_S16_EUlS15_E_NS1_11comp_targetILNS1_3genE2ELNS1_11target_archE906ELNS1_3gpuE6ELNS1_3repE0EEENS1_30default_config_static_selectorELNS0_4arch9wavefront6targetE0EEEvT1_
; %bb.0:
	.section	.rodata,"a",@progbits
	.p2align	6, 0x0
	.amdhsa_kernel _ZN7rocprim17ROCPRIM_400000_NS6detail17trampoline_kernelINS0_14default_configENS1_25partition_config_selectorILNS1_17partition_subalgoE9EllbEEZZNS1_14partition_implILS5_9ELb0ES3_jPlS8_PNS0_10empty_typeENS0_5tupleIJS8_S9_EEENSB_IJS8_SA_EEENS0_18inequality_wrapperIZN2at6native12_GLOBAL__N_124unique_dim_cuda_templateIfEESt5tupleIJNSF_6TensorESK_SK_EERKSK_lbbbEUlllE0_EEPmJS9_EEE10hipError_tPvRmT3_T4_T5_T6_T7_T9_mT8_P12ihipStream_tbDpT10_ENKUlT_T0_E_clISt17integral_constantIbLb0EES1A_EEDaS15_S16_EUlS15_E_NS1_11comp_targetILNS1_3genE2ELNS1_11target_archE906ELNS1_3gpuE6ELNS1_3repE0EEENS1_30default_config_static_selectorELNS0_4arch9wavefront6targetE0EEEvT1_
		.amdhsa_group_segment_fixed_size 0
		.amdhsa_private_segment_fixed_size 0
		.amdhsa_kernarg_size 120
		.amdhsa_user_sgpr_count 2
		.amdhsa_user_sgpr_dispatch_ptr 0
		.amdhsa_user_sgpr_queue_ptr 0
		.amdhsa_user_sgpr_kernarg_segment_ptr 1
		.amdhsa_user_sgpr_dispatch_id 0
		.amdhsa_user_sgpr_kernarg_preload_length 0
		.amdhsa_user_sgpr_kernarg_preload_offset 0
		.amdhsa_user_sgpr_private_segment_size 0
		.amdhsa_wavefront_size32 1
		.amdhsa_uses_dynamic_stack 0
		.amdhsa_enable_private_segment 0
		.amdhsa_system_sgpr_workgroup_id_x 1
		.amdhsa_system_sgpr_workgroup_id_y 0
		.amdhsa_system_sgpr_workgroup_id_z 0
		.amdhsa_system_sgpr_workgroup_info 0
		.amdhsa_system_vgpr_workitem_id 0
		.amdhsa_next_free_vgpr 1
		.amdhsa_next_free_sgpr 1
		.amdhsa_named_barrier_count 0
		.amdhsa_reserve_vcc 0
		.amdhsa_float_round_mode_32 0
		.amdhsa_float_round_mode_16_64 0
		.amdhsa_float_denorm_mode_32 3
		.amdhsa_float_denorm_mode_16_64 3
		.amdhsa_fp16_overflow 0
		.amdhsa_memory_ordered 1
		.amdhsa_forward_progress 1
		.amdhsa_inst_pref_size 0
		.amdhsa_round_robin_scheduling 0
		.amdhsa_exception_fp_ieee_invalid_op 0
		.amdhsa_exception_fp_denorm_src 0
		.amdhsa_exception_fp_ieee_div_zero 0
		.amdhsa_exception_fp_ieee_overflow 0
		.amdhsa_exception_fp_ieee_underflow 0
		.amdhsa_exception_fp_ieee_inexact 0
		.amdhsa_exception_int_div_zero 0
	.end_amdhsa_kernel
	.section	.text._ZN7rocprim17ROCPRIM_400000_NS6detail17trampoline_kernelINS0_14default_configENS1_25partition_config_selectorILNS1_17partition_subalgoE9EllbEEZZNS1_14partition_implILS5_9ELb0ES3_jPlS8_PNS0_10empty_typeENS0_5tupleIJS8_S9_EEENSB_IJS8_SA_EEENS0_18inequality_wrapperIZN2at6native12_GLOBAL__N_124unique_dim_cuda_templateIfEESt5tupleIJNSF_6TensorESK_SK_EERKSK_lbbbEUlllE0_EEPmJS9_EEE10hipError_tPvRmT3_T4_T5_T6_T7_T9_mT8_P12ihipStream_tbDpT10_ENKUlT_T0_E_clISt17integral_constantIbLb0EES1A_EEDaS15_S16_EUlS15_E_NS1_11comp_targetILNS1_3genE2ELNS1_11target_archE906ELNS1_3gpuE6ELNS1_3repE0EEENS1_30default_config_static_selectorELNS0_4arch9wavefront6targetE0EEEvT1_,"axG",@progbits,_ZN7rocprim17ROCPRIM_400000_NS6detail17trampoline_kernelINS0_14default_configENS1_25partition_config_selectorILNS1_17partition_subalgoE9EllbEEZZNS1_14partition_implILS5_9ELb0ES3_jPlS8_PNS0_10empty_typeENS0_5tupleIJS8_S9_EEENSB_IJS8_SA_EEENS0_18inequality_wrapperIZN2at6native12_GLOBAL__N_124unique_dim_cuda_templateIfEESt5tupleIJNSF_6TensorESK_SK_EERKSK_lbbbEUlllE0_EEPmJS9_EEE10hipError_tPvRmT3_T4_T5_T6_T7_T9_mT8_P12ihipStream_tbDpT10_ENKUlT_T0_E_clISt17integral_constantIbLb0EES1A_EEDaS15_S16_EUlS15_E_NS1_11comp_targetILNS1_3genE2ELNS1_11target_archE906ELNS1_3gpuE6ELNS1_3repE0EEENS1_30default_config_static_selectorELNS0_4arch9wavefront6targetE0EEEvT1_,comdat
.Lfunc_end965:
	.size	_ZN7rocprim17ROCPRIM_400000_NS6detail17trampoline_kernelINS0_14default_configENS1_25partition_config_selectorILNS1_17partition_subalgoE9EllbEEZZNS1_14partition_implILS5_9ELb0ES3_jPlS8_PNS0_10empty_typeENS0_5tupleIJS8_S9_EEENSB_IJS8_SA_EEENS0_18inequality_wrapperIZN2at6native12_GLOBAL__N_124unique_dim_cuda_templateIfEESt5tupleIJNSF_6TensorESK_SK_EERKSK_lbbbEUlllE0_EEPmJS9_EEE10hipError_tPvRmT3_T4_T5_T6_T7_T9_mT8_P12ihipStream_tbDpT10_ENKUlT_T0_E_clISt17integral_constantIbLb0EES1A_EEDaS15_S16_EUlS15_E_NS1_11comp_targetILNS1_3genE2ELNS1_11target_archE906ELNS1_3gpuE6ELNS1_3repE0EEENS1_30default_config_static_selectorELNS0_4arch9wavefront6targetE0EEEvT1_, .Lfunc_end965-_ZN7rocprim17ROCPRIM_400000_NS6detail17trampoline_kernelINS0_14default_configENS1_25partition_config_selectorILNS1_17partition_subalgoE9EllbEEZZNS1_14partition_implILS5_9ELb0ES3_jPlS8_PNS0_10empty_typeENS0_5tupleIJS8_S9_EEENSB_IJS8_SA_EEENS0_18inequality_wrapperIZN2at6native12_GLOBAL__N_124unique_dim_cuda_templateIfEESt5tupleIJNSF_6TensorESK_SK_EERKSK_lbbbEUlllE0_EEPmJS9_EEE10hipError_tPvRmT3_T4_T5_T6_T7_T9_mT8_P12ihipStream_tbDpT10_ENKUlT_T0_E_clISt17integral_constantIbLb0EES1A_EEDaS15_S16_EUlS15_E_NS1_11comp_targetILNS1_3genE2ELNS1_11target_archE906ELNS1_3gpuE6ELNS1_3repE0EEENS1_30default_config_static_selectorELNS0_4arch9wavefront6targetE0EEEvT1_
                                        ; -- End function
	.set _ZN7rocprim17ROCPRIM_400000_NS6detail17trampoline_kernelINS0_14default_configENS1_25partition_config_selectorILNS1_17partition_subalgoE9EllbEEZZNS1_14partition_implILS5_9ELb0ES3_jPlS8_PNS0_10empty_typeENS0_5tupleIJS8_S9_EEENSB_IJS8_SA_EEENS0_18inequality_wrapperIZN2at6native12_GLOBAL__N_124unique_dim_cuda_templateIfEESt5tupleIJNSF_6TensorESK_SK_EERKSK_lbbbEUlllE0_EEPmJS9_EEE10hipError_tPvRmT3_T4_T5_T6_T7_T9_mT8_P12ihipStream_tbDpT10_ENKUlT_T0_E_clISt17integral_constantIbLb0EES1A_EEDaS15_S16_EUlS15_E_NS1_11comp_targetILNS1_3genE2ELNS1_11target_archE906ELNS1_3gpuE6ELNS1_3repE0EEENS1_30default_config_static_selectorELNS0_4arch9wavefront6targetE0EEEvT1_.num_vgpr, 0
	.set _ZN7rocprim17ROCPRIM_400000_NS6detail17trampoline_kernelINS0_14default_configENS1_25partition_config_selectorILNS1_17partition_subalgoE9EllbEEZZNS1_14partition_implILS5_9ELb0ES3_jPlS8_PNS0_10empty_typeENS0_5tupleIJS8_S9_EEENSB_IJS8_SA_EEENS0_18inequality_wrapperIZN2at6native12_GLOBAL__N_124unique_dim_cuda_templateIfEESt5tupleIJNSF_6TensorESK_SK_EERKSK_lbbbEUlllE0_EEPmJS9_EEE10hipError_tPvRmT3_T4_T5_T6_T7_T9_mT8_P12ihipStream_tbDpT10_ENKUlT_T0_E_clISt17integral_constantIbLb0EES1A_EEDaS15_S16_EUlS15_E_NS1_11comp_targetILNS1_3genE2ELNS1_11target_archE906ELNS1_3gpuE6ELNS1_3repE0EEENS1_30default_config_static_selectorELNS0_4arch9wavefront6targetE0EEEvT1_.num_agpr, 0
	.set _ZN7rocprim17ROCPRIM_400000_NS6detail17trampoline_kernelINS0_14default_configENS1_25partition_config_selectorILNS1_17partition_subalgoE9EllbEEZZNS1_14partition_implILS5_9ELb0ES3_jPlS8_PNS0_10empty_typeENS0_5tupleIJS8_S9_EEENSB_IJS8_SA_EEENS0_18inequality_wrapperIZN2at6native12_GLOBAL__N_124unique_dim_cuda_templateIfEESt5tupleIJNSF_6TensorESK_SK_EERKSK_lbbbEUlllE0_EEPmJS9_EEE10hipError_tPvRmT3_T4_T5_T6_T7_T9_mT8_P12ihipStream_tbDpT10_ENKUlT_T0_E_clISt17integral_constantIbLb0EES1A_EEDaS15_S16_EUlS15_E_NS1_11comp_targetILNS1_3genE2ELNS1_11target_archE906ELNS1_3gpuE6ELNS1_3repE0EEENS1_30default_config_static_selectorELNS0_4arch9wavefront6targetE0EEEvT1_.numbered_sgpr, 0
	.set _ZN7rocprim17ROCPRIM_400000_NS6detail17trampoline_kernelINS0_14default_configENS1_25partition_config_selectorILNS1_17partition_subalgoE9EllbEEZZNS1_14partition_implILS5_9ELb0ES3_jPlS8_PNS0_10empty_typeENS0_5tupleIJS8_S9_EEENSB_IJS8_SA_EEENS0_18inequality_wrapperIZN2at6native12_GLOBAL__N_124unique_dim_cuda_templateIfEESt5tupleIJNSF_6TensorESK_SK_EERKSK_lbbbEUlllE0_EEPmJS9_EEE10hipError_tPvRmT3_T4_T5_T6_T7_T9_mT8_P12ihipStream_tbDpT10_ENKUlT_T0_E_clISt17integral_constantIbLb0EES1A_EEDaS15_S16_EUlS15_E_NS1_11comp_targetILNS1_3genE2ELNS1_11target_archE906ELNS1_3gpuE6ELNS1_3repE0EEENS1_30default_config_static_selectorELNS0_4arch9wavefront6targetE0EEEvT1_.num_named_barrier, 0
	.set _ZN7rocprim17ROCPRIM_400000_NS6detail17trampoline_kernelINS0_14default_configENS1_25partition_config_selectorILNS1_17partition_subalgoE9EllbEEZZNS1_14partition_implILS5_9ELb0ES3_jPlS8_PNS0_10empty_typeENS0_5tupleIJS8_S9_EEENSB_IJS8_SA_EEENS0_18inequality_wrapperIZN2at6native12_GLOBAL__N_124unique_dim_cuda_templateIfEESt5tupleIJNSF_6TensorESK_SK_EERKSK_lbbbEUlllE0_EEPmJS9_EEE10hipError_tPvRmT3_T4_T5_T6_T7_T9_mT8_P12ihipStream_tbDpT10_ENKUlT_T0_E_clISt17integral_constantIbLb0EES1A_EEDaS15_S16_EUlS15_E_NS1_11comp_targetILNS1_3genE2ELNS1_11target_archE906ELNS1_3gpuE6ELNS1_3repE0EEENS1_30default_config_static_selectorELNS0_4arch9wavefront6targetE0EEEvT1_.private_seg_size, 0
	.set _ZN7rocprim17ROCPRIM_400000_NS6detail17trampoline_kernelINS0_14default_configENS1_25partition_config_selectorILNS1_17partition_subalgoE9EllbEEZZNS1_14partition_implILS5_9ELb0ES3_jPlS8_PNS0_10empty_typeENS0_5tupleIJS8_S9_EEENSB_IJS8_SA_EEENS0_18inequality_wrapperIZN2at6native12_GLOBAL__N_124unique_dim_cuda_templateIfEESt5tupleIJNSF_6TensorESK_SK_EERKSK_lbbbEUlllE0_EEPmJS9_EEE10hipError_tPvRmT3_T4_T5_T6_T7_T9_mT8_P12ihipStream_tbDpT10_ENKUlT_T0_E_clISt17integral_constantIbLb0EES1A_EEDaS15_S16_EUlS15_E_NS1_11comp_targetILNS1_3genE2ELNS1_11target_archE906ELNS1_3gpuE6ELNS1_3repE0EEENS1_30default_config_static_selectorELNS0_4arch9wavefront6targetE0EEEvT1_.uses_vcc, 0
	.set _ZN7rocprim17ROCPRIM_400000_NS6detail17trampoline_kernelINS0_14default_configENS1_25partition_config_selectorILNS1_17partition_subalgoE9EllbEEZZNS1_14partition_implILS5_9ELb0ES3_jPlS8_PNS0_10empty_typeENS0_5tupleIJS8_S9_EEENSB_IJS8_SA_EEENS0_18inequality_wrapperIZN2at6native12_GLOBAL__N_124unique_dim_cuda_templateIfEESt5tupleIJNSF_6TensorESK_SK_EERKSK_lbbbEUlllE0_EEPmJS9_EEE10hipError_tPvRmT3_T4_T5_T6_T7_T9_mT8_P12ihipStream_tbDpT10_ENKUlT_T0_E_clISt17integral_constantIbLb0EES1A_EEDaS15_S16_EUlS15_E_NS1_11comp_targetILNS1_3genE2ELNS1_11target_archE906ELNS1_3gpuE6ELNS1_3repE0EEENS1_30default_config_static_selectorELNS0_4arch9wavefront6targetE0EEEvT1_.uses_flat_scratch, 0
	.set _ZN7rocprim17ROCPRIM_400000_NS6detail17trampoline_kernelINS0_14default_configENS1_25partition_config_selectorILNS1_17partition_subalgoE9EllbEEZZNS1_14partition_implILS5_9ELb0ES3_jPlS8_PNS0_10empty_typeENS0_5tupleIJS8_S9_EEENSB_IJS8_SA_EEENS0_18inequality_wrapperIZN2at6native12_GLOBAL__N_124unique_dim_cuda_templateIfEESt5tupleIJNSF_6TensorESK_SK_EERKSK_lbbbEUlllE0_EEPmJS9_EEE10hipError_tPvRmT3_T4_T5_T6_T7_T9_mT8_P12ihipStream_tbDpT10_ENKUlT_T0_E_clISt17integral_constantIbLb0EES1A_EEDaS15_S16_EUlS15_E_NS1_11comp_targetILNS1_3genE2ELNS1_11target_archE906ELNS1_3gpuE6ELNS1_3repE0EEENS1_30default_config_static_selectorELNS0_4arch9wavefront6targetE0EEEvT1_.has_dyn_sized_stack, 0
	.set _ZN7rocprim17ROCPRIM_400000_NS6detail17trampoline_kernelINS0_14default_configENS1_25partition_config_selectorILNS1_17partition_subalgoE9EllbEEZZNS1_14partition_implILS5_9ELb0ES3_jPlS8_PNS0_10empty_typeENS0_5tupleIJS8_S9_EEENSB_IJS8_SA_EEENS0_18inequality_wrapperIZN2at6native12_GLOBAL__N_124unique_dim_cuda_templateIfEESt5tupleIJNSF_6TensorESK_SK_EERKSK_lbbbEUlllE0_EEPmJS9_EEE10hipError_tPvRmT3_T4_T5_T6_T7_T9_mT8_P12ihipStream_tbDpT10_ENKUlT_T0_E_clISt17integral_constantIbLb0EES1A_EEDaS15_S16_EUlS15_E_NS1_11comp_targetILNS1_3genE2ELNS1_11target_archE906ELNS1_3gpuE6ELNS1_3repE0EEENS1_30default_config_static_selectorELNS0_4arch9wavefront6targetE0EEEvT1_.has_recursion, 0
	.set _ZN7rocprim17ROCPRIM_400000_NS6detail17trampoline_kernelINS0_14default_configENS1_25partition_config_selectorILNS1_17partition_subalgoE9EllbEEZZNS1_14partition_implILS5_9ELb0ES3_jPlS8_PNS0_10empty_typeENS0_5tupleIJS8_S9_EEENSB_IJS8_SA_EEENS0_18inequality_wrapperIZN2at6native12_GLOBAL__N_124unique_dim_cuda_templateIfEESt5tupleIJNSF_6TensorESK_SK_EERKSK_lbbbEUlllE0_EEPmJS9_EEE10hipError_tPvRmT3_T4_T5_T6_T7_T9_mT8_P12ihipStream_tbDpT10_ENKUlT_T0_E_clISt17integral_constantIbLb0EES1A_EEDaS15_S16_EUlS15_E_NS1_11comp_targetILNS1_3genE2ELNS1_11target_archE906ELNS1_3gpuE6ELNS1_3repE0EEENS1_30default_config_static_selectorELNS0_4arch9wavefront6targetE0EEEvT1_.has_indirect_call, 0
	.section	.AMDGPU.csdata,"",@progbits
; Kernel info:
; codeLenInByte = 0
; TotalNumSgprs: 0
; NumVgprs: 0
; ScratchSize: 0
; MemoryBound: 0
; FloatMode: 240
; IeeeMode: 1
; LDSByteSize: 0 bytes/workgroup (compile time only)
; SGPRBlocks: 0
; VGPRBlocks: 0
; NumSGPRsForWavesPerEU: 1
; NumVGPRsForWavesPerEU: 1
; NamedBarCnt: 0
; Occupancy: 16
; WaveLimiterHint : 0
; COMPUTE_PGM_RSRC2:SCRATCH_EN: 0
; COMPUTE_PGM_RSRC2:USER_SGPR: 2
; COMPUTE_PGM_RSRC2:TRAP_HANDLER: 0
; COMPUTE_PGM_RSRC2:TGID_X_EN: 1
; COMPUTE_PGM_RSRC2:TGID_Y_EN: 0
; COMPUTE_PGM_RSRC2:TGID_Z_EN: 0
; COMPUTE_PGM_RSRC2:TIDIG_COMP_CNT: 0
	.section	.text._ZN7rocprim17ROCPRIM_400000_NS6detail17trampoline_kernelINS0_14default_configENS1_25partition_config_selectorILNS1_17partition_subalgoE9EllbEEZZNS1_14partition_implILS5_9ELb0ES3_jPlS8_PNS0_10empty_typeENS0_5tupleIJS8_S9_EEENSB_IJS8_SA_EEENS0_18inequality_wrapperIZN2at6native12_GLOBAL__N_124unique_dim_cuda_templateIfEESt5tupleIJNSF_6TensorESK_SK_EERKSK_lbbbEUlllE0_EEPmJS9_EEE10hipError_tPvRmT3_T4_T5_T6_T7_T9_mT8_P12ihipStream_tbDpT10_ENKUlT_T0_E_clISt17integral_constantIbLb0EES1A_EEDaS15_S16_EUlS15_E_NS1_11comp_targetILNS1_3genE10ELNS1_11target_archE1200ELNS1_3gpuE4ELNS1_3repE0EEENS1_30default_config_static_selectorELNS0_4arch9wavefront6targetE0EEEvT1_,"axG",@progbits,_ZN7rocprim17ROCPRIM_400000_NS6detail17trampoline_kernelINS0_14default_configENS1_25partition_config_selectorILNS1_17partition_subalgoE9EllbEEZZNS1_14partition_implILS5_9ELb0ES3_jPlS8_PNS0_10empty_typeENS0_5tupleIJS8_S9_EEENSB_IJS8_SA_EEENS0_18inequality_wrapperIZN2at6native12_GLOBAL__N_124unique_dim_cuda_templateIfEESt5tupleIJNSF_6TensorESK_SK_EERKSK_lbbbEUlllE0_EEPmJS9_EEE10hipError_tPvRmT3_T4_T5_T6_T7_T9_mT8_P12ihipStream_tbDpT10_ENKUlT_T0_E_clISt17integral_constantIbLb0EES1A_EEDaS15_S16_EUlS15_E_NS1_11comp_targetILNS1_3genE10ELNS1_11target_archE1200ELNS1_3gpuE4ELNS1_3repE0EEENS1_30default_config_static_selectorELNS0_4arch9wavefront6targetE0EEEvT1_,comdat
	.globl	_ZN7rocprim17ROCPRIM_400000_NS6detail17trampoline_kernelINS0_14default_configENS1_25partition_config_selectorILNS1_17partition_subalgoE9EllbEEZZNS1_14partition_implILS5_9ELb0ES3_jPlS8_PNS0_10empty_typeENS0_5tupleIJS8_S9_EEENSB_IJS8_SA_EEENS0_18inequality_wrapperIZN2at6native12_GLOBAL__N_124unique_dim_cuda_templateIfEESt5tupleIJNSF_6TensorESK_SK_EERKSK_lbbbEUlllE0_EEPmJS9_EEE10hipError_tPvRmT3_T4_T5_T6_T7_T9_mT8_P12ihipStream_tbDpT10_ENKUlT_T0_E_clISt17integral_constantIbLb0EES1A_EEDaS15_S16_EUlS15_E_NS1_11comp_targetILNS1_3genE10ELNS1_11target_archE1200ELNS1_3gpuE4ELNS1_3repE0EEENS1_30default_config_static_selectorELNS0_4arch9wavefront6targetE0EEEvT1_ ; -- Begin function _ZN7rocprim17ROCPRIM_400000_NS6detail17trampoline_kernelINS0_14default_configENS1_25partition_config_selectorILNS1_17partition_subalgoE9EllbEEZZNS1_14partition_implILS5_9ELb0ES3_jPlS8_PNS0_10empty_typeENS0_5tupleIJS8_S9_EEENSB_IJS8_SA_EEENS0_18inequality_wrapperIZN2at6native12_GLOBAL__N_124unique_dim_cuda_templateIfEESt5tupleIJNSF_6TensorESK_SK_EERKSK_lbbbEUlllE0_EEPmJS9_EEE10hipError_tPvRmT3_T4_T5_T6_T7_T9_mT8_P12ihipStream_tbDpT10_ENKUlT_T0_E_clISt17integral_constantIbLb0EES1A_EEDaS15_S16_EUlS15_E_NS1_11comp_targetILNS1_3genE10ELNS1_11target_archE1200ELNS1_3gpuE4ELNS1_3repE0EEENS1_30default_config_static_selectorELNS0_4arch9wavefront6targetE0EEEvT1_
	.p2align	8
	.type	_ZN7rocprim17ROCPRIM_400000_NS6detail17trampoline_kernelINS0_14default_configENS1_25partition_config_selectorILNS1_17partition_subalgoE9EllbEEZZNS1_14partition_implILS5_9ELb0ES3_jPlS8_PNS0_10empty_typeENS0_5tupleIJS8_S9_EEENSB_IJS8_SA_EEENS0_18inequality_wrapperIZN2at6native12_GLOBAL__N_124unique_dim_cuda_templateIfEESt5tupleIJNSF_6TensorESK_SK_EERKSK_lbbbEUlllE0_EEPmJS9_EEE10hipError_tPvRmT3_T4_T5_T6_T7_T9_mT8_P12ihipStream_tbDpT10_ENKUlT_T0_E_clISt17integral_constantIbLb0EES1A_EEDaS15_S16_EUlS15_E_NS1_11comp_targetILNS1_3genE10ELNS1_11target_archE1200ELNS1_3gpuE4ELNS1_3repE0EEENS1_30default_config_static_selectorELNS0_4arch9wavefront6targetE0EEEvT1_,@function
_ZN7rocprim17ROCPRIM_400000_NS6detail17trampoline_kernelINS0_14default_configENS1_25partition_config_selectorILNS1_17partition_subalgoE9EllbEEZZNS1_14partition_implILS5_9ELb0ES3_jPlS8_PNS0_10empty_typeENS0_5tupleIJS8_S9_EEENSB_IJS8_SA_EEENS0_18inequality_wrapperIZN2at6native12_GLOBAL__N_124unique_dim_cuda_templateIfEESt5tupleIJNSF_6TensorESK_SK_EERKSK_lbbbEUlllE0_EEPmJS9_EEE10hipError_tPvRmT3_T4_T5_T6_T7_T9_mT8_P12ihipStream_tbDpT10_ENKUlT_T0_E_clISt17integral_constantIbLb0EES1A_EEDaS15_S16_EUlS15_E_NS1_11comp_targetILNS1_3genE10ELNS1_11target_archE1200ELNS1_3gpuE4ELNS1_3repE0EEENS1_30default_config_static_selectorELNS0_4arch9wavefront6targetE0EEEvT1_: ; @_ZN7rocprim17ROCPRIM_400000_NS6detail17trampoline_kernelINS0_14default_configENS1_25partition_config_selectorILNS1_17partition_subalgoE9EllbEEZZNS1_14partition_implILS5_9ELb0ES3_jPlS8_PNS0_10empty_typeENS0_5tupleIJS8_S9_EEENSB_IJS8_SA_EEENS0_18inequality_wrapperIZN2at6native12_GLOBAL__N_124unique_dim_cuda_templateIfEESt5tupleIJNSF_6TensorESK_SK_EERKSK_lbbbEUlllE0_EEPmJS9_EEE10hipError_tPvRmT3_T4_T5_T6_T7_T9_mT8_P12ihipStream_tbDpT10_ENKUlT_T0_E_clISt17integral_constantIbLb0EES1A_EEDaS15_S16_EUlS15_E_NS1_11comp_targetILNS1_3genE10ELNS1_11target_archE1200ELNS1_3gpuE4ELNS1_3repE0EEENS1_30default_config_static_selectorELNS0_4arch9wavefront6targetE0EEEvT1_
; %bb.0:
	.section	.rodata,"a",@progbits
	.p2align	6, 0x0
	.amdhsa_kernel _ZN7rocprim17ROCPRIM_400000_NS6detail17trampoline_kernelINS0_14default_configENS1_25partition_config_selectorILNS1_17partition_subalgoE9EllbEEZZNS1_14partition_implILS5_9ELb0ES3_jPlS8_PNS0_10empty_typeENS0_5tupleIJS8_S9_EEENSB_IJS8_SA_EEENS0_18inequality_wrapperIZN2at6native12_GLOBAL__N_124unique_dim_cuda_templateIfEESt5tupleIJNSF_6TensorESK_SK_EERKSK_lbbbEUlllE0_EEPmJS9_EEE10hipError_tPvRmT3_T4_T5_T6_T7_T9_mT8_P12ihipStream_tbDpT10_ENKUlT_T0_E_clISt17integral_constantIbLb0EES1A_EEDaS15_S16_EUlS15_E_NS1_11comp_targetILNS1_3genE10ELNS1_11target_archE1200ELNS1_3gpuE4ELNS1_3repE0EEENS1_30default_config_static_selectorELNS0_4arch9wavefront6targetE0EEEvT1_
		.amdhsa_group_segment_fixed_size 0
		.amdhsa_private_segment_fixed_size 0
		.amdhsa_kernarg_size 120
		.amdhsa_user_sgpr_count 2
		.amdhsa_user_sgpr_dispatch_ptr 0
		.amdhsa_user_sgpr_queue_ptr 0
		.amdhsa_user_sgpr_kernarg_segment_ptr 1
		.amdhsa_user_sgpr_dispatch_id 0
		.amdhsa_user_sgpr_kernarg_preload_length 0
		.amdhsa_user_sgpr_kernarg_preload_offset 0
		.amdhsa_user_sgpr_private_segment_size 0
		.amdhsa_wavefront_size32 1
		.amdhsa_uses_dynamic_stack 0
		.amdhsa_enable_private_segment 0
		.amdhsa_system_sgpr_workgroup_id_x 1
		.amdhsa_system_sgpr_workgroup_id_y 0
		.amdhsa_system_sgpr_workgroup_id_z 0
		.amdhsa_system_sgpr_workgroup_info 0
		.amdhsa_system_vgpr_workitem_id 0
		.amdhsa_next_free_vgpr 1
		.amdhsa_next_free_sgpr 1
		.amdhsa_named_barrier_count 0
		.amdhsa_reserve_vcc 0
		.amdhsa_float_round_mode_32 0
		.amdhsa_float_round_mode_16_64 0
		.amdhsa_float_denorm_mode_32 3
		.amdhsa_float_denorm_mode_16_64 3
		.amdhsa_fp16_overflow 0
		.amdhsa_memory_ordered 1
		.amdhsa_forward_progress 1
		.amdhsa_inst_pref_size 0
		.amdhsa_round_robin_scheduling 0
		.amdhsa_exception_fp_ieee_invalid_op 0
		.amdhsa_exception_fp_denorm_src 0
		.amdhsa_exception_fp_ieee_div_zero 0
		.amdhsa_exception_fp_ieee_overflow 0
		.amdhsa_exception_fp_ieee_underflow 0
		.amdhsa_exception_fp_ieee_inexact 0
		.amdhsa_exception_int_div_zero 0
	.end_amdhsa_kernel
	.section	.text._ZN7rocprim17ROCPRIM_400000_NS6detail17trampoline_kernelINS0_14default_configENS1_25partition_config_selectorILNS1_17partition_subalgoE9EllbEEZZNS1_14partition_implILS5_9ELb0ES3_jPlS8_PNS0_10empty_typeENS0_5tupleIJS8_S9_EEENSB_IJS8_SA_EEENS0_18inequality_wrapperIZN2at6native12_GLOBAL__N_124unique_dim_cuda_templateIfEESt5tupleIJNSF_6TensorESK_SK_EERKSK_lbbbEUlllE0_EEPmJS9_EEE10hipError_tPvRmT3_T4_T5_T6_T7_T9_mT8_P12ihipStream_tbDpT10_ENKUlT_T0_E_clISt17integral_constantIbLb0EES1A_EEDaS15_S16_EUlS15_E_NS1_11comp_targetILNS1_3genE10ELNS1_11target_archE1200ELNS1_3gpuE4ELNS1_3repE0EEENS1_30default_config_static_selectorELNS0_4arch9wavefront6targetE0EEEvT1_,"axG",@progbits,_ZN7rocprim17ROCPRIM_400000_NS6detail17trampoline_kernelINS0_14default_configENS1_25partition_config_selectorILNS1_17partition_subalgoE9EllbEEZZNS1_14partition_implILS5_9ELb0ES3_jPlS8_PNS0_10empty_typeENS0_5tupleIJS8_S9_EEENSB_IJS8_SA_EEENS0_18inequality_wrapperIZN2at6native12_GLOBAL__N_124unique_dim_cuda_templateIfEESt5tupleIJNSF_6TensorESK_SK_EERKSK_lbbbEUlllE0_EEPmJS9_EEE10hipError_tPvRmT3_T4_T5_T6_T7_T9_mT8_P12ihipStream_tbDpT10_ENKUlT_T0_E_clISt17integral_constantIbLb0EES1A_EEDaS15_S16_EUlS15_E_NS1_11comp_targetILNS1_3genE10ELNS1_11target_archE1200ELNS1_3gpuE4ELNS1_3repE0EEENS1_30default_config_static_selectorELNS0_4arch9wavefront6targetE0EEEvT1_,comdat
.Lfunc_end966:
	.size	_ZN7rocprim17ROCPRIM_400000_NS6detail17trampoline_kernelINS0_14default_configENS1_25partition_config_selectorILNS1_17partition_subalgoE9EllbEEZZNS1_14partition_implILS5_9ELb0ES3_jPlS8_PNS0_10empty_typeENS0_5tupleIJS8_S9_EEENSB_IJS8_SA_EEENS0_18inequality_wrapperIZN2at6native12_GLOBAL__N_124unique_dim_cuda_templateIfEESt5tupleIJNSF_6TensorESK_SK_EERKSK_lbbbEUlllE0_EEPmJS9_EEE10hipError_tPvRmT3_T4_T5_T6_T7_T9_mT8_P12ihipStream_tbDpT10_ENKUlT_T0_E_clISt17integral_constantIbLb0EES1A_EEDaS15_S16_EUlS15_E_NS1_11comp_targetILNS1_3genE10ELNS1_11target_archE1200ELNS1_3gpuE4ELNS1_3repE0EEENS1_30default_config_static_selectorELNS0_4arch9wavefront6targetE0EEEvT1_, .Lfunc_end966-_ZN7rocprim17ROCPRIM_400000_NS6detail17trampoline_kernelINS0_14default_configENS1_25partition_config_selectorILNS1_17partition_subalgoE9EllbEEZZNS1_14partition_implILS5_9ELb0ES3_jPlS8_PNS0_10empty_typeENS0_5tupleIJS8_S9_EEENSB_IJS8_SA_EEENS0_18inequality_wrapperIZN2at6native12_GLOBAL__N_124unique_dim_cuda_templateIfEESt5tupleIJNSF_6TensorESK_SK_EERKSK_lbbbEUlllE0_EEPmJS9_EEE10hipError_tPvRmT3_T4_T5_T6_T7_T9_mT8_P12ihipStream_tbDpT10_ENKUlT_T0_E_clISt17integral_constantIbLb0EES1A_EEDaS15_S16_EUlS15_E_NS1_11comp_targetILNS1_3genE10ELNS1_11target_archE1200ELNS1_3gpuE4ELNS1_3repE0EEENS1_30default_config_static_selectorELNS0_4arch9wavefront6targetE0EEEvT1_
                                        ; -- End function
	.set _ZN7rocprim17ROCPRIM_400000_NS6detail17trampoline_kernelINS0_14default_configENS1_25partition_config_selectorILNS1_17partition_subalgoE9EllbEEZZNS1_14partition_implILS5_9ELb0ES3_jPlS8_PNS0_10empty_typeENS0_5tupleIJS8_S9_EEENSB_IJS8_SA_EEENS0_18inequality_wrapperIZN2at6native12_GLOBAL__N_124unique_dim_cuda_templateIfEESt5tupleIJNSF_6TensorESK_SK_EERKSK_lbbbEUlllE0_EEPmJS9_EEE10hipError_tPvRmT3_T4_T5_T6_T7_T9_mT8_P12ihipStream_tbDpT10_ENKUlT_T0_E_clISt17integral_constantIbLb0EES1A_EEDaS15_S16_EUlS15_E_NS1_11comp_targetILNS1_3genE10ELNS1_11target_archE1200ELNS1_3gpuE4ELNS1_3repE0EEENS1_30default_config_static_selectorELNS0_4arch9wavefront6targetE0EEEvT1_.num_vgpr, 0
	.set _ZN7rocprim17ROCPRIM_400000_NS6detail17trampoline_kernelINS0_14default_configENS1_25partition_config_selectorILNS1_17partition_subalgoE9EllbEEZZNS1_14partition_implILS5_9ELb0ES3_jPlS8_PNS0_10empty_typeENS0_5tupleIJS8_S9_EEENSB_IJS8_SA_EEENS0_18inequality_wrapperIZN2at6native12_GLOBAL__N_124unique_dim_cuda_templateIfEESt5tupleIJNSF_6TensorESK_SK_EERKSK_lbbbEUlllE0_EEPmJS9_EEE10hipError_tPvRmT3_T4_T5_T6_T7_T9_mT8_P12ihipStream_tbDpT10_ENKUlT_T0_E_clISt17integral_constantIbLb0EES1A_EEDaS15_S16_EUlS15_E_NS1_11comp_targetILNS1_3genE10ELNS1_11target_archE1200ELNS1_3gpuE4ELNS1_3repE0EEENS1_30default_config_static_selectorELNS0_4arch9wavefront6targetE0EEEvT1_.num_agpr, 0
	.set _ZN7rocprim17ROCPRIM_400000_NS6detail17trampoline_kernelINS0_14default_configENS1_25partition_config_selectorILNS1_17partition_subalgoE9EllbEEZZNS1_14partition_implILS5_9ELb0ES3_jPlS8_PNS0_10empty_typeENS0_5tupleIJS8_S9_EEENSB_IJS8_SA_EEENS0_18inequality_wrapperIZN2at6native12_GLOBAL__N_124unique_dim_cuda_templateIfEESt5tupleIJNSF_6TensorESK_SK_EERKSK_lbbbEUlllE0_EEPmJS9_EEE10hipError_tPvRmT3_T4_T5_T6_T7_T9_mT8_P12ihipStream_tbDpT10_ENKUlT_T0_E_clISt17integral_constantIbLb0EES1A_EEDaS15_S16_EUlS15_E_NS1_11comp_targetILNS1_3genE10ELNS1_11target_archE1200ELNS1_3gpuE4ELNS1_3repE0EEENS1_30default_config_static_selectorELNS0_4arch9wavefront6targetE0EEEvT1_.numbered_sgpr, 0
	.set _ZN7rocprim17ROCPRIM_400000_NS6detail17trampoline_kernelINS0_14default_configENS1_25partition_config_selectorILNS1_17partition_subalgoE9EllbEEZZNS1_14partition_implILS5_9ELb0ES3_jPlS8_PNS0_10empty_typeENS0_5tupleIJS8_S9_EEENSB_IJS8_SA_EEENS0_18inequality_wrapperIZN2at6native12_GLOBAL__N_124unique_dim_cuda_templateIfEESt5tupleIJNSF_6TensorESK_SK_EERKSK_lbbbEUlllE0_EEPmJS9_EEE10hipError_tPvRmT3_T4_T5_T6_T7_T9_mT8_P12ihipStream_tbDpT10_ENKUlT_T0_E_clISt17integral_constantIbLb0EES1A_EEDaS15_S16_EUlS15_E_NS1_11comp_targetILNS1_3genE10ELNS1_11target_archE1200ELNS1_3gpuE4ELNS1_3repE0EEENS1_30default_config_static_selectorELNS0_4arch9wavefront6targetE0EEEvT1_.num_named_barrier, 0
	.set _ZN7rocprim17ROCPRIM_400000_NS6detail17trampoline_kernelINS0_14default_configENS1_25partition_config_selectorILNS1_17partition_subalgoE9EllbEEZZNS1_14partition_implILS5_9ELb0ES3_jPlS8_PNS0_10empty_typeENS0_5tupleIJS8_S9_EEENSB_IJS8_SA_EEENS0_18inequality_wrapperIZN2at6native12_GLOBAL__N_124unique_dim_cuda_templateIfEESt5tupleIJNSF_6TensorESK_SK_EERKSK_lbbbEUlllE0_EEPmJS9_EEE10hipError_tPvRmT3_T4_T5_T6_T7_T9_mT8_P12ihipStream_tbDpT10_ENKUlT_T0_E_clISt17integral_constantIbLb0EES1A_EEDaS15_S16_EUlS15_E_NS1_11comp_targetILNS1_3genE10ELNS1_11target_archE1200ELNS1_3gpuE4ELNS1_3repE0EEENS1_30default_config_static_selectorELNS0_4arch9wavefront6targetE0EEEvT1_.private_seg_size, 0
	.set _ZN7rocprim17ROCPRIM_400000_NS6detail17trampoline_kernelINS0_14default_configENS1_25partition_config_selectorILNS1_17partition_subalgoE9EllbEEZZNS1_14partition_implILS5_9ELb0ES3_jPlS8_PNS0_10empty_typeENS0_5tupleIJS8_S9_EEENSB_IJS8_SA_EEENS0_18inequality_wrapperIZN2at6native12_GLOBAL__N_124unique_dim_cuda_templateIfEESt5tupleIJNSF_6TensorESK_SK_EERKSK_lbbbEUlllE0_EEPmJS9_EEE10hipError_tPvRmT3_T4_T5_T6_T7_T9_mT8_P12ihipStream_tbDpT10_ENKUlT_T0_E_clISt17integral_constantIbLb0EES1A_EEDaS15_S16_EUlS15_E_NS1_11comp_targetILNS1_3genE10ELNS1_11target_archE1200ELNS1_3gpuE4ELNS1_3repE0EEENS1_30default_config_static_selectorELNS0_4arch9wavefront6targetE0EEEvT1_.uses_vcc, 0
	.set _ZN7rocprim17ROCPRIM_400000_NS6detail17trampoline_kernelINS0_14default_configENS1_25partition_config_selectorILNS1_17partition_subalgoE9EllbEEZZNS1_14partition_implILS5_9ELb0ES3_jPlS8_PNS0_10empty_typeENS0_5tupleIJS8_S9_EEENSB_IJS8_SA_EEENS0_18inequality_wrapperIZN2at6native12_GLOBAL__N_124unique_dim_cuda_templateIfEESt5tupleIJNSF_6TensorESK_SK_EERKSK_lbbbEUlllE0_EEPmJS9_EEE10hipError_tPvRmT3_T4_T5_T6_T7_T9_mT8_P12ihipStream_tbDpT10_ENKUlT_T0_E_clISt17integral_constantIbLb0EES1A_EEDaS15_S16_EUlS15_E_NS1_11comp_targetILNS1_3genE10ELNS1_11target_archE1200ELNS1_3gpuE4ELNS1_3repE0EEENS1_30default_config_static_selectorELNS0_4arch9wavefront6targetE0EEEvT1_.uses_flat_scratch, 0
	.set _ZN7rocprim17ROCPRIM_400000_NS6detail17trampoline_kernelINS0_14default_configENS1_25partition_config_selectorILNS1_17partition_subalgoE9EllbEEZZNS1_14partition_implILS5_9ELb0ES3_jPlS8_PNS0_10empty_typeENS0_5tupleIJS8_S9_EEENSB_IJS8_SA_EEENS0_18inequality_wrapperIZN2at6native12_GLOBAL__N_124unique_dim_cuda_templateIfEESt5tupleIJNSF_6TensorESK_SK_EERKSK_lbbbEUlllE0_EEPmJS9_EEE10hipError_tPvRmT3_T4_T5_T6_T7_T9_mT8_P12ihipStream_tbDpT10_ENKUlT_T0_E_clISt17integral_constantIbLb0EES1A_EEDaS15_S16_EUlS15_E_NS1_11comp_targetILNS1_3genE10ELNS1_11target_archE1200ELNS1_3gpuE4ELNS1_3repE0EEENS1_30default_config_static_selectorELNS0_4arch9wavefront6targetE0EEEvT1_.has_dyn_sized_stack, 0
	.set _ZN7rocprim17ROCPRIM_400000_NS6detail17trampoline_kernelINS0_14default_configENS1_25partition_config_selectorILNS1_17partition_subalgoE9EllbEEZZNS1_14partition_implILS5_9ELb0ES3_jPlS8_PNS0_10empty_typeENS0_5tupleIJS8_S9_EEENSB_IJS8_SA_EEENS0_18inequality_wrapperIZN2at6native12_GLOBAL__N_124unique_dim_cuda_templateIfEESt5tupleIJNSF_6TensorESK_SK_EERKSK_lbbbEUlllE0_EEPmJS9_EEE10hipError_tPvRmT3_T4_T5_T6_T7_T9_mT8_P12ihipStream_tbDpT10_ENKUlT_T0_E_clISt17integral_constantIbLb0EES1A_EEDaS15_S16_EUlS15_E_NS1_11comp_targetILNS1_3genE10ELNS1_11target_archE1200ELNS1_3gpuE4ELNS1_3repE0EEENS1_30default_config_static_selectorELNS0_4arch9wavefront6targetE0EEEvT1_.has_recursion, 0
	.set _ZN7rocprim17ROCPRIM_400000_NS6detail17trampoline_kernelINS0_14default_configENS1_25partition_config_selectorILNS1_17partition_subalgoE9EllbEEZZNS1_14partition_implILS5_9ELb0ES3_jPlS8_PNS0_10empty_typeENS0_5tupleIJS8_S9_EEENSB_IJS8_SA_EEENS0_18inequality_wrapperIZN2at6native12_GLOBAL__N_124unique_dim_cuda_templateIfEESt5tupleIJNSF_6TensorESK_SK_EERKSK_lbbbEUlllE0_EEPmJS9_EEE10hipError_tPvRmT3_T4_T5_T6_T7_T9_mT8_P12ihipStream_tbDpT10_ENKUlT_T0_E_clISt17integral_constantIbLb0EES1A_EEDaS15_S16_EUlS15_E_NS1_11comp_targetILNS1_3genE10ELNS1_11target_archE1200ELNS1_3gpuE4ELNS1_3repE0EEENS1_30default_config_static_selectorELNS0_4arch9wavefront6targetE0EEEvT1_.has_indirect_call, 0
	.section	.AMDGPU.csdata,"",@progbits
; Kernel info:
; codeLenInByte = 0
; TotalNumSgprs: 0
; NumVgprs: 0
; ScratchSize: 0
; MemoryBound: 0
; FloatMode: 240
; IeeeMode: 1
; LDSByteSize: 0 bytes/workgroup (compile time only)
; SGPRBlocks: 0
; VGPRBlocks: 0
; NumSGPRsForWavesPerEU: 1
; NumVGPRsForWavesPerEU: 1
; NamedBarCnt: 0
; Occupancy: 16
; WaveLimiterHint : 0
; COMPUTE_PGM_RSRC2:SCRATCH_EN: 0
; COMPUTE_PGM_RSRC2:USER_SGPR: 2
; COMPUTE_PGM_RSRC2:TRAP_HANDLER: 0
; COMPUTE_PGM_RSRC2:TGID_X_EN: 1
; COMPUTE_PGM_RSRC2:TGID_Y_EN: 0
; COMPUTE_PGM_RSRC2:TGID_Z_EN: 0
; COMPUTE_PGM_RSRC2:TIDIG_COMP_CNT: 0
	.section	.text._ZN7rocprim17ROCPRIM_400000_NS6detail17trampoline_kernelINS0_14default_configENS1_25partition_config_selectorILNS1_17partition_subalgoE9EllbEEZZNS1_14partition_implILS5_9ELb0ES3_jPlS8_PNS0_10empty_typeENS0_5tupleIJS8_S9_EEENSB_IJS8_SA_EEENS0_18inequality_wrapperIZN2at6native12_GLOBAL__N_124unique_dim_cuda_templateIfEESt5tupleIJNSF_6TensorESK_SK_EERKSK_lbbbEUlllE0_EEPmJS9_EEE10hipError_tPvRmT3_T4_T5_T6_T7_T9_mT8_P12ihipStream_tbDpT10_ENKUlT_T0_E_clISt17integral_constantIbLb0EES1A_EEDaS15_S16_EUlS15_E_NS1_11comp_targetILNS1_3genE9ELNS1_11target_archE1100ELNS1_3gpuE3ELNS1_3repE0EEENS1_30default_config_static_selectorELNS0_4arch9wavefront6targetE0EEEvT1_,"axG",@progbits,_ZN7rocprim17ROCPRIM_400000_NS6detail17trampoline_kernelINS0_14default_configENS1_25partition_config_selectorILNS1_17partition_subalgoE9EllbEEZZNS1_14partition_implILS5_9ELb0ES3_jPlS8_PNS0_10empty_typeENS0_5tupleIJS8_S9_EEENSB_IJS8_SA_EEENS0_18inequality_wrapperIZN2at6native12_GLOBAL__N_124unique_dim_cuda_templateIfEESt5tupleIJNSF_6TensorESK_SK_EERKSK_lbbbEUlllE0_EEPmJS9_EEE10hipError_tPvRmT3_T4_T5_T6_T7_T9_mT8_P12ihipStream_tbDpT10_ENKUlT_T0_E_clISt17integral_constantIbLb0EES1A_EEDaS15_S16_EUlS15_E_NS1_11comp_targetILNS1_3genE9ELNS1_11target_archE1100ELNS1_3gpuE3ELNS1_3repE0EEENS1_30default_config_static_selectorELNS0_4arch9wavefront6targetE0EEEvT1_,comdat
	.globl	_ZN7rocprim17ROCPRIM_400000_NS6detail17trampoline_kernelINS0_14default_configENS1_25partition_config_selectorILNS1_17partition_subalgoE9EllbEEZZNS1_14partition_implILS5_9ELb0ES3_jPlS8_PNS0_10empty_typeENS0_5tupleIJS8_S9_EEENSB_IJS8_SA_EEENS0_18inequality_wrapperIZN2at6native12_GLOBAL__N_124unique_dim_cuda_templateIfEESt5tupleIJNSF_6TensorESK_SK_EERKSK_lbbbEUlllE0_EEPmJS9_EEE10hipError_tPvRmT3_T4_T5_T6_T7_T9_mT8_P12ihipStream_tbDpT10_ENKUlT_T0_E_clISt17integral_constantIbLb0EES1A_EEDaS15_S16_EUlS15_E_NS1_11comp_targetILNS1_3genE9ELNS1_11target_archE1100ELNS1_3gpuE3ELNS1_3repE0EEENS1_30default_config_static_selectorELNS0_4arch9wavefront6targetE0EEEvT1_ ; -- Begin function _ZN7rocprim17ROCPRIM_400000_NS6detail17trampoline_kernelINS0_14default_configENS1_25partition_config_selectorILNS1_17partition_subalgoE9EllbEEZZNS1_14partition_implILS5_9ELb0ES3_jPlS8_PNS0_10empty_typeENS0_5tupleIJS8_S9_EEENSB_IJS8_SA_EEENS0_18inequality_wrapperIZN2at6native12_GLOBAL__N_124unique_dim_cuda_templateIfEESt5tupleIJNSF_6TensorESK_SK_EERKSK_lbbbEUlllE0_EEPmJS9_EEE10hipError_tPvRmT3_T4_T5_T6_T7_T9_mT8_P12ihipStream_tbDpT10_ENKUlT_T0_E_clISt17integral_constantIbLb0EES1A_EEDaS15_S16_EUlS15_E_NS1_11comp_targetILNS1_3genE9ELNS1_11target_archE1100ELNS1_3gpuE3ELNS1_3repE0EEENS1_30default_config_static_selectorELNS0_4arch9wavefront6targetE0EEEvT1_
	.p2align	8
	.type	_ZN7rocprim17ROCPRIM_400000_NS6detail17trampoline_kernelINS0_14default_configENS1_25partition_config_selectorILNS1_17partition_subalgoE9EllbEEZZNS1_14partition_implILS5_9ELb0ES3_jPlS8_PNS0_10empty_typeENS0_5tupleIJS8_S9_EEENSB_IJS8_SA_EEENS0_18inequality_wrapperIZN2at6native12_GLOBAL__N_124unique_dim_cuda_templateIfEESt5tupleIJNSF_6TensorESK_SK_EERKSK_lbbbEUlllE0_EEPmJS9_EEE10hipError_tPvRmT3_T4_T5_T6_T7_T9_mT8_P12ihipStream_tbDpT10_ENKUlT_T0_E_clISt17integral_constantIbLb0EES1A_EEDaS15_S16_EUlS15_E_NS1_11comp_targetILNS1_3genE9ELNS1_11target_archE1100ELNS1_3gpuE3ELNS1_3repE0EEENS1_30default_config_static_selectorELNS0_4arch9wavefront6targetE0EEEvT1_,@function
_ZN7rocprim17ROCPRIM_400000_NS6detail17trampoline_kernelINS0_14default_configENS1_25partition_config_selectorILNS1_17partition_subalgoE9EllbEEZZNS1_14partition_implILS5_9ELb0ES3_jPlS8_PNS0_10empty_typeENS0_5tupleIJS8_S9_EEENSB_IJS8_SA_EEENS0_18inequality_wrapperIZN2at6native12_GLOBAL__N_124unique_dim_cuda_templateIfEESt5tupleIJNSF_6TensorESK_SK_EERKSK_lbbbEUlllE0_EEPmJS9_EEE10hipError_tPvRmT3_T4_T5_T6_T7_T9_mT8_P12ihipStream_tbDpT10_ENKUlT_T0_E_clISt17integral_constantIbLb0EES1A_EEDaS15_S16_EUlS15_E_NS1_11comp_targetILNS1_3genE9ELNS1_11target_archE1100ELNS1_3gpuE3ELNS1_3repE0EEENS1_30default_config_static_selectorELNS0_4arch9wavefront6targetE0EEEvT1_: ; @_ZN7rocprim17ROCPRIM_400000_NS6detail17trampoline_kernelINS0_14default_configENS1_25partition_config_selectorILNS1_17partition_subalgoE9EllbEEZZNS1_14partition_implILS5_9ELb0ES3_jPlS8_PNS0_10empty_typeENS0_5tupleIJS8_S9_EEENSB_IJS8_SA_EEENS0_18inequality_wrapperIZN2at6native12_GLOBAL__N_124unique_dim_cuda_templateIfEESt5tupleIJNSF_6TensorESK_SK_EERKSK_lbbbEUlllE0_EEPmJS9_EEE10hipError_tPvRmT3_T4_T5_T6_T7_T9_mT8_P12ihipStream_tbDpT10_ENKUlT_T0_E_clISt17integral_constantIbLb0EES1A_EEDaS15_S16_EUlS15_E_NS1_11comp_targetILNS1_3genE9ELNS1_11target_archE1100ELNS1_3gpuE3ELNS1_3repE0EEENS1_30default_config_static_selectorELNS0_4arch9wavefront6targetE0EEEvT1_
; %bb.0:
	.section	.rodata,"a",@progbits
	.p2align	6, 0x0
	.amdhsa_kernel _ZN7rocprim17ROCPRIM_400000_NS6detail17trampoline_kernelINS0_14default_configENS1_25partition_config_selectorILNS1_17partition_subalgoE9EllbEEZZNS1_14partition_implILS5_9ELb0ES3_jPlS8_PNS0_10empty_typeENS0_5tupleIJS8_S9_EEENSB_IJS8_SA_EEENS0_18inequality_wrapperIZN2at6native12_GLOBAL__N_124unique_dim_cuda_templateIfEESt5tupleIJNSF_6TensorESK_SK_EERKSK_lbbbEUlllE0_EEPmJS9_EEE10hipError_tPvRmT3_T4_T5_T6_T7_T9_mT8_P12ihipStream_tbDpT10_ENKUlT_T0_E_clISt17integral_constantIbLb0EES1A_EEDaS15_S16_EUlS15_E_NS1_11comp_targetILNS1_3genE9ELNS1_11target_archE1100ELNS1_3gpuE3ELNS1_3repE0EEENS1_30default_config_static_selectorELNS0_4arch9wavefront6targetE0EEEvT1_
		.amdhsa_group_segment_fixed_size 0
		.amdhsa_private_segment_fixed_size 0
		.amdhsa_kernarg_size 120
		.amdhsa_user_sgpr_count 2
		.amdhsa_user_sgpr_dispatch_ptr 0
		.amdhsa_user_sgpr_queue_ptr 0
		.amdhsa_user_sgpr_kernarg_segment_ptr 1
		.amdhsa_user_sgpr_dispatch_id 0
		.amdhsa_user_sgpr_kernarg_preload_length 0
		.amdhsa_user_sgpr_kernarg_preload_offset 0
		.amdhsa_user_sgpr_private_segment_size 0
		.amdhsa_wavefront_size32 1
		.amdhsa_uses_dynamic_stack 0
		.amdhsa_enable_private_segment 0
		.amdhsa_system_sgpr_workgroup_id_x 1
		.amdhsa_system_sgpr_workgroup_id_y 0
		.amdhsa_system_sgpr_workgroup_id_z 0
		.amdhsa_system_sgpr_workgroup_info 0
		.amdhsa_system_vgpr_workitem_id 0
		.amdhsa_next_free_vgpr 1
		.amdhsa_next_free_sgpr 1
		.amdhsa_named_barrier_count 0
		.amdhsa_reserve_vcc 0
		.amdhsa_float_round_mode_32 0
		.amdhsa_float_round_mode_16_64 0
		.amdhsa_float_denorm_mode_32 3
		.amdhsa_float_denorm_mode_16_64 3
		.amdhsa_fp16_overflow 0
		.amdhsa_memory_ordered 1
		.amdhsa_forward_progress 1
		.amdhsa_inst_pref_size 0
		.amdhsa_round_robin_scheduling 0
		.amdhsa_exception_fp_ieee_invalid_op 0
		.amdhsa_exception_fp_denorm_src 0
		.amdhsa_exception_fp_ieee_div_zero 0
		.amdhsa_exception_fp_ieee_overflow 0
		.amdhsa_exception_fp_ieee_underflow 0
		.amdhsa_exception_fp_ieee_inexact 0
		.amdhsa_exception_int_div_zero 0
	.end_amdhsa_kernel
	.section	.text._ZN7rocprim17ROCPRIM_400000_NS6detail17trampoline_kernelINS0_14default_configENS1_25partition_config_selectorILNS1_17partition_subalgoE9EllbEEZZNS1_14partition_implILS5_9ELb0ES3_jPlS8_PNS0_10empty_typeENS0_5tupleIJS8_S9_EEENSB_IJS8_SA_EEENS0_18inequality_wrapperIZN2at6native12_GLOBAL__N_124unique_dim_cuda_templateIfEESt5tupleIJNSF_6TensorESK_SK_EERKSK_lbbbEUlllE0_EEPmJS9_EEE10hipError_tPvRmT3_T4_T5_T6_T7_T9_mT8_P12ihipStream_tbDpT10_ENKUlT_T0_E_clISt17integral_constantIbLb0EES1A_EEDaS15_S16_EUlS15_E_NS1_11comp_targetILNS1_3genE9ELNS1_11target_archE1100ELNS1_3gpuE3ELNS1_3repE0EEENS1_30default_config_static_selectorELNS0_4arch9wavefront6targetE0EEEvT1_,"axG",@progbits,_ZN7rocprim17ROCPRIM_400000_NS6detail17trampoline_kernelINS0_14default_configENS1_25partition_config_selectorILNS1_17partition_subalgoE9EllbEEZZNS1_14partition_implILS5_9ELb0ES3_jPlS8_PNS0_10empty_typeENS0_5tupleIJS8_S9_EEENSB_IJS8_SA_EEENS0_18inequality_wrapperIZN2at6native12_GLOBAL__N_124unique_dim_cuda_templateIfEESt5tupleIJNSF_6TensorESK_SK_EERKSK_lbbbEUlllE0_EEPmJS9_EEE10hipError_tPvRmT3_T4_T5_T6_T7_T9_mT8_P12ihipStream_tbDpT10_ENKUlT_T0_E_clISt17integral_constantIbLb0EES1A_EEDaS15_S16_EUlS15_E_NS1_11comp_targetILNS1_3genE9ELNS1_11target_archE1100ELNS1_3gpuE3ELNS1_3repE0EEENS1_30default_config_static_selectorELNS0_4arch9wavefront6targetE0EEEvT1_,comdat
.Lfunc_end967:
	.size	_ZN7rocprim17ROCPRIM_400000_NS6detail17trampoline_kernelINS0_14default_configENS1_25partition_config_selectorILNS1_17partition_subalgoE9EllbEEZZNS1_14partition_implILS5_9ELb0ES3_jPlS8_PNS0_10empty_typeENS0_5tupleIJS8_S9_EEENSB_IJS8_SA_EEENS0_18inequality_wrapperIZN2at6native12_GLOBAL__N_124unique_dim_cuda_templateIfEESt5tupleIJNSF_6TensorESK_SK_EERKSK_lbbbEUlllE0_EEPmJS9_EEE10hipError_tPvRmT3_T4_T5_T6_T7_T9_mT8_P12ihipStream_tbDpT10_ENKUlT_T0_E_clISt17integral_constantIbLb0EES1A_EEDaS15_S16_EUlS15_E_NS1_11comp_targetILNS1_3genE9ELNS1_11target_archE1100ELNS1_3gpuE3ELNS1_3repE0EEENS1_30default_config_static_selectorELNS0_4arch9wavefront6targetE0EEEvT1_, .Lfunc_end967-_ZN7rocprim17ROCPRIM_400000_NS6detail17trampoline_kernelINS0_14default_configENS1_25partition_config_selectorILNS1_17partition_subalgoE9EllbEEZZNS1_14partition_implILS5_9ELb0ES3_jPlS8_PNS0_10empty_typeENS0_5tupleIJS8_S9_EEENSB_IJS8_SA_EEENS0_18inequality_wrapperIZN2at6native12_GLOBAL__N_124unique_dim_cuda_templateIfEESt5tupleIJNSF_6TensorESK_SK_EERKSK_lbbbEUlllE0_EEPmJS9_EEE10hipError_tPvRmT3_T4_T5_T6_T7_T9_mT8_P12ihipStream_tbDpT10_ENKUlT_T0_E_clISt17integral_constantIbLb0EES1A_EEDaS15_S16_EUlS15_E_NS1_11comp_targetILNS1_3genE9ELNS1_11target_archE1100ELNS1_3gpuE3ELNS1_3repE0EEENS1_30default_config_static_selectorELNS0_4arch9wavefront6targetE0EEEvT1_
                                        ; -- End function
	.set _ZN7rocprim17ROCPRIM_400000_NS6detail17trampoline_kernelINS0_14default_configENS1_25partition_config_selectorILNS1_17partition_subalgoE9EllbEEZZNS1_14partition_implILS5_9ELb0ES3_jPlS8_PNS0_10empty_typeENS0_5tupleIJS8_S9_EEENSB_IJS8_SA_EEENS0_18inequality_wrapperIZN2at6native12_GLOBAL__N_124unique_dim_cuda_templateIfEESt5tupleIJNSF_6TensorESK_SK_EERKSK_lbbbEUlllE0_EEPmJS9_EEE10hipError_tPvRmT3_T4_T5_T6_T7_T9_mT8_P12ihipStream_tbDpT10_ENKUlT_T0_E_clISt17integral_constantIbLb0EES1A_EEDaS15_S16_EUlS15_E_NS1_11comp_targetILNS1_3genE9ELNS1_11target_archE1100ELNS1_3gpuE3ELNS1_3repE0EEENS1_30default_config_static_selectorELNS0_4arch9wavefront6targetE0EEEvT1_.num_vgpr, 0
	.set _ZN7rocprim17ROCPRIM_400000_NS6detail17trampoline_kernelINS0_14default_configENS1_25partition_config_selectorILNS1_17partition_subalgoE9EllbEEZZNS1_14partition_implILS5_9ELb0ES3_jPlS8_PNS0_10empty_typeENS0_5tupleIJS8_S9_EEENSB_IJS8_SA_EEENS0_18inequality_wrapperIZN2at6native12_GLOBAL__N_124unique_dim_cuda_templateIfEESt5tupleIJNSF_6TensorESK_SK_EERKSK_lbbbEUlllE0_EEPmJS9_EEE10hipError_tPvRmT3_T4_T5_T6_T7_T9_mT8_P12ihipStream_tbDpT10_ENKUlT_T0_E_clISt17integral_constantIbLb0EES1A_EEDaS15_S16_EUlS15_E_NS1_11comp_targetILNS1_3genE9ELNS1_11target_archE1100ELNS1_3gpuE3ELNS1_3repE0EEENS1_30default_config_static_selectorELNS0_4arch9wavefront6targetE0EEEvT1_.num_agpr, 0
	.set _ZN7rocprim17ROCPRIM_400000_NS6detail17trampoline_kernelINS0_14default_configENS1_25partition_config_selectorILNS1_17partition_subalgoE9EllbEEZZNS1_14partition_implILS5_9ELb0ES3_jPlS8_PNS0_10empty_typeENS0_5tupleIJS8_S9_EEENSB_IJS8_SA_EEENS0_18inequality_wrapperIZN2at6native12_GLOBAL__N_124unique_dim_cuda_templateIfEESt5tupleIJNSF_6TensorESK_SK_EERKSK_lbbbEUlllE0_EEPmJS9_EEE10hipError_tPvRmT3_T4_T5_T6_T7_T9_mT8_P12ihipStream_tbDpT10_ENKUlT_T0_E_clISt17integral_constantIbLb0EES1A_EEDaS15_S16_EUlS15_E_NS1_11comp_targetILNS1_3genE9ELNS1_11target_archE1100ELNS1_3gpuE3ELNS1_3repE0EEENS1_30default_config_static_selectorELNS0_4arch9wavefront6targetE0EEEvT1_.numbered_sgpr, 0
	.set _ZN7rocprim17ROCPRIM_400000_NS6detail17trampoline_kernelINS0_14default_configENS1_25partition_config_selectorILNS1_17partition_subalgoE9EllbEEZZNS1_14partition_implILS5_9ELb0ES3_jPlS8_PNS0_10empty_typeENS0_5tupleIJS8_S9_EEENSB_IJS8_SA_EEENS0_18inequality_wrapperIZN2at6native12_GLOBAL__N_124unique_dim_cuda_templateIfEESt5tupleIJNSF_6TensorESK_SK_EERKSK_lbbbEUlllE0_EEPmJS9_EEE10hipError_tPvRmT3_T4_T5_T6_T7_T9_mT8_P12ihipStream_tbDpT10_ENKUlT_T0_E_clISt17integral_constantIbLb0EES1A_EEDaS15_S16_EUlS15_E_NS1_11comp_targetILNS1_3genE9ELNS1_11target_archE1100ELNS1_3gpuE3ELNS1_3repE0EEENS1_30default_config_static_selectorELNS0_4arch9wavefront6targetE0EEEvT1_.num_named_barrier, 0
	.set _ZN7rocprim17ROCPRIM_400000_NS6detail17trampoline_kernelINS0_14default_configENS1_25partition_config_selectorILNS1_17partition_subalgoE9EllbEEZZNS1_14partition_implILS5_9ELb0ES3_jPlS8_PNS0_10empty_typeENS0_5tupleIJS8_S9_EEENSB_IJS8_SA_EEENS0_18inequality_wrapperIZN2at6native12_GLOBAL__N_124unique_dim_cuda_templateIfEESt5tupleIJNSF_6TensorESK_SK_EERKSK_lbbbEUlllE0_EEPmJS9_EEE10hipError_tPvRmT3_T4_T5_T6_T7_T9_mT8_P12ihipStream_tbDpT10_ENKUlT_T0_E_clISt17integral_constantIbLb0EES1A_EEDaS15_S16_EUlS15_E_NS1_11comp_targetILNS1_3genE9ELNS1_11target_archE1100ELNS1_3gpuE3ELNS1_3repE0EEENS1_30default_config_static_selectorELNS0_4arch9wavefront6targetE0EEEvT1_.private_seg_size, 0
	.set _ZN7rocprim17ROCPRIM_400000_NS6detail17trampoline_kernelINS0_14default_configENS1_25partition_config_selectorILNS1_17partition_subalgoE9EllbEEZZNS1_14partition_implILS5_9ELb0ES3_jPlS8_PNS0_10empty_typeENS0_5tupleIJS8_S9_EEENSB_IJS8_SA_EEENS0_18inequality_wrapperIZN2at6native12_GLOBAL__N_124unique_dim_cuda_templateIfEESt5tupleIJNSF_6TensorESK_SK_EERKSK_lbbbEUlllE0_EEPmJS9_EEE10hipError_tPvRmT3_T4_T5_T6_T7_T9_mT8_P12ihipStream_tbDpT10_ENKUlT_T0_E_clISt17integral_constantIbLb0EES1A_EEDaS15_S16_EUlS15_E_NS1_11comp_targetILNS1_3genE9ELNS1_11target_archE1100ELNS1_3gpuE3ELNS1_3repE0EEENS1_30default_config_static_selectorELNS0_4arch9wavefront6targetE0EEEvT1_.uses_vcc, 0
	.set _ZN7rocprim17ROCPRIM_400000_NS6detail17trampoline_kernelINS0_14default_configENS1_25partition_config_selectorILNS1_17partition_subalgoE9EllbEEZZNS1_14partition_implILS5_9ELb0ES3_jPlS8_PNS0_10empty_typeENS0_5tupleIJS8_S9_EEENSB_IJS8_SA_EEENS0_18inequality_wrapperIZN2at6native12_GLOBAL__N_124unique_dim_cuda_templateIfEESt5tupleIJNSF_6TensorESK_SK_EERKSK_lbbbEUlllE0_EEPmJS9_EEE10hipError_tPvRmT3_T4_T5_T6_T7_T9_mT8_P12ihipStream_tbDpT10_ENKUlT_T0_E_clISt17integral_constantIbLb0EES1A_EEDaS15_S16_EUlS15_E_NS1_11comp_targetILNS1_3genE9ELNS1_11target_archE1100ELNS1_3gpuE3ELNS1_3repE0EEENS1_30default_config_static_selectorELNS0_4arch9wavefront6targetE0EEEvT1_.uses_flat_scratch, 0
	.set _ZN7rocprim17ROCPRIM_400000_NS6detail17trampoline_kernelINS0_14default_configENS1_25partition_config_selectorILNS1_17partition_subalgoE9EllbEEZZNS1_14partition_implILS5_9ELb0ES3_jPlS8_PNS0_10empty_typeENS0_5tupleIJS8_S9_EEENSB_IJS8_SA_EEENS0_18inequality_wrapperIZN2at6native12_GLOBAL__N_124unique_dim_cuda_templateIfEESt5tupleIJNSF_6TensorESK_SK_EERKSK_lbbbEUlllE0_EEPmJS9_EEE10hipError_tPvRmT3_T4_T5_T6_T7_T9_mT8_P12ihipStream_tbDpT10_ENKUlT_T0_E_clISt17integral_constantIbLb0EES1A_EEDaS15_S16_EUlS15_E_NS1_11comp_targetILNS1_3genE9ELNS1_11target_archE1100ELNS1_3gpuE3ELNS1_3repE0EEENS1_30default_config_static_selectorELNS0_4arch9wavefront6targetE0EEEvT1_.has_dyn_sized_stack, 0
	.set _ZN7rocprim17ROCPRIM_400000_NS6detail17trampoline_kernelINS0_14default_configENS1_25partition_config_selectorILNS1_17partition_subalgoE9EllbEEZZNS1_14partition_implILS5_9ELb0ES3_jPlS8_PNS0_10empty_typeENS0_5tupleIJS8_S9_EEENSB_IJS8_SA_EEENS0_18inequality_wrapperIZN2at6native12_GLOBAL__N_124unique_dim_cuda_templateIfEESt5tupleIJNSF_6TensorESK_SK_EERKSK_lbbbEUlllE0_EEPmJS9_EEE10hipError_tPvRmT3_T4_T5_T6_T7_T9_mT8_P12ihipStream_tbDpT10_ENKUlT_T0_E_clISt17integral_constantIbLb0EES1A_EEDaS15_S16_EUlS15_E_NS1_11comp_targetILNS1_3genE9ELNS1_11target_archE1100ELNS1_3gpuE3ELNS1_3repE0EEENS1_30default_config_static_selectorELNS0_4arch9wavefront6targetE0EEEvT1_.has_recursion, 0
	.set _ZN7rocprim17ROCPRIM_400000_NS6detail17trampoline_kernelINS0_14default_configENS1_25partition_config_selectorILNS1_17partition_subalgoE9EllbEEZZNS1_14partition_implILS5_9ELb0ES3_jPlS8_PNS0_10empty_typeENS0_5tupleIJS8_S9_EEENSB_IJS8_SA_EEENS0_18inequality_wrapperIZN2at6native12_GLOBAL__N_124unique_dim_cuda_templateIfEESt5tupleIJNSF_6TensorESK_SK_EERKSK_lbbbEUlllE0_EEPmJS9_EEE10hipError_tPvRmT3_T4_T5_T6_T7_T9_mT8_P12ihipStream_tbDpT10_ENKUlT_T0_E_clISt17integral_constantIbLb0EES1A_EEDaS15_S16_EUlS15_E_NS1_11comp_targetILNS1_3genE9ELNS1_11target_archE1100ELNS1_3gpuE3ELNS1_3repE0EEENS1_30default_config_static_selectorELNS0_4arch9wavefront6targetE0EEEvT1_.has_indirect_call, 0
	.section	.AMDGPU.csdata,"",@progbits
; Kernel info:
; codeLenInByte = 0
; TotalNumSgprs: 0
; NumVgprs: 0
; ScratchSize: 0
; MemoryBound: 0
; FloatMode: 240
; IeeeMode: 1
; LDSByteSize: 0 bytes/workgroup (compile time only)
; SGPRBlocks: 0
; VGPRBlocks: 0
; NumSGPRsForWavesPerEU: 1
; NumVGPRsForWavesPerEU: 1
; NamedBarCnt: 0
; Occupancy: 16
; WaveLimiterHint : 0
; COMPUTE_PGM_RSRC2:SCRATCH_EN: 0
; COMPUTE_PGM_RSRC2:USER_SGPR: 2
; COMPUTE_PGM_RSRC2:TRAP_HANDLER: 0
; COMPUTE_PGM_RSRC2:TGID_X_EN: 1
; COMPUTE_PGM_RSRC2:TGID_Y_EN: 0
; COMPUTE_PGM_RSRC2:TGID_Z_EN: 0
; COMPUTE_PGM_RSRC2:TIDIG_COMP_CNT: 0
	.section	.text._ZN7rocprim17ROCPRIM_400000_NS6detail17trampoline_kernelINS0_14default_configENS1_25partition_config_selectorILNS1_17partition_subalgoE9EllbEEZZNS1_14partition_implILS5_9ELb0ES3_jPlS8_PNS0_10empty_typeENS0_5tupleIJS8_S9_EEENSB_IJS8_SA_EEENS0_18inequality_wrapperIZN2at6native12_GLOBAL__N_124unique_dim_cuda_templateIfEESt5tupleIJNSF_6TensorESK_SK_EERKSK_lbbbEUlllE0_EEPmJS9_EEE10hipError_tPvRmT3_T4_T5_T6_T7_T9_mT8_P12ihipStream_tbDpT10_ENKUlT_T0_E_clISt17integral_constantIbLb0EES1A_EEDaS15_S16_EUlS15_E_NS1_11comp_targetILNS1_3genE8ELNS1_11target_archE1030ELNS1_3gpuE2ELNS1_3repE0EEENS1_30default_config_static_selectorELNS0_4arch9wavefront6targetE0EEEvT1_,"axG",@progbits,_ZN7rocprim17ROCPRIM_400000_NS6detail17trampoline_kernelINS0_14default_configENS1_25partition_config_selectorILNS1_17partition_subalgoE9EllbEEZZNS1_14partition_implILS5_9ELb0ES3_jPlS8_PNS0_10empty_typeENS0_5tupleIJS8_S9_EEENSB_IJS8_SA_EEENS0_18inequality_wrapperIZN2at6native12_GLOBAL__N_124unique_dim_cuda_templateIfEESt5tupleIJNSF_6TensorESK_SK_EERKSK_lbbbEUlllE0_EEPmJS9_EEE10hipError_tPvRmT3_T4_T5_T6_T7_T9_mT8_P12ihipStream_tbDpT10_ENKUlT_T0_E_clISt17integral_constantIbLb0EES1A_EEDaS15_S16_EUlS15_E_NS1_11comp_targetILNS1_3genE8ELNS1_11target_archE1030ELNS1_3gpuE2ELNS1_3repE0EEENS1_30default_config_static_selectorELNS0_4arch9wavefront6targetE0EEEvT1_,comdat
	.globl	_ZN7rocprim17ROCPRIM_400000_NS6detail17trampoline_kernelINS0_14default_configENS1_25partition_config_selectorILNS1_17partition_subalgoE9EllbEEZZNS1_14partition_implILS5_9ELb0ES3_jPlS8_PNS0_10empty_typeENS0_5tupleIJS8_S9_EEENSB_IJS8_SA_EEENS0_18inequality_wrapperIZN2at6native12_GLOBAL__N_124unique_dim_cuda_templateIfEESt5tupleIJNSF_6TensorESK_SK_EERKSK_lbbbEUlllE0_EEPmJS9_EEE10hipError_tPvRmT3_T4_T5_T6_T7_T9_mT8_P12ihipStream_tbDpT10_ENKUlT_T0_E_clISt17integral_constantIbLb0EES1A_EEDaS15_S16_EUlS15_E_NS1_11comp_targetILNS1_3genE8ELNS1_11target_archE1030ELNS1_3gpuE2ELNS1_3repE0EEENS1_30default_config_static_selectorELNS0_4arch9wavefront6targetE0EEEvT1_ ; -- Begin function _ZN7rocprim17ROCPRIM_400000_NS6detail17trampoline_kernelINS0_14default_configENS1_25partition_config_selectorILNS1_17partition_subalgoE9EllbEEZZNS1_14partition_implILS5_9ELb0ES3_jPlS8_PNS0_10empty_typeENS0_5tupleIJS8_S9_EEENSB_IJS8_SA_EEENS0_18inequality_wrapperIZN2at6native12_GLOBAL__N_124unique_dim_cuda_templateIfEESt5tupleIJNSF_6TensorESK_SK_EERKSK_lbbbEUlllE0_EEPmJS9_EEE10hipError_tPvRmT3_T4_T5_T6_T7_T9_mT8_P12ihipStream_tbDpT10_ENKUlT_T0_E_clISt17integral_constantIbLb0EES1A_EEDaS15_S16_EUlS15_E_NS1_11comp_targetILNS1_3genE8ELNS1_11target_archE1030ELNS1_3gpuE2ELNS1_3repE0EEENS1_30default_config_static_selectorELNS0_4arch9wavefront6targetE0EEEvT1_
	.p2align	8
	.type	_ZN7rocprim17ROCPRIM_400000_NS6detail17trampoline_kernelINS0_14default_configENS1_25partition_config_selectorILNS1_17partition_subalgoE9EllbEEZZNS1_14partition_implILS5_9ELb0ES3_jPlS8_PNS0_10empty_typeENS0_5tupleIJS8_S9_EEENSB_IJS8_SA_EEENS0_18inequality_wrapperIZN2at6native12_GLOBAL__N_124unique_dim_cuda_templateIfEESt5tupleIJNSF_6TensorESK_SK_EERKSK_lbbbEUlllE0_EEPmJS9_EEE10hipError_tPvRmT3_T4_T5_T6_T7_T9_mT8_P12ihipStream_tbDpT10_ENKUlT_T0_E_clISt17integral_constantIbLb0EES1A_EEDaS15_S16_EUlS15_E_NS1_11comp_targetILNS1_3genE8ELNS1_11target_archE1030ELNS1_3gpuE2ELNS1_3repE0EEENS1_30default_config_static_selectorELNS0_4arch9wavefront6targetE0EEEvT1_,@function
_ZN7rocprim17ROCPRIM_400000_NS6detail17trampoline_kernelINS0_14default_configENS1_25partition_config_selectorILNS1_17partition_subalgoE9EllbEEZZNS1_14partition_implILS5_9ELb0ES3_jPlS8_PNS0_10empty_typeENS0_5tupleIJS8_S9_EEENSB_IJS8_SA_EEENS0_18inequality_wrapperIZN2at6native12_GLOBAL__N_124unique_dim_cuda_templateIfEESt5tupleIJNSF_6TensorESK_SK_EERKSK_lbbbEUlllE0_EEPmJS9_EEE10hipError_tPvRmT3_T4_T5_T6_T7_T9_mT8_P12ihipStream_tbDpT10_ENKUlT_T0_E_clISt17integral_constantIbLb0EES1A_EEDaS15_S16_EUlS15_E_NS1_11comp_targetILNS1_3genE8ELNS1_11target_archE1030ELNS1_3gpuE2ELNS1_3repE0EEENS1_30default_config_static_selectorELNS0_4arch9wavefront6targetE0EEEvT1_: ; @_ZN7rocprim17ROCPRIM_400000_NS6detail17trampoline_kernelINS0_14default_configENS1_25partition_config_selectorILNS1_17partition_subalgoE9EllbEEZZNS1_14partition_implILS5_9ELb0ES3_jPlS8_PNS0_10empty_typeENS0_5tupleIJS8_S9_EEENSB_IJS8_SA_EEENS0_18inequality_wrapperIZN2at6native12_GLOBAL__N_124unique_dim_cuda_templateIfEESt5tupleIJNSF_6TensorESK_SK_EERKSK_lbbbEUlllE0_EEPmJS9_EEE10hipError_tPvRmT3_T4_T5_T6_T7_T9_mT8_P12ihipStream_tbDpT10_ENKUlT_T0_E_clISt17integral_constantIbLb0EES1A_EEDaS15_S16_EUlS15_E_NS1_11comp_targetILNS1_3genE8ELNS1_11target_archE1030ELNS1_3gpuE2ELNS1_3repE0EEENS1_30default_config_static_selectorELNS0_4arch9wavefront6targetE0EEEvT1_
; %bb.0:
	.section	.rodata,"a",@progbits
	.p2align	6, 0x0
	.amdhsa_kernel _ZN7rocprim17ROCPRIM_400000_NS6detail17trampoline_kernelINS0_14default_configENS1_25partition_config_selectorILNS1_17partition_subalgoE9EllbEEZZNS1_14partition_implILS5_9ELb0ES3_jPlS8_PNS0_10empty_typeENS0_5tupleIJS8_S9_EEENSB_IJS8_SA_EEENS0_18inequality_wrapperIZN2at6native12_GLOBAL__N_124unique_dim_cuda_templateIfEESt5tupleIJNSF_6TensorESK_SK_EERKSK_lbbbEUlllE0_EEPmJS9_EEE10hipError_tPvRmT3_T4_T5_T6_T7_T9_mT8_P12ihipStream_tbDpT10_ENKUlT_T0_E_clISt17integral_constantIbLb0EES1A_EEDaS15_S16_EUlS15_E_NS1_11comp_targetILNS1_3genE8ELNS1_11target_archE1030ELNS1_3gpuE2ELNS1_3repE0EEENS1_30default_config_static_selectorELNS0_4arch9wavefront6targetE0EEEvT1_
		.amdhsa_group_segment_fixed_size 0
		.amdhsa_private_segment_fixed_size 0
		.amdhsa_kernarg_size 120
		.amdhsa_user_sgpr_count 2
		.amdhsa_user_sgpr_dispatch_ptr 0
		.amdhsa_user_sgpr_queue_ptr 0
		.amdhsa_user_sgpr_kernarg_segment_ptr 1
		.amdhsa_user_sgpr_dispatch_id 0
		.amdhsa_user_sgpr_kernarg_preload_length 0
		.amdhsa_user_sgpr_kernarg_preload_offset 0
		.amdhsa_user_sgpr_private_segment_size 0
		.amdhsa_wavefront_size32 1
		.amdhsa_uses_dynamic_stack 0
		.amdhsa_enable_private_segment 0
		.amdhsa_system_sgpr_workgroup_id_x 1
		.amdhsa_system_sgpr_workgroup_id_y 0
		.amdhsa_system_sgpr_workgroup_id_z 0
		.amdhsa_system_sgpr_workgroup_info 0
		.amdhsa_system_vgpr_workitem_id 0
		.amdhsa_next_free_vgpr 1
		.amdhsa_next_free_sgpr 1
		.amdhsa_named_barrier_count 0
		.amdhsa_reserve_vcc 0
		.amdhsa_float_round_mode_32 0
		.amdhsa_float_round_mode_16_64 0
		.amdhsa_float_denorm_mode_32 3
		.amdhsa_float_denorm_mode_16_64 3
		.amdhsa_fp16_overflow 0
		.amdhsa_memory_ordered 1
		.amdhsa_forward_progress 1
		.amdhsa_inst_pref_size 0
		.amdhsa_round_robin_scheduling 0
		.amdhsa_exception_fp_ieee_invalid_op 0
		.amdhsa_exception_fp_denorm_src 0
		.amdhsa_exception_fp_ieee_div_zero 0
		.amdhsa_exception_fp_ieee_overflow 0
		.amdhsa_exception_fp_ieee_underflow 0
		.amdhsa_exception_fp_ieee_inexact 0
		.amdhsa_exception_int_div_zero 0
	.end_amdhsa_kernel
	.section	.text._ZN7rocprim17ROCPRIM_400000_NS6detail17trampoline_kernelINS0_14default_configENS1_25partition_config_selectorILNS1_17partition_subalgoE9EllbEEZZNS1_14partition_implILS5_9ELb0ES3_jPlS8_PNS0_10empty_typeENS0_5tupleIJS8_S9_EEENSB_IJS8_SA_EEENS0_18inequality_wrapperIZN2at6native12_GLOBAL__N_124unique_dim_cuda_templateIfEESt5tupleIJNSF_6TensorESK_SK_EERKSK_lbbbEUlllE0_EEPmJS9_EEE10hipError_tPvRmT3_T4_T5_T6_T7_T9_mT8_P12ihipStream_tbDpT10_ENKUlT_T0_E_clISt17integral_constantIbLb0EES1A_EEDaS15_S16_EUlS15_E_NS1_11comp_targetILNS1_3genE8ELNS1_11target_archE1030ELNS1_3gpuE2ELNS1_3repE0EEENS1_30default_config_static_selectorELNS0_4arch9wavefront6targetE0EEEvT1_,"axG",@progbits,_ZN7rocprim17ROCPRIM_400000_NS6detail17trampoline_kernelINS0_14default_configENS1_25partition_config_selectorILNS1_17partition_subalgoE9EllbEEZZNS1_14partition_implILS5_9ELb0ES3_jPlS8_PNS0_10empty_typeENS0_5tupleIJS8_S9_EEENSB_IJS8_SA_EEENS0_18inequality_wrapperIZN2at6native12_GLOBAL__N_124unique_dim_cuda_templateIfEESt5tupleIJNSF_6TensorESK_SK_EERKSK_lbbbEUlllE0_EEPmJS9_EEE10hipError_tPvRmT3_T4_T5_T6_T7_T9_mT8_P12ihipStream_tbDpT10_ENKUlT_T0_E_clISt17integral_constantIbLb0EES1A_EEDaS15_S16_EUlS15_E_NS1_11comp_targetILNS1_3genE8ELNS1_11target_archE1030ELNS1_3gpuE2ELNS1_3repE0EEENS1_30default_config_static_selectorELNS0_4arch9wavefront6targetE0EEEvT1_,comdat
.Lfunc_end968:
	.size	_ZN7rocprim17ROCPRIM_400000_NS6detail17trampoline_kernelINS0_14default_configENS1_25partition_config_selectorILNS1_17partition_subalgoE9EllbEEZZNS1_14partition_implILS5_9ELb0ES3_jPlS8_PNS0_10empty_typeENS0_5tupleIJS8_S9_EEENSB_IJS8_SA_EEENS0_18inequality_wrapperIZN2at6native12_GLOBAL__N_124unique_dim_cuda_templateIfEESt5tupleIJNSF_6TensorESK_SK_EERKSK_lbbbEUlllE0_EEPmJS9_EEE10hipError_tPvRmT3_T4_T5_T6_T7_T9_mT8_P12ihipStream_tbDpT10_ENKUlT_T0_E_clISt17integral_constantIbLb0EES1A_EEDaS15_S16_EUlS15_E_NS1_11comp_targetILNS1_3genE8ELNS1_11target_archE1030ELNS1_3gpuE2ELNS1_3repE0EEENS1_30default_config_static_selectorELNS0_4arch9wavefront6targetE0EEEvT1_, .Lfunc_end968-_ZN7rocprim17ROCPRIM_400000_NS6detail17trampoline_kernelINS0_14default_configENS1_25partition_config_selectorILNS1_17partition_subalgoE9EllbEEZZNS1_14partition_implILS5_9ELb0ES3_jPlS8_PNS0_10empty_typeENS0_5tupleIJS8_S9_EEENSB_IJS8_SA_EEENS0_18inequality_wrapperIZN2at6native12_GLOBAL__N_124unique_dim_cuda_templateIfEESt5tupleIJNSF_6TensorESK_SK_EERKSK_lbbbEUlllE0_EEPmJS9_EEE10hipError_tPvRmT3_T4_T5_T6_T7_T9_mT8_P12ihipStream_tbDpT10_ENKUlT_T0_E_clISt17integral_constantIbLb0EES1A_EEDaS15_S16_EUlS15_E_NS1_11comp_targetILNS1_3genE8ELNS1_11target_archE1030ELNS1_3gpuE2ELNS1_3repE0EEENS1_30default_config_static_selectorELNS0_4arch9wavefront6targetE0EEEvT1_
                                        ; -- End function
	.set _ZN7rocprim17ROCPRIM_400000_NS6detail17trampoline_kernelINS0_14default_configENS1_25partition_config_selectorILNS1_17partition_subalgoE9EllbEEZZNS1_14partition_implILS5_9ELb0ES3_jPlS8_PNS0_10empty_typeENS0_5tupleIJS8_S9_EEENSB_IJS8_SA_EEENS0_18inequality_wrapperIZN2at6native12_GLOBAL__N_124unique_dim_cuda_templateIfEESt5tupleIJNSF_6TensorESK_SK_EERKSK_lbbbEUlllE0_EEPmJS9_EEE10hipError_tPvRmT3_T4_T5_T6_T7_T9_mT8_P12ihipStream_tbDpT10_ENKUlT_T0_E_clISt17integral_constantIbLb0EES1A_EEDaS15_S16_EUlS15_E_NS1_11comp_targetILNS1_3genE8ELNS1_11target_archE1030ELNS1_3gpuE2ELNS1_3repE0EEENS1_30default_config_static_selectorELNS0_4arch9wavefront6targetE0EEEvT1_.num_vgpr, 0
	.set _ZN7rocprim17ROCPRIM_400000_NS6detail17trampoline_kernelINS0_14default_configENS1_25partition_config_selectorILNS1_17partition_subalgoE9EllbEEZZNS1_14partition_implILS5_9ELb0ES3_jPlS8_PNS0_10empty_typeENS0_5tupleIJS8_S9_EEENSB_IJS8_SA_EEENS0_18inequality_wrapperIZN2at6native12_GLOBAL__N_124unique_dim_cuda_templateIfEESt5tupleIJNSF_6TensorESK_SK_EERKSK_lbbbEUlllE0_EEPmJS9_EEE10hipError_tPvRmT3_T4_T5_T6_T7_T9_mT8_P12ihipStream_tbDpT10_ENKUlT_T0_E_clISt17integral_constantIbLb0EES1A_EEDaS15_S16_EUlS15_E_NS1_11comp_targetILNS1_3genE8ELNS1_11target_archE1030ELNS1_3gpuE2ELNS1_3repE0EEENS1_30default_config_static_selectorELNS0_4arch9wavefront6targetE0EEEvT1_.num_agpr, 0
	.set _ZN7rocprim17ROCPRIM_400000_NS6detail17trampoline_kernelINS0_14default_configENS1_25partition_config_selectorILNS1_17partition_subalgoE9EllbEEZZNS1_14partition_implILS5_9ELb0ES3_jPlS8_PNS0_10empty_typeENS0_5tupleIJS8_S9_EEENSB_IJS8_SA_EEENS0_18inequality_wrapperIZN2at6native12_GLOBAL__N_124unique_dim_cuda_templateIfEESt5tupleIJNSF_6TensorESK_SK_EERKSK_lbbbEUlllE0_EEPmJS9_EEE10hipError_tPvRmT3_T4_T5_T6_T7_T9_mT8_P12ihipStream_tbDpT10_ENKUlT_T0_E_clISt17integral_constantIbLb0EES1A_EEDaS15_S16_EUlS15_E_NS1_11comp_targetILNS1_3genE8ELNS1_11target_archE1030ELNS1_3gpuE2ELNS1_3repE0EEENS1_30default_config_static_selectorELNS0_4arch9wavefront6targetE0EEEvT1_.numbered_sgpr, 0
	.set _ZN7rocprim17ROCPRIM_400000_NS6detail17trampoline_kernelINS0_14default_configENS1_25partition_config_selectorILNS1_17partition_subalgoE9EllbEEZZNS1_14partition_implILS5_9ELb0ES3_jPlS8_PNS0_10empty_typeENS0_5tupleIJS8_S9_EEENSB_IJS8_SA_EEENS0_18inequality_wrapperIZN2at6native12_GLOBAL__N_124unique_dim_cuda_templateIfEESt5tupleIJNSF_6TensorESK_SK_EERKSK_lbbbEUlllE0_EEPmJS9_EEE10hipError_tPvRmT3_T4_T5_T6_T7_T9_mT8_P12ihipStream_tbDpT10_ENKUlT_T0_E_clISt17integral_constantIbLb0EES1A_EEDaS15_S16_EUlS15_E_NS1_11comp_targetILNS1_3genE8ELNS1_11target_archE1030ELNS1_3gpuE2ELNS1_3repE0EEENS1_30default_config_static_selectorELNS0_4arch9wavefront6targetE0EEEvT1_.num_named_barrier, 0
	.set _ZN7rocprim17ROCPRIM_400000_NS6detail17trampoline_kernelINS0_14default_configENS1_25partition_config_selectorILNS1_17partition_subalgoE9EllbEEZZNS1_14partition_implILS5_9ELb0ES3_jPlS8_PNS0_10empty_typeENS0_5tupleIJS8_S9_EEENSB_IJS8_SA_EEENS0_18inequality_wrapperIZN2at6native12_GLOBAL__N_124unique_dim_cuda_templateIfEESt5tupleIJNSF_6TensorESK_SK_EERKSK_lbbbEUlllE0_EEPmJS9_EEE10hipError_tPvRmT3_T4_T5_T6_T7_T9_mT8_P12ihipStream_tbDpT10_ENKUlT_T0_E_clISt17integral_constantIbLb0EES1A_EEDaS15_S16_EUlS15_E_NS1_11comp_targetILNS1_3genE8ELNS1_11target_archE1030ELNS1_3gpuE2ELNS1_3repE0EEENS1_30default_config_static_selectorELNS0_4arch9wavefront6targetE0EEEvT1_.private_seg_size, 0
	.set _ZN7rocprim17ROCPRIM_400000_NS6detail17trampoline_kernelINS0_14default_configENS1_25partition_config_selectorILNS1_17partition_subalgoE9EllbEEZZNS1_14partition_implILS5_9ELb0ES3_jPlS8_PNS0_10empty_typeENS0_5tupleIJS8_S9_EEENSB_IJS8_SA_EEENS0_18inequality_wrapperIZN2at6native12_GLOBAL__N_124unique_dim_cuda_templateIfEESt5tupleIJNSF_6TensorESK_SK_EERKSK_lbbbEUlllE0_EEPmJS9_EEE10hipError_tPvRmT3_T4_T5_T6_T7_T9_mT8_P12ihipStream_tbDpT10_ENKUlT_T0_E_clISt17integral_constantIbLb0EES1A_EEDaS15_S16_EUlS15_E_NS1_11comp_targetILNS1_3genE8ELNS1_11target_archE1030ELNS1_3gpuE2ELNS1_3repE0EEENS1_30default_config_static_selectorELNS0_4arch9wavefront6targetE0EEEvT1_.uses_vcc, 0
	.set _ZN7rocprim17ROCPRIM_400000_NS6detail17trampoline_kernelINS0_14default_configENS1_25partition_config_selectorILNS1_17partition_subalgoE9EllbEEZZNS1_14partition_implILS5_9ELb0ES3_jPlS8_PNS0_10empty_typeENS0_5tupleIJS8_S9_EEENSB_IJS8_SA_EEENS0_18inequality_wrapperIZN2at6native12_GLOBAL__N_124unique_dim_cuda_templateIfEESt5tupleIJNSF_6TensorESK_SK_EERKSK_lbbbEUlllE0_EEPmJS9_EEE10hipError_tPvRmT3_T4_T5_T6_T7_T9_mT8_P12ihipStream_tbDpT10_ENKUlT_T0_E_clISt17integral_constantIbLb0EES1A_EEDaS15_S16_EUlS15_E_NS1_11comp_targetILNS1_3genE8ELNS1_11target_archE1030ELNS1_3gpuE2ELNS1_3repE0EEENS1_30default_config_static_selectorELNS0_4arch9wavefront6targetE0EEEvT1_.uses_flat_scratch, 0
	.set _ZN7rocprim17ROCPRIM_400000_NS6detail17trampoline_kernelINS0_14default_configENS1_25partition_config_selectorILNS1_17partition_subalgoE9EllbEEZZNS1_14partition_implILS5_9ELb0ES3_jPlS8_PNS0_10empty_typeENS0_5tupleIJS8_S9_EEENSB_IJS8_SA_EEENS0_18inequality_wrapperIZN2at6native12_GLOBAL__N_124unique_dim_cuda_templateIfEESt5tupleIJNSF_6TensorESK_SK_EERKSK_lbbbEUlllE0_EEPmJS9_EEE10hipError_tPvRmT3_T4_T5_T6_T7_T9_mT8_P12ihipStream_tbDpT10_ENKUlT_T0_E_clISt17integral_constantIbLb0EES1A_EEDaS15_S16_EUlS15_E_NS1_11comp_targetILNS1_3genE8ELNS1_11target_archE1030ELNS1_3gpuE2ELNS1_3repE0EEENS1_30default_config_static_selectorELNS0_4arch9wavefront6targetE0EEEvT1_.has_dyn_sized_stack, 0
	.set _ZN7rocprim17ROCPRIM_400000_NS6detail17trampoline_kernelINS0_14default_configENS1_25partition_config_selectorILNS1_17partition_subalgoE9EllbEEZZNS1_14partition_implILS5_9ELb0ES3_jPlS8_PNS0_10empty_typeENS0_5tupleIJS8_S9_EEENSB_IJS8_SA_EEENS0_18inequality_wrapperIZN2at6native12_GLOBAL__N_124unique_dim_cuda_templateIfEESt5tupleIJNSF_6TensorESK_SK_EERKSK_lbbbEUlllE0_EEPmJS9_EEE10hipError_tPvRmT3_T4_T5_T6_T7_T9_mT8_P12ihipStream_tbDpT10_ENKUlT_T0_E_clISt17integral_constantIbLb0EES1A_EEDaS15_S16_EUlS15_E_NS1_11comp_targetILNS1_3genE8ELNS1_11target_archE1030ELNS1_3gpuE2ELNS1_3repE0EEENS1_30default_config_static_selectorELNS0_4arch9wavefront6targetE0EEEvT1_.has_recursion, 0
	.set _ZN7rocprim17ROCPRIM_400000_NS6detail17trampoline_kernelINS0_14default_configENS1_25partition_config_selectorILNS1_17partition_subalgoE9EllbEEZZNS1_14partition_implILS5_9ELb0ES3_jPlS8_PNS0_10empty_typeENS0_5tupleIJS8_S9_EEENSB_IJS8_SA_EEENS0_18inequality_wrapperIZN2at6native12_GLOBAL__N_124unique_dim_cuda_templateIfEESt5tupleIJNSF_6TensorESK_SK_EERKSK_lbbbEUlllE0_EEPmJS9_EEE10hipError_tPvRmT3_T4_T5_T6_T7_T9_mT8_P12ihipStream_tbDpT10_ENKUlT_T0_E_clISt17integral_constantIbLb0EES1A_EEDaS15_S16_EUlS15_E_NS1_11comp_targetILNS1_3genE8ELNS1_11target_archE1030ELNS1_3gpuE2ELNS1_3repE0EEENS1_30default_config_static_selectorELNS0_4arch9wavefront6targetE0EEEvT1_.has_indirect_call, 0
	.section	.AMDGPU.csdata,"",@progbits
; Kernel info:
; codeLenInByte = 0
; TotalNumSgprs: 0
; NumVgprs: 0
; ScratchSize: 0
; MemoryBound: 0
; FloatMode: 240
; IeeeMode: 1
; LDSByteSize: 0 bytes/workgroup (compile time only)
; SGPRBlocks: 0
; VGPRBlocks: 0
; NumSGPRsForWavesPerEU: 1
; NumVGPRsForWavesPerEU: 1
; NamedBarCnt: 0
; Occupancy: 16
; WaveLimiterHint : 0
; COMPUTE_PGM_RSRC2:SCRATCH_EN: 0
; COMPUTE_PGM_RSRC2:USER_SGPR: 2
; COMPUTE_PGM_RSRC2:TRAP_HANDLER: 0
; COMPUTE_PGM_RSRC2:TGID_X_EN: 1
; COMPUTE_PGM_RSRC2:TGID_Y_EN: 0
; COMPUTE_PGM_RSRC2:TGID_Z_EN: 0
; COMPUTE_PGM_RSRC2:TIDIG_COMP_CNT: 0
	.section	.text._ZN7rocprim17ROCPRIM_400000_NS6detail17trampoline_kernelINS0_14default_configENS1_25partition_config_selectorILNS1_17partition_subalgoE9EllbEEZZNS1_14partition_implILS5_9ELb0ES3_jPlS8_PNS0_10empty_typeENS0_5tupleIJS8_S9_EEENSB_IJS8_SA_EEENS0_18inequality_wrapperIZN2at6native12_GLOBAL__N_124unique_dim_cuda_templateIfEESt5tupleIJNSF_6TensorESK_SK_EERKSK_lbbbEUlllE0_EEPmJS9_EEE10hipError_tPvRmT3_T4_T5_T6_T7_T9_mT8_P12ihipStream_tbDpT10_ENKUlT_T0_E_clISt17integral_constantIbLb1EES1A_EEDaS15_S16_EUlS15_E_NS1_11comp_targetILNS1_3genE0ELNS1_11target_archE4294967295ELNS1_3gpuE0ELNS1_3repE0EEENS1_30default_config_static_selectorELNS0_4arch9wavefront6targetE0EEEvT1_,"axG",@progbits,_ZN7rocprim17ROCPRIM_400000_NS6detail17trampoline_kernelINS0_14default_configENS1_25partition_config_selectorILNS1_17partition_subalgoE9EllbEEZZNS1_14partition_implILS5_9ELb0ES3_jPlS8_PNS0_10empty_typeENS0_5tupleIJS8_S9_EEENSB_IJS8_SA_EEENS0_18inequality_wrapperIZN2at6native12_GLOBAL__N_124unique_dim_cuda_templateIfEESt5tupleIJNSF_6TensorESK_SK_EERKSK_lbbbEUlllE0_EEPmJS9_EEE10hipError_tPvRmT3_T4_T5_T6_T7_T9_mT8_P12ihipStream_tbDpT10_ENKUlT_T0_E_clISt17integral_constantIbLb1EES1A_EEDaS15_S16_EUlS15_E_NS1_11comp_targetILNS1_3genE0ELNS1_11target_archE4294967295ELNS1_3gpuE0ELNS1_3repE0EEENS1_30default_config_static_selectorELNS0_4arch9wavefront6targetE0EEEvT1_,comdat
	.globl	_ZN7rocprim17ROCPRIM_400000_NS6detail17trampoline_kernelINS0_14default_configENS1_25partition_config_selectorILNS1_17partition_subalgoE9EllbEEZZNS1_14partition_implILS5_9ELb0ES3_jPlS8_PNS0_10empty_typeENS0_5tupleIJS8_S9_EEENSB_IJS8_SA_EEENS0_18inequality_wrapperIZN2at6native12_GLOBAL__N_124unique_dim_cuda_templateIfEESt5tupleIJNSF_6TensorESK_SK_EERKSK_lbbbEUlllE0_EEPmJS9_EEE10hipError_tPvRmT3_T4_T5_T6_T7_T9_mT8_P12ihipStream_tbDpT10_ENKUlT_T0_E_clISt17integral_constantIbLb1EES1A_EEDaS15_S16_EUlS15_E_NS1_11comp_targetILNS1_3genE0ELNS1_11target_archE4294967295ELNS1_3gpuE0ELNS1_3repE0EEENS1_30default_config_static_selectorELNS0_4arch9wavefront6targetE0EEEvT1_ ; -- Begin function _ZN7rocprim17ROCPRIM_400000_NS6detail17trampoline_kernelINS0_14default_configENS1_25partition_config_selectorILNS1_17partition_subalgoE9EllbEEZZNS1_14partition_implILS5_9ELb0ES3_jPlS8_PNS0_10empty_typeENS0_5tupleIJS8_S9_EEENSB_IJS8_SA_EEENS0_18inequality_wrapperIZN2at6native12_GLOBAL__N_124unique_dim_cuda_templateIfEESt5tupleIJNSF_6TensorESK_SK_EERKSK_lbbbEUlllE0_EEPmJS9_EEE10hipError_tPvRmT3_T4_T5_T6_T7_T9_mT8_P12ihipStream_tbDpT10_ENKUlT_T0_E_clISt17integral_constantIbLb1EES1A_EEDaS15_S16_EUlS15_E_NS1_11comp_targetILNS1_3genE0ELNS1_11target_archE4294967295ELNS1_3gpuE0ELNS1_3repE0EEENS1_30default_config_static_selectorELNS0_4arch9wavefront6targetE0EEEvT1_
	.p2align	8
	.type	_ZN7rocprim17ROCPRIM_400000_NS6detail17trampoline_kernelINS0_14default_configENS1_25partition_config_selectorILNS1_17partition_subalgoE9EllbEEZZNS1_14partition_implILS5_9ELb0ES3_jPlS8_PNS0_10empty_typeENS0_5tupleIJS8_S9_EEENSB_IJS8_SA_EEENS0_18inequality_wrapperIZN2at6native12_GLOBAL__N_124unique_dim_cuda_templateIfEESt5tupleIJNSF_6TensorESK_SK_EERKSK_lbbbEUlllE0_EEPmJS9_EEE10hipError_tPvRmT3_T4_T5_T6_T7_T9_mT8_P12ihipStream_tbDpT10_ENKUlT_T0_E_clISt17integral_constantIbLb1EES1A_EEDaS15_S16_EUlS15_E_NS1_11comp_targetILNS1_3genE0ELNS1_11target_archE4294967295ELNS1_3gpuE0ELNS1_3repE0EEENS1_30default_config_static_selectorELNS0_4arch9wavefront6targetE0EEEvT1_,@function
_ZN7rocprim17ROCPRIM_400000_NS6detail17trampoline_kernelINS0_14default_configENS1_25partition_config_selectorILNS1_17partition_subalgoE9EllbEEZZNS1_14partition_implILS5_9ELb0ES3_jPlS8_PNS0_10empty_typeENS0_5tupleIJS8_S9_EEENSB_IJS8_SA_EEENS0_18inequality_wrapperIZN2at6native12_GLOBAL__N_124unique_dim_cuda_templateIfEESt5tupleIJNSF_6TensorESK_SK_EERKSK_lbbbEUlllE0_EEPmJS9_EEE10hipError_tPvRmT3_T4_T5_T6_T7_T9_mT8_P12ihipStream_tbDpT10_ENKUlT_T0_E_clISt17integral_constantIbLb1EES1A_EEDaS15_S16_EUlS15_E_NS1_11comp_targetILNS1_3genE0ELNS1_11target_archE4294967295ELNS1_3gpuE0ELNS1_3repE0EEENS1_30default_config_static_selectorELNS0_4arch9wavefront6targetE0EEEvT1_: ; @_ZN7rocprim17ROCPRIM_400000_NS6detail17trampoline_kernelINS0_14default_configENS1_25partition_config_selectorILNS1_17partition_subalgoE9EllbEEZZNS1_14partition_implILS5_9ELb0ES3_jPlS8_PNS0_10empty_typeENS0_5tupleIJS8_S9_EEENSB_IJS8_SA_EEENS0_18inequality_wrapperIZN2at6native12_GLOBAL__N_124unique_dim_cuda_templateIfEESt5tupleIJNSF_6TensorESK_SK_EERKSK_lbbbEUlllE0_EEPmJS9_EEE10hipError_tPvRmT3_T4_T5_T6_T7_T9_mT8_P12ihipStream_tbDpT10_ENKUlT_T0_E_clISt17integral_constantIbLb1EES1A_EEDaS15_S16_EUlS15_E_NS1_11comp_targetILNS1_3genE0ELNS1_11target_archE4294967295ELNS1_3gpuE0ELNS1_3repE0EEENS1_30default_config_static_selectorELNS0_4arch9wavefront6targetE0EEEvT1_
; %bb.0:
	s_endpgm
	.section	.rodata,"a",@progbits
	.p2align	6, 0x0
	.amdhsa_kernel _ZN7rocprim17ROCPRIM_400000_NS6detail17trampoline_kernelINS0_14default_configENS1_25partition_config_selectorILNS1_17partition_subalgoE9EllbEEZZNS1_14partition_implILS5_9ELb0ES3_jPlS8_PNS0_10empty_typeENS0_5tupleIJS8_S9_EEENSB_IJS8_SA_EEENS0_18inequality_wrapperIZN2at6native12_GLOBAL__N_124unique_dim_cuda_templateIfEESt5tupleIJNSF_6TensorESK_SK_EERKSK_lbbbEUlllE0_EEPmJS9_EEE10hipError_tPvRmT3_T4_T5_T6_T7_T9_mT8_P12ihipStream_tbDpT10_ENKUlT_T0_E_clISt17integral_constantIbLb1EES1A_EEDaS15_S16_EUlS15_E_NS1_11comp_targetILNS1_3genE0ELNS1_11target_archE4294967295ELNS1_3gpuE0ELNS1_3repE0EEENS1_30default_config_static_selectorELNS0_4arch9wavefront6targetE0EEEvT1_
		.amdhsa_group_segment_fixed_size 0
		.amdhsa_private_segment_fixed_size 0
		.amdhsa_kernarg_size 136
		.amdhsa_user_sgpr_count 2
		.amdhsa_user_sgpr_dispatch_ptr 0
		.amdhsa_user_sgpr_queue_ptr 0
		.amdhsa_user_sgpr_kernarg_segment_ptr 1
		.amdhsa_user_sgpr_dispatch_id 0
		.amdhsa_user_sgpr_kernarg_preload_length 0
		.amdhsa_user_sgpr_kernarg_preload_offset 0
		.amdhsa_user_sgpr_private_segment_size 0
		.amdhsa_wavefront_size32 1
		.amdhsa_uses_dynamic_stack 0
		.amdhsa_enable_private_segment 0
		.amdhsa_system_sgpr_workgroup_id_x 1
		.amdhsa_system_sgpr_workgroup_id_y 0
		.amdhsa_system_sgpr_workgroup_id_z 0
		.amdhsa_system_sgpr_workgroup_info 0
		.amdhsa_system_vgpr_workitem_id 0
		.amdhsa_next_free_vgpr 1
		.amdhsa_next_free_sgpr 1
		.amdhsa_named_barrier_count 0
		.amdhsa_reserve_vcc 0
		.amdhsa_float_round_mode_32 0
		.amdhsa_float_round_mode_16_64 0
		.amdhsa_float_denorm_mode_32 3
		.amdhsa_float_denorm_mode_16_64 3
		.amdhsa_fp16_overflow 0
		.amdhsa_memory_ordered 1
		.amdhsa_forward_progress 1
		.amdhsa_inst_pref_size 1
		.amdhsa_round_robin_scheduling 0
		.amdhsa_exception_fp_ieee_invalid_op 0
		.amdhsa_exception_fp_denorm_src 0
		.amdhsa_exception_fp_ieee_div_zero 0
		.amdhsa_exception_fp_ieee_overflow 0
		.amdhsa_exception_fp_ieee_underflow 0
		.amdhsa_exception_fp_ieee_inexact 0
		.amdhsa_exception_int_div_zero 0
	.end_amdhsa_kernel
	.section	.text._ZN7rocprim17ROCPRIM_400000_NS6detail17trampoline_kernelINS0_14default_configENS1_25partition_config_selectorILNS1_17partition_subalgoE9EllbEEZZNS1_14partition_implILS5_9ELb0ES3_jPlS8_PNS0_10empty_typeENS0_5tupleIJS8_S9_EEENSB_IJS8_SA_EEENS0_18inequality_wrapperIZN2at6native12_GLOBAL__N_124unique_dim_cuda_templateIfEESt5tupleIJNSF_6TensorESK_SK_EERKSK_lbbbEUlllE0_EEPmJS9_EEE10hipError_tPvRmT3_T4_T5_T6_T7_T9_mT8_P12ihipStream_tbDpT10_ENKUlT_T0_E_clISt17integral_constantIbLb1EES1A_EEDaS15_S16_EUlS15_E_NS1_11comp_targetILNS1_3genE0ELNS1_11target_archE4294967295ELNS1_3gpuE0ELNS1_3repE0EEENS1_30default_config_static_selectorELNS0_4arch9wavefront6targetE0EEEvT1_,"axG",@progbits,_ZN7rocprim17ROCPRIM_400000_NS6detail17trampoline_kernelINS0_14default_configENS1_25partition_config_selectorILNS1_17partition_subalgoE9EllbEEZZNS1_14partition_implILS5_9ELb0ES3_jPlS8_PNS0_10empty_typeENS0_5tupleIJS8_S9_EEENSB_IJS8_SA_EEENS0_18inequality_wrapperIZN2at6native12_GLOBAL__N_124unique_dim_cuda_templateIfEESt5tupleIJNSF_6TensorESK_SK_EERKSK_lbbbEUlllE0_EEPmJS9_EEE10hipError_tPvRmT3_T4_T5_T6_T7_T9_mT8_P12ihipStream_tbDpT10_ENKUlT_T0_E_clISt17integral_constantIbLb1EES1A_EEDaS15_S16_EUlS15_E_NS1_11comp_targetILNS1_3genE0ELNS1_11target_archE4294967295ELNS1_3gpuE0ELNS1_3repE0EEENS1_30default_config_static_selectorELNS0_4arch9wavefront6targetE0EEEvT1_,comdat
.Lfunc_end969:
	.size	_ZN7rocprim17ROCPRIM_400000_NS6detail17trampoline_kernelINS0_14default_configENS1_25partition_config_selectorILNS1_17partition_subalgoE9EllbEEZZNS1_14partition_implILS5_9ELb0ES3_jPlS8_PNS0_10empty_typeENS0_5tupleIJS8_S9_EEENSB_IJS8_SA_EEENS0_18inequality_wrapperIZN2at6native12_GLOBAL__N_124unique_dim_cuda_templateIfEESt5tupleIJNSF_6TensorESK_SK_EERKSK_lbbbEUlllE0_EEPmJS9_EEE10hipError_tPvRmT3_T4_T5_T6_T7_T9_mT8_P12ihipStream_tbDpT10_ENKUlT_T0_E_clISt17integral_constantIbLb1EES1A_EEDaS15_S16_EUlS15_E_NS1_11comp_targetILNS1_3genE0ELNS1_11target_archE4294967295ELNS1_3gpuE0ELNS1_3repE0EEENS1_30default_config_static_selectorELNS0_4arch9wavefront6targetE0EEEvT1_, .Lfunc_end969-_ZN7rocprim17ROCPRIM_400000_NS6detail17trampoline_kernelINS0_14default_configENS1_25partition_config_selectorILNS1_17partition_subalgoE9EllbEEZZNS1_14partition_implILS5_9ELb0ES3_jPlS8_PNS0_10empty_typeENS0_5tupleIJS8_S9_EEENSB_IJS8_SA_EEENS0_18inequality_wrapperIZN2at6native12_GLOBAL__N_124unique_dim_cuda_templateIfEESt5tupleIJNSF_6TensorESK_SK_EERKSK_lbbbEUlllE0_EEPmJS9_EEE10hipError_tPvRmT3_T4_T5_T6_T7_T9_mT8_P12ihipStream_tbDpT10_ENKUlT_T0_E_clISt17integral_constantIbLb1EES1A_EEDaS15_S16_EUlS15_E_NS1_11comp_targetILNS1_3genE0ELNS1_11target_archE4294967295ELNS1_3gpuE0ELNS1_3repE0EEENS1_30default_config_static_selectorELNS0_4arch9wavefront6targetE0EEEvT1_
                                        ; -- End function
	.set _ZN7rocprim17ROCPRIM_400000_NS6detail17trampoline_kernelINS0_14default_configENS1_25partition_config_selectorILNS1_17partition_subalgoE9EllbEEZZNS1_14partition_implILS5_9ELb0ES3_jPlS8_PNS0_10empty_typeENS0_5tupleIJS8_S9_EEENSB_IJS8_SA_EEENS0_18inequality_wrapperIZN2at6native12_GLOBAL__N_124unique_dim_cuda_templateIfEESt5tupleIJNSF_6TensorESK_SK_EERKSK_lbbbEUlllE0_EEPmJS9_EEE10hipError_tPvRmT3_T4_T5_T6_T7_T9_mT8_P12ihipStream_tbDpT10_ENKUlT_T0_E_clISt17integral_constantIbLb1EES1A_EEDaS15_S16_EUlS15_E_NS1_11comp_targetILNS1_3genE0ELNS1_11target_archE4294967295ELNS1_3gpuE0ELNS1_3repE0EEENS1_30default_config_static_selectorELNS0_4arch9wavefront6targetE0EEEvT1_.num_vgpr, 0
	.set _ZN7rocprim17ROCPRIM_400000_NS6detail17trampoline_kernelINS0_14default_configENS1_25partition_config_selectorILNS1_17partition_subalgoE9EllbEEZZNS1_14partition_implILS5_9ELb0ES3_jPlS8_PNS0_10empty_typeENS0_5tupleIJS8_S9_EEENSB_IJS8_SA_EEENS0_18inequality_wrapperIZN2at6native12_GLOBAL__N_124unique_dim_cuda_templateIfEESt5tupleIJNSF_6TensorESK_SK_EERKSK_lbbbEUlllE0_EEPmJS9_EEE10hipError_tPvRmT3_T4_T5_T6_T7_T9_mT8_P12ihipStream_tbDpT10_ENKUlT_T0_E_clISt17integral_constantIbLb1EES1A_EEDaS15_S16_EUlS15_E_NS1_11comp_targetILNS1_3genE0ELNS1_11target_archE4294967295ELNS1_3gpuE0ELNS1_3repE0EEENS1_30default_config_static_selectorELNS0_4arch9wavefront6targetE0EEEvT1_.num_agpr, 0
	.set _ZN7rocprim17ROCPRIM_400000_NS6detail17trampoline_kernelINS0_14default_configENS1_25partition_config_selectorILNS1_17partition_subalgoE9EllbEEZZNS1_14partition_implILS5_9ELb0ES3_jPlS8_PNS0_10empty_typeENS0_5tupleIJS8_S9_EEENSB_IJS8_SA_EEENS0_18inequality_wrapperIZN2at6native12_GLOBAL__N_124unique_dim_cuda_templateIfEESt5tupleIJNSF_6TensorESK_SK_EERKSK_lbbbEUlllE0_EEPmJS9_EEE10hipError_tPvRmT3_T4_T5_T6_T7_T9_mT8_P12ihipStream_tbDpT10_ENKUlT_T0_E_clISt17integral_constantIbLb1EES1A_EEDaS15_S16_EUlS15_E_NS1_11comp_targetILNS1_3genE0ELNS1_11target_archE4294967295ELNS1_3gpuE0ELNS1_3repE0EEENS1_30default_config_static_selectorELNS0_4arch9wavefront6targetE0EEEvT1_.numbered_sgpr, 0
	.set _ZN7rocprim17ROCPRIM_400000_NS6detail17trampoline_kernelINS0_14default_configENS1_25partition_config_selectorILNS1_17partition_subalgoE9EllbEEZZNS1_14partition_implILS5_9ELb0ES3_jPlS8_PNS0_10empty_typeENS0_5tupleIJS8_S9_EEENSB_IJS8_SA_EEENS0_18inequality_wrapperIZN2at6native12_GLOBAL__N_124unique_dim_cuda_templateIfEESt5tupleIJNSF_6TensorESK_SK_EERKSK_lbbbEUlllE0_EEPmJS9_EEE10hipError_tPvRmT3_T4_T5_T6_T7_T9_mT8_P12ihipStream_tbDpT10_ENKUlT_T0_E_clISt17integral_constantIbLb1EES1A_EEDaS15_S16_EUlS15_E_NS1_11comp_targetILNS1_3genE0ELNS1_11target_archE4294967295ELNS1_3gpuE0ELNS1_3repE0EEENS1_30default_config_static_selectorELNS0_4arch9wavefront6targetE0EEEvT1_.num_named_barrier, 0
	.set _ZN7rocprim17ROCPRIM_400000_NS6detail17trampoline_kernelINS0_14default_configENS1_25partition_config_selectorILNS1_17partition_subalgoE9EllbEEZZNS1_14partition_implILS5_9ELb0ES3_jPlS8_PNS0_10empty_typeENS0_5tupleIJS8_S9_EEENSB_IJS8_SA_EEENS0_18inequality_wrapperIZN2at6native12_GLOBAL__N_124unique_dim_cuda_templateIfEESt5tupleIJNSF_6TensorESK_SK_EERKSK_lbbbEUlllE0_EEPmJS9_EEE10hipError_tPvRmT3_T4_T5_T6_T7_T9_mT8_P12ihipStream_tbDpT10_ENKUlT_T0_E_clISt17integral_constantIbLb1EES1A_EEDaS15_S16_EUlS15_E_NS1_11comp_targetILNS1_3genE0ELNS1_11target_archE4294967295ELNS1_3gpuE0ELNS1_3repE0EEENS1_30default_config_static_selectorELNS0_4arch9wavefront6targetE0EEEvT1_.private_seg_size, 0
	.set _ZN7rocprim17ROCPRIM_400000_NS6detail17trampoline_kernelINS0_14default_configENS1_25partition_config_selectorILNS1_17partition_subalgoE9EllbEEZZNS1_14partition_implILS5_9ELb0ES3_jPlS8_PNS0_10empty_typeENS0_5tupleIJS8_S9_EEENSB_IJS8_SA_EEENS0_18inequality_wrapperIZN2at6native12_GLOBAL__N_124unique_dim_cuda_templateIfEESt5tupleIJNSF_6TensorESK_SK_EERKSK_lbbbEUlllE0_EEPmJS9_EEE10hipError_tPvRmT3_T4_T5_T6_T7_T9_mT8_P12ihipStream_tbDpT10_ENKUlT_T0_E_clISt17integral_constantIbLb1EES1A_EEDaS15_S16_EUlS15_E_NS1_11comp_targetILNS1_3genE0ELNS1_11target_archE4294967295ELNS1_3gpuE0ELNS1_3repE0EEENS1_30default_config_static_selectorELNS0_4arch9wavefront6targetE0EEEvT1_.uses_vcc, 0
	.set _ZN7rocprim17ROCPRIM_400000_NS6detail17trampoline_kernelINS0_14default_configENS1_25partition_config_selectorILNS1_17partition_subalgoE9EllbEEZZNS1_14partition_implILS5_9ELb0ES3_jPlS8_PNS0_10empty_typeENS0_5tupleIJS8_S9_EEENSB_IJS8_SA_EEENS0_18inequality_wrapperIZN2at6native12_GLOBAL__N_124unique_dim_cuda_templateIfEESt5tupleIJNSF_6TensorESK_SK_EERKSK_lbbbEUlllE0_EEPmJS9_EEE10hipError_tPvRmT3_T4_T5_T6_T7_T9_mT8_P12ihipStream_tbDpT10_ENKUlT_T0_E_clISt17integral_constantIbLb1EES1A_EEDaS15_S16_EUlS15_E_NS1_11comp_targetILNS1_3genE0ELNS1_11target_archE4294967295ELNS1_3gpuE0ELNS1_3repE0EEENS1_30default_config_static_selectorELNS0_4arch9wavefront6targetE0EEEvT1_.uses_flat_scratch, 0
	.set _ZN7rocprim17ROCPRIM_400000_NS6detail17trampoline_kernelINS0_14default_configENS1_25partition_config_selectorILNS1_17partition_subalgoE9EllbEEZZNS1_14partition_implILS5_9ELb0ES3_jPlS8_PNS0_10empty_typeENS0_5tupleIJS8_S9_EEENSB_IJS8_SA_EEENS0_18inequality_wrapperIZN2at6native12_GLOBAL__N_124unique_dim_cuda_templateIfEESt5tupleIJNSF_6TensorESK_SK_EERKSK_lbbbEUlllE0_EEPmJS9_EEE10hipError_tPvRmT3_T4_T5_T6_T7_T9_mT8_P12ihipStream_tbDpT10_ENKUlT_T0_E_clISt17integral_constantIbLb1EES1A_EEDaS15_S16_EUlS15_E_NS1_11comp_targetILNS1_3genE0ELNS1_11target_archE4294967295ELNS1_3gpuE0ELNS1_3repE0EEENS1_30default_config_static_selectorELNS0_4arch9wavefront6targetE0EEEvT1_.has_dyn_sized_stack, 0
	.set _ZN7rocprim17ROCPRIM_400000_NS6detail17trampoline_kernelINS0_14default_configENS1_25partition_config_selectorILNS1_17partition_subalgoE9EllbEEZZNS1_14partition_implILS5_9ELb0ES3_jPlS8_PNS0_10empty_typeENS0_5tupleIJS8_S9_EEENSB_IJS8_SA_EEENS0_18inequality_wrapperIZN2at6native12_GLOBAL__N_124unique_dim_cuda_templateIfEESt5tupleIJNSF_6TensorESK_SK_EERKSK_lbbbEUlllE0_EEPmJS9_EEE10hipError_tPvRmT3_T4_T5_T6_T7_T9_mT8_P12ihipStream_tbDpT10_ENKUlT_T0_E_clISt17integral_constantIbLb1EES1A_EEDaS15_S16_EUlS15_E_NS1_11comp_targetILNS1_3genE0ELNS1_11target_archE4294967295ELNS1_3gpuE0ELNS1_3repE0EEENS1_30default_config_static_selectorELNS0_4arch9wavefront6targetE0EEEvT1_.has_recursion, 0
	.set _ZN7rocprim17ROCPRIM_400000_NS6detail17trampoline_kernelINS0_14default_configENS1_25partition_config_selectorILNS1_17partition_subalgoE9EllbEEZZNS1_14partition_implILS5_9ELb0ES3_jPlS8_PNS0_10empty_typeENS0_5tupleIJS8_S9_EEENSB_IJS8_SA_EEENS0_18inequality_wrapperIZN2at6native12_GLOBAL__N_124unique_dim_cuda_templateIfEESt5tupleIJNSF_6TensorESK_SK_EERKSK_lbbbEUlllE0_EEPmJS9_EEE10hipError_tPvRmT3_T4_T5_T6_T7_T9_mT8_P12ihipStream_tbDpT10_ENKUlT_T0_E_clISt17integral_constantIbLb1EES1A_EEDaS15_S16_EUlS15_E_NS1_11comp_targetILNS1_3genE0ELNS1_11target_archE4294967295ELNS1_3gpuE0ELNS1_3repE0EEENS1_30default_config_static_selectorELNS0_4arch9wavefront6targetE0EEEvT1_.has_indirect_call, 0
	.section	.AMDGPU.csdata,"",@progbits
; Kernel info:
; codeLenInByte = 4
; TotalNumSgprs: 0
; NumVgprs: 0
; ScratchSize: 0
; MemoryBound: 0
; FloatMode: 240
; IeeeMode: 1
; LDSByteSize: 0 bytes/workgroup (compile time only)
; SGPRBlocks: 0
; VGPRBlocks: 0
; NumSGPRsForWavesPerEU: 1
; NumVGPRsForWavesPerEU: 1
; NamedBarCnt: 0
; Occupancy: 16
; WaveLimiterHint : 0
; COMPUTE_PGM_RSRC2:SCRATCH_EN: 0
; COMPUTE_PGM_RSRC2:USER_SGPR: 2
; COMPUTE_PGM_RSRC2:TRAP_HANDLER: 0
; COMPUTE_PGM_RSRC2:TGID_X_EN: 1
; COMPUTE_PGM_RSRC2:TGID_Y_EN: 0
; COMPUTE_PGM_RSRC2:TGID_Z_EN: 0
; COMPUTE_PGM_RSRC2:TIDIG_COMP_CNT: 0
	.section	.text._ZN7rocprim17ROCPRIM_400000_NS6detail17trampoline_kernelINS0_14default_configENS1_25partition_config_selectorILNS1_17partition_subalgoE9EllbEEZZNS1_14partition_implILS5_9ELb0ES3_jPlS8_PNS0_10empty_typeENS0_5tupleIJS8_S9_EEENSB_IJS8_SA_EEENS0_18inequality_wrapperIZN2at6native12_GLOBAL__N_124unique_dim_cuda_templateIfEESt5tupleIJNSF_6TensorESK_SK_EERKSK_lbbbEUlllE0_EEPmJS9_EEE10hipError_tPvRmT3_T4_T5_T6_T7_T9_mT8_P12ihipStream_tbDpT10_ENKUlT_T0_E_clISt17integral_constantIbLb1EES1A_EEDaS15_S16_EUlS15_E_NS1_11comp_targetILNS1_3genE5ELNS1_11target_archE942ELNS1_3gpuE9ELNS1_3repE0EEENS1_30default_config_static_selectorELNS0_4arch9wavefront6targetE0EEEvT1_,"axG",@progbits,_ZN7rocprim17ROCPRIM_400000_NS6detail17trampoline_kernelINS0_14default_configENS1_25partition_config_selectorILNS1_17partition_subalgoE9EllbEEZZNS1_14partition_implILS5_9ELb0ES3_jPlS8_PNS0_10empty_typeENS0_5tupleIJS8_S9_EEENSB_IJS8_SA_EEENS0_18inequality_wrapperIZN2at6native12_GLOBAL__N_124unique_dim_cuda_templateIfEESt5tupleIJNSF_6TensorESK_SK_EERKSK_lbbbEUlllE0_EEPmJS9_EEE10hipError_tPvRmT3_T4_T5_T6_T7_T9_mT8_P12ihipStream_tbDpT10_ENKUlT_T0_E_clISt17integral_constantIbLb1EES1A_EEDaS15_S16_EUlS15_E_NS1_11comp_targetILNS1_3genE5ELNS1_11target_archE942ELNS1_3gpuE9ELNS1_3repE0EEENS1_30default_config_static_selectorELNS0_4arch9wavefront6targetE0EEEvT1_,comdat
	.globl	_ZN7rocprim17ROCPRIM_400000_NS6detail17trampoline_kernelINS0_14default_configENS1_25partition_config_selectorILNS1_17partition_subalgoE9EllbEEZZNS1_14partition_implILS5_9ELb0ES3_jPlS8_PNS0_10empty_typeENS0_5tupleIJS8_S9_EEENSB_IJS8_SA_EEENS0_18inequality_wrapperIZN2at6native12_GLOBAL__N_124unique_dim_cuda_templateIfEESt5tupleIJNSF_6TensorESK_SK_EERKSK_lbbbEUlllE0_EEPmJS9_EEE10hipError_tPvRmT3_T4_T5_T6_T7_T9_mT8_P12ihipStream_tbDpT10_ENKUlT_T0_E_clISt17integral_constantIbLb1EES1A_EEDaS15_S16_EUlS15_E_NS1_11comp_targetILNS1_3genE5ELNS1_11target_archE942ELNS1_3gpuE9ELNS1_3repE0EEENS1_30default_config_static_selectorELNS0_4arch9wavefront6targetE0EEEvT1_ ; -- Begin function _ZN7rocprim17ROCPRIM_400000_NS6detail17trampoline_kernelINS0_14default_configENS1_25partition_config_selectorILNS1_17partition_subalgoE9EllbEEZZNS1_14partition_implILS5_9ELb0ES3_jPlS8_PNS0_10empty_typeENS0_5tupleIJS8_S9_EEENSB_IJS8_SA_EEENS0_18inequality_wrapperIZN2at6native12_GLOBAL__N_124unique_dim_cuda_templateIfEESt5tupleIJNSF_6TensorESK_SK_EERKSK_lbbbEUlllE0_EEPmJS9_EEE10hipError_tPvRmT3_T4_T5_T6_T7_T9_mT8_P12ihipStream_tbDpT10_ENKUlT_T0_E_clISt17integral_constantIbLb1EES1A_EEDaS15_S16_EUlS15_E_NS1_11comp_targetILNS1_3genE5ELNS1_11target_archE942ELNS1_3gpuE9ELNS1_3repE0EEENS1_30default_config_static_selectorELNS0_4arch9wavefront6targetE0EEEvT1_
	.p2align	8
	.type	_ZN7rocprim17ROCPRIM_400000_NS6detail17trampoline_kernelINS0_14default_configENS1_25partition_config_selectorILNS1_17partition_subalgoE9EllbEEZZNS1_14partition_implILS5_9ELb0ES3_jPlS8_PNS0_10empty_typeENS0_5tupleIJS8_S9_EEENSB_IJS8_SA_EEENS0_18inequality_wrapperIZN2at6native12_GLOBAL__N_124unique_dim_cuda_templateIfEESt5tupleIJNSF_6TensorESK_SK_EERKSK_lbbbEUlllE0_EEPmJS9_EEE10hipError_tPvRmT3_T4_T5_T6_T7_T9_mT8_P12ihipStream_tbDpT10_ENKUlT_T0_E_clISt17integral_constantIbLb1EES1A_EEDaS15_S16_EUlS15_E_NS1_11comp_targetILNS1_3genE5ELNS1_11target_archE942ELNS1_3gpuE9ELNS1_3repE0EEENS1_30default_config_static_selectorELNS0_4arch9wavefront6targetE0EEEvT1_,@function
_ZN7rocprim17ROCPRIM_400000_NS6detail17trampoline_kernelINS0_14default_configENS1_25partition_config_selectorILNS1_17partition_subalgoE9EllbEEZZNS1_14partition_implILS5_9ELb0ES3_jPlS8_PNS0_10empty_typeENS0_5tupleIJS8_S9_EEENSB_IJS8_SA_EEENS0_18inequality_wrapperIZN2at6native12_GLOBAL__N_124unique_dim_cuda_templateIfEESt5tupleIJNSF_6TensorESK_SK_EERKSK_lbbbEUlllE0_EEPmJS9_EEE10hipError_tPvRmT3_T4_T5_T6_T7_T9_mT8_P12ihipStream_tbDpT10_ENKUlT_T0_E_clISt17integral_constantIbLb1EES1A_EEDaS15_S16_EUlS15_E_NS1_11comp_targetILNS1_3genE5ELNS1_11target_archE942ELNS1_3gpuE9ELNS1_3repE0EEENS1_30default_config_static_selectorELNS0_4arch9wavefront6targetE0EEEvT1_: ; @_ZN7rocprim17ROCPRIM_400000_NS6detail17trampoline_kernelINS0_14default_configENS1_25partition_config_selectorILNS1_17partition_subalgoE9EllbEEZZNS1_14partition_implILS5_9ELb0ES3_jPlS8_PNS0_10empty_typeENS0_5tupleIJS8_S9_EEENSB_IJS8_SA_EEENS0_18inequality_wrapperIZN2at6native12_GLOBAL__N_124unique_dim_cuda_templateIfEESt5tupleIJNSF_6TensorESK_SK_EERKSK_lbbbEUlllE0_EEPmJS9_EEE10hipError_tPvRmT3_T4_T5_T6_T7_T9_mT8_P12ihipStream_tbDpT10_ENKUlT_T0_E_clISt17integral_constantIbLb1EES1A_EEDaS15_S16_EUlS15_E_NS1_11comp_targetILNS1_3genE5ELNS1_11target_archE942ELNS1_3gpuE9ELNS1_3repE0EEENS1_30default_config_static_selectorELNS0_4arch9wavefront6targetE0EEEvT1_
; %bb.0:
	.section	.rodata,"a",@progbits
	.p2align	6, 0x0
	.amdhsa_kernel _ZN7rocprim17ROCPRIM_400000_NS6detail17trampoline_kernelINS0_14default_configENS1_25partition_config_selectorILNS1_17partition_subalgoE9EllbEEZZNS1_14partition_implILS5_9ELb0ES3_jPlS8_PNS0_10empty_typeENS0_5tupleIJS8_S9_EEENSB_IJS8_SA_EEENS0_18inequality_wrapperIZN2at6native12_GLOBAL__N_124unique_dim_cuda_templateIfEESt5tupleIJNSF_6TensorESK_SK_EERKSK_lbbbEUlllE0_EEPmJS9_EEE10hipError_tPvRmT3_T4_T5_T6_T7_T9_mT8_P12ihipStream_tbDpT10_ENKUlT_T0_E_clISt17integral_constantIbLb1EES1A_EEDaS15_S16_EUlS15_E_NS1_11comp_targetILNS1_3genE5ELNS1_11target_archE942ELNS1_3gpuE9ELNS1_3repE0EEENS1_30default_config_static_selectorELNS0_4arch9wavefront6targetE0EEEvT1_
		.amdhsa_group_segment_fixed_size 0
		.amdhsa_private_segment_fixed_size 0
		.amdhsa_kernarg_size 136
		.amdhsa_user_sgpr_count 2
		.amdhsa_user_sgpr_dispatch_ptr 0
		.amdhsa_user_sgpr_queue_ptr 0
		.amdhsa_user_sgpr_kernarg_segment_ptr 1
		.amdhsa_user_sgpr_dispatch_id 0
		.amdhsa_user_sgpr_kernarg_preload_length 0
		.amdhsa_user_sgpr_kernarg_preload_offset 0
		.amdhsa_user_sgpr_private_segment_size 0
		.amdhsa_wavefront_size32 1
		.amdhsa_uses_dynamic_stack 0
		.amdhsa_enable_private_segment 0
		.amdhsa_system_sgpr_workgroup_id_x 1
		.amdhsa_system_sgpr_workgroup_id_y 0
		.amdhsa_system_sgpr_workgroup_id_z 0
		.amdhsa_system_sgpr_workgroup_info 0
		.amdhsa_system_vgpr_workitem_id 0
		.amdhsa_next_free_vgpr 1
		.amdhsa_next_free_sgpr 1
		.amdhsa_named_barrier_count 0
		.amdhsa_reserve_vcc 0
		.amdhsa_float_round_mode_32 0
		.amdhsa_float_round_mode_16_64 0
		.amdhsa_float_denorm_mode_32 3
		.amdhsa_float_denorm_mode_16_64 3
		.amdhsa_fp16_overflow 0
		.amdhsa_memory_ordered 1
		.amdhsa_forward_progress 1
		.amdhsa_inst_pref_size 0
		.amdhsa_round_robin_scheduling 0
		.amdhsa_exception_fp_ieee_invalid_op 0
		.amdhsa_exception_fp_denorm_src 0
		.amdhsa_exception_fp_ieee_div_zero 0
		.amdhsa_exception_fp_ieee_overflow 0
		.amdhsa_exception_fp_ieee_underflow 0
		.amdhsa_exception_fp_ieee_inexact 0
		.amdhsa_exception_int_div_zero 0
	.end_amdhsa_kernel
	.section	.text._ZN7rocprim17ROCPRIM_400000_NS6detail17trampoline_kernelINS0_14default_configENS1_25partition_config_selectorILNS1_17partition_subalgoE9EllbEEZZNS1_14partition_implILS5_9ELb0ES3_jPlS8_PNS0_10empty_typeENS0_5tupleIJS8_S9_EEENSB_IJS8_SA_EEENS0_18inequality_wrapperIZN2at6native12_GLOBAL__N_124unique_dim_cuda_templateIfEESt5tupleIJNSF_6TensorESK_SK_EERKSK_lbbbEUlllE0_EEPmJS9_EEE10hipError_tPvRmT3_T4_T5_T6_T7_T9_mT8_P12ihipStream_tbDpT10_ENKUlT_T0_E_clISt17integral_constantIbLb1EES1A_EEDaS15_S16_EUlS15_E_NS1_11comp_targetILNS1_3genE5ELNS1_11target_archE942ELNS1_3gpuE9ELNS1_3repE0EEENS1_30default_config_static_selectorELNS0_4arch9wavefront6targetE0EEEvT1_,"axG",@progbits,_ZN7rocprim17ROCPRIM_400000_NS6detail17trampoline_kernelINS0_14default_configENS1_25partition_config_selectorILNS1_17partition_subalgoE9EllbEEZZNS1_14partition_implILS5_9ELb0ES3_jPlS8_PNS0_10empty_typeENS0_5tupleIJS8_S9_EEENSB_IJS8_SA_EEENS0_18inequality_wrapperIZN2at6native12_GLOBAL__N_124unique_dim_cuda_templateIfEESt5tupleIJNSF_6TensorESK_SK_EERKSK_lbbbEUlllE0_EEPmJS9_EEE10hipError_tPvRmT3_T4_T5_T6_T7_T9_mT8_P12ihipStream_tbDpT10_ENKUlT_T0_E_clISt17integral_constantIbLb1EES1A_EEDaS15_S16_EUlS15_E_NS1_11comp_targetILNS1_3genE5ELNS1_11target_archE942ELNS1_3gpuE9ELNS1_3repE0EEENS1_30default_config_static_selectorELNS0_4arch9wavefront6targetE0EEEvT1_,comdat
.Lfunc_end970:
	.size	_ZN7rocprim17ROCPRIM_400000_NS6detail17trampoline_kernelINS0_14default_configENS1_25partition_config_selectorILNS1_17partition_subalgoE9EllbEEZZNS1_14partition_implILS5_9ELb0ES3_jPlS8_PNS0_10empty_typeENS0_5tupleIJS8_S9_EEENSB_IJS8_SA_EEENS0_18inequality_wrapperIZN2at6native12_GLOBAL__N_124unique_dim_cuda_templateIfEESt5tupleIJNSF_6TensorESK_SK_EERKSK_lbbbEUlllE0_EEPmJS9_EEE10hipError_tPvRmT3_T4_T5_T6_T7_T9_mT8_P12ihipStream_tbDpT10_ENKUlT_T0_E_clISt17integral_constantIbLb1EES1A_EEDaS15_S16_EUlS15_E_NS1_11comp_targetILNS1_3genE5ELNS1_11target_archE942ELNS1_3gpuE9ELNS1_3repE0EEENS1_30default_config_static_selectorELNS0_4arch9wavefront6targetE0EEEvT1_, .Lfunc_end970-_ZN7rocprim17ROCPRIM_400000_NS6detail17trampoline_kernelINS0_14default_configENS1_25partition_config_selectorILNS1_17partition_subalgoE9EllbEEZZNS1_14partition_implILS5_9ELb0ES3_jPlS8_PNS0_10empty_typeENS0_5tupleIJS8_S9_EEENSB_IJS8_SA_EEENS0_18inequality_wrapperIZN2at6native12_GLOBAL__N_124unique_dim_cuda_templateIfEESt5tupleIJNSF_6TensorESK_SK_EERKSK_lbbbEUlllE0_EEPmJS9_EEE10hipError_tPvRmT3_T4_T5_T6_T7_T9_mT8_P12ihipStream_tbDpT10_ENKUlT_T0_E_clISt17integral_constantIbLb1EES1A_EEDaS15_S16_EUlS15_E_NS1_11comp_targetILNS1_3genE5ELNS1_11target_archE942ELNS1_3gpuE9ELNS1_3repE0EEENS1_30default_config_static_selectorELNS0_4arch9wavefront6targetE0EEEvT1_
                                        ; -- End function
	.set _ZN7rocprim17ROCPRIM_400000_NS6detail17trampoline_kernelINS0_14default_configENS1_25partition_config_selectorILNS1_17partition_subalgoE9EllbEEZZNS1_14partition_implILS5_9ELb0ES3_jPlS8_PNS0_10empty_typeENS0_5tupleIJS8_S9_EEENSB_IJS8_SA_EEENS0_18inequality_wrapperIZN2at6native12_GLOBAL__N_124unique_dim_cuda_templateIfEESt5tupleIJNSF_6TensorESK_SK_EERKSK_lbbbEUlllE0_EEPmJS9_EEE10hipError_tPvRmT3_T4_T5_T6_T7_T9_mT8_P12ihipStream_tbDpT10_ENKUlT_T0_E_clISt17integral_constantIbLb1EES1A_EEDaS15_S16_EUlS15_E_NS1_11comp_targetILNS1_3genE5ELNS1_11target_archE942ELNS1_3gpuE9ELNS1_3repE0EEENS1_30default_config_static_selectorELNS0_4arch9wavefront6targetE0EEEvT1_.num_vgpr, 0
	.set _ZN7rocprim17ROCPRIM_400000_NS6detail17trampoline_kernelINS0_14default_configENS1_25partition_config_selectorILNS1_17partition_subalgoE9EllbEEZZNS1_14partition_implILS5_9ELb0ES3_jPlS8_PNS0_10empty_typeENS0_5tupleIJS8_S9_EEENSB_IJS8_SA_EEENS0_18inequality_wrapperIZN2at6native12_GLOBAL__N_124unique_dim_cuda_templateIfEESt5tupleIJNSF_6TensorESK_SK_EERKSK_lbbbEUlllE0_EEPmJS9_EEE10hipError_tPvRmT3_T4_T5_T6_T7_T9_mT8_P12ihipStream_tbDpT10_ENKUlT_T0_E_clISt17integral_constantIbLb1EES1A_EEDaS15_S16_EUlS15_E_NS1_11comp_targetILNS1_3genE5ELNS1_11target_archE942ELNS1_3gpuE9ELNS1_3repE0EEENS1_30default_config_static_selectorELNS0_4arch9wavefront6targetE0EEEvT1_.num_agpr, 0
	.set _ZN7rocprim17ROCPRIM_400000_NS6detail17trampoline_kernelINS0_14default_configENS1_25partition_config_selectorILNS1_17partition_subalgoE9EllbEEZZNS1_14partition_implILS5_9ELb0ES3_jPlS8_PNS0_10empty_typeENS0_5tupleIJS8_S9_EEENSB_IJS8_SA_EEENS0_18inequality_wrapperIZN2at6native12_GLOBAL__N_124unique_dim_cuda_templateIfEESt5tupleIJNSF_6TensorESK_SK_EERKSK_lbbbEUlllE0_EEPmJS9_EEE10hipError_tPvRmT3_T4_T5_T6_T7_T9_mT8_P12ihipStream_tbDpT10_ENKUlT_T0_E_clISt17integral_constantIbLb1EES1A_EEDaS15_S16_EUlS15_E_NS1_11comp_targetILNS1_3genE5ELNS1_11target_archE942ELNS1_3gpuE9ELNS1_3repE0EEENS1_30default_config_static_selectorELNS0_4arch9wavefront6targetE0EEEvT1_.numbered_sgpr, 0
	.set _ZN7rocprim17ROCPRIM_400000_NS6detail17trampoline_kernelINS0_14default_configENS1_25partition_config_selectorILNS1_17partition_subalgoE9EllbEEZZNS1_14partition_implILS5_9ELb0ES3_jPlS8_PNS0_10empty_typeENS0_5tupleIJS8_S9_EEENSB_IJS8_SA_EEENS0_18inequality_wrapperIZN2at6native12_GLOBAL__N_124unique_dim_cuda_templateIfEESt5tupleIJNSF_6TensorESK_SK_EERKSK_lbbbEUlllE0_EEPmJS9_EEE10hipError_tPvRmT3_T4_T5_T6_T7_T9_mT8_P12ihipStream_tbDpT10_ENKUlT_T0_E_clISt17integral_constantIbLb1EES1A_EEDaS15_S16_EUlS15_E_NS1_11comp_targetILNS1_3genE5ELNS1_11target_archE942ELNS1_3gpuE9ELNS1_3repE0EEENS1_30default_config_static_selectorELNS0_4arch9wavefront6targetE0EEEvT1_.num_named_barrier, 0
	.set _ZN7rocprim17ROCPRIM_400000_NS6detail17trampoline_kernelINS0_14default_configENS1_25partition_config_selectorILNS1_17partition_subalgoE9EllbEEZZNS1_14partition_implILS5_9ELb0ES3_jPlS8_PNS0_10empty_typeENS0_5tupleIJS8_S9_EEENSB_IJS8_SA_EEENS0_18inequality_wrapperIZN2at6native12_GLOBAL__N_124unique_dim_cuda_templateIfEESt5tupleIJNSF_6TensorESK_SK_EERKSK_lbbbEUlllE0_EEPmJS9_EEE10hipError_tPvRmT3_T4_T5_T6_T7_T9_mT8_P12ihipStream_tbDpT10_ENKUlT_T0_E_clISt17integral_constantIbLb1EES1A_EEDaS15_S16_EUlS15_E_NS1_11comp_targetILNS1_3genE5ELNS1_11target_archE942ELNS1_3gpuE9ELNS1_3repE0EEENS1_30default_config_static_selectorELNS0_4arch9wavefront6targetE0EEEvT1_.private_seg_size, 0
	.set _ZN7rocprim17ROCPRIM_400000_NS6detail17trampoline_kernelINS0_14default_configENS1_25partition_config_selectorILNS1_17partition_subalgoE9EllbEEZZNS1_14partition_implILS5_9ELb0ES3_jPlS8_PNS0_10empty_typeENS0_5tupleIJS8_S9_EEENSB_IJS8_SA_EEENS0_18inequality_wrapperIZN2at6native12_GLOBAL__N_124unique_dim_cuda_templateIfEESt5tupleIJNSF_6TensorESK_SK_EERKSK_lbbbEUlllE0_EEPmJS9_EEE10hipError_tPvRmT3_T4_T5_T6_T7_T9_mT8_P12ihipStream_tbDpT10_ENKUlT_T0_E_clISt17integral_constantIbLb1EES1A_EEDaS15_S16_EUlS15_E_NS1_11comp_targetILNS1_3genE5ELNS1_11target_archE942ELNS1_3gpuE9ELNS1_3repE0EEENS1_30default_config_static_selectorELNS0_4arch9wavefront6targetE0EEEvT1_.uses_vcc, 0
	.set _ZN7rocprim17ROCPRIM_400000_NS6detail17trampoline_kernelINS0_14default_configENS1_25partition_config_selectorILNS1_17partition_subalgoE9EllbEEZZNS1_14partition_implILS5_9ELb0ES3_jPlS8_PNS0_10empty_typeENS0_5tupleIJS8_S9_EEENSB_IJS8_SA_EEENS0_18inequality_wrapperIZN2at6native12_GLOBAL__N_124unique_dim_cuda_templateIfEESt5tupleIJNSF_6TensorESK_SK_EERKSK_lbbbEUlllE0_EEPmJS9_EEE10hipError_tPvRmT3_T4_T5_T6_T7_T9_mT8_P12ihipStream_tbDpT10_ENKUlT_T0_E_clISt17integral_constantIbLb1EES1A_EEDaS15_S16_EUlS15_E_NS1_11comp_targetILNS1_3genE5ELNS1_11target_archE942ELNS1_3gpuE9ELNS1_3repE0EEENS1_30default_config_static_selectorELNS0_4arch9wavefront6targetE0EEEvT1_.uses_flat_scratch, 0
	.set _ZN7rocprim17ROCPRIM_400000_NS6detail17trampoline_kernelINS0_14default_configENS1_25partition_config_selectorILNS1_17partition_subalgoE9EllbEEZZNS1_14partition_implILS5_9ELb0ES3_jPlS8_PNS0_10empty_typeENS0_5tupleIJS8_S9_EEENSB_IJS8_SA_EEENS0_18inequality_wrapperIZN2at6native12_GLOBAL__N_124unique_dim_cuda_templateIfEESt5tupleIJNSF_6TensorESK_SK_EERKSK_lbbbEUlllE0_EEPmJS9_EEE10hipError_tPvRmT3_T4_T5_T6_T7_T9_mT8_P12ihipStream_tbDpT10_ENKUlT_T0_E_clISt17integral_constantIbLb1EES1A_EEDaS15_S16_EUlS15_E_NS1_11comp_targetILNS1_3genE5ELNS1_11target_archE942ELNS1_3gpuE9ELNS1_3repE0EEENS1_30default_config_static_selectorELNS0_4arch9wavefront6targetE0EEEvT1_.has_dyn_sized_stack, 0
	.set _ZN7rocprim17ROCPRIM_400000_NS6detail17trampoline_kernelINS0_14default_configENS1_25partition_config_selectorILNS1_17partition_subalgoE9EllbEEZZNS1_14partition_implILS5_9ELb0ES3_jPlS8_PNS0_10empty_typeENS0_5tupleIJS8_S9_EEENSB_IJS8_SA_EEENS0_18inequality_wrapperIZN2at6native12_GLOBAL__N_124unique_dim_cuda_templateIfEESt5tupleIJNSF_6TensorESK_SK_EERKSK_lbbbEUlllE0_EEPmJS9_EEE10hipError_tPvRmT3_T4_T5_T6_T7_T9_mT8_P12ihipStream_tbDpT10_ENKUlT_T0_E_clISt17integral_constantIbLb1EES1A_EEDaS15_S16_EUlS15_E_NS1_11comp_targetILNS1_3genE5ELNS1_11target_archE942ELNS1_3gpuE9ELNS1_3repE0EEENS1_30default_config_static_selectorELNS0_4arch9wavefront6targetE0EEEvT1_.has_recursion, 0
	.set _ZN7rocprim17ROCPRIM_400000_NS6detail17trampoline_kernelINS0_14default_configENS1_25partition_config_selectorILNS1_17partition_subalgoE9EllbEEZZNS1_14partition_implILS5_9ELb0ES3_jPlS8_PNS0_10empty_typeENS0_5tupleIJS8_S9_EEENSB_IJS8_SA_EEENS0_18inequality_wrapperIZN2at6native12_GLOBAL__N_124unique_dim_cuda_templateIfEESt5tupleIJNSF_6TensorESK_SK_EERKSK_lbbbEUlllE0_EEPmJS9_EEE10hipError_tPvRmT3_T4_T5_T6_T7_T9_mT8_P12ihipStream_tbDpT10_ENKUlT_T0_E_clISt17integral_constantIbLb1EES1A_EEDaS15_S16_EUlS15_E_NS1_11comp_targetILNS1_3genE5ELNS1_11target_archE942ELNS1_3gpuE9ELNS1_3repE0EEENS1_30default_config_static_selectorELNS0_4arch9wavefront6targetE0EEEvT1_.has_indirect_call, 0
	.section	.AMDGPU.csdata,"",@progbits
; Kernel info:
; codeLenInByte = 0
; TotalNumSgprs: 0
; NumVgprs: 0
; ScratchSize: 0
; MemoryBound: 0
; FloatMode: 240
; IeeeMode: 1
; LDSByteSize: 0 bytes/workgroup (compile time only)
; SGPRBlocks: 0
; VGPRBlocks: 0
; NumSGPRsForWavesPerEU: 1
; NumVGPRsForWavesPerEU: 1
; NamedBarCnt: 0
; Occupancy: 16
; WaveLimiterHint : 0
; COMPUTE_PGM_RSRC2:SCRATCH_EN: 0
; COMPUTE_PGM_RSRC2:USER_SGPR: 2
; COMPUTE_PGM_RSRC2:TRAP_HANDLER: 0
; COMPUTE_PGM_RSRC2:TGID_X_EN: 1
; COMPUTE_PGM_RSRC2:TGID_Y_EN: 0
; COMPUTE_PGM_RSRC2:TGID_Z_EN: 0
; COMPUTE_PGM_RSRC2:TIDIG_COMP_CNT: 0
	.section	.text._ZN7rocprim17ROCPRIM_400000_NS6detail17trampoline_kernelINS0_14default_configENS1_25partition_config_selectorILNS1_17partition_subalgoE9EllbEEZZNS1_14partition_implILS5_9ELb0ES3_jPlS8_PNS0_10empty_typeENS0_5tupleIJS8_S9_EEENSB_IJS8_SA_EEENS0_18inequality_wrapperIZN2at6native12_GLOBAL__N_124unique_dim_cuda_templateIfEESt5tupleIJNSF_6TensorESK_SK_EERKSK_lbbbEUlllE0_EEPmJS9_EEE10hipError_tPvRmT3_T4_T5_T6_T7_T9_mT8_P12ihipStream_tbDpT10_ENKUlT_T0_E_clISt17integral_constantIbLb1EES1A_EEDaS15_S16_EUlS15_E_NS1_11comp_targetILNS1_3genE4ELNS1_11target_archE910ELNS1_3gpuE8ELNS1_3repE0EEENS1_30default_config_static_selectorELNS0_4arch9wavefront6targetE0EEEvT1_,"axG",@progbits,_ZN7rocprim17ROCPRIM_400000_NS6detail17trampoline_kernelINS0_14default_configENS1_25partition_config_selectorILNS1_17partition_subalgoE9EllbEEZZNS1_14partition_implILS5_9ELb0ES3_jPlS8_PNS0_10empty_typeENS0_5tupleIJS8_S9_EEENSB_IJS8_SA_EEENS0_18inequality_wrapperIZN2at6native12_GLOBAL__N_124unique_dim_cuda_templateIfEESt5tupleIJNSF_6TensorESK_SK_EERKSK_lbbbEUlllE0_EEPmJS9_EEE10hipError_tPvRmT3_T4_T5_T6_T7_T9_mT8_P12ihipStream_tbDpT10_ENKUlT_T0_E_clISt17integral_constantIbLb1EES1A_EEDaS15_S16_EUlS15_E_NS1_11comp_targetILNS1_3genE4ELNS1_11target_archE910ELNS1_3gpuE8ELNS1_3repE0EEENS1_30default_config_static_selectorELNS0_4arch9wavefront6targetE0EEEvT1_,comdat
	.globl	_ZN7rocprim17ROCPRIM_400000_NS6detail17trampoline_kernelINS0_14default_configENS1_25partition_config_selectorILNS1_17partition_subalgoE9EllbEEZZNS1_14partition_implILS5_9ELb0ES3_jPlS8_PNS0_10empty_typeENS0_5tupleIJS8_S9_EEENSB_IJS8_SA_EEENS0_18inequality_wrapperIZN2at6native12_GLOBAL__N_124unique_dim_cuda_templateIfEESt5tupleIJNSF_6TensorESK_SK_EERKSK_lbbbEUlllE0_EEPmJS9_EEE10hipError_tPvRmT3_T4_T5_T6_T7_T9_mT8_P12ihipStream_tbDpT10_ENKUlT_T0_E_clISt17integral_constantIbLb1EES1A_EEDaS15_S16_EUlS15_E_NS1_11comp_targetILNS1_3genE4ELNS1_11target_archE910ELNS1_3gpuE8ELNS1_3repE0EEENS1_30default_config_static_selectorELNS0_4arch9wavefront6targetE0EEEvT1_ ; -- Begin function _ZN7rocprim17ROCPRIM_400000_NS6detail17trampoline_kernelINS0_14default_configENS1_25partition_config_selectorILNS1_17partition_subalgoE9EllbEEZZNS1_14partition_implILS5_9ELb0ES3_jPlS8_PNS0_10empty_typeENS0_5tupleIJS8_S9_EEENSB_IJS8_SA_EEENS0_18inequality_wrapperIZN2at6native12_GLOBAL__N_124unique_dim_cuda_templateIfEESt5tupleIJNSF_6TensorESK_SK_EERKSK_lbbbEUlllE0_EEPmJS9_EEE10hipError_tPvRmT3_T4_T5_T6_T7_T9_mT8_P12ihipStream_tbDpT10_ENKUlT_T0_E_clISt17integral_constantIbLb1EES1A_EEDaS15_S16_EUlS15_E_NS1_11comp_targetILNS1_3genE4ELNS1_11target_archE910ELNS1_3gpuE8ELNS1_3repE0EEENS1_30default_config_static_selectorELNS0_4arch9wavefront6targetE0EEEvT1_
	.p2align	8
	.type	_ZN7rocprim17ROCPRIM_400000_NS6detail17trampoline_kernelINS0_14default_configENS1_25partition_config_selectorILNS1_17partition_subalgoE9EllbEEZZNS1_14partition_implILS5_9ELb0ES3_jPlS8_PNS0_10empty_typeENS0_5tupleIJS8_S9_EEENSB_IJS8_SA_EEENS0_18inequality_wrapperIZN2at6native12_GLOBAL__N_124unique_dim_cuda_templateIfEESt5tupleIJNSF_6TensorESK_SK_EERKSK_lbbbEUlllE0_EEPmJS9_EEE10hipError_tPvRmT3_T4_T5_T6_T7_T9_mT8_P12ihipStream_tbDpT10_ENKUlT_T0_E_clISt17integral_constantIbLb1EES1A_EEDaS15_S16_EUlS15_E_NS1_11comp_targetILNS1_3genE4ELNS1_11target_archE910ELNS1_3gpuE8ELNS1_3repE0EEENS1_30default_config_static_selectorELNS0_4arch9wavefront6targetE0EEEvT1_,@function
_ZN7rocprim17ROCPRIM_400000_NS6detail17trampoline_kernelINS0_14default_configENS1_25partition_config_selectorILNS1_17partition_subalgoE9EllbEEZZNS1_14partition_implILS5_9ELb0ES3_jPlS8_PNS0_10empty_typeENS0_5tupleIJS8_S9_EEENSB_IJS8_SA_EEENS0_18inequality_wrapperIZN2at6native12_GLOBAL__N_124unique_dim_cuda_templateIfEESt5tupleIJNSF_6TensorESK_SK_EERKSK_lbbbEUlllE0_EEPmJS9_EEE10hipError_tPvRmT3_T4_T5_T6_T7_T9_mT8_P12ihipStream_tbDpT10_ENKUlT_T0_E_clISt17integral_constantIbLb1EES1A_EEDaS15_S16_EUlS15_E_NS1_11comp_targetILNS1_3genE4ELNS1_11target_archE910ELNS1_3gpuE8ELNS1_3repE0EEENS1_30default_config_static_selectorELNS0_4arch9wavefront6targetE0EEEvT1_: ; @_ZN7rocprim17ROCPRIM_400000_NS6detail17trampoline_kernelINS0_14default_configENS1_25partition_config_selectorILNS1_17partition_subalgoE9EllbEEZZNS1_14partition_implILS5_9ELb0ES3_jPlS8_PNS0_10empty_typeENS0_5tupleIJS8_S9_EEENSB_IJS8_SA_EEENS0_18inequality_wrapperIZN2at6native12_GLOBAL__N_124unique_dim_cuda_templateIfEESt5tupleIJNSF_6TensorESK_SK_EERKSK_lbbbEUlllE0_EEPmJS9_EEE10hipError_tPvRmT3_T4_T5_T6_T7_T9_mT8_P12ihipStream_tbDpT10_ENKUlT_T0_E_clISt17integral_constantIbLb1EES1A_EEDaS15_S16_EUlS15_E_NS1_11comp_targetILNS1_3genE4ELNS1_11target_archE910ELNS1_3gpuE8ELNS1_3repE0EEENS1_30default_config_static_selectorELNS0_4arch9wavefront6targetE0EEEvT1_
; %bb.0:
	.section	.rodata,"a",@progbits
	.p2align	6, 0x0
	.amdhsa_kernel _ZN7rocprim17ROCPRIM_400000_NS6detail17trampoline_kernelINS0_14default_configENS1_25partition_config_selectorILNS1_17partition_subalgoE9EllbEEZZNS1_14partition_implILS5_9ELb0ES3_jPlS8_PNS0_10empty_typeENS0_5tupleIJS8_S9_EEENSB_IJS8_SA_EEENS0_18inequality_wrapperIZN2at6native12_GLOBAL__N_124unique_dim_cuda_templateIfEESt5tupleIJNSF_6TensorESK_SK_EERKSK_lbbbEUlllE0_EEPmJS9_EEE10hipError_tPvRmT3_T4_T5_T6_T7_T9_mT8_P12ihipStream_tbDpT10_ENKUlT_T0_E_clISt17integral_constantIbLb1EES1A_EEDaS15_S16_EUlS15_E_NS1_11comp_targetILNS1_3genE4ELNS1_11target_archE910ELNS1_3gpuE8ELNS1_3repE0EEENS1_30default_config_static_selectorELNS0_4arch9wavefront6targetE0EEEvT1_
		.amdhsa_group_segment_fixed_size 0
		.amdhsa_private_segment_fixed_size 0
		.amdhsa_kernarg_size 136
		.amdhsa_user_sgpr_count 2
		.amdhsa_user_sgpr_dispatch_ptr 0
		.amdhsa_user_sgpr_queue_ptr 0
		.amdhsa_user_sgpr_kernarg_segment_ptr 1
		.amdhsa_user_sgpr_dispatch_id 0
		.amdhsa_user_sgpr_kernarg_preload_length 0
		.amdhsa_user_sgpr_kernarg_preload_offset 0
		.amdhsa_user_sgpr_private_segment_size 0
		.amdhsa_wavefront_size32 1
		.amdhsa_uses_dynamic_stack 0
		.amdhsa_enable_private_segment 0
		.amdhsa_system_sgpr_workgroup_id_x 1
		.amdhsa_system_sgpr_workgroup_id_y 0
		.amdhsa_system_sgpr_workgroup_id_z 0
		.amdhsa_system_sgpr_workgroup_info 0
		.amdhsa_system_vgpr_workitem_id 0
		.amdhsa_next_free_vgpr 1
		.amdhsa_next_free_sgpr 1
		.amdhsa_named_barrier_count 0
		.amdhsa_reserve_vcc 0
		.amdhsa_float_round_mode_32 0
		.amdhsa_float_round_mode_16_64 0
		.amdhsa_float_denorm_mode_32 3
		.amdhsa_float_denorm_mode_16_64 3
		.amdhsa_fp16_overflow 0
		.amdhsa_memory_ordered 1
		.amdhsa_forward_progress 1
		.amdhsa_inst_pref_size 0
		.amdhsa_round_robin_scheduling 0
		.amdhsa_exception_fp_ieee_invalid_op 0
		.amdhsa_exception_fp_denorm_src 0
		.amdhsa_exception_fp_ieee_div_zero 0
		.amdhsa_exception_fp_ieee_overflow 0
		.amdhsa_exception_fp_ieee_underflow 0
		.amdhsa_exception_fp_ieee_inexact 0
		.amdhsa_exception_int_div_zero 0
	.end_amdhsa_kernel
	.section	.text._ZN7rocprim17ROCPRIM_400000_NS6detail17trampoline_kernelINS0_14default_configENS1_25partition_config_selectorILNS1_17partition_subalgoE9EllbEEZZNS1_14partition_implILS5_9ELb0ES3_jPlS8_PNS0_10empty_typeENS0_5tupleIJS8_S9_EEENSB_IJS8_SA_EEENS0_18inequality_wrapperIZN2at6native12_GLOBAL__N_124unique_dim_cuda_templateIfEESt5tupleIJNSF_6TensorESK_SK_EERKSK_lbbbEUlllE0_EEPmJS9_EEE10hipError_tPvRmT3_T4_T5_T6_T7_T9_mT8_P12ihipStream_tbDpT10_ENKUlT_T0_E_clISt17integral_constantIbLb1EES1A_EEDaS15_S16_EUlS15_E_NS1_11comp_targetILNS1_3genE4ELNS1_11target_archE910ELNS1_3gpuE8ELNS1_3repE0EEENS1_30default_config_static_selectorELNS0_4arch9wavefront6targetE0EEEvT1_,"axG",@progbits,_ZN7rocprim17ROCPRIM_400000_NS6detail17trampoline_kernelINS0_14default_configENS1_25partition_config_selectorILNS1_17partition_subalgoE9EllbEEZZNS1_14partition_implILS5_9ELb0ES3_jPlS8_PNS0_10empty_typeENS0_5tupleIJS8_S9_EEENSB_IJS8_SA_EEENS0_18inequality_wrapperIZN2at6native12_GLOBAL__N_124unique_dim_cuda_templateIfEESt5tupleIJNSF_6TensorESK_SK_EERKSK_lbbbEUlllE0_EEPmJS9_EEE10hipError_tPvRmT3_T4_T5_T6_T7_T9_mT8_P12ihipStream_tbDpT10_ENKUlT_T0_E_clISt17integral_constantIbLb1EES1A_EEDaS15_S16_EUlS15_E_NS1_11comp_targetILNS1_3genE4ELNS1_11target_archE910ELNS1_3gpuE8ELNS1_3repE0EEENS1_30default_config_static_selectorELNS0_4arch9wavefront6targetE0EEEvT1_,comdat
.Lfunc_end971:
	.size	_ZN7rocprim17ROCPRIM_400000_NS6detail17trampoline_kernelINS0_14default_configENS1_25partition_config_selectorILNS1_17partition_subalgoE9EllbEEZZNS1_14partition_implILS5_9ELb0ES3_jPlS8_PNS0_10empty_typeENS0_5tupleIJS8_S9_EEENSB_IJS8_SA_EEENS0_18inequality_wrapperIZN2at6native12_GLOBAL__N_124unique_dim_cuda_templateIfEESt5tupleIJNSF_6TensorESK_SK_EERKSK_lbbbEUlllE0_EEPmJS9_EEE10hipError_tPvRmT3_T4_T5_T6_T7_T9_mT8_P12ihipStream_tbDpT10_ENKUlT_T0_E_clISt17integral_constantIbLb1EES1A_EEDaS15_S16_EUlS15_E_NS1_11comp_targetILNS1_3genE4ELNS1_11target_archE910ELNS1_3gpuE8ELNS1_3repE0EEENS1_30default_config_static_selectorELNS0_4arch9wavefront6targetE0EEEvT1_, .Lfunc_end971-_ZN7rocprim17ROCPRIM_400000_NS6detail17trampoline_kernelINS0_14default_configENS1_25partition_config_selectorILNS1_17partition_subalgoE9EllbEEZZNS1_14partition_implILS5_9ELb0ES3_jPlS8_PNS0_10empty_typeENS0_5tupleIJS8_S9_EEENSB_IJS8_SA_EEENS0_18inequality_wrapperIZN2at6native12_GLOBAL__N_124unique_dim_cuda_templateIfEESt5tupleIJNSF_6TensorESK_SK_EERKSK_lbbbEUlllE0_EEPmJS9_EEE10hipError_tPvRmT3_T4_T5_T6_T7_T9_mT8_P12ihipStream_tbDpT10_ENKUlT_T0_E_clISt17integral_constantIbLb1EES1A_EEDaS15_S16_EUlS15_E_NS1_11comp_targetILNS1_3genE4ELNS1_11target_archE910ELNS1_3gpuE8ELNS1_3repE0EEENS1_30default_config_static_selectorELNS0_4arch9wavefront6targetE0EEEvT1_
                                        ; -- End function
	.set _ZN7rocprim17ROCPRIM_400000_NS6detail17trampoline_kernelINS0_14default_configENS1_25partition_config_selectorILNS1_17partition_subalgoE9EllbEEZZNS1_14partition_implILS5_9ELb0ES3_jPlS8_PNS0_10empty_typeENS0_5tupleIJS8_S9_EEENSB_IJS8_SA_EEENS0_18inequality_wrapperIZN2at6native12_GLOBAL__N_124unique_dim_cuda_templateIfEESt5tupleIJNSF_6TensorESK_SK_EERKSK_lbbbEUlllE0_EEPmJS9_EEE10hipError_tPvRmT3_T4_T5_T6_T7_T9_mT8_P12ihipStream_tbDpT10_ENKUlT_T0_E_clISt17integral_constantIbLb1EES1A_EEDaS15_S16_EUlS15_E_NS1_11comp_targetILNS1_3genE4ELNS1_11target_archE910ELNS1_3gpuE8ELNS1_3repE0EEENS1_30default_config_static_selectorELNS0_4arch9wavefront6targetE0EEEvT1_.num_vgpr, 0
	.set _ZN7rocprim17ROCPRIM_400000_NS6detail17trampoline_kernelINS0_14default_configENS1_25partition_config_selectorILNS1_17partition_subalgoE9EllbEEZZNS1_14partition_implILS5_9ELb0ES3_jPlS8_PNS0_10empty_typeENS0_5tupleIJS8_S9_EEENSB_IJS8_SA_EEENS0_18inequality_wrapperIZN2at6native12_GLOBAL__N_124unique_dim_cuda_templateIfEESt5tupleIJNSF_6TensorESK_SK_EERKSK_lbbbEUlllE0_EEPmJS9_EEE10hipError_tPvRmT3_T4_T5_T6_T7_T9_mT8_P12ihipStream_tbDpT10_ENKUlT_T0_E_clISt17integral_constantIbLb1EES1A_EEDaS15_S16_EUlS15_E_NS1_11comp_targetILNS1_3genE4ELNS1_11target_archE910ELNS1_3gpuE8ELNS1_3repE0EEENS1_30default_config_static_selectorELNS0_4arch9wavefront6targetE0EEEvT1_.num_agpr, 0
	.set _ZN7rocprim17ROCPRIM_400000_NS6detail17trampoline_kernelINS0_14default_configENS1_25partition_config_selectorILNS1_17partition_subalgoE9EllbEEZZNS1_14partition_implILS5_9ELb0ES3_jPlS8_PNS0_10empty_typeENS0_5tupleIJS8_S9_EEENSB_IJS8_SA_EEENS0_18inequality_wrapperIZN2at6native12_GLOBAL__N_124unique_dim_cuda_templateIfEESt5tupleIJNSF_6TensorESK_SK_EERKSK_lbbbEUlllE0_EEPmJS9_EEE10hipError_tPvRmT3_T4_T5_T6_T7_T9_mT8_P12ihipStream_tbDpT10_ENKUlT_T0_E_clISt17integral_constantIbLb1EES1A_EEDaS15_S16_EUlS15_E_NS1_11comp_targetILNS1_3genE4ELNS1_11target_archE910ELNS1_3gpuE8ELNS1_3repE0EEENS1_30default_config_static_selectorELNS0_4arch9wavefront6targetE0EEEvT1_.numbered_sgpr, 0
	.set _ZN7rocprim17ROCPRIM_400000_NS6detail17trampoline_kernelINS0_14default_configENS1_25partition_config_selectorILNS1_17partition_subalgoE9EllbEEZZNS1_14partition_implILS5_9ELb0ES3_jPlS8_PNS0_10empty_typeENS0_5tupleIJS8_S9_EEENSB_IJS8_SA_EEENS0_18inequality_wrapperIZN2at6native12_GLOBAL__N_124unique_dim_cuda_templateIfEESt5tupleIJNSF_6TensorESK_SK_EERKSK_lbbbEUlllE0_EEPmJS9_EEE10hipError_tPvRmT3_T4_T5_T6_T7_T9_mT8_P12ihipStream_tbDpT10_ENKUlT_T0_E_clISt17integral_constantIbLb1EES1A_EEDaS15_S16_EUlS15_E_NS1_11comp_targetILNS1_3genE4ELNS1_11target_archE910ELNS1_3gpuE8ELNS1_3repE0EEENS1_30default_config_static_selectorELNS0_4arch9wavefront6targetE0EEEvT1_.num_named_barrier, 0
	.set _ZN7rocprim17ROCPRIM_400000_NS6detail17trampoline_kernelINS0_14default_configENS1_25partition_config_selectorILNS1_17partition_subalgoE9EllbEEZZNS1_14partition_implILS5_9ELb0ES3_jPlS8_PNS0_10empty_typeENS0_5tupleIJS8_S9_EEENSB_IJS8_SA_EEENS0_18inequality_wrapperIZN2at6native12_GLOBAL__N_124unique_dim_cuda_templateIfEESt5tupleIJNSF_6TensorESK_SK_EERKSK_lbbbEUlllE0_EEPmJS9_EEE10hipError_tPvRmT3_T4_T5_T6_T7_T9_mT8_P12ihipStream_tbDpT10_ENKUlT_T0_E_clISt17integral_constantIbLb1EES1A_EEDaS15_S16_EUlS15_E_NS1_11comp_targetILNS1_3genE4ELNS1_11target_archE910ELNS1_3gpuE8ELNS1_3repE0EEENS1_30default_config_static_selectorELNS0_4arch9wavefront6targetE0EEEvT1_.private_seg_size, 0
	.set _ZN7rocprim17ROCPRIM_400000_NS6detail17trampoline_kernelINS0_14default_configENS1_25partition_config_selectorILNS1_17partition_subalgoE9EllbEEZZNS1_14partition_implILS5_9ELb0ES3_jPlS8_PNS0_10empty_typeENS0_5tupleIJS8_S9_EEENSB_IJS8_SA_EEENS0_18inequality_wrapperIZN2at6native12_GLOBAL__N_124unique_dim_cuda_templateIfEESt5tupleIJNSF_6TensorESK_SK_EERKSK_lbbbEUlllE0_EEPmJS9_EEE10hipError_tPvRmT3_T4_T5_T6_T7_T9_mT8_P12ihipStream_tbDpT10_ENKUlT_T0_E_clISt17integral_constantIbLb1EES1A_EEDaS15_S16_EUlS15_E_NS1_11comp_targetILNS1_3genE4ELNS1_11target_archE910ELNS1_3gpuE8ELNS1_3repE0EEENS1_30default_config_static_selectorELNS0_4arch9wavefront6targetE0EEEvT1_.uses_vcc, 0
	.set _ZN7rocprim17ROCPRIM_400000_NS6detail17trampoline_kernelINS0_14default_configENS1_25partition_config_selectorILNS1_17partition_subalgoE9EllbEEZZNS1_14partition_implILS5_9ELb0ES3_jPlS8_PNS0_10empty_typeENS0_5tupleIJS8_S9_EEENSB_IJS8_SA_EEENS0_18inequality_wrapperIZN2at6native12_GLOBAL__N_124unique_dim_cuda_templateIfEESt5tupleIJNSF_6TensorESK_SK_EERKSK_lbbbEUlllE0_EEPmJS9_EEE10hipError_tPvRmT3_T4_T5_T6_T7_T9_mT8_P12ihipStream_tbDpT10_ENKUlT_T0_E_clISt17integral_constantIbLb1EES1A_EEDaS15_S16_EUlS15_E_NS1_11comp_targetILNS1_3genE4ELNS1_11target_archE910ELNS1_3gpuE8ELNS1_3repE0EEENS1_30default_config_static_selectorELNS0_4arch9wavefront6targetE0EEEvT1_.uses_flat_scratch, 0
	.set _ZN7rocprim17ROCPRIM_400000_NS6detail17trampoline_kernelINS0_14default_configENS1_25partition_config_selectorILNS1_17partition_subalgoE9EllbEEZZNS1_14partition_implILS5_9ELb0ES3_jPlS8_PNS0_10empty_typeENS0_5tupleIJS8_S9_EEENSB_IJS8_SA_EEENS0_18inequality_wrapperIZN2at6native12_GLOBAL__N_124unique_dim_cuda_templateIfEESt5tupleIJNSF_6TensorESK_SK_EERKSK_lbbbEUlllE0_EEPmJS9_EEE10hipError_tPvRmT3_T4_T5_T6_T7_T9_mT8_P12ihipStream_tbDpT10_ENKUlT_T0_E_clISt17integral_constantIbLb1EES1A_EEDaS15_S16_EUlS15_E_NS1_11comp_targetILNS1_3genE4ELNS1_11target_archE910ELNS1_3gpuE8ELNS1_3repE0EEENS1_30default_config_static_selectorELNS0_4arch9wavefront6targetE0EEEvT1_.has_dyn_sized_stack, 0
	.set _ZN7rocprim17ROCPRIM_400000_NS6detail17trampoline_kernelINS0_14default_configENS1_25partition_config_selectorILNS1_17partition_subalgoE9EllbEEZZNS1_14partition_implILS5_9ELb0ES3_jPlS8_PNS0_10empty_typeENS0_5tupleIJS8_S9_EEENSB_IJS8_SA_EEENS0_18inequality_wrapperIZN2at6native12_GLOBAL__N_124unique_dim_cuda_templateIfEESt5tupleIJNSF_6TensorESK_SK_EERKSK_lbbbEUlllE0_EEPmJS9_EEE10hipError_tPvRmT3_T4_T5_T6_T7_T9_mT8_P12ihipStream_tbDpT10_ENKUlT_T0_E_clISt17integral_constantIbLb1EES1A_EEDaS15_S16_EUlS15_E_NS1_11comp_targetILNS1_3genE4ELNS1_11target_archE910ELNS1_3gpuE8ELNS1_3repE0EEENS1_30default_config_static_selectorELNS0_4arch9wavefront6targetE0EEEvT1_.has_recursion, 0
	.set _ZN7rocprim17ROCPRIM_400000_NS6detail17trampoline_kernelINS0_14default_configENS1_25partition_config_selectorILNS1_17partition_subalgoE9EllbEEZZNS1_14partition_implILS5_9ELb0ES3_jPlS8_PNS0_10empty_typeENS0_5tupleIJS8_S9_EEENSB_IJS8_SA_EEENS0_18inequality_wrapperIZN2at6native12_GLOBAL__N_124unique_dim_cuda_templateIfEESt5tupleIJNSF_6TensorESK_SK_EERKSK_lbbbEUlllE0_EEPmJS9_EEE10hipError_tPvRmT3_T4_T5_T6_T7_T9_mT8_P12ihipStream_tbDpT10_ENKUlT_T0_E_clISt17integral_constantIbLb1EES1A_EEDaS15_S16_EUlS15_E_NS1_11comp_targetILNS1_3genE4ELNS1_11target_archE910ELNS1_3gpuE8ELNS1_3repE0EEENS1_30default_config_static_selectorELNS0_4arch9wavefront6targetE0EEEvT1_.has_indirect_call, 0
	.section	.AMDGPU.csdata,"",@progbits
; Kernel info:
; codeLenInByte = 0
; TotalNumSgprs: 0
; NumVgprs: 0
; ScratchSize: 0
; MemoryBound: 0
; FloatMode: 240
; IeeeMode: 1
; LDSByteSize: 0 bytes/workgroup (compile time only)
; SGPRBlocks: 0
; VGPRBlocks: 0
; NumSGPRsForWavesPerEU: 1
; NumVGPRsForWavesPerEU: 1
; NamedBarCnt: 0
; Occupancy: 16
; WaveLimiterHint : 0
; COMPUTE_PGM_RSRC2:SCRATCH_EN: 0
; COMPUTE_PGM_RSRC2:USER_SGPR: 2
; COMPUTE_PGM_RSRC2:TRAP_HANDLER: 0
; COMPUTE_PGM_RSRC2:TGID_X_EN: 1
; COMPUTE_PGM_RSRC2:TGID_Y_EN: 0
; COMPUTE_PGM_RSRC2:TGID_Z_EN: 0
; COMPUTE_PGM_RSRC2:TIDIG_COMP_CNT: 0
	.section	.text._ZN7rocprim17ROCPRIM_400000_NS6detail17trampoline_kernelINS0_14default_configENS1_25partition_config_selectorILNS1_17partition_subalgoE9EllbEEZZNS1_14partition_implILS5_9ELb0ES3_jPlS8_PNS0_10empty_typeENS0_5tupleIJS8_S9_EEENSB_IJS8_SA_EEENS0_18inequality_wrapperIZN2at6native12_GLOBAL__N_124unique_dim_cuda_templateIfEESt5tupleIJNSF_6TensorESK_SK_EERKSK_lbbbEUlllE0_EEPmJS9_EEE10hipError_tPvRmT3_T4_T5_T6_T7_T9_mT8_P12ihipStream_tbDpT10_ENKUlT_T0_E_clISt17integral_constantIbLb1EES1A_EEDaS15_S16_EUlS15_E_NS1_11comp_targetILNS1_3genE3ELNS1_11target_archE908ELNS1_3gpuE7ELNS1_3repE0EEENS1_30default_config_static_selectorELNS0_4arch9wavefront6targetE0EEEvT1_,"axG",@progbits,_ZN7rocprim17ROCPRIM_400000_NS6detail17trampoline_kernelINS0_14default_configENS1_25partition_config_selectorILNS1_17partition_subalgoE9EllbEEZZNS1_14partition_implILS5_9ELb0ES3_jPlS8_PNS0_10empty_typeENS0_5tupleIJS8_S9_EEENSB_IJS8_SA_EEENS0_18inequality_wrapperIZN2at6native12_GLOBAL__N_124unique_dim_cuda_templateIfEESt5tupleIJNSF_6TensorESK_SK_EERKSK_lbbbEUlllE0_EEPmJS9_EEE10hipError_tPvRmT3_T4_T5_T6_T7_T9_mT8_P12ihipStream_tbDpT10_ENKUlT_T0_E_clISt17integral_constantIbLb1EES1A_EEDaS15_S16_EUlS15_E_NS1_11comp_targetILNS1_3genE3ELNS1_11target_archE908ELNS1_3gpuE7ELNS1_3repE0EEENS1_30default_config_static_selectorELNS0_4arch9wavefront6targetE0EEEvT1_,comdat
	.globl	_ZN7rocprim17ROCPRIM_400000_NS6detail17trampoline_kernelINS0_14default_configENS1_25partition_config_selectorILNS1_17partition_subalgoE9EllbEEZZNS1_14partition_implILS5_9ELb0ES3_jPlS8_PNS0_10empty_typeENS0_5tupleIJS8_S9_EEENSB_IJS8_SA_EEENS0_18inequality_wrapperIZN2at6native12_GLOBAL__N_124unique_dim_cuda_templateIfEESt5tupleIJNSF_6TensorESK_SK_EERKSK_lbbbEUlllE0_EEPmJS9_EEE10hipError_tPvRmT3_T4_T5_T6_T7_T9_mT8_P12ihipStream_tbDpT10_ENKUlT_T0_E_clISt17integral_constantIbLb1EES1A_EEDaS15_S16_EUlS15_E_NS1_11comp_targetILNS1_3genE3ELNS1_11target_archE908ELNS1_3gpuE7ELNS1_3repE0EEENS1_30default_config_static_selectorELNS0_4arch9wavefront6targetE0EEEvT1_ ; -- Begin function _ZN7rocprim17ROCPRIM_400000_NS6detail17trampoline_kernelINS0_14default_configENS1_25partition_config_selectorILNS1_17partition_subalgoE9EllbEEZZNS1_14partition_implILS5_9ELb0ES3_jPlS8_PNS0_10empty_typeENS0_5tupleIJS8_S9_EEENSB_IJS8_SA_EEENS0_18inequality_wrapperIZN2at6native12_GLOBAL__N_124unique_dim_cuda_templateIfEESt5tupleIJNSF_6TensorESK_SK_EERKSK_lbbbEUlllE0_EEPmJS9_EEE10hipError_tPvRmT3_T4_T5_T6_T7_T9_mT8_P12ihipStream_tbDpT10_ENKUlT_T0_E_clISt17integral_constantIbLb1EES1A_EEDaS15_S16_EUlS15_E_NS1_11comp_targetILNS1_3genE3ELNS1_11target_archE908ELNS1_3gpuE7ELNS1_3repE0EEENS1_30default_config_static_selectorELNS0_4arch9wavefront6targetE0EEEvT1_
	.p2align	8
	.type	_ZN7rocprim17ROCPRIM_400000_NS6detail17trampoline_kernelINS0_14default_configENS1_25partition_config_selectorILNS1_17partition_subalgoE9EllbEEZZNS1_14partition_implILS5_9ELb0ES3_jPlS8_PNS0_10empty_typeENS0_5tupleIJS8_S9_EEENSB_IJS8_SA_EEENS0_18inequality_wrapperIZN2at6native12_GLOBAL__N_124unique_dim_cuda_templateIfEESt5tupleIJNSF_6TensorESK_SK_EERKSK_lbbbEUlllE0_EEPmJS9_EEE10hipError_tPvRmT3_T4_T5_T6_T7_T9_mT8_P12ihipStream_tbDpT10_ENKUlT_T0_E_clISt17integral_constantIbLb1EES1A_EEDaS15_S16_EUlS15_E_NS1_11comp_targetILNS1_3genE3ELNS1_11target_archE908ELNS1_3gpuE7ELNS1_3repE0EEENS1_30default_config_static_selectorELNS0_4arch9wavefront6targetE0EEEvT1_,@function
_ZN7rocprim17ROCPRIM_400000_NS6detail17trampoline_kernelINS0_14default_configENS1_25partition_config_selectorILNS1_17partition_subalgoE9EllbEEZZNS1_14partition_implILS5_9ELb0ES3_jPlS8_PNS0_10empty_typeENS0_5tupleIJS8_S9_EEENSB_IJS8_SA_EEENS0_18inequality_wrapperIZN2at6native12_GLOBAL__N_124unique_dim_cuda_templateIfEESt5tupleIJNSF_6TensorESK_SK_EERKSK_lbbbEUlllE0_EEPmJS9_EEE10hipError_tPvRmT3_T4_T5_T6_T7_T9_mT8_P12ihipStream_tbDpT10_ENKUlT_T0_E_clISt17integral_constantIbLb1EES1A_EEDaS15_S16_EUlS15_E_NS1_11comp_targetILNS1_3genE3ELNS1_11target_archE908ELNS1_3gpuE7ELNS1_3repE0EEENS1_30default_config_static_selectorELNS0_4arch9wavefront6targetE0EEEvT1_: ; @_ZN7rocprim17ROCPRIM_400000_NS6detail17trampoline_kernelINS0_14default_configENS1_25partition_config_selectorILNS1_17partition_subalgoE9EllbEEZZNS1_14partition_implILS5_9ELb0ES3_jPlS8_PNS0_10empty_typeENS0_5tupleIJS8_S9_EEENSB_IJS8_SA_EEENS0_18inequality_wrapperIZN2at6native12_GLOBAL__N_124unique_dim_cuda_templateIfEESt5tupleIJNSF_6TensorESK_SK_EERKSK_lbbbEUlllE0_EEPmJS9_EEE10hipError_tPvRmT3_T4_T5_T6_T7_T9_mT8_P12ihipStream_tbDpT10_ENKUlT_T0_E_clISt17integral_constantIbLb1EES1A_EEDaS15_S16_EUlS15_E_NS1_11comp_targetILNS1_3genE3ELNS1_11target_archE908ELNS1_3gpuE7ELNS1_3repE0EEENS1_30default_config_static_selectorELNS0_4arch9wavefront6targetE0EEEvT1_
; %bb.0:
	.section	.rodata,"a",@progbits
	.p2align	6, 0x0
	.amdhsa_kernel _ZN7rocprim17ROCPRIM_400000_NS6detail17trampoline_kernelINS0_14default_configENS1_25partition_config_selectorILNS1_17partition_subalgoE9EllbEEZZNS1_14partition_implILS5_9ELb0ES3_jPlS8_PNS0_10empty_typeENS0_5tupleIJS8_S9_EEENSB_IJS8_SA_EEENS0_18inequality_wrapperIZN2at6native12_GLOBAL__N_124unique_dim_cuda_templateIfEESt5tupleIJNSF_6TensorESK_SK_EERKSK_lbbbEUlllE0_EEPmJS9_EEE10hipError_tPvRmT3_T4_T5_T6_T7_T9_mT8_P12ihipStream_tbDpT10_ENKUlT_T0_E_clISt17integral_constantIbLb1EES1A_EEDaS15_S16_EUlS15_E_NS1_11comp_targetILNS1_3genE3ELNS1_11target_archE908ELNS1_3gpuE7ELNS1_3repE0EEENS1_30default_config_static_selectorELNS0_4arch9wavefront6targetE0EEEvT1_
		.amdhsa_group_segment_fixed_size 0
		.amdhsa_private_segment_fixed_size 0
		.amdhsa_kernarg_size 136
		.amdhsa_user_sgpr_count 2
		.amdhsa_user_sgpr_dispatch_ptr 0
		.amdhsa_user_sgpr_queue_ptr 0
		.amdhsa_user_sgpr_kernarg_segment_ptr 1
		.amdhsa_user_sgpr_dispatch_id 0
		.amdhsa_user_sgpr_kernarg_preload_length 0
		.amdhsa_user_sgpr_kernarg_preload_offset 0
		.amdhsa_user_sgpr_private_segment_size 0
		.amdhsa_wavefront_size32 1
		.amdhsa_uses_dynamic_stack 0
		.amdhsa_enable_private_segment 0
		.amdhsa_system_sgpr_workgroup_id_x 1
		.amdhsa_system_sgpr_workgroup_id_y 0
		.amdhsa_system_sgpr_workgroup_id_z 0
		.amdhsa_system_sgpr_workgroup_info 0
		.amdhsa_system_vgpr_workitem_id 0
		.amdhsa_next_free_vgpr 1
		.amdhsa_next_free_sgpr 1
		.amdhsa_named_barrier_count 0
		.amdhsa_reserve_vcc 0
		.amdhsa_float_round_mode_32 0
		.amdhsa_float_round_mode_16_64 0
		.amdhsa_float_denorm_mode_32 3
		.amdhsa_float_denorm_mode_16_64 3
		.amdhsa_fp16_overflow 0
		.amdhsa_memory_ordered 1
		.amdhsa_forward_progress 1
		.amdhsa_inst_pref_size 0
		.amdhsa_round_robin_scheduling 0
		.amdhsa_exception_fp_ieee_invalid_op 0
		.amdhsa_exception_fp_denorm_src 0
		.amdhsa_exception_fp_ieee_div_zero 0
		.amdhsa_exception_fp_ieee_overflow 0
		.amdhsa_exception_fp_ieee_underflow 0
		.amdhsa_exception_fp_ieee_inexact 0
		.amdhsa_exception_int_div_zero 0
	.end_amdhsa_kernel
	.section	.text._ZN7rocprim17ROCPRIM_400000_NS6detail17trampoline_kernelINS0_14default_configENS1_25partition_config_selectorILNS1_17partition_subalgoE9EllbEEZZNS1_14partition_implILS5_9ELb0ES3_jPlS8_PNS0_10empty_typeENS0_5tupleIJS8_S9_EEENSB_IJS8_SA_EEENS0_18inequality_wrapperIZN2at6native12_GLOBAL__N_124unique_dim_cuda_templateIfEESt5tupleIJNSF_6TensorESK_SK_EERKSK_lbbbEUlllE0_EEPmJS9_EEE10hipError_tPvRmT3_T4_T5_T6_T7_T9_mT8_P12ihipStream_tbDpT10_ENKUlT_T0_E_clISt17integral_constantIbLb1EES1A_EEDaS15_S16_EUlS15_E_NS1_11comp_targetILNS1_3genE3ELNS1_11target_archE908ELNS1_3gpuE7ELNS1_3repE0EEENS1_30default_config_static_selectorELNS0_4arch9wavefront6targetE0EEEvT1_,"axG",@progbits,_ZN7rocprim17ROCPRIM_400000_NS6detail17trampoline_kernelINS0_14default_configENS1_25partition_config_selectorILNS1_17partition_subalgoE9EllbEEZZNS1_14partition_implILS5_9ELb0ES3_jPlS8_PNS0_10empty_typeENS0_5tupleIJS8_S9_EEENSB_IJS8_SA_EEENS0_18inequality_wrapperIZN2at6native12_GLOBAL__N_124unique_dim_cuda_templateIfEESt5tupleIJNSF_6TensorESK_SK_EERKSK_lbbbEUlllE0_EEPmJS9_EEE10hipError_tPvRmT3_T4_T5_T6_T7_T9_mT8_P12ihipStream_tbDpT10_ENKUlT_T0_E_clISt17integral_constantIbLb1EES1A_EEDaS15_S16_EUlS15_E_NS1_11comp_targetILNS1_3genE3ELNS1_11target_archE908ELNS1_3gpuE7ELNS1_3repE0EEENS1_30default_config_static_selectorELNS0_4arch9wavefront6targetE0EEEvT1_,comdat
.Lfunc_end972:
	.size	_ZN7rocprim17ROCPRIM_400000_NS6detail17trampoline_kernelINS0_14default_configENS1_25partition_config_selectorILNS1_17partition_subalgoE9EllbEEZZNS1_14partition_implILS5_9ELb0ES3_jPlS8_PNS0_10empty_typeENS0_5tupleIJS8_S9_EEENSB_IJS8_SA_EEENS0_18inequality_wrapperIZN2at6native12_GLOBAL__N_124unique_dim_cuda_templateIfEESt5tupleIJNSF_6TensorESK_SK_EERKSK_lbbbEUlllE0_EEPmJS9_EEE10hipError_tPvRmT3_T4_T5_T6_T7_T9_mT8_P12ihipStream_tbDpT10_ENKUlT_T0_E_clISt17integral_constantIbLb1EES1A_EEDaS15_S16_EUlS15_E_NS1_11comp_targetILNS1_3genE3ELNS1_11target_archE908ELNS1_3gpuE7ELNS1_3repE0EEENS1_30default_config_static_selectorELNS0_4arch9wavefront6targetE0EEEvT1_, .Lfunc_end972-_ZN7rocprim17ROCPRIM_400000_NS6detail17trampoline_kernelINS0_14default_configENS1_25partition_config_selectorILNS1_17partition_subalgoE9EllbEEZZNS1_14partition_implILS5_9ELb0ES3_jPlS8_PNS0_10empty_typeENS0_5tupleIJS8_S9_EEENSB_IJS8_SA_EEENS0_18inequality_wrapperIZN2at6native12_GLOBAL__N_124unique_dim_cuda_templateIfEESt5tupleIJNSF_6TensorESK_SK_EERKSK_lbbbEUlllE0_EEPmJS9_EEE10hipError_tPvRmT3_T4_T5_T6_T7_T9_mT8_P12ihipStream_tbDpT10_ENKUlT_T0_E_clISt17integral_constantIbLb1EES1A_EEDaS15_S16_EUlS15_E_NS1_11comp_targetILNS1_3genE3ELNS1_11target_archE908ELNS1_3gpuE7ELNS1_3repE0EEENS1_30default_config_static_selectorELNS0_4arch9wavefront6targetE0EEEvT1_
                                        ; -- End function
	.set _ZN7rocprim17ROCPRIM_400000_NS6detail17trampoline_kernelINS0_14default_configENS1_25partition_config_selectorILNS1_17partition_subalgoE9EllbEEZZNS1_14partition_implILS5_9ELb0ES3_jPlS8_PNS0_10empty_typeENS0_5tupleIJS8_S9_EEENSB_IJS8_SA_EEENS0_18inequality_wrapperIZN2at6native12_GLOBAL__N_124unique_dim_cuda_templateIfEESt5tupleIJNSF_6TensorESK_SK_EERKSK_lbbbEUlllE0_EEPmJS9_EEE10hipError_tPvRmT3_T4_T5_T6_T7_T9_mT8_P12ihipStream_tbDpT10_ENKUlT_T0_E_clISt17integral_constantIbLb1EES1A_EEDaS15_S16_EUlS15_E_NS1_11comp_targetILNS1_3genE3ELNS1_11target_archE908ELNS1_3gpuE7ELNS1_3repE0EEENS1_30default_config_static_selectorELNS0_4arch9wavefront6targetE0EEEvT1_.num_vgpr, 0
	.set _ZN7rocprim17ROCPRIM_400000_NS6detail17trampoline_kernelINS0_14default_configENS1_25partition_config_selectorILNS1_17partition_subalgoE9EllbEEZZNS1_14partition_implILS5_9ELb0ES3_jPlS8_PNS0_10empty_typeENS0_5tupleIJS8_S9_EEENSB_IJS8_SA_EEENS0_18inequality_wrapperIZN2at6native12_GLOBAL__N_124unique_dim_cuda_templateIfEESt5tupleIJNSF_6TensorESK_SK_EERKSK_lbbbEUlllE0_EEPmJS9_EEE10hipError_tPvRmT3_T4_T5_T6_T7_T9_mT8_P12ihipStream_tbDpT10_ENKUlT_T0_E_clISt17integral_constantIbLb1EES1A_EEDaS15_S16_EUlS15_E_NS1_11comp_targetILNS1_3genE3ELNS1_11target_archE908ELNS1_3gpuE7ELNS1_3repE0EEENS1_30default_config_static_selectorELNS0_4arch9wavefront6targetE0EEEvT1_.num_agpr, 0
	.set _ZN7rocprim17ROCPRIM_400000_NS6detail17trampoline_kernelINS0_14default_configENS1_25partition_config_selectorILNS1_17partition_subalgoE9EllbEEZZNS1_14partition_implILS5_9ELb0ES3_jPlS8_PNS0_10empty_typeENS0_5tupleIJS8_S9_EEENSB_IJS8_SA_EEENS0_18inequality_wrapperIZN2at6native12_GLOBAL__N_124unique_dim_cuda_templateIfEESt5tupleIJNSF_6TensorESK_SK_EERKSK_lbbbEUlllE0_EEPmJS9_EEE10hipError_tPvRmT3_T4_T5_T6_T7_T9_mT8_P12ihipStream_tbDpT10_ENKUlT_T0_E_clISt17integral_constantIbLb1EES1A_EEDaS15_S16_EUlS15_E_NS1_11comp_targetILNS1_3genE3ELNS1_11target_archE908ELNS1_3gpuE7ELNS1_3repE0EEENS1_30default_config_static_selectorELNS0_4arch9wavefront6targetE0EEEvT1_.numbered_sgpr, 0
	.set _ZN7rocprim17ROCPRIM_400000_NS6detail17trampoline_kernelINS0_14default_configENS1_25partition_config_selectorILNS1_17partition_subalgoE9EllbEEZZNS1_14partition_implILS5_9ELb0ES3_jPlS8_PNS0_10empty_typeENS0_5tupleIJS8_S9_EEENSB_IJS8_SA_EEENS0_18inequality_wrapperIZN2at6native12_GLOBAL__N_124unique_dim_cuda_templateIfEESt5tupleIJNSF_6TensorESK_SK_EERKSK_lbbbEUlllE0_EEPmJS9_EEE10hipError_tPvRmT3_T4_T5_T6_T7_T9_mT8_P12ihipStream_tbDpT10_ENKUlT_T0_E_clISt17integral_constantIbLb1EES1A_EEDaS15_S16_EUlS15_E_NS1_11comp_targetILNS1_3genE3ELNS1_11target_archE908ELNS1_3gpuE7ELNS1_3repE0EEENS1_30default_config_static_selectorELNS0_4arch9wavefront6targetE0EEEvT1_.num_named_barrier, 0
	.set _ZN7rocprim17ROCPRIM_400000_NS6detail17trampoline_kernelINS0_14default_configENS1_25partition_config_selectorILNS1_17partition_subalgoE9EllbEEZZNS1_14partition_implILS5_9ELb0ES3_jPlS8_PNS0_10empty_typeENS0_5tupleIJS8_S9_EEENSB_IJS8_SA_EEENS0_18inequality_wrapperIZN2at6native12_GLOBAL__N_124unique_dim_cuda_templateIfEESt5tupleIJNSF_6TensorESK_SK_EERKSK_lbbbEUlllE0_EEPmJS9_EEE10hipError_tPvRmT3_T4_T5_T6_T7_T9_mT8_P12ihipStream_tbDpT10_ENKUlT_T0_E_clISt17integral_constantIbLb1EES1A_EEDaS15_S16_EUlS15_E_NS1_11comp_targetILNS1_3genE3ELNS1_11target_archE908ELNS1_3gpuE7ELNS1_3repE0EEENS1_30default_config_static_selectorELNS0_4arch9wavefront6targetE0EEEvT1_.private_seg_size, 0
	.set _ZN7rocprim17ROCPRIM_400000_NS6detail17trampoline_kernelINS0_14default_configENS1_25partition_config_selectorILNS1_17partition_subalgoE9EllbEEZZNS1_14partition_implILS5_9ELb0ES3_jPlS8_PNS0_10empty_typeENS0_5tupleIJS8_S9_EEENSB_IJS8_SA_EEENS0_18inequality_wrapperIZN2at6native12_GLOBAL__N_124unique_dim_cuda_templateIfEESt5tupleIJNSF_6TensorESK_SK_EERKSK_lbbbEUlllE0_EEPmJS9_EEE10hipError_tPvRmT3_T4_T5_T6_T7_T9_mT8_P12ihipStream_tbDpT10_ENKUlT_T0_E_clISt17integral_constantIbLb1EES1A_EEDaS15_S16_EUlS15_E_NS1_11comp_targetILNS1_3genE3ELNS1_11target_archE908ELNS1_3gpuE7ELNS1_3repE0EEENS1_30default_config_static_selectorELNS0_4arch9wavefront6targetE0EEEvT1_.uses_vcc, 0
	.set _ZN7rocprim17ROCPRIM_400000_NS6detail17trampoline_kernelINS0_14default_configENS1_25partition_config_selectorILNS1_17partition_subalgoE9EllbEEZZNS1_14partition_implILS5_9ELb0ES3_jPlS8_PNS0_10empty_typeENS0_5tupleIJS8_S9_EEENSB_IJS8_SA_EEENS0_18inequality_wrapperIZN2at6native12_GLOBAL__N_124unique_dim_cuda_templateIfEESt5tupleIJNSF_6TensorESK_SK_EERKSK_lbbbEUlllE0_EEPmJS9_EEE10hipError_tPvRmT3_T4_T5_T6_T7_T9_mT8_P12ihipStream_tbDpT10_ENKUlT_T0_E_clISt17integral_constantIbLb1EES1A_EEDaS15_S16_EUlS15_E_NS1_11comp_targetILNS1_3genE3ELNS1_11target_archE908ELNS1_3gpuE7ELNS1_3repE0EEENS1_30default_config_static_selectorELNS0_4arch9wavefront6targetE0EEEvT1_.uses_flat_scratch, 0
	.set _ZN7rocprim17ROCPRIM_400000_NS6detail17trampoline_kernelINS0_14default_configENS1_25partition_config_selectorILNS1_17partition_subalgoE9EllbEEZZNS1_14partition_implILS5_9ELb0ES3_jPlS8_PNS0_10empty_typeENS0_5tupleIJS8_S9_EEENSB_IJS8_SA_EEENS0_18inequality_wrapperIZN2at6native12_GLOBAL__N_124unique_dim_cuda_templateIfEESt5tupleIJNSF_6TensorESK_SK_EERKSK_lbbbEUlllE0_EEPmJS9_EEE10hipError_tPvRmT3_T4_T5_T6_T7_T9_mT8_P12ihipStream_tbDpT10_ENKUlT_T0_E_clISt17integral_constantIbLb1EES1A_EEDaS15_S16_EUlS15_E_NS1_11comp_targetILNS1_3genE3ELNS1_11target_archE908ELNS1_3gpuE7ELNS1_3repE0EEENS1_30default_config_static_selectorELNS0_4arch9wavefront6targetE0EEEvT1_.has_dyn_sized_stack, 0
	.set _ZN7rocprim17ROCPRIM_400000_NS6detail17trampoline_kernelINS0_14default_configENS1_25partition_config_selectorILNS1_17partition_subalgoE9EllbEEZZNS1_14partition_implILS5_9ELb0ES3_jPlS8_PNS0_10empty_typeENS0_5tupleIJS8_S9_EEENSB_IJS8_SA_EEENS0_18inequality_wrapperIZN2at6native12_GLOBAL__N_124unique_dim_cuda_templateIfEESt5tupleIJNSF_6TensorESK_SK_EERKSK_lbbbEUlllE0_EEPmJS9_EEE10hipError_tPvRmT3_T4_T5_T6_T7_T9_mT8_P12ihipStream_tbDpT10_ENKUlT_T0_E_clISt17integral_constantIbLb1EES1A_EEDaS15_S16_EUlS15_E_NS1_11comp_targetILNS1_3genE3ELNS1_11target_archE908ELNS1_3gpuE7ELNS1_3repE0EEENS1_30default_config_static_selectorELNS0_4arch9wavefront6targetE0EEEvT1_.has_recursion, 0
	.set _ZN7rocprim17ROCPRIM_400000_NS6detail17trampoline_kernelINS0_14default_configENS1_25partition_config_selectorILNS1_17partition_subalgoE9EllbEEZZNS1_14partition_implILS5_9ELb0ES3_jPlS8_PNS0_10empty_typeENS0_5tupleIJS8_S9_EEENSB_IJS8_SA_EEENS0_18inequality_wrapperIZN2at6native12_GLOBAL__N_124unique_dim_cuda_templateIfEESt5tupleIJNSF_6TensorESK_SK_EERKSK_lbbbEUlllE0_EEPmJS9_EEE10hipError_tPvRmT3_T4_T5_T6_T7_T9_mT8_P12ihipStream_tbDpT10_ENKUlT_T0_E_clISt17integral_constantIbLb1EES1A_EEDaS15_S16_EUlS15_E_NS1_11comp_targetILNS1_3genE3ELNS1_11target_archE908ELNS1_3gpuE7ELNS1_3repE0EEENS1_30default_config_static_selectorELNS0_4arch9wavefront6targetE0EEEvT1_.has_indirect_call, 0
	.section	.AMDGPU.csdata,"",@progbits
; Kernel info:
; codeLenInByte = 0
; TotalNumSgprs: 0
; NumVgprs: 0
; ScratchSize: 0
; MemoryBound: 0
; FloatMode: 240
; IeeeMode: 1
; LDSByteSize: 0 bytes/workgroup (compile time only)
; SGPRBlocks: 0
; VGPRBlocks: 0
; NumSGPRsForWavesPerEU: 1
; NumVGPRsForWavesPerEU: 1
; NamedBarCnt: 0
; Occupancy: 16
; WaveLimiterHint : 0
; COMPUTE_PGM_RSRC2:SCRATCH_EN: 0
; COMPUTE_PGM_RSRC2:USER_SGPR: 2
; COMPUTE_PGM_RSRC2:TRAP_HANDLER: 0
; COMPUTE_PGM_RSRC2:TGID_X_EN: 1
; COMPUTE_PGM_RSRC2:TGID_Y_EN: 0
; COMPUTE_PGM_RSRC2:TGID_Z_EN: 0
; COMPUTE_PGM_RSRC2:TIDIG_COMP_CNT: 0
	.section	.text._ZN7rocprim17ROCPRIM_400000_NS6detail17trampoline_kernelINS0_14default_configENS1_25partition_config_selectorILNS1_17partition_subalgoE9EllbEEZZNS1_14partition_implILS5_9ELb0ES3_jPlS8_PNS0_10empty_typeENS0_5tupleIJS8_S9_EEENSB_IJS8_SA_EEENS0_18inequality_wrapperIZN2at6native12_GLOBAL__N_124unique_dim_cuda_templateIfEESt5tupleIJNSF_6TensorESK_SK_EERKSK_lbbbEUlllE0_EEPmJS9_EEE10hipError_tPvRmT3_T4_T5_T6_T7_T9_mT8_P12ihipStream_tbDpT10_ENKUlT_T0_E_clISt17integral_constantIbLb1EES1A_EEDaS15_S16_EUlS15_E_NS1_11comp_targetILNS1_3genE2ELNS1_11target_archE906ELNS1_3gpuE6ELNS1_3repE0EEENS1_30default_config_static_selectorELNS0_4arch9wavefront6targetE0EEEvT1_,"axG",@progbits,_ZN7rocprim17ROCPRIM_400000_NS6detail17trampoline_kernelINS0_14default_configENS1_25partition_config_selectorILNS1_17partition_subalgoE9EllbEEZZNS1_14partition_implILS5_9ELb0ES3_jPlS8_PNS0_10empty_typeENS0_5tupleIJS8_S9_EEENSB_IJS8_SA_EEENS0_18inequality_wrapperIZN2at6native12_GLOBAL__N_124unique_dim_cuda_templateIfEESt5tupleIJNSF_6TensorESK_SK_EERKSK_lbbbEUlllE0_EEPmJS9_EEE10hipError_tPvRmT3_T4_T5_T6_T7_T9_mT8_P12ihipStream_tbDpT10_ENKUlT_T0_E_clISt17integral_constantIbLb1EES1A_EEDaS15_S16_EUlS15_E_NS1_11comp_targetILNS1_3genE2ELNS1_11target_archE906ELNS1_3gpuE6ELNS1_3repE0EEENS1_30default_config_static_selectorELNS0_4arch9wavefront6targetE0EEEvT1_,comdat
	.globl	_ZN7rocprim17ROCPRIM_400000_NS6detail17trampoline_kernelINS0_14default_configENS1_25partition_config_selectorILNS1_17partition_subalgoE9EllbEEZZNS1_14partition_implILS5_9ELb0ES3_jPlS8_PNS0_10empty_typeENS0_5tupleIJS8_S9_EEENSB_IJS8_SA_EEENS0_18inequality_wrapperIZN2at6native12_GLOBAL__N_124unique_dim_cuda_templateIfEESt5tupleIJNSF_6TensorESK_SK_EERKSK_lbbbEUlllE0_EEPmJS9_EEE10hipError_tPvRmT3_T4_T5_T6_T7_T9_mT8_P12ihipStream_tbDpT10_ENKUlT_T0_E_clISt17integral_constantIbLb1EES1A_EEDaS15_S16_EUlS15_E_NS1_11comp_targetILNS1_3genE2ELNS1_11target_archE906ELNS1_3gpuE6ELNS1_3repE0EEENS1_30default_config_static_selectorELNS0_4arch9wavefront6targetE0EEEvT1_ ; -- Begin function _ZN7rocprim17ROCPRIM_400000_NS6detail17trampoline_kernelINS0_14default_configENS1_25partition_config_selectorILNS1_17partition_subalgoE9EllbEEZZNS1_14partition_implILS5_9ELb0ES3_jPlS8_PNS0_10empty_typeENS0_5tupleIJS8_S9_EEENSB_IJS8_SA_EEENS0_18inequality_wrapperIZN2at6native12_GLOBAL__N_124unique_dim_cuda_templateIfEESt5tupleIJNSF_6TensorESK_SK_EERKSK_lbbbEUlllE0_EEPmJS9_EEE10hipError_tPvRmT3_T4_T5_T6_T7_T9_mT8_P12ihipStream_tbDpT10_ENKUlT_T0_E_clISt17integral_constantIbLb1EES1A_EEDaS15_S16_EUlS15_E_NS1_11comp_targetILNS1_3genE2ELNS1_11target_archE906ELNS1_3gpuE6ELNS1_3repE0EEENS1_30default_config_static_selectorELNS0_4arch9wavefront6targetE0EEEvT1_
	.p2align	8
	.type	_ZN7rocprim17ROCPRIM_400000_NS6detail17trampoline_kernelINS0_14default_configENS1_25partition_config_selectorILNS1_17partition_subalgoE9EllbEEZZNS1_14partition_implILS5_9ELb0ES3_jPlS8_PNS0_10empty_typeENS0_5tupleIJS8_S9_EEENSB_IJS8_SA_EEENS0_18inequality_wrapperIZN2at6native12_GLOBAL__N_124unique_dim_cuda_templateIfEESt5tupleIJNSF_6TensorESK_SK_EERKSK_lbbbEUlllE0_EEPmJS9_EEE10hipError_tPvRmT3_T4_T5_T6_T7_T9_mT8_P12ihipStream_tbDpT10_ENKUlT_T0_E_clISt17integral_constantIbLb1EES1A_EEDaS15_S16_EUlS15_E_NS1_11comp_targetILNS1_3genE2ELNS1_11target_archE906ELNS1_3gpuE6ELNS1_3repE0EEENS1_30default_config_static_selectorELNS0_4arch9wavefront6targetE0EEEvT1_,@function
_ZN7rocprim17ROCPRIM_400000_NS6detail17trampoline_kernelINS0_14default_configENS1_25partition_config_selectorILNS1_17partition_subalgoE9EllbEEZZNS1_14partition_implILS5_9ELb0ES3_jPlS8_PNS0_10empty_typeENS0_5tupleIJS8_S9_EEENSB_IJS8_SA_EEENS0_18inequality_wrapperIZN2at6native12_GLOBAL__N_124unique_dim_cuda_templateIfEESt5tupleIJNSF_6TensorESK_SK_EERKSK_lbbbEUlllE0_EEPmJS9_EEE10hipError_tPvRmT3_T4_T5_T6_T7_T9_mT8_P12ihipStream_tbDpT10_ENKUlT_T0_E_clISt17integral_constantIbLb1EES1A_EEDaS15_S16_EUlS15_E_NS1_11comp_targetILNS1_3genE2ELNS1_11target_archE906ELNS1_3gpuE6ELNS1_3repE0EEENS1_30default_config_static_selectorELNS0_4arch9wavefront6targetE0EEEvT1_: ; @_ZN7rocprim17ROCPRIM_400000_NS6detail17trampoline_kernelINS0_14default_configENS1_25partition_config_selectorILNS1_17partition_subalgoE9EllbEEZZNS1_14partition_implILS5_9ELb0ES3_jPlS8_PNS0_10empty_typeENS0_5tupleIJS8_S9_EEENSB_IJS8_SA_EEENS0_18inequality_wrapperIZN2at6native12_GLOBAL__N_124unique_dim_cuda_templateIfEESt5tupleIJNSF_6TensorESK_SK_EERKSK_lbbbEUlllE0_EEPmJS9_EEE10hipError_tPvRmT3_T4_T5_T6_T7_T9_mT8_P12ihipStream_tbDpT10_ENKUlT_T0_E_clISt17integral_constantIbLb1EES1A_EEDaS15_S16_EUlS15_E_NS1_11comp_targetILNS1_3genE2ELNS1_11target_archE906ELNS1_3gpuE6ELNS1_3repE0EEENS1_30default_config_static_selectorELNS0_4arch9wavefront6targetE0EEEvT1_
; %bb.0:
	.section	.rodata,"a",@progbits
	.p2align	6, 0x0
	.amdhsa_kernel _ZN7rocprim17ROCPRIM_400000_NS6detail17trampoline_kernelINS0_14default_configENS1_25partition_config_selectorILNS1_17partition_subalgoE9EllbEEZZNS1_14partition_implILS5_9ELb0ES3_jPlS8_PNS0_10empty_typeENS0_5tupleIJS8_S9_EEENSB_IJS8_SA_EEENS0_18inequality_wrapperIZN2at6native12_GLOBAL__N_124unique_dim_cuda_templateIfEESt5tupleIJNSF_6TensorESK_SK_EERKSK_lbbbEUlllE0_EEPmJS9_EEE10hipError_tPvRmT3_T4_T5_T6_T7_T9_mT8_P12ihipStream_tbDpT10_ENKUlT_T0_E_clISt17integral_constantIbLb1EES1A_EEDaS15_S16_EUlS15_E_NS1_11comp_targetILNS1_3genE2ELNS1_11target_archE906ELNS1_3gpuE6ELNS1_3repE0EEENS1_30default_config_static_selectorELNS0_4arch9wavefront6targetE0EEEvT1_
		.amdhsa_group_segment_fixed_size 0
		.amdhsa_private_segment_fixed_size 0
		.amdhsa_kernarg_size 136
		.amdhsa_user_sgpr_count 2
		.amdhsa_user_sgpr_dispatch_ptr 0
		.amdhsa_user_sgpr_queue_ptr 0
		.amdhsa_user_sgpr_kernarg_segment_ptr 1
		.amdhsa_user_sgpr_dispatch_id 0
		.amdhsa_user_sgpr_kernarg_preload_length 0
		.amdhsa_user_sgpr_kernarg_preload_offset 0
		.amdhsa_user_sgpr_private_segment_size 0
		.amdhsa_wavefront_size32 1
		.amdhsa_uses_dynamic_stack 0
		.amdhsa_enable_private_segment 0
		.amdhsa_system_sgpr_workgroup_id_x 1
		.amdhsa_system_sgpr_workgroup_id_y 0
		.amdhsa_system_sgpr_workgroup_id_z 0
		.amdhsa_system_sgpr_workgroup_info 0
		.amdhsa_system_vgpr_workitem_id 0
		.amdhsa_next_free_vgpr 1
		.amdhsa_next_free_sgpr 1
		.amdhsa_named_barrier_count 0
		.amdhsa_reserve_vcc 0
		.amdhsa_float_round_mode_32 0
		.amdhsa_float_round_mode_16_64 0
		.amdhsa_float_denorm_mode_32 3
		.amdhsa_float_denorm_mode_16_64 3
		.amdhsa_fp16_overflow 0
		.amdhsa_memory_ordered 1
		.amdhsa_forward_progress 1
		.amdhsa_inst_pref_size 0
		.amdhsa_round_robin_scheduling 0
		.amdhsa_exception_fp_ieee_invalid_op 0
		.amdhsa_exception_fp_denorm_src 0
		.amdhsa_exception_fp_ieee_div_zero 0
		.amdhsa_exception_fp_ieee_overflow 0
		.amdhsa_exception_fp_ieee_underflow 0
		.amdhsa_exception_fp_ieee_inexact 0
		.amdhsa_exception_int_div_zero 0
	.end_amdhsa_kernel
	.section	.text._ZN7rocprim17ROCPRIM_400000_NS6detail17trampoline_kernelINS0_14default_configENS1_25partition_config_selectorILNS1_17partition_subalgoE9EllbEEZZNS1_14partition_implILS5_9ELb0ES3_jPlS8_PNS0_10empty_typeENS0_5tupleIJS8_S9_EEENSB_IJS8_SA_EEENS0_18inequality_wrapperIZN2at6native12_GLOBAL__N_124unique_dim_cuda_templateIfEESt5tupleIJNSF_6TensorESK_SK_EERKSK_lbbbEUlllE0_EEPmJS9_EEE10hipError_tPvRmT3_T4_T5_T6_T7_T9_mT8_P12ihipStream_tbDpT10_ENKUlT_T0_E_clISt17integral_constantIbLb1EES1A_EEDaS15_S16_EUlS15_E_NS1_11comp_targetILNS1_3genE2ELNS1_11target_archE906ELNS1_3gpuE6ELNS1_3repE0EEENS1_30default_config_static_selectorELNS0_4arch9wavefront6targetE0EEEvT1_,"axG",@progbits,_ZN7rocprim17ROCPRIM_400000_NS6detail17trampoline_kernelINS0_14default_configENS1_25partition_config_selectorILNS1_17partition_subalgoE9EllbEEZZNS1_14partition_implILS5_9ELb0ES3_jPlS8_PNS0_10empty_typeENS0_5tupleIJS8_S9_EEENSB_IJS8_SA_EEENS0_18inequality_wrapperIZN2at6native12_GLOBAL__N_124unique_dim_cuda_templateIfEESt5tupleIJNSF_6TensorESK_SK_EERKSK_lbbbEUlllE0_EEPmJS9_EEE10hipError_tPvRmT3_T4_T5_T6_T7_T9_mT8_P12ihipStream_tbDpT10_ENKUlT_T0_E_clISt17integral_constantIbLb1EES1A_EEDaS15_S16_EUlS15_E_NS1_11comp_targetILNS1_3genE2ELNS1_11target_archE906ELNS1_3gpuE6ELNS1_3repE0EEENS1_30default_config_static_selectorELNS0_4arch9wavefront6targetE0EEEvT1_,comdat
.Lfunc_end973:
	.size	_ZN7rocprim17ROCPRIM_400000_NS6detail17trampoline_kernelINS0_14default_configENS1_25partition_config_selectorILNS1_17partition_subalgoE9EllbEEZZNS1_14partition_implILS5_9ELb0ES3_jPlS8_PNS0_10empty_typeENS0_5tupleIJS8_S9_EEENSB_IJS8_SA_EEENS0_18inequality_wrapperIZN2at6native12_GLOBAL__N_124unique_dim_cuda_templateIfEESt5tupleIJNSF_6TensorESK_SK_EERKSK_lbbbEUlllE0_EEPmJS9_EEE10hipError_tPvRmT3_T4_T5_T6_T7_T9_mT8_P12ihipStream_tbDpT10_ENKUlT_T0_E_clISt17integral_constantIbLb1EES1A_EEDaS15_S16_EUlS15_E_NS1_11comp_targetILNS1_3genE2ELNS1_11target_archE906ELNS1_3gpuE6ELNS1_3repE0EEENS1_30default_config_static_selectorELNS0_4arch9wavefront6targetE0EEEvT1_, .Lfunc_end973-_ZN7rocprim17ROCPRIM_400000_NS6detail17trampoline_kernelINS0_14default_configENS1_25partition_config_selectorILNS1_17partition_subalgoE9EllbEEZZNS1_14partition_implILS5_9ELb0ES3_jPlS8_PNS0_10empty_typeENS0_5tupleIJS8_S9_EEENSB_IJS8_SA_EEENS0_18inequality_wrapperIZN2at6native12_GLOBAL__N_124unique_dim_cuda_templateIfEESt5tupleIJNSF_6TensorESK_SK_EERKSK_lbbbEUlllE0_EEPmJS9_EEE10hipError_tPvRmT3_T4_T5_T6_T7_T9_mT8_P12ihipStream_tbDpT10_ENKUlT_T0_E_clISt17integral_constantIbLb1EES1A_EEDaS15_S16_EUlS15_E_NS1_11comp_targetILNS1_3genE2ELNS1_11target_archE906ELNS1_3gpuE6ELNS1_3repE0EEENS1_30default_config_static_selectorELNS0_4arch9wavefront6targetE0EEEvT1_
                                        ; -- End function
	.set _ZN7rocprim17ROCPRIM_400000_NS6detail17trampoline_kernelINS0_14default_configENS1_25partition_config_selectorILNS1_17partition_subalgoE9EllbEEZZNS1_14partition_implILS5_9ELb0ES3_jPlS8_PNS0_10empty_typeENS0_5tupleIJS8_S9_EEENSB_IJS8_SA_EEENS0_18inequality_wrapperIZN2at6native12_GLOBAL__N_124unique_dim_cuda_templateIfEESt5tupleIJNSF_6TensorESK_SK_EERKSK_lbbbEUlllE0_EEPmJS9_EEE10hipError_tPvRmT3_T4_T5_T6_T7_T9_mT8_P12ihipStream_tbDpT10_ENKUlT_T0_E_clISt17integral_constantIbLb1EES1A_EEDaS15_S16_EUlS15_E_NS1_11comp_targetILNS1_3genE2ELNS1_11target_archE906ELNS1_3gpuE6ELNS1_3repE0EEENS1_30default_config_static_selectorELNS0_4arch9wavefront6targetE0EEEvT1_.num_vgpr, 0
	.set _ZN7rocprim17ROCPRIM_400000_NS6detail17trampoline_kernelINS0_14default_configENS1_25partition_config_selectorILNS1_17partition_subalgoE9EllbEEZZNS1_14partition_implILS5_9ELb0ES3_jPlS8_PNS0_10empty_typeENS0_5tupleIJS8_S9_EEENSB_IJS8_SA_EEENS0_18inequality_wrapperIZN2at6native12_GLOBAL__N_124unique_dim_cuda_templateIfEESt5tupleIJNSF_6TensorESK_SK_EERKSK_lbbbEUlllE0_EEPmJS9_EEE10hipError_tPvRmT3_T4_T5_T6_T7_T9_mT8_P12ihipStream_tbDpT10_ENKUlT_T0_E_clISt17integral_constantIbLb1EES1A_EEDaS15_S16_EUlS15_E_NS1_11comp_targetILNS1_3genE2ELNS1_11target_archE906ELNS1_3gpuE6ELNS1_3repE0EEENS1_30default_config_static_selectorELNS0_4arch9wavefront6targetE0EEEvT1_.num_agpr, 0
	.set _ZN7rocprim17ROCPRIM_400000_NS6detail17trampoline_kernelINS0_14default_configENS1_25partition_config_selectorILNS1_17partition_subalgoE9EllbEEZZNS1_14partition_implILS5_9ELb0ES3_jPlS8_PNS0_10empty_typeENS0_5tupleIJS8_S9_EEENSB_IJS8_SA_EEENS0_18inequality_wrapperIZN2at6native12_GLOBAL__N_124unique_dim_cuda_templateIfEESt5tupleIJNSF_6TensorESK_SK_EERKSK_lbbbEUlllE0_EEPmJS9_EEE10hipError_tPvRmT3_T4_T5_T6_T7_T9_mT8_P12ihipStream_tbDpT10_ENKUlT_T0_E_clISt17integral_constantIbLb1EES1A_EEDaS15_S16_EUlS15_E_NS1_11comp_targetILNS1_3genE2ELNS1_11target_archE906ELNS1_3gpuE6ELNS1_3repE0EEENS1_30default_config_static_selectorELNS0_4arch9wavefront6targetE0EEEvT1_.numbered_sgpr, 0
	.set _ZN7rocprim17ROCPRIM_400000_NS6detail17trampoline_kernelINS0_14default_configENS1_25partition_config_selectorILNS1_17partition_subalgoE9EllbEEZZNS1_14partition_implILS5_9ELb0ES3_jPlS8_PNS0_10empty_typeENS0_5tupleIJS8_S9_EEENSB_IJS8_SA_EEENS0_18inequality_wrapperIZN2at6native12_GLOBAL__N_124unique_dim_cuda_templateIfEESt5tupleIJNSF_6TensorESK_SK_EERKSK_lbbbEUlllE0_EEPmJS9_EEE10hipError_tPvRmT3_T4_T5_T6_T7_T9_mT8_P12ihipStream_tbDpT10_ENKUlT_T0_E_clISt17integral_constantIbLb1EES1A_EEDaS15_S16_EUlS15_E_NS1_11comp_targetILNS1_3genE2ELNS1_11target_archE906ELNS1_3gpuE6ELNS1_3repE0EEENS1_30default_config_static_selectorELNS0_4arch9wavefront6targetE0EEEvT1_.num_named_barrier, 0
	.set _ZN7rocprim17ROCPRIM_400000_NS6detail17trampoline_kernelINS0_14default_configENS1_25partition_config_selectorILNS1_17partition_subalgoE9EllbEEZZNS1_14partition_implILS5_9ELb0ES3_jPlS8_PNS0_10empty_typeENS0_5tupleIJS8_S9_EEENSB_IJS8_SA_EEENS0_18inequality_wrapperIZN2at6native12_GLOBAL__N_124unique_dim_cuda_templateIfEESt5tupleIJNSF_6TensorESK_SK_EERKSK_lbbbEUlllE0_EEPmJS9_EEE10hipError_tPvRmT3_T4_T5_T6_T7_T9_mT8_P12ihipStream_tbDpT10_ENKUlT_T0_E_clISt17integral_constantIbLb1EES1A_EEDaS15_S16_EUlS15_E_NS1_11comp_targetILNS1_3genE2ELNS1_11target_archE906ELNS1_3gpuE6ELNS1_3repE0EEENS1_30default_config_static_selectorELNS0_4arch9wavefront6targetE0EEEvT1_.private_seg_size, 0
	.set _ZN7rocprim17ROCPRIM_400000_NS6detail17trampoline_kernelINS0_14default_configENS1_25partition_config_selectorILNS1_17partition_subalgoE9EllbEEZZNS1_14partition_implILS5_9ELb0ES3_jPlS8_PNS0_10empty_typeENS0_5tupleIJS8_S9_EEENSB_IJS8_SA_EEENS0_18inequality_wrapperIZN2at6native12_GLOBAL__N_124unique_dim_cuda_templateIfEESt5tupleIJNSF_6TensorESK_SK_EERKSK_lbbbEUlllE0_EEPmJS9_EEE10hipError_tPvRmT3_T4_T5_T6_T7_T9_mT8_P12ihipStream_tbDpT10_ENKUlT_T0_E_clISt17integral_constantIbLb1EES1A_EEDaS15_S16_EUlS15_E_NS1_11comp_targetILNS1_3genE2ELNS1_11target_archE906ELNS1_3gpuE6ELNS1_3repE0EEENS1_30default_config_static_selectorELNS0_4arch9wavefront6targetE0EEEvT1_.uses_vcc, 0
	.set _ZN7rocprim17ROCPRIM_400000_NS6detail17trampoline_kernelINS0_14default_configENS1_25partition_config_selectorILNS1_17partition_subalgoE9EllbEEZZNS1_14partition_implILS5_9ELb0ES3_jPlS8_PNS0_10empty_typeENS0_5tupleIJS8_S9_EEENSB_IJS8_SA_EEENS0_18inequality_wrapperIZN2at6native12_GLOBAL__N_124unique_dim_cuda_templateIfEESt5tupleIJNSF_6TensorESK_SK_EERKSK_lbbbEUlllE0_EEPmJS9_EEE10hipError_tPvRmT3_T4_T5_T6_T7_T9_mT8_P12ihipStream_tbDpT10_ENKUlT_T0_E_clISt17integral_constantIbLb1EES1A_EEDaS15_S16_EUlS15_E_NS1_11comp_targetILNS1_3genE2ELNS1_11target_archE906ELNS1_3gpuE6ELNS1_3repE0EEENS1_30default_config_static_selectorELNS0_4arch9wavefront6targetE0EEEvT1_.uses_flat_scratch, 0
	.set _ZN7rocprim17ROCPRIM_400000_NS6detail17trampoline_kernelINS0_14default_configENS1_25partition_config_selectorILNS1_17partition_subalgoE9EllbEEZZNS1_14partition_implILS5_9ELb0ES3_jPlS8_PNS0_10empty_typeENS0_5tupleIJS8_S9_EEENSB_IJS8_SA_EEENS0_18inequality_wrapperIZN2at6native12_GLOBAL__N_124unique_dim_cuda_templateIfEESt5tupleIJNSF_6TensorESK_SK_EERKSK_lbbbEUlllE0_EEPmJS9_EEE10hipError_tPvRmT3_T4_T5_T6_T7_T9_mT8_P12ihipStream_tbDpT10_ENKUlT_T0_E_clISt17integral_constantIbLb1EES1A_EEDaS15_S16_EUlS15_E_NS1_11comp_targetILNS1_3genE2ELNS1_11target_archE906ELNS1_3gpuE6ELNS1_3repE0EEENS1_30default_config_static_selectorELNS0_4arch9wavefront6targetE0EEEvT1_.has_dyn_sized_stack, 0
	.set _ZN7rocprim17ROCPRIM_400000_NS6detail17trampoline_kernelINS0_14default_configENS1_25partition_config_selectorILNS1_17partition_subalgoE9EllbEEZZNS1_14partition_implILS5_9ELb0ES3_jPlS8_PNS0_10empty_typeENS0_5tupleIJS8_S9_EEENSB_IJS8_SA_EEENS0_18inequality_wrapperIZN2at6native12_GLOBAL__N_124unique_dim_cuda_templateIfEESt5tupleIJNSF_6TensorESK_SK_EERKSK_lbbbEUlllE0_EEPmJS9_EEE10hipError_tPvRmT3_T4_T5_T6_T7_T9_mT8_P12ihipStream_tbDpT10_ENKUlT_T0_E_clISt17integral_constantIbLb1EES1A_EEDaS15_S16_EUlS15_E_NS1_11comp_targetILNS1_3genE2ELNS1_11target_archE906ELNS1_3gpuE6ELNS1_3repE0EEENS1_30default_config_static_selectorELNS0_4arch9wavefront6targetE0EEEvT1_.has_recursion, 0
	.set _ZN7rocprim17ROCPRIM_400000_NS6detail17trampoline_kernelINS0_14default_configENS1_25partition_config_selectorILNS1_17partition_subalgoE9EllbEEZZNS1_14partition_implILS5_9ELb0ES3_jPlS8_PNS0_10empty_typeENS0_5tupleIJS8_S9_EEENSB_IJS8_SA_EEENS0_18inequality_wrapperIZN2at6native12_GLOBAL__N_124unique_dim_cuda_templateIfEESt5tupleIJNSF_6TensorESK_SK_EERKSK_lbbbEUlllE0_EEPmJS9_EEE10hipError_tPvRmT3_T4_T5_T6_T7_T9_mT8_P12ihipStream_tbDpT10_ENKUlT_T0_E_clISt17integral_constantIbLb1EES1A_EEDaS15_S16_EUlS15_E_NS1_11comp_targetILNS1_3genE2ELNS1_11target_archE906ELNS1_3gpuE6ELNS1_3repE0EEENS1_30default_config_static_selectorELNS0_4arch9wavefront6targetE0EEEvT1_.has_indirect_call, 0
	.section	.AMDGPU.csdata,"",@progbits
; Kernel info:
; codeLenInByte = 0
; TotalNumSgprs: 0
; NumVgprs: 0
; ScratchSize: 0
; MemoryBound: 0
; FloatMode: 240
; IeeeMode: 1
; LDSByteSize: 0 bytes/workgroup (compile time only)
; SGPRBlocks: 0
; VGPRBlocks: 0
; NumSGPRsForWavesPerEU: 1
; NumVGPRsForWavesPerEU: 1
; NamedBarCnt: 0
; Occupancy: 16
; WaveLimiterHint : 0
; COMPUTE_PGM_RSRC2:SCRATCH_EN: 0
; COMPUTE_PGM_RSRC2:USER_SGPR: 2
; COMPUTE_PGM_RSRC2:TRAP_HANDLER: 0
; COMPUTE_PGM_RSRC2:TGID_X_EN: 1
; COMPUTE_PGM_RSRC2:TGID_Y_EN: 0
; COMPUTE_PGM_RSRC2:TGID_Z_EN: 0
; COMPUTE_PGM_RSRC2:TIDIG_COMP_CNT: 0
	.section	.text._ZN7rocprim17ROCPRIM_400000_NS6detail17trampoline_kernelINS0_14default_configENS1_25partition_config_selectorILNS1_17partition_subalgoE9EllbEEZZNS1_14partition_implILS5_9ELb0ES3_jPlS8_PNS0_10empty_typeENS0_5tupleIJS8_S9_EEENSB_IJS8_SA_EEENS0_18inequality_wrapperIZN2at6native12_GLOBAL__N_124unique_dim_cuda_templateIfEESt5tupleIJNSF_6TensorESK_SK_EERKSK_lbbbEUlllE0_EEPmJS9_EEE10hipError_tPvRmT3_T4_T5_T6_T7_T9_mT8_P12ihipStream_tbDpT10_ENKUlT_T0_E_clISt17integral_constantIbLb1EES1A_EEDaS15_S16_EUlS15_E_NS1_11comp_targetILNS1_3genE10ELNS1_11target_archE1200ELNS1_3gpuE4ELNS1_3repE0EEENS1_30default_config_static_selectorELNS0_4arch9wavefront6targetE0EEEvT1_,"axG",@progbits,_ZN7rocprim17ROCPRIM_400000_NS6detail17trampoline_kernelINS0_14default_configENS1_25partition_config_selectorILNS1_17partition_subalgoE9EllbEEZZNS1_14partition_implILS5_9ELb0ES3_jPlS8_PNS0_10empty_typeENS0_5tupleIJS8_S9_EEENSB_IJS8_SA_EEENS0_18inequality_wrapperIZN2at6native12_GLOBAL__N_124unique_dim_cuda_templateIfEESt5tupleIJNSF_6TensorESK_SK_EERKSK_lbbbEUlllE0_EEPmJS9_EEE10hipError_tPvRmT3_T4_T5_T6_T7_T9_mT8_P12ihipStream_tbDpT10_ENKUlT_T0_E_clISt17integral_constantIbLb1EES1A_EEDaS15_S16_EUlS15_E_NS1_11comp_targetILNS1_3genE10ELNS1_11target_archE1200ELNS1_3gpuE4ELNS1_3repE0EEENS1_30default_config_static_selectorELNS0_4arch9wavefront6targetE0EEEvT1_,comdat
	.globl	_ZN7rocprim17ROCPRIM_400000_NS6detail17trampoline_kernelINS0_14default_configENS1_25partition_config_selectorILNS1_17partition_subalgoE9EllbEEZZNS1_14partition_implILS5_9ELb0ES3_jPlS8_PNS0_10empty_typeENS0_5tupleIJS8_S9_EEENSB_IJS8_SA_EEENS0_18inequality_wrapperIZN2at6native12_GLOBAL__N_124unique_dim_cuda_templateIfEESt5tupleIJNSF_6TensorESK_SK_EERKSK_lbbbEUlllE0_EEPmJS9_EEE10hipError_tPvRmT3_T4_T5_T6_T7_T9_mT8_P12ihipStream_tbDpT10_ENKUlT_T0_E_clISt17integral_constantIbLb1EES1A_EEDaS15_S16_EUlS15_E_NS1_11comp_targetILNS1_3genE10ELNS1_11target_archE1200ELNS1_3gpuE4ELNS1_3repE0EEENS1_30default_config_static_selectorELNS0_4arch9wavefront6targetE0EEEvT1_ ; -- Begin function _ZN7rocprim17ROCPRIM_400000_NS6detail17trampoline_kernelINS0_14default_configENS1_25partition_config_selectorILNS1_17partition_subalgoE9EllbEEZZNS1_14partition_implILS5_9ELb0ES3_jPlS8_PNS0_10empty_typeENS0_5tupleIJS8_S9_EEENSB_IJS8_SA_EEENS0_18inequality_wrapperIZN2at6native12_GLOBAL__N_124unique_dim_cuda_templateIfEESt5tupleIJNSF_6TensorESK_SK_EERKSK_lbbbEUlllE0_EEPmJS9_EEE10hipError_tPvRmT3_T4_T5_T6_T7_T9_mT8_P12ihipStream_tbDpT10_ENKUlT_T0_E_clISt17integral_constantIbLb1EES1A_EEDaS15_S16_EUlS15_E_NS1_11comp_targetILNS1_3genE10ELNS1_11target_archE1200ELNS1_3gpuE4ELNS1_3repE0EEENS1_30default_config_static_selectorELNS0_4arch9wavefront6targetE0EEEvT1_
	.p2align	8
	.type	_ZN7rocprim17ROCPRIM_400000_NS6detail17trampoline_kernelINS0_14default_configENS1_25partition_config_selectorILNS1_17partition_subalgoE9EllbEEZZNS1_14partition_implILS5_9ELb0ES3_jPlS8_PNS0_10empty_typeENS0_5tupleIJS8_S9_EEENSB_IJS8_SA_EEENS0_18inequality_wrapperIZN2at6native12_GLOBAL__N_124unique_dim_cuda_templateIfEESt5tupleIJNSF_6TensorESK_SK_EERKSK_lbbbEUlllE0_EEPmJS9_EEE10hipError_tPvRmT3_T4_T5_T6_T7_T9_mT8_P12ihipStream_tbDpT10_ENKUlT_T0_E_clISt17integral_constantIbLb1EES1A_EEDaS15_S16_EUlS15_E_NS1_11comp_targetILNS1_3genE10ELNS1_11target_archE1200ELNS1_3gpuE4ELNS1_3repE0EEENS1_30default_config_static_selectorELNS0_4arch9wavefront6targetE0EEEvT1_,@function
_ZN7rocprim17ROCPRIM_400000_NS6detail17trampoline_kernelINS0_14default_configENS1_25partition_config_selectorILNS1_17partition_subalgoE9EllbEEZZNS1_14partition_implILS5_9ELb0ES3_jPlS8_PNS0_10empty_typeENS0_5tupleIJS8_S9_EEENSB_IJS8_SA_EEENS0_18inequality_wrapperIZN2at6native12_GLOBAL__N_124unique_dim_cuda_templateIfEESt5tupleIJNSF_6TensorESK_SK_EERKSK_lbbbEUlllE0_EEPmJS9_EEE10hipError_tPvRmT3_T4_T5_T6_T7_T9_mT8_P12ihipStream_tbDpT10_ENKUlT_T0_E_clISt17integral_constantIbLb1EES1A_EEDaS15_S16_EUlS15_E_NS1_11comp_targetILNS1_3genE10ELNS1_11target_archE1200ELNS1_3gpuE4ELNS1_3repE0EEENS1_30default_config_static_selectorELNS0_4arch9wavefront6targetE0EEEvT1_: ; @_ZN7rocprim17ROCPRIM_400000_NS6detail17trampoline_kernelINS0_14default_configENS1_25partition_config_selectorILNS1_17partition_subalgoE9EllbEEZZNS1_14partition_implILS5_9ELb0ES3_jPlS8_PNS0_10empty_typeENS0_5tupleIJS8_S9_EEENSB_IJS8_SA_EEENS0_18inequality_wrapperIZN2at6native12_GLOBAL__N_124unique_dim_cuda_templateIfEESt5tupleIJNSF_6TensorESK_SK_EERKSK_lbbbEUlllE0_EEPmJS9_EEE10hipError_tPvRmT3_T4_T5_T6_T7_T9_mT8_P12ihipStream_tbDpT10_ENKUlT_T0_E_clISt17integral_constantIbLb1EES1A_EEDaS15_S16_EUlS15_E_NS1_11comp_targetILNS1_3genE10ELNS1_11target_archE1200ELNS1_3gpuE4ELNS1_3repE0EEENS1_30default_config_static_selectorELNS0_4arch9wavefront6targetE0EEEvT1_
; %bb.0:
	.section	.rodata,"a",@progbits
	.p2align	6, 0x0
	.amdhsa_kernel _ZN7rocprim17ROCPRIM_400000_NS6detail17trampoline_kernelINS0_14default_configENS1_25partition_config_selectorILNS1_17partition_subalgoE9EllbEEZZNS1_14partition_implILS5_9ELb0ES3_jPlS8_PNS0_10empty_typeENS0_5tupleIJS8_S9_EEENSB_IJS8_SA_EEENS0_18inequality_wrapperIZN2at6native12_GLOBAL__N_124unique_dim_cuda_templateIfEESt5tupleIJNSF_6TensorESK_SK_EERKSK_lbbbEUlllE0_EEPmJS9_EEE10hipError_tPvRmT3_T4_T5_T6_T7_T9_mT8_P12ihipStream_tbDpT10_ENKUlT_T0_E_clISt17integral_constantIbLb1EES1A_EEDaS15_S16_EUlS15_E_NS1_11comp_targetILNS1_3genE10ELNS1_11target_archE1200ELNS1_3gpuE4ELNS1_3repE0EEENS1_30default_config_static_selectorELNS0_4arch9wavefront6targetE0EEEvT1_
		.amdhsa_group_segment_fixed_size 0
		.amdhsa_private_segment_fixed_size 0
		.amdhsa_kernarg_size 136
		.amdhsa_user_sgpr_count 2
		.amdhsa_user_sgpr_dispatch_ptr 0
		.amdhsa_user_sgpr_queue_ptr 0
		.amdhsa_user_sgpr_kernarg_segment_ptr 1
		.amdhsa_user_sgpr_dispatch_id 0
		.amdhsa_user_sgpr_kernarg_preload_length 0
		.amdhsa_user_sgpr_kernarg_preload_offset 0
		.amdhsa_user_sgpr_private_segment_size 0
		.amdhsa_wavefront_size32 1
		.amdhsa_uses_dynamic_stack 0
		.amdhsa_enable_private_segment 0
		.amdhsa_system_sgpr_workgroup_id_x 1
		.amdhsa_system_sgpr_workgroup_id_y 0
		.amdhsa_system_sgpr_workgroup_id_z 0
		.amdhsa_system_sgpr_workgroup_info 0
		.amdhsa_system_vgpr_workitem_id 0
		.amdhsa_next_free_vgpr 1
		.amdhsa_next_free_sgpr 1
		.amdhsa_named_barrier_count 0
		.amdhsa_reserve_vcc 0
		.amdhsa_float_round_mode_32 0
		.amdhsa_float_round_mode_16_64 0
		.amdhsa_float_denorm_mode_32 3
		.amdhsa_float_denorm_mode_16_64 3
		.amdhsa_fp16_overflow 0
		.amdhsa_memory_ordered 1
		.amdhsa_forward_progress 1
		.amdhsa_inst_pref_size 0
		.amdhsa_round_robin_scheduling 0
		.amdhsa_exception_fp_ieee_invalid_op 0
		.amdhsa_exception_fp_denorm_src 0
		.amdhsa_exception_fp_ieee_div_zero 0
		.amdhsa_exception_fp_ieee_overflow 0
		.amdhsa_exception_fp_ieee_underflow 0
		.amdhsa_exception_fp_ieee_inexact 0
		.amdhsa_exception_int_div_zero 0
	.end_amdhsa_kernel
	.section	.text._ZN7rocprim17ROCPRIM_400000_NS6detail17trampoline_kernelINS0_14default_configENS1_25partition_config_selectorILNS1_17partition_subalgoE9EllbEEZZNS1_14partition_implILS5_9ELb0ES3_jPlS8_PNS0_10empty_typeENS0_5tupleIJS8_S9_EEENSB_IJS8_SA_EEENS0_18inequality_wrapperIZN2at6native12_GLOBAL__N_124unique_dim_cuda_templateIfEESt5tupleIJNSF_6TensorESK_SK_EERKSK_lbbbEUlllE0_EEPmJS9_EEE10hipError_tPvRmT3_T4_T5_T6_T7_T9_mT8_P12ihipStream_tbDpT10_ENKUlT_T0_E_clISt17integral_constantIbLb1EES1A_EEDaS15_S16_EUlS15_E_NS1_11comp_targetILNS1_3genE10ELNS1_11target_archE1200ELNS1_3gpuE4ELNS1_3repE0EEENS1_30default_config_static_selectorELNS0_4arch9wavefront6targetE0EEEvT1_,"axG",@progbits,_ZN7rocprim17ROCPRIM_400000_NS6detail17trampoline_kernelINS0_14default_configENS1_25partition_config_selectorILNS1_17partition_subalgoE9EllbEEZZNS1_14partition_implILS5_9ELb0ES3_jPlS8_PNS0_10empty_typeENS0_5tupleIJS8_S9_EEENSB_IJS8_SA_EEENS0_18inequality_wrapperIZN2at6native12_GLOBAL__N_124unique_dim_cuda_templateIfEESt5tupleIJNSF_6TensorESK_SK_EERKSK_lbbbEUlllE0_EEPmJS9_EEE10hipError_tPvRmT3_T4_T5_T6_T7_T9_mT8_P12ihipStream_tbDpT10_ENKUlT_T0_E_clISt17integral_constantIbLb1EES1A_EEDaS15_S16_EUlS15_E_NS1_11comp_targetILNS1_3genE10ELNS1_11target_archE1200ELNS1_3gpuE4ELNS1_3repE0EEENS1_30default_config_static_selectorELNS0_4arch9wavefront6targetE0EEEvT1_,comdat
.Lfunc_end974:
	.size	_ZN7rocprim17ROCPRIM_400000_NS6detail17trampoline_kernelINS0_14default_configENS1_25partition_config_selectorILNS1_17partition_subalgoE9EllbEEZZNS1_14partition_implILS5_9ELb0ES3_jPlS8_PNS0_10empty_typeENS0_5tupleIJS8_S9_EEENSB_IJS8_SA_EEENS0_18inequality_wrapperIZN2at6native12_GLOBAL__N_124unique_dim_cuda_templateIfEESt5tupleIJNSF_6TensorESK_SK_EERKSK_lbbbEUlllE0_EEPmJS9_EEE10hipError_tPvRmT3_T4_T5_T6_T7_T9_mT8_P12ihipStream_tbDpT10_ENKUlT_T0_E_clISt17integral_constantIbLb1EES1A_EEDaS15_S16_EUlS15_E_NS1_11comp_targetILNS1_3genE10ELNS1_11target_archE1200ELNS1_3gpuE4ELNS1_3repE0EEENS1_30default_config_static_selectorELNS0_4arch9wavefront6targetE0EEEvT1_, .Lfunc_end974-_ZN7rocprim17ROCPRIM_400000_NS6detail17trampoline_kernelINS0_14default_configENS1_25partition_config_selectorILNS1_17partition_subalgoE9EllbEEZZNS1_14partition_implILS5_9ELb0ES3_jPlS8_PNS0_10empty_typeENS0_5tupleIJS8_S9_EEENSB_IJS8_SA_EEENS0_18inequality_wrapperIZN2at6native12_GLOBAL__N_124unique_dim_cuda_templateIfEESt5tupleIJNSF_6TensorESK_SK_EERKSK_lbbbEUlllE0_EEPmJS9_EEE10hipError_tPvRmT3_T4_T5_T6_T7_T9_mT8_P12ihipStream_tbDpT10_ENKUlT_T0_E_clISt17integral_constantIbLb1EES1A_EEDaS15_S16_EUlS15_E_NS1_11comp_targetILNS1_3genE10ELNS1_11target_archE1200ELNS1_3gpuE4ELNS1_3repE0EEENS1_30default_config_static_selectorELNS0_4arch9wavefront6targetE0EEEvT1_
                                        ; -- End function
	.set _ZN7rocprim17ROCPRIM_400000_NS6detail17trampoline_kernelINS0_14default_configENS1_25partition_config_selectorILNS1_17partition_subalgoE9EllbEEZZNS1_14partition_implILS5_9ELb0ES3_jPlS8_PNS0_10empty_typeENS0_5tupleIJS8_S9_EEENSB_IJS8_SA_EEENS0_18inequality_wrapperIZN2at6native12_GLOBAL__N_124unique_dim_cuda_templateIfEESt5tupleIJNSF_6TensorESK_SK_EERKSK_lbbbEUlllE0_EEPmJS9_EEE10hipError_tPvRmT3_T4_T5_T6_T7_T9_mT8_P12ihipStream_tbDpT10_ENKUlT_T0_E_clISt17integral_constantIbLb1EES1A_EEDaS15_S16_EUlS15_E_NS1_11comp_targetILNS1_3genE10ELNS1_11target_archE1200ELNS1_3gpuE4ELNS1_3repE0EEENS1_30default_config_static_selectorELNS0_4arch9wavefront6targetE0EEEvT1_.num_vgpr, 0
	.set _ZN7rocprim17ROCPRIM_400000_NS6detail17trampoline_kernelINS0_14default_configENS1_25partition_config_selectorILNS1_17partition_subalgoE9EllbEEZZNS1_14partition_implILS5_9ELb0ES3_jPlS8_PNS0_10empty_typeENS0_5tupleIJS8_S9_EEENSB_IJS8_SA_EEENS0_18inequality_wrapperIZN2at6native12_GLOBAL__N_124unique_dim_cuda_templateIfEESt5tupleIJNSF_6TensorESK_SK_EERKSK_lbbbEUlllE0_EEPmJS9_EEE10hipError_tPvRmT3_T4_T5_T6_T7_T9_mT8_P12ihipStream_tbDpT10_ENKUlT_T0_E_clISt17integral_constantIbLb1EES1A_EEDaS15_S16_EUlS15_E_NS1_11comp_targetILNS1_3genE10ELNS1_11target_archE1200ELNS1_3gpuE4ELNS1_3repE0EEENS1_30default_config_static_selectorELNS0_4arch9wavefront6targetE0EEEvT1_.num_agpr, 0
	.set _ZN7rocprim17ROCPRIM_400000_NS6detail17trampoline_kernelINS0_14default_configENS1_25partition_config_selectorILNS1_17partition_subalgoE9EllbEEZZNS1_14partition_implILS5_9ELb0ES3_jPlS8_PNS0_10empty_typeENS0_5tupleIJS8_S9_EEENSB_IJS8_SA_EEENS0_18inequality_wrapperIZN2at6native12_GLOBAL__N_124unique_dim_cuda_templateIfEESt5tupleIJNSF_6TensorESK_SK_EERKSK_lbbbEUlllE0_EEPmJS9_EEE10hipError_tPvRmT3_T4_T5_T6_T7_T9_mT8_P12ihipStream_tbDpT10_ENKUlT_T0_E_clISt17integral_constantIbLb1EES1A_EEDaS15_S16_EUlS15_E_NS1_11comp_targetILNS1_3genE10ELNS1_11target_archE1200ELNS1_3gpuE4ELNS1_3repE0EEENS1_30default_config_static_selectorELNS0_4arch9wavefront6targetE0EEEvT1_.numbered_sgpr, 0
	.set _ZN7rocprim17ROCPRIM_400000_NS6detail17trampoline_kernelINS0_14default_configENS1_25partition_config_selectorILNS1_17partition_subalgoE9EllbEEZZNS1_14partition_implILS5_9ELb0ES3_jPlS8_PNS0_10empty_typeENS0_5tupleIJS8_S9_EEENSB_IJS8_SA_EEENS0_18inequality_wrapperIZN2at6native12_GLOBAL__N_124unique_dim_cuda_templateIfEESt5tupleIJNSF_6TensorESK_SK_EERKSK_lbbbEUlllE0_EEPmJS9_EEE10hipError_tPvRmT3_T4_T5_T6_T7_T9_mT8_P12ihipStream_tbDpT10_ENKUlT_T0_E_clISt17integral_constantIbLb1EES1A_EEDaS15_S16_EUlS15_E_NS1_11comp_targetILNS1_3genE10ELNS1_11target_archE1200ELNS1_3gpuE4ELNS1_3repE0EEENS1_30default_config_static_selectorELNS0_4arch9wavefront6targetE0EEEvT1_.num_named_barrier, 0
	.set _ZN7rocprim17ROCPRIM_400000_NS6detail17trampoline_kernelINS0_14default_configENS1_25partition_config_selectorILNS1_17partition_subalgoE9EllbEEZZNS1_14partition_implILS5_9ELb0ES3_jPlS8_PNS0_10empty_typeENS0_5tupleIJS8_S9_EEENSB_IJS8_SA_EEENS0_18inequality_wrapperIZN2at6native12_GLOBAL__N_124unique_dim_cuda_templateIfEESt5tupleIJNSF_6TensorESK_SK_EERKSK_lbbbEUlllE0_EEPmJS9_EEE10hipError_tPvRmT3_T4_T5_T6_T7_T9_mT8_P12ihipStream_tbDpT10_ENKUlT_T0_E_clISt17integral_constantIbLb1EES1A_EEDaS15_S16_EUlS15_E_NS1_11comp_targetILNS1_3genE10ELNS1_11target_archE1200ELNS1_3gpuE4ELNS1_3repE0EEENS1_30default_config_static_selectorELNS0_4arch9wavefront6targetE0EEEvT1_.private_seg_size, 0
	.set _ZN7rocprim17ROCPRIM_400000_NS6detail17trampoline_kernelINS0_14default_configENS1_25partition_config_selectorILNS1_17partition_subalgoE9EllbEEZZNS1_14partition_implILS5_9ELb0ES3_jPlS8_PNS0_10empty_typeENS0_5tupleIJS8_S9_EEENSB_IJS8_SA_EEENS0_18inequality_wrapperIZN2at6native12_GLOBAL__N_124unique_dim_cuda_templateIfEESt5tupleIJNSF_6TensorESK_SK_EERKSK_lbbbEUlllE0_EEPmJS9_EEE10hipError_tPvRmT3_T4_T5_T6_T7_T9_mT8_P12ihipStream_tbDpT10_ENKUlT_T0_E_clISt17integral_constantIbLb1EES1A_EEDaS15_S16_EUlS15_E_NS1_11comp_targetILNS1_3genE10ELNS1_11target_archE1200ELNS1_3gpuE4ELNS1_3repE0EEENS1_30default_config_static_selectorELNS0_4arch9wavefront6targetE0EEEvT1_.uses_vcc, 0
	.set _ZN7rocprim17ROCPRIM_400000_NS6detail17trampoline_kernelINS0_14default_configENS1_25partition_config_selectorILNS1_17partition_subalgoE9EllbEEZZNS1_14partition_implILS5_9ELb0ES3_jPlS8_PNS0_10empty_typeENS0_5tupleIJS8_S9_EEENSB_IJS8_SA_EEENS0_18inequality_wrapperIZN2at6native12_GLOBAL__N_124unique_dim_cuda_templateIfEESt5tupleIJNSF_6TensorESK_SK_EERKSK_lbbbEUlllE0_EEPmJS9_EEE10hipError_tPvRmT3_T4_T5_T6_T7_T9_mT8_P12ihipStream_tbDpT10_ENKUlT_T0_E_clISt17integral_constantIbLb1EES1A_EEDaS15_S16_EUlS15_E_NS1_11comp_targetILNS1_3genE10ELNS1_11target_archE1200ELNS1_3gpuE4ELNS1_3repE0EEENS1_30default_config_static_selectorELNS0_4arch9wavefront6targetE0EEEvT1_.uses_flat_scratch, 0
	.set _ZN7rocprim17ROCPRIM_400000_NS6detail17trampoline_kernelINS0_14default_configENS1_25partition_config_selectorILNS1_17partition_subalgoE9EllbEEZZNS1_14partition_implILS5_9ELb0ES3_jPlS8_PNS0_10empty_typeENS0_5tupleIJS8_S9_EEENSB_IJS8_SA_EEENS0_18inequality_wrapperIZN2at6native12_GLOBAL__N_124unique_dim_cuda_templateIfEESt5tupleIJNSF_6TensorESK_SK_EERKSK_lbbbEUlllE0_EEPmJS9_EEE10hipError_tPvRmT3_T4_T5_T6_T7_T9_mT8_P12ihipStream_tbDpT10_ENKUlT_T0_E_clISt17integral_constantIbLb1EES1A_EEDaS15_S16_EUlS15_E_NS1_11comp_targetILNS1_3genE10ELNS1_11target_archE1200ELNS1_3gpuE4ELNS1_3repE0EEENS1_30default_config_static_selectorELNS0_4arch9wavefront6targetE0EEEvT1_.has_dyn_sized_stack, 0
	.set _ZN7rocprim17ROCPRIM_400000_NS6detail17trampoline_kernelINS0_14default_configENS1_25partition_config_selectorILNS1_17partition_subalgoE9EllbEEZZNS1_14partition_implILS5_9ELb0ES3_jPlS8_PNS0_10empty_typeENS0_5tupleIJS8_S9_EEENSB_IJS8_SA_EEENS0_18inequality_wrapperIZN2at6native12_GLOBAL__N_124unique_dim_cuda_templateIfEESt5tupleIJNSF_6TensorESK_SK_EERKSK_lbbbEUlllE0_EEPmJS9_EEE10hipError_tPvRmT3_T4_T5_T6_T7_T9_mT8_P12ihipStream_tbDpT10_ENKUlT_T0_E_clISt17integral_constantIbLb1EES1A_EEDaS15_S16_EUlS15_E_NS1_11comp_targetILNS1_3genE10ELNS1_11target_archE1200ELNS1_3gpuE4ELNS1_3repE0EEENS1_30default_config_static_selectorELNS0_4arch9wavefront6targetE0EEEvT1_.has_recursion, 0
	.set _ZN7rocprim17ROCPRIM_400000_NS6detail17trampoline_kernelINS0_14default_configENS1_25partition_config_selectorILNS1_17partition_subalgoE9EllbEEZZNS1_14partition_implILS5_9ELb0ES3_jPlS8_PNS0_10empty_typeENS0_5tupleIJS8_S9_EEENSB_IJS8_SA_EEENS0_18inequality_wrapperIZN2at6native12_GLOBAL__N_124unique_dim_cuda_templateIfEESt5tupleIJNSF_6TensorESK_SK_EERKSK_lbbbEUlllE0_EEPmJS9_EEE10hipError_tPvRmT3_T4_T5_T6_T7_T9_mT8_P12ihipStream_tbDpT10_ENKUlT_T0_E_clISt17integral_constantIbLb1EES1A_EEDaS15_S16_EUlS15_E_NS1_11comp_targetILNS1_3genE10ELNS1_11target_archE1200ELNS1_3gpuE4ELNS1_3repE0EEENS1_30default_config_static_selectorELNS0_4arch9wavefront6targetE0EEEvT1_.has_indirect_call, 0
	.section	.AMDGPU.csdata,"",@progbits
; Kernel info:
; codeLenInByte = 0
; TotalNumSgprs: 0
; NumVgprs: 0
; ScratchSize: 0
; MemoryBound: 0
; FloatMode: 240
; IeeeMode: 1
; LDSByteSize: 0 bytes/workgroup (compile time only)
; SGPRBlocks: 0
; VGPRBlocks: 0
; NumSGPRsForWavesPerEU: 1
; NumVGPRsForWavesPerEU: 1
; NamedBarCnt: 0
; Occupancy: 16
; WaveLimiterHint : 0
; COMPUTE_PGM_RSRC2:SCRATCH_EN: 0
; COMPUTE_PGM_RSRC2:USER_SGPR: 2
; COMPUTE_PGM_RSRC2:TRAP_HANDLER: 0
; COMPUTE_PGM_RSRC2:TGID_X_EN: 1
; COMPUTE_PGM_RSRC2:TGID_Y_EN: 0
; COMPUTE_PGM_RSRC2:TGID_Z_EN: 0
; COMPUTE_PGM_RSRC2:TIDIG_COMP_CNT: 0
	.section	.text._ZN7rocprim17ROCPRIM_400000_NS6detail17trampoline_kernelINS0_14default_configENS1_25partition_config_selectorILNS1_17partition_subalgoE9EllbEEZZNS1_14partition_implILS5_9ELb0ES3_jPlS8_PNS0_10empty_typeENS0_5tupleIJS8_S9_EEENSB_IJS8_SA_EEENS0_18inequality_wrapperIZN2at6native12_GLOBAL__N_124unique_dim_cuda_templateIfEESt5tupleIJNSF_6TensorESK_SK_EERKSK_lbbbEUlllE0_EEPmJS9_EEE10hipError_tPvRmT3_T4_T5_T6_T7_T9_mT8_P12ihipStream_tbDpT10_ENKUlT_T0_E_clISt17integral_constantIbLb1EES1A_EEDaS15_S16_EUlS15_E_NS1_11comp_targetILNS1_3genE9ELNS1_11target_archE1100ELNS1_3gpuE3ELNS1_3repE0EEENS1_30default_config_static_selectorELNS0_4arch9wavefront6targetE0EEEvT1_,"axG",@progbits,_ZN7rocprim17ROCPRIM_400000_NS6detail17trampoline_kernelINS0_14default_configENS1_25partition_config_selectorILNS1_17partition_subalgoE9EllbEEZZNS1_14partition_implILS5_9ELb0ES3_jPlS8_PNS0_10empty_typeENS0_5tupleIJS8_S9_EEENSB_IJS8_SA_EEENS0_18inequality_wrapperIZN2at6native12_GLOBAL__N_124unique_dim_cuda_templateIfEESt5tupleIJNSF_6TensorESK_SK_EERKSK_lbbbEUlllE0_EEPmJS9_EEE10hipError_tPvRmT3_T4_T5_T6_T7_T9_mT8_P12ihipStream_tbDpT10_ENKUlT_T0_E_clISt17integral_constantIbLb1EES1A_EEDaS15_S16_EUlS15_E_NS1_11comp_targetILNS1_3genE9ELNS1_11target_archE1100ELNS1_3gpuE3ELNS1_3repE0EEENS1_30default_config_static_selectorELNS0_4arch9wavefront6targetE0EEEvT1_,comdat
	.globl	_ZN7rocprim17ROCPRIM_400000_NS6detail17trampoline_kernelINS0_14default_configENS1_25partition_config_selectorILNS1_17partition_subalgoE9EllbEEZZNS1_14partition_implILS5_9ELb0ES3_jPlS8_PNS0_10empty_typeENS0_5tupleIJS8_S9_EEENSB_IJS8_SA_EEENS0_18inequality_wrapperIZN2at6native12_GLOBAL__N_124unique_dim_cuda_templateIfEESt5tupleIJNSF_6TensorESK_SK_EERKSK_lbbbEUlllE0_EEPmJS9_EEE10hipError_tPvRmT3_T4_T5_T6_T7_T9_mT8_P12ihipStream_tbDpT10_ENKUlT_T0_E_clISt17integral_constantIbLb1EES1A_EEDaS15_S16_EUlS15_E_NS1_11comp_targetILNS1_3genE9ELNS1_11target_archE1100ELNS1_3gpuE3ELNS1_3repE0EEENS1_30default_config_static_selectorELNS0_4arch9wavefront6targetE0EEEvT1_ ; -- Begin function _ZN7rocprim17ROCPRIM_400000_NS6detail17trampoline_kernelINS0_14default_configENS1_25partition_config_selectorILNS1_17partition_subalgoE9EllbEEZZNS1_14partition_implILS5_9ELb0ES3_jPlS8_PNS0_10empty_typeENS0_5tupleIJS8_S9_EEENSB_IJS8_SA_EEENS0_18inequality_wrapperIZN2at6native12_GLOBAL__N_124unique_dim_cuda_templateIfEESt5tupleIJNSF_6TensorESK_SK_EERKSK_lbbbEUlllE0_EEPmJS9_EEE10hipError_tPvRmT3_T4_T5_T6_T7_T9_mT8_P12ihipStream_tbDpT10_ENKUlT_T0_E_clISt17integral_constantIbLb1EES1A_EEDaS15_S16_EUlS15_E_NS1_11comp_targetILNS1_3genE9ELNS1_11target_archE1100ELNS1_3gpuE3ELNS1_3repE0EEENS1_30default_config_static_selectorELNS0_4arch9wavefront6targetE0EEEvT1_
	.p2align	8
	.type	_ZN7rocprim17ROCPRIM_400000_NS6detail17trampoline_kernelINS0_14default_configENS1_25partition_config_selectorILNS1_17partition_subalgoE9EllbEEZZNS1_14partition_implILS5_9ELb0ES3_jPlS8_PNS0_10empty_typeENS0_5tupleIJS8_S9_EEENSB_IJS8_SA_EEENS0_18inequality_wrapperIZN2at6native12_GLOBAL__N_124unique_dim_cuda_templateIfEESt5tupleIJNSF_6TensorESK_SK_EERKSK_lbbbEUlllE0_EEPmJS9_EEE10hipError_tPvRmT3_T4_T5_T6_T7_T9_mT8_P12ihipStream_tbDpT10_ENKUlT_T0_E_clISt17integral_constantIbLb1EES1A_EEDaS15_S16_EUlS15_E_NS1_11comp_targetILNS1_3genE9ELNS1_11target_archE1100ELNS1_3gpuE3ELNS1_3repE0EEENS1_30default_config_static_selectorELNS0_4arch9wavefront6targetE0EEEvT1_,@function
_ZN7rocprim17ROCPRIM_400000_NS6detail17trampoline_kernelINS0_14default_configENS1_25partition_config_selectorILNS1_17partition_subalgoE9EllbEEZZNS1_14partition_implILS5_9ELb0ES3_jPlS8_PNS0_10empty_typeENS0_5tupleIJS8_S9_EEENSB_IJS8_SA_EEENS0_18inequality_wrapperIZN2at6native12_GLOBAL__N_124unique_dim_cuda_templateIfEESt5tupleIJNSF_6TensorESK_SK_EERKSK_lbbbEUlllE0_EEPmJS9_EEE10hipError_tPvRmT3_T4_T5_T6_T7_T9_mT8_P12ihipStream_tbDpT10_ENKUlT_T0_E_clISt17integral_constantIbLb1EES1A_EEDaS15_S16_EUlS15_E_NS1_11comp_targetILNS1_3genE9ELNS1_11target_archE1100ELNS1_3gpuE3ELNS1_3repE0EEENS1_30default_config_static_selectorELNS0_4arch9wavefront6targetE0EEEvT1_: ; @_ZN7rocprim17ROCPRIM_400000_NS6detail17trampoline_kernelINS0_14default_configENS1_25partition_config_selectorILNS1_17partition_subalgoE9EllbEEZZNS1_14partition_implILS5_9ELb0ES3_jPlS8_PNS0_10empty_typeENS0_5tupleIJS8_S9_EEENSB_IJS8_SA_EEENS0_18inequality_wrapperIZN2at6native12_GLOBAL__N_124unique_dim_cuda_templateIfEESt5tupleIJNSF_6TensorESK_SK_EERKSK_lbbbEUlllE0_EEPmJS9_EEE10hipError_tPvRmT3_T4_T5_T6_T7_T9_mT8_P12ihipStream_tbDpT10_ENKUlT_T0_E_clISt17integral_constantIbLb1EES1A_EEDaS15_S16_EUlS15_E_NS1_11comp_targetILNS1_3genE9ELNS1_11target_archE1100ELNS1_3gpuE3ELNS1_3repE0EEENS1_30default_config_static_selectorELNS0_4arch9wavefront6targetE0EEEvT1_
; %bb.0:
	.section	.rodata,"a",@progbits
	.p2align	6, 0x0
	.amdhsa_kernel _ZN7rocprim17ROCPRIM_400000_NS6detail17trampoline_kernelINS0_14default_configENS1_25partition_config_selectorILNS1_17partition_subalgoE9EllbEEZZNS1_14partition_implILS5_9ELb0ES3_jPlS8_PNS0_10empty_typeENS0_5tupleIJS8_S9_EEENSB_IJS8_SA_EEENS0_18inequality_wrapperIZN2at6native12_GLOBAL__N_124unique_dim_cuda_templateIfEESt5tupleIJNSF_6TensorESK_SK_EERKSK_lbbbEUlllE0_EEPmJS9_EEE10hipError_tPvRmT3_T4_T5_T6_T7_T9_mT8_P12ihipStream_tbDpT10_ENKUlT_T0_E_clISt17integral_constantIbLb1EES1A_EEDaS15_S16_EUlS15_E_NS1_11comp_targetILNS1_3genE9ELNS1_11target_archE1100ELNS1_3gpuE3ELNS1_3repE0EEENS1_30default_config_static_selectorELNS0_4arch9wavefront6targetE0EEEvT1_
		.amdhsa_group_segment_fixed_size 0
		.amdhsa_private_segment_fixed_size 0
		.amdhsa_kernarg_size 136
		.amdhsa_user_sgpr_count 2
		.amdhsa_user_sgpr_dispatch_ptr 0
		.amdhsa_user_sgpr_queue_ptr 0
		.amdhsa_user_sgpr_kernarg_segment_ptr 1
		.amdhsa_user_sgpr_dispatch_id 0
		.amdhsa_user_sgpr_kernarg_preload_length 0
		.amdhsa_user_sgpr_kernarg_preload_offset 0
		.amdhsa_user_sgpr_private_segment_size 0
		.amdhsa_wavefront_size32 1
		.amdhsa_uses_dynamic_stack 0
		.amdhsa_enable_private_segment 0
		.amdhsa_system_sgpr_workgroup_id_x 1
		.amdhsa_system_sgpr_workgroup_id_y 0
		.amdhsa_system_sgpr_workgroup_id_z 0
		.amdhsa_system_sgpr_workgroup_info 0
		.amdhsa_system_vgpr_workitem_id 0
		.amdhsa_next_free_vgpr 1
		.amdhsa_next_free_sgpr 1
		.amdhsa_named_barrier_count 0
		.amdhsa_reserve_vcc 0
		.amdhsa_float_round_mode_32 0
		.amdhsa_float_round_mode_16_64 0
		.amdhsa_float_denorm_mode_32 3
		.amdhsa_float_denorm_mode_16_64 3
		.amdhsa_fp16_overflow 0
		.amdhsa_memory_ordered 1
		.amdhsa_forward_progress 1
		.amdhsa_inst_pref_size 0
		.amdhsa_round_robin_scheduling 0
		.amdhsa_exception_fp_ieee_invalid_op 0
		.amdhsa_exception_fp_denorm_src 0
		.amdhsa_exception_fp_ieee_div_zero 0
		.amdhsa_exception_fp_ieee_overflow 0
		.amdhsa_exception_fp_ieee_underflow 0
		.amdhsa_exception_fp_ieee_inexact 0
		.amdhsa_exception_int_div_zero 0
	.end_amdhsa_kernel
	.section	.text._ZN7rocprim17ROCPRIM_400000_NS6detail17trampoline_kernelINS0_14default_configENS1_25partition_config_selectorILNS1_17partition_subalgoE9EllbEEZZNS1_14partition_implILS5_9ELb0ES3_jPlS8_PNS0_10empty_typeENS0_5tupleIJS8_S9_EEENSB_IJS8_SA_EEENS0_18inequality_wrapperIZN2at6native12_GLOBAL__N_124unique_dim_cuda_templateIfEESt5tupleIJNSF_6TensorESK_SK_EERKSK_lbbbEUlllE0_EEPmJS9_EEE10hipError_tPvRmT3_T4_T5_T6_T7_T9_mT8_P12ihipStream_tbDpT10_ENKUlT_T0_E_clISt17integral_constantIbLb1EES1A_EEDaS15_S16_EUlS15_E_NS1_11comp_targetILNS1_3genE9ELNS1_11target_archE1100ELNS1_3gpuE3ELNS1_3repE0EEENS1_30default_config_static_selectorELNS0_4arch9wavefront6targetE0EEEvT1_,"axG",@progbits,_ZN7rocprim17ROCPRIM_400000_NS6detail17trampoline_kernelINS0_14default_configENS1_25partition_config_selectorILNS1_17partition_subalgoE9EllbEEZZNS1_14partition_implILS5_9ELb0ES3_jPlS8_PNS0_10empty_typeENS0_5tupleIJS8_S9_EEENSB_IJS8_SA_EEENS0_18inequality_wrapperIZN2at6native12_GLOBAL__N_124unique_dim_cuda_templateIfEESt5tupleIJNSF_6TensorESK_SK_EERKSK_lbbbEUlllE0_EEPmJS9_EEE10hipError_tPvRmT3_T4_T5_T6_T7_T9_mT8_P12ihipStream_tbDpT10_ENKUlT_T0_E_clISt17integral_constantIbLb1EES1A_EEDaS15_S16_EUlS15_E_NS1_11comp_targetILNS1_3genE9ELNS1_11target_archE1100ELNS1_3gpuE3ELNS1_3repE0EEENS1_30default_config_static_selectorELNS0_4arch9wavefront6targetE0EEEvT1_,comdat
.Lfunc_end975:
	.size	_ZN7rocprim17ROCPRIM_400000_NS6detail17trampoline_kernelINS0_14default_configENS1_25partition_config_selectorILNS1_17partition_subalgoE9EllbEEZZNS1_14partition_implILS5_9ELb0ES3_jPlS8_PNS0_10empty_typeENS0_5tupleIJS8_S9_EEENSB_IJS8_SA_EEENS0_18inequality_wrapperIZN2at6native12_GLOBAL__N_124unique_dim_cuda_templateIfEESt5tupleIJNSF_6TensorESK_SK_EERKSK_lbbbEUlllE0_EEPmJS9_EEE10hipError_tPvRmT3_T4_T5_T6_T7_T9_mT8_P12ihipStream_tbDpT10_ENKUlT_T0_E_clISt17integral_constantIbLb1EES1A_EEDaS15_S16_EUlS15_E_NS1_11comp_targetILNS1_3genE9ELNS1_11target_archE1100ELNS1_3gpuE3ELNS1_3repE0EEENS1_30default_config_static_selectorELNS0_4arch9wavefront6targetE0EEEvT1_, .Lfunc_end975-_ZN7rocprim17ROCPRIM_400000_NS6detail17trampoline_kernelINS0_14default_configENS1_25partition_config_selectorILNS1_17partition_subalgoE9EllbEEZZNS1_14partition_implILS5_9ELb0ES3_jPlS8_PNS0_10empty_typeENS0_5tupleIJS8_S9_EEENSB_IJS8_SA_EEENS0_18inequality_wrapperIZN2at6native12_GLOBAL__N_124unique_dim_cuda_templateIfEESt5tupleIJNSF_6TensorESK_SK_EERKSK_lbbbEUlllE0_EEPmJS9_EEE10hipError_tPvRmT3_T4_T5_T6_T7_T9_mT8_P12ihipStream_tbDpT10_ENKUlT_T0_E_clISt17integral_constantIbLb1EES1A_EEDaS15_S16_EUlS15_E_NS1_11comp_targetILNS1_3genE9ELNS1_11target_archE1100ELNS1_3gpuE3ELNS1_3repE0EEENS1_30default_config_static_selectorELNS0_4arch9wavefront6targetE0EEEvT1_
                                        ; -- End function
	.set _ZN7rocprim17ROCPRIM_400000_NS6detail17trampoline_kernelINS0_14default_configENS1_25partition_config_selectorILNS1_17partition_subalgoE9EllbEEZZNS1_14partition_implILS5_9ELb0ES3_jPlS8_PNS0_10empty_typeENS0_5tupleIJS8_S9_EEENSB_IJS8_SA_EEENS0_18inequality_wrapperIZN2at6native12_GLOBAL__N_124unique_dim_cuda_templateIfEESt5tupleIJNSF_6TensorESK_SK_EERKSK_lbbbEUlllE0_EEPmJS9_EEE10hipError_tPvRmT3_T4_T5_T6_T7_T9_mT8_P12ihipStream_tbDpT10_ENKUlT_T0_E_clISt17integral_constantIbLb1EES1A_EEDaS15_S16_EUlS15_E_NS1_11comp_targetILNS1_3genE9ELNS1_11target_archE1100ELNS1_3gpuE3ELNS1_3repE0EEENS1_30default_config_static_selectorELNS0_4arch9wavefront6targetE0EEEvT1_.num_vgpr, 0
	.set _ZN7rocprim17ROCPRIM_400000_NS6detail17trampoline_kernelINS0_14default_configENS1_25partition_config_selectorILNS1_17partition_subalgoE9EllbEEZZNS1_14partition_implILS5_9ELb0ES3_jPlS8_PNS0_10empty_typeENS0_5tupleIJS8_S9_EEENSB_IJS8_SA_EEENS0_18inequality_wrapperIZN2at6native12_GLOBAL__N_124unique_dim_cuda_templateIfEESt5tupleIJNSF_6TensorESK_SK_EERKSK_lbbbEUlllE0_EEPmJS9_EEE10hipError_tPvRmT3_T4_T5_T6_T7_T9_mT8_P12ihipStream_tbDpT10_ENKUlT_T0_E_clISt17integral_constantIbLb1EES1A_EEDaS15_S16_EUlS15_E_NS1_11comp_targetILNS1_3genE9ELNS1_11target_archE1100ELNS1_3gpuE3ELNS1_3repE0EEENS1_30default_config_static_selectorELNS0_4arch9wavefront6targetE0EEEvT1_.num_agpr, 0
	.set _ZN7rocprim17ROCPRIM_400000_NS6detail17trampoline_kernelINS0_14default_configENS1_25partition_config_selectorILNS1_17partition_subalgoE9EllbEEZZNS1_14partition_implILS5_9ELb0ES3_jPlS8_PNS0_10empty_typeENS0_5tupleIJS8_S9_EEENSB_IJS8_SA_EEENS0_18inequality_wrapperIZN2at6native12_GLOBAL__N_124unique_dim_cuda_templateIfEESt5tupleIJNSF_6TensorESK_SK_EERKSK_lbbbEUlllE0_EEPmJS9_EEE10hipError_tPvRmT3_T4_T5_T6_T7_T9_mT8_P12ihipStream_tbDpT10_ENKUlT_T0_E_clISt17integral_constantIbLb1EES1A_EEDaS15_S16_EUlS15_E_NS1_11comp_targetILNS1_3genE9ELNS1_11target_archE1100ELNS1_3gpuE3ELNS1_3repE0EEENS1_30default_config_static_selectorELNS0_4arch9wavefront6targetE0EEEvT1_.numbered_sgpr, 0
	.set _ZN7rocprim17ROCPRIM_400000_NS6detail17trampoline_kernelINS0_14default_configENS1_25partition_config_selectorILNS1_17partition_subalgoE9EllbEEZZNS1_14partition_implILS5_9ELb0ES3_jPlS8_PNS0_10empty_typeENS0_5tupleIJS8_S9_EEENSB_IJS8_SA_EEENS0_18inequality_wrapperIZN2at6native12_GLOBAL__N_124unique_dim_cuda_templateIfEESt5tupleIJNSF_6TensorESK_SK_EERKSK_lbbbEUlllE0_EEPmJS9_EEE10hipError_tPvRmT3_T4_T5_T6_T7_T9_mT8_P12ihipStream_tbDpT10_ENKUlT_T0_E_clISt17integral_constantIbLb1EES1A_EEDaS15_S16_EUlS15_E_NS1_11comp_targetILNS1_3genE9ELNS1_11target_archE1100ELNS1_3gpuE3ELNS1_3repE0EEENS1_30default_config_static_selectorELNS0_4arch9wavefront6targetE0EEEvT1_.num_named_barrier, 0
	.set _ZN7rocprim17ROCPRIM_400000_NS6detail17trampoline_kernelINS0_14default_configENS1_25partition_config_selectorILNS1_17partition_subalgoE9EllbEEZZNS1_14partition_implILS5_9ELb0ES3_jPlS8_PNS0_10empty_typeENS0_5tupleIJS8_S9_EEENSB_IJS8_SA_EEENS0_18inequality_wrapperIZN2at6native12_GLOBAL__N_124unique_dim_cuda_templateIfEESt5tupleIJNSF_6TensorESK_SK_EERKSK_lbbbEUlllE0_EEPmJS9_EEE10hipError_tPvRmT3_T4_T5_T6_T7_T9_mT8_P12ihipStream_tbDpT10_ENKUlT_T0_E_clISt17integral_constantIbLb1EES1A_EEDaS15_S16_EUlS15_E_NS1_11comp_targetILNS1_3genE9ELNS1_11target_archE1100ELNS1_3gpuE3ELNS1_3repE0EEENS1_30default_config_static_selectorELNS0_4arch9wavefront6targetE0EEEvT1_.private_seg_size, 0
	.set _ZN7rocprim17ROCPRIM_400000_NS6detail17trampoline_kernelINS0_14default_configENS1_25partition_config_selectorILNS1_17partition_subalgoE9EllbEEZZNS1_14partition_implILS5_9ELb0ES3_jPlS8_PNS0_10empty_typeENS0_5tupleIJS8_S9_EEENSB_IJS8_SA_EEENS0_18inequality_wrapperIZN2at6native12_GLOBAL__N_124unique_dim_cuda_templateIfEESt5tupleIJNSF_6TensorESK_SK_EERKSK_lbbbEUlllE0_EEPmJS9_EEE10hipError_tPvRmT3_T4_T5_T6_T7_T9_mT8_P12ihipStream_tbDpT10_ENKUlT_T0_E_clISt17integral_constantIbLb1EES1A_EEDaS15_S16_EUlS15_E_NS1_11comp_targetILNS1_3genE9ELNS1_11target_archE1100ELNS1_3gpuE3ELNS1_3repE0EEENS1_30default_config_static_selectorELNS0_4arch9wavefront6targetE0EEEvT1_.uses_vcc, 0
	.set _ZN7rocprim17ROCPRIM_400000_NS6detail17trampoline_kernelINS0_14default_configENS1_25partition_config_selectorILNS1_17partition_subalgoE9EllbEEZZNS1_14partition_implILS5_9ELb0ES3_jPlS8_PNS0_10empty_typeENS0_5tupleIJS8_S9_EEENSB_IJS8_SA_EEENS0_18inequality_wrapperIZN2at6native12_GLOBAL__N_124unique_dim_cuda_templateIfEESt5tupleIJNSF_6TensorESK_SK_EERKSK_lbbbEUlllE0_EEPmJS9_EEE10hipError_tPvRmT3_T4_T5_T6_T7_T9_mT8_P12ihipStream_tbDpT10_ENKUlT_T0_E_clISt17integral_constantIbLb1EES1A_EEDaS15_S16_EUlS15_E_NS1_11comp_targetILNS1_3genE9ELNS1_11target_archE1100ELNS1_3gpuE3ELNS1_3repE0EEENS1_30default_config_static_selectorELNS0_4arch9wavefront6targetE0EEEvT1_.uses_flat_scratch, 0
	.set _ZN7rocprim17ROCPRIM_400000_NS6detail17trampoline_kernelINS0_14default_configENS1_25partition_config_selectorILNS1_17partition_subalgoE9EllbEEZZNS1_14partition_implILS5_9ELb0ES3_jPlS8_PNS0_10empty_typeENS0_5tupleIJS8_S9_EEENSB_IJS8_SA_EEENS0_18inequality_wrapperIZN2at6native12_GLOBAL__N_124unique_dim_cuda_templateIfEESt5tupleIJNSF_6TensorESK_SK_EERKSK_lbbbEUlllE0_EEPmJS9_EEE10hipError_tPvRmT3_T4_T5_T6_T7_T9_mT8_P12ihipStream_tbDpT10_ENKUlT_T0_E_clISt17integral_constantIbLb1EES1A_EEDaS15_S16_EUlS15_E_NS1_11comp_targetILNS1_3genE9ELNS1_11target_archE1100ELNS1_3gpuE3ELNS1_3repE0EEENS1_30default_config_static_selectorELNS0_4arch9wavefront6targetE0EEEvT1_.has_dyn_sized_stack, 0
	.set _ZN7rocprim17ROCPRIM_400000_NS6detail17trampoline_kernelINS0_14default_configENS1_25partition_config_selectorILNS1_17partition_subalgoE9EllbEEZZNS1_14partition_implILS5_9ELb0ES3_jPlS8_PNS0_10empty_typeENS0_5tupleIJS8_S9_EEENSB_IJS8_SA_EEENS0_18inequality_wrapperIZN2at6native12_GLOBAL__N_124unique_dim_cuda_templateIfEESt5tupleIJNSF_6TensorESK_SK_EERKSK_lbbbEUlllE0_EEPmJS9_EEE10hipError_tPvRmT3_T4_T5_T6_T7_T9_mT8_P12ihipStream_tbDpT10_ENKUlT_T0_E_clISt17integral_constantIbLb1EES1A_EEDaS15_S16_EUlS15_E_NS1_11comp_targetILNS1_3genE9ELNS1_11target_archE1100ELNS1_3gpuE3ELNS1_3repE0EEENS1_30default_config_static_selectorELNS0_4arch9wavefront6targetE0EEEvT1_.has_recursion, 0
	.set _ZN7rocprim17ROCPRIM_400000_NS6detail17trampoline_kernelINS0_14default_configENS1_25partition_config_selectorILNS1_17partition_subalgoE9EllbEEZZNS1_14partition_implILS5_9ELb0ES3_jPlS8_PNS0_10empty_typeENS0_5tupleIJS8_S9_EEENSB_IJS8_SA_EEENS0_18inequality_wrapperIZN2at6native12_GLOBAL__N_124unique_dim_cuda_templateIfEESt5tupleIJNSF_6TensorESK_SK_EERKSK_lbbbEUlllE0_EEPmJS9_EEE10hipError_tPvRmT3_T4_T5_T6_T7_T9_mT8_P12ihipStream_tbDpT10_ENKUlT_T0_E_clISt17integral_constantIbLb1EES1A_EEDaS15_S16_EUlS15_E_NS1_11comp_targetILNS1_3genE9ELNS1_11target_archE1100ELNS1_3gpuE3ELNS1_3repE0EEENS1_30default_config_static_selectorELNS0_4arch9wavefront6targetE0EEEvT1_.has_indirect_call, 0
	.section	.AMDGPU.csdata,"",@progbits
; Kernel info:
; codeLenInByte = 0
; TotalNumSgprs: 0
; NumVgprs: 0
; ScratchSize: 0
; MemoryBound: 0
; FloatMode: 240
; IeeeMode: 1
; LDSByteSize: 0 bytes/workgroup (compile time only)
; SGPRBlocks: 0
; VGPRBlocks: 0
; NumSGPRsForWavesPerEU: 1
; NumVGPRsForWavesPerEU: 1
; NamedBarCnt: 0
; Occupancy: 16
; WaveLimiterHint : 0
; COMPUTE_PGM_RSRC2:SCRATCH_EN: 0
; COMPUTE_PGM_RSRC2:USER_SGPR: 2
; COMPUTE_PGM_RSRC2:TRAP_HANDLER: 0
; COMPUTE_PGM_RSRC2:TGID_X_EN: 1
; COMPUTE_PGM_RSRC2:TGID_Y_EN: 0
; COMPUTE_PGM_RSRC2:TGID_Z_EN: 0
; COMPUTE_PGM_RSRC2:TIDIG_COMP_CNT: 0
	.section	.text._ZN7rocprim17ROCPRIM_400000_NS6detail17trampoline_kernelINS0_14default_configENS1_25partition_config_selectorILNS1_17partition_subalgoE9EllbEEZZNS1_14partition_implILS5_9ELb0ES3_jPlS8_PNS0_10empty_typeENS0_5tupleIJS8_S9_EEENSB_IJS8_SA_EEENS0_18inequality_wrapperIZN2at6native12_GLOBAL__N_124unique_dim_cuda_templateIfEESt5tupleIJNSF_6TensorESK_SK_EERKSK_lbbbEUlllE0_EEPmJS9_EEE10hipError_tPvRmT3_T4_T5_T6_T7_T9_mT8_P12ihipStream_tbDpT10_ENKUlT_T0_E_clISt17integral_constantIbLb1EES1A_EEDaS15_S16_EUlS15_E_NS1_11comp_targetILNS1_3genE8ELNS1_11target_archE1030ELNS1_3gpuE2ELNS1_3repE0EEENS1_30default_config_static_selectorELNS0_4arch9wavefront6targetE0EEEvT1_,"axG",@progbits,_ZN7rocprim17ROCPRIM_400000_NS6detail17trampoline_kernelINS0_14default_configENS1_25partition_config_selectorILNS1_17partition_subalgoE9EllbEEZZNS1_14partition_implILS5_9ELb0ES3_jPlS8_PNS0_10empty_typeENS0_5tupleIJS8_S9_EEENSB_IJS8_SA_EEENS0_18inequality_wrapperIZN2at6native12_GLOBAL__N_124unique_dim_cuda_templateIfEESt5tupleIJNSF_6TensorESK_SK_EERKSK_lbbbEUlllE0_EEPmJS9_EEE10hipError_tPvRmT3_T4_T5_T6_T7_T9_mT8_P12ihipStream_tbDpT10_ENKUlT_T0_E_clISt17integral_constantIbLb1EES1A_EEDaS15_S16_EUlS15_E_NS1_11comp_targetILNS1_3genE8ELNS1_11target_archE1030ELNS1_3gpuE2ELNS1_3repE0EEENS1_30default_config_static_selectorELNS0_4arch9wavefront6targetE0EEEvT1_,comdat
	.globl	_ZN7rocprim17ROCPRIM_400000_NS6detail17trampoline_kernelINS0_14default_configENS1_25partition_config_selectorILNS1_17partition_subalgoE9EllbEEZZNS1_14partition_implILS5_9ELb0ES3_jPlS8_PNS0_10empty_typeENS0_5tupleIJS8_S9_EEENSB_IJS8_SA_EEENS0_18inequality_wrapperIZN2at6native12_GLOBAL__N_124unique_dim_cuda_templateIfEESt5tupleIJNSF_6TensorESK_SK_EERKSK_lbbbEUlllE0_EEPmJS9_EEE10hipError_tPvRmT3_T4_T5_T6_T7_T9_mT8_P12ihipStream_tbDpT10_ENKUlT_T0_E_clISt17integral_constantIbLb1EES1A_EEDaS15_S16_EUlS15_E_NS1_11comp_targetILNS1_3genE8ELNS1_11target_archE1030ELNS1_3gpuE2ELNS1_3repE0EEENS1_30default_config_static_selectorELNS0_4arch9wavefront6targetE0EEEvT1_ ; -- Begin function _ZN7rocprim17ROCPRIM_400000_NS6detail17trampoline_kernelINS0_14default_configENS1_25partition_config_selectorILNS1_17partition_subalgoE9EllbEEZZNS1_14partition_implILS5_9ELb0ES3_jPlS8_PNS0_10empty_typeENS0_5tupleIJS8_S9_EEENSB_IJS8_SA_EEENS0_18inequality_wrapperIZN2at6native12_GLOBAL__N_124unique_dim_cuda_templateIfEESt5tupleIJNSF_6TensorESK_SK_EERKSK_lbbbEUlllE0_EEPmJS9_EEE10hipError_tPvRmT3_T4_T5_T6_T7_T9_mT8_P12ihipStream_tbDpT10_ENKUlT_T0_E_clISt17integral_constantIbLb1EES1A_EEDaS15_S16_EUlS15_E_NS1_11comp_targetILNS1_3genE8ELNS1_11target_archE1030ELNS1_3gpuE2ELNS1_3repE0EEENS1_30default_config_static_selectorELNS0_4arch9wavefront6targetE0EEEvT1_
	.p2align	8
	.type	_ZN7rocprim17ROCPRIM_400000_NS6detail17trampoline_kernelINS0_14default_configENS1_25partition_config_selectorILNS1_17partition_subalgoE9EllbEEZZNS1_14partition_implILS5_9ELb0ES3_jPlS8_PNS0_10empty_typeENS0_5tupleIJS8_S9_EEENSB_IJS8_SA_EEENS0_18inequality_wrapperIZN2at6native12_GLOBAL__N_124unique_dim_cuda_templateIfEESt5tupleIJNSF_6TensorESK_SK_EERKSK_lbbbEUlllE0_EEPmJS9_EEE10hipError_tPvRmT3_T4_T5_T6_T7_T9_mT8_P12ihipStream_tbDpT10_ENKUlT_T0_E_clISt17integral_constantIbLb1EES1A_EEDaS15_S16_EUlS15_E_NS1_11comp_targetILNS1_3genE8ELNS1_11target_archE1030ELNS1_3gpuE2ELNS1_3repE0EEENS1_30default_config_static_selectorELNS0_4arch9wavefront6targetE0EEEvT1_,@function
_ZN7rocprim17ROCPRIM_400000_NS6detail17trampoline_kernelINS0_14default_configENS1_25partition_config_selectorILNS1_17partition_subalgoE9EllbEEZZNS1_14partition_implILS5_9ELb0ES3_jPlS8_PNS0_10empty_typeENS0_5tupleIJS8_S9_EEENSB_IJS8_SA_EEENS0_18inequality_wrapperIZN2at6native12_GLOBAL__N_124unique_dim_cuda_templateIfEESt5tupleIJNSF_6TensorESK_SK_EERKSK_lbbbEUlllE0_EEPmJS9_EEE10hipError_tPvRmT3_T4_T5_T6_T7_T9_mT8_P12ihipStream_tbDpT10_ENKUlT_T0_E_clISt17integral_constantIbLb1EES1A_EEDaS15_S16_EUlS15_E_NS1_11comp_targetILNS1_3genE8ELNS1_11target_archE1030ELNS1_3gpuE2ELNS1_3repE0EEENS1_30default_config_static_selectorELNS0_4arch9wavefront6targetE0EEEvT1_: ; @_ZN7rocprim17ROCPRIM_400000_NS6detail17trampoline_kernelINS0_14default_configENS1_25partition_config_selectorILNS1_17partition_subalgoE9EllbEEZZNS1_14partition_implILS5_9ELb0ES3_jPlS8_PNS0_10empty_typeENS0_5tupleIJS8_S9_EEENSB_IJS8_SA_EEENS0_18inequality_wrapperIZN2at6native12_GLOBAL__N_124unique_dim_cuda_templateIfEESt5tupleIJNSF_6TensorESK_SK_EERKSK_lbbbEUlllE0_EEPmJS9_EEE10hipError_tPvRmT3_T4_T5_T6_T7_T9_mT8_P12ihipStream_tbDpT10_ENKUlT_T0_E_clISt17integral_constantIbLb1EES1A_EEDaS15_S16_EUlS15_E_NS1_11comp_targetILNS1_3genE8ELNS1_11target_archE1030ELNS1_3gpuE2ELNS1_3repE0EEENS1_30default_config_static_selectorELNS0_4arch9wavefront6targetE0EEEvT1_
; %bb.0:
	.section	.rodata,"a",@progbits
	.p2align	6, 0x0
	.amdhsa_kernel _ZN7rocprim17ROCPRIM_400000_NS6detail17trampoline_kernelINS0_14default_configENS1_25partition_config_selectorILNS1_17partition_subalgoE9EllbEEZZNS1_14partition_implILS5_9ELb0ES3_jPlS8_PNS0_10empty_typeENS0_5tupleIJS8_S9_EEENSB_IJS8_SA_EEENS0_18inequality_wrapperIZN2at6native12_GLOBAL__N_124unique_dim_cuda_templateIfEESt5tupleIJNSF_6TensorESK_SK_EERKSK_lbbbEUlllE0_EEPmJS9_EEE10hipError_tPvRmT3_T4_T5_T6_T7_T9_mT8_P12ihipStream_tbDpT10_ENKUlT_T0_E_clISt17integral_constantIbLb1EES1A_EEDaS15_S16_EUlS15_E_NS1_11comp_targetILNS1_3genE8ELNS1_11target_archE1030ELNS1_3gpuE2ELNS1_3repE0EEENS1_30default_config_static_selectorELNS0_4arch9wavefront6targetE0EEEvT1_
		.amdhsa_group_segment_fixed_size 0
		.amdhsa_private_segment_fixed_size 0
		.amdhsa_kernarg_size 136
		.amdhsa_user_sgpr_count 2
		.amdhsa_user_sgpr_dispatch_ptr 0
		.amdhsa_user_sgpr_queue_ptr 0
		.amdhsa_user_sgpr_kernarg_segment_ptr 1
		.amdhsa_user_sgpr_dispatch_id 0
		.amdhsa_user_sgpr_kernarg_preload_length 0
		.amdhsa_user_sgpr_kernarg_preload_offset 0
		.amdhsa_user_sgpr_private_segment_size 0
		.amdhsa_wavefront_size32 1
		.amdhsa_uses_dynamic_stack 0
		.amdhsa_enable_private_segment 0
		.amdhsa_system_sgpr_workgroup_id_x 1
		.amdhsa_system_sgpr_workgroup_id_y 0
		.amdhsa_system_sgpr_workgroup_id_z 0
		.amdhsa_system_sgpr_workgroup_info 0
		.amdhsa_system_vgpr_workitem_id 0
		.amdhsa_next_free_vgpr 1
		.amdhsa_next_free_sgpr 1
		.amdhsa_named_barrier_count 0
		.amdhsa_reserve_vcc 0
		.amdhsa_float_round_mode_32 0
		.amdhsa_float_round_mode_16_64 0
		.amdhsa_float_denorm_mode_32 3
		.amdhsa_float_denorm_mode_16_64 3
		.amdhsa_fp16_overflow 0
		.amdhsa_memory_ordered 1
		.amdhsa_forward_progress 1
		.amdhsa_inst_pref_size 0
		.amdhsa_round_robin_scheduling 0
		.amdhsa_exception_fp_ieee_invalid_op 0
		.amdhsa_exception_fp_denorm_src 0
		.amdhsa_exception_fp_ieee_div_zero 0
		.amdhsa_exception_fp_ieee_overflow 0
		.amdhsa_exception_fp_ieee_underflow 0
		.amdhsa_exception_fp_ieee_inexact 0
		.amdhsa_exception_int_div_zero 0
	.end_amdhsa_kernel
	.section	.text._ZN7rocprim17ROCPRIM_400000_NS6detail17trampoline_kernelINS0_14default_configENS1_25partition_config_selectorILNS1_17partition_subalgoE9EllbEEZZNS1_14partition_implILS5_9ELb0ES3_jPlS8_PNS0_10empty_typeENS0_5tupleIJS8_S9_EEENSB_IJS8_SA_EEENS0_18inequality_wrapperIZN2at6native12_GLOBAL__N_124unique_dim_cuda_templateIfEESt5tupleIJNSF_6TensorESK_SK_EERKSK_lbbbEUlllE0_EEPmJS9_EEE10hipError_tPvRmT3_T4_T5_T6_T7_T9_mT8_P12ihipStream_tbDpT10_ENKUlT_T0_E_clISt17integral_constantIbLb1EES1A_EEDaS15_S16_EUlS15_E_NS1_11comp_targetILNS1_3genE8ELNS1_11target_archE1030ELNS1_3gpuE2ELNS1_3repE0EEENS1_30default_config_static_selectorELNS0_4arch9wavefront6targetE0EEEvT1_,"axG",@progbits,_ZN7rocprim17ROCPRIM_400000_NS6detail17trampoline_kernelINS0_14default_configENS1_25partition_config_selectorILNS1_17partition_subalgoE9EllbEEZZNS1_14partition_implILS5_9ELb0ES3_jPlS8_PNS0_10empty_typeENS0_5tupleIJS8_S9_EEENSB_IJS8_SA_EEENS0_18inequality_wrapperIZN2at6native12_GLOBAL__N_124unique_dim_cuda_templateIfEESt5tupleIJNSF_6TensorESK_SK_EERKSK_lbbbEUlllE0_EEPmJS9_EEE10hipError_tPvRmT3_T4_T5_T6_T7_T9_mT8_P12ihipStream_tbDpT10_ENKUlT_T0_E_clISt17integral_constantIbLb1EES1A_EEDaS15_S16_EUlS15_E_NS1_11comp_targetILNS1_3genE8ELNS1_11target_archE1030ELNS1_3gpuE2ELNS1_3repE0EEENS1_30default_config_static_selectorELNS0_4arch9wavefront6targetE0EEEvT1_,comdat
.Lfunc_end976:
	.size	_ZN7rocprim17ROCPRIM_400000_NS6detail17trampoline_kernelINS0_14default_configENS1_25partition_config_selectorILNS1_17partition_subalgoE9EllbEEZZNS1_14partition_implILS5_9ELb0ES3_jPlS8_PNS0_10empty_typeENS0_5tupleIJS8_S9_EEENSB_IJS8_SA_EEENS0_18inequality_wrapperIZN2at6native12_GLOBAL__N_124unique_dim_cuda_templateIfEESt5tupleIJNSF_6TensorESK_SK_EERKSK_lbbbEUlllE0_EEPmJS9_EEE10hipError_tPvRmT3_T4_T5_T6_T7_T9_mT8_P12ihipStream_tbDpT10_ENKUlT_T0_E_clISt17integral_constantIbLb1EES1A_EEDaS15_S16_EUlS15_E_NS1_11comp_targetILNS1_3genE8ELNS1_11target_archE1030ELNS1_3gpuE2ELNS1_3repE0EEENS1_30default_config_static_selectorELNS0_4arch9wavefront6targetE0EEEvT1_, .Lfunc_end976-_ZN7rocprim17ROCPRIM_400000_NS6detail17trampoline_kernelINS0_14default_configENS1_25partition_config_selectorILNS1_17partition_subalgoE9EllbEEZZNS1_14partition_implILS5_9ELb0ES3_jPlS8_PNS0_10empty_typeENS0_5tupleIJS8_S9_EEENSB_IJS8_SA_EEENS0_18inequality_wrapperIZN2at6native12_GLOBAL__N_124unique_dim_cuda_templateIfEESt5tupleIJNSF_6TensorESK_SK_EERKSK_lbbbEUlllE0_EEPmJS9_EEE10hipError_tPvRmT3_T4_T5_T6_T7_T9_mT8_P12ihipStream_tbDpT10_ENKUlT_T0_E_clISt17integral_constantIbLb1EES1A_EEDaS15_S16_EUlS15_E_NS1_11comp_targetILNS1_3genE8ELNS1_11target_archE1030ELNS1_3gpuE2ELNS1_3repE0EEENS1_30default_config_static_selectorELNS0_4arch9wavefront6targetE0EEEvT1_
                                        ; -- End function
	.set _ZN7rocprim17ROCPRIM_400000_NS6detail17trampoline_kernelINS0_14default_configENS1_25partition_config_selectorILNS1_17partition_subalgoE9EllbEEZZNS1_14partition_implILS5_9ELb0ES3_jPlS8_PNS0_10empty_typeENS0_5tupleIJS8_S9_EEENSB_IJS8_SA_EEENS0_18inequality_wrapperIZN2at6native12_GLOBAL__N_124unique_dim_cuda_templateIfEESt5tupleIJNSF_6TensorESK_SK_EERKSK_lbbbEUlllE0_EEPmJS9_EEE10hipError_tPvRmT3_T4_T5_T6_T7_T9_mT8_P12ihipStream_tbDpT10_ENKUlT_T0_E_clISt17integral_constantIbLb1EES1A_EEDaS15_S16_EUlS15_E_NS1_11comp_targetILNS1_3genE8ELNS1_11target_archE1030ELNS1_3gpuE2ELNS1_3repE0EEENS1_30default_config_static_selectorELNS0_4arch9wavefront6targetE0EEEvT1_.num_vgpr, 0
	.set _ZN7rocprim17ROCPRIM_400000_NS6detail17trampoline_kernelINS0_14default_configENS1_25partition_config_selectorILNS1_17partition_subalgoE9EllbEEZZNS1_14partition_implILS5_9ELb0ES3_jPlS8_PNS0_10empty_typeENS0_5tupleIJS8_S9_EEENSB_IJS8_SA_EEENS0_18inequality_wrapperIZN2at6native12_GLOBAL__N_124unique_dim_cuda_templateIfEESt5tupleIJNSF_6TensorESK_SK_EERKSK_lbbbEUlllE0_EEPmJS9_EEE10hipError_tPvRmT3_T4_T5_T6_T7_T9_mT8_P12ihipStream_tbDpT10_ENKUlT_T0_E_clISt17integral_constantIbLb1EES1A_EEDaS15_S16_EUlS15_E_NS1_11comp_targetILNS1_3genE8ELNS1_11target_archE1030ELNS1_3gpuE2ELNS1_3repE0EEENS1_30default_config_static_selectorELNS0_4arch9wavefront6targetE0EEEvT1_.num_agpr, 0
	.set _ZN7rocprim17ROCPRIM_400000_NS6detail17trampoline_kernelINS0_14default_configENS1_25partition_config_selectorILNS1_17partition_subalgoE9EllbEEZZNS1_14partition_implILS5_9ELb0ES3_jPlS8_PNS0_10empty_typeENS0_5tupleIJS8_S9_EEENSB_IJS8_SA_EEENS0_18inequality_wrapperIZN2at6native12_GLOBAL__N_124unique_dim_cuda_templateIfEESt5tupleIJNSF_6TensorESK_SK_EERKSK_lbbbEUlllE0_EEPmJS9_EEE10hipError_tPvRmT3_T4_T5_T6_T7_T9_mT8_P12ihipStream_tbDpT10_ENKUlT_T0_E_clISt17integral_constantIbLb1EES1A_EEDaS15_S16_EUlS15_E_NS1_11comp_targetILNS1_3genE8ELNS1_11target_archE1030ELNS1_3gpuE2ELNS1_3repE0EEENS1_30default_config_static_selectorELNS0_4arch9wavefront6targetE0EEEvT1_.numbered_sgpr, 0
	.set _ZN7rocprim17ROCPRIM_400000_NS6detail17trampoline_kernelINS0_14default_configENS1_25partition_config_selectorILNS1_17partition_subalgoE9EllbEEZZNS1_14partition_implILS5_9ELb0ES3_jPlS8_PNS0_10empty_typeENS0_5tupleIJS8_S9_EEENSB_IJS8_SA_EEENS0_18inequality_wrapperIZN2at6native12_GLOBAL__N_124unique_dim_cuda_templateIfEESt5tupleIJNSF_6TensorESK_SK_EERKSK_lbbbEUlllE0_EEPmJS9_EEE10hipError_tPvRmT3_T4_T5_T6_T7_T9_mT8_P12ihipStream_tbDpT10_ENKUlT_T0_E_clISt17integral_constantIbLb1EES1A_EEDaS15_S16_EUlS15_E_NS1_11comp_targetILNS1_3genE8ELNS1_11target_archE1030ELNS1_3gpuE2ELNS1_3repE0EEENS1_30default_config_static_selectorELNS0_4arch9wavefront6targetE0EEEvT1_.num_named_barrier, 0
	.set _ZN7rocprim17ROCPRIM_400000_NS6detail17trampoline_kernelINS0_14default_configENS1_25partition_config_selectorILNS1_17partition_subalgoE9EllbEEZZNS1_14partition_implILS5_9ELb0ES3_jPlS8_PNS0_10empty_typeENS0_5tupleIJS8_S9_EEENSB_IJS8_SA_EEENS0_18inequality_wrapperIZN2at6native12_GLOBAL__N_124unique_dim_cuda_templateIfEESt5tupleIJNSF_6TensorESK_SK_EERKSK_lbbbEUlllE0_EEPmJS9_EEE10hipError_tPvRmT3_T4_T5_T6_T7_T9_mT8_P12ihipStream_tbDpT10_ENKUlT_T0_E_clISt17integral_constantIbLb1EES1A_EEDaS15_S16_EUlS15_E_NS1_11comp_targetILNS1_3genE8ELNS1_11target_archE1030ELNS1_3gpuE2ELNS1_3repE0EEENS1_30default_config_static_selectorELNS0_4arch9wavefront6targetE0EEEvT1_.private_seg_size, 0
	.set _ZN7rocprim17ROCPRIM_400000_NS6detail17trampoline_kernelINS0_14default_configENS1_25partition_config_selectorILNS1_17partition_subalgoE9EllbEEZZNS1_14partition_implILS5_9ELb0ES3_jPlS8_PNS0_10empty_typeENS0_5tupleIJS8_S9_EEENSB_IJS8_SA_EEENS0_18inequality_wrapperIZN2at6native12_GLOBAL__N_124unique_dim_cuda_templateIfEESt5tupleIJNSF_6TensorESK_SK_EERKSK_lbbbEUlllE0_EEPmJS9_EEE10hipError_tPvRmT3_T4_T5_T6_T7_T9_mT8_P12ihipStream_tbDpT10_ENKUlT_T0_E_clISt17integral_constantIbLb1EES1A_EEDaS15_S16_EUlS15_E_NS1_11comp_targetILNS1_3genE8ELNS1_11target_archE1030ELNS1_3gpuE2ELNS1_3repE0EEENS1_30default_config_static_selectorELNS0_4arch9wavefront6targetE0EEEvT1_.uses_vcc, 0
	.set _ZN7rocprim17ROCPRIM_400000_NS6detail17trampoline_kernelINS0_14default_configENS1_25partition_config_selectorILNS1_17partition_subalgoE9EllbEEZZNS1_14partition_implILS5_9ELb0ES3_jPlS8_PNS0_10empty_typeENS0_5tupleIJS8_S9_EEENSB_IJS8_SA_EEENS0_18inequality_wrapperIZN2at6native12_GLOBAL__N_124unique_dim_cuda_templateIfEESt5tupleIJNSF_6TensorESK_SK_EERKSK_lbbbEUlllE0_EEPmJS9_EEE10hipError_tPvRmT3_T4_T5_T6_T7_T9_mT8_P12ihipStream_tbDpT10_ENKUlT_T0_E_clISt17integral_constantIbLb1EES1A_EEDaS15_S16_EUlS15_E_NS1_11comp_targetILNS1_3genE8ELNS1_11target_archE1030ELNS1_3gpuE2ELNS1_3repE0EEENS1_30default_config_static_selectorELNS0_4arch9wavefront6targetE0EEEvT1_.uses_flat_scratch, 0
	.set _ZN7rocprim17ROCPRIM_400000_NS6detail17trampoline_kernelINS0_14default_configENS1_25partition_config_selectorILNS1_17partition_subalgoE9EllbEEZZNS1_14partition_implILS5_9ELb0ES3_jPlS8_PNS0_10empty_typeENS0_5tupleIJS8_S9_EEENSB_IJS8_SA_EEENS0_18inequality_wrapperIZN2at6native12_GLOBAL__N_124unique_dim_cuda_templateIfEESt5tupleIJNSF_6TensorESK_SK_EERKSK_lbbbEUlllE0_EEPmJS9_EEE10hipError_tPvRmT3_T4_T5_T6_T7_T9_mT8_P12ihipStream_tbDpT10_ENKUlT_T0_E_clISt17integral_constantIbLb1EES1A_EEDaS15_S16_EUlS15_E_NS1_11comp_targetILNS1_3genE8ELNS1_11target_archE1030ELNS1_3gpuE2ELNS1_3repE0EEENS1_30default_config_static_selectorELNS0_4arch9wavefront6targetE0EEEvT1_.has_dyn_sized_stack, 0
	.set _ZN7rocprim17ROCPRIM_400000_NS6detail17trampoline_kernelINS0_14default_configENS1_25partition_config_selectorILNS1_17partition_subalgoE9EllbEEZZNS1_14partition_implILS5_9ELb0ES3_jPlS8_PNS0_10empty_typeENS0_5tupleIJS8_S9_EEENSB_IJS8_SA_EEENS0_18inequality_wrapperIZN2at6native12_GLOBAL__N_124unique_dim_cuda_templateIfEESt5tupleIJNSF_6TensorESK_SK_EERKSK_lbbbEUlllE0_EEPmJS9_EEE10hipError_tPvRmT3_T4_T5_T6_T7_T9_mT8_P12ihipStream_tbDpT10_ENKUlT_T0_E_clISt17integral_constantIbLb1EES1A_EEDaS15_S16_EUlS15_E_NS1_11comp_targetILNS1_3genE8ELNS1_11target_archE1030ELNS1_3gpuE2ELNS1_3repE0EEENS1_30default_config_static_selectorELNS0_4arch9wavefront6targetE0EEEvT1_.has_recursion, 0
	.set _ZN7rocprim17ROCPRIM_400000_NS6detail17trampoline_kernelINS0_14default_configENS1_25partition_config_selectorILNS1_17partition_subalgoE9EllbEEZZNS1_14partition_implILS5_9ELb0ES3_jPlS8_PNS0_10empty_typeENS0_5tupleIJS8_S9_EEENSB_IJS8_SA_EEENS0_18inequality_wrapperIZN2at6native12_GLOBAL__N_124unique_dim_cuda_templateIfEESt5tupleIJNSF_6TensorESK_SK_EERKSK_lbbbEUlllE0_EEPmJS9_EEE10hipError_tPvRmT3_T4_T5_T6_T7_T9_mT8_P12ihipStream_tbDpT10_ENKUlT_T0_E_clISt17integral_constantIbLb1EES1A_EEDaS15_S16_EUlS15_E_NS1_11comp_targetILNS1_3genE8ELNS1_11target_archE1030ELNS1_3gpuE2ELNS1_3repE0EEENS1_30default_config_static_selectorELNS0_4arch9wavefront6targetE0EEEvT1_.has_indirect_call, 0
	.section	.AMDGPU.csdata,"",@progbits
; Kernel info:
; codeLenInByte = 0
; TotalNumSgprs: 0
; NumVgprs: 0
; ScratchSize: 0
; MemoryBound: 0
; FloatMode: 240
; IeeeMode: 1
; LDSByteSize: 0 bytes/workgroup (compile time only)
; SGPRBlocks: 0
; VGPRBlocks: 0
; NumSGPRsForWavesPerEU: 1
; NumVGPRsForWavesPerEU: 1
; NamedBarCnt: 0
; Occupancy: 16
; WaveLimiterHint : 0
; COMPUTE_PGM_RSRC2:SCRATCH_EN: 0
; COMPUTE_PGM_RSRC2:USER_SGPR: 2
; COMPUTE_PGM_RSRC2:TRAP_HANDLER: 0
; COMPUTE_PGM_RSRC2:TGID_X_EN: 1
; COMPUTE_PGM_RSRC2:TGID_Y_EN: 0
; COMPUTE_PGM_RSRC2:TGID_Z_EN: 0
; COMPUTE_PGM_RSRC2:TIDIG_COMP_CNT: 0
	.section	.text._ZN7rocprim17ROCPRIM_400000_NS6detail17trampoline_kernelINS0_14default_configENS1_25partition_config_selectorILNS1_17partition_subalgoE9EllbEEZZNS1_14partition_implILS5_9ELb0ES3_jPlS8_PNS0_10empty_typeENS0_5tupleIJS8_S9_EEENSB_IJS8_SA_EEENS0_18inequality_wrapperIZN2at6native12_GLOBAL__N_124unique_dim_cuda_templateIfEESt5tupleIJNSF_6TensorESK_SK_EERKSK_lbbbEUlllE0_EEPmJS9_EEE10hipError_tPvRmT3_T4_T5_T6_T7_T9_mT8_P12ihipStream_tbDpT10_ENKUlT_T0_E_clISt17integral_constantIbLb1EES19_IbLb0EEEEDaS15_S16_EUlS15_E_NS1_11comp_targetILNS1_3genE0ELNS1_11target_archE4294967295ELNS1_3gpuE0ELNS1_3repE0EEENS1_30default_config_static_selectorELNS0_4arch9wavefront6targetE0EEEvT1_,"axG",@progbits,_ZN7rocprim17ROCPRIM_400000_NS6detail17trampoline_kernelINS0_14default_configENS1_25partition_config_selectorILNS1_17partition_subalgoE9EllbEEZZNS1_14partition_implILS5_9ELb0ES3_jPlS8_PNS0_10empty_typeENS0_5tupleIJS8_S9_EEENSB_IJS8_SA_EEENS0_18inequality_wrapperIZN2at6native12_GLOBAL__N_124unique_dim_cuda_templateIfEESt5tupleIJNSF_6TensorESK_SK_EERKSK_lbbbEUlllE0_EEPmJS9_EEE10hipError_tPvRmT3_T4_T5_T6_T7_T9_mT8_P12ihipStream_tbDpT10_ENKUlT_T0_E_clISt17integral_constantIbLb1EES19_IbLb0EEEEDaS15_S16_EUlS15_E_NS1_11comp_targetILNS1_3genE0ELNS1_11target_archE4294967295ELNS1_3gpuE0ELNS1_3repE0EEENS1_30default_config_static_selectorELNS0_4arch9wavefront6targetE0EEEvT1_,comdat
	.globl	_ZN7rocprim17ROCPRIM_400000_NS6detail17trampoline_kernelINS0_14default_configENS1_25partition_config_selectorILNS1_17partition_subalgoE9EllbEEZZNS1_14partition_implILS5_9ELb0ES3_jPlS8_PNS0_10empty_typeENS0_5tupleIJS8_S9_EEENSB_IJS8_SA_EEENS0_18inequality_wrapperIZN2at6native12_GLOBAL__N_124unique_dim_cuda_templateIfEESt5tupleIJNSF_6TensorESK_SK_EERKSK_lbbbEUlllE0_EEPmJS9_EEE10hipError_tPvRmT3_T4_T5_T6_T7_T9_mT8_P12ihipStream_tbDpT10_ENKUlT_T0_E_clISt17integral_constantIbLb1EES19_IbLb0EEEEDaS15_S16_EUlS15_E_NS1_11comp_targetILNS1_3genE0ELNS1_11target_archE4294967295ELNS1_3gpuE0ELNS1_3repE0EEENS1_30default_config_static_selectorELNS0_4arch9wavefront6targetE0EEEvT1_ ; -- Begin function _ZN7rocprim17ROCPRIM_400000_NS6detail17trampoline_kernelINS0_14default_configENS1_25partition_config_selectorILNS1_17partition_subalgoE9EllbEEZZNS1_14partition_implILS5_9ELb0ES3_jPlS8_PNS0_10empty_typeENS0_5tupleIJS8_S9_EEENSB_IJS8_SA_EEENS0_18inequality_wrapperIZN2at6native12_GLOBAL__N_124unique_dim_cuda_templateIfEESt5tupleIJNSF_6TensorESK_SK_EERKSK_lbbbEUlllE0_EEPmJS9_EEE10hipError_tPvRmT3_T4_T5_T6_T7_T9_mT8_P12ihipStream_tbDpT10_ENKUlT_T0_E_clISt17integral_constantIbLb1EES19_IbLb0EEEEDaS15_S16_EUlS15_E_NS1_11comp_targetILNS1_3genE0ELNS1_11target_archE4294967295ELNS1_3gpuE0ELNS1_3repE0EEENS1_30default_config_static_selectorELNS0_4arch9wavefront6targetE0EEEvT1_
	.p2align	8
	.type	_ZN7rocprim17ROCPRIM_400000_NS6detail17trampoline_kernelINS0_14default_configENS1_25partition_config_selectorILNS1_17partition_subalgoE9EllbEEZZNS1_14partition_implILS5_9ELb0ES3_jPlS8_PNS0_10empty_typeENS0_5tupleIJS8_S9_EEENSB_IJS8_SA_EEENS0_18inequality_wrapperIZN2at6native12_GLOBAL__N_124unique_dim_cuda_templateIfEESt5tupleIJNSF_6TensorESK_SK_EERKSK_lbbbEUlllE0_EEPmJS9_EEE10hipError_tPvRmT3_T4_T5_T6_T7_T9_mT8_P12ihipStream_tbDpT10_ENKUlT_T0_E_clISt17integral_constantIbLb1EES19_IbLb0EEEEDaS15_S16_EUlS15_E_NS1_11comp_targetILNS1_3genE0ELNS1_11target_archE4294967295ELNS1_3gpuE0ELNS1_3repE0EEENS1_30default_config_static_selectorELNS0_4arch9wavefront6targetE0EEEvT1_,@function
_ZN7rocprim17ROCPRIM_400000_NS6detail17trampoline_kernelINS0_14default_configENS1_25partition_config_selectorILNS1_17partition_subalgoE9EllbEEZZNS1_14partition_implILS5_9ELb0ES3_jPlS8_PNS0_10empty_typeENS0_5tupleIJS8_S9_EEENSB_IJS8_SA_EEENS0_18inequality_wrapperIZN2at6native12_GLOBAL__N_124unique_dim_cuda_templateIfEESt5tupleIJNSF_6TensorESK_SK_EERKSK_lbbbEUlllE0_EEPmJS9_EEE10hipError_tPvRmT3_T4_T5_T6_T7_T9_mT8_P12ihipStream_tbDpT10_ENKUlT_T0_E_clISt17integral_constantIbLb1EES19_IbLb0EEEEDaS15_S16_EUlS15_E_NS1_11comp_targetILNS1_3genE0ELNS1_11target_archE4294967295ELNS1_3gpuE0ELNS1_3repE0EEENS1_30default_config_static_selectorELNS0_4arch9wavefront6targetE0EEEvT1_: ; @_ZN7rocprim17ROCPRIM_400000_NS6detail17trampoline_kernelINS0_14default_configENS1_25partition_config_selectorILNS1_17partition_subalgoE9EllbEEZZNS1_14partition_implILS5_9ELb0ES3_jPlS8_PNS0_10empty_typeENS0_5tupleIJS8_S9_EEENSB_IJS8_SA_EEENS0_18inequality_wrapperIZN2at6native12_GLOBAL__N_124unique_dim_cuda_templateIfEESt5tupleIJNSF_6TensorESK_SK_EERKSK_lbbbEUlllE0_EEPmJS9_EEE10hipError_tPvRmT3_T4_T5_T6_T7_T9_mT8_P12ihipStream_tbDpT10_ENKUlT_T0_E_clISt17integral_constantIbLb1EES19_IbLb0EEEEDaS15_S16_EUlS15_E_NS1_11comp_targetILNS1_3genE0ELNS1_11target_archE4294967295ELNS1_3gpuE0ELNS1_3repE0EEENS1_30default_config_static_selectorELNS0_4arch9wavefront6targetE0EEEvT1_
; %bb.0:
	s_endpgm
	.section	.rodata,"a",@progbits
	.p2align	6, 0x0
	.amdhsa_kernel _ZN7rocprim17ROCPRIM_400000_NS6detail17trampoline_kernelINS0_14default_configENS1_25partition_config_selectorILNS1_17partition_subalgoE9EllbEEZZNS1_14partition_implILS5_9ELb0ES3_jPlS8_PNS0_10empty_typeENS0_5tupleIJS8_S9_EEENSB_IJS8_SA_EEENS0_18inequality_wrapperIZN2at6native12_GLOBAL__N_124unique_dim_cuda_templateIfEESt5tupleIJNSF_6TensorESK_SK_EERKSK_lbbbEUlllE0_EEPmJS9_EEE10hipError_tPvRmT3_T4_T5_T6_T7_T9_mT8_P12ihipStream_tbDpT10_ENKUlT_T0_E_clISt17integral_constantIbLb1EES19_IbLb0EEEEDaS15_S16_EUlS15_E_NS1_11comp_targetILNS1_3genE0ELNS1_11target_archE4294967295ELNS1_3gpuE0ELNS1_3repE0EEENS1_30default_config_static_selectorELNS0_4arch9wavefront6targetE0EEEvT1_
		.amdhsa_group_segment_fixed_size 0
		.amdhsa_private_segment_fixed_size 0
		.amdhsa_kernarg_size 120
		.amdhsa_user_sgpr_count 2
		.amdhsa_user_sgpr_dispatch_ptr 0
		.amdhsa_user_sgpr_queue_ptr 0
		.amdhsa_user_sgpr_kernarg_segment_ptr 1
		.amdhsa_user_sgpr_dispatch_id 0
		.amdhsa_user_sgpr_kernarg_preload_length 0
		.amdhsa_user_sgpr_kernarg_preload_offset 0
		.amdhsa_user_sgpr_private_segment_size 0
		.amdhsa_wavefront_size32 1
		.amdhsa_uses_dynamic_stack 0
		.amdhsa_enable_private_segment 0
		.amdhsa_system_sgpr_workgroup_id_x 1
		.amdhsa_system_sgpr_workgroup_id_y 0
		.amdhsa_system_sgpr_workgroup_id_z 0
		.amdhsa_system_sgpr_workgroup_info 0
		.amdhsa_system_vgpr_workitem_id 0
		.amdhsa_next_free_vgpr 1
		.amdhsa_next_free_sgpr 1
		.amdhsa_named_barrier_count 0
		.amdhsa_reserve_vcc 0
		.amdhsa_float_round_mode_32 0
		.amdhsa_float_round_mode_16_64 0
		.amdhsa_float_denorm_mode_32 3
		.amdhsa_float_denorm_mode_16_64 3
		.amdhsa_fp16_overflow 0
		.amdhsa_memory_ordered 1
		.amdhsa_forward_progress 1
		.amdhsa_inst_pref_size 1
		.amdhsa_round_robin_scheduling 0
		.amdhsa_exception_fp_ieee_invalid_op 0
		.amdhsa_exception_fp_denorm_src 0
		.amdhsa_exception_fp_ieee_div_zero 0
		.amdhsa_exception_fp_ieee_overflow 0
		.amdhsa_exception_fp_ieee_underflow 0
		.amdhsa_exception_fp_ieee_inexact 0
		.amdhsa_exception_int_div_zero 0
	.end_amdhsa_kernel
	.section	.text._ZN7rocprim17ROCPRIM_400000_NS6detail17trampoline_kernelINS0_14default_configENS1_25partition_config_selectorILNS1_17partition_subalgoE9EllbEEZZNS1_14partition_implILS5_9ELb0ES3_jPlS8_PNS0_10empty_typeENS0_5tupleIJS8_S9_EEENSB_IJS8_SA_EEENS0_18inequality_wrapperIZN2at6native12_GLOBAL__N_124unique_dim_cuda_templateIfEESt5tupleIJNSF_6TensorESK_SK_EERKSK_lbbbEUlllE0_EEPmJS9_EEE10hipError_tPvRmT3_T4_T5_T6_T7_T9_mT8_P12ihipStream_tbDpT10_ENKUlT_T0_E_clISt17integral_constantIbLb1EES19_IbLb0EEEEDaS15_S16_EUlS15_E_NS1_11comp_targetILNS1_3genE0ELNS1_11target_archE4294967295ELNS1_3gpuE0ELNS1_3repE0EEENS1_30default_config_static_selectorELNS0_4arch9wavefront6targetE0EEEvT1_,"axG",@progbits,_ZN7rocprim17ROCPRIM_400000_NS6detail17trampoline_kernelINS0_14default_configENS1_25partition_config_selectorILNS1_17partition_subalgoE9EllbEEZZNS1_14partition_implILS5_9ELb0ES3_jPlS8_PNS0_10empty_typeENS0_5tupleIJS8_S9_EEENSB_IJS8_SA_EEENS0_18inequality_wrapperIZN2at6native12_GLOBAL__N_124unique_dim_cuda_templateIfEESt5tupleIJNSF_6TensorESK_SK_EERKSK_lbbbEUlllE0_EEPmJS9_EEE10hipError_tPvRmT3_T4_T5_T6_T7_T9_mT8_P12ihipStream_tbDpT10_ENKUlT_T0_E_clISt17integral_constantIbLb1EES19_IbLb0EEEEDaS15_S16_EUlS15_E_NS1_11comp_targetILNS1_3genE0ELNS1_11target_archE4294967295ELNS1_3gpuE0ELNS1_3repE0EEENS1_30default_config_static_selectorELNS0_4arch9wavefront6targetE0EEEvT1_,comdat
.Lfunc_end977:
	.size	_ZN7rocprim17ROCPRIM_400000_NS6detail17trampoline_kernelINS0_14default_configENS1_25partition_config_selectorILNS1_17partition_subalgoE9EllbEEZZNS1_14partition_implILS5_9ELb0ES3_jPlS8_PNS0_10empty_typeENS0_5tupleIJS8_S9_EEENSB_IJS8_SA_EEENS0_18inequality_wrapperIZN2at6native12_GLOBAL__N_124unique_dim_cuda_templateIfEESt5tupleIJNSF_6TensorESK_SK_EERKSK_lbbbEUlllE0_EEPmJS9_EEE10hipError_tPvRmT3_T4_T5_T6_T7_T9_mT8_P12ihipStream_tbDpT10_ENKUlT_T0_E_clISt17integral_constantIbLb1EES19_IbLb0EEEEDaS15_S16_EUlS15_E_NS1_11comp_targetILNS1_3genE0ELNS1_11target_archE4294967295ELNS1_3gpuE0ELNS1_3repE0EEENS1_30default_config_static_selectorELNS0_4arch9wavefront6targetE0EEEvT1_, .Lfunc_end977-_ZN7rocprim17ROCPRIM_400000_NS6detail17trampoline_kernelINS0_14default_configENS1_25partition_config_selectorILNS1_17partition_subalgoE9EllbEEZZNS1_14partition_implILS5_9ELb0ES3_jPlS8_PNS0_10empty_typeENS0_5tupleIJS8_S9_EEENSB_IJS8_SA_EEENS0_18inequality_wrapperIZN2at6native12_GLOBAL__N_124unique_dim_cuda_templateIfEESt5tupleIJNSF_6TensorESK_SK_EERKSK_lbbbEUlllE0_EEPmJS9_EEE10hipError_tPvRmT3_T4_T5_T6_T7_T9_mT8_P12ihipStream_tbDpT10_ENKUlT_T0_E_clISt17integral_constantIbLb1EES19_IbLb0EEEEDaS15_S16_EUlS15_E_NS1_11comp_targetILNS1_3genE0ELNS1_11target_archE4294967295ELNS1_3gpuE0ELNS1_3repE0EEENS1_30default_config_static_selectorELNS0_4arch9wavefront6targetE0EEEvT1_
                                        ; -- End function
	.set _ZN7rocprim17ROCPRIM_400000_NS6detail17trampoline_kernelINS0_14default_configENS1_25partition_config_selectorILNS1_17partition_subalgoE9EllbEEZZNS1_14partition_implILS5_9ELb0ES3_jPlS8_PNS0_10empty_typeENS0_5tupleIJS8_S9_EEENSB_IJS8_SA_EEENS0_18inequality_wrapperIZN2at6native12_GLOBAL__N_124unique_dim_cuda_templateIfEESt5tupleIJNSF_6TensorESK_SK_EERKSK_lbbbEUlllE0_EEPmJS9_EEE10hipError_tPvRmT3_T4_T5_T6_T7_T9_mT8_P12ihipStream_tbDpT10_ENKUlT_T0_E_clISt17integral_constantIbLb1EES19_IbLb0EEEEDaS15_S16_EUlS15_E_NS1_11comp_targetILNS1_3genE0ELNS1_11target_archE4294967295ELNS1_3gpuE0ELNS1_3repE0EEENS1_30default_config_static_selectorELNS0_4arch9wavefront6targetE0EEEvT1_.num_vgpr, 0
	.set _ZN7rocprim17ROCPRIM_400000_NS6detail17trampoline_kernelINS0_14default_configENS1_25partition_config_selectorILNS1_17partition_subalgoE9EllbEEZZNS1_14partition_implILS5_9ELb0ES3_jPlS8_PNS0_10empty_typeENS0_5tupleIJS8_S9_EEENSB_IJS8_SA_EEENS0_18inequality_wrapperIZN2at6native12_GLOBAL__N_124unique_dim_cuda_templateIfEESt5tupleIJNSF_6TensorESK_SK_EERKSK_lbbbEUlllE0_EEPmJS9_EEE10hipError_tPvRmT3_T4_T5_T6_T7_T9_mT8_P12ihipStream_tbDpT10_ENKUlT_T0_E_clISt17integral_constantIbLb1EES19_IbLb0EEEEDaS15_S16_EUlS15_E_NS1_11comp_targetILNS1_3genE0ELNS1_11target_archE4294967295ELNS1_3gpuE0ELNS1_3repE0EEENS1_30default_config_static_selectorELNS0_4arch9wavefront6targetE0EEEvT1_.num_agpr, 0
	.set _ZN7rocprim17ROCPRIM_400000_NS6detail17trampoline_kernelINS0_14default_configENS1_25partition_config_selectorILNS1_17partition_subalgoE9EllbEEZZNS1_14partition_implILS5_9ELb0ES3_jPlS8_PNS0_10empty_typeENS0_5tupleIJS8_S9_EEENSB_IJS8_SA_EEENS0_18inequality_wrapperIZN2at6native12_GLOBAL__N_124unique_dim_cuda_templateIfEESt5tupleIJNSF_6TensorESK_SK_EERKSK_lbbbEUlllE0_EEPmJS9_EEE10hipError_tPvRmT3_T4_T5_T6_T7_T9_mT8_P12ihipStream_tbDpT10_ENKUlT_T0_E_clISt17integral_constantIbLb1EES19_IbLb0EEEEDaS15_S16_EUlS15_E_NS1_11comp_targetILNS1_3genE0ELNS1_11target_archE4294967295ELNS1_3gpuE0ELNS1_3repE0EEENS1_30default_config_static_selectorELNS0_4arch9wavefront6targetE0EEEvT1_.numbered_sgpr, 0
	.set _ZN7rocprim17ROCPRIM_400000_NS6detail17trampoline_kernelINS0_14default_configENS1_25partition_config_selectorILNS1_17partition_subalgoE9EllbEEZZNS1_14partition_implILS5_9ELb0ES3_jPlS8_PNS0_10empty_typeENS0_5tupleIJS8_S9_EEENSB_IJS8_SA_EEENS0_18inequality_wrapperIZN2at6native12_GLOBAL__N_124unique_dim_cuda_templateIfEESt5tupleIJNSF_6TensorESK_SK_EERKSK_lbbbEUlllE0_EEPmJS9_EEE10hipError_tPvRmT3_T4_T5_T6_T7_T9_mT8_P12ihipStream_tbDpT10_ENKUlT_T0_E_clISt17integral_constantIbLb1EES19_IbLb0EEEEDaS15_S16_EUlS15_E_NS1_11comp_targetILNS1_3genE0ELNS1_11target_archE4294967295ELNS1_3gpuE0ELNS1_3repE0EEENS1_30default_config_static_selectorELNS0_4arch9wavefront6targetE0EEEvT1_.num_named_barrier, 0
	.set _ZN7rocprim17ROCPRIM_400000_NS6detail17trampoline_kernelINS0_14default_configENS1_25partition_config_selectorILNS1_17partition_subalgoE9EllbEEZZNS1_14partition_implILS5_9ELb0ES3_jPlS8_PNS0_10empty_typeENS0_5tupleIJS8_S9_EEENSB_IJS8_SA_EEENS0_18inequality_wrapperIZN2at6native12_GLOBAL__N_124unique_dim_cuda_templateIfEESt5tupleIJNSF_6TensorESK_SK_EERKSK_lbbbEUlllE0_EEPmJS9_EEE10hipError_tPvRmT3_T4_T5_T6_T7_T9_mT8_P12ihipStream_tbDpT10_ENKUlT_T0_E_clISt17integral_constantIbLb1EES19_IbLb0EEEEDaS15_S16_EUlS15_E_NS1_11comp_targetILNS1_3genE0ELNS1_11target_archE4294967295ELNS1_3gpuE0ELNS1_3repE0EEENS1_30default_config_static_selectorELNS0_4arch9wavefront6targetE0EEEvT1_.private_seg_size, 0
	.set _ZN7rocprim17ROCPRIM_400000_NS6detail17trampoline_kernelINS0_14default_configENS1_25partition_config_selectorILNS1_17partition_subalgoE9EllbEEZZNS1_14partition_implILS5_9ELb0ES3_jPlS8_PNS0_10empty_typeENS0_5tupleIJS8_S9_EEENSB_IJS8_SA_EEENS0_18inequality_wrapperIZN2at6native12_GLOBAL__N_124unique_dim_cuda_templateIfEESt5tupleIJNSF_6TensorESK_SK_EERKSK_lbbbEUlllE0_EEPmJS9_EEE10hipError_tPvRmT3_T4_T5_T6_T7_T9_mT8_P12ihipStream_tbDpT10_ENKUlT_T0_E_clISt17integral_constantIbLb1EES19_IbLb0EEEEDaS15_S16_EUlS15_E_NS1_11comp_targetILNS1_3genE0ELNS1_11target_archE4294967295ELNS1_3gpuE0ELNS1_3repE0EEENS1_30default_config_static_selectorELNS0_4arch9wavefront6targetE0EEEvT1_.uses_vcc, 0
	.set _ZN7rocprim17ROCPRIM_400000_NS6detail17trampoline_kernelINS0_14default_configENS1_25partition_config_selectorILNS1_17partition_subalgoE9EllbEEZZNS1_14partition_implILS5_9ELb0ES3_jPlS8_PNS0_10empty_typeENS0_5tupleIJS8_S9_EEENSB_IJS8_SA_EEENS0_18inequality_wrapperIZN2at6native12_GLOBAL__N_124unique_dim_cuda_templateIfEESt5tupleIJNSF_6TensorESK_SK_EERKSK_lbbbEUlllE0_EEPmJS9_EEE10hipError_tPvRmT3_T4_T5_T6_T7_T9_mT8_P12ihipStream_tbDpT10_ENKUlT_T0_E_clISt17integral_constantIbLb1EES19_IbLb0EEEEDaS15_S16_EUlS15_E_NS1_11comp_targetILNS1_3genE0ELNS1_11target_archE4294967295ELNS1_3gpuE0ELNS1_3repE0EEENS1_30default_config_static_selectorELNS0_4arch9wavefront6targetE0EEEvT1_.uses_flat_scratch, 0
	.set _ZN7rocprim17ROCPRIM_400000_NS6detail17trampoline_kernelINS0_14default_configENS1_25partition_config_selectorILNS1_17partition_subalgoE9EllbEEZZNS1_14partition_implILS5_9ELb0ES3_jPlS8_PNS0_10empty_typeENS0_5tupleIJS8_S9_EEENSB_IJS8_SA_EEENS0_18inequality_wrapperIZN2at6native12_GLOBAL__N_124unique_dim_cuda_templateIfEESt5tupleIJNSF_6TensorESK_SK_EERKSK_lbbbEUlllE0_EEPmJS9_EEE10hipError_tPvRmT3_T4_T5_T6_T7_T9_mT8_P12ihipStream_tbDpT10_ENKUlT_T0_E_clISt17integral_constantIbLb1EES19_IbLb0EEEEDaS15_S16_EUlS15_E_NS1_11comp_targetILNS1_3genE0ELNS1_11target_archE4294967295ELNS1_3gpuE0ELNS1_3repE0EEENS1_30default_config_static_selectorELNS0_4arch9wavefront6targetE0EEEvT1_.has_dyn_sized_stack, 0
	.set _ZN7rocprim17ROCPRIM_400000_NS6detail17trampoline_kernelINS0_14default_configENS1_25partition_config_selectorILNS1_17partition_subalgoE9EllbEEZZNS1_14partition_implILS5_9ELb0ES3_jPlS8_PNS0_10empty_typeENS0_5tupleIJS8_S9_EEENSB_IJS8_SA_EEENS0_18inequality_wrapperIZN2at6native12_GLOBAL__N_124unique_dim_cuda_templateIfEESt5tupleIJNSF_6TensorESK_SK_EERKSK_lbbbEUlllE0_EEPmJS9_EEE10hipError_tPvRmT3_T4_T5_T6_T7_T9_mT8_P12ihipStream_tbDpT10_ENKUlT_T0_E_clISt17integral_constantIbLb1EES19_IbLb0EEEEDaS15_S16_EUlS15_E_NS1_11comp_targetILNS1_3genE0ELNS1_11target_archE4294967295ELNS1_3gpuE0ELNS1_3repE0EEENS1_30default_config_static_selectorELNS0_4arch9wavefront6targetE0EEEvT1_.has_recursion, 0
	.set _ZN7rocprim17ROCPRIM_400000_NS6detail17trampoline_kernelINS0_14default_configENS1_25partition_config_selectorILNS1_17partition_subalgoE9EllbEEZZNS1_14partition_implILS5_9ELb0ES3_jPlS8_PNS0_10empty_typeENS0_5tupleIJS8_S9_EEENSB_IJS8_SA_EEENS0_18inequality_wrapperIZN2at6native12_GLOBAL__N_124unique_dim_cuda_templateIfEESt5tupleIJNSF_6TensorESK_SK_EERKSK_lbbbEUlllE0_EEPmJS9_EEE10hipError_tPvRmT3_T4_T5_T6_T7_T9_mT8_P12ihipStream_tbDpT10_ENKUlT_T0_E_clISt17integral_constantIbLb1EES19_IbLb0EEEEDaS15_S16_EUlS15_E_NS1_11comp_targetILNS1_3genE0ELNS1_11target_archE4294967295ELNS1_3gpuE0ELNS1_3repE0EEENS1_30default_config_static_selectorELNS0_4arch9wavefront6targetE0EEEvT1_.has_indirect_call, 0
	.section	.AMDGPU.csdata,"",@progbits
; Kernel info:
; codeLenInByte = 4
; TotalNumSgprs: 0
; NumVgprs: 0
; ScratchSize: 0
; MemoryBound: 0
; FloatMode: 240
; IeeeMode: 1
; LDSByteSize: 0 bytes/workgroup (compile time only)
; SGPRBlocks: 0
; VGPRBlocks: 0
; NumSGPRsForWavesPerEU: 1
; NumVGPRsForWavesPerEU: 1
; NamedBarCnt: 0
; Occupancy: 16
; WaveLimiterHint : 0
; COMPUTE_PGM_RSRC2:SCRATCH_EN: 0
; COMPUTE_PGM_RSRC2:USER_SGPR: 2
; COMPUTE_PGM_RSRC2:TRAP_HANDLER: 0
; COMPUTE_PGM_RSRC2:TGID_X_EN: 1
; COMPUTE_PGM_RSRC2:TGID_Y_EN: 0
; COMPUTE_PGM_RSRC2:TGID_Z_EN: 0
; COMPUTE_PGM_RSRC2:TIDIG_COMP_CNT: 0
	.section	.text._ZN7rocprim17ROCPRIM_400000_NS6detail17trampoline_kernelINS0_14default_configENS1_25partition_config_selectorILNS1_17partition_subalgoE9EllbEEZZNS1_14partition_implILS5_9ELb0ES3_jPlS8_PNS0_10empty_typeENS0_5tupleIJS8_S9_EEENSB_IJS8_SA_EEENS0_18inequality_wrapperIZN2at6native12_GLOBAL__N_124unique_dim_cuda_templateIfEESt5tupleIJNSF_6TensorESK_SK_EERKSK_lbbbEUlllE0_EEPmJS9_EEE10hipError_tPvRmT3_T4_T5_T6_T7_T9_mT8_P12ihipStream_tbDpT10_ENKUlT_T0_E_clISt17integral_constantIbLb1EES19_IbLb0EEEEDaS15_S16_EUlS15_E_NS1_11comp_targetILNS1_3genE5ELNS1_11target_archE942ELNS1_3gpuE9ELNS1_3repE0EEENS1_30default_config_static_selectorELNS0_4arch9wavefront6targetE0EEEvT1_,"axG",@progbits,_ZN7rocprim17ROCPRIM_400000_NS6detail17trampoline_kernelINS0_14default_configENS1_25partition_config_selectorILNS1_17partition_subalgoE9EllbEEZZNS1_14partition_implILS5_9ELb0ES3_jPlS8_PNS0_10empty_typeENS0_5tupleIJS8_S9_EEENSB_IJS8_SA_EEENS0_18inequality_wrapperIZN2at6native12_GLOBAL__N_124unique_dim_cuda_templateIfEESt5tupleIJNSF_6TensorESK_SK_EERKSK_lbbbEUlllE0_EEPmJS9_EEE10hipError_tPvRmT3_T4_T5_T6_T7_T9_mT8_P12ihipStream_tbDpT10_ENKUlT_T0_E_clISt17integral_constantIbLb1EES19_IbLb0EEEEDaS15_S16_EUlS15_E_NS1_11comp_targetILNS1_3genE5ELNS1_11target_archE942ELNS1_3gpuE9ELNS1_3repE0EEENS1_30default_config_static_selectorELNS0_4arch9wavefront6targetE0EEEvT1_,comdat
	.globl	_ZN7rocprim17ROCPRIM_400000_NS6detail17trampoline_kernelINS0_14default_configENS1_25partition_config_selectorILNS1_17partition_subalgoE9EllbEEZZNS1_14partition_implILS5_9ELb0ES3_jPlS8_PNS0_10empty_typeENS0_5tupleIJS8_S9_EEENSB_IJS8_SA_EEENS0_18inequality_wrapperIZN2at6native12_GLOBAL__N_124unique_dim_cuda_templateIfEESt5tupleIJNSF_6TensorESK_SK_EERKSK_lbbbEUlllE0_EEPmJS9_EEE10hipError_tPvRmT3_T4_T5_T6_T7_T9_mT8_P12ihipStream_tbDpT10_ENKUlT_T0_E_clISt17integral_constantIbLb1EES19_IbLb0EEEEDaS15_S16_EUlS15_E_NS1_11comp_targetILNS1_3genE5ELNS1_11target_archE942ELNS1_3gpuE9ELNS1_3repE0EEENS1_30default_config_static_selectorELNS0_4arch9wavefront6targetE0EEEvT1_ ; -- Begin function _ZN7rocprim17ROCPRIM_400000_NS6detail17trampoline_kernelINS0_14default_configENS1_25partition_config_selectorILNS1_17partition_subalgoE9EllbEEZZNS1_14partition_implILS5_9ELb0ES3_jPlS8_PNS0_10empty_typeENS0_5tupleIJS8_S9_EEENSB_IJS8_SA_EEENS0_18inequality_wrapperIZN2at6native12_GLOBAL__N_124unique_dim_cuda_templateIfEESt5tupleIJNSF_6TensorESK_SK_EERKSK_lbbbEUlllE0_EEPmJS9_EEE10hipError_tPvRmT3_T4_T5_T6_T7_T9_mT8_P12ihipStream_tbDpT10_ENKUlT_T0_E_clISt17integral_constantIbLb1EES19_IbLb0EEEEDaS15_S16_EUlS15_E_NS1_11comp_targetILNS1_3genE5ELNS1_11target_archE942ELNS1_3gpuE9ELNS1_3repE0EEENS1_30default_config_static_selectorELNS0_4arch9wavefront6targetE0EEEvT1_
	.p2align	8
	.type	_ZN7rocprim17ROCPRIM_400000_NS6detail17trampoline_kernelINS0_14default_configENS1_25partition_config_selectorILNS1_17partition_subalgoE9EllbEEZZNS1_14partition_implILS5_9ELb0ES3_jPlS8_PNS0_10empty_typeENS0_5tupleIJS8_S9_EEENSB_IJS8_SA_EEENS0_18inequality_wrapperIZN2at6native12_GLOBAL__N_124unique_dim_cuda_templateIfEESt5tupleIJNSF_6TensorESK_SK_EERKSK_lbbbEUlllE0_EEPmJS9_EEE10hipError_tPvRmT3_T4_T5_T6_T7_T9_mT8_P12ihipStream_tbDpT10_ENKUlT_T0_E_clISt17integral_constantIbLb1EES19_IbLb0EEEEDaS15_S16_EUlS15_E_NS1_11comp_targetILNS1_3genE5ELNS1_11target_archE942ELNS1_3gpuE9ELNS1_3repE0EEENS1_30default_config_static_selectorELNS0_4arch9wavefront6targetE0EEEvT1_,@function
_ZN7rocprim17ROCPRIM_400000_NS6detail17trampoline_kernelINS0_14default_configENS1_25partition_config_selectorILNS1_17partition_subalgoE9EllbEEZZNS1_14partition_implILS5_9ELb0ES3_jPlS8_PNS0_10empty_typeENS0_5tupleIJS8_S9_EEENSB_IJS8_SA_EEENS0_18inequality_wrapperIZN2at6native12_GLOBAL__N_124unique_dim_cuda_templateIfEESt5tupleIJNSF_6TensorESK_SK_EERKSK_lbbbEUlllE0_EEPmJS9_EEE10hipError_tPvRmT3_T4_T5_T6_T7_T9_mT8_P12ihipStream_tbDpT10_ENKUlT_T0_E_clISt17integral_constantIbLb1EES19_IbLb0EEEEDaS15_S16_EUlS15_E_NS1_11comp_targetILNS1_3genE5ELNS1_11target_archE942ELNS1_3gpuE9ELNS1_3repE0EEENS1_30default_config_static_selectorELNS0_4arch9wavefront6targetE0EEEvT1_: ; @_ZN7rocprim17ROCPRIM_400000_NS6detail17trampoline_kernelINS0_14default_configENS1_25partition_config_selectorILNS1_17partition_subalgoE9EllbEEZZNS1_14partition_implILS5_9ELb0ES3_jPlS8_PNS0_10empty_typeENS0_5tupleIJS8_S9_EEENSB_IJS8_SA_EEENS0_18inequality_wrapperIZN2at6native12_GLOBAL__N_124unique_dim_cuda_templateIfEESt5tupleIJNSF_6TensorESK_SK_EERKSK_lbbbEUlllE0_EEPmJS9_EEE10hipError_tPvRmT3_T4_T5_T6_T7_T9_mT8_P12ihipStream_tbDpT10_ENKUlT_T0_E_clISt17integral_constantIbLb1EES19_IbLb0EEEEDaS15_S16_EUlS15_E_NS1_11comp_targetILNS1_3genE5ELNS1_11target_archE942ELNS1_3gpuE9ELNS1_3repE0EEENS1_30default_config_static_selectorELNS0_4arch9wavefront6targetE0EEEvT1_
; %bb.0:
	.section	.rodata,"a",@progbits
	.p2align	6, 0x0
	.amdhsa_kernel _ZN7rocprim17ROCPRIM_400000_NS6detail17trampoline_kernelINS0_14default_configENS1_25partition_config_selectorILNS1_17partition_subalgoE9EllbEEZZNS1_14partition_implILS5_9ELb0ES3_jPlS8_PNS0_10empty_typeENS0_5tupleIJS8_S9_EEENSB_IJS8_SA_EEENS0_18inequality_wrapperIZN2at6native12_GLOBAL__N_124unique_dim_cuda_templateIfEESt5tupleIJNSF_6TensorESK_SK_EERKSK_lbbbEUlllE0_EEPmJS9_EEE10hipError_tPvRmT3_T4_T5_T6_T7_T9_mT8_P12ihipStream_tbDpT10_ENKUlT_T0_E_clISt17integral_constantIbLb1EES19_IbLb0EEEEDaS15_S16_EUlS15_E_NS1_11comp_targetILNS1_3genE5ELNS1_11target_archE942ELNS1_3gpuE9ELNS1_3repE0EEENS1_30default_config_static_selectorELNS0_4arch9wavefront6targetE0EEEvT1_
		.amdhsa_group_segment_fixed_size 0
		.amdhsa_private_segment_fixed_size 0
		.amdhsa_kernarg_size 120
		.amdhsa_user_sgpr_count 2
		.amdhsa_user_sgpr_dispatch_ptr 0
		.amdhsa_user_sgpr_queue_ptr 0
		.amdhsa_user_sgpr_kernarg_segment_ptr 1
		.amdhsa_user_sgpr_dispatch_id 0
		.amdhsa_user_sgpr_kernarg_preload_length 0
		.amdhsa_user_sgpr_kernarg_preload_offset 0
		.amdhsa_user_sgpr_private_segment_size 0
		.amdhsa_wavefront_size32 1
		.amdhsa_uses_dynamic_stack 0
		.amdhsa_enable_private_segment 0
		.amdhsa_system_sgpr_workgroup_id_x 1
		.amdhsa_system_sgpr_workgroup_id_y 0
		.amdhsa_system_sgpr_workgroup_id_z 0
		.amdhsa_system_sgpr_workgroup_info 0
		.amdhsa_system_vgpr_workitem_id 0
		.amdhsa_next_free_vgpr 1
		.amdhsa_next_free_sgpr 1
		.amdhsa_named_barrier_count 0
		.amdhsa_reserve_vcc 0
		.amdhsa_float_round_mode_32 0
		.amdhsa_float_round_mode_16_64 0
		.amdhsa_float_denorm_mode_32 3
		.amdhsa_float_denorm_mode_16_64 3
		.amdhsa_fp16_overflow 0
		.amdhsa_memory_ordered 1
		.amdhsa_forward_progress 1
		.amdhsa_inst_pref_size 0
		.amdhsa_round_robin_scheduling 0
		.amdhsa_exception_fp_ieee_invalid_op 0
		.amdhsa_exception_fp_denorm_src 0
		.amdhsa_exception_fp_ieee_div_zero 0
		.amdhsa_exception_fp_ieee_overflow 0
		.amdhsa_exception_fp_ieee_underflow 0
		.amdhsa_exception_fp_ieee_inexact 0
		.amdhsa_exception_int_div_zero 0
	.end_amdhsa_kernel
	.section	.text._ZN7rocprim17ROCPRIM_400000_NS6detail17trampoline_kernelINS0_14default_configENS1_25partition_config_selectorILNS1_17partition_subalgoE9EllbEEZZNS1_14partition_implILS5_9ELb0ES3_jPlS8_PNS0_10empty_typeENS0_5tupleIJS8_S9_EEENSB_IJS8_SA_EEENS0_18inequality_wrapperIZN2at6native12_GLOBAL__N_124unique_dim_cuda_templateIfEESt5tupleIJNSF_6TensorESK_SK_EERKSK_lbbbEUlllE0_EEPmJS9_EEE10hipError_tPvRmT3_T4_T5_T6_T7_T9_mT8_P12ihipStream_tbDpT10_ENKUlT_T0_E_clISt17integral_constantIbLb1EES19_IbLb0EEEEDaS15_S16_EUlS15_E_NS1_11comp_targetILNS1_3genE5ELNS1_11target_archE942ELNS1_3gpuE9ELNS1_3repE0EEENS1_30default_config_static_selectorELNS0_4arch9wavefront6targetE0EEEvT1_,"axG",@progbits,_ZN7rocprim17ROCPRIM_400000_NS6detail17trampoline_kernelINS0_14default_configENS1_25partition_config_selectorILNS1_17partition_subalgoE9EllbEEZZNS1_14partition_implILS5_9ELb0ES3_jPlS8_PNS0_10empty_typeENS0_5tupleIJS8_S9_EEENSB_IJS8_SA_EEENS0_18inequality_wrapperIZN2at6native12_GLOBAL__N_124unique_dim_cuda_templateIfEESt5tupleIJNSF_6TensorESK_SK_EERKSK_lbbbEUlllE0_EEPmJS9_EEE10hipError_tPvRmT3_T4_T5_T6_T7_T9_mT8_P12ihipStream_tbDpT10_ENKUlT_T0_E_clISt17integral_constantIbLb1EES19_IbLb0EEEEDaS15_S16_EUlS15_E_NS1_11comp_targetILNS1_3genE5ELNS1_11target_archE942ELNS1_3gpuE9ELNS1_3repE0EEENS1_30default_config_static_selectorELNS0_4arch9wavefront6targetE0EEEvT1_,comdat
.Lfunc_end978:
	.size	_ZN7rocprim17ROCPRIM_400000_NS6detail17trampoline_kernelINS0_14default_configENS1_25partition_config_selectorILNS1_17partition_subalgoE9EllbEEZZNS1_14partition_implILS5_9ELb0ES3_jPlS8_PNS0_10empty_typeENS0_5tupleIJS8_S9_EEENSB_IJS8_SA_EEENS0_18inequality_wrapperIZN2at6native12_GLOBAL__N_124unique_dim_cuda_templateIfEESt5tupleIJNSF_6TensorESK_SK_EERKSK_lbbbEUlllE0_EEPmJS9_EEE10hipError_tPvRmT3_T4_T5_T6_T7_T9_mT8_P12ihipStream_tbDpT10_ENKUlT_T0_E_clISt17integral_constantIbLb1EES19_IbLb0EEEEDaS15_S16_EUlS15_E_NS1_11comp_targetILNS1_3genE5ELNS1_11target_archE942ELNS1_3gpuE9ELNS1_3repE0EEENS1_30default_config_static_selectorELNS0_4arch9wavefront6targetE0EEEvT1_, .Lfunc_end978-_ZN7rocprim17ROCPRIM_400000_NS6detail17trampoline_kernelINS0_14default_configENS1_25partition_config_selectorILNS1_17partition_subalgoE9EllbEEZZNS1_14partition_implILS5_9ELb0ES3_jPlS8_PNS0_10empty_typeENS0_5tupleIJS8_S9_EEENSB_IJS8_SA_EEENS0_18inequality_wrapperIZN2at6native12_GLOBAL__N_124unique_dim_cuda_templateIfEESt5tupleIJNSF_6TensorESK_SK_EERKSK_lbbbEUlllE0_EEPmJS9_EEE10hipError_tPvRmT3_T4_T5_T6_T7_T9_mT8_P12ihipStream_tbDpT10_ENKUlT_T0_E_clISt17integral_constantIbLb1EES19_IbLb0EEEEDaS15_S16_EUlS15_E_NS1_11comp_targetILNS1_3genE5ELNS1_11target_archE942ELNS1_3gpuE9ELNS1_3repE0EEENS1_30default_config_static_selectorELNS0_4arch9wavefront6targetE0EEEvT1_
                                        ; -- End function
	.set _ZN7rocprim17ROCPRIM_400000_NS6detail17trampoline_kernelINS0_14default_configENS1_25partition_config_selectorILNS1_17partition_subalgoE9EllbEEZZNS1_14partition_implILS5_9ELb0ES3_jPlS8_PNS0_10empty_typeENS0_5tupleIJS8_S9_EEENSB_IJS8_SA_EEENS0_18inequality_wrapperIZN2at6native12_GLOBAL__N_124unique_dim_cuda_templateIfEESt5tupleIJNSF_6TensorESK_SK_EERKSK_lbbbEUlllE0_EEPmJS9_EEE10hipError_tPvRmT3_T4_T5_T6_T7_T9_mT8_P12ihipStream_tbDpT10_ENKUlT_T0_E_clISt17integral_constantIbLb1EES19_IbLb0EEEEDaS15_S16_EUlS15_E_NS1_11comp_targetILNS1_3genE5ELNS1_11target_archE942ELNS1_3gpuE9ELNS1_3repE0EEENS1_30default_config_static_selectorELNS0_4arch9wavefront6targetE0EEEvT1_.num_vgpr, 0
	.set _ZN7rocprim17ROCPRIM_400000_NS6detail17trampoline_kernelINS0_14default_configENS1_25partition_config_selectorILNS1_17partition_subalgoE9EllbEEZZNS1_14partition_implILS5_9ELb0ES3_jPlS8_PNS0_10empty_typeENS0_5tupleIJS8_S9_EEENSB_IJS8_SA_EEENS0_18inequality_wrapperIZN2at6native12_GLOBAL__N_124unique_dim_cuda_templateIfEESt5tupleIJNSF_6TensorESK_SK_EERKSK_lbbbEUlllE0_EEPmJS9_EEE10hipError_tPvRmT3_T4_T5_T6_T7_T9_mT8_P12ihipStream_tbDpT10_ENKUlT_T0_E_clISt17integral_constantIbLb1EES19_IbLb0EEEEDaS15_S16_EUlS15_E_NS1_11comp_targetILNS1_3genE5ELNS1_11target_archE942ELNS1_3gpuE9ELNS1_3repE0EEENS1_30default_config_static_selectorELNS0_4arch9wavefront6targetE0EEEvT1_.num_agpr, 0
	.set _ZN7rocprim17ROCPRIM_400000_NS6detail17trampoline_kernelINS0_14default_configENS1_25partition_config_selectorILNS1_17partition_subalgoE9EllbEEZZNS1_14partition_implILS5_9ELb0ES3_jPlS8_PNS0_10empty_typeENS0_5tupleIJS8_S9_EEENSB_IJS8_SA_EEENS0_18inequality_wrapperIZN2at6native12_GLOBAL__N_124unique_dim_cuda_templateIfEESt5tupleIJNSF_6TensorESK_SK_EERKSK_lbbbEUlllE0_EEPmJS9_EEE10hipError_tPvRmT3_T4_T5_T6_T7_T9_mT8_P12ihipStream_tbDpT10_ENKUlT_T0_E_clISt17integral_constantIbLb1EES19_IbLb0EEEEDaS15_S16_EUlS15_E_NS1_11comp_targetILNS1_3genE5ELNS1_11target_archE942ELNS1_3gpuE9ELNS1_3repE0EEENS1_30default_config_static_selectorELNS0_4arch9wavefront6targetE0EEEvT1_.numbered_sgpr, 0
	.set _ZN7rocprim17ROCPRIM_400000_NS6detail17trampoline_kernelINS0_14default_configENS1_25partition_config_selectorILNS1_17partition_subalgoE9EllbEEZZNS1_14partition_implILS5_9ELb0ES3_jPlS8_PNS0_10empty_typeENS0_5tupleIJS8_S9_EEENSB_IJS8_SA_EEENS0_18inequality_wrapperIZN2at6native12_GLOBAL__N_124unique_dim_cuda_templateIfEESt5tupleIJNSF_6TensorESK_SK_EERKSK_lbbbEUlllE0_EEPmJS9_EEE10hipError_tPvRmT3_T4_T5_T6_T7_T9_mT8_P12ihipStream_tbDpT10_ENKUlT_T0_E_clISt17integral_constantIbLb1EES19_IbLb0EEEEDaS15_S16_EUlS15_E_NS1_11comp_targetILNS1_3genE5ELNS1_11target_archE942ELNS1_3gpuE9ELNS1_3repE0EEENS1_30default_config_static_selectorELNS0_4arch9wavefront6targetE0EEEvT1_.num_named_barrier, 0
	.set _ZN7rocprim17ROCPRIM_400000_NS6detail17trampoline_kernelINS0_14default_configENS1_25partition_config_selectorILNS1_17partition_subalgoE9EllbEEZZNS1_14partition_implILS5_9ELb0ES3_jPlS8_PNS0_10empty_typeENS0_5tupleIJS8_S9_EEENSB_IJS8_SA_EEENS0_18inequality_wrapperIZN2at6native12_GLOBAL__N_124unique_dim_cuda_templateIfEESt5tupleIJNSF_6TensorESK_SK_EERKSK_lbbbEUlllE0_EEPmJS9_EEE10hipError_tPvRmT3_T4_T5_T6_T7_T9_mT8_P12ihipStream_tbDpT10_ENKUlT_T0_E_clISt17integral_constantIbLb1EES19_IbLb0EEEEDaS15_S16_EUlS15_E_NS1_11comp_targetILNS1_3genE5ELNS1_11target_archE942ELNS1_3gpuE9ELNS1_3repE0EEENS1_30default_config_static_selectorELNS0_4arch9wavefront6targetE0EEEvT1_.private_seg_size, 0
	.set _ZN7rocprim17ROCPRIM_400000_NS6detail17trampoline_kernelINS0_14default_configENS1_25partition_config_selectorILNS1_17partition_subalgoE9EllbEEZZNS1_14partition_implILS5_9ELb0ES3_jPlS8_PNS0_10empty_typeENS0_5tupleIJS8_S9_EEENSB_IJS8_SA_EEENS0_18inequality_wrapperIZN2at6native12_GLOBAL__N_124unique_dim_cuda_templateIfEESt5tupleIJNSF_6TensorESK_SK_EERKSK_lbbbEUlllE0_EEPmJS9_EEE10hipError_tPvRmT3_T4_T5_T6_T7_T9_mT8_P12ihipStream_tbDpT10_ENKUlT_T0_E_clISt17integral_constantIbLb1EES19_IbLb0EEEEDaS15_S16_EUlS15_E_NS1_11comp_targetILNS1_3genE5ELNS1_11target_archE942ELNS1_3gpuE9ELNS1_3repE0EEENS1_30default_config_static_selectorELNS0_4arch9wavefront6targetE0EEEvT1_.uses_vcc, 0
	.set _ZN7rocprim17ROCPRIM_400000_NS6detail17trampoline_kernelINS0_14default_configENS1_25partition_config_selectorILNS1_17partition_subalgoE9EllbEEZZNS1_14partition_implILS5_9ELb0ES3_jPlS8_PNS0_10empty_typeENS0_5tupleIJS8_S9_EEENSB_IJS8_SA_EEENS0_18inequality_wrapperIZN2at6native12_GLOBAL__N_124unique_dim_cuda_templateIfEESt5tupleIJNSF_6TensorESK_SK_EERKSK_lbbbEUlllE0_EEPmJS9_EEE10hipError_tPvRmT3_T4_T5_T6_T7_T9_mT8_P12ihipStream_tbDpT10_ENKUlT_T0_E_clISt17integral_constantIbLb1EES19_IbLb0EEEEDaS15_S16_EUlS15_E_NS1_11comp_targetILNS1_3genE5ELNS1_11target_archE942ELNS1_3gpuE9ELNS1_3repE0EEENS1_30default_config_static_selectorELNS0_4arch9wavefront6targetE0EEEvT1_.uses_flat_scratch, 0
	.set _ZN7rocprim17ROCPRIM_400000_NS6detail17trampoline_kernelINS0_14default_configENS1_25partition_config_selectorILNS1_17partition_subalgoE9EllbEEZZNS1_14partition_implILS5_9ELb0ES3_jPlS8_PNS0_10empty_typeENS0_5tupleIJS8_S9_EEENSB_IJS8_SA_EEENS0_18inequality_wrapperIZN2at6native12_GLOBAL__N_124unique_dim_cuda_templateIfEESt5tupleIJNSF_6TensorESK_SK_EERKSK_lbbbEUlllE0_EEPmJS9_EEE10hipError_tPvRmT3_T4_T5_T6_T7_T9_mT8_P12ihipStream_tbDpT10_ENKUlT_T0_E_clISt17integral_constantIbLb1EES19_IbLb0EEEEDaS15_S16_EUlS15_E_NS1_11comp_targetILNS1_3genE5ELNS1_11target_archE942ELNS1_3gpuE9ELNS1_3repE0EEENS1_30default_config_static_selectorELNS0_4arch9wavefront6targetE0EEEvT1_.has_dyn_sized_stack, 0
	.set _ZN7rocprim17ROCPRIM_400000_NS6detail17trampoline_kernelINS0_14default_configENS1_25partition_config_selectorILNS1_17partition_subalgoE9EllbEEZZNS1_14partition_implILS5_9ELb0ES3_jPlS8_PNS0_10empty_typeENS0_5tupleIJS8_S9_EEENSB_IJS8_SA_EEENS0_18inequality_wrapperIZN2at6native12_GLOBAL__N_124unique_dim_cuda_templateIfEESt5tupleIJNSF_6TensorESK_SK_EERKSK_lbbbEUlllE0_EEPmJS9_EEE10hipError_tPvRmT3_T4_T5_T6_T7_T9_mT8_P12ihipStream_tbDpT10_ENKUlT_T0_E_clISt17integral_constantIbLb1EES19_IbLb0EEEEDaS15_S16_EUlS15_E_NS1_11comp_targetILNS1_3genE5ELNS1_11target_archE942ELNS1_3gpuE9ELNS1_3repE0EEENS1_30default_config_static_selectorELNS0_4arch9wavefront6targetE0EEEvT1_.has_recursion, 0
	.set _ZN7rocprim17ROCPRIM_400000_NS6detail17trampoline_kernelINS0_14default_configENS1_25partition_config_selectorILNS1_17partition_subalgoE9EllbEEZZNS1_14partition_implILS5_9ELb0ES3_jPlS8_PNS0_10empty_typeENS0_5tupleIJS8_S9_EEENSB_IJS8_SA_EEENS0_18inequality_wrapperIZN2at6native12_GLOBAL__N_124unique_dim_cuda_templateIfEESt5tupleIJNSF_6TensorESK_SK_EERKSK_lbbbEUlllE0_EEPmJS9_EEE10hipError_tPvRmT3_T4_T5_T6_T7_T9_mT8_P12ihipStream_tbDpT10_ENKUlT_T0_E_clISt17integral_constantIbLb1EES19_IbLb0EEEEDaS15_S16_EUlS15_E_NS1_11comp_targetILNS1_3genE5ELNS1_11target_archE942ELNS1_3gpuE9ELNS1_3repE0EEENS1_30default_config_static_selectorELNS0_4arch9wavefront6targetE0EEEvT1_.has_indirect_call, 0
	.section	.AMDGPU.csdata,"",@progbits
; Kernel info:
; codeLenInByte = 0
; TotalNumSgprs: 0
; NumVgprs: 0
; ScratchSize: 0
; MemoryBound: 0
; FloatMode: 240
; IeeeMode: 1
; LDSByteSize: 0 bytes/workgroup (compile time only)
; SGPRBlocks: 0
; VGPRBlocks: 0
; NumSGPRsForWavesPerEU: 1
; NumVGPRsForWavesPerEU: 1
; NamedBarCnt: 0
; Occupancy: 16
; WaveLimiterHint : 0
; COMPUTE_PGM_RSRC2:SCRATCH_EN: 0
; COMPUTE_PGM_RSRC2:USER_SGPR: 2
; COMPUTE_PGM_RSRC2:TRAP_HANDLER: 0
; COMPUTE_PGM_RSRC2:TGID_X_EN: 1
; COMPUTE_PGM_RSRC2:TGID_Y_EN: 0
; COMPUTE_PGM_RSRC2:TGID_Z_EN: 0
; COMPUTE_PGM_RSRC2:TIDIG_COMP_CNT: 0
	.section	.text._ZN7rocprim17ROCPRIM_400000_NS6detail17trampoline_kernelINS0_14default_configENS1_25partition_config_selectorILNS1_17partition_subalgoE9EllbEEZZNS1_14partition_implILS5_9ELb0ES3_jPlS8_PNS0_10empty_typeENS0_5tupleIJS8_S9_EEENSB_IJS8_SA_EEENS0_18inequality_wrapperIZN2at6native12_GLOBAL__N_124unique_dim_cuda_templateIfEESt5tupleIJNSF_6TensorESK_SK_EERKSK_lbbbEUlllE0_EEPmJS9_EEE10hipError_tPvRmT3_T4_T5_T6_T7_T9_mT8_P12ihipStream_tbDpT10_ENKUlT_T0_E_clISt17integral_constantIbLb1EES19_IbLb0EEEEDaS15_S16_EUlS15_E_NS1_11comp_targetILNS1_3genE4ELNS1_11target_archE910ELNS1_3gpuE8ELNS1_3repE0EEENS1_30default_config_static_selectorELNS0_4arch9wavefront6targetE0EEEvT1_,"axG",@progbits,_ZN7rocprim17ROCPRIM_400000_NS6detail17trampoline_kernelINS0_14default_configENS1_25partition_config_selectorILNS1_17partition_subalgoE9EllbEEZZNS1_14partition_implILS5_9ELb0ES3_jPlS8_PNS0_10empty_typeENS0_5tupleIJS8_S9_EEENSB_IJS8_SA_EEENS0_18inequality_wrapperIZN2at6native12_GLOBAL__N_124unique_dim_cuda_templateIfEESt5tupleIJNSF_6TensorESK_SK_EERKSK_lbbbEUlllE0_EEPmJS9_EEE10hipError_tPvRmT3_T4_T5_T6_T7_T9_mT8_P12ihipStream_tbDpT10_ENKUlT_T0_E_clISt17integral_constantIbLb1EES19_IbLb0EEEEDaS15_S16_EUlS15_E_NS1_11comp_targetILNS1_3genE4ELNS1_11target_archE910ELNS1_3gpuE8ELNS1_3repE0EEENS1_30default_config_static_selectorELNS0_4arch9wavefront6targetE0EEEvT1_,comdat
	.globl	_ZN7rocprim17ROCPRIM_400000_NS6detail17trampoline_kernelINS0_14default_configENS1_25partition_config_selectorILNS1_17partition_subalgoE9EllbEEZZNS1_14partition_implILS5_9ELb0ES3_jPlS8_PNS0_10empty_typeENS0_5tupleIJS8_S9_EEENSB_IJS8_SA_EEENS0_18inequality_wrapperIZN2at6native12_GLOBAL__N_124unique_dim_cuda_templateIfEESt5tupleIJNSF_6TensorESK_SK_EERKSK_lbbbEUlllE0_EEPmJS9_EEE10hipError_tPvRmT3_T4_T5_T6_T7_T9_mT8_P12ihipStream_tbDpT10_ENKUlT_T0_E_clISt17integral_constantIbLb1EES19_IbLb0EEEEDaS15_S16_EUlS15_E_NS1_11comp_targetILNS1_3genE4ELNS1_11target_archE910ELNS1_3gpuE8ELNS1_3repE0EEENS1_30default_config_static_selectorELNS0_4arch9wavefront6targetE0EEEvT1_ ; -- Begin function _ZN7rocprim17ROCPRIM_400000_NS6detail17trampoline_kernelINS0_14default_configENS1_25partition_config_selectorILNS1_17partition_subalgoE9EllbEEZZNS1_14partition_implILS5_9ELb0ES3_jPlS8_PNS0_10empty_typeENS0_5tupleIJS8_S9_EEENSB_IJS8_SA_EEENS0_18inequality_wrapperIZN2at6native12_GLOBAL__N_124unique_dim_cuda_templateIfEESt5tupleIJNSF_6TensorESK_SK_EERKSK_lbbbEUlllE0_EEPmJS9_EEE10hipError_tPvRmT3_T4_T5_T6_T7_T9_mT8_P12ihipStream_tbDpT10_ENKUlT_T0_E_clISt17integral_constantIbLb1EES19_IbLb0EEEEDaS15_S16_EUlS15_E_NS1_11comp_targetILNS1_3genE4ELNS1_11target_archE910ELNS1_3gpuE8ELNS1_3repE0EEENS1_30default_config_static_selectorELNS0_4arch9wavefront6targetE0EEEvT1_
	.p2align	8
	.type	_ZN7rocprim17ROCPRIM_400000_NS6detail17trampoline_kernelINS0_14default_configENS1_25partition_config_selectorILNS1_17partition_subalgoE9EllbEEZZNS1_14partition_implILS5_9ELb0ES3_jPlS8_PNS0_10empty_typeENS0_5tupleIJS8_S9_EEENSB_IJS8_SA_EEENS0_18inequality_wrapperIZN2at6native12_GLOBAL__N_124unique_dim_cuda_templateIfEESt5tupleIJNSF_6TensorESK_SK_EERKSK_lbbbEUlllE0_EEPmJS9_EEE10hipError_tPvRmT3_T4_T5_T6_T7_T9_mT8_P12ihipStream_tbDpT10_ENKUlT_T0_E_clISt17integral_constantIbLb1EES19_IbLb0EEEEDaS15_S16_EUlS15_E_NS1_11comp_targetILNS1_3genE4ELNS1_11target_archE910ELNS1_3gpuE8ELNS1_3repE0EEENS1_30default_config_static_selectorELNS0_4arch9wavefront6targetE0EEEvT1_,@function
_ZN7rocprim17ROCPRIM_400000_NS6detail17trampoline_kernelINS0_14default_configENS1_25partition_config_selectorILNS1_17partition_subalgoE9EllbEEZZNS1_14partition_implILS5_9ELb0ES3_jPlS8_PNS0_10empty_typeENS0_5tupleIJS8_S9_EEENSB_IJS8_SA_EEENS0_18inequality_wrapperIZN2at6native12_GLOBAL__N_124unique_dim_cuda_templateIfEESt5tupleIJNSF_6TensorESK_SK_EERKSK_lbbbEUlllE0_EEPmJS9_EEE10hipError_tPvRmT3_T4_T5_T6_T7_T9_mT8_P12ihipStream_tbDpT10_ENKUlT_T0_E_clISt17integral_constantIbLb1EES19_IbLb0EEEEDaS15_S16_EUlS15_E_NS1_11comp_targetILNS1_3genE4ELNS1_11target_archE910ELNS1_3gpuE8ELNS1_3repE0EEENS1_30default_config_static_selectorELNS0_4arch9wavefront6targetE0EEEvT1_: ; @_ZN7rocprim17ROCPRIM_400000_NS6detail17trampoline_kernelINS0_14default_configENS1_25partition_config_selectorILNS1_17partition_subalgoE9EllbEEZZNS1_14partition_implILS5_9ELb0ES3_jPlS8_PNS0_10empty_typeENS0_5tupleIJS8_S9_EEENSB_IJS8_SA_EEENS0_18inequality_wrapperIZN2at6native12_GLOBAL__N_124unique_dim_cuda_templateIfEESt5tupleIJNSF_6TensorESK_SK_EERKSK_lbbbEUlllE0_EEPmJS9_EEE10hipError_tPvRmT3_T4_T5_T6_T7_T9_mT8_P12ihipStream_tbDpT10_ENKUlT_T0_E_clISt17integral_constantIbLb1EES19_IbLb0EEEEDaS15_S16_EUlS15_E_NS1_11comp_targetILNS1_3genE4ELNS1_11target_archE910ELNS1_3gpuE8ELNS1_3repE0EEENS1_30default_config_static_selectorELNS0_4arch9wavefront6targetE0EEEvT1_
; %bb.0:
	.section	.rodata,"a",@progbits
	.p2align	6, 0x0
	.amdhsa_kernel _ZN7rocprim17ROCPRIM_400000_NS6detail17trampoline_kernelINS0_14default_configENS1_25partition_config_selectorILNS1_17partition_subalgoE9EllbEEZZNS1_14partition_implILS5_9ELb0ES3_jPlS8_PNS0_10empty_typeENS0_5tupleIJS8_S9_EEENSB_IJS8_SA_EEENS0_18inequality_wrapperIZN2at6native12_GLOBAL__N_124unique_dim_cuda_templateIfEESt5tupleIJNSF_6TensorESK_SK_EERKSK_lbbbEUlllE0_EEPmJS9_EEE10hipError_tPvRmT3_T4_T5_T6_T7_T9_mT8_P12ihipStream_tbDpT10_ENKUlT_T0_E_clISt17integral_constantIbLb1EES19_IbLb0EEEEDaS15_S16_EUlS15_E_NS1_11comp_targetILNS1_3genE4ELNS1_11target_archE910ELNS1_3gpuE8ELNS1_3repE0EEENS1_30default_config_static_selectorELNS0_4arch9wavefront6targetE0EEEvT1_
		.amdhsa_group_segment_fixed_size 0
		.amdhsa_private_segment_fixed_size 0
		.amdhsa_kernarg_size 120
		.amdhsa_user_sgpr_count 2
		.amdhsa_user_sgpr_dispatch_ptr 0
		.amdhsa_user_sgpr_queue_ptr 0
		.amdhsa_user_sgpr_kernarg_segment_ptr 1
		.amdhsa_user_sgpr_dispatch_id 0
		.amdhsa_user_sgpr_kernarg_preload_length 0
		.amdhsa_user_sgpr_kernarg_preload_offset 0
		.amdhsa_user_sgpr_private_segment_size 0
		.amdhsa_wavefront_size32 1
		.amdhsa_uses_dynamic_stack 0
		.amdhsa_enable_private_segment 0
		.amdhsa_system_sgpr_workgroup_id_x 1
		.amdhsa_system_sgpr_workgroup_id_y 0
		.amdhsa_system_sgpr_workgroup_id_z 0
		.amdhsa_system_sgpr_workgroup_info 0
		.amdhsa_system_vgpr_workitem_id 0
		.amdhsa_next_free_vgpr 1
		.amdhsa_next_free_sgpr 1
		.amdhsa_named_barrier_count 0
		.amdhsa_reserve_vcc 0
		.amdhsa_float_round_mode_32 0
		.amdhsa_float_round_mode_16_64 0
		.amdhsa_float_denorm_mode_32 3
		.amdhsa_float_denorm_mode_16_64 3
		.amdhsa_fp16_overflow 0
		.amdhsa_memory_ordered 1
		.amdhsa_forward_progress 1
		.amdhsa_inst_pref_size 0
		.amdhsa_round_robin_scheduling 0
		.amdhsa_exception_fp_ieee_invalid_op 0
		.amdhsa_exception_fp_denorm_src 0
		.amdhsa_exception_fp_ieee_div_zero 0
		.amdhsa_exception_fp_ieee_overflow 0
		.amdhsa_exception_fp_ieee_underflow 0
		.amdhsa_exception_fp_ieee_inexact 0
		.amdhsa_exception_int_div_zero 0
	.end_amdhsa_kernel
	.section	.text._ZN7rocprim17ROCPRIM_400000_NS6detail17trampoline_kernelINS0_14default_configENS1_25partition_config_selectorILNS1_17partition_subalgoE9EllbEEZZNS1_14partition_implILS5_9ELb0ES3_jPlS8_PNS0_10empty_typeENS0_5tupleIJS8_S9_EEENSB_IJS8_SA_EEENS0_18inequality_wrapperIZN2at6native12_GLOBAL__N_124unique_dim_cuda_templateIfEESt5tupleIJNSF_6TensorESK_SK_EERKSK_lbbbEUlllE0_EEPmJS9_EEE10hipError_tPvRmT3_T4_T5_T6_T7_T9_mT8_P12ihipStream_tbDpT10_ENKUlT_T0_E_clISt17integral_constantIbLb1EES19_IbLb0EEEEDaS15_S16_EUlS15_E_NS1_11comp_targetILNS1_3genE4ELNS1_11target_archE910ELNS1_3gpuE8ELNS1_3repE0EEENS1_30default_config_static_selectorELNS0_4arch9wavefront6targetE0EEEvT1_,"axG",@progbits,_ZN7rocprim17ROCPRIM_400000_NS6detail17trampoline_kernelINS0_14default_configENS1_25partition_config_selectorILNS1_17partition_subalgoE9EllbEEZZNS1_14partition_implILS5_9ELb0ES3_jPlS8_PNS0_10empty_typeENS0_5tupleIJS8_S9_EEENSB_IJS8_SA_EEENS0_18inequality_wrapperIZN2at6native12_GLOBAL__N_124unique_dim_cuda_templateIfEESt5tupleIJNSF_6TensorESK_SK_EERKSK_lbbbEUlllE0_EEPmJS9_EEE10hipError_tPvRmT3_T4_T5_T6_T7_T9_mT8_P12ihipStream_tbDpT10_ENKUlT_T0_E_clISt17integral_constantIbLb1EES19_IbLb0EEEEDaS15_S16_EUlS15_E_NS1_11comp_targetILNS1_3genE4ELNS1_11target_archE910ELNS1_3gpuE8ELNS1_3repE0EEENS1_30default_config_static_selectorELNS0_4arch9wavefront6targetE0EEEvT1_,comdat
.Lfunc_end979:
	.size	_ZN7rocprim17ROCPRIM_400000_NS6detail17trampoline_kernelINS0_14default_configENS1_25partition_config_selectorILNS1_17partition_subalgoE9EllbEEZZNS1_14partition_implILS5_9ELb0ES3_jPlS8_PNS0_10empty_typeENS0_5tupleIJS8_S9_EEENSB_IJS8_SA_EEENS0_18inequality_wrapperIZN2at6native12_GLOBAL__N_124unique_dim_cuda_templateIfEESt5tupleIJNSF_6TensorESK_SK_EERKSK_lbbbEUlllE0_EEPmJS9_EEE10hipError_tPvRmT3_T4_T5_T6_T7_T9_mT8_P12ihipStream_tbDpT10_ENKUlT_T0_E_clISt17integral_constantIbLb1EES19_IbLb0EEEEDaS15_S16_EUlS15_E_NS1_11comp_targetILNS1_3genE4ELNS1_11target_archE910ELNS1_3gpuE8ELNS1_3repE0EEENS1_30default_config_static_selectorELNS0_4arch9wavefront6targetE0EEEvT1_, .Lfunc_end979-_ZN7rocprim17ROCPRIM_400000_NS6detail17trampoline_kernelINS0_14default_configENS1_25partition_config_selectorILNS1_17partition_subalgoE9EllbEEZZNS1_14partition_implILS5_9ELb0ES3_jPlS8_PNS0_10empty_typeENS0_5tupleIJS8_S9_EEENSB_IJS8_SA_EEENS0_18inequality_wrapperIZN2at6native12_GLOBAL__N_124unique_dim_cuda_templateIfEESt5tupleIJNSF_6TensorESK_SK_EERKSK_lbbbEUlllE0_EEPmJS9_EEE10hipError_tPvRmT3_T4_T5_T6_T7_T9_mT8_P12ihipStream_tbDpT10_ENKUlT_T0_E_clISt17integral_constantIbLb1EES19_IbLb0EEEEDaS15_S16_EUlS15_E_NS1_11comp_targetILNS1_3genE4ELNS1_11target_archE910ELNS1_3gpuE8ELNS1_3repE0EEENS1_30default_config_static_selectorELNS0_4arch9wavefront6targetE0EEEvT1_
                                        ; -- End function
	.set _ZN7rocprim17ROCPRIM_400000_NS6detail17trampoline_kernelINS0_14default_configENS1_25partition_config_selectorILNS1_17partition_subalgoE9EllbEEZZNS1_14partition_implILS5_9ELb0ES3_jPlS8_PNS0_10empty_typeENS0_5tupleIJS8_S9_EEENSB_IJS8_SA_EEENS0_18inequality_wrapperIZN2at6native12_GLOBAL__N_124unique_dim_cuda_templateIfEESt5tupleIJNSF_6TensorESK_SK_EERKSK_lbbbEUlllE0_EEPmJS9_EEE10hipError_tPvRmT3_T4_T5_T6_T7_T9_mT8_P12ihipStream_tbDpT10_ENKUlT_T0_E_clISt17integral_constantIbLb1EES19_IbLb0EEEEDaS15_S16_EUlS15_E_NS1_11comp_targetILNS1_3genE4ELNS1_11target_archE910ELNS1_3gpuE8ELNS1_3repE0EEENS1_30default_config_static_selectorELNS0_4arch9wavefront6targetE0EEEvT1_.num_vgpr, 0
	.set _ZN7rocprim17ROCPRIM_400000_NS6detail17trampoline_kernelINS0_14default_configENS1_25partition_config_selectorILNS1_17partition_subalgoE9EllbEEZZNS1_14partition_implILS5_9ELb0ES3_jPlS8_PNS0_10empty_typeENS0_5tupleIJS8_S9_EEENSB_IJS8_SA_EEENS0_18inequality_wrapperIZN2at6native12_GLOBAL__N_124unique_dim_cuda_templateIfEESt5tupleIJNSF_6TensorESK_SK_EERKSK_lbbbEUlllE0_EEPmJS9_EEE10hipError_tPvRmT3_T4_T5_T6_T7_T9_mT8_P12ihipStream_tbDpT10_ENKUlT_T0_E_clISt17integral_constantIbLb1EES19_IbLb0EEEEDaS15_S16_EUlS15_E_NS1_11comp_targetILNS1_3genE4ELNS1_11target_archE910ELNS1_3gpuE8ELNS1_3repE0EEENS1_30default_config_static_selectorELNS0_4arch9wavefront6targetE0EEEvT1_.num_agpr, 0
	.set _ZN7rocprim17ROCPRIM_400000_NS6detail17trampoline_kernelINS0_14default_configENS1_25partition_config_selectorILNS1_17partition_subalgoE9EllbEEZZNS1_14partition_implILS5_9ELb0ES3_jPlS8_PNS0_10empty_typeENS0_5tupleIJS8_S9_EEENSB_IJS8_SA_EEENS0_18inequality_wrapperIZN2at6native12_GLOBAL__N_124unique_dim_cuda_templateIfEESt5tupleIJNSF_6TensorESK_SK_EERKSK_lbbbEUlllE0_EEPmJS9_EEE10hipError_tPvRmT3_T4_T5_T6_T7_T9_mT8_P12ihipStream_tbDpT10_ENKUlT_T0_E_clISt17integral_constantIbLb1EES19_IbLb0EEEEDaS15_S16_EUlS15_E_NS1_11comp_targetILNS1_3genE4ELNS1_11target_archE910ELNS1_3gpuE8ELNS1_3repE0EEENS1_30default_config_static_selectorELNS0_4arch9wavefront6targetE0EEEvT1_.numbered_sgpr, 0
	.set _ZN7rocprim17ROCPRIM_400000_NS6detail17trampoline_kernelINS0_14default_configENS1_25partition_config_selectorILNS1_17partition_subalgoE9EllbEEZZNS1_14partition_implILS5_9ELb0ES3_jPlS8_PNS0_10empty_typeENS0_5tupleIJS8_S9_EEENSB_IJS8_SA_EEENS0_18inequality_wrapperIZN2at6native12_GLOBAL__N_124unique_dim_cuda_templateIfEESt5tupleIJNSF_6TensorESK_SK_EERKSK_lbbbEUlllE0_EEPmJS9_EEE10hipError_tPvRmT3_T4_T5_T6_T7_T9_mT8_P12ihipStream_tbDpT10_ENKUlT_T0_E_clISt17integral_constantIbLb1EES19_IbLb0EEEEDaS15_S16_EUlS15_E_NS1_11comp_targetILNS1_3genE4ELNS1_11target_archE910ELNS1_3gpuE8ELNS1_3repE0EEENS1_30default_config_static_selectorELNS0_4arch9wavefront6targetE0EEEvT1_.num_named_barrier, 0
	.set _ZN7rocprim17ROCPRIM_400000_NS6detail17trampoline_kernelINS0_14default_configENS1_25partition_config_selectorILNS1_17partition_subalgoE9EllbEEZZNS1_14partition_implILS5_9ELb0ES3_jPlS8_PNS0_10empty_typeENS0_5tupleIJS8_S9_EEENSB_IJS8_SA_EEENS0_18inequality_wrapperIZN2at6native12_GLOBAL__N_124unique_dim_cuda_templateIfEESt5tupleIJNSF_6TensorESK_SK_EERKSK_lbbbEUlllE0_EEPmJS9_EEE10hipError_tPvRmT3_T4_T5_T6_T7_T9_mT8_P12ihipStream_tbDpT10_ENKUlT_T0_E_clISt17integral_constantIbLb1EES19_IbLb0EEEEDaS15_S16_EUlS15_E_NS1_11comp_targetILNS1_3genE4ELNS1_11target_archE910ELNS1_3gpuE8ELNS1_3repE0EEENS1_30default_config_static_selectorELNS0_4arch9wavefront6targetE0EEEvT1_.private_seg_size, 0
	.set _ZN7rocprim17ROCPRIM_400000_NS6detail17trampoline_kernelINS0_14default_configENS1_25partition_config_selectorILNS1_17partition_subalgoE9EllbEEZZNS1_14partition_implILS5_9ELb0ES3_jPlS8_PNS0_10empty_typeENS0_5tupleIJS8_S9_EEENSB_IJS8_SA_EEENS0_18inequality_wrapperIZN2at6native12_GLOBAL__N_124unique_dim_cuda_templateIfEESt5tupleIJNSF_6TensorESK_SK_EERKSK_lbbbEUlllE0_EEPmJS9_EEE10hipError_tPvRmT3_T4_T5_T6_T7_T9_mT8_P12ihipStream_tbDpT10_ENKUlT_T0_E_clISt17integral_constantIbLb1EES19_IbLb0EEEEDaS15_S16_EUlS15_E_NS1_11comp_targetILNS1_3genE4ELNS1_11target_archE910ELNS1_3gpuE8ELNS1_3repE0EEENS1_30default_config_static_selectorELNS0_4arch9wavefront6targetE0EEEvT1_.uses_vcc, 0
	.set _ZN7rocprim17ROCPRIM_400000_NS6detail17trampoline_kernelINS0_14default_configENS1_25partition_config_selectorILNS1_17partition_subalgoE9EllbEEZZNS1_14partition_implILS5_9ELb0ES3_jPlS8_PNS0_10empty_typeENS0_5tupleIJS8_S9_EEENSB_IJS8_SA_EEENS0_18inequality_wrapperIZN2at6native12_GLOBAL__N_124unique_dim_cuda_templateIfEESt5tupleIJNSF_6TensorESK_SK_EERKSK_lbbbEUlllE0_EEPmJS9_EEE10hipError_tPvRmT3_T4_T5_T6_T7_T9_mT8_P12ihipStream_tbDpT10_ENKUlT_T0_E_clISt17integral_constantIbLb1EES19_IbLb0EEEEDaS15_S16_EUlS15_E_NS1_11comp_targetILNS1_3genE4ELNS1_11target_archE910ELNS1_3gpuE8ELNS1_3repE0EEENS1_30default_config_static_selectorELNS0_4arch9wavefront6targetE0EEEvT1_.uses_flat_scratch, 0
	.set _ZN7rocprim17ROCPRIM_400000_NS6detail17trampoline_kernelINS0_14default_configENS1_25partition_config_selectorILNS1_17partition_subalgoE9EllbEEZZNS1_14partition_implILS5_9ELb0ES3_jPlS8_PNS0_10empty_typeENS0_5tupleIJS8_S9_EEENSB_IJS8_SA_EEENS0_18inequality_wrapperIZN2at6native12_GLOBAL__N_124unique_dim_cuda_templateIfEESt5tupleIJNSF_6TensorESK_SK_EERKSK_lbbbEUlllE0_EEPmJS9_EEE10hipError_tPvRmT3_T4_T5_T6_T7_T9_mT8_P12ihipStream_tbDpT10_ENKUlT_T0_E_clISt17integral_constantIbLb1EES19_IbLb0EEEEDaS15_S16_EUlS15_E_NS1_11comp_targetILNS1_3genE4ELNS1_11target_archE910ELNS1_3gpuE8ELNS1_3repE0EEENS1_30default_config_static_selectorELNS0_4arch9wavefront6targetE0EEEvT1_.has_dyn_sized_stack, 0
	.set _ZN7rocprim17ROCPRIM_400000_NS6detail17trampoline_kernelINS0_14default_configENS1_25partition_config_selectorILNS1_17partition_subalgoE9EllbEEZZNS1_14partition_implILS5_9ELb0ES3_jPlS8_PNS0_10empty_typeENS0_5tupleIJS8_S9_EEENSB_IJS8_SA_EEENS0_18inequality_wrapperIZN2at6native12_GLOBAL__N_124unique_dim_cuda_templateIfEESt5tupleIJNSF_6TensorESK_SK_EERKSK_lbbbEUlllE0_EEPmJS9_EEE10hipError_tPvRmT3_T4_T5_T6_T7_T9_mT8_P12ihipStream_tbDpT10_ENKUlT_T0_E_clISt17integral_constantIbLb1EES19_IbLb0EEEEDaS15_S16_EUlS15_E_NS1_11comp_targetILNS1_3genE4ELNS1_11target_archE910ELNS1_3gpuE8ELNS1_3repE0EEENS1_30default_config_static_selectorELNS0_4arch9wavefront6targetE0EEEvT1_.has_recursion, 0
	.set _ZN7rocprim17ROCPRIM_400000_NS6detail17trampoline_kernelINS0_14default_configENS1_25partition_config_selectorILNS1_17partition_subalgoE9EllbEEZZNS1_14partition_implILS5_9ELb0ES3_jPlS8_PNS0_10empty_typeENS0_5tupleIJS8_S9_EEENSB_IJS8_SA_EEENS0_18inequality_wrapperIZN2at6native12_GLOBAL__N_124unique_dim_cuda_templateIfEESt5tupleIJNSF_6TensorESK_SK_EERKSK_lbbbEUlllE0_EEPmJS9_EEE10hipError_tPvRmT3_T4_T5_T6_T7_T9_mT8_P12ihipStream_tbDpT10_ENKUlT_T0_E_clISt17integral_constantIbLb1EES19_IbLb0EEEEDaS15_S16_EUlS15_E_NS1_11comp_targetILNS1_3genE4ELNS1_11target_archE910ELNS1_3gpuE8ELNS1_3repE0EEENS1_30default_config_static_selectorELNS0_4arch9wavefront6targetE0EEEvT1_.has_indirect_call, 0
	.section	.AMDGPU.csdata,"",@progbits
; Kernel info:
; codeLenInByte = 0
; TotalNumSgprs: 0
; NumVgprs: 0
; ScratchSize: 0
; MemoryBound: 0
; FloatMode: 240
; IeeeMode: 1
; LDSByteSize: 0 bytes/workgroup (compile time only)
; SGPRBlocks: 0
; VGPRBlocks: 0
; NumSGPRsForWavesPerEU: 1
; NumVGPRsForWavesPerEU: 1
; NamedBarCnt: 0
; Occupancy: 16
; WaveLimiterHint : 0
; COMPUTE_PGM_RSRC2:SCRATCH_EN: 0
; COMPUTE_PGM_RSRC2:USER_SGPR: 2
; COMPUTE_PGM_RSRC2:TRAP_HANDLER: 0
; COMPUTE_PGM_RSRC2:TGID_X_EN: 1
; COMPUTE_PGM_RSRC2:TGID_Y_EN: 0
; COMPUTE_PGM_RSRC2:TGID_Z_EN: 0
; COMPUTE_PGM_RSRC2:TIDIG_COMP_CNT: 0
	.section	.text._ZN7rocprim17ROCPRIM_400000_NS6detail17trampoline_kernelINS0_14default_configENS1_25partition_config_selectorILNS1_17partition_subalgoE9EllbEEZZNS1_14partition_implILS5_9ELb0ES3_jPlS8_PNS0_10empty_typeENS0_5tupleIJS8_S9_EEENSB_IJS8_SA_EEENS0_18inequality_wrapperIZN2at6native12_GLOBAL__N_124unique_dim_cuda_templateIfEESt5tupleIJNSF_6TensorESK_SK_EERKSK_lbbbEUlllE0_EEPmJS9_EEE10hipError_tPvRmT3_T4_T5_T6_T7_T9_mT8_P12ihipStream_tbDpT10_ENKUlT_T0_E_clISt17integral_constantIbLb1EES19_IbLb0EEEEDaS15_S16_EUlS15_E_NS1_11comp_targetILNS1_3genE3ELNS1_11target_archE908ELNS1_3gpuE7ELNS1_3repE0EEENS1_30default_config_static_selectorELNS0_4arch9wavefront6targetE0EEEvT1_,"axG",@progbits,_ZN7rocprim17ROCPRIM_400000_NS6detail17trampoline_kernelINS0_14default_configENS1_25partition_config_selectorILNS1_17partition_subalgoE9EllbEEZZNS1_14partition_implILS5_9ELb0ES3_jPlS8_PNS0_10empty_typeENS0_5tupleIJS8_S9_EEENSB_IJS8_SA_EEENS0_18inequality_wrapperIZN2at6native12_GLOBAL__N_124unique_dim_cuda_templateIfEESt5tupleIJNSF_6TensorESK_SK_EERKSK_lbbbEUlllE0_EEPmJS9_EEE10hipError_tPvRmT3_T4_T5_T6_T7_T9_mT8_P12ihipStream_tbDpT10_ENKUlT_T0_E_clISt17integral_constantIbLb1EES19_IbLb0EEEEDaS15_S16_EUlS15_E_NS1_11comp_targetILNS1_3genE3ELNS1_11target_archE908ELNS1_3gpuE7ELNS1_3repE0EEENS1_30default_config_static_selectorELNS0_4arch9wavefront6targetE0EEEvT1_,comdat
	.globl	_ZN7rocprim17ROCPRIM_400000_NS6detail17trampoline_kernelINS0_14default_configENS1_25partition_config_selectorILNS1_17partition_subalgoE9EllbEEZZNS1_14partition_implILS5_9ELb0ES3_jPlS8_PNS0_10empty_typeENS0_5tupleIJS8_S9_EEENSB_IJS8_SA_EEENS0_18inequality_wrapperIZN2at6native12_GLOBAL__N_124unique_dim_cuda_templateIfEESt5tupleIJNSF_6TensorESK_SK_EERKSK_lbbbEUlllE0_EEPmJS9_EEE10hipError_tPvRmT3_T4_T5_T6_T7_T9_mT8_P12ihipStream_tbDpT10_ENKUlT_T0_E_clISt17integral_constantIbLb1EES19_IbLb0EEEEDaS15_S16_EUlS15_E_NS1_11comp_targetILNS1_3genE3ELNS1_11target_archE908ELNS1_3gpuE7ELNS1_3repE0EEENS1_30default_config_static_selectorELNS0_4arch9wavefront6targetE0EEEvT1_ ; -- Begin function _ZN7rocprim17ROCPRIM_400000_NS6detail17trampoline_kernelINS0_14default_configENS1_25partition_config_selectorILNS1_17partition_subalgoE9EllbEEZZNS1_14partition_implILS5_9ELb0ES3_jPlS8_PNS0_10empty_typeENS0_5tupleIJS8_S9_EEENSB_IJS8_SA_EEENS0_18inequality_wrapperIZN2at6native12_GLOBAL__N_124unique_dim_cuda_templateIfEESt5tupleIJNSF_6TensorESK_SK_EERKSK_lbbbEUlllE0_EEPmJS9_EEE10hipError_tPvRmT3_T4_T5_T6_T7_T9_mT8_P12ihipStream_tbDpT10_ENKUlT_T0_E_clISt17integral_constantIbLb1EES19_IbLb0EEEEDaS15_S16_EUlS15_E_NS1_11comp_targetILNS1_3genE3ELNS1_11target_archE908ELNS1_3gpuE7ELNS1_3repE0EEENS1_30default_config_static_selectorELNS0_4arch9wavefront6targetE0EEEvT1_
	.p2align	8
	.type	_ZN7rocprim17ROCPRIM_400000_NS6detail17trampoline_kernelINS0_14default_configENS1_25partition_config_selectorILNS1_17partition_subalgoE9EllbEEZZNS1_14partition_implILS5_9ELb0ES3_jPlS8_PNS0_10empty_typeENS0_5tupleIJS8_S9_EEENSB_IJS8_SA_EEENS0_18inequality_wrapperIZN2at6native12_GLOBAL__N_124unique_dim_cuda_templateIfEESt5tupleIJNSF_6TensorESK_SK_EERKSK_lbbbEUlllE0_EEPmJS9_EEE10hipError_tPvRmT3_T4_T5_T6_T7_T9_mT8_P12ihipStream_tbDpT10_ENKUlT_T0_E_clISt17integral_constantIbLb1EES19_IbLb0EEEEDaS15_S16_EUlS15_E_NS1_11comp_targetILNS1_3genE3ELNS1_11target_archE908ELNS1_3gpuE7ELNS1_3repE0EEENS1_30default_config_static_selectorELNS0_4arch9wavefront6targetE0EEEvT1_,@function
_ZN7rocprim17ROCPRIM_400000_NS6detail17trampoline_kernelINS0_14default_configENS1_25partition_config_selectorILNS1_17partition_subalgoE9EllbEEZZNS1_14partition_implILS5_9ELb0ES3_jPlS8_PNS0_10empty_typeENS0_5tupleIJS8_S9_EEENSB_IJS8_SA_EEENS0_18inequality_wrapperIZN2at6native12_GLOBAL__N_124unique_dim_cuda_templateIfEESt5tupleIJNSF_6TensorESK_SK_EERKSK_lbbbEUlllE0_EEPmJS9_EEE10hipError_tPvRmT3_T4_T5_T6_T7_T9_mT8_P12ihipStream_tbDpT10_ENKUlT_T0_E_clISt17integral_constantIbLb1EES19_IbLb0EEEEDaS15_S16_EUlS15_E_NS1_11comp_targetILNS1_3genE3ELNS1_11target_archE908ELNS1_3gpuE7ELNS1_3repE0EEENS1_30default_config_static_selectorELNS0_4arch9wavefront6targetE0EEEvT1_: ; @_ZN7rocprim17ROCPRIM_400000_NS6detail17trampoline_kernelINS0_14default_configENS1_25partition_config_selectorILNS1_17partition_subalgoE9EllbEEZZNS1_14partition_implILS5_9ELb0ES3_jPlS8_PNS0_10empty_typeENS0_5tupleIJS8_S9_EEENSB_IJS8_SA_EEENS0_18inequality_wrapperIZN2at6native12_GLOBAL__N_124unique_dim_cuda_templateIfEESt5tupleIJNSF_6TensorESK_SK_EERKSK_lbbbEUlllE0_EEPmJS9_EEE10hipError_tPvRmT3_T4_T5_T6_T7_T9_mT8_P12ihipStream_tbDpT10_ENKUlT_T0_E_clISt17integral_constantIbLb1EES19_IbLb0EEEEDaS15_S16_EUlS15_E_NS1_11comp_targetILNS1_3genE3ELNS1_11target_archE908ELNS1_3gpuE7ELNS1_3repE0EEENS1_30default_config_static_selectorELNS0_4arch9wavefront6targetE0EEEvT1_
; %bb.0:
	.section	.rodata,"a",@progbits
	.p2align	6, 0x0
	.amdhsa_kernel _ZN7rocprim17ROCPRIM_400000_NS6detail17trampoline_kernelINS0_14default_configENS1_25partition_config_selectorILNS1_17partition_subalgoE9EllbEEZZNS1_14partition_implILS5_9ELb0ES3_jPlS8_PNS0_10empty_typeENS0_5tupleIJS8_S9_EEENSB_IJS8_SA_EEENS0_18inequality_wrapperIZN2at6native12_GLOBAL__N_124unique_dim_cuda_templateIfEESt5tupleIJNSF_6TensorESK_SK_EERKSK_lbbbEUlllE0_EEPmJS9_EEE10hipError_tPvRmT3_T4_T5_T6_T7_T9_mT8_P12ihipStream_tbDpT10_ENKUlT_T0_E_clISt17integral_constantIbLb1EES19_IbLb0EEEEDaS15_S16_EUlS15_E_NS1_11comp_targetILNS1_3genE3ELNS1_11target_archE908ELNS1_3gpuE7ELNS1_3repE0EEENS1_30default_config_static_selectorELNS0_4arch9wavefront6targetE0EEEvT1_
		.amdhsa_group_segment_fixed_size 0
		.amdhsa_private_segment_fixed_size 0
		.amdhsa_kernarg_size 120
		.amdhsa_user_sgpr_count 2
		.amdhsa_user_sgpr_dispatch_ptr 0
		.amdhsa_user_sgpr_queue_ptr 0
		.amdhsa_user_sgpr_kernarg_segment_ptr 1
		.amdhsa_user_sgpr_dispatch_id 0
		.amdhsa_user_sgpr_kernarg_preload_length 0
		.amdhsa_user_sgpr_kernarg_preload_offset 0
		.amdhsa_user_sgpr_private_segment_size 0
		.amdhsa_wavefront_size32 1
		.amdhsa_uses_dynamic_stack 0
		.amdhsa_enable_private_segment 0
		.amdhsa_system_sgpr_workgroup_id_x 1
		.amdhsa_system_sgpr_workgroup_id_y 0
		.amdhsa_system_sgpr_workgroup_id_z 0
		.amdhsa_system_sgpr_workgroup_info 0
		.amdhsa_system_vgpr_workitem_id 0
		.amdhsa_next_free_vgpr 1
		.amdhsa_next_free_sgpr 1
		.amdhsa_named_barrier_count 0
		.amdhsa_reserve_vcc 0
		.amdhsa_float_round_mode_32 0
		.amdhsa_float_round_mode_16_64 0
		.amdhsa_float_denorm_mode_32 3
		.amdhsa_float_denorm_mode_16_64 3
		.amdhsa_fp16_overflow 0
		.amdhsa_memory_ordered 1
		.amdhsa_forward_progress 1
		.amdhsa_inst_pref_size 0
		.amdhsa_round_robin_scheduling 0
		.amdhsa_exception_fp_ieee_invalid_op 0
		.amdhsa_exception_fp_denorm_src 0
		.amdhsa_exception_fp_ieee_div_zero 0
		.amdhsa_exception_fp_ieee_overflow 0
		.amdhsa_exception_fp_ieee_underflow 0
		.amdhsa_exception_fp_ieee_inexact 0
		.amdhsa_exception_int_div_zero 0
	.end_amdhsa_kernel
	.section	.text._ZN7rocprim17ROCPRIM_400000_NS6detail17trampoline_kernelINS0_14default_configENS1_25partition_config_selectorILNS1_17partition_subalgoE9EllbEEZZNS1_14partition_implILS5_9ELb0ES3_jPlS8_PNS0_10empty_typeENS0_5tupleIJS8_S9_EEENSB_IJS8_SA_EEENS0_18inequality_wrapperIZN2at6native12_GLOBAL__N_124unique_dim_cuda_templateIfEESt5tupleIJNSF_6TensorESK_SK_EERKSK_lbbbEUlllE0_EEPmJS9_EEE10hipError_tPvRmT3_T4_T5_T6_T7_T9_mT8_P12ihipStream_tbDpT10_ENKUlT_T0_E_clISt17integral_constantIbLb1EES19_IbLb0EEEEDaS15_S16_EUlS15_E_NS1_11comp_targetILNS1_3genE3ELNS1_11target_archE908ELNS1_3gpuE7ELNS1_3repE0EEENS1_30default_config_static_selectorELNS0_4arch9wavefront6targetE0EEEvT1_,"axG",@progbits,_ZN7rocprim17ROCPRIM_400000_NS6detail17trampoline_kernelINS0_14default_configENS1_25partition_config_selectorILNS1_17partition_subalgoE9EllbEEZZNS1_14partition_implILS5_9ELb0ES3_jPlS8_PNS0_10empty_typeENS0_5tupleIJS8_S9_EEENSB_IJS8_SA_EEENS0_18inequality_wrapperIZN2at6native12_GLOBAL__N_124unique_dim_cuda_templateIfEESt5tupleIJNSF_6TensorESK_SK_EERKSK_lbbbEUlllE0_EEPmJS9_EEE10hipError_tPvRmT3_T4_T5_T6_T7_T9_mT8_P12ihipStream_tbDpT10_ENKUlT_T0_E_clISt17integral_constantIbLb1EES19_IbLb0EEEEDaS15_S16_EUlS15_E_NS1_11comp_targetILNS1_3genE3ELNS1_11target_archE908ELNS1_3gpuE7ELNS1_3repE0EEENS1_30default_config_static_selectorELNS0_4arch9wavefront6targetE0EEEvT1_,comdat
.Lfunc_end980:
	.size	_ZN7rocprim17ROCPRIM_400000_NS6detail17trampoline_kernelINS0_14default_configENS1_25partition_config_selectorILNS1_17partition_subalgoE9EllbEEZZNS1_14partition_implILS5_9ELb0ES3_jPlS8_PNS0_10empty_typeENS0_5tupleIJS8_S9_EEENSB_IJS8_SA_EEENS0_18inequality_wrapperIZN2at6native12_GLOBAL__N_124unique_dim_cuda_templateIfEESt5tupleIJNSF_6TensorESK_SK_EERKSK_lbbbEUlllE0_EEPmJS9_EEE10hipError_tPvRmT3_T4_T5_T6_T7_T9_mT8_P12ihipStream_tbDpT10_ENKUlT_T0_E_clISt17integral_constantIbLb1EES19_IbLb0EEEEDaS15_S16_EUlS15_E_NS1_11comp_targetILNS1_3genE3ELNS1_11target_archE908ELNS1_3gpuE7ELNS1_3repE0EEENS1_30default_config_static_selectorELNS0_4arch9wavefront6targetE0EEEvT1_, .Lfunc_end980-_ZN7rocprim17ROCPRIM_400000_NS6detail17trampoline_kernelINS0_14default_configENS1_25partition_config_selectorILNS1_17partition_subalgoE9EllbEEZZNS1_14partition_implILS5_9ELb0ES3_jPlS8_PNS0_10empty_typeENS0_5tupleIJS8_S9_EEENSB_IJS8_SA_EEENS0_18inequality_wrapperIZN2at6native12_GLOBAL__N_124unique_dim_cuda_templateIfEESt5tupleIJNSF_6TensorESK_SK_EERKSK_lbbbEUlllE0_EEPmJS9_EEE10hipError_tPvRmT3_T4_T5_T6_T7_T9_mT8_P12ihipStream_tbDpT10_ENKUlT_T0_E_clISt17integral_constantIbLb1EES19_IbLb0EEEEDaS15_S16_EUlS15_E_NS1_11comp_targetILNS1_3genE3ELNS1_11target_archE908ELNS1_3gpuE7ELNS1_3repE0EEENS1_30default_config_static_selectorELNS0_4arch9wavefront6targetE0EEEvT1_
                                        ; -- End function
	.set _ZN7rocprim17ROCPRIM_400000_NS6detail17trampoline_kernelINS0_14default_configENS1_25partition_config_selectorILNS1_17partition_subalgoE9EllbEEZZNS1_14partition_implILS5_9ELb0ES3_jPlS8_PNS0_10empty_typeENS0_5tupleIJS8_S9_EEENSB_IJS8_SA_EEENS0_18inequality_wrapperIZN2at6native12_GLOBAL__N_124unique_dim_cuda_templateIfEESt5tupleIJNSF_6TensorESK_SK_EERKSK_lbbbEUlllE0_EEPmJS9_EEE10hipError_tPvRmT3_T4_T5_T6_T7_T9_mT8_P12ihipStream_tbDpT10_ENKUlT_T0_E_clISt17integral_constantIbLb1EES19_IbLb0EEEEDaS15_S16_EUlS15_E_NS1_11comp_targetILNS1_3genE3ELNS1_11target_archE908ELNS1_3gpuE7ELNS1_3repE0EEENS1_30default_config_static_selectorELNS0_4arch9wavefront6targetE0EEEvT1_.num_vgpr, 0
	.set _ZN7rocprim17ROCPRIM_400000_NS6detail17trampoline_kernelINS0_14default_configENS1_25partition_config_selectorILNS1_17partition_subalgoE9EllbEEZZNS1_14partition_implILS5_9ELb0ES3_jPlS8_PNS0_10empty_typeENS0_5tupleIJS8_S9_EEENSB_IJS8_SA_EEENS0_18inequality_wrapperIZN2at6native12_GLOBAL__N_124unique_dim_cuda_templateIfEESt5tupleIJNSF_6TensorESK_SK_EERKSK_lbbbEUlllE0_EEPmJS9_EEE10hipError_tPvRmT3_T4_T5_T6_T7_T9_mT8_P12ihipStream_tbDpT10_ENKUlT_T0_E_clISt17integral_constantIbLb1EES19_IbLb0EEEEDaS15_S16_EUlS15_E_NS1_11comp_targetILNS1_3genE3ELNS1_11target_archE908ELNS1_3gpuE7ELNS1_3repE0EEENS1_30default_config_static_selectorELNS0_4arch9wavefront6targetE0EEEvT1_.num_agpr, 0
	.set _ZN7rocprim17ROCPRIM_400000_NS6detail17trampoline_kernelINS0_14default_configENS1_25partition_config_selectorILNS1_17partition_subalgoE9EllbEEZZNS1_14partition_implILS5_9ELb0ES3_jPlS8_PNS0_10empty_typeENS0_5tupleIJS8_S9_EEENSB_IJS8_SA_EEENS0_18inequality_wrapperIZN2at6native12_GLOBAL__N_124unique_dim_cuda_templateIfEESt5tupleIJNSF_6TensorESK_SK_EERKSK_lbbbEUlllE0_EEPmJS9_EEE10hipError_tPvRmT3_T4_T5_T6_T7_T9_mT8_P12ihipStream_tbDpT10_ENKUlT_T0_E_clISt17integral_constantIbLb1EES19_IbLb0EEEEDaS15_S16_EUlS15_E_NS1_11comp_targetILNS1_3genE3ELNS1_11target_archE908ELNS1_3gpuE7ELNS1_3repE0EEENS1_30default_config_static_selectorELNS0_4arch9wavefront6targetE0EEEvT1_.numbered_sgpr, 0
	.set _ZN7rocprim17ROCPRIM_400000_NS6detail17trampoline_kernelINS0_14default_configENS1_25partition_config_selectorILNS1_17partition_subalgoE9EllbEEZZNS1_14partition_implILS5_9ELb0ES3_jPlS8_PNS0_10empty_typeENS0_5tupleIJS8_S9_EEENSB_IJS8_SA_EEENS0_18inequality_wrapperIZN2at6native12_GLOBAL__N_124unique_dim_cuda_templateIfEESt5tupleIJNSF_6TensorESK_SK_EERKSK_lbbbEUlllE0_EEPmJS9_EEE10hipError_tPvRmT3_T4_T5_T6_T7_T9_mT8_P12ihipStream_tbDpT10_ENKUlT_T0_E_clISt17integral_constantIbLb1EES19_IbLb0EEEEDaS15_S16_EUlS15_E_NS1_11comp_targetILNS1_3genE3ELNS1_11target_archE908ELNS1_3gpuE7ELNS1_3repE0EEENS1_30default_config_static_selectorELNS0_4arch9wavefront6targetE0EEEvT1_.num_named_barrier, 0
	.set _ZN7rocprim17ROCPRIM_400000_NS6detail17trampoline_kernelINS0_14default_configENS1_25partition_config_selectorILNS1_17partition_subalgoE9EllbEEZZNS1_14partition_implILS5_9ELb0ES3_jPlS8_PNS0_10empty_typeENS0_5tupleIJS8_S9_EEENSB_IJS8_SA_EEENS0_18inequality_wrapperIZN2at6native12_GLOBAL__N_124unique_dim_cuda_templateIfEESt5tupleIJNSF_6TensorESK_SK_EERKSK_lbbbEUlllE0_EEPmJS9_EEE10hipError_tPvRmT3_T4_T5_T6_T7_T9_mT8_P12ihipStream_tbDpT10_ENKUlT_T0_E_clISt17integral_constantIbLb1EES19_IbLb0EEEEDaS15_S16_EUlS15_E_NS1_11comp_targetILNS1_3genE3ELNS1_11target_archE908ELNS1_3gpuE7ELNS1_3repE0EEENS1_30default_config_static_selectorELNS0_4arch9wavefront6targetE0EEEvT1_.private_seg_size, 0
	.set _ZN7rocprim17ROCPRIM_400000_NS6detail17trampoline_kernelINS0_14default_configENS1_25partition_config_selectorILNS1_17partition_subalgoE9EllbEEZZNS1_14partition_implILS5_9ELb0ES3_jPlS8_PNS0_10empty_typeENS0_5tupleIJS8_S9_EEENSB_IJS8_SA_EEENS0_18inequality_wrapperIZN2at6native12_GLOBAL__N_124unique_dim_cuda_templateIfEESt5tupleIJNSF_6TensorESK_SK_EERKSK_lbbbEUlllE0_EEPmJS9_EEE10hipError_tPvRmT3_T4_T5_T6_T7_T9_mT8_P12ihipStream_tbDpT10_ENKUlT_T0_E_clISt17integral_constantIbLb1EES19_IbLb0EEEEDaS15_S16_EUlS15_E_NS1_11comp_targetILNS1_3genE3ELNS1_11target_archE908ELNS1_3gpuE7ELNS1_3repE0EEENS1_30default_config_static_selectorELNS0_4arch9wavefront6targetE0EEEvT1_.uses_vcc, 0
	.set _ZN7rocprim17ROCPRIM_400000_NS6detail17trampoline_kernelINS0_14default_configENS1_25partition_config_selectorILNS1_17partition_subalgoE9EllbEEZZNS1_14partition_implILS5_9ELb0ES3_jPlS8_PNS0_10empty_typeENS0_5tupleIJS8_S9_EEENSB_IJS8_SA_EEENS0_18inequality_wrapperIZN2at6native12_GLOBAL__N_124unique_dim_cuda_templateIfEESt5tupleIJNSF_6TensorESK_SK_EERKSK_lbbbEUlllE0_EEPmJS9_EEE10hipError_tPvRmT3_T4_T5_T6_T7_T9_mT8_P12ihipStream_tbDpT10_ENKUlT_T0_E_clISt17integral_constantIbLb1EES19_IbLb0EEEEDaS15_S16_EUlS15_E_NS1_11comp_targetILNS1_3genE3ELNS1_11target_archE908ELNS1_3gpuE7ELNS1_3repE0EEENS1_30default_config_static_selectorELNS0_4arch9wavefront6targetE0EEEvT1_.uses_flat_scratch, 0
	.set _ZN7rocprim17ROCPRIM_400000_NS6detail17trampoline_kernelINS0_14default_configENS1_25partition_config_selectorILNS1_17partition_subalgoE9EllbEEZZNS1_14partition_implILS5_9ELb0ES3_jPlS8_PNS0_10empty_typeENS0_5tupleIJS8_S9_EEENSB_IJS8_SA_EEENS0_18inequality_wrapperIZN2at6native12_GLOBAL__N_124unique_dim_cuda_templateIfEESt5tupleIJNSF_6TensorESK_SK_EERKSK_lbbbEUlllE0_EEPmJS9_EEE10hipError_tPvRmT3_T4_T5_T6_T7_T9_mT8_P12ihipStream_tbDpT10_ENKUlT_T0_E_clISt17integral_constantIbLb1EES19_IbLb0EEEEDaS15_S16_EUlS15_E_NS1_11comp_targetILNS1_3genE3ELNS1_11target_archE908ELNS1_3gpuE7ELNS1_3repE0EEENS1_30default_config_static_selectorELNS0_4arch9wavefront6targetE0EEEvT1_.has_dyn_sized_stack, 0
	.set _ZN7rocprim17ROCPRIM_400000_NS6detail17trampoline_kernelINS0_14default_configENS1_25partition_config_selectorILNS1_17partition_subalgoE9EllbEEZZNS1_14partition_implILS5_9ELb0ES3_jPlS8_PNS0_10empty_typeENS0_5tupleIJS8_S9_EEENSB_IJS8_SA_EEENS0_18inequality_wrapperIZN2at6native12_GLOBAL__N_124unique_dim_cuda_templateIfEESt5tupleIJNSF_6TensorESK_SK_EERKSK_lbbbEUlllE0_EEPmJS9_EEE10hipError_tPvRmT3_T4_T5_T6_T7_T9_mT8_P12ihipStream_tbDpT10_ENKUlT_T0_E_clISt17integral_constantIbLb1EES19_IbLb0EEEEDaS15_S16_EUlS15_E_NS1_11comp_targetILNS1_3genE3ELNS1_11target_archE908ELNS1_3gpuE7ELNS1_3repE0EEENS1_30default_config_static_selectorELNS0_4arch9wavefront6targetE0EEEvT1_.has_recursion, 0
	.set _ZN7rocprim17ROCPRIM_400000_NS6detail17trampoline_kernelINS0_14default_configENS1_25partition_config_selectorILNS1_17partition_subalgoE9EllbEEZZNS1_14partition_implILS5_9ELb0ES3_jPlS8_PNS0_10empty_typeENS0_5tupleIJS8_S9_EEENSB_IJS8_SA_EEENS0_18inequality_wrapperIZN2at6native12_GLOBAL__N_124unique_dim_cuda_templateIfEESt5tupleIJNSF_6TensorESK_SK_EERKSK_lbbbEUlllE0_EEPmJS9_EEE10hipError_tPvRmT3_T4_T5_T6_T7_T9_mT8_P12ihipStream_tbDpT10_ENKUlT_T0_E_clISt17integral_constantIbLb1EES19_IbLb0EEEEDaS15_S16_EUlS15_E_NS1_11comp_targetILNS1_3genE3ELNS1_11target_archE908ELNS1_3gpuE7ELNS1_3repE0EEENS1_30default_config_static_selectorELNS0_4arch9wavefront6targetE0EEEvT1_.has_indirect_call, 0
	.section	.AMDGPU.csdata,"",@progbits
; Kernel info:
; codeLenInByte = 0
; TotalNumSgprs: 0
; NumVgprs: 0
; ScratchSize: 0
; MemoryBound: 0
; FloatMode: 240
; IeeeMode: 1
; LDSByteSize: 0 bytes/workgroup (compile time only)
; SGPRBlocks: 0
; VGPRBlocks: 0
; NumSGPRsForWavesPerEU: 1
; NumVGPRsForWavesPerEU: 1
; NamedBarCnt: 0
; Occupancy: 16
; WaveLimiterHint : 0
; COMPUTE_PGM_RSRC2:SCRATCH_EN: 0
; COMPUTE_PGM_RSRC2:USER_SGPR: 2
; COMPUTE_PGM_RSRC2:TRAP_HANDLER: 0
; COMPUTE_PGM_RSRC2:TGID_X_EN: 1
; COMPUTE_PGM_RSRC2:TGID_Y_EN: 0
; COMPUTE_PGM_RSRC2:TGID_Z_EN: 0
; COMPUTE_PGM_RSRC2:TIDIG_COMP_CNT: 0
	.section	.text._ZN7rocprim17ROCPRIM_400000_NS6detail17trampoline_kernelINS0_14default_configENS1_25partition_config_selectorILNS1_17partition_subalgoE9EllbEEZZNS1_14partition_implILS5_9ELb0ES3_jPlS8_PNS0_10empty_typeENS0_5tupleIJS8_S9_EEENSB_IJS8_SA_EEENS0_18inequality_wrapperIZN2at6native12_GLOBAL__N_124unique_dim_cuda_templateIfEESt5tupleIJNSF_6TensorESK_SK_EERKSK_lbbbEUlllE0_EEPmJS9_EEE10hipError_tPvRmT3_T4_T5_T6_T7_T9_mT8_P12ihipStream_tbDpT10_ENKUlT_T0_E_clISt17integral_constantIbLb1EES19_IbLb0EEEEDaS15_S16_EUlS15_E_NS1_11comp_targetILNS1_3genE2ELNS1_11target_archE906ELNS1_3gpuE6ELNS1_3repE0EEENS1_30default_config_static_selectorELNS0_4arch9wavefront6targetE0EEEvT1_,"axG",@progbits,_ZN7rocprim17ROCPRIM_400000_NS6detail17trampoline_kernelINS0_14default_configENS1_25partition_config_selectorILNS1_17partition_subalgoE9EllbEEZZNS1_14partition_implILS5_9ELb0ES3_jPlS8_PNS0_10empty_typeENS0_5tupleIJS8_S9_EEENSB_IJS8_SA_EEENS0_18inequality_wrapperIZN2at6native12_GLOBAL__N_124unique_dim_cuda_templateIfEESt5tupleIJNSF_6TensorESK_SK_EERKSK_lbbbEUlllE0_EEPmJS9_EEE10hipError_tPvRmT3_T4_T5_T6_T7_T9_mT8_P12ihipStream_tbDpT10_ENKUlT_T0_E_clISt17integral_constantIbLb1EES19_IbLb0EEEEDaS15_S16_EUlS15_E_NS1_11comp_targetILNS1_3genE2ELNS1_11target_archE906ELNS1_3gpuE6ELNS1_3repE0EEENS1_30default_config_static_selectorELNS0_4arch9wavefront6targetE0EEEvT1_,comdat
	.globl	_ZN7rocprim17ROCPRIM_400000_NS6detail17trampoline_kernelINS0_14default_configENS1_25partition_config_selectorILNS1_17partition_subalgoE9EllbEEZZNS1_14partition_implILS5_9ELb0ES3_jPlS8_PNS0_10empty_typeENS0_5tupleIJS8_S9_EEENSB_IJS8_SA_EEENS0_18inequality_wrapperIZN2at6native12_GLOBAL__N_124unique_dim_cuda_templateIfEESt5tupleIJNSF_6TensorESK_SK_EERKSK_lbbbEUlllE0_EEPmJS9_EEE10hipError_tPvRmT3_T4_T5_T6_T7_T9_mT8_P12ihipStream_tbDpT10_ENKUlT_T0_E_clISt17integral_constantIbLb1EES19_IbLb0EEEEDaS15_S16_EUlS15_E_NS1_11comp_targetILNS1_3genE2ELNS1_11target_archE906ELNS1_3gpuE6ELNS1_3repE0EEENS1_30default_config_static_selectorELNS0_4arch9wavefront6targetE0EEEvT1_ ; -- Begin function _ZN7rocprim17ROCPRIM_400000_NS6detail17trampoline_kernelINS0_14default_configENS1_25partition_config_selectorILNS1_17partition_subalgoE9EllbEEZZNS1_14partition_implILS5_9ELb0ES3_jPlS8_PNS0_10empty_typeENS0_5tupleIJS8_S9_EEENSB_IJS8_SA_EEENS0_18inequality_wrapperIZN2at6native12_GLOBAL__N_124unique_dim_cuda_templateIfEESt5tupleIJNSF_6TensorESK_SK_EERKSK_lbbbEUlllE0_EEPmJS9_EEE10hipError_tPvRmT3_T4_T5_T6_T7_T9_mT8_P12ihipStream_tbDpT10_ENKUlT_T0_E_clISt17integral_constantIbLb1EES19_IbLb0EEEEDaS15_S16_EUlS15_E_NS1_11comp_targetILNS1_3genE2ELNS1_11target_archE906ELNS1_3gpuE6ELNS1_3repE0EEENS1_30default_config_static_selectorELNS0_4arch9wavefront6targetE0EEEvT1_
	.p2align	8
	.type	_ZN7rocprim17ROCPRIM_400000_NS6detail17trampoline_kernelINS0_14default_configENS1_25partition_config_selectorILNS1_17partition_subalgoE9EllbEEZZNS1_14partition_implILS5_9ELb0ES3_jPlS8_PNS0_10empty_typeENS0_5tupleIJS8_S9_EEENSB_IJS8_SA_EEENS0_18inequality_wrapperIZN2at6native12_GLOBAL__N_124unique_dim_cuda_templateIfEESt5tupleIJNSF_6TensorESK_SK_EERKSK_lbbbEUlllE0_EEPmJS9_EEE10hipError_tPvRmT3_T4_T5_T6_T7_T9_mT8_P12ihipStream_tbDpT10_ENKUlT_T0_E_clISt17integral_constantIbLb1EES19_IbLb0EEEEDaS15_S16_EUlS15_E_NS1_11comp_targetILNS1_3genE2ELNS1_11target_archE906ELNS1_3gpuE6ELNS1_3repE0EEENS1_30default_config_static_selectorELNS0_4arch9wavefront6targetE0EEEvT1_,@function
_ZN7rocprim17ROCPRIM_400000_NS6detail17trampoline_kernelINS0_14default_configENS1_25partition_config_selectorILNS1_17partition_subalgoE9EllbEEZZNS1_14partition_implILS5_9ELb0ES3_jPlS8_PNS0_10empty_typeENS0_5tupleIJS8_S9_EEENSB_IJS8_SA_EEENS0_18inequality_wrapperIZN2at6native12_GLOBAL__N_124unique_dim_cuda_templateIfEESt5tupleIJNSF_6TensorESK_SK_EERKSK_lbbbEUlllE0_EEPmJS9_EEE10hipError_tPvRmT3_T4_T5_T6_T7_T9_mT8_P12ihipStream_tbDpT10_ENKUlT_T0_E_clISt17integral_constantIbLb1EES19_IbLb0EEEEDaS15_S16_EUlS15_E_NS1_11comp_targetILNS1_3genE2ELNS1_11target_archE906ELNS1_3gpuE6ELNS1_3repE0EEENS1_30default_config_static_selectorELNS0_4arch9wavefront6targetE0EEEvT1_: ; @_ZN7rocprim17ROCPRIM_400000_NS6detail17trampoline_kernelINS0_14default_configENS1_25partition_config_selectorILNS1_17partition_subalgoE9EllbEEZZNS1_14partition_implILS5_9ELb0ES3_jPlS8_PNS0_10empty_typeENS0_5tupleIJS8_S9_EEENSB_IJS8_SA_EEENS0_18inequality_wrapperIZN2at6native12_GLOBAL__N_124unique_dim_cuda_templateIfEESt5tupleIJNSF_6TensorESK_SK_EERKSK_lbbbEUlllE0_EEPmJS9_EEE10hipError_tPvRmT3_T4_T5_T6_T7_T9_mT8_P12ihipStream_tbDpT10_ENKUlT_T0_E_clISt17integral_constantIbLb1EES19_IbLb0EEEEDaS15_S16_EUlS15_E_NS1_11comp_targetILNS1_3genE2ELNS1_11target_archE906ELNS1_3gpuE6ELNS1_3repE0EEENS1_30default_config_static_selectorELNS0_4arch9wavefront6targetE0EEEvT1_
; %bb.0:
	.section	.rodata,"a",@progbits
	.p2align	6, 0x0
	.amdhsa_kernel _ZN7rocprim17ROCPRIM_400000_NS6detail17trampoline_kernelINS0_14default_configENS1_25partition_config_selectorILNS1_17partition_subalgoE9EllbEEZZNS1_14partition_implILS5_9ELb0ES3_jPlS8_PNS0_10empty_typeENS0_5tupleIJS8_S9_EEENSB_IJS8_SA_EEENS0_18inequality_wrapperIZN2at6native12_GLOBAL__N_124unique_dim_cuda_templateIfEESt5tupleIJNSF_6TensorESK_SK_EERKSK_lbbbEUlllE0_EEPmJS9_EEE10hipError_tPvRmT3_T4_T5_T6_T7_T9_mT8_P12ihipStream_tbDpT10_ENKUlT_T0_E_clISt17integral_constantIbLb1EES19_IbLb0EEEEDaS15_S16_EUlS15_E_NS1_11comp_targetILNS1_3genE2ELNS1_11target_archE906ELNS1_3gpuE6ELNS1_3repE0EEENS1_30default_config_static_selectorELNS0_4arch9wavefront6targetE0EEEvT1_
		.amdhsa_group_segment_fixed_size 0
		.amdhsa_private_segment_fixed_size 0
		.amdhsa_kernarg_size 120
		.amdhsa_user_sgpr_count 2
		.amdhsa_user_sgpr_dispatch_ptr 0
		.amdhsa_user_sgpr_queue_ptr 0
		.amdhsa_user_sgpr_kernarg_segment_ptr 1
		.amdhsa_user_sgpr_dispatch_id 0
		.amdhsa_user_sgpr_kernarg_preload_length 0
		.amdhsa_user_sgpr_kernarg_preload_offset 0
		.amdhsa_user_sgpr_private_segment_size 0
		.amdhsa_wavefront_size32 1
		.amdhsa_uses_dynamic_stack 0
		.amdhsa_enable_private_segment 0
		.amdhsa_system_sgpr_workgroup_id_x 1
		.amdhsa_system_sgpr_workgroup_id_y 0
		.amdhsa_system_sgpr_workgroup_id_z 0
		.amdhsa_system_sgpr_workgroup_info 0
		.amdhsa_system_vgpr_workitem_id 0
		.amdhsa_next_free_vgpr 1
		.amdhsa_next_free_sgpr 1
		.amdhsa_named_barrier_count 0
		.amdhsa_reserve_vcc 0
		.amdhsa_float_round_mode_32 0
		.amdhsa_float_round_mode_16_64 0
		.amdhsa_float_denorm_mode_32 3
		.amdhsa_float_denorm_mode_16_64 3
		.amdhsa_fp16_overflow 0
		.amdhsa_memory_ordered 1
		.amdhsa_forward_progress 1
		.amdhsa_inst_pref_size 0
		.amdhsa_round_robin_scheduling 0
		.amdhsa_exception_fp_ieee_invalid_op 0
		.amdhsa_exception_fp_denorm_src 0
		.amdhsa_exception_fp_ieee_div_zero 0
		.amdhsa_exception_fp_ieee_overflow 0
		.amdhsa_exception_fp_ieee_underflow 0
		.amdhsa_exception_fp_ieee_inexact 0
		.amdhsa_exception_int_div_zero 0
	.end_amdhsa_kernel
	.section	.text._ZN7rocprim17ROCPRIM_400000_NS6detail17trampoline_kernelINS0_14default_configENS1_25partition_config_selectorILNS1_17partition_subalgoE9EllbEEZZNS1_14partition_implILS5_9ELb0ES3_jPlS8_PNS0_10empty_typeENS0_5tupleIJS8_S9_EEENSB_IJS8_SA_EEENS0_18inequality_wrapperIZN2at6native12_GLOBAL__N_124unique_dim_cuda_templateIfEESt5tupleIJNSF_6TensorESK_SK_EERKSK_lbbbEUlllE0_EEPmJS9_EEE10hipError_tPvRmT3_T4_T5_T6_T7_T9_mT8_P12ihipStream_tbDpT10_ENKUlT_T0_E_clISt17integral_constantIbLb1EES19_IbLb0EEEEDaS15_S16_EUlS15_E_NS1_11comp_targetILNS1_3genE2ELNS1_11target_archE906ELNS1_3gpuE6ELNS1_3repE0EEENS1_30default_config_static_selectorELNS0_4arch9wavefront6targetE0EEEvT1_,"axG",@progbits,_ZN7rocprim17ROCPRIM_400000_NS6detail17trampoline_kernelINS0_14default_configENS1_25partition_config_selectorILNS1_17partition_subalgoE9EllbEEZZNS1_14partition_implILS5_9ELb0ES3_jPlS8_PNS0_10empty_typeENS0_5tupleIJS8_S9_EEENSB_IJS8_SA_EEENS0_18inequality_wrapperIZN2at6native12_GLOBAL__N_124unique_dim_cuda_templateIfEESt5tupleIJNSF_6TensorESK_SK_EERKSK_lbbbEUlllE0_EEPmJS9_EEE10hipError_tPvRmT3_T4_T5_T6_T7_T9_mT8_P12ihipStream_tbDpT10_ENKUlT_T0_E_clISt17integral_constantIbLb1EES19_IbLb0EEEEDaS15_S16_EUlS15_E_NS1_11comp_targetILNS1_3genE2ELNS1_11target_archE906ELNS1_3gpuE6ELNS1_3repE0EEENS1_30default_config_static_selectorELNS0_4arch9wavefront6targetE0EEEvT1_,comdat
.Lfunc_end981:
	.size	_ZN7rocprim17ROCPRIM_400000_NS6detail17trampoline_kernelINS0_14default_configENS1_25partition_config_selectorILNS1_17partition_subalgoE9EllbEEZZNS1_14partition_implILS5_9ELb0ES3_jPlS8_PNS0_10empty_typeENS0_5tupleIJS8_S9_EEENSB_IJS8_SA_EEENS0_18inequality_wrapperIZN2at6native12_GLOBAL__N_124unique_dim_cuda_templateIfEESt5tupleIJNSF_6TensorESK_SK_EERKSK_lbbbEUlllE0_EEPmJS9_EEE10hipError_tPvRmT3_T4_T5_T6_T7_T9_mT8_P12ihipStream_tbDpT10_ENKUlT_T0_E_clISt17integral_constantIbLb1EES19_IbLb0EEEEDaS15_S16_EUlS15_E_NS1_11comp_targetILNS1_3genE2ELNS1_11target_archE906ELNS1_3gpuE6ELNS1_3repE0EEENS1_30default_config_static_selectorELNS0_4arch9wavefront6targetE0EEEvT1_, .Lfunc_end981-_ZN7rocprim17ROCPRIM_400000_NS6detail17trampoline_kernelINS0_14default_configENS1_25partition_config_selectorILNS1_17partition_subalgoE9EllbEEZZNS1_14partition_implILS5_9ELb0ES3_jPlS8_PNS0_10empty_typeENS0_5tupleIJS8_S9_EEENSB_IJS8_SA_EEENS0_18inequality_wrapperIZN2at6native12_GLOBAL__N_124unique_dim_cuda_templateIfEESt5tupleIJNSF_6TensorESK_SK_EERKSK_lbbbEUlllE0_EEPmJS9_EEE10hipError_tPvRmT3_T4_T5_T6_T7_T9_mT8_P12ihipStream_tbDpT10_ENKUlT_T0_E_clISt17integral_constantIbLb1EES19_IbLb0EEEEDaS15_S16_EUlS15_E_NS1_11comp_targetILNS1_3genE2ELNS1_11target_archE906ELNS1_3gpuE6ELNS1_3repE0EEENS1_30default_config_static_selectorELNS0_4arch9wavefront6targetE0EEEvT1_
                                        ; -- End function
	.set _ZN7rocprim17ROCPRIM_400000_NS6detail17trampoline_kernelINS0_14default_configENS1_25partition_config_selectorILNS1_17partition_subalgoE9EllbEEZZNS1_14partition_implILS5_9ELb0ES3_jPlS8_PNS0_10empty_typeENS0_5tupleIJS8_S9_EEENSB_IJS8_SA_EEENS0_18inequality_wrapperIZN2at6native12_GLOBAL__N_124unique_dim_cuda_templateIfEESt5tupleIJNSF_6TensorESK_SK_EERKSK_lbbbEUlllE0_EEPmJS9_EEE10hipError_tPvRmT3_T4_T5_T6_T7_T9_mT8_P12ihipStream_tbDpT10_ENKUlT_T0_E_clISt17integral_constantIbLb1EES19_IbLb0EEEEDaS15_S16_EUlS15_E_NS1_11comp_targetILNS1_3genE2ELNS1_11target_archE906ELNS1_3gpuE6ELNS1_3repE0EEENS1_30default_config_static_selectorELNS0_4arch9wavefront6targetE0EEEvT1_.num_vgpr, 0
	.set _ZN7rocprim17ROCPRIM_400000_NS6detail17trampoline_kernelINS0_14default_configENS1_25partition_config_selectorILNS1_17partition_subalgoE9EllbEEZZNS1_14partition_implILS5_9ELb0ES3_jPlS8_PNS0_10empty_typeENS0_5tupleIJS8_S9_EEENSB_IJS8_SA_EEENS0_18inequality_wrapperIZN2at6native12_GLOBAL__N_124unique_dim_cuda_templateIfEESt5tupleIJNSF_6TensorESK_SK_EERKSK_lbbbEUlllE0_EEPmJS9_EEE10hipError_tPvRmT3_T4_T5_T6_T7_T9_mT8_P12ihipStream_tbDpT10_ENKUlT_T0_E_clISt17integral_constantIbLb1EES19_IbLb0EEEEDaS15_S16_EUlS15_E_NS1_11comp_targetILNS1_3genE2ELNS1_11target_archE906ELNS1_3gpuE6ELNS1_3repE0EEENS1_30default_config_static_selectorELNS0_4arch9wavefront6targetE0EEEvT1_.num_agpr, 0
	.set _ZN7rocprim17ROCPRIM_400000_NS6detail17trampoline_kernelINS0_14default_configENS1_25partition_config_selectorILNS1_17partition_subalgoE9EllbEEZZNS1_14partition_implILS5_9ELb0ES3_jPlS8_PNS0_10empty_typeENS0_5tupleIJS8_S9_EEENSB_IJS8_SA_EEENS0_18inequality_wrapperIZN2at6native12_GLOBAL__N_124unique_dim_cuda_templateIfEESt5tupleIJNSF_6TensorESK_SK_EERKSK_lbbbEUlllE0_EEPmJS9_EEE10hipError_tPvRmT3_T4_T5_T6_T7_T9_mT8_P12ihipStream_tbDpT10_ENKUlT_T0_E_clISt17integral_constantIbLb1EES19_IbLb0EEEEDaS15_S16_EUlS15_E_NS1_11comp_targetILNS1_3genE2ELNS1_11target_archE906ELNS1_3gpuE6ELNS1_3repE0EEENS1_30default_config_static_selectorELNS0_4arch9wavefront6targetE0EEEvT1_.numbered_sgpr, 0
	.set _ZN7rocprim17ROCPRIM_400000_NS6detail17trampoline_kernelINS0_14default_configENS1_25partition_config_selectorILNS1_17partition_subalgoE9EllbEEZZNS1_14partition_implILS5_9ELb0ES3_jPlS8_PNS0_10empty_typeENS0_5tupleIJS8_S9_EEENSB_IJS8_SA_EEENS0_18inequality_wrapperIZN2at6native12_GLOBAL__N_124unique_dim_cuda_templateIfEESt5tupleIJNSF_6TensorESK_SK_EERKSK_lbbbEUlllE0_EEPmJS9_EEE10hipError_tPvRmT3_T4_T5_T6_T7_T9_mT8_P12ihipStream_tbDpT10_ENKUlT_T0_E_clISt17integral_constantIbLb1EES19_IbLb0EEEEDaS15_S16_EUlS15_E_NS1_11comp_targetILNS1_3genE2ELNS1_11target_archE906ELNS1_3gpuE6ELNS1_3repE0EEENS1_30default_config_static_selectorELNS0_4arch9wavefront6targetE0EEEvT1_.num_named_barrier, 0
	.set _ZN7rocprim17ROCPRIM_400000_NS6detail17trampoline_kernelINS0_14default_configENS1_25partition_config_selectorILNS1_17partition_subalgoE9EllbEEZZNS1_14partition_implILS5_9ELb0ES3_jPlS8_PNS0_10empty_typeENS0_5tupleIJS8_S9_EEENSB_IJS8_SA_EEENS0_18inequality_wrapperIZN2at6native12_GLOBAL__N_124unique_dim_cuda_templateIfEESt5tupleIJNSF_6TensorESK_SK_EERKSK_lbbbEUlllE0_EEPmJS9_EEE10hipError_tPvRmT3_T4_T5_T6_T7_T9_mT8_P12ihipStream_tbDpT10_ENKUlT_T0_E_clISt17integral_constantIbLb1EES19_IbLb0EEEEDaS15_S16_EUlS15_E_NS1_11comp_targetILNS1_3genE2ELNS1_11target_archE906ELNS1_3gpuE6ELNS1_3repE0EEENS1_30default_config_static_selectorELNS0_4arch9wavefront6targetE0EEEvT1_.private_seg_size, 0
	.set _ZN7rocprim17ROCPRIM_400000_NS6detail17trampoline_kernelINS0_14default_configENS1_25partition_config_selectorILNS1_17partition_subalgoE9EllbEEZZNS1_14partition_implILS5_9ELb0ES3_jPlS8_PNS0_10empty_typeENS0_5tupleIJS8_S9_EEENSB_IJS8_SA_EEENS0_18inequality_wrapperIZN2at6native12_GLOBAL__N_124unique_dim_cuda_templateIfEESt5tupleIJNSF_6TensorESK_SK_EERKSK_lbbbEUlllE0_EEPmJS9_EEE10hipError_tPvRmT3_T4_T5_T6_T7_T9_mT8_P12ihipStream_tbDpT10_ENKUlT_T0_E_clISt17integral_constantIbLb1EES19_IbLb0EEEEDaS15_S16_EUlS15_E_NS1_11comp_targetILNS1_3genE2ELNS1_11target_archE906ELNS1_3gpuE6ELNS1_3repE0EEENS1_30default_config_static_selectorELNS0_4arch9wavefront6targetE0EEEvT1_.uses_vcc, 0
	.set _ZN7rocprim17ROCPRIM_400000_NS6detail17trampoline_kernelINS0_14default_configENS1_25partition_config_selectorILNS1_17partition_subalgoE9EllbEEZZNS1_14partition_implILS5_9ELb0ES3_jPlS8_PNS0_10empty_typeENS0_5tupleIJS8_S9_EEENSB_IJS8_SA_EEENS0_18inequality_wrapperIZN2at6native12_GLOBAL__N_124unique_dim_cuda_templateIfEESt5tupleIJNSF_6TensorESK_SK_EERKSK_lbbbEUlllE0_EEPmJS9_EEE10hipError_tPvRmT3_T4_T5_T6_T7_T9_mT8_P12ihipStream_tbDpT10_ENKUlT_T0_E_clISt17integral_constantIbLb1EES19_IbLb0EEEEDaS15_S16_EUlS15_E_NS1_11comp_targetILNS1_3genE2ELNS1_11target_archE906ELNS1_3gpuE6ELNS1_3repE0EEENS1_30default_config_static_selectorELNS0_4arch9wavefront6targetE0EEEvT1_.uses_flat_scratch, 0
	.set _ZN7rocprim17ROCPRIM_400000_NS6detail17trampoline_kernelINS0_14default_configENS1_25partition_config_selectorILNS1_17partition_subalgoE9EllbEEZZNS1_14partition_implILS5_9ELb0ES3_jPlS8_PNS0_10empty_typeENS0_5tupleIJS8_S9_EEENSB_IJS8_SA_EEENS0_18inequality_wrapperIZN2at6native12_GLOBAL__N_124unique_dim_cuda_templateIfEESt5tupleIJNSF_6TensorESK_SK_EERKSK_lbbbEUlllE0_EEPmJS9_EEE10hipError_tPvRmT3_T4_T5_T6_T7_T9_mT8_P12ihipStream_tbDpT10_ENKUlT_T0_E_clISt17integral_constantIbLb1EES19_IbLb0EEEEDaS15_S16_EUlS15_E_NS1_11comp_targetILNS1_3genE2ELNS1_11target_archE906ELNS1_3gpuE6ELNS1_3repE0EEENS1_30default_config_static_selectorELNS0_4arch9wavefront6targetE0EEEvT1_.has_dyn_sized_stack, 0
	.set _ZN7rocprim17ROCPRIM_400000_NS6detail17trampoline_kernelINS0_14default_configENS1_25partition_config_selectorILNS1_17partition_subalgoE9EllbEEZZNS1_14partition_implILS5_9ELb0ES3_jPlS8_PNS0_10empty_typeENS0_5tupleIJS8_S9_EEENSB_IJS8_SA_EEENS0_18inequality_wrapperIZN2at6native12_GLOBAL__N_124unique_dim_cuda_templateIfEESt5tupleIJNSF_6TensorESK_SK_EERKSK_lbbbEUlllE0_EEPmJS9_EEE10hipError_tPvRmT3_T4_T5_T6_T7_T9_mT8_P12ihipStream_tbDpT10_ENKUlT_T0_E_clISt17integral_constantIbLb1EES19_IbLb0EEEEDaS15_S16_EUlS15_E_NS1_11comp_targetILNS1_3genE2ELNS1_11target_archE906ELNS1_3gpuE6ELNS1_3repE0EEENS1_30default_config_static_selectorELNS0_4arch9wavefront6targetE0EEEvT1_.has_recursion, 0
	.set _ZN7rocprim17ROCPRIM_400000_NS6detail17trampoline_kernelINS0_14default_configENS1_25partition_config_selectorILNS1_17partition_subalgoE9EllbEEZZNS1_14partition_implILS5_9ELb0ES3_jPlS8_PNS0_10empty_typeENS0_5tupleIJS8_S9_EEENSB_IJS8_SA_EEENS0_18inequality_wrapperIZN2at6native12_GLOBAL__N_124unique_dim_cuda_templateIfEESt5tupleIJNSF_6TensorESK_SK_EERKSK_lbbbEUlllE0_EEPmJS9_EEE10hipError_tPvRmT3_T4_T5_T6_T7_T9_mT8_P12ihipStream_tbDpT10_ENKUlT_T0_E_clISt17integral_constantIbLb1EES19_IbLb0EEEEDaS15_S16_EUlS15_E_NS1_11comp_targetILNS1_3genE2ELNS1_11target_archE906ELNS1_3gpuE6ELNS1_3repE0EEENS1_30default_config_static_selectorELNS0_4arch9wavefront6targetE0EEEvT1_.has_indirect_call, 0
	.section	.AMDGPU.csdata,"",@progbits
; Kernel info:
; codeLenInByte = 0
; TotalNumSgprs: 0
; NumVgprs: 0
; ScratchSize: 0
; MemoryBound: 0
; FloatMode: 240
; IeeeMode: 1
; LDSByteSize: 0 bytes/workgroup (compile time only)
; SGPRBlocks: 0
; VGPRBlocks: 0
; NumSGPRsForWavesPerEU: 1
; NumVGPRsForWavesPerEU: 1
; NamedBarCnt: 0
; Occupancy: 16
; WaveLimiterHint : 0
; COMPUTE_PGM_RSRC2:SCRATCH_EN: 0
; COMPUTE_PGM_RSRC2:USER_SGPR: 2
; COMPUTE_PGM_RSRC2:TRAP_HANDLER: 0
; COMPUTE_PGM_RSRC2:TGID_X_EN: 1
; COMPUTE_PGM_RSRC2:TGID_Y_EN: 0
; COMPUTE_PGM_RSRC2:TGID_Z_EN: 0
; COMPUTE_PGM_RSRC2:TIDIG_COMP_CNT: 0
	.section	.text._ZN7rocprim17ROCPRIM_400000_NS6detail17trampoline_kernelINS0_14default_configENS1_25partition_config_selectorILNS1_17partition_subalgoE9EllbEEZZNS1_14partition_implILS5_9ELb0ES3_jPlS8_PNS0_10empty_typeENS0_5tupleIJS8_S9_EEENSB_IJS8_SA_EEENS0_18inequality_wrapperIZN2at6native12_GLOBAL__N_124unique_dim_cuda_templateIfEESt5tupleIJNSF_6TensorESK_SK_EERKSK_lbbbEUlllE0_EEPmJS9_EEE10hipError_tPvRmT3_T4_T5_T6_T7_T9_mT8_P12ihipStream_tbDpT10_ENKUlT_T0_E_clISt17integral_constantIbLb1EES19_IbLb0EEEEDaS15_S16_EUlS15_E_NS1_11comp_targetILNS1_3genE10ELNS1_11target_archE1200ELNS1_3gpuE4ELNS1_3repE0EEENS1_30default_config_static_selectorELNS0_4arch9wavefront6targetE0EEEvT1_,"axG",@progbits,_ZN7rocprim17ROCPRIM_400000_NS6detail17trampoline_kernelINS0_14default_configENS1_25partition_config_selectorILNS1_17partition_subalgoE9EllbEEZZNS1_14partition_implILS5_9ELb0ES3_jPlS8_PNS0_10empty_typeENS0_5tupleIJS8_S9_EEENSB_IJS8_SA_EEENS0_18inequality_wrapperIZN2at6native12_GLOBAL__N_124unique_dim_cuda_templateIfEESt5tupleIJNSF_6TensorESK_SK_EERKSK_lbbbEUlllE0_EEPmJS9_EEE10hipError_tPvRmT3_T4_T5_T6_T7_T9_mT8_P12ihipStream_tbDpT10_ENKUlT_T0_E_clISt17integral_constantIbLb1EES19_IbLb0EEEEDaS15_S16_EUlS15_E_NS1_11comp_targetILNS1_3genE10ELNS1_11target_archE1200ELNS1_3gpuE4ELNS1_3repE0EEENS1_30default_config_static_selectorELNS0_4arch9wavefront6targetE0EEEvT1_,comdat
	.globl	_ZN7rocprim17ROCPRIM_400000_NS6detail17trampoline_kernelINS0_14default_configENS1_25partition_config_selectorILNS1_17partition_subalgoE9EllbEEZZNS1_14partition_implILS5_9ELb0ES3_jPlS8_PNS0_10empty_typeENS0_5tupleIJS8_S9_EEENSB_IJS8_SA_EEENS0_18inequality_wrapperIZN2at6native12_GLOBAL__N_124unique_dim_cuda_templateIfEESt5tupleIJNSF_6TensorESK_SK_EERKSK_lbbbEUlllE0_EEPmJS9_EEE10hipError_tPvRmT3_T4_T5_T6_T7_T9_mT8_P12ihipStream_tbDpT10_ENKUlT_T0_E_clISt17integral_constantIbLb1EES19_IbLb0EEEEDaS15_S16_EUlS15_E_NS1_11comp_targetILNS1_3genE10ELNS1_11target_archE1200ELNS1_3gpuE4ELNS1_3repE0EEENS1_30default_config_static_selectorELNS0_4arch9wavefront6targetE0EEEvT1_ ; -- Begin function _ZN7rocprim17ROCPRIM_400000_NS6detail17trampoline_kernelINS0_14default_configENS1_25partition_config_selectorILNS1_17partition_subalgoE9EllbEEZZNS1_14partition_implILS5_9ELb0ES3_jPlS8_PNS0_10empty_typeENS0_5tupleIJS8_S9_EEENSB_IJS8_SA_EEENS0_18inequality_wrapperIZN2at6native12_GLOBAL__N_124unique_dim_cuda_templateIfEESt5tupleIJNSF_6TensorESK_SK_EERKSK_lbbbEUlllE0_EEPmJS9_EEE10hipError_tPvRmT3_T4_T5_T6_T7_T9_mT8_P12ihipStream_tbDpT10_ENKUlT_T0_E_clISt17integral_constantIbLb1EES19_IbLb0EEEEDaS15_S16_EUlS15_E_NS1_11comp_targetILNS1_3genE10ELNS1_11target_archE1200ELNS1_3gpuE4ELNS1_3repE0EEENS1_30default_config_static_selectorELNS0_4arch9wavefront6targetE0EEEvT1_
	.p2align	8
	.type	_ZN7rocprim17ROCPRIM_400000_NS6detail17trampoline_kernelINS0_14default_configENS1_25partition_config_selectorILNS1_17partition_subalgoE9EllbEEZZNS1_14partition_implILS5_9ELb0ES3_jPlS8_PNS0_10empty_typeENS0_5tupleIJS8_S9_EEENSB_IJS8_SA_EEENS0_18inequality_wrapperIZN2at6native12_GLOBAL__N_124unique_dim_cuda_templateIfEESt5tupleIJNSF_6TensorESK_SK_EERKSK_lbbbEUlllE0_EEPmJS9_EEE10hipError_tPvRmT3_T4_T5_T6_T7_T9_mT8_P12ihipStream_tbDpT10_ENKUlT_T0_E_clISt17integral_constantIbLb1EES19_IbLb0EEEEDaS15_S16_EUlS15_E_NS1_11comp_targetILNS1_3genE10ELNS1_11target_archE1200ELNS1_3gpuE4ELNS1_3repE0EEENS1_30default_config_static_selectorELNS0_4arch9wavefront6targetE0EEEvT1_,@function
_ZN7rocprim17ROCPRIM_400000_NS6detail17trampoline_kernelINS0_14default_configENS1_25partition_config_selectorILNS1_17partition_subalgoE9EllbEEZZNS1_14partition_implILS5_9ELb0ES3_jPlS8_PNS0_10empty_typeENS0_5tupleIJS8_S9_EEENSB_IJS8_SA_EEENS0_18inequality_wrapperIZN2at6native12_GLOBAL__N_124unique_dim_cuda_templateIfEESt5tupleIJNSF_6TensorESK_SK_EERKSK_lbbbEUlllE0_EEPmJS9_EEE10hipError_tPvRmT3_T4_T5_T6_T7_T9_mT8_P12ihipStream_tbDpT10_ENKUlT_T0_E_clISt17integral_constantIbLb1EES19_IbLb0EEEEDaS15_S16_EUlS15_E_NS1_11comp_targetILNS1_3genE10ELNS1_11target_archE1200ELNS1_3gpuE4ELNS1_3repE0EEENS1_30default_config_static_selectorELNS0_4arch9wavefront6targetE0EEEvT1_: ; @_ZN7rocprim17ROCPRIM_400000_NS6detail17trampoline_kernelINS0_14default_configENS1_25partition_config_selectorILNS1_17partition_subalgoE9EllbEEZZNS1_14partition_implILS5_9ELb0ES3_jPlS8_PNS0_10empty_typeENS0_5tupleIJS8_S9_EEENSB_IJS8_SA_EEENS0_18inequality_wrapperIZN2at6native12_GLOBAL__N_124unique_dim_cuda_templateIfEESt5tupleIJNSF_6TensorESK_SK_EERKSK_lbbbEUlllE0_EEPmJS9_EEE10hipError_tPvRmT3_T4_T5_T6_T7_T9_mT8_P12ihipStream_tbDpT10_ENKUlT_T0_E_clISt17integral_constantIbLb1EES19_IbLb0EEEEDaS15_S16_EUlS15_E_NS1_11comp_targetILNS1_3genE10ELNS1_11target_archE1200ELNS1_3gpuE4ELNS1_3repE0EEENS1_30default_config_static_selectorELNS0_4arch9wavefront6targetE0EEEvT1_
; %bb.0:
	.section	.rodata,"a",@progbits
	.p2align	6, 0x0
	.amdhsa_kernel _ZN7rocprim17ROCPRIM_400000_NS6detail17trampoline_kernelINS0_14default_configENS1_25partition_config_selectorILNS1_17partition_subalgoE9EllbEEZZNS1_14partition_implILS5_9ELb0ES3_jPlS8_PNS0_10empty_typeENS0_5tupleIJS8_S9_EEENSB_IJS8_SA_EEENS0_18inequality_wrapperIZN2at6native12_GLOBAL__N_124unique_dim_cuda_templateIfEESt5tupleIJNSF_6TensorESK_SK_EERKSK_lbbbEUlllE0_EEPmJS9_EEE10hipError_tPvRmT3_T4_T5_T6_T7_T9_mT8_P12ihipStream_tbDpT10_ENKUlT_T0_E_clISt17integral_constantIbLb1EES19_IbLb0EEEEDaS15_S16_EUlS15_E_NS1_11comp_targetILNS1_3genE10ELNS1_11target_archE1200ELNS1_3gpuE4ELNS1_3repE0EEENS1_30default_config_static_selectorELNS0_4arch9wavefront6targetE0EEEvT1_
		.amdhsa_group_segment_fixed_size 0
		.amdhsa_private_segment_fixed_size 0
		.amdhsa_kernarg_size 120
		.amdhsa_user_sgpr_count 2
		.amdhsa_user_sgpr_dispatch_ptr 0
		.amdhsa_user_sgpr_queue_ptr 0
		.amdhsa_user_sgpr_kernarg_segment_ptr 1
		.amdhsa_user_sgpr_dispatch_id 0
		.amdhsa_user_sgpr_kernarg_preload_length 0
		.amdhsa_user_sgpr_kernarg_preload_offset 0
		.amdhsa_user_sgpr_private_segment_size 0
		.amdhsa_wavefront_size32 1
		.amdhsa_uses_dynamic_stack 0
		.amdhsa_enable_private_segment 0
		.amdhsa_system_sgpr_workgroup_id_x 1
		.amdhsa_system_sgpr_workgroup_id_y 0
		.amdhsa_system_sgpr_workgroup_id_z 0
		.amdhsa_system_sgpr_workgroup_info 0
		.amdhsa_system_vgpr_workitem_id 0
		.amdhsa_next_free_vgpr 1
		.amdhsa_next_free_sgpr 1
		.amdhsa_named_barrier_count 0
		.amdhsa_reserve_vcc 0
		.amdhsa_float_round_mode_32 0
		.amdhsa_float_round_mode_16_64 0
		.amdhsa_float_denorm_mode_32 3
		.amdhsa_float_denorm_mode_16_64 3
		.amdhsa_fp16_overflow 0
		.amdhsa_memory_ordered 1
		.amdhsa_forward_progress 1
		.amdhsa_inst_pref_size 0
		.amdhsa_round_robin_scheduling 0
		.amdhsa_exception_fp_ieee_invalid_op 0
		.amdhsa_exception_fp_denorm_src 0
		.amdhsa_exception_fp_ieee_div_zero 0
		.amdhsa_exception_fp_ieee_overflow 0
		.amdhsa_exception_fp_ieee_underflow 0
		.amdhsa_exception_fp_ieee_inexact 0
		.amdhsa_exception_int_div_zero 0
	.end_amdhsa_kernel
	.section	.text._ZN7rocprim17ROCPRIM_400000_NS6detail17trampoline_kernelINS0_14default_configENS1_25partition_config_selectorILNS1_17partition_subalgoE9EllbEEZZNS1_14partition_implILS5_9ELb0ES3_jPlS8_PNS0_10empty_typeENS0_5tupleIJS8_S9_EEENSB_IJS8_SA_EEENS0_18inequality_wrapperIZN2at6native12_GLOBAL__N_124unique_dim_cuda_templateIfEESt5tupleIJNSF_6TensorESK_SK_EERKSK_lbbbEUlllE0_EEPmJS9_EEE10hipError_tPvRmT3_T4_T5_T6_T7_T9_mT8_P12ihipStream_tbDpT10_ENKUlT_T0_E_clISt17integral_constantIbLb1EES19_IbLb0EEEEDaS15_S16_EUlS15_E_NS1_11comp_targetILNS1_3genE10ELNS1_11target_archE1200ELNS1_3gpuE4ELNS1_3repE0EEENS1_30default_config_static_selectorELNS0_4arch9wavefront6targetE0EEEvT1_,"axG",@progbits,_ZN7rocprim17ROCPRIM_400000_NS6detail17trampoline_kernelINS0_14default_configENS1_25partition_config_selectorILNS1_17partition_subalgoE9EllbEEZZNS1_14partition_implILS5_9ELb0ES3_jPlS8_PNS0_10empty_typeENS0_5tupleIJS8_S9_EEENSB_IJS8_SA_EEENS0_18inequality_wrapperIZN2at6native12_GLOBAL__N_124unique_dim_cuda_templateIfEESt5tupleIJNSF_6TensorESK_SK_EERKSK_lbbbEUlllE0_EEPmJS9_EEE10hipError_tPvRmT3_T4_T5_T6_T7_T9_mT8_P12ihipStream_tbDpT10_ENKUlT_T0_E_clISt17integral_constantIbLb1EES19_IbLb0EEEEDaS15_S16_EUlS15_E_NS1_11comp_targetILNS1_3genE10ELNS1_11target_archE1200ELNS1_3gpuE4ELNS1_3repE0EEENS1_30default_config_static_selectorELNS0_4arch9wavefront6targetE0EEEvT1_,comdat
.Lfunc_end982:
	.size	_ZN7rocprim17ROCPRIM_400000_NS6detail17trampoline_kernelINS0_14default_configENS1_25partition_config_selectorILNS1_17partition_subalgoE9EllbEEZZNS1_14partition_implILS5_9ELb0ES3_jPlS8_PNS0_10empty_typeENS0_5tupleIJS8_S9_EEENSB_IJS8_SA_EEENS0_18inequality_wrapperIZN2at6native12_GLOBAL__N_124unique_dim_cuda_templateIfEESt5tupleIJNSF_6TensorESK_SK_EERKSK_lbbbEUlllE0_EEPmJS9_EEE10hipError_tPvRmT3_T4_T5_T6_T7_T9_mT8_P12ihipStream_tbDpT10_ENKUlT_T0_E_clISt17integral_constantIbLb1EES19_IbLb0EEEEDaS15_S16_EUlS15_E_NS1_11comp_targetILNS1_3genE10ELNS1_11target_archE1200ELNS1_3gpuE4ELNS1_3repE0EEENS1_30default_config_static_selectorELNS0_4arch9wavefront6targetE0EEEvT1_, .Lfunc_end982-_ZN7rocprim17ROCPRIM_400000_NS6detail17trampoline_kernelINS0_14default_configENS1_25partition_config_selectorILNS1_17partition_subalgoE9EllbEEZZNS1_14partition_implILS5_9ELb0ES3_jPlS8_PNS0_10empty_typeENS0_5tupleIJS8_S9_EEENSB_IJS8_SA_EEENS0_18inequality_wrapperIZN2at6native12_GLOBAL__N_124unique_dim_cuda_templateIfEESt5tupleIJNSF_6TensorESK_SK_EERKSK_lbbbEUlllE0_EEPmJS9_EEE10hipError_tPvRmT3_T4_T5_T6_T7_T9_mT8_P12ihipStream_tbDpT10_ENKUlT_T0_E_clISt17integral_constantIbLb1EES19_IbLb0EEEEDaS15_S16_EUlS15_E_NS1_11comp_targetILNS1_3genE10ELNS1_11target_archE1200ELNS1_3gpuE4ELNS1_3repE0EEENS1_30default_config_static_selectorELNS0_4arch9wavefront6targetE0EEEvT1_
                                        ; -- End function
	.set _ZN7rocprim17ROCPRIM_400000_NS6detail17trampoline_kernelINS0_14default_configENS1_25partition_config_selectorILNS1_17partition_subalgoE9EllbEEZZNS1_14partition_implILS5_9ELb0ES3_jPlS8_PNS0_10empty_typeENS0_5tupleIJS8_S9_EEENSB_IJS8_SA_EEENS0_18inequality_wrapperIZN2at6native12_GLOBAL__N_124unique_dim_cuda_templateIfEESt5tupleIJNSF_6TensorESK_SK_EERKSK_lbbbEUlllE0_EEPmJS9_EEE10hipError_tPvRmT3_T4_T5_T6_T7_T9_mT8_P12ihipStream_tbDpT10_ENKUlT_T0_E_clISt17integral_constantIbLb1EES19_IbLb0EEEEDaS15_S16_EUlS15_E_NS1_11comp_targetILNS1_3genE10ELNS1_11target_archE1200ELNS1_3gpuE4ELNS1_3repE0EEENS1_30default_config_static_selectorELNS0_4arch9wavefront6targetE0EEEvT1_.num_vgpr, 0
	.set _ZN7rocprim17ROCPRIM_400000_NS6detail17trampoline_kernelINS0_14default_configENS1_25partition_config_selectorILNS1_17partition_subalgoE9EllbEEZZNS1_14partition_implILS5_9ELb0ES3_jPlS8_PNS0_10empty_typeENS0_5tupleIJS8_S9_EEENSB_IJS8_SA_EEENS0_18inequality_wrapperIZN2at6native12_GLOBAL__N_124unique_dim_cuda_templateIfEESt5tupleIJNSF_6TensorESK_SK_EERKSK_lbbbEUlllE0_EEPmJS9_EEE10hipError_tPvRmT3_T4_T5_T6_T7_T9_mT8_P12ihipStream_tbDpT10_ENKUlT_T0_E_clISt17integral_constantIbLb1EES19_IbLb0EEEEDaS15_S16_EUlS15_E_NS1_11comp_targetILNS1_3genE10ELNS1_11target_archE1200ELNS1_3gpuE4ELNS1_3repE0EEENS1_30default_config_static_selectorELNS0_4arch9wavefront6targetE0EEEvT1_.num_agpr, 0
	.set _ZN7rocprim17ROCPRIM_400000_NS6detail17trampoline_kernelINS0_14default_configENS1_25partition_config_selectorILNS1_17partition_subalgoE9EllbEEZZNS1_14partition_implILS5_9ELb0ES3_jPlS8_PNS0_10empty_typeENS0_5tupleIJS8_S9_EEENSB_IJS8_SA_EEENS0_18inequality_wrapperIZN2at6native12_GLOBAL__N_124unique_dim_cuda_templateIfEESt5tupleIJNSF_6TensorESK_SK_EERKSK_lbbbEUlllE0_EEPmJS9_EEE10hipError_tPvRmT3_T4_T5_T6_T7_T9_mT8_P12ihipStream_tbDpT10_ENKUlT_T0_E_clISt17integral_constantIbLb1EES19_IbLb0EEEEDaS15_S16_EUlS15_E_NS1_11comp_targetILNS1_3genE10ELNS1_11target_archE1200ELNS1_3gpuE4ELNS1_3repE0EEENS1_30default_config_static_selectorELNS0_4arch9wavefront6targetE0EEEvT1_.numbered_sgpr, 0
	.set _ZN7rocprim17ROCPRIM_400000_NS6detail17trampoline_kernelINS0_14default_configENS1_25partition_config_selectorILNS1_17partition_subalgoE9EllbEEZZNS1_14partition_implILS5_9ELb0ES3_jPlS8_PNS0_10empty_typeENS0_5tupleIJS8_S9_EEENSB_IJS8_SA_EEENS0_18inequality_wrapperIZN2at6native12_GLOBAL__N_124unique_dim_cuda_templateIfEESt5tupleIJNSF_6TensorESK_SK_EERKSK_lbbbEUlllE0_EEPmJS9_EEE10hipError_tPvRmT3_T4_T5_T6_T7_T9_mT8_P12ihipStream_tbDpT10_ENKUlT_T0_E_clISt17integral_constantIbLb1EES19_IbLb0EEEEDaS15_S16_EUlS15_E_NS1_11comp_targetILNS1_3genE10ELNS1_11target_archE1200ELNS1_3gpuE4ELNS1_3repE0EEENS1_30default_config_static_selectorELNS0_4arch9wavefront6targetE0EEEvT1_.num_named_barrier, 0
	.set _ZN7rocprim17ROCPRIM_400000_NS6detail17trampoline_kernelINS0_14default_configENS1_25partition_config_selectorILNS1_17partition_subalgoE9EllbEEZZNS1_14partition_implILS5_9ELb0ES3_jPlS8_PNS0_10empty_typeENS0_5tupleIJS8_S9_EEENSB_IJS8_SA_EEENS0_18inequality_wrapperIZN2at6native12_GLOBAL__N_124unique_dim_cuda_templateIfEESt5tupleIJNSF_6TensorESK_SK_EERKSK_lbbbEUlllE0_EEPmJS9_EEE10hipError_tPvRmT3_T4_T5_T6_T7_T9_mT8_P12ihipStream_tbDpT10_ENKUlT_T0_E_clISt17integral_constantIbLb1EES19_IbLb0EEEEDaS15_S16_EUlS15_E_NS1_11comp_targetILNS1_3genE10ELNS1_11target_archE1200ELNS1_3gpuE4ELNS1_3repE0EEENS1_30default_config_static_selectorELNS0_4arch9wavefront6targetE0EEEvT1_.private_seg_size, 0
	.set _ZN7rocprim17ROCPRIM_400000_NS6detail17trampoline_kernelINS0_14default_configENS1_25partition_config_selectorILNS1_17partition_subalgoE9EllbEEZZNS1_14partition_implILS5_9ELb0ES3_jPlS8_PNS0_10empty_typeENS0_5tupleIJS8_S9_EEENSB_IJS8_SA_EEENS0_18inequality_wrapperIZN2at6native12_GLOBAL__N_124unique_dim_cuda_templateIfEESt5tupleIJNSF_6TensorESK_SK_EERKSK_lbbbEUlllE0_EEPmJS9_EEE10hipError_tPvRmT3_T4_T5_T6_T7_T9_mT8_P12ihipStream_tbDpT10_ENKUlT_T0_E_clISt17integral_constantIbLb1EES19_IbLb0EEEEDaS15_S16_EUlS15_E_NS1_11comp_targetILNS1_3genE10ELNS1_11target_archE1200ELNS1_3gpuE4ELNS1_3repE0EEENS1_30default_config_static_selectorELNS0_4arch9wavefront6targetE0EEEvT1_.uses_vcc, 0
	.set _ZN7rocprim17ROCPRIM_400000_NS6detail17trampoline_kernelINS0_14default_configENS1_25partition_config_selectorILNS1_17partition_subalgoE9EllbEEZZNS1_14partition_implILS5_9ELb0ES3_jPlS8_PNS0_10empty_typeENS0_5tupleIJS8_S9_EEENSB_IJS8_SA_EEENS0_18inequality_wrapperIZN2at6native12_GLOBAL__N_124unique_dim_cuda_templateIfEESt5tupleIJNSF_6TensorESK_SK_EERKSK_lbbbEUlllE0_EEPmJS9_EEE10hipError_tPvRmT3_T4_T5_T6_T7_T9_mT8_P12ihipStream_tbDpT10_ENKUlT_T0_E_clISt17integral_constantIbLb1EES19_IbLb0EEEEDaS15_S16_EUlS15_E_NS1_11comp_targetILNS1_3genE10ELNS1_11target_archE1200ELNS1_3gpuE4ELNS1_3repE0EEENS1_30default_config_static_selectorELNS0_4arch9wavefront6targetE0EEEvT1_.uses_flat_scratch, 0
	.set _ZN7rocprim17ROCPRIM_400000_NS6detail17trampoline_kernelINS0_14default_configENS1_25partition_config_selectorILNS1_17partition_subalgoE9EllbEEZZNS1_14partition_implILS5_9ELb0ES3_jPlS8_PNS0_10empty_typeENS0_5tupleIJS8_S9_EEENSB_IJS8_SA_EEENS0_18inequality_wrapperIZN2at6native12_GLOBAL__N_124unique_dim_cuda_templateIfEESt5tupleIJNSF_6TensorESK_SK_EERKSK_lbbbEUlllE0_EEPmJS9_EEE10hipError_tPvRmT3_T4_T5_T6_T7_T9_mT8_P12ihipStream_tbDpT10_ENKUlT_T0_E_clISt17integral_constantIbLb1EES19_IbLb0EEEEDaS15_S16_EUlS15_E_NS1_11comp_targetILNS1_3genE10ELNS1_11target_archE1200ELNS1_3gpuE4ELNS1_3repE0EEENS1_30default_config_static_selectorELNS0_4arch9wavefront6targetE0EEEvT1_.has_dyn_sized_stack, 0
	.set _ZN7rocprim17ROCPRIM_400000_NS6detail17trampoline_kernelINS0_14default_configENS1_25partition_config_selectorILNS1_17partition_subalgoE9EllbEEZZNS1_14partition_implILS5_9ELb0ES3_jPlS8_PNS0_10empty_typeENS0_5tupleIJS8_S9_EEENSB_IJS8_SA_EEENS0_18inequality_wrapperIZN2at6native12_GLOBAL__N_124unique_dim_cuda_templateIfEESt5tupleIJNSF_6TensorESK_SK_EERKSK_lbbbEUlllE0_EEPmJS9_EEE10hipError_tPvRmT3_T4_T5_T6_T7_T9_mT8_P12ihipStream_tbDpT10_ENKUlT_T0_E_clISt17integral_constantIbLb1EES19_IbLb0EEEEDaS15_S16_EUlS15_E_NS1_11comp_targetILNS1_3genE10ELNS1_11target_archE1200ELNS1_3gpuE4ELNS1_3repE0EEENS1_30default_config_static_selectorELNS0_4arch9wavefront6targetE0EEEvT1_.has_recursion, 0
	.set _ZN7rocprim17ROCPRIM_400000_NS6detail17trampoline_kernelINS0_14default_configENS1_25partition_config_selectorILNS1_17partition_subalgoE9EllbEEZZNS1_14partition_implILS5_9ELb0ES3_jPlS8_PNS0_10empty_typeENS0_5tupleIJS8_S9_EEENSB_IJS8_SA_EEENS0_18inequality_wrapperIZN2at6native12_GLOBAL__N_124unique_dim_cuda_templateIfEESt5tupleIJNSF_6TensorESK_SK_EERKSK_lbbbEUlllE0_EEPmJS9_EEE10hipError_tPvRmT3_T4_T5_T6_T7_T9_mT8_P12ihipStream_tbDpT10_ENKUlT_T0_E_clISt17integral_constantIbLb1EES19_IbLb0EEEEDaS15_S16_EUlS15_E_NS1_11comp_targetILNS1_3genE10ELNS1_11target_archE1200ELNS1_3gpuE4ELNS1_3repE0EEENS1_30default_config_static_selectorELNS0_4arch9wavefront6targetE0EEEvT1_.has_indirect_call, 0
	.section	.AMDGPU.csdata,"",@progbits
; Kernel info:
; codeLenInByte = 0
; TotalNumSgprs: 0
; NumVgprs: 0
; ScratchSize: 0
; MemoryBound: 0
; FloatMode: 240
; IeeeMode: 1
; LDSByteSize: 0 bytes/workgroup (compile time only)
; SGPRBlocks: 0
; VGPRBlocks: 0
; NumSGPRsForWavesPerEU: 1
; NumVGPRsForWavesPerEU: 1
; NamedBarCnt: 0
; Occupancy: 16
; WaveLimiterHint : 0
; COMPUTE_PGM_RSRC2:SCRATCH_EN: 0
; COMPUTE_PGM_RSRC2:USER_SGPR: 2
; COMPUTE_PGM_RSRC2:TRAP_HANDLER: 0
; COMPUTE_PGM_RSRC2:TGID_X_EN: 1
; COMPUTE_PGM_RSRC2:TGID_Y_EN: 0
; COMPUTE_PGM_RSRC2:TGID_Z_EN: 0
; COMPUTE_PGM_RSRC2:TIDIG_COMP_CNT: 0
	.section	.text._ZN7rocprim17ROCPRIM_400000_NS6detail17trampoline_kernelINS0_14default_configENS1_25partition_config_selectorILNS1_17partition_subalgoE9EllbEEZZNS1_14partition_implILS5_9ELb0ES3_jPlS8_PNS0_10empty_typeENS0_5tupleIJS8_S9_EEENSB_IJS8_SA_EEENS0_18inequality_wrapperIZN2at6native12_GLOBAL__N_124unique_dim_cuda_templateIfEESt5tupleIJNSF_6TensorESK_SK_EERKSK_lbbbEUlllE0_EEPmJS9_EEE10hipError_tPvRmT3_T4_T5_T6_T7_T9_mT8_P12ihipStream_tbDpT10_ENKUlT_T0_E_clISt17integral_constantIbLb1EES19_IbLb0EEEEDaS15_S16_EUlS15_E_NS1_11comp_targetILNS1_3genE9ELNS1_11target_archE1100ELNS1_3gpuE3ELNS1_3repE0EEENS1_30default_config_static_selectorELNS0_4arch9wavefront6targetE0EEEvT1_,"axG",@progbits,_ZN7rocprim17ROCPRIM_400000_NS6detail17trampoline_kernelINS0_14default_configENS1_25partition_config_selectorILNS1_17partition_subalgoE9EllbEEZZNS1_14partition_implILS5_9ELb0ES3_jPlS8_PNS0_10empty_typeENS0_5tupleIJS8_S9_EEENSB_IJS8_SA_EEENS0_18inequality_wrapperIZN2at6native12_GLOBAL__N_124unique_dim_cuda_templateIfEESt5tupleIJNSF_6TensorESK_SK_EERKSK_lbbbEUlllE0_EEPmJS9_EEE10hipError_tPvRmT3_T4_T5_T6_T7_T9_mT8_P12ihipStream_tbDpT10_ENKUlT_T0_E_clISt17integral_constantIbLb1EES19_IbLb0EEEEDaS15_S16_EUlS15_E_NS1_11comp_targetILNS1_3genE9ELNS1_11target_archE1100ELNS1_3gpuE3ELNS1_3repE0EEENS1_30default_config_static_selectorELNS0_4arch9wavefront6targetE0EEEvT1_,comdat
	.globl	_ZN7rocprim17ROCPRIM_400000_NS6detail17trampoline_kernelINS0_14default_configENS1_25partition_config_selectorILNS1_17partition_subalgoE9EllbEEZZNS1_14partition_implILS5_9ELb0ES3_jPlS8_PNS0_10empty_typeENS0_5tupleIJS8_S9_EEENSB_IJS8_SA_EEENS0_18inequality_wrapperIZN2at6native12_GLOBAL__N_124unique_dim_cuda_templateIfEESt5tupleIJNSF_6TensorESK_SK_EERKSK_lbbbEUlllE0_EEPmJS9_EEE10hipError_tPvRmT3_T4_T5_T6_T7_T9_mT8_P12ihipStream_tbDpT10_ENKUlT_T0_E_clISt17integral_constantIbLb1EES19_IbLb0EEEEDaS15_S16_EUlS15_E_NS1_11comp_targetILNS1_3genE9ELNS1_11target_archE1100ELNS1_3gpuE3ELNS1_3repE0EEENS1_30default_config_static_selectorELNS0_4arch9wavefront6targetE0EEEvT1_ ; -- Begin function _ZN7rocprim17ROCPRIM_400000_NS6detail17trampoline_kernelINS0_14default_configENS1_25partition_config_selectorILNS1_17partition_subalgoE9EllbEEZZNS1_14partition_implILS5_9ELb0ES3_jPlS8_PNS0_10empty_typeENS0_5tupleIJS8_S9_EEENSB_IJS8_SA_EEENS0_18inequality_wrapperIZN2at6native12_GLOBAL__N_124unique_dim_cuda_templateIfEESt5tupleIJNSF_6TensorESK_SK_EERKSK_lbbbEUlllE0_EEPmJS9_EEE10hipError_tPvRmT3_T4_T5_T6_T7_T9_mT8_P12ihipStream_tbDpT10_ENKUlT_T0_E_clISt17integral_constantIbLb1EES19_IbLb0EEEEDaS15_S16_EUlS15_E_NS1_11comp_targetILNS1_3genE9ELNS1_11target_archE1100ELNS1_3gpuE3ELNS1_3repE0EEENS1_30default_config_static_selectorELNS0_4arch9wavefront6targetE0EEEvT1_
	.p2align	8
	.type	_ZN7rocprim17ROCPRIM_400000_NS6detail17trampoline_kernelINS0_14default_configENS1_25partition_config_selectorILNS1_17partition_subalgoE9EllbEEZZNS1_14partition_implILS5_9ELb0ES3_jPlS8_PNS0_10empty_typeENS0_5tupleIJS8_S9_EEENSB_IJS8_SA_EEENS0_18inequality_wrapperIZN2at6native12_GLOBAL__N_124unique_dim_cuda_templateIfEESt5tupleIJNSF_6TensorESK_SK_EERKSK_lbbbEUlllE0_EEPmJS9_EEE10hipError_tPvRmT3_T4_T5_T6_T7_T9_mT8_P12ihipStream_tbDpT10_ENKUlT_T0_E_clISt17integral_constantIbLb1EES19_IbLb0EEEEDaS15_S16_EUlS15_E_NS1_11comp_targetILNS1_3genE9ELNS1_11target_archE1100ELNS1_3gpuE3ELNS1_3repE0EEENS1_30default_config_static_selectorELNS0_4arch9wavefront6targetE0EEEvT1_,@function
_ZN7rocprim17ROCPRIM_400000_NS6detail17trampoline_kernelINS0_14default_configENS1_25partition_config_selectorILNS1_17partition_subalgoE9EllbEEZZNS1_14partition_implILS5_9ELb0ES3_jPlS8_PNS0_10empty_typeENS0_5tupleIJS8_S9_EEENSB_IJS8_SA_EEENS0_18inequality_wrapperIZN2at6native12_GLOBAL__N_124unique_dim_cuda_templateIfEESt5tupleIJNSF_6TensorESK_SK_EERKSK_lbbbEUlllE0_EEPmJS9_EEE10hipError_tPvRmT3_T4_T5_T6_T7_T9_mT8_P12ihipStream_tbDpT10_ENKUlT_T0_E_clISt17integral_constantIbLb1EES19_IbLb0EEEEDaS15_S16_EUlS15_E_NS1_11comp_targetILNS1_3genE9ELNS1_11target_archE1100ELNS1_3gpuE3ELNS1_3repE0EEENS1_30default_config_static_selectorELNS0_4arch9wavefront6targetE0EEEvT1_: ; @_ZN7rocprim17ROCPRIM_400000_NS6detail17trampoline_kernelINS0_14default_configENS1_25partition_config_selectorILNS1_17partition_subalgoE9EllbEEZZNS1_14partition_implILS5_9ELb0ES3_jPlS8_PNS0_10empty_typeENS0_5tupleIJS8_S9_EEENSB_IJS8_SA_EEENS0_18inequality_wrapperIZN2at6native12_GLOBAL__N_124unique_dim_cuda_templateIfEESt5tupleIJNSF_6TensorESK_SK_EERKSK_lbbbEUlllE0_EEPmJS9_EEE10hipError_tPvRmT3_T4_T5_T6_T7_T9_mT8_P12ihipStream_tbDpT10_ENKUlT_T0_E_clISt17integral_constantIbLb1EES19_IbLb0EEEEDaS15_S16_EUlS15_E_NS1_11comp_targetILNS1_3genE9ELNS1_11target_archE1100ELNS1_3gpuE3ELNS1_3repE0EEENS1_30default_config_static_selectorELNS0_4arch9wavefront6targetE0EEEvT1_
; %bb.0:
	.section	.rodata,"a",@progbits
	.p2align	6, 0x0
	.amdhsa_kernel _ZN7rocprim17ROCPRIM_400000_NS6detail17trampoline_kernelINS0_14default_configENS1_25partition_config_selectorILNS1_17partition_subalgoE9EllbEEZZNS1_14partition_implILS5_9ELb0ES3_jPlS8_PNS0_10empty_typeENS0_5tupleIJS8_S9_EEENSB_IJS8_SA_EEENS0_18inequality_wrapperIZN2at6native12_GLOBAL__N_124unique_dim_cuda_templateIfEESt5tupleIJNSF_6TensorESK_SK_EERKSK_lbbbEUlllE0_EEPmJS9_EEE10hipError_tPvRmT3_T4_T5_T6_T7_T9_mT8_P12ihipStream_tbDpT10_ENKUlT_T0_E_clISt17integral_constantIbLb1EES19_IbLb0EEEEDaS15_S16_EUlS15_E_NS1_11comp_targetILNS1_3genE9ELNS1_11target_archE1100ELNS1_3gpuE3ELNS1_3repE0EEENS1_30default_config_static_selectorELNS0_4arch9wavefront6targetE0EEEvT1_
		.amdhsa_group_segment_fixed_size 0
		.amdhsa_private_segment_fixed_size 0
		.amdhsa_kernarg_size 120
		.amdhsa_user_sgpr_count 2
		.amdhsa_user_sgpr_dispatch_ptr 0
		.amdhsa_user_sgpr_queue_ptr 0
		.amdhsa_user_sgpr_kernarg_segment_ptr 1
		.amdhsa_user_sgpr_dispatch_id 0
		.amdhsa_user_sgpr_kernarg_preload_length 0
		.amdhsa_user_sgpr_kernarg_preload_offset 0
		.amdhsa_user_sgpr_private_segment_size 0
		.amdhsa_wavefront_size32 1
		.amdhsa_uses_dynamic_stack 0
		.amdhsa_enable_private_segment 0
		.amdhsa_system_sgpr_workgroup_id_x 1
		.amdhsa_system_sgpr_workgroup_id_y 0
		.amdhsa_system_sgpr_workgroup_id_z 0
		.amdhsa_system_sgpr_workgroup_info 0
		.amdhsa_system_vgpr_workitem_id 0
		.amdhsa_next_free_vgpr 1
		.amdhsa_next_free_sgpr 1
		.amdhsa_named_barrier_count 0
		.amdhsa_reserve_vcc 0
		.amdhsa_float_round_mode_32 0
		.amdhsa_float_round_mode_16_64 0
		.amdhsa_float_denorm_mode_32 3
		.amdhsa_float_denorm_mode_16_64 3
		.amdhsa_fp16_overflow 0
		.amdhsa_memory_ordered 1
		.amdhsa_forward_progress 1
		.amdhsa_inst_pref_size 0
		.amdhsa_round_robin_scheduling 0
		.amdhsa_exception_fp_ieee_invalid_op 0
		.amdhsa_exception_fp_denorm_src 0
		.amdhsa_exception_fp_ieee_div_zero 0
		.amdhsa_exception_fp_ieee_overflow 0
		.amdhsa_exception_fp_ieee_underflow 0
		.amdhsa_exception_fp_ieee_inexact 0
		.amdhsa_exception_int_div_zero 0
	.end_amdhsa_kernel
	.section	.text._ZN7rocprim17ROCPRIM_400000_NS6detail17trampoline_kernelINS0_14default_configENS1_25partition_config_selectorILNS1_17partition_subalgoE9EllbEEZZNS1_14partition_implILS5_9ELb0ES3_jPlS8_PNS0_10empty_typeENS0_5tupleIJS8_S9_EEENSB_IJS8_SA_EEENS0_18inequality_wrapperIZN2at6native12_GLOBAL__N_124unique_dim_cuda_templateIfEESt5tupleIJNSF_6TensorESK_SK_EERKSK_lbbbEUlllE0_EEPmJS9_EEE10hipError_tPvRmT3_T4_T5_T6_T7_T9_mT8_P12ihipStream_tbDpT10_ENKUlT_T0_E_clISt17integral_constantIbLb1EES19_IbLb0EEEEDaS15_S16_EUlS15_E_NS1_11comp_targetILNS1_3genE9ELNS1_11target_archE1100ELNS1_3gpuE3ELNS1_3repE0EEENS1_30default_config_static_selectorELNS0_4arch9wavefront6targetE0EEEvT1_,"axG",@progbits,_ZN7rocprim17ROCPRIM_400000_NS6detail17trampoline_kernelINS0_14default_configENS1_25partition_config_selectorILNS1_17partition_subalgoE9EllbEEZZNS1_14partition_implILS5_9ELb0ES3_jPlS8_PNS0_10empty_typeENS0_5tupleIJS8_S9_EEENSB_IJS8_SA_EEENS0_18inequality_wrapperIZN2at6native12_GLOBAL__N_124unique_dim_cuda_templateIfEESt5tupleIJNSF_6TensorESK_SK_EERKSK_lbbbEUlllE0_EEPmJS9_EEE10hipError_tPvRmT3_T4_T5_T6_T7_T9_mT8_P12ihipStream_tbDpT10_ENKUlT_T0_E_clISt17integral_constantIbLb1EES19_IbLb0EEEEDaS15_S16_EUlS15_E_NS1_11comp_targetILNS1_3genE9ELNS1_11target_archE1100ELNS1_3gpuE3ELNS1_3repE0EEENS1_30default_config_static_selectorELNS0_4arch9wavefront6targetE0EEEvT1_,comdat
.Lfunc_end983:
	.size	_ZN7rocprim17ROCPRIM_400000_NS6detail17trampoline_kernelINS0_14default_configENS1_25partition_config_selectorILNS1_17partition_subalgoE9EllbEEZZNS1_14partition_implILS5_9ELb0ES3_jPlS8_PNS0_10empty_typeENS0_5tupleIJS8_S9_EEENSB_IJS8_SA_EEENS0_18inequality_wrapperIZN2at6native12_GLOBAL__N_124unique_dim_cuda_templateIfEESt5tupleIJNSF_6TensorESK_SK_EERKSK_lbbbEUlllE0_EEPmJS9_EEE10hipError_tPvRmT3_T4_T5_T6_T7_T9_mT8_P12ihipStream_tbDpT10_ENKUlT_T0_E_clISt17integral_constantIbLb1EES19_IbLb0EEEEDaS15_S16_EUlS15_E_NS1_11comp_targetILNS1_3genE9ELNS1_11target_archE1100ELNS1_3gpuE3ELNS1_3repE0EEENS1_30default_config_static_selectorELNS0_4arch9wavefront6targetE0EEEvT1_, .Lfunc_end983-_ZN7rocprim17ROCPRIM_400000_NS6detail17trampoline_kernelINS0_14default_configENS1_25partition_config_selectorILNS1_17partition_subalgoE9EllbEEZZNS1_14partition_implILS5_9ELb0ES3_jPlS8_PNS0_10empty_typeENS0_5tupleIJS8_S9_EEENSB_IJS8_SA_EEENS0_18inequality_wrapperIZN2at6native12_GLOBAL__N_124unique_dim_cuda_templateIfEESt5tupleIJNSF_6TensorESK_SK_EERKSK_lbbbEUlllE0_EEPmJS9_EEE10hipError_tPvRmT3_T4_T5_T6_T7_T9_mT8_P12ihipStream_tbDpT10_ENKUlT_T0_E_clISt17integral_constantIbLb1EES19_IbLb0EEEEDaS15_S16_EUlS15_E_NS1_11comp_targetILNS1_3genE9ELNS1_11target_archE1100ELNS1_3gpuE3ELNS1_3repE0EEENS1_30default_config_static_selectorELNS0_4arch9wavefront6targetE0EEEvT1_
                                        ; -- End function
	.set _ZN7rocprim17ROCPRIM_400000_NS6detail17trampoline_kernelINS0_14default_configENS1_25partition_config_selectorILNS1_17partition_subalgoE9EllbEEZZNS1_14partition_implILS5_9ELb0ES3_jPlS8_PNS0_10empty_typeENS0_5tupleIJS8_S9_EEENSB_IJS8_SA_EEENS0_18inequality_wrapperIZN2at6native12_GLOBAL__N_124unique_dim_cuda_templateIfEESt5tupleIJNSF_6TensorESK_SK_EERKSK_lbbbEUlllE0_EEPmJS9_EEE10hipError_tPvRmT3_T4_T5_T6_T7_T9_mT8_P12ihipStream_tbDpT10_ENKUlT_T0_E_clISt17integral_constantIbLb1EES19_IbLb0EEEEDaS15_S16_EUlS15_E_NS1_11comp_targetILNS1_3genE9ELNS1_11target_archE1100ELNS1_3gpuE3ELNS1_3repE0EEENS1_30default_config_static_selectorELNS0_4arch9wavefront6targetE0EEEvT1_.num_vgpr, 0
	.set _ZN7rocprim17ROCPRIM_400000_NS6detail17trampoline_kernelINS0_14default_configENS1_25partition_config_selectorILNS1_17partition_subalgoE9EllbEEZZNS1_14partition_implILS5_9ELb0ES3_jPlS8_PNS0_10empty_typeENS0_5tupleIJS8_S9_EEENSB_IJS8_SA_EEENS0_18inequality_wrapperIZN2at6native12_GLOBAL__N_124unique_dim_cuda_templateIfEESt5tupleIJNSF_6TensorESK_SK_EERKSK_lbbbEUlllE0_EEPmJS9_EEE10hipError_tPvRmT3_T4_T5_T6_T7_T9_mT8_P12ihipStream_tbDpT10_ENKUlT_T0_E_clISt17integral_constantIbLb1EES19_IbLb0EEEEDaS15_S16_EUlS15_E_NS1_11comp_targetILNS1_3genE9ELNS1_11target_archE1100ELNS1_3gpuE3ELNS1_3repE0EEENS1_30default_config_static_selectorELNS0_4arch9wavefront6targetE0EEEvT1_.num_agpr, 0
	.set _ZN7rocprim17ROCPRIM_400000_NS6detail17trampoline_kernelINS0_14default_configENS1_25partition_config_selectorILNS1_17partition_subalgoE9EllbEEZZNS1_14partition_implILS5_9ELb0ES3_jPlS8_PNS0_10empty_typeENS0_5tupleIJS8_S9_EEENSB_IJS8_SA_EEENS0_18inequality_wrapperIZN2at6native12_GLOBAL__N_124unique_dim_cuda_templateIfEESt5tupleIJNSF_6TensorESK_SK_EERKSK_lbbbEUlllE0_EEPmJS9_EEE10hipError_tPvRmT3_T4_T5_T6_T7_T9_mT8_P12ihipStream_tbDpT10_ENKUlT_T0_E_clISt17integral_constantIbLb1EES19_IbLb0EEEEDaS15_S16_EUlS15_E_NS1_11comp_targetILNS1_3genE9ELNS1_11target_archE1100ELNS1_3gpuE3ELNS1_3repE0EEENS1_30default_config_static_selectorELNS0_4arch9wavefront6targetE0EEEvT1_.numbered_sgpr, 0
	.set _ZN7rocprim17ROCPRIM_400000_NS6detail17trampoline_kernelINS0_14default_configENS1_25partition_config_selectorILNS1_17partition_subalgoE9EllbEEZZNS1_14partition_implILS5_9ELb0ES3_jPlS8_PNS0_10empty_typeENS0_5tupleIJS8_S9_EEENSB_IJS8_SA_EEENS0_18inequality_wrapperIZN2at6native12_GLOBAL__N_124unique_dim_cuda_templateIfEESt5tupleIJNSF_6TensorESK_SK_EERKSK_lbbbEUlllE0_EEPmJS9_EEE10hipError_tPvRmT3_T4_T5_T6_T7_T9_mT8_P12ihipStream_tbDpT10_ENKUlT_T0_E_clISt17integral_constantIbLb1EES19_IbLb0EEEEDaS15_S16_EUlS15_E_NS1_11comp_targetILNS1_3genE9ELNS1_11target_archE1100ELNS1_3gpuE3ELNS1_3repE0EEENS1_30default_config_static_selectorELNS0_4arch9wavefront6targetE0EEEvT1_.num_named_barrier, 0
	.set _ZN7rocprim17ROCPRIM_400000_NS6detail17trampoline_kernelINS0_14default_configENS1_25partition_config_selectorILNS1_17partition_subalgoE9EllbEEZZNS1_14partition_implILS5_9ELb0ES3_jPlS8_PNS0_10empty_typeENS0_5tupleIJS8_S9_EEENSB_IJS8_SA_EEENS0_18inequality_wrapperIZN2at6native12_GLOBAL__N_124unique_dim_cuda_templateIfEESt5tupleIJNSF_6TensorESK_SK_EERKSK_lbbbEUlllE0_EEPmJS9_EEE10hipError_tPvRmT3_T4_T5_T6_T7_T9_mT8_P12ihipStream_tbDpT10_ENKUlT_T0_E_clISt17integral_constantIbLb1EES19_IbLb0EEEEDaS15_S16_EUlS15_E_NS1_11comp_targetILNS1_3genE9ELNS1_11target_archE1100ELNS1_3gpuE3ELNS1_3repE0EEENS1_30default_config_static_selectorELNS0_4arch9wavefront6targetE0EEEvT1_.private_seg_size, 0
	.set _ZN7rocprim17ROCPRIM_400000_NS6detail17trampoline_kernelINS0_14default_configENS1_25partition_config_selectorILNS1_17partition_subalgoE9EllbEEZZNS1_14partition_implILS5_9ELb0ES3_jPlS8_PNS0_10empty_typeENS0_5tupleIJS8_S9_EEENSB_IJS8_SA_EEENS0_18inequality_wrapperIZN2at6native12_GLOBAL__N_124unique_dim_cuda_templateIfEESt5tupleIJNSF_6TensorESK_SK_EERKSK_lbbbEUlllE0_EEPmJS9_EEE10hipError_tPvRmT3_T4_T5_T6_T7_T9_mT8_P12ihipStream_tbDpT10_ENKUlT_T0_E_clISt17integral_constantIbLb1EES19_IbLb0EEEEDaS15_S16_EUlS15_E_NS1_11comp_targetILNS1_3genE9ELNS1_11target_archE1100ELNS1_3gpuE3ELNS1_3repE0EEENS1_30default_config_static_selectorELNS0_4arch9wavefront6targetE0EEEvT1_.uses_vcc, 0
	.set _ZN7rocprim17ROCPRIM_400000_NS6detail17trampoline_kernelINS0_14default_configENS1_25partition_config_selectorILNS1_17partition_subalgoE9EllbEEZZNS1_14partition_implILS5_9ELb0ES3_jPlS8_PNS0_10empty_typeENS0_5tupleIJS8_S9_EEENSB_IJS8_SA_EEENS0_18inequality_wrapperIZN2at6native12_GLOBAL__N_124unique_dim_cuda_templateIfEESt5tupleIJNSF_6TensorESK_SK_EERKSK_lbbbEUlllE0_EEPmJS9_EEE10hipError_tPvRmT3_T4_T5_T6_T7_T9_mT8_P12ihipStream_tbDpT10_ENKUlT_T0_E_clISt17integral_constantIbLb1EES19_IbLb0EEEEDaS15_S16_EUlS15_E_NS1_11comp_targetILNS1_3genE9ELNS1_11target_archE1100ELNS1_3gpuE3ELNS1_3repE0EEENS1_30default_config_static_selectorELNS0_4arch9wavefront6targetE0EEEvT1_.uses_flat_scratch, 0
	.set _ZN7rocprim17ROCPRIM_400000_NS6detail17trampoline_kernelINS0_14default_configENS1_25partition_config_selectorILNS1_17partition_subalgoE9EllbEEZZNS1_14partition_implILS5_9ELb0ES3_jPlS8_PNS0_10empty_typeENS0_5tupleIJS8_S9_EEENSB_IJS8_SA_EEENS0_18inequality_wrapperIZN2at6native12_GLOBAL__N_124unique_dim_cuda_templateIfEESt5tupleIJNSF_6TensorESK_SK_EERKSK_lbbbEUlllE0_EEPmJS9_EEE10hipError_tPvRmT3_T4_T5_T6_T7_T9_mT8_P12ihipStream_tbDpT10_ENKUlT_T0_E_clISt17integral_constantIbLb1EES19_IbLb0EEEEDaS15_S16_EUlS15_E_NS1_11comp_targetILNS1_3genE9ELNS1_11target_archE1100ELNS1_3gpuE3ELNS1_3repE0EEENS1_30default_config_static_selectorELNS0_4arch9wavefront6targetE0EEEvT1_.has_dyn_sized_stack, 0
	.set _ZN7rocprim17ROCPRIM_400000_NS6detail17trampoline_kernelINS0_14default_configENS1_25partition_config_selectorILNS1_17partition_subalgoE9EllbEEZZNS1_14partition_implILS5_9ELb0ES3_jPlS8_PNS0_10empty_typeENS0_5tupleIJS8_S9_EEENSB_IJS8_SA_EEENS0_18inequality_wrapperIZN2at6native12_GLOBAL__N_124unique_dim_cuda_templateIfEESt5tupleIJNSF_6TensorESK_SK_EERKSK_lbbbEUlllE0_EEPmJS9_EEE10hipError_tPvRmT3_T4_T5_T6_T7_T9_mT8_P12ihipStream_tbDpT10_ENKUlT_T0_E_clISt17integral_constantIbLb1EES19_IbLb0EEEEDaS15_S16_EUlS15_E_NS1_11comp_targetILNS1_3genE9ELNS1_11target_archE1100ELNS1_3gpuE3ELNS1_3repE0EEENS1_30default_config_static_selectorELNS0_4arch9wavefront6targetE0EEEvT1_.has_recursion, 0
	.set _ZN7rocprim17ROCPRIM_400000_NS6detail17trampoline_kernelINS0_14default_configENS1_25partition_config_selectorILNS1_17partition_subalgoE9EllbEEZZNS1_14partition_implILS5_9ELb0ES3_jPlS8_PNS0_10empty_typeENS0_5tupleIJS8_S9_EEENSB_IJS8_SA_EEENS0_18inequality_wrapperIZN2at6native12_GLOBAL__N_124unique_dim_cuda_templateIfEESt5tupleIJNSF_6TensorESK_SK_EERKSK_lbbbEUlllE0_EEPmJS9_EEE10hipError_tPvRmT3_T4_T5_T6_T7_T9_mT8_P12ihipStream_tbDpT10_ENKUlT_T0_E_clISt17integral_constantIbLb1EES19_IbLb0EEEEDaS15_S16_EUlS15_E_NS1_11comp_targetILNS1_3genE9ELNS1_11target_archE1100ELNS1_3gpuE3ELNS1_3repE0EEENS1_30default_config_static_selectorELNS0_4arch9wavefront6targetE0EEEvT1_.has_indirect_call, 0
	.section	.AMDGPU.csdata,"",@progbits
; Kernel info:
; codeLenInByte = 0
; TotalNumSgprs: 0
; NumVgprs: 0
; ScratchSize: 0
; MemoryBound: 0
; FloatMode: 240
; IeeeMode: 1
; LDSByteSize: 0 bytes/workgroup (compile time only)
; SGPRBlocks: 0
; VGPRBlocks: 0
; NumSGPRsForWavesPerEU: 1
; NumVGPRsForWavesPerEU: 1
; NamedBarCnt: 0
; Occupancy: 16
; WaveLimiterHint : 0
; COMPUTE_PGM_RSRC2:SCRATCH_EN: 0
; COMPUTE_PGM_RSRC2:USER_SGPR: 2
; COMPUTE_PGM_RSRC2:TRAP_HANDLER: 0
; COMPUTE_PGM_RSRC2:TGID_X_EN: 1
; COMPUTE_PGM_RSRC2:TGID_Y_EN: 0
; COMPUTE_PGM_RSRC2:TGID_Z_EN: 0
; COMPUTE_PGM_RSRC2:TIDIG_COMP_CNT: 0
	.section	.text._ZN7rocprim17ROCPRIM_400000_NS6detail17trampoline_kernelINS0_14default_configENS1_25partition_config_selectorILNS1_17partition_subalgoE9EllbEEZZNS1_14partition_implILS5_9ELb0ES3_jPlS8_PNS0_10empty_typeENS0_5tupleIJS8_S9_EEENSB_IJS8_SA_EEENS0_18inequality_wrapperIZN2at6native12_GLOBAL__N_124unique_dim_cuda_templateIfEESt5tupleIJNSF_6TensorESK_SK_EERKSK_lbbbEUlllE0_EEPmJS9_EEE10hipError_tPvRmT3_T4_T5_T6_T7_T9_mT8_P12ihipStream_tbDpT10_ENKUlT_T0_E_clISt17integral_constantIbLb1EES19_IbLb0EEEEDaS15_S16_EUlS15_E_NS1_11comp_targetILNS1_3genE8ELNS1_11target_archE1030ELNS1_3gpuE2ELNS1_3repE0EEENS1_30default_config_static_selectorELNS0_4arch9wavefront6targetE0EEEvT1_,"axG",@progbits,_ZN7rocprim17ROCPRIM_400000_NS6detail17trampoline_kernelINS0_14default_configENS1_25partition_config_selectorILNS1_17partition_subalgoE9EllbEEZZNS1_14partition_implILS5_9ELb0ES3_jPlS8_PNS0_10empty_typeENS0_5tupleIJS8_S9_EEENSB_IJS8_SA_EEENS0_18inequality_wrapperIZN2at6native12_GLOBAL__N_124unique_dim_cuda_templateIfEESt5tupleIJNSF_6TensorESK_SK_EERKSK_lbbbEUlllE0_EEPmJS9_EEE10hipError_tPvRmT3_T4_T5_T6_T7_T9_mT8_P12ihipStream_tbDpT10_ENKUlT_T0_E_clISt17integral_constantIbLb1EES19_IbLb0EEEEDaS15_S16_EUlS15_E_NS1_11comp_targetILNS1_3genE8ELNS1_11target_archE1030ELNS1_3gpuE2ELNS1_3repE0EEENS1_30default_config_static_selectorELNS0_4arch9wavefront6targetE0EEEvT1_,comdat
	.globl	_ZN7rocprim17ROCPRIM_400000_NS6detail17trampoline_kernelINS0_14default_configENS1_25partition_config_selectorILNS1_17partition_subalgoE9EllbEEZZNS1_14partition_implILS5_9ELb0ES3_jPlS8_PNS0_10empty_typeENS0_5tupleIJS8_S9_EEENSB_IJS8_SA_EEENS0_18inequality_wrapperIZN2at6native12_GLOBAL__N_124unique_dim_cuda_templateIfEESt5tupleIJNSF_6TensorESK_SK_EERKSK_lbbbEUlllE0_EEPmJS9_EEE10hipError_tPvRmT3_T4_T5_T6_T7_T9_mT8_P12ihipStream_tbDpT10_ENKUlT_T0_E_clISt17integral_constantIbLb1EES19_IbLb0EEEEDaS15_S16_EUlS15_E_NS1_11comp_targetILNS1_3genE8ELNS1_11target_archE1030ELNS1_3gpuE2ELNS1_3repE0EEENS1_30default_config_static_selectorELNS0_4arch9wavefront6targetE0EEEvT1_ ; -- Begin function _ZN7rocprim17ROCPRIM_400000_NS6detail17trampoline_kernelINS0_14default_configENS1_25partition_config_selectorILNS1_17partition_subalgoE9EllbEEZZNS1_14partition_implILS5_9ELb0ES3_jPlS8_PNS0_10empty_typeENS0_5tupleIJS8_S9_EEENSB_IJS8_SA_EEENS0_18inequality_wrapperIZN2at6native12_GLOBAL__N_124unique_dim_cuda_templateIfEESt5tupleIJNSF_6TensorESK_SK_EERKSK_lbbbEUlllE0_EEPmJS9_EEE10hipError_tPvRmT3_T4_T5_T6_T7_T9_mT8_P12ihipStream_tbDpT10_ENKUlT_T0_E_clISt17integral_constantIbLb1EES19_IbLb0EEEEDaS15_S16_EUlS15_E_NS1_11comp_targetILNS1_3genE8ELNS1_11target_archE1030ELNS1_3gpuE2ELNS1_3repE0EEENS1_30default_config_static_selectorELNS0_4arch9wavefront6targetE0EEEvT1_
	.p2align	8
	.type	_ZN7rocprim17ROCPRIM_400000_NS6detail17trampoline_kernelINS0_14default_configENS1_25partition_config_selectorILNS1_17partition_subalgoE9EllbEEZZNS1_14partition_implILS5_9ELb0ES3_jPlS8_PNS0_10empty_typeENS0_5tupleIJS8_S9_EEENSB_IJS8_SA_EEENS0_18inequality_wrapperIZN2at6native12_GLOBAL__N_124unique_dim_cuda_templateIfEESt5tupleIJNSF_6TensorESK_SK_EERKSK_lbbbEUlllE0_EEPmJS9_EEE10hipError_tPvRmT3_T4_T5_T6_T7_T9_mT8_P12ihipStream_tbDpT10_ENKUlT_T0_E_clISt17integral_constantIbLb1EES19_IbLb0EEEEDaS15_S16_EUlS15_E_NS1_11comp_targetILNS1_3genE8ELNS1_11target_archE1030ELNS1_3gpuE2ELNS1_3repE0EEENS1_30default_config_static_selectorELNS0_4arch9wavefront6targetE0EEEvT1_,@function
_ZN7rocprim17ROCPRIM_400000_NS6detail17trampoline_kernelINS0_14default_configENS1_25partition_config_selectorILNS1_17partition_subalgoE9EllbEEZZNS1_14partition_implILS5_9ELb0ES3_jPlS8_PNS0_10empty_typeENS0_5tupleIJS8_S9_EEENSB_IJS8_SA_EEENS0_18inequality_wrapperIZN2at6native12_GLOBAL__N_124unique_dim_cuda_templateIfEESt5tupleIJNSF_6TensorESK_SK_EERKSK_lbbbEUlllE0_EEPmJS9_EEE10hipError_tPvRmT3_T4_T5_T6_T7_T9_mT8_P12ihipStream_tbDpT10_ENKUlT_T0_E_clISt17integral_constantIbLb1EES19_IbLb0EEEEDaS15_S16_EUlS15_E_NS1_11comp_targetILNS1_3genE8ELNS1_11target_archE1030ELNS1_3gpuE2ELNS1_3repE0EEENS1_30default_config_static_selectorELNS0_4arch9wavefront6targetE0EEEvT1_: ; @_ZN7rocprim17ROCPRIM_400000_NS6detail17trampoline_kernelINS0_14default_configENS1_25partition_config_selectorILNS1_17partition_subalgoE9EllbEEZZNS1_14partition_implILS5_9ELb0ES3_jPlS8_PNS0_10empty_typeENS0_5tupleIJS8_S9_EEENSB_IJS8_SA_EEENS0_18inequality_wrapperIZN2at6native12_GLOBAL__N_124unique_dim_cuda_templateIfEESt5tupleIJNSF_6TensorESK_SK_EERKSK_lbbbEUlllE0_EEPmJS9_EEE10hipError_tPvRmT3_T4_T5_T6_T7_T9_mT8_P12ihipStream_tbDpT10_ENKUlT_T0_E_clISt17integral_constantIbLb1EES19_IbLb0EEEEDaS15_S16_EUlS15_E_NS1_11comp_targetILNS1_3genE8ELNS1_11target_archE1030ELNS1_3gpuE2ELNS1_3repE0EEENS1_30default_config_static_selectorELNS0_4arch9wavefront6targetE0EEEvT1_
; %bb.0:
	.section	.rodata,"a",@progbits
	.p2align	6, 0x0
	.amdhsa_kernel _ZN7rocprim17ROCPRIM_400000_NS6detail17trampoline_kernelINS0_14default_configENS1_25partition_config_selectorILNS1_17partition_subalgoE9EllbEEZZNS1_14partition_implILS5_9ELb0ES3_jPlS8_PNS0_10empty_typeENS0_5tupleIJS8_S9_EEENSB_IJS8_SA_EEENS0_18inequality_wrapperIZN2at6native12_GLOBAL__N_124unique_dim_cuda_templateIfEESt5tupleIJNSF_6TensorESK_SK_EERKSK_lbbbEUlllE0_EEPmJS9_EEE10hipError_tPvRmT3_T4_T5_T6_T7_T9_mT8_P12ihipStream_tbDpT10_ENKUlT_T0_E_clISt17integral_constantIbLb1EES19_IbLb0EEEEDaS15_S16_EUlS15_E_NS1_11comp_targetILNS1_3genE8ELNS1_11target_archE1030ELNS1_3gpuE2ELNS1_3repE0EEENS1_30default_config_static_selectorELNS0_4arch9wavefront6targetE0EEEvT1_
		.amdhsa_group_segment_fixed_size 0
		.amdhsa_private_segment_fixed_size 0
		.amdhsa_kernarg_size 120
		.amdhsa_user_sgpr_count 2
		.amdhsa_user_sgpr_dispatch_ptr 0
		.amdhsa_user_sgpr_queue_ptr 0
		.amdhsa_user_sgpr_kernarg_segment_ptr 1
		.amdhsa_user_sgpr_dispatch_id 0
		.amdhsa_user_sgpr_kernarg_preload_length 0
		.amdhsa_user_sgpr_kernarg_preload_offset 0
		.amdhsa_user_sgpr_private_segment_size 0
		.amdhsa_wavefront_size32 1
		.amdhsa_uses_dynamic_stack 0
		.amdhsa_enable_private_segment 0
		.amdhsa_system_sgpr_workgroup_id_x 1
		.amdhsa_system_sgpr_workgroup_id_y 0
		.amdhsa_system_sgpr_workgroup_id_z 0
		.amdhsa_system_sgpr_workgroup_info 0
		.amdhsa_system_vgpr_workitem_id 0
		.amdhsa_next_free_vgpr 1
		.amdhsa_next_free_sgpr 1
		.amdhsa_named_barrier_count 0
		.amdhsa_reserve_vcc 0
		.amdhsa_float_round_mode_32 0
		.amdhsa_float_round_mode_16_64 0
		.amdhsa_float_denorm_mode_32 3
		.amdhsa_float_denorm_mode_16_64 3
		.amdhsa_fp16_overflow 0
		.amdhsa_memory_ordered 1
		.amdhsa_forward_progress 1
		.amdhsa_inst_pref_size 0
		.amdhsa_round_robin_scheduling 0
		.amdhsa_exception_fp_ieee_invalid_op 0
		.amdhsa_exception_fp_denorm_src 0
		.amdhsa_exception_fp_ieee_div_zero 0
		.amdhsa_exception_fp_ieee_overflow 0
		.amdhsa_exception_fp_ieee_underflow 0
		.amdhsa_exception_fp_ieee_inexact 0
		.amdhsa_exception_int_div_zero 0
	.end_amdhsa_kernel
	.section	.text._ZN7rocprim17ROCPRIM_400000_NS6detail17trampoline_kernelINS0_14default_configENS1_25partition_config_selectorILNS1_17partition_subalgoE9EllbEEZZNS1_14partition_implILS5_9ELb0ES3_jPlS8_PNS0_10empty_typeENS0_5tupleIJS8_S9_EEENSB_IJS8_SA_EEENS0_18inequality_wrapperIZN2at6native12_GLOBAL__N_124unique_dim_cuda_templateIfEESt5tupleIJNSF_6TensorESK_SK_EERKSK_lbbbEUlllE0_EEPmJS9_EEE10hipError_tPvRmT3_T4_T5_T6_T7_T9_mT8_P12ihipStream_tbDpT10_ENKUlT_T0_E_clISt17integral_constantIbLb1EES19_IbLb0EEEEDaS15_S16_EUlS15_E_NS1_11comp_targetILNS1_3genE8ELNS1_11target_archE1030ELNS1_3gpuE2ELNS1_3repE0EEENS1_30default_config_static_selectorELNS0_4arch9wavefront6targetE0EEEvT1_,"axG",@progbits,_ZN7rocprim17ROCPRIM_400000_NS6detail17trampoline_kernelINS0_14default_configENS1_25partition_config_selectorILNS1_17partition_subalgoE9EllbEEZZNS1_14partition_implILS5_9ELb0ES3_jPlS8_PNS0_10empty_typeENS0_5tupleIJS8_S9_EEENSB_IJS8_SA_EEENS0_18inequality_wrapperIZN2at6native12_GLOBAL__N_124unique_dim_cuda_templateIfEESt5tupleIJNSF_6TensorESK_SK_EERKSK_lbbbEUlllE0_EEPmJS9_EEE10hipError_tPvRmT3_T4_T5_T6_T7_T9_mT8_P12ihipStream_tbDpT10_ENKUlT_T0_E_clISt17integral_constantIbLb1EES19_IbLb0EEEEDaS15_S16_EUlS15_E_NS1_11comp_targetILNS1_3genE8ELNS1_11target_archE1030ELNS1_3gpuE2ELNS1_3repE0EEENS1_30default_config_static_selectorELNS0_4arch9wavefront6targetE0EEEvT1_,comdat
.Lfunc_end984:
	.size	_ZN7rocprim17ROCPRIM_400000_NS6detail17trampoline_kernelINS0_14default_configENS1_25partition_config_selectorILNS1_17partition_subalgoE9EllbEEZZNS1_14partition_implILS5_9ELb0ES3_jPlS8_PNS0_10empty_typeENS0_5tupleIJS8_S9_EEENSB_IJS8_SA_EEENS0_18inequality_wrapperIZN2at6native12_GLOBAL__N_124unique_dim_cuda_templateIfEESt5tupleIJNSF_6TensorESK_SK_EERKSK_lbbbEUlllE0_EEPmJS9_EEE10hipError_tPvRmT3_T4_T5_T6_T7_T9_mT8_P12ihipStream_tbDpT10_ENKUlT_T0_E_clISt17integral_constantIbLb1EES19_IbLb0EEEEDaS15_S16_EUlS15_E_NS1_11comp_targetILNS1_3genE8ELNS1_11target_archE1030ELNS1_3gpuE2ELNS1_3repE0EEENS1_30default_config_static_selectorELNS0_4arch9wavefront6targetE0EEEvT1_, .Lfunc_end984-_ZN7rocprim17ROCPRIM_400000_NS6detail17trampoline_kernelINS0_14default_configENS1_25partition_config_selectorILNS1_17partition_subalgoE9EllbEEZZNS1_14partition_implILS5_9ELb0ES3_jPlS8_PNS0_10empty_typeENS0_5tupleIJS8_S9_EEENSB_IJS8_SA_EEENS0_18inequality_wrapperIZN2at6native12_GLOBAL__N_124unique_dim_cuda_templateIfEESt5tupleIJNSF_6TensorESK_SK_EERKSK_lbbbEUlllE0_EEPmJS9_EEE10hipError_tPvRmT3_T4_T5_T6_T7_T9_mT8_P12ihipStream_tbDpT10_ENKUlT_T0_E_clISt17integral_constantIbLb1EES19_IbLb0EEEEDaS15_S16_EUlS15_E_NS1_11comp_targetILNS1_3genE8ELNS1_11target_archE1030ELNS1_3gpuE2ELNS1_3repE0EEENS1_30default_config_static_selectorELNS0_4arch9wavefront6targetE0EEEvT1_
                                        ; -- End function
	.set _ZN7rocprim17ROCPRIM_400000_NS6detail17trampoline_kernelINS0_14default_configENS1_25partition_config_selectorILNS1_17partition_subalgoE9EllbEEZZNS1_14partition_implILS5_9ELb0ES3_jPlS8_PNS0_10empty_typeENS0_5tupleIJS8_S9_EEENSB_IJS8_SA_EEENS0_18inequality_wrapperIZN2at6native12_GLOBAL__N_124unique_dim_cuda_templateIfEESt5tupleIJNSF_6TensorESK_SK_EERKSK_lbbbEUlllE0_EEPmJS9_EEE10hipError_tPvRmT3_T4_T5_T6_T7_T9_mT8_P12ihipStream_tbDpT10_ENKUlT_T0_E_clISt17integral_constantIbLb1EES19_IbLb0EEEEDaS15_S16_EUlS15_E_NS1_11comp_targetILNS1_3genE8ELNS1_11target_archE1030ELNS1_3gpuE2ELNS1_3repE0EEENS1_30default_config_static_selectorELNS0_4arch9wavefront6targetE0EEEvT1_.num_vgpr, 0
	.set _ZN7rocprim17ROCPRIM_400000_NS6detail17trampoline_kernelINS0_14default_configENS1_25partition_config_selectorILNS1_17partition_subalgoE9EllbEEZZNS1_14partition_implILS5_9ELb0ES3_jPlS8_PNS0_10empty_typeENS0_5tupleIJS8_S9_EEENSB_IJS8_SA_EEENS0_18inequality_wrapperIZN2at6native12_GLOBAL__N_124unique_dim_cuda_templateIfEESt5tupleIJNSF_6TensorESK_SK_EERKSK_lbbbEUlllE0_EEPmJS9_EEE10hipError_tPvRmT3_T4_T5_T6_T7_T9_mT8_P12ihipStream_tbDpT10_ENKUlT_T0_E_clISt17integral_constantIbLb1EES19_IbLb0EEEEDaS15_S16_EUlS15_E_NS1_11comp_targetILNS1_3genE8ELNS1_11target_archE1030ELNS1_3gpuE2ELNS1_3repE0EEENS1_30default_config_static_selectorELNS0_4arch9wavefront6targetE0EEEvT1_.num_agpr, 0
	.set _ZN7rocprim17ROCPRIM_400000_NS6detail17trampoline_kernelINS0_14default_configENS1_25partition_config_selectorILNS1_17partition_subalgoE9EllbEEZZNS1_14partition_implILS5_9ELb0ES3_jPlS8_PNS0_10empty_typeENS0_5tupleIJS8_S9_EEENSB_IJS8_SA_EEENS0_18inequality_wrapperIZN2at6native12_GLOBAL__N_124unique_dim_cuda_templateIfEESt5tupleIJNSF_6TensorESK_SK_EERKSK_lbbbEUlllE0_EEPmJS9_EEE10hipError_tPvRmT3_T4_T5_T6_T7_T9_mT8_P12ihipStream_tbDpT10_ENKUlT_T0_E_clISt17integral_constantIbLb1EES19_IbLb0EEEEDaS15_S16_EUlS15_E_NS1_11comp_targetILNS1_3genE8ELNS1_11target_archE1030ELNS1_3gpuE2ELNS1_3repE0EEENS1_30default_config_static_selectorELNS0_4arch9wavefront6targetE0EEEvT1_.numbered_sgpr, 0
	.set _ZN7rocprim17ROCPRIM_400000_NS6detail17trampoline_kernelINS0_14default_configENS1_25partition_config_selectorILNS1_17partition_subalgoE9EllbEEZZNS1_14partition_implILS5_9ELb0ES3_jPlS8_PNS0_10empty_typeENS0_5tupleIJS8_S9_EEENSB_IJS8_SA_EEENS0_18inequality_wrapperIZN2at6native12_GLOBAL__N_124unique_dim_cuda_templateIfEESt5tupleIJNSF_6TensorESK_SK_EERKSK_lbbbEUlllE0_EEPmJS9_EEE10hipError_tPvRmT3_T4_T5_T6_T7_T9_mT8_P12ihipStream_tbDpT10_ENKUlT_T0_E_clISt17integral_constantIbLb1EES19_IbLb0EEEEDaS15_S16_EUlS15_E_NS1_11comp_targetILNS1_3genE8ELNS1_11target_archE1030ELNS1_3gpuE2ELNS1_3repE0EEENS1_30default_config_static_selectorELNS0_4arch9wavefront6targetE0EEEvT1_.num_named_barrier, 0
	.set _ZN7rocprim17ROCPRIM_400000_NS6detail17trampoline_kernelINS0_14default_configENS1_25partition_config_selectorILNS1_17partition_subalgoE9EllbEEZZNS1_14partition_implILS5_9ELb0ES3_jPlS8_PNS0_10empty_typeENS0_5tupleIJS8_S9_EEENSB_IJS8_SA_EEENS0_18inequality_wrapperIZN2at6native12_GLOBAL__N_124unique_dim_cuda_templateIfEESt5tupleIJNSF_6TensorESK_SK_EERKSK_lbbbEUlllE0_EEPmJS9_EEE10hipError_tPvRmT3_T4_T5_T6_T7_T9_mT8_P12ihipStream_tbDpT10_ENKUlT_T0_E_clISt17integral_constantIbLb1EES19_IbLb0EEEEDaS15_S16_EUlS15_E_NS1_11comp_targetILNS1_3genE8ELNS1_11target_archE1030ELNS1_3gpuE2ELNS1_3repE0EEENS1_30default_config_static_selectorELNS0_4arch9wavefront6targetE0EEEvT1_.private_seg_size, 0
	.set _ZN7rocprim17ROCPRIM_400000_NS6detail17trampoline_kernelINS0_14default_configENS1_25partition_config_selectorILNS1_17partition_subalgoE9EllbEEZZNS1_14partition_implILS5_9ELb0ES3_jPlS8_PNS0_10empty_typeENS0_5tupleIJS8_S9_EEENSB_IJS8_SA_EEENS0_18inequality_wrapperIZN2at6native12_GLOBAL__N_124unique_dim_cuda_templateIfEESt5tupleIJNSF_6TensorESK_SK_EERKSK_lbbbEUlllE0_EEPmJS9_EEE10hipError_tPvRmT3_T4_T5_T6_T7_T9_mT8_P12ihipStream_tbDpT10_ENKUlT_T0_E_clISt17integral_constantIbLb1EES19_IbLb0EEEEDaS15_S16_EUlS15_E_NS1_11comp_targetILNS1_3genE8ELNS1_11target_archE1030ELNS1_3gpuE2ELNS1_3repE0EEENS1_30default_config_static_selectorELNS0_4arch9wavefront6targetE0EEEvT1_.uses_vcc, 0
	.set _ZN7rocprim17ROCPRIM_400000_NS6detail17trampoline_kernelINS0_14default_configENS1_25partition_config_selectorILNS1_17partition_subalgoE9EllbEEZZNS1_14partition_implILS5_9ELb0ES3_jPlS8_PNS0_10empty_typeENS0_5tupleIJS8_S9_EEENSB_IJS8_SA_EEENS0_18inequality_wrapperIZN2at6native12_GLOBAL__N_124unique_dim_cuda_templateIfEESt5tupleIJNSF_6TensorESK_SK_EERKSK_lbbbEUlllE0_EEPmJS9_EEE10hipError_tPvRmT3_T4_T5_T6_T7_T9_mT8_P12ihipStream_tbDpT10_ENKUlT_T0_E_clISt17integral_constantIbLb1EES19_IbLb0EEEEDaS15_S16_EUlS15_E_NS1_11comp_targetILNS1_3genE8ELNS1_11target_archE1030ELNS1_3gpuE2ELNS1_3repE0EEENS1_30default_config_static_selectorELNS0_4arch9wavefront6targetE0EEEvT1_.uses_flat_scratch, 0
	.set _ZN7rocprim17ROCPRIM_400000_NS6detail17trampoline_kernelINS0_14default_configENS1_25partition_config_selectorILNS1_17partition_subalgoE9EllbEEZZNS1_14partition_implILS5_9ELb0ES3_jPlS8_PNS0_10empty_typeENS0_5tupleIJS8_S9_EEENSB_IJS8_SA_EEENS0_18inequality_wrapperIZN2at6native12_GLOBAL__N_124unique_dim_cuda_templateIfEESt5tupleIJNSF_6TensorESK_SK_EERKSK_lbbbEUlllE0_EEPmJS9_EEE10hipError_tPvRmT3_T4_T5_T6_T7_T9_mT8_P12ihipStream_tbDpT10_ENKUlT_T0_E_clISt17integral_constantIbLb1EES19_IbLb0EEEEDaS15_S16_EUlS15_E_NS1_11comp_targetILNS1_3genE8ELNS1_11target_archE1030ELNS1_3gpuE2ELNS1_3repE0EEENS1_30default_config_static_selectorELNS0_4arch9wavefront6targetE0EEEvT1_.has_dyn_sized_stack, 0
	.set _ZN7rocprim17ROCPRIM_400000_NS6detail17trampoline_kernelINS0_14default_configENS1_25partition_config_selectorILNS1_17partition_subalgoE9EllbEEZZNS1_14partition_implILS5_9ELb0ES3_jPlS8_PNS0_10empty_typeENS0_5tupleIJS8_S9_EEENSB_IJS8_SA_EEENS0_18inequality_wrapperIZN2at6native12_GLOBAL__N_124unique_dim_cuda_templateIfEESt5tupleIJNSF_6TensorESK_SK_EERKSK_lbbbEUlllE0_EEPmJS9_EEE10hipError_tPvRmT3_T4_T5_T6_T7_T9_mT8_P12ihipStream_tbDpT10_ENKUlT_T0_E_clISt17integral_constantIbLb1EES19_IbLb0EEEEDaS15_S16_EUlS15_E_NS1_11comp_targetILNS1_3genE8ELNS1_11target_archE1030ELNS1_3gpuE2ELNS1_3repE0EEENS1_30default_config_static_selectorELNS0_4arch9wavefront6targetE0EEEvT1_.has_recursion, 0
	.set _ZN7rocprim17ROCPRIM_400000_NS6detail17trampoline_kernelINS0_14default_configENS1_25partition_config_selectorILNS1_17partition_subalgoE9EllbEEZZNS1_14partition_implILS5_9ELb0ES3_jPlS8_PNS0_10empty_typeENS0_5tupleIJS8_S9_EEENSB_IJS8_SA_EEENS0_18inequality_wrapperIZN2at6native12_GLOBAL__N_124unique_dim_cuda_templateIfEESt5tupleIJNSF_6TensorESK_SK_EERKSK_lbbbEUlllE0_EEPmJS9_EEE10hipError_tPvRmT3_T4_T5_T6_T7_T9_mT8_P12ihipStream_tbDpT10_ENKUlT_T0_E_clISt17integral_constantIbLb1EES19_IbLb0EEEEDaS15_S16_EUlS15_E_NS1_11comp_targetILNS1_3genE8ELNS1_11target_archE1030ELNS1_3gpuE2ELNS1_3repE0EEENS1_30default_config_static_selectorELNS0_4arch9wavefront6targetE0EEEvT1_.has_indirect_call, 0
	.section	.AMDGPU.csdata,"",@progbits
; Kernel info:
; codeLenInByte = 0
; TotalNumSgprs: 0
; NumVgprs: 0
; ScratchSize: 0
; MemoryBound: 0
; FloatMode: 240
; IeeeMode: 1
; LDSByteSize: 0 bytes/workgroup (compile time only)
; SGPRBlocks: 0
; VGPRBlocks: 0
; NumSGPRsForWavesPerEU: 1
; NumVGPRsForWavesPerEU: 1
; NamedBarCnt: 0
; Occupancy: 16
; WaveLimiterHint : 0
; COMPUTE_PGM_RSRC2:SCRATCH_EN: 0
; COMPUTE_PGM_RSRC2:USER_SGPR: 2
; COMPUTE_PGM_RSRC2:TRAP_HANDLER: 0
; COMPUTE_PGM_RSRC2:TGID_X_EN: 1
; COMPUTE_PGM_RSRC2:TGID_Y_EN: 0
; COMPUTE_PGM_RSRC2:TGID_Z_EN: 0
; COMPUTE_PGM_RSRC2:TIDIG_COMP_CNT: 0
	.section	.text._ZN7rocprim17ROCPRIM_400000_NS6detail17trampoline_kernelINS0_14default_configENS1_25partition_config_selectorILNS1_17partition_subalgoE9EllbEEZZNS1_14partition_implILS5_9ELb0ES3_jPlS8_PNS0_10empty_typeENS0_5tupleIJS8_S9_EEENSB_IJS8_SA_EEENS0_18inequality_wrapperIZN2at6native12_GLOBAL__N_124unique_dim_cuda_templateIfEESt5tupleIJNSF_6TensorESK_SK_EERKSK_lbbbEUlllE0_EEPmJS9_EEE10hipError_tPvRmT3_T4_T5_T6_T7_T9_mT8_P12ihipStream_tbDpT10_ENKUlT_T0_E_clISt17integral_constantIbLb0EES19_IbLb1EEEEDaS15_S16_EUlS15_E_NS1_11comp_targetILNS1_3genE0ELNS1_11target_archE4294967295ELNS1_3gpuE0ELNS1_3repE0EEENS1_30default_config_static_selectorELNS0_4arch9wavefront6targetE0EEEvT1_,"axG",@progbits,_ZN7rocprim17ROCPRIM_400000_NS6detail17trampoline_kernelINS0_14default_configENS1_25partition_config_selectorILNS1_17partition_subalgoE9EllbEEZZNS1_14partition_implILS5_9ELb0ES3_jPlS8_PNS0_10empty_typeENS0_5tupleIJS8_S9_EEENSB_IJS8_SA_EEENS0_18inequality_wrapperIZN2at6native12_GLOBAL__N_124unique_dim_cuda_templateIfEESt5tupleIJNSF_6TensorESK_SK_EERKSK_lbbbEUlllE0_EEPmJS9_EEE10hipError_tPvRmT3_T4_T5_T6_T7_T9_mT8_P12ihipStream_tbDpT10_ENKUlT_T0_E_clISt17integral_constantIbLb0EES19_IbLb1EEEEDaS15_S16_EUlS15_E_NS1_11comp_targetILNS1_3genE0ELNS1_11target_archE4294967295ELNS1_3gpuE0ELNS1_3repE0EEENS1_30default_config_static_selectorELNS0_4arch9wavefront6targetE0EEEvT1_,comdat
	.globl	_ZN7rocprim17ROCPRIM_400000_NS6detail17trampoline_kernelINS0_14default_configENS1_25partition_config_selectorILNS1_17partition_subalgoE9EllbEEZZNS1_14partition_implILS5_9ELb0ES3_jPlS8_PNS0_10empty_typeENS0_5tupleIJS8_S9_EEENSB_IJS8_SA_EEENS0_18inequality_wrapperIZN2at6native12_GLOBAL__N_124unique_dim_cuda_templateIfEESt5tupleIJNSF_6TensorESK_SK_EERKSK_lbbbEUlllE0_EEPmJS9_EEE10hipError_tPvRmT3_T4_T5_T6_T7_T9_mT8_P12ihipStream_tbDpT10_ENKUlT_T0_E_clISt17integral_constantIbLb0EES19_IbLb1EEEEDaS15_S16_EUlS15_E_NS1_11comp_targetILNS1_3genE0ELNS1_11target_archE4294967295ELNS1_3gpuE0ELNS1_3repE0EEENS1_30default_config_static_selectorELNS0_4arch9wavefront6targetE0EEEvT1_ ; -- Begin function _ZN7rocprim17ROCPRIM_400000_NS6detail17trampoline_kernelINS0_14default_configENS1_25partition_config_selectorILNS1_17partition_subalgoE9EllbEEZZNS1_14partition_implILS5_9ELb0ES3_jPlS8_PNS0_10empty_typeENS0_5tupleIJS8_S9_EEENSB_IJS8_SA_EEENS0_18inequality_wrapperIZN2at6native12_GLOBAL__N_124unique_dim_cuda_templateIfEESt5tupleIJNSF_6TensorESK_SK_EERKSK_lbbbEUlllE0_EEPmJS9_EEE10hipError_tPvRmT3_T4_T5_T6_T7_T9_mT8_P12ihipStream_tbDpT10_ENKUlT_T0_E_clISt17integral_constantIbLb0EES19_IbLb1EEEEDaS15_S16_EUlS15_E_NS1_11comp_targetILNS1_3genE0ELNS1_11target_archE4294967295ELNS1_3gpuE0ELNS1_3repE0EEENS1_30default_config_static_selectorELNS0_4arch9wavefront6targetE0EEEvT1_
	.p2align	8
	.type	_ZN7rocprim17ROCPRIM_400000_NS6detail17trampoline_kernelINS0_14default_configENS1_25partition_config_selectorILNS1_17partition_subalgoE9EllbEEZZNS1_14partition_implILS5_9ELb0ES3_jPlS8_PNS0_10empty_typeENS0_5tupleIJS8_S9_EEENSB_IJS8_SA_EEENS0_18inequality_wrapperIZN2at6native12_GLOBAL__N_124unique_dim_cuda_templateIfEESt5tupleIJNSF_6TensorESK_SK_EERKSK_lbbbEUlllE0_EEPmJS9_EEE10hipError_tPvRmT3_T4_T5_T6_T7_T9_mT8_P12ihipStream_tbDpT10_ENKUlT_T0_E_clISt17integral_constantIbLb0EES19_IbLb1EEEEDaS15_S16_EUlS15_E_NS1_11comp_targetILNS1_3genE0ELNS1_11target_archE4294967295ELNS1_3gpuE0ELNS1_3repE0EEENS1_30default_config_static_selectorELNS0_4arch9wavefront6targetE0EEEvT1_,@function
_ZN7rocprim17ROCPRIM_400000_NS6detail17trampoline_kernelINS0_14default_configENS1_25partition_config_selectorILNS1_17partition_subalgoE9EllbEEZZNS1_14partition_implILS5_9ELb0ES3_jPlS8_PNS0_10empty_typeENS0_5tupleIJS8_S9_EEENSB_IJS8_SA_EEENS0_18inequality_wrapperIZN2at6native12_GLOBAL__N_124unique_dim_cuda_templateIfEESt5tupleIJNSF_6TensorESK_SK_EERKSK_lbbbEUlllE0_EEPmJS9_EEE10hipError_tPvRmT3_T4_T5_T6_T7_T9_mT8_P12ihipStream_tbDpT10_ENKUlT_T0_E_clISt17integral_constantIbLb0EES19_IbLb1EEEEDaS15_S16_EUlS15_E_NS1_11comp_targetILNS1_3genE0ELNS1_11target_archE4294967295ELNS1_3gpuE0ELNS1_3repE0EEENS1_30default_config_static_selectorELNS0_4arch9wavefront6targetE0EEEvT1_: ; @_ZN7rocprim17ROCPRIM_400000_NS6detail17trampoline_kernelINS0_14default_configENS1_25partition_config_selectorILNS1_17partition_subalgoE9EllbEEZZNS1_14partition_implILS5_9ELb0ES3_jPlS8_PNS0_10empty_typeENS0_5tupleIJS8_S9_EEENSB_IJS8_SA_EEENS0_18inequality_wrapperIZN2at6native12_GLOBAL__N_124unique_dim_cuda_templateIfEESt5tupleIJNSF_6TensorESK_SK_EERKSK_lbbbEUlllE0_EEPmJS9_EEE10hipError_tPvRmT3_T4_T5_T6_T7_T9_mT8_P12ihipStream_tbDpT10_ENKUlT_T0_E_clISt17integral_constantIbLb0EES19_IbLb1EEEEDaS15_S16_EUlS15_E_NS1_11comp_targetILNS1_3genE0ELNS1_11target_archE4294967295ELNS1_3gpuE0ELNS1_3repE0EEENS1_30default_config_static_selectorELNS0_4arch9wavefront6targetE0EEEvT1_
; %bb.0:
	s_clause 0x3
	s_load_b128 s[4:7], s[0:1], 0x8
	s_load_b64 s[24:25], s[0:1], 0x18
	s_load_b256 s[12:19], s[0:1], 0x40
	s_load_b128 s[8:11], s[0:1], 0x60
	v_cmp_ne_u32_e64 s3, 0, v0
	v_cmp_eq_u32_e64 s2, 0, v0
	s_and_saveexec_b32 s20, s2
	s_cbranch_execz .LBB985_4
; %bb.1:
	s_mov_b32 s22, exec_lo
	s_mov_b32 s21, exec_lo
	v_mbcnt_lo_u32_b32 v1, s22, 0
                                        ; implicit-def: $vgpr2
	s_delay_alu instid0(VALU_DEP_1)
	v_cmpx_eq_u32_e32 0, v1
	s_cbranch_execz .LBB985_3
; %bb.2:
	s_load_b64 s[26:27], s[0:1], 0x78
	s_bcnt1_i32_b32 s22, s22
	s_delay_alu instid0(SALU_CYCLE_1)
	v_dual_mov_b32 v2, 0 :: v_dual_mov_b32 v3, s22
	s_wait_xcnt 0x0
	s_wait_kmcnt 0x0
	global_atomic_add_u32 v2, v2, v3, s[26:27] th:TH_ATOMIC_RETURN scope:SCOPE_DEV
.LBB985_3:
	s_wait_xcnt 0x0
	s_or_b32 exec_lo, exec_lo, s21
	s_wait_loadcnt 0x0
	v_readfirstlane_b32 s21, v2
	s_delay_alu instid0(VALU_DEP_1)
	v_dual_mov_b32 v2, 0 :: v_dual_add_nc_u32 v1, s21, v1
	ds_store_b32 v2, v1
.LBB985_4:
	s_or_b32 exec_lo, exec_lo, s20
	v_mov_b32_e32 v1, 0
	s_clause 0x1
	s_load_b128 s[20:23], s[0:1], 0x28
	s_load_b32 s28, s[0:1], 0x70
	s_wait_dscnt 0x0
	s_barrier_signal -1
	s_barrier_wait -1
	ds_load_b32 v4, v1
	s_wait_dscnt 0x0
	s_barrier_signal -1
	s_barrier_wait -1
	s_wait_kmcnt 0x0
	global_load_b64 v[2:3], v1, s[14:15]
	s_wait_xcnt 0x0
	s_mov_b32 s15, 0
	s_lshl_b64 s[26:27], s[6:7], 3
	v_lshlrev_b32_e32 v1, 3, v0
	s_add_nc_u64 s[4:5], s[4:5], s[26:27]
	s_mov_b32 s1, -1
	s_mul_i32 s14, s28, 0x280
	s_add_co_i32 s28, s28, -1
	s_add_co_i32 s0, s14, s6
	s_add_nc_u64 s[34:35], s[6:7], s[14:15]
	s_sub_co_i32 s31, s16, s0
	v_readfirstlane_b32 s30, v4
	v_cmp_le_u64_e64 s0, s[16:17], s[34:35]
	s_addk_co_i32 s31, 0x280
	s_cmp_eq_u32 s30, s28
	s_mul_i32 s14, s30, 0x280
	s_cselect_b32 s28, -1, 0
	s_lshl_b64 s[16:17], s[14:15], 3
	s_and_b32 s33, s0, s28
	s_add_nc_u64 s[4:5], s[4:5], s[16:17]
	s_xor_b32 s29, s33, -1
	s_delay_alu instid0(SALU_CYCLE_1)
	s_and_b32 vcc_lo, exec_lo, s29
	s_wait_loadcnt 0x0
	v_readfirstlane_b32 s14, v2
	v_readfirstlane_b32 s15, v3
	s_cbranch_vccz .LBB985_6
; %bb.5:
	s_clause 0x4
	global_load_b64 v[2:3], v0, s[4:5] scale_offset
	global_load_b64 v[4:5], v0, s[4:5] offset:1024 scale_offset
	global_load_b64 v[6:7], v0, s[4:5] offset:2048 scale_offset
	;; [unrolled: 1-line block ×4, first 2 shown]
	v_lshlrev_b32_e32 v12, 3, v0
	s_mov_b32 s1, 0
	s_wait_loadcnt 0x3
	ds_store_2addr_stride64_b64 v12, v[2:3], v[4:5] offset1:2
	s_wait_loadcnt 0x1
	ds_store_2addr_stride64_b64 v12, v[6:7], v[8:9] offset0:4 offset1:6
	s_wait_loadcnt 0x0
	ds_store_b64 v12, v[10:11] offset:4096
	s_wait_dscnt 0x0
	s_barrier_signal -1
	s_barrier_wait -1
.LBB985_6:
	v_cmp_gt_u32_e64 s0, s31, v0
	s_and_not1_b32 vcc_lo, exec_lo, s1
	s_cbranch_vccnz .LBB985_18
; %bb.7:
	v_mov_b32_e32 v2, 0
	s_delay_alu instid0(VALU_DEP_1)
	v_dual_mov_b32 v3, v2 :: v_dual_mov_b32 v4, v2
	v_dual_mov_b32 v5, v2 :: v_dual_mov_b32 v6, v2
	;; [unrolled: 1-line block ×4, first 2 shown]
	v_mov_b32_e32 v11, v2
	s_and_saveexec_b32 s1, s0
	s_cbranch_execz .LBB985_9
; %bb.8:
	global_load_b64 v[4:5], v0, s[4:5] scale_offset
	v_dual_mov_b32 v6, v2 :: v_dual_mov_b32 v7, v2
	v_dual_mov_b32 v8, v2 :: v_dual_mov_b32 v9, v2
	;; [unrolled: 1-line block ×4, first 2 shown]
	s_wait_loadcnt 0x0
	v_mov_b64_e32 v[2:3], v[4:5]
	v_mov_b64_e32 v[4:5], v[6:7]
	;; [unrolled: 1-line block ×8, first 2 shown]
.LBB985_9:
	s_or_b32 exec_lo, exec_lo, s1
	v_or_b32_e32 v12, 0x80, v0
	s_mov_b32 s0, exec_lo
	s_delay_alu instid0(VALU_DEP_1)
	v_cmpx_gt_u32_e64 s31, v12
	s_cbranch_execz .LBB985_11
; %bb.10:
	global_load_b64 v[4:5], v0, s[4:5] offset:1024 scale_offset
.LBB985_11:
	s_wait_xcnt 0x0
	s_or_b32 exec_lo, exec_lo, s0
	v_or_b32_e32 v12, 0x100, v0
	s_mov_b32 s0, exec_lo
	s_delay_alu instid0(VALU_DEP_1)
	v_cmpx_gt_u32_e64 s31, v12
	s_cbranch_execz .LBB985_13
; %bb.12:
	global_load_b64 v[6:7], v0, s[4:5] offset:2048 scale_offset
.LBB985_13:
	s_wait_xcnt 0x0
	;; [unrolled: 10-line block ×4, first 2 shown]
	s_or_b32 exec_lo, exec_lo, s0
	v_lshlrev_b32_e32 v12, 3, v0
	s_wait_loadcnt 0x0
	ds_store_2addr_stride64_b64 v12, v[2:3], v[4:5] offset1:2
	ds_store_2addr_stride64_b64 v12, v[6:7], v[8:9] offset0:4 offset1:6
	ds_store_b64 v12, v[10:11] offset:4096
	s_wait_dscnt 0x0
	s_barrier_signal -1
	s_barrier_wait -1
.LBB985_18:
	v_mul_u32_u24_e32 v30, 5, v0
	s_add_nc_u64 s[0:1], s[24:25], s[26:27]
	s_and_b32 vcc_lo, exec_lo, s29
	s_add_nc_u64 s[0:1], s[0:1], s[16:17]
	s_delay_alu instid0(VALU_DEP_1)
	v_lshlrev_b32_e32 v31, 3, v30
	s_mov_b32 s16, -1
	ds_load_2addr_b64 v[14:17], v31 offset1:1
	ds_load_2addr_b64 v[10:13], v31 offset0:2 offset1:3
	ds_load_b64 v[20:21], v31 offset:32
	s_wait_dscnt 0x0
	s_barrier_signal -1
	s_barrier_wait -1
	s_cbranch_vccz .LBB985_20
; %bb.19:
	s_clause 0x4
	global_load_b64 v[2:3], v0, s[0:1] scale_offset
	global_load_b64 v[4:5], v0, s[0:1] offset:1024 scale_offset
	global_load_b64 v[6:7], v0, s[0:1] offset:2048 scale_offset
	global_load_b64 v[8:9], v0, s[0:1] offset:3072 scale_offset
	global_load_b64 v[18:19], v0, s[0:1] offset:4096 scale_offset
	v_lshlrev_b32_e32 v22, 3, v0
	s_mov_b32 s16, 0
	s_wait_loadcnt 0x3
	ds_store_2addr_stride64_b64 v22, v[2:3], v[4:5] offset1:2
	s_wait_loadcnt 0x1
	ds_store_2addr_stride64_b64 v22, v[6:7], v[8:9] offset0:4 offset1:6
	s_wait_loadcnt 0x0
	ds_store_b64 v22, v[18:19] offset:4096
	s_wait_dscnt 0x0
	s_barrier_signal -1
	s_barrier_wait -1
.LBB985_20:
	s_and_not1_b32 vcc_lo, exec_lo, s16
	s_cbranch_vccnz .LBB985_32
; %bb.21:
	s_mov_b32 s16, exec_lo
                                        ; implicit-def: $vgpr2_vgpr3
	v_cmpx_gt_u32_e64 s31, v0
	s_cbranch_execz .LBB985_23
; %bb.22:
	global_load_b64 v[2:3], v0, s[0:1] scale_offset
.LBB985_23:
	s_wait_xcnt 0x0
	s_or_b32 exec_lo, exec_lo, s16
	v_or_b32_e32 v4, 0x80, v0
	s_delay_alu instid0(VALU_DEP_1)
	v_cmp_gt_u32_e32 vcc_lo, s31, v4
                                        ; implicit-def: $vgpr4_vgpr5
	s_and_saveexec_b32 s16, vcc_lo
	s_cbranch_execz .LBB985_25
; %bb.24:
	global_load_b64 v[4:5], v0, s[0:1] offset:1024 scale_offset
.LBB985_25:
	s_wait_xcnt 0x0
	s_or_b32 exec_lo, exec_lo, s16
	v_or_b32_e32 v6, 0x100, v0
	s_delay_alu instid0(VALU_DEP_1)
	v_cmp_gt_u32_e32 vcc_lo, s31, v6
                                        ; implicit-def: $vgpr6_vgpr7
	s_and_saveexec_b32 s16, vcc_lo
	s_cbranch_execz .LBB985_27
; %bb.26:
	global_load_b64 v[6:7], v0, s[0:1] offset:2048 scale_offset
.LBB985_27:
	s_wait_xcnt 0x0
	s_or_b32 exec_lo, exec_lo, s16
	v_or_b32_e32 v8, 0x180, v0
	s_delay_alu instid0(VALU_DEP_1)
	v_cmp_gt_u32_e32 vcc_lo, s31, v8
                                        ; implicit-def: $vgpr8_vgpr9
	s_and_saveexec_b32 s16, vcc_lo
	s_cbranch_execz .LBB985_29
; %bb.28:
	global_load_b64 v[8:9], v0, s[0:1] offset:3072 scale_offset
.LBB985_29:
	s_wait_xcnt 0x0
	s_or_b32 exec_lo, exec_lo, s16
	v_or_b32_e32 v18, 0x200, v0
	s_delay_alu instid0(VALU_DEP_1)
	v_cmp_gt_u32_e32 vcc_lo, s31, v18
                                        ; implicit-def: $vgpr18_vgpr19
	s_and_saveexec_b32 s16, vcc_lo
	s_cbranch_execz .LBB985_31
; %bb.30:
	global_load_b64 v[18:19], v0, s[0:1] offset:4096 scale_offset
.LBB985_31:
	s_wait_xcnt 0x0
	s_or_b32 exec_lo, exec_lo, s16
	v_lshlrev_b32_e32 v22, 5, v0
	s_delay_alu instid0(VALU_DEP_1)
	v_sub_nc_u32_e32 v22, v31, v22
	s_wait_loadcnt 0x0
	ds_store_2addr_stride64_b64 v22, v[2:3], v[4:5] offset1:2
	ds_store_2addr_stride64_b64 v22, v[6:7], v[8:9] offset0:4 offset1:6
	ds_store_b64 v22, v[18:19] offset:4096
	s_wait_dscnt 0x0
	s_barrier_signal -1
	s_barrier_wait -1
.LBB985_32:
	ds_load_b64 v[18:19], v31 offset:32
	ds_load_2addr_b64 v[2:5], v31 offset0:2 offset1:3
	ds_load_2addr_b64 v[6:9], v31 offset1:1
	s_cmp_lg_u32 s30, 0
	s_wait_dscnt 0x0
	s_cselect_b32 s16, -1, 0
	s_cmp_lg_u64 s[6:7], 0
	v_cmp_gt_i64_e64 s7, s[18:19], 0
	s_cselect_b32 s0, -1, 0
	s_mov_b32 s6, 0
	s_or_b32 s0, s0, s16
	s_barrier_signal -1
	s_and_b32 vcc_lo, exec_lo, s0
	s_barrier_wait -1
	s_cbranch_vccz .LBB985_44
; %bb.33:
	v_dual_mov_b32 v26, 0 :: v_dual_lshlrev_b32 v33, 3, v0
	v_cndmask_b32_e64 v32, 0, 1, s7
	s_and_b32 vcc_lo, exec_lo, s29
	global_load_b64 v[22:23], v26, s[4:5] offset:-8
	ds_store_b64 v33, v[20:21]
	v_cmp_ne_u32_e64 s0, 1, v32
	s_cbranch_vccz .LBB985_46
; %bb.34:
	s_and_b32 vcc_lo, exec_lo, s0
	s_cbranch_vccnz .LBB985_47
; %bb.35:
	v_mul_u64_e32 v[24:25], s[18:19], v[12:13]
	s_wait_xcnt 0x0
	v_mul_u64_e32 v[26:27], s[18:19], v[20:21]
	s_add_nc_u64 s[4:5], s[18:19], -1
	s_mov_b32 s17, 0
	s_mov_b64 s[0:1], s[4:5]
                                        ; implicit-def: $sgpr6
	s_delay_alu instid0(VALU_DEP_2) | instskip(NEXT) | instid1(VALU_DEP_2)
	v_lshl_add_u64 v[24:25], v[24:25], 2, s[8:9]
	v_lshl_add_u64 v[26:27], v[26:27], 2, s[8:9]
	s_delay_alu instid0(VALU_DEP_2)
	v_mov_b64_e32 v[28:29], v[24:25]
.LBB985_36:                             ; =>This Inner Loop Header: Depth=1
	global_load_b32 v34, v[28:29], off
	global_load_b32 v35, v[26:27], off
	s_cmp_eq_u64 s[0:1], 0
	s_add_nc_u64 s[24:25], s[0:1], -1
	s_cselect_b32 s1, -1, 0
	s_wait_xcnt 0x1
	v_add_nc_u64_e32 v[28:29], 4, v[28:29]
	s_wait_xcnt 0x0
	v_add_nc_u64_e32 v[26:27], 4, v[26:27]
	s_wait_loadcnt 0x0
	v_cmp_neq_f32_e32 vcc_lo, v34, v35
	v_cmp_eq_f32_e64 s0, v34, v35
	s_or_b32 s1, vcc_lo, s1
	s_delay_alu instid0(SALU_CYCLE_1) | instskip(NEXT) | instid1(SALU_CYCLE_1)
	s_and_b32 s1, exec_lo, s1
	s_or_b32 s17, s1, s17
	s_and_not1_b32 s6, s6, exec_lo
	s_and_b32 s26, s0, exec_lo
	s_mov_b64 s[0:1], s[24:25]
	s_or_b32 s6, s6, s26
	s_and_not1_b32 exec_lo, exec_lo, s17
	s_cbranch_execnz .LBB985_36
; %bb.37:
	s_or_b32 exec_lo, exec_lo, s17
	v_mul_u64_e32 v[26:27], s[18:19], v[10:11]
	s_mov_b32 s24, 0
	s_mov_b64 s[0:1], s[4:5]
                                        ; implicit-def: $sgpr17
	s_delay_alu instid0(VALU_DEP_1) | instskip(NEXT) | instid1(VALU_DEP_1)
	v_lshl_add_u64 v[26:27], v[26:27], 2, s[8:9]
	v_mov_b64_e32 v[28:29], v[26:27]
.LBB985_38:                             ; =>This Inner Loop Header: Depth=1
	global_load_b32 v34, v[28:29], off
	global_load_b32 v35, v[24:25], off
	s_cmp_eq_u64 s[0:1], 0
	s_add_nc_u64 s[26:27], s[0:1], -1
	s_cselect_b32 s1, -1, 0
	s_wait_xcnt 0x1
	v_add_nc_u64_e32 v[28:29], 4, v[28:29]
	s_wait_xcnt 0x0
	v_add_nc_u64_e32 v[24:25], 4, v[24:25]
	s_wait_loadcnt 0x0
	v_cmp_neq_f32_e32 vcc_lo, v34, v35
	v_cmp_eq_f32_e64 s0, v34, v35
	s_or_b32 s1, vcc_lo, s1
	s_delay_alu instid0(SALU_CYCLE_1) | instskip(NEXT) | instid1(SALU_CYCLE_1)
	s_and_b32 s1, exec_lo, s1
	s_or_b32 s24, s1, s24
	s_and_not1_b32 s17, s17, exec_lo
	s_and_b32 s25, s0, exec_lo
	s_mov_b64 s[0:1], s[26:27]
	s_or_b32 s17, s17, s25
	s_and_not1_b32 exec_lo, exec_lo, s24
	s_cbranch_execnz .LBB985_38
; %bb.39:
	s_or_b32 exec_lo, exec_lo, s24
	v_mul_u64_e32 v[24:25], s[18:19], v[16:17]
	s_mov_b32 s25, 0
	s_mov_b64 s[0:1], s[4:5]
                                        ; implicit-def: $sgpr24
	s_delay_alu instid0(VALU_DEP_1) | instskip(NEXT) | instid1(VALU_DEP_1)
	v_lshl_add_u64 v[24:25], v[24:25], 2, s[8:9]
	v_mov_b64_e32 v[28:29], v[24:25]
.LBB985_40:                             ; =>This Inner Loop Header: Depth=1
	global_load_b32 v34, v[28:29], off
	global_load_b32 v35, v[26:27], off
	s_cmp_eq_u64 s[0:1], 0
	s_add_nc_u64 s[26:27], s[0:1], -1
	s_cselect_b32 s1, -1, 0
	s_wait_xcnt 0x1
	v_add_nc_u64_e32 v[28:29], 4, v[28:29]
	s_wait_xcnt 0x0
	v_add_nc_u64_e32 v[26:27], 4, v[26:27]
	s_wait_loadcnt 0x0
	v_cmp_neq_f32_e32 vcc_lo, v34, v35
	v_cmp_eq_f32_e64 s0, v34, v35
	s_or_b32 s1, vcc_lo, s1
	s_delay_alu instid0(SALU_CYCLE_1) | instskip(NEXT) | instid1(SALU_CYCLE_1)
	s_and_b32 s1, exec_lo, s1
	s_or_b32 s25, s1, s25
	s_and_not1_b32 s24, s24, exec_lo
	s_and_b32 s34, s0, exec_lo
	s_mov_b64 s[0:1], s[26:27]
	s_or_b32 s24, s24, s34
	s_and_not1_b32 exec_lo, exec_lo, s25
	s_cbranch_execnz .LBB985_40
; %bb.41:
	s_or_b32 exec_lo, exec_lo, s25
	v_mul_u64_e32 v[26:27], s[18:19], v[14:15]
	s_mov_b32 s25, 0
                                        ; implicit-def: $sgpr1
	s_delay_alu instid0(VALU_DEP_1)
	v_lshl_add_u64 v[26:27], v[26:27], 2, s[8:9]
.LBB985_42:                             ; =>This Inner Loop Header: Depth=1
	global_load_b32 v28, v[26:27], off
	global_load_b32 v29, v[24:25], off
	s_cmp_eq_u64 s[4:5], 0
	s_add_nc_u64 s[26:27], s[4:5], -1
	s_cselect_b32 s4, -1, 0
	s_wait_xcnt 0x1
	v_add_nc_u64_e32 v[26:27], 4, v[26:27]
	s_wait_xcnt 0x0
	v_add_nc_u64_e32 v[24:25], 4, v[24:25]
	s_wait_loadcnt 0x0
	v_cmp_neq_f32_e32 vcc_lo, v28, v29
	v_cmp_eq_f32_e64 s0, v28, v29
	s_or_b32 s4, vcc_lo, s4
	s_delay_alu instid0(SALU_CYCLE_1) | instskip(NEXT) | instid1(SALU_CYCLE_1)
	s_and_b32 s4, exec_lo, s4
	s_or_b32 s25, s4, s25
	s_and_not1_b32 s1, s1, exec_lo
	s_and_b32 s0, s0, exec_lo
	s_mov_b64 s[4:5], s[26:27]
	s_or_b32 s1, s1, s0
	s_and_not1_b32 exec_lo, exec_lo, s25
	s_cbranch_execnz .LBB985_42
; %bb.43:
	s_or_b32 exec_lo, exec_lo, s25
	s_xor_b32 s0, s17, -1
	s_delay_alu instid0(SALU_CYCLE_1) | instskip(SKIP_1) | instid1(SALU_CYCLE_1)
	v_cndmask_b32_e64 v24, 0, 1, s0
	s_xor_b32 s0, s24, -1
	v_cndmask_b32_e64 v25, 0, 1, s0
	s_xor_b32 s0, s6, -1
	s_delay_alu instid0(VALU_DEP_2) | instskip(SKIP_2) | instid1(VALU_DEP_2)
	v_lshlrev_b16 v24, 8, v24
	v_cndmask_b32_e64 v34, 0, 1, s0
	s_xor_b32 s0, s1, -1
	v_lshrrev_b32_e32 v24, 8, v24
	s_delay_alu instid0(VALU_DEP_1) | instskip(NEXT) | instid1(VALU_DEP_1)
	v_lshlrev_b16 v24, 8, v24
	v_or_b32_e32 v24, v25, v24
	s_delay_alu instid0(VALU_DEP_1)
	v_lshlrev_b32_e32 v26, 16, v24
	s_branch .LBB985_48
.LBB985_44:
                                        ; implicit-def: $sgpr0
                                        ; implicit-def: $vgpr34
                                        ; implicit-def: $vgpr25
	s_branch .LBB985_89
.LBB985_45:
                                        ; implicit-def: $vgpr24
                                        ; implicit-def: $vgpr23
                                        ; implicit-def: $vgpr35
                                        ; implicit-def: $vgpr22
	s_branch .LBB985_142
.LBB985_46:
	s_wait_xcnt 0x0
                                        ; implicit-def: $sgpr0
                                        ; implicit-def: $vgpr34
                                        ; implicit-def: $vgpr25
	s_cbranch_execnz .LBB985_55
	s_branch .LBB985_88
.LBB985_47:
	v_mov_b32_e32 v34, 0
	s_mov_b32 s0, 0
.LBB985_48:
	s_wait_loadcnt 0x0
	v_mov_b64_e32 v[24:25], v[22:23]
	s_wait_dscnt 0x0
	s_barrier_signal -1
	s_barrier_wait -1
	s_and_saveexec_b32 s1, s3
; %bb.49:
	v_add_nc_u32_e32 v24, -8, v33
	ds_load_b64 v[24:25], v24
; %bb.50:
	s_or_b32 exec_lo, exec_lo, s1
	v_cndmask_b32_e64 v27, 0, 1, s0
	v_lshrrev_b32_e32 v28, 16, v26
	s_mov_b32 s4, 0
	s_and_not1_b32 vcc_lo, exec_lo, s7
	s_mov_b32 s0, 0
	v_lshlrev_b16 v27, 8, v27
	v_perm_b32 v28, v28, v26, 0xc0c0304
	s_delay_alu instid0(VALU_DEP_2) | instskip(NEXT) | instid1(VALU_DEP_1)
	v_bitop3_b16 v27, v26, v27, 0xff bitop3:0xec
	v_and_b32_e32 v29, 0xffff, v27
	s_cbranch_vccnz .LBB985_54
; %bb.51:
	s_wait_dscnt 0x0
	v_mul_u64_e32 v[24:25], s[18:19], v[24:25]
	v_mul_u64_e32 v[26:27], s[18:19], v[14:15]
	s_add_nc_u64 s[0:1], s[18:19], -1
	s_mov_b32 s5, 0
                                        ; implicit-def: $sgpr6
	s_delay_alu instid0(VALU_DEP_2) | instskip(NEXT) | instid1(VALU_DEP_2)
	v_lshl_add_u64 v[24:25], v[24:25], 2, s[8:9]
	v_lshl_add_u64 v[26:27], v[26:27], 2, s[8:9]
.LBB985_52:                             ; =>This Inner Loop Header: Depth=1
	global_load_b32 v35, v[24:25], off
	global_load_b32 v36, v[26:27], off
	s_cmp_eq_u64 s[0:1], 0
	s_add_nc_u64 s[24:25], s[0:1], -1
	s_cselect_b32 s1, -1, 0
	s_wait_xcnt 0x1
	v_add_nc_u64_e32 v[24:25], 4, v[24:25]
	s_wait_xcnt 0x0
	v_add_nc_u64_e32 v[26:27], 4, v[26:27]
	s_wait_loadcnt 0x0
	v_cmp_neq_f32_e32 vcc_lo, v35, v36
	v_cmp_eq_f32_e64 s0, v35, v36
	s_or_b32 s1, vcc_lo, s1
	s_delay_alu instid0(SALU_CYCLE_1) | instskip(NEXT) | instid1(SALU_CYCLE_1)
	s_and_b32 s1, exec_lo, s1
	s_or_b32 s5, s1, s5
	s_and_not1_b32 s6, s6, exec_lo
	s_and_b32 s17, s0, exec_lo
	s_mov_b64 s[0:1], s[24:25]
	s_or_b32 s6, s6, s17
	s_and_not1_b32 exec_lo, exec_lo, s5
	s_cbranch_execnz .LBB985_52
; %bb.53:
	s_or_b32 exec_lo, exec_lo, s5
	s_xor_b32 s0, s6, -1
.LBB985_54:
	s_wait_dscnt 0x0
	s_delay_alu instid0(VALU_DEP_1)
	v_lshl_or_b32 v25, v28, 16, v29
	s_and_b32 vcc_lo, exec_lo, s4
	s_cbranch_vccz .LBB985_88
.LBB985_55:
	v_add_nc_u32_e32 v24, 4, v30
	s_mov_b32 s5, 0
	s_mov_b32 s4, 0
	s_mov_b32 s6, exec_lo
	s_delay_alu instid0(VALU_DEP_1)
	v_cmpx_gt_u32_e64 s31, v24
	s_cbranch_execz .LBB985_61
; %bb.56:
	s_and_not1_b32 vcc_lo, exec_lo, s7
	s_mov_b32 s0, 0
	s_cbranch_vccnz .LBB985_60
; %bb.57:
	v_mul_u64_e32 v[24:25], s[18:19], v[12:13]
	v_mul_u64_e32 v[26:27], s[18:19], v[20:21]
	s_add_nc_u64 s[0:1], s[18:19], -1
                                        ; implicit-def: $sgpr7
	s_delay_alu instid0(VALU_DEP_2) | instskip(NEXT) | instid1(VALU_DEP_2)
	v_lshl_add_u64 v[24:25], v[24:25], 2, s[8:9]
	v_lshl_add_u64 v[26:27], v[26:27], 2, s[8:9]
.LBB985_58:                             ; =>This Inner Loop Header: Depth=1
	global_load_b32 v28, v[24:25], off
	global_load_b32 v29, v[26:27], off
	s_cmp_eq_u64 s[0:1], 0
	s_add_nc_u64 s[24:25], s[0:1], -1
	s_cselect_b32 s1, -1, 0
	s_wait_xcnt 0x1
	v_add_nc_u64_e32 v[24:25], 4, v[24:25]
	s_wait_xcnt 0x0
	v_add_nc_u64_e32 v[26:27], 4, v[26:27]
	s_wait_loadcnt 0x0
	v_cmp_neq_f32_e32 vcc_lo, v28, v29
	v_cmp_eq_f32_e64 s0, v28, v29
	s_or_b32 s1, vcc_lo, s1
	s_delay_alu instid0(SALU_CYCLE_1) | instskip(NEXT) | instid1(SALU_CYCLE_1)
	s_and_b32 s1, exec_lo, s1
	s_or_b32 s4, s1, s4
	s_and_not1_b32 s7, s7, exec_lo
	s_and_b32 s17, s0, exec_lo
	s_mov_b64 s[0:1], s[24:25]
	s_or_b32 s7, s7, s17
	s_and_not1_b32 exec_lo, exec_lo, s4
	s_cbranch_execnz .LBB985_58
; %bb.59:
	s_or_b32 exec_lo, exec_lo, s4
	s_xor_b32 s0, s7, -1
.LBB985_60:
	s_delay_alu instid0(SALU_CYCLE_1)
	s_and_b32 s4, s0, exec_lo
.LBB985_61:
	s_or_b32 exec_lo, exec_lo, s6
	v_add_nc_u32_e32 v24, 3, v30
	s_mov_b32 s6, exec_lo
	s_delay_alu instid0(VALU_DEP_1)
	v_cmpx_gt_u32_e64 s31, v24
	s_cbranch_execz .LBB985_67
; %bb.62:
	v_cmp_ne_u32_e32 vcc_lo, 1, v32
	s_mov_b32 s0, 0
	s_cbranch_vccnz .LBB985_66
; %bb.63:
	v_mul_u64_e32 v[24:25], s[18:19], v[10:11]
	v_mul_u64_e32 v[26:27], s[18:19], v[12:13]
	s_add_nc_u64 s[0:1], s[18:19], -1
	s_mov_b32 s5, 0
                                        ; implicit-def: $sgpr7
	s_delay_alu instid0(VALU_DEP_2) | instskip(NEXT) | instid1(VALU_DEP_2)
	v_lshl_add_u64 v[24:25], v[24:25], 2, s[8:9]
	v_lshl_add_u64 v[26:27], v[26:27], 2, s[8:9]
.LBB985_64:                             ; =>This Inner Loop Header: Depth=1
	global_load_b32 v28, v[24:25], off
	global_load_b32 v29, v[26:27], off
	s_cmp_eq_u64 s[0:1], 0
	s_add_nc_u64 s[24:25], s[0:1], -1
	s_cselect_b32 s1, -1, 0
	s_wait_xcnt 0x1
	v_add_nc_u64_e32 v[24:25], 4, v[24:25]
	s_wait_xcnt 0x0
	v_add_nc_u64_e32 v[26:27], 4, v[26:27]
	s_wait_loadcnt 0x0
	v_cmp_neq_f32_e32 vcc_lo, v28, v29
	v_cmp_eq_f32_e64 s0, v28, v29
	s_or_b32 s1, vcc_lo, s1
	s_delay_alu instid0(SALU_CYCLE_1) | instskip(NEXT) | instid1(SALU_CYCLE_1)
	s_and_b32 s1, exec_lo, s1
	s_or_b32 s5, s1, s5
	s_and_not1_b32 s7, s7, exec_lo
	s_and_b32 s17, s0, exec_lo
	s_mov_b64 s[0:1], s[24:25]
	s_or_b32 s7, s7, s17
	s_and_not1_b32 exec_lo, exec_lo, s5
	s_cbranch_execnz .LBB985_64
; %bb.65:
	s_or_b32 exec_lo, exec_lo, s5
	s_xor_b32 s0, s7, -1
.LBB985_66:
	s_delay_alu instid0(SALU_CYCLE_1)
	s_and_b32 s5, s0, exec_lo
.LBB985_67:
	s_or_b32 exec_lo, exec_lo, s6
	v_add_nc_u32_e32 v24, 2, v30
	s_mov_b32 s6, 0
	s_mov_b32 s7, 0
	s_mov_b32 s17, exec_lo
	s_delay_alu instid0(VALU_DEP_1)
	v_cmpx_gt_u32_e64 s31, v24
	s_cbranch_execz .LBB985_73
; %bb.68:
	v_cmp_ne_u32_e32 vcc_lo, 1, v32
	s_mov_b32 s0, 0
	s_cbranch_vccnz .LBB985_72
; %bb.69:
	v_mul_u64_e32 v[24:25], s[18:19], v[16:17]
	v_mul_u64_e32 v[26:27], s[18:19], v[10:11]
	s_add_nc_u64 s[0:1], s[18:19], -1
                                        ; implicit-def: $sgpr24
	s_delay_alu instid0(VALU_DEP_2) | instskip(NEXT) | instid1(VALU_DEP_2)
	v_lshl_add_u64 v[24:25], v[24:25], 2, s[8:9]
	v_lshl_add_u64 v[26:27], v[26:27], 2, s[8:9]
.LBB985_70:                             ; =>This Inner Loop Header: Depth=1
	global_load_b32 v28, v[24:25], off
	global_load_b32 v29, v[26:27], off
	s_cmp_eq_u64 s[0:1], 0
	s_add_nc_u64 s[26:27], s[0:1], -1
	s_cselect_b32 s1, -1, 0
	s_wait_xcnt 0x1
	v_add_nc_u64_e32 v[24:25], 4, v[24:25]
	s_wait_xcnt 0x0
	v_add_nc_u64_e32 v[26:27], 4, v[26:27]
	s_wait_loadcnt 0x0
	v_cmp_neq_f32_e32 vcc_lo, v28, v29
	v_cmp_eq_f32_e64 s0, v28, v29
	s_or_b32 s1, vcc_lo, s1
	s_delay_alu instid0(SALU_CYCLE_1) | instskip(NEXT) | instid1(SALU_CYCLE_1)
	s_and_b32 s1, exec_lo, s1
	s_or_b32 s7, s1, s7
	s_and_not1_b32 s24, s24, exec_lo
	s_and_b32 s25, s0, exec_lo
	s_mov_b64 s[0:1], s[26:27]
	s_or_b32 s24, s24, s25
	s_and_not1_b32 exec_lo, exec_lo, s7
	s_cbranch_execnz .LBB985_70
; %bb.71:
	s_or_b32 exec_lo, exec_lo, s7
	s_xor_b32 s0, s24, -1
.LBB985_72:
	s_delay_alu instid0(SALU_CYCLE_1)
	s_and_b32 s7, s0, exec_lo
.LBB985_73:
	s_or_b32 exec_lo, exec_lo, s17
	v_add_nc_u32_e32 v24, 1, v30
	s_mov_b32 s17, exec_lo
	s_delay_alu instid0(VALU_DEP_1)
	v_cmpx_gt_u32_e64 s31, v24
	s_cbranch_execz .LBB985_79
; %bb.74:
	v_cmp_ne_u32_e32 vcc_lo, 1, v32
	s_mov_b32 s0, 0
	s_cbranch_vccnz .LBB985_78
; %bb.75:
	v_mul_u64_e32 v[24:25], s[18:19], v[14:15]
	v_mul_u64_e32 v[26:27], s[18:19], v[16:17]
	s_add_nc_u64 s[0:1], s[18:19], -1
	s_mov_b32 s6, 0
                                        ; implicit-def: $sgpr24
	s_delay_alu instid0(VALU_DEP_2) | instskip(NEXT) | instid1(VALU_DEP_2)
	v_lshl_add_u64 v[24:25], v[24:25], 2, s[8:9]
	v_lshl_add_u64 v[26:27], v[26:27], 2, s[8:9]
.LBB985_76:                             ; =>This Inner Loop Header: Depth=1
	global_load_b32 v28, v[24:25], off
	global_load_b32 v29, v[26:27], off
	s_cmp_eq_u64 s[0:1], 0
	s_add_nc_u64 s[26:27], s[0:1], -1
	s_cselect_b32 s1, -1, 0
	s_wait_xcnt 0x1
	v_add_nc_u64_e32 v[24:25], 4, v[24:25]
	s_wait_xcnt 0x0
	v_add_nc_u64_e32 v[26:27], 4, v[26:27]
	s_wait_loadcnt 0x0
	v_cmp_neq_f32_e32 vcc_lo, v28, v29
	v_cmp_eq_f32_e64 s0, v28, v29
	s_or_b32 s1, vcc_lo, s1
	s_delay_alu instid0(SALU_CYCLE_1) | instskip(NEXT) | instid1(SALU_CYCLE_1)
	s_and_b32 s1, exec_lo, s1
	s_or_b32 s6, s1, s6
	s_and_not1_b32 s24, s24, exec_lo
	s_and_b32 s25, s0, exec_lo
	s_mov_b64 s[0:1], s[26:27]
	s_or_b32 s24, s24, s25
	s_and_not1_b32 exec_lo, exec_lo, s6
	s_cbranch_execnz .LBB985_76
; %bb.77:
	s_or_b32 exec_lo, exec_lo, s6
	s_xor_b32 s0, s24, -1
.LBB985_78:
	s_delay_alu instid0(SALU_CYCLE_1)
	s_and_b32 s6, s0, exec_lo
.LBB985_79:
	s_or_b32 exec_lo, exec_lo, s17
	s_wait_loadcnt_dscnt 0x0
	s_barrier_signal -1
	s_barrier_wait -1
	s_and_saveexec_b32 s0, s3
; %bb.80:
	v_add_nc_u32_e32 v22, -8, v33
	ds_load_b64 v[22:23], v22
; %bb.81:
	s_or_b32 exec_lo, exec_lo, s0
	v_cndmask_b32_e64 v24, 0, 1, s5
	v_cndmask_b32_e64 v25, 0, 1, s7
	;; [unrolled: 1-line block ×3, first 2 shown]
	s_mov_b32 s0, 0
	s_mov_b32 s5, exec_lo
	v_lshlrev_b16 v24, 8, v24
	s_delay_alu instid0(VALU_DEP_2) | instskip(NEXT) | instid1(VALU_DEP_2)
	v_lshlrev_b16 v26, 8, v26
	v_or_b32_e32 v24, v25, v24
	s_delay_alu instid0(VALU_DEP_2) | instskip(NEXT) | instid1(VALU_DEP_2)
	v_and_b32_e32 v26, 0xffff, v26
	v_lshlrev_b32_e32 v27, 16, v24
	v_cmpx_gt_u32_e64 s31, v30
	s_cbranch_execz .LBB985_87
; %bb.82:
	v_cmp_ne_u32_e32 vcc_lo, 1, v32
	s_cbranch_vccnz .LBB985_86
; %bb.83:
	s_wait_dscnt 0x0
	v_mul_u64_e32 v[22:23], s[18:19], v[22:23]
	v_mul_u64_e32 v[24:25], s[18:19], v[14:15]
	s_add_nc_u64 s[0:1], s[18:19], -1
	s_mov_b32 s6, 0
                                        ; implicit-def: $sgpr7
	s_delay_alu instid0(VALU_DEP_2) | instskip(NEXT) | instid1(VALU_DEP_2)
	v_lshl_add_u64 v[22:23], v[22:23], 2, s[8:9]
	v_lshl_add_u64 v[24:25], v[24:25], 2, s[8:9]
.LBB985_84:                             ; =>This Inner Loop Header: Depth=1
	global_load_b32 v28, v[22:23], off
	global_load_b32 v29, v[24:25], off
	s_cmp_eq_u64 s[0:1], 0
	s_add_nc_u64 s[24:25], s[0:1], -1
	s_cselect_b32 s1, -1, 0
	s_wait_xcnt 0x1
	v_add_nc_u64_e32 v[22:23], 4, v[22:23]
	s_wait_xcnt 0x0
	v_add_nc_u64_e32 v[24:25], 4, v[24:25]
	s_wait_loadcnt 0x0
	v_cmp_neq_f32_e32 vcc_lo, v28, v29
	v_cmp_eq_f32_e64 s0, v28, v29
	s_or_b32 s1, vcc_lo, s1
	s_delay_alu instid0(SALU_CYCLE_1) | instskip(NEXT) | instid1(SALU_CYCLE_1)
	s_and_b32 s1, exec_lo, s1
	s_or_b32 s6, s1, s6
	s_and_not1_b32 s7, s7, exec_lo
	s_and_b32 s17, s0, exec_lo
	s_mov_b64 s[0:1], s[24:25]
	s_or_b32 s7, s7, s17
	s_and_not1_b32 exec_lo, exec_lo, s6
	s_cbranch_execnz .LBB985_84
; %bb.85:
	s_or_b32 exec_lo, exec_lo, s6
	s_xor_b32 s0, s7, -1
.LBB985_86:
	s_delay_alu instid0(SALU_CYCLE_1)
	s_and_b32 s0, s0, exec_lo
.LBB985_87:
	s_or_b32 exec_lo, exec_lo, s5
	v_cndmask_b32_e64 v34, 0, 1, s4
	v_or_b32_e32 v25, v26, v27
.LBB985_88:
	s_mov_b32 s6, -1
	s_cbranch_execnz .LBB985_45
.LBB985_89:
	s_wait_loadcnt_dscnt 0x0
	v_lshlrev_b32_e32 v22, 5, v0
	v_cmp_gt_i64_e64 s7, s[18:19], 0
	s_and_b32 vcc_lo, exec_lo, s29
	v_sub_nc_u32_e32 v31, v31, v22
	ds_store_b64 v31, v[20:21]
	s_cbranch_vccz .LBB985_100
; %bb.90:
	s_and_not1_b32 vcc_lo, exec_lo, s7
	s_cbranch_vccnz .LBB985_101
; %bb.91:
	v_mul_u64_e32 v[22:23], s[18:19], v[12:13]
	v_mul_u64_e32 v[24:25], s[18:19], v[20:21]
	s_add_nc_u64 s[4:5], s[18:19], -1
	s_mov_b32 s24, 0
	s_mov_b64 s[0:1], s[4:5]
                                        ; implicit-def: $sgpr17
	s_delay_alu instid0(VALU_DEP_2) | instskip(NEXT) | instid1(VALU_DEP_2)
	v_lshl_add_u64 v[22:23], v[22:23], 2, s[8:9]
	v_lshl_add_u64 v[24:25], v[24:25], 2, s[8:9]
	s_delay_alu instid0(VALU_DEP_2)
	v_mov_b64_e32 v[26:27], v[22:23]
.LBB985_92:                             ; =>This Inner Loop Header: Depth=1
	global_load_b32 v28, v[26:27], off
	global_load_b32 v29, v[24:25], off
	s_cmp_eq_u64 s[0:1], 0
	s_add_nc_u64 s[26:27], s[0:1], -1
	s_cselect_b32 s1, -1, 0
	s_wait_xcnt 0x1
	v_add_nc_u64_e32 v[26:27], 4, v[26:27]
	s_wait_xcnt 0x0
	v_add_nc_u64_e32 v[24:25], 4, v[24:25]
	s_wait_loadcnt 0x0
	v_cmp_neq_f32_e32 vcc_lo, v28, v29
	v_cmp_eq_f32_e64 s0, v28, v29
	s_or_b32 s1, vcc_lo, s1
	s_delay_alu instid0(SALU_CYCLE_1) | instskip(NEXT) | instid1(SALU_CYCLE_1)
	s_and_b32 s1, exec_lo, s1
	s_or_b32 s24, s1, s24
	s_and_not1_b32 s17, s17, exec_lo
	s_and_b32 s25, s0, exec_lo
	s_mov_b64 s[0:1], s[26:27]
	s_or_b32 s17, s17, s25
	s_and_not1_b32 exec_lo, exec_lo, s24
	s_cbranch_execnz .LBB985_92
; %bb.93:
	s_or_b32 exec_lo, exec_lo, s24
	v_mul_u64_e32 v[24:25], s[18:19], v[10:11]
	s_mov_b32 s25, 0
	s_mov_b64 s[0:1], s[4:5]
                                        ; implicit-def: $sgpr24
	s_delay_alu instid0(VALU_DEP_1) | instskip(NEXT) | instid1(VALU_DEP_1)
	v_lshl_add_u64 v[24:25], v[24:25], 2, s[8:9]
	v_mov_b64_e32 v[26:27], v[24:25]
.LBB985_94:                             ; =>This Inner Loop Header: Depth=1
	global_load_b32 v28, v[26:27], off
	global_load_b32 v29, v[22:23], off
	s_cmp_eq_u64 s[0:1], 0
	s_add_nc_u64 s[26:27], s[0:1], -1
	s_cselect_b32 s1, -1, 0
	s_wait_xcnt 0x1
	v_add_nc_u64_e32 v[26:27], 4, v[26:27]
	s_wait_xcnt 0x0
	v_add_nc_u64_e32 v[22:23], 4, v[22:23]
	s_wait_loadcnt 0x0
	v_cmp_neq_f32_e32 vcc_lo, v28, v29
	v_cmp_eq_f32_e64 s0, v28, v29
	s_or_b32 s1, vcc_lo, s1
	s_delay_alu instid0(SALU_CYCLE_1) | instskip(NEXT) | instid1(SALU_CYCLE_1)
	s_and_b32 s1, exec_lo, s1
	s_or_b32 s25, s1, s25
	s_and_not1_b32 s24, s24, exec_lo
	s_and_b32 s34, s0, exec_lo
	s_mov_b64 s[0:1], s[26:27]
	s_or_b32 s24, s24, s34
	s_and_not1_b32 exec_lo, exec_lo, s25
	s_cbranch_execnz .LBB985_94
; %bb.95:
	s_or_b32 exec_lo, exec_lo, s25
	v_mul_u64_e32 v[22:23], s[18:19], v[16:17]
	s_mov_b32 s26, 0
	s_mov_b64 s[0:1], s[4:5]
                                        ; implicit-def: $sgpr25
	s_delay_alu instid0(VALU_DEP_1) | instskip(NEXT) | instid1(VALU_DEP_1)
	v_lshl_add_u64 v[22:23], v[22:23], 2, s[8:9]
	v_mov_b64_e32 v[26:27], v[22:23]
.LBB985_96:                             ; =>This Inner Loop Header: Depth=1
	global_load_b32 v28, v[26:27], off
	global_load_b32 v29, v[24:25], off
	s_cmp_eq_u64 s[0:1], 0
	s_add_nc_u64 s[34:35], s[0:1], -1
	s_cselect_b32 s1, -1, 0
	s_wait_xcnt 0x1
	v_add_nc_u64_e32 v[26:27], 4, v[26:27]
	s_wait_xcnt 0x0
	v_add_nc_u64_e32 v[24:25], 4, v[24:25]
	s_wait_loadcnt 0x0
	v_cmp_neq_f32_e32 vcc_lo, v28, v29
	v_cmp_eq_f32_e64 s0, v28, v29
	s_or_b32 s1, vcc_lo, s1
	s_delay_alu instid0(SALU_CYCLE_1) | instskip(NEXT) | instid1(SALU_CYCLE_1)
	s_and_b32 s1, exec_lo, s1
	s_or_b32 s26, s1, s26
	s_and_not1_b32 s25, s25, exec_lo
	s_and_b32 s27, s0, exec_lo
	s_mov_b64 s[0:1], s[34:35]
	s_or_b32 s25, s25, s27
	s_and_not1_b32 exec_lo, exec_lo, s26
	s_cbranch_execnz .LBB985_96
; %bb.97:
	s_or_b32 exec_lo, exec_lo, s26
	v_mul_u64_e32 v[24:25], s[18:19], v[14:15]
	s_mov_b32 s26, 0
                                        ; implicit-def: $sgpr1
	s_delay_alu instid0(VALU_DEP_1)
	v_lshl_add_u64 v[24:25], v[24:25], 2, s[8:9]
.LBB985_98:                             ; =>This Inner Loop Header: Depth=1
	global_load_b32 v26, v[24:25], off
	global_load_b32 v27, v[22:23], off
	s_cmp_eq_u64 s[4:5], 0
	s_add_nc_u64 s[34:35], s[4:5], -1
	s_cselect_b32 s4, -1, 0
	s_wait_xcnt 0x1
	v_add_nc_u64_e32 v[24:25], 4, v[24:25]
	s_wait_xcnt 0x0
	v_add_nc_u64_e32 v[22:23], 4, v[22:23]
	s_wait_loadcnt 0x0
	v_cmp_neq_f32_e32 vcc_lo, v26, v27
	v_cmp_eq_f32_e64 s0, v26, v27
	s_or_b32 s4, vcc_lo, s4
	s_delay_alu instid0(SALU_CYCLE_1) | instskip(NEXT) | instid1(SALU_CYCLE_1)
	s_and_b32 s4, exec_lo, s4
	s_or_b32 s26, s4, s26
	s_and_not1_b32 s1, s1, exec_lo
	s_and_b32 s0, s0, exec_lo
	s_mov_b64 s[4:5], s[34:35]
	s_or_b32 s1, s1, s0
	s_and_not1_b32 exec_lo, exec_lo, s26
	s_cbranch_execnz .LBB985_98
; %bb.99:
	s_or_b32 exec_lo, exec_lo, s26
	s_xor_b32 s0, s24, -1
	s_delay_alu instid0(SALU_CYCLE_1) | instskip(SKIP_1) | instid1(SALU_CYCLE_1)
	v_cndmask_b32_e64 v22, 0, 1, s0
	s_xor_b32 s0, s25, -1
	v_cndmask_b32_e64 v23, 0, 1, s0
	s_xor_b32 s0, s17, -1
	s_delay_alu instid0(VALU_DEP_2) | instskip(SKIP_2) | instid1(VALU_DEP_2)
	v_lshlrev_b16 v22, 8, v22
	v_cndmask_b32_e64 v34, 0, 1, s0
	s_xor_b32 s0, s1, -1
	v_lshrrev_b32_e32 v22, 8, v22
	s_delay_alu instid0(VALU_DEP_1) | instskip(NEXT) | instid1(VALU_DEP_1)
	v_lshlrev_b16 v22, 8, v22
	v_or_b32_e32 v22, v23, v22
	s_delay_alu instid0(VALU_DEP_1)
	v_lshlrev_b32_e32 v22, 16, v22
	s_branch .LBB985_102
.LBB985_100:
                                        ; implicit-def: $sgpr0
                                        ; implicit-def: $vgpr34
                                        ; implicit-def: $vgpr25
                                        ; implicit-def: $vgpr24
                                        ; implicit-def: $vgpr23
                                        ; implicit-def: $vgpr35
                                        ; implicit-def: $vgpr22
	s_cbranch_execnz .LBB985_109
	s_branch .LBB985_142
.LBB985_101:
	v_dual_mov_b32 v22, 0 :: v_dual_mov_b32 v34, 0
	s_mov_b32 s0, 0
.LBB985_102:
	s_delay_alu instid0(VALU_DEP_1)
	v_dual_lshrrev_b32 v35, 16, v22 :: v_dual_lshrrev_b32 v22, 24, v22
	v_cndmask_b32_e64 v23, 0, 1, s0
	v_mov_b32_e32 v24, 1
	s_wait_dscnt 0x0
	s_barrier_signal -1
	s_barrier_wait -1
                                        ; implicit-def: $sgpr0
                                        ; implicit-def: $vgpr25
	s_and_saveexec_b32 s1, s3
	s_delay_alu instid0(SALU_CYCLE_1)
	s_xor_b32 s4, exec_lo, s1
	s_cbranch_execz .LBB985_108
; %bb.103:
	v_lshlrev_b16 v25, 8, v22
	v_lshlrev_b16 v26, 8, v23
	s_and_not1_b32 vcc_lo, exec_lo, s7
	s_mov_b32 s0, 0
	s_delay_alu instid0(VALU_DEP_2) | instskip(NEXT) | instid1(VALU_DEP_1)
	v_bitop3_b16 v25, v35, v25, 0xff bitop3:0xec
	v_dual_lshlrev_b32 v25, 16, v25 :: v_dual_bitop2_b32 v26, 1, v26 bitop3:0x54
	s_delay_alu instid0(VALU_DEP_1) | instskip(NEXT) | instid1(VALU_DEP_1)
	v_and_b32_e32 v26, 0xffff, v26
	v_or_b32_e32 v25, v26, v25
	s_cbranch_vccnz .LBB985_107
; %bb.104:
	v_add_nc_u32_e32 v26, -8, v31
	v_mul_u64_e32 v[28:29], s[18:19], v[14:15]
	s_add_nc_u64 s[0:1], s[18:19], -1
	s_mov_b32 s5, 0
                                        ; implicit-def: $sgpr17
	ds_load_b64 v[26:27], v26
	s_wait_dscnt 0x0
	v_mul_u64_e32 v[26:27], s[18:19], v[26:27]
	v_lshl_add_u64 v[28:29], v[28:29], 2, s[8:9]
	s_delay_alu instid0(VALU_DEP_2)
	v_lshl_add_u64 v[26:27], v[26:27], 2, s[8:9]
.LBB985_105:                            ; =>This Inner Loop Header: Depth=1
	global_load_b32 v32, v[26:27], off
	global_load_b32 v33, v[28:29], off
	s_cmp_eq_u64 s[0:1], 0
	s_add_nc_u64 s[24:25], s[0:1], -1
	s_cselect_b32 s1, -1, 0
	s_wait_xcnt 0x1
	v_add_nc_u64_e32 v[26:27], 4, v[26:27]
	s_wait_xcnt 0x0
	v_add_nc_u64_e32 v[28:29], 4, v[28:29]
	s_wait_loadcnt 0x0
	v_cmp_neq_f32_e32 vcc_lo, v32, v33
	v_cmp_eq_f32_e64 s0, v32, v33
	s_or_b32 s1, vcc_lo, s1
	s_delay_alu instid0(SALU_CYCLE_1) | instskip(NEXT) | instid1(SALU_CYCLE_1)
	s_and_b32 s1, exec_lo, s1
	s_or_b32 s5, s1, s5
	s_and_not1_b32 s17, s17, exec_lo
	s_and_b32 s26, s0, exec_lo
	s_mov_b64 s[0:1], s[24:25]
	s_or_b32 s17, s17, s26
	s_and_not1_b32 exec_lo, exec_lo, s5
	s_cbranch_execnz .LBB985_105
; %bb.106:
	s_or_b32 exec_lo, exec_lo, s5
	s_xor_b32 s0, s17, -1
.LBB985_107:
	s_delay_alu instid0(VALU_DEP_1)
	v_perm_b32 v25, v25, v25, 0x3020104
	s_or_b32 s6, s6, exec_lo
.LBB985_108:
	s_or_b32 exec_lo, exec_lo, s4
	s_branch .LBB985_142
.LBB985_109:
	v_add_nc_u32_e32 v22, 4, v30
	s_mov_b32 s4, 0
	s_mov_b32 s5, 0
	s_mov_b32 s17, exec_lo
	s_delay_alu instid0(VALU_DEP_1)
	v_cmpx_gt_u32_e64 s31, v22
	s_cbranch_execz .LBB985_115
; %bb.110:
	s_and_not1_b32 vcc_lo, exec_lo, s7
	s_mov_b32 s0, 0
	s_cbranch_vccnz .LBB985_114
; %bb.111:
	v_mul_u64_e32 v[22:23], s[18:19], v[12:13]
	v_mul_u64_e32 v[24:25], s[18:19], v[20:21]
	s_add_nc_u64 s[0:1], s[18:19], -1
                                        ; implicit-def: $sgpr24
	s_delay_alu instid0(VALU_DEP_2) | instskip(NEXT) | instid1(VALU_DEP_2)
	v_lshl_add_u64 v[22:23], v[22:23], 2, s[8:9]
	v_lshl_add_u64 v[24:25], v[24:25], 2, s[8:9]
.LBB985_112:                            ; =>This Inner Loop Header: Depth=1
	global_load_b32 v26, v[22:23], off
	global_load_b32 v27, v[24:25], off
	s_cmp_eq_u64 s[0:1], 0
	s_add_nc_u64 s[26:27], s[0:1], -1
	s_cselect_b32 s1, -1, 0
	s_wait_xcnt 0x1
	v_add_nc_u64_e32 v[22:23], 4, v[22:23]
	s_wait_xcnt 0x0
	v_add_nc_u64_e32 v[24:25], 4, v[24:25]
	s_wait_loadcnt 0x0
	v_cmp_neq_f32_e32 vcc_lo, v26, v27
	v_cmp_eq_f32_e64 s0, v26, v27
	s_or_b32 s1, vcc_lo, s1
	s_delay_alu instid0(SALU_CYCLE_1) | instskip(NEXT) | instid1(SALU_CYCLE_1)
	s_and_b32 s1, exec_lo, s1
	s_or_b32 s5, s1, s5
	s_and_not1_b32 s24, s24, exec_lo
	s_and_b32 s25, s0, exec_lo
	s_mov_b64 s[0:1], s[26:27]
	s_or_b32 s24, s24, s25
	s_and_not1_b32 exec_lo, exec_lo, s5
	s_cbranch_execnz .LBB985_112
; %bb.113:
	s_or_b32 exec_lo, exec_lo, s5
	s_xor_b32 s0, s24, -1
.LBB985_114:
	s_delay_alu instid0(SALU_CYCLE_1)
	s_and_b32 s5, s0, exec_lo
.LBB985_115:
	s_or_b32 exec_lo, exec_lo, s17
	v_add_nc_u32_e32 v22, 3, v30
	s_mov_b32 s17, exec_lo
	s_delay_alu instid0(VALU_DEP_1)
	v_cmpx_gt_u32_e64 s31, v22
	s_cbranch_execz .LBB985_121
; %bb.116:
	s_and_not1_b32 vcc_lo, exec_lo, s7
	s_mov_b32 s0, 0
	s_cbranch_vccnz .LBB985_120
; %bb.117:
	v_mul_u64_e32 v[22:23], s[18:19], v[10:11]
	v_mul_u64_e32 v[24:25], s[18:19], v[12:13]
	s_add_nc_u64 s[0:1], s[18:19], -1
	s_mov_b32 s4, 0
                                        ; implicit-def: $sgpr24
	s_delay_alu instid0(VALU_DEP_2) | instskip(NEXT) | instid1(VALU_DEP_2)
	v_lshl_add_u64 v[22:23], v[22:23], 2, s[8:9]
	v_lshl_add_u64 v[24:25], v[24:25], 2, s[8:9]
.LBB985_118:                            ; =>This Inner Loop Header: Depth=1
	global_load_b32 v26, v[22:23], off
	global_load_b32 v27, v[24:25], off
	s_cmp_eq_u64 s[0:1], 0
	s_add_nc_u64 s[26:27], s[0:1], -1
	s_cselect_b32 s1, -1, 0
	s_wait_xcnt 0x1
	v_add_nc_u64_e32 v[22:23], 4, v[22:23]
	s_wait_xcnt 0x0
	v_add_nc_u64_e32 v[24:25], 4, v[24:25]
	s_wait_loadcnt 0x0
	v_cmp_neq_f32_e32 vcc_lo, v26, v27
	v_cmp_eq_f32_e64 s0, v26, v27
	s_or_b32 s1, vcc_lo, s1
	s_delay_alu instid0(SALU_CYCLE_1) | instskip(NEXT) | instid1(SALU_CYCLE_1)
	s_and_b32 s1, exec_lo, s1
	s_or_b32 s4, s1, s4
	s_and_not1_b32 s24, s24, exec_lo
	s_and_b32 s25, s0, exec_lo
	s_mov_b64 s[0:1], s[26:27]
	s_or_b32 s24, s24, s25
	s_and_not1_b32 exec_lo, exec_lo, s4
	s_cbranch_execnz .LBB985_118
; %bb.119:
	s_or_b32 exec_lo, exec_lo, s4
	s_xor_b32 s0, s24, -1
.LBB985_120:
	s_delay_alu instid0(SALU_CYCLE_1)
	s_and_b32 s4, s0, exec_lo
.LBB985_121:
	s_or_b32 exec_lo, exec_lo, s17
	v_add_nc_u32_e32 v22, 2, v30
	s_mov_b32 s17, 0
	s_mov_b32 s24, 0
	s_mov_b32 s25, exec_lo
	s_delay_alu instid0(VALU_DEP_1)
	v_cmpx_gt_u32_e64 s31, v22
	s_cbranch_execz .LBB985_127
; %bb.122:
	s_and_not1_b32 vcc_lo, exec_lo, s7
	s_mov_b32 s0, 0
	s_cbranch_vccnz .LBB985_126
; %bb.123:
	v_mul_u64_e32 v[22:23], s[18:19], v[16:17]
	v_mul_u64_e32 v[24:25], s[18:19], v[10:11]
	s_add_nc_u64 s[0:1], s[18:19], -1
                                        ; implicit-def: $sgpr26
	s_delay_alu instid0(VALU_DEP_2) | instskip(NEXT) | instid1(VALU_DEP_2)
	v_lshl_add_u64 v[22:23], v[22:23], 2, s[8:9]
	v_lshl_add_u64 v[24:25], v[24:25], 2, s[8:9]
.LBB985_124:                            ; =>This Inner Loop Header: Depth=1
	global_load_b32 v26, v[22:23], off
	global_load_b32 v27, v[24:25], off
	s_cmp_eq_u64 s[0:1], 0
	s_add_nc_u64 s[34:35], s[0:1], -1
	s_cselect_b32 s1, -1, 0
	s_wait_xcnt 0x1
	v_add_nc_u64_e32 v[22:23], 4, v[22:23]
	s_wait_xcnt 0x0
	v_add_nc_u64_e32 v[24:25], 4, v[24:25]
	s_wait_loadcnt 0x0
	v_cmp_neq_f32_e32 vcc_lo, v26, v27
	v_cmp_eq_f32_e64 s0, v26, v27
	s_or_b32 s1, vcc_lo, s1
	s_delay_alu instid0(SALU_CYCLE_1) | instskip(NEXT) | instid1(SALU_CYCLE_1)
	s_and_b32 s1, exec_lo, s1
	s_or_b32 s24, s1, s24
	s_and_not1_b32 s26, s26, exec_lo
	s_and_b32 s27, s0, exec_lo
	s_mov_b64 s[0:1], s[34:35]
	s_or_b32 s26, s26, s27
	s_and_not1_b32 exec_lo, exec_lo, s24
	s_cbranch_execnz .LBB985_124
; %bb.125:
	s_or_b32 exec_lo, exec_lo, s24
	s_xor_b32 s0, s26, -1
.LBB985_126:
	s_delay_alu instid0(SALU_CYCLE_1)
	s_and_b32 s24, s0, exec_lo
.LBB985_127:
	s_or_b32 exec_lo, exec_lo, s25
	v_add_nc_u32_e32 v22, 1, v30
	s_mov_b32 s25, exec_lo
	s_delay_alu instid0(VALU_DEP_1)
	v_cmpx_gt_u32_e64 s31, v22
	s_cbranch_execz .LBB985_133
; %bb.128:
	s_and_not1_b32 vcc_lo, exec_lo, s7
	s_mov_b32 s0, 0
	s_cbranch_vccnz .LBB985_132
; %bb.129:
	v_mul_u64_e32 v[22:23], s[18:19], v[14:15]
	v_mul_u64_e32 v[24:25], s[18:19], v[16:17]
	s_add_nc_u64 s[0:1], s[18:19], -1
	s_mov_b32 s17, 0
                                        ; implicit-def: $sgpr26
	s_delay_alu instid0(VALU_DEP_2) | instskip(NEXT) | instid1(VALU_DEP_2)
	v_lshl_add_u64 v[22:23], v[22:23], 2, s[8:9]
	v_lshl_add_u64 v[24:25], v[24:25], 2, s[8:9]
.LBB985_130:                            ; =>This Inner Loop Header: Depth=1
	global_load_b32 v26, v[22:23], off
	global_load_b32 v27, v[24:25], off
	s_cmp_eq_u64 s[0:1], 0
	s_add_nc_u64 s[34:35], s[0:1], -1
	s_cselect_b32 s1, -1, 0
	s_wait_xcnt 0x1
	v_add_nc_u64_e32 v[22:23], 4, v[22:23]
	s_wait_xcnt 0x0
	v_add_nc_u64_e32 v[24:25], 4, v[24:25]
	s_wait_loadcnt 0x0
	v_cmp_neq_f32_e32 vcc_lo, v26, v27
	v_cmp_eq_f32_e64 s0, v26, v27
	s_or_b32 s1, vcc_lo, s1
	s_delay_alu instid0(SALU_CYCLE_1) | instskip(NEXT) | instid1(SALU_CYCLE_1)
	s_and_b32 s1, exec_lo, s1
	s_or_b32 s17, s1, s17
	s_and_not1_b32 s26, s26, exec_lo
	s_and_b32 s27, s0, exec_lo
	s_mov_b64 s[0:1], s[34:35]
	s_or_b32 s26, s26, s27
	s_and_not1_b32 exec_lo, exec_lo, s17
	s_cbranch_execnz .LBB985_130
; %bb.131:
	s_or_b32 exec_lo, exec_lo, s17
	s_xor_b32 s0, s26, -1
.LBB985_132:
	s_delay_alu instid0(SALU_CYCLE_1)
	s_and_b32 s17, s0, exec_lo
.LBB985_133:
	s_or_b32 exec_lo, exec_lo, s25
	v_cndmask_b32_e64 v34, 0, 1, s5
	v_cndmask_b32_e64 v35, 0, 1, s24
	;; [unrolled: 1-line block ×4, first 2 shown]
	v_mov_b32_e32 v24, 1
	s_wait_dscnt 0x0
	s_barrier_signal -1
	s_barrier_wait -1
                                        ; implicit-def: $sgpr0
                                        ; implicit-def: $vgpr25
	s_and_saveexec_b32 s4, s3
	s_cbranch_execz .LBB985_141
; %bb.134:
	v_lshlrev_b16 v25, 8, v23
	v_lshlrev_b16 v26, 8, v22
	s_mov_b32 s0, 0
	s_mov_b32 s3, exec_lo
	s_delay_alu instid0(VALU_DEP_1) | instskip(NEXT) | instid1(VALU_DEP_1)
	v_or_b32_e32 v26, v35, v26
	v_dual_lshlrev_b32 v26, 16, v26 :: v_dual_bitop2_b32 v25, 1, v25 bitop3:0x54
	s_delay_alu instid0(VALU_DEP_1) | instskip(NEXT) | instid1(VALU_DEP_1)
	v_and_b32_e32 v25, 0xffff, v25
	v_or_b32_e32 v25, v25, v26
	v_cmpx_gt_u32_e64 s31, v30
	s_cbranch_execz .LBB985_140
; %bb.135:
	s_and_not1_b32 vcc_lo, exec_lo, s7
	s_cbranch_vccnz .LBB985_139
; %bb.136:
	v_add_nc_u32_e32 v26, -8, v31
	v_mul_u64_e32 v[28:29], s[18:19], v[14:15]
	s_add_nc_u64 s[0:1], s[18:19], -1
	s_mov_b32 s5, 0
                                        ; implicit-def: $sgpr7
	ds_load_b64 v[26:27], v26
	s_wait_dscnt 0x0
	v_mul_u64_e32 v[26:27], s[18:19], v[26:27]
	v_lshl_add_u64 v[28:29], v[28:29], 2, s[8:9]
	s_delay_alu instid0(VALU_DEP_2)
	v_lshl_add_u64 v[26:27], v[26:27], 2, s[8:9]
.LBB985_137:                            ; =>This Inner Loop Header: Depth=1
	global_load_b32 v31, v[26:27], off
	global_load_b32 v32, v[28:29], off
	s_cmp_eq_u64 s[0:1], 0
	s_add_nc_u64 s[8:9], s[0:1], -1
	s_cselect_b32 s1, -1, 0
	s_wait_xcnt 0x1
	v_add_nc_u64_e32 v[26:27], 4, v[26:27]
	s_wait_xcnt 0x0
	v_add_nc_u64_e32 v[28:29], 4, v[28:29]
	s_wait_loadcnt 0x0
	v_cmp_neq_f32_e32 vcc_lo, v31, v32
	v_cmp_eq_f32_e64 s0, v31, v32
	s_or_b32 s1, vcc_lo, s1
	s_delay_alu instid0(SALU_CYCLE_1) | instskip(NEXT) | instid1(SALU_CYCLE_1)
	s_and_b32 s1, exec_lo, s1
	s_or_b32 s5, s1, s5
	s_and_not1_b32 s7, s7, exec_lo
	s_and_b32 s17, s0, exec_lo
	s_mov_b64 s[0:1], s[8:9]
	s_or_b32 s7, s7, s17
	s_and_not1_b32 exec_lo, exec_lo, s5
	s_cbranch_execnz .LBB985_137
; %bb.138:
	s_or_b32 exec_lo, exec_lo, s5
	s_xor_b32 s0, s7, -1
.LBB985_139:
	s_delay_alu instid0(SALU_CYCLE_1)
	s_and_b32 s0, s0, exec_lo
.LBB985_140:
	s_or_b32 exec_lo, exec_lo, s3
	s_delay_alu instid0(VALU_DEP_2)
	v_perm_b32 v25, v25, v25, 0x3020104
	s_or_b32 s6, s6, exec_lo
.LBB985_141:
	s_or_b32 exec_lo, exec_lo, s4
.LBB985_142:
	s_and_saveexec_b32 s1, s6
	s_cbranch_execz .LBB985_144
; %bb.143:
	s_wait_loadcnt_dscnt 0x0
	v_dual_lshrrev_b32 v22, 24, v25 :: v_dual_lshrrev_b32 v35, 16, v25
	v_lshrrev_b32_e32 v23, 8, v25
	v_cndmask_b32_e64 v24, 0, 1, s0
.LBB985_144:
	s_or_b32 exec_lo, exec_lo, s1
	s_delay_alu instid0(SALU_CYCLE_1)
	s_and_not1_b32 vcc_lo, exec_lo, s33
	s_cbranch_vccnz .LBB985_148
; %bb.145:
	s_wait_loadcnt_dscnt 0x0
	v_perm_b32 v23, v24, v23, 0xc0c0004
	v_perm_b32 v22, v35, v22, 0xc0c0004
	v_cmp_gt_u32_e32 vcc_lo, s31, v30
	v_dual_add_nc_u32 v24, 1, v30 :: v_dual_add_nc_u32 v26, 4, v30
	v_and_b32_e32 v34, 0xff, v34
	s_delay_alu instid0(VALU_DEP_4) | instskip(SKIP_1) | instid1(VALU_DEP_2)
	v_lshl_or_b32 v22, v22, 16, v23
	s_mov_b32 s0, exec_lo
	v_and_b32_e32 v25, 0xffff, v34
	s_delay_alu instid0(VALU_DEP_2) | instskip(SKIP_2) | instid1(VALU_DEP_3)
	v_cndmask_b32_e32 v23, 0, v22, vcc_lo
	v_cmp_gt_u32_e32 vcc_lo, s31, v24
	v_add_nc_u32_e32 v24, 2, v30
	v_and_b32_e32 v23, 0xff, v23
	s_delay_alu instid0(VALU_DEP_1) | instskip(NEXT) | instid1(VALU_DEP_3)
	v_cndmask_b32_e32 v23, v23, v22, vcc_lo
	v_cmp_gt_u32_e32 vcc_lo, s31, v24
	v_add_nc_u32_e32 v24, 3, v30
	s_delay_alu instid0(VALU_DEP_3) | instskip(NEXT) | instid1(VALU_DEP_1)
	v_and_b32_e32 v23, 0xffff, v23
	v_cndmask_b32_e32 v23, v23, v22, vcc_lo
	s_delay_alu instid0(VALU_DEP_3) | instskip(NEXT) | instid1(VALU_DEP_2)
	v_cmp_gt_u32_e32 vcc_lo, s31, v24
	v_and_b32_e32 v23, 0xffffff, v23
	s_delay_alu instid0(VALU_DEP_1) | instskip(NEXT) | instid1(VALU_DEP_1)
	v_cndmask_b32_e32 v24, v23, v22, vcc_lo
	v_lshrrev_b64 v[22:23], 24, v[24:25]
	v_dual_lshrrev_b32 v35, 16, v24 :: v_dual_lshrrev_b32 v23, 8, v24
	v_cmpx_le_u32_e64 s31, v26
; %bb.146:
	v_mov_b32_e32 v34, 0
; %bb.147:
	s_or_b32 exec_lo, exec_lo, s0
.LBB985_148:
	s_delay_alu instid0(VALU_DEP_1)
	v_and_b32_e32 v25, 0xff, v24
	s_wait_loadcnt_dscnt 0x0
	v_and_b32_e32 v36, 0xff, v23
	v_and_b32_e32 v37, 0xff, v35
	v_mbcnt_lo_u32_b32 v39, -1, 0
	v_and_b32_e32 v38, 0xff, v22
	v_and_b32_e32 v26, 0xff, v34
	v_lshrrev_b32_e32 v40, 5, v0
	v_add3_u32 v27, v36, v25, v37
	v_and_b32_e32 v28, 15, v39
	s_and_b32 vcc_lo, exec_lo, s16
	s_mov_b32 s7, -1
	s_delay_alu instid0(VALU_DEP_2)
	v_add3_u32 v41, v27, v38, v26
	v_and_b32_e32 v26, 16, v39
	v_or_b32_e32 v27, 31, v0
	v_cmp_eq_u32_e64 s3, 0, v28
	v_cmp_lt_u32_e64 s5, 1, v28
	v_cmp_lt_u32_e64 s6, 3, v28
	;; [unrolled: 1-line block ×3, first 2 shown]
	v_cmp_eq_u32_e64 s1, 0, v26
	v_cmp_eq_u32_e64 s0, v0, v27
	s_barrier_signal -1
	s_barrier_wait -1
                                        ; implicit-def: $vgpr30
                                        ; implicit-def: $vgpr31
                                        ; implicit-def: $vgpr32
                                        ; implicit-def: $vgpr33
                                        ; implicit-def: $vgpr42
                                        ; implicit-def: $vgpr28
                                        ; implicit-def: $vgpr26
	s_cbranch_vccz .LBB985_175
; %bb.149:
	v_mov_b32_dpp v26, v41 row_shr:1 row_mask:0xf bank_mask:0xf
	s_delay_alu instid0(VALU_DEP_1) | instskip(NEXT) | instid1(VALU_DEP_1)
	v_cndmask_b32_e64 v26, v26, 0, s3
	v_add_nc_u32_e32 v26, v26, v41
	s_delay_alu instid0(VALU_DEP_1) | instskip(NEXT) | instid1(VALU_DEP_1)
	v_mov_b32_dpp v27, v26 row_shr:2 row_mask:0xf bank_mask:0xf
	v_cndmask_b32_e64 v27, 0, v27, s5
	s_delay_alu instid0(VALU_DEP_1) | instskip(NEXT) | instid1(VALU_DEP_1)
	v_add_nc_u32_e32 v26, v26, v27
	v_mov_b32_dpp v27, v26 row_shr:4 row_mask:0xf bank_mask:0xf
	s_delay_alu instid0(VALU_DEP_1) | instskip(NEXT) | instid1(VALU_DEP_1)
	v_cndmask_b32_e64 v27, 0, v27, s6
	v_add_nc_u32_e32 v26, v26, v27
	s_delay_alu instid0(VALU_DEP_1) | instskip(NEXT) | instid1(VALU_DEP_1)
	v_mov_b32_dpp v27, v26 row_shr:8 row_mask:0xf bank_mask:0xf
	v_cndmask_b32_e64 v27, 0, v27, s4
	s_delay_alu instid0(VALU_DEP_1) | instskip(SKIP_3) | instid1(VALU_DEP_1)
	v_add_nc_u32_e32 v26, v26, v27
	ds_swizzle_b32 v27, v26 offset:swizzle(BROADCAST,32,15)
	s_wait_dscnt 0x0
	v_cndmask_b32_e64 v27, v27, 0, s1
	v_add_nc_u32_e32 v26, v26, v27
	s_and_saveexec_b32 s7, s0
; %bb.150:
	v_lshlrev_b32_e32 v27, 2, v40
	ds_store_b32 v27, v26
; %bb.151:
	s_or_b32 exec_lo, exec_lo, s7
	s_delay_alu instid0(SALU_CYCLE_1)
	s_mov_b32 s7, exec_lo
	s_wait_dscnt 0x0
	s_barrier_signal -1
	s_barrier_wait -1
	v_cmpx_gt_u32_e32 4, v0
	s_cbranch_execz .LBB985_153
; %bb.152:
	v_dual_lshlrev_b32 v27, 2, v0 :: v_dual_bitop2_b32 v29, 3, v39 bitop3:0x40
	ds_load_b32 v28, v27
	v_cmp_ne_u32_e32 vcc_lo, 0, v29
	s_wait_dscnt 0x0
	v_mov_b32_dpp v30, v28 row_shr:1 row_mask:0xf bank_mask:0xf
	s_delay_alu instid0(VALU_DEP_1) | instskip(SKIP_1) | instid1(VALU_DEP_2)
	v_cndmask_b32_e32 v30, 0, v30, vcc_lo
	v_cmp_lt_u32_e32 vcc_lo, 1, v29
	v_add_nc_u32_e32 v28, v30, v28
	s_delay_alu instid0(VALU_DEP_1) | instskip(NEXT) | instid1(VALU_DEP_1)
	v_mov_b32_dpp v30, v28 row_shr:2 row_mask:0xf bank_mask:0xf
	v_cndmask_b32_e32 v29, 0, v30, vcc_lo
	s_delay_alu instid0(VALU_DEP_1)
	v_add_nc_u32_e32 v28, v28, v29
	ds_store_b32 v27, v28
.LBB985_153:
	s_or_b32 exec_lo, exec_lo, s7
	s_delay_alu instid0(SALU_CYCLE_1)
	s_mov_b32 s8, exec_lo
	v_cmp_gt_u32_e32 vcc_lo, 32, v0
	s_wait_dscnt 0x0
	s_barrier_signal -1
	s_barrier_wait -1
                                        ; implicit-def: $vgpr42
	v_cmpx_lt_u32_e32 31, v0
	s_cbranch_execz .LBB985_155
; %bb.154:
	v_lshl_add_u32 v27, v40, 2, -4
	ds_load_b32 v42, v27
	s_wait_dscnt 0x0
	v_add_nc_u32_e32 v26, v42, v26
.LBB985_155:
	s_or_b32 exec_lo, exec_lo, s8
	v_sub_co_u32 v27, s7, v39, 1
	s_delay_alu instid0(VALU_DEP_1) | instskip(NEXT) | instid1(VALU_DEP_1)
	v_cmp_gt_i32_e64 s8, 0, v27
	v_cndmask_b32_e64 v27, v27, v39, s8
	s_delay_alu instid0(VALU_DEP_1)
	v_lshlrev_b32_e32 v27, 2, v27
	ds_bpermute_b32 v43, v27, v26
	s_and_saveexec_b32 s8, vcc_lo
	s_cbranch_execz .LBB985_174
; %bb.156:
	v_mov_b32_e32 v33, 0
	ds_load_b32 v26, v33 offset:12
	s_and_saveexec_b32 s9, s7
	s_cbranch_execz .LBB985_158
; %bb.157:
	s_add_co_i32 s16, s30, 32
	s_delay_alu instid0(SALU_CYCLE_1)
	v_dual_mov_b32 v27, 1 :: v_dual_mov_b32 v28, s16
	s_wait_dscnt 0x0
	global_store_b64 v28, v[26:27], s[10:11] scale_offset scope:SCOPE_DEV
.LBB985_158:
	s_wait_xcnt 0x0
	s_or_b32 exec_lo, exec_lo, s9
	v_xad_u32 v28, v39, -1, s30
	s_mov_b32 s16, 0
	s_mov_b32 s9, exec_lo
	s_delay_alu instid0(VALU_DEP_1) | instskip(SKIP_4) | instid1(VALU_DEP_1)
	v_add_nc_u32_e32 v32, 32, v28
	global_load_b64 v[30:31], v32, s[10:11] scale_offset scope:SCOPE_DEV
	s_wait_loadcnt 0x0
	v_and_b32_e32 v27, 0xff, v31
	s_wait_xcnt 0x0
	v_cmpx_eq_u16_e32 0, v27
	s_cbranch_execz .LBB985_162
; %bb.159:
	v_lshl_add_u64 v[32:33], v[32:33], 3, s[10:11]
.LBB985_160:                            ; =>This Inner Loop Header: Depth=1
	global_load_b64 v[30:31], v[32:33], off scope:SCOPE_DEV
	s_wait_loadcnt 0x0
	v_and_b32_e32 v27, 0xff, v31
	s_delay_alu instid0(VALU_DEP_1)
	v_cmp_ne_u16_e32 vcc_lo, 0, v27
	s_or_b32 s16, vcc_lo, s16
	s_wait_xcnt 0x0
	s_and_not1_b32 exec_lo, exec_lo, s16
	s_cbranch_execnz .LBB985_160
; %bb.161:
	s_or_b32 exec_lo, exec_lo, s16
.LBB985_162:
	s_delay_alu instid0(SALU_CYCLE_1)
	s_or_b32 exec_lo, exec_lo, s9
	v_cmp_ne_u32_e32 vcc_lo, 31, v39
	v_lshlrev_b32_e64 v45, v39, -1
	v_lshl_or_b32 v52, v39, 2, 64
	v_dual_add_nc_u32 v47, 2, v39 :: v_dual_add_nc_u32 v49, 4, v39
	v_add_co_ci_u32_e64 v27, null, 0, v39, vcc_lo
	v_dual_add_nc_u32 v51, 8, v39 :: v_dual_add_nc_u32 v53, 16, v39
	s_delay_alu instid0(VALU_DEP_2)
	v_lshlrev_b32_e32 v44, 2, v27
	v_and_b32_e32 v27, 0xff, v31
	ds_bpermute_b32 v29, v44, v30
	v_cmp_eq_u16_e32 vcc_lo, 2, v27
	v_and_or_b32 v27, vcc_lo, v45, 0x80000000
	v_cmp_gt_u32_e32 vcc_lo, 30, v39
	s_delay_alu instid0(VALU_DEP_2) | instskip(SKIP_1) | instid1(VALU_DEP_2)
	v_ctz_i32_b32_e32 v27, v27
	v_cndmask_b32_e64 v32, 0, 2, vcc_lo
	v_cmp_lt_u32_e32 vcc_lo, v39, v27
	s_delay_alu instid0(VALU_DEP_2) | instskip(SKIP_3) | instid1(VALU_DEP_2)
	v_add_lshl_u32 v46, v32, v39, 2
	s_wait_dscnt 0x0
	v_cndmask_b32_e32 v29, 0, v29, vcc_lo
	v_cmp_gt_u32_e32 vcc_lo, 28, v39
	v_add_nc_u32_e32 v29, v29, v30
	v_cndmask_b32_e64 v32, 0, 4, vcc_lo
	v_cmp_le_u32_e32 vcc_lo, v47, v27
	ds_bpermute_b32 v30, v46, v29
	v_add_lshl_u32 v48, v32, v39, 2
	s_wait_dscnt 0x0
	v_cndmask_b32_e32 v30, 0, v30, vcc_lo
	v_cmp_gt_u32_e32 vcc_lo, 24, v39
	v_cndmask_b32_e64 v32, 0, 8, vcc_lo
	v_cmp_le_u32_e32 vcc_lo, v49, v27
	s_delay_alu instid0(VALU_DEP_4) | instskip(NEXT) | instid1(VALU_DEP_3)
	v_add_nc_u32_e32 v29, v29, v30
	v_add_lshl_u32 v50, v32, v39, 2
	ds_bpermute_b32 v30, v48, v29
	s_wait_dscnt 0x0
	v_cndmask_b32_e32 v30, 0, v30, vcc_lo
	v_cmp_le_u32_e32 vcc_lo, v51, v27
	s_delay_alu instid0(VALU_DEP_2) | instskip(SKIP_4) | instid1(VALU_DEP_2)
	v_add_nc_u32_e32 v29, v29, v30
	ds_bpermute_b32 v30, v50, v29
	s_wait_dscnt 0x0
	v_cndmask_b32_e32 v30, 0, v30, vcc_lo
	v_cmp_le_u32_e32 vcc_lo, v53, v27
	v_add_nc_u32_e32 v29, v29, v30
	ds_bpermute_b32 v30, v52, v29
	s_wait_dscnt 0x0
	v_cndmask_b32_e32 v27, 0, v30, vcc_lo
	s_delay_alu instid0(VALU_DEP_1)
	v_dual_mov_b32 v29, 0 :: v_dual_add_nc_u32 v30, v29, v27
	s_branch .LBB985_165
.LBB985_163:                            ;   in Loop: Header=BB985_165 Depth=1
	s_or_b32 exec_lo, exec_lo, s9
	v_and_b32_e32 v32, 0xff, v31
	ds_bpermute_b32 v33, v44, v30
	v_subrev_nc_u32_e32 v28, 32, v28
	s_mov_b32 s9, 0
	v_cmp_eq_u16_e32 vcc_lo, 2, v32
	v_and_or_b32 v32, vcc_lo, v45, 0x80000000
	s_delay_alu instid0(VALU_DEP_1) | instskip(NEXT) | instid1(VALU_DEP_1)
	v_ctz_i32_b32_e32 v32, v32
	v_cmp_lt_u32_e32 vcc_lo, v39, v32
	s_wait_dscnt 0x0
	v_cndmask_b32_e32 v33, 0, v33, vcc_lo
	v_cmp_le_u32_e32 vcc_lo, v47, v32
	s_delay_alu instid0(VALU_DEP_2) | instskip(SKIP_4) | instid1(VALU_DEP_2)
	v_add_nc_u32_e32 v30, v33, v30
	ds_bpermute_b32 v33, v46, v30
	s_wait_dscnt 0x0
	v_cndmask_b32_e32 v33, 0, v33, vcc_lo
	v_cmp_le_u32_e32 vcc_lo, v49, v32
	v_add_nc_u32_e32 v30, v30, v33
	ds_bpermute_b32 v33, v48, v30
	s_wait_dscnt 0x0
	v_cndmask_b32_e32 v33, 0, v33, vcc_lo
	v_cmp_le_u32_e32 vcc_lo, v51, v32
	s_delay_alu instid0(VALU_DEP_2) | instskip(SKIP_4) | instid1(VALU_DEP_2)
	v_add_nc_u32_e32 v30, v30, v33
	ds_bpermute_b32 v33, v50, v30
	s_wait_dscnt 0x0
	v_cndmask_b32_e32 v33, 0, v33, vcc_lo
	v_cmp_le_u32_e32 vcc_lo, v53, v32
	v_add_nc_u32_e32 v30, v30, v33
	ds_bpermute_b32 v33, v52, v30
	s_wait_dscnt 0x0
	v_cndmask_b32_e32 v32, 0, v33, vcc_lo
	s_delay_alu instid0(VALU_DEP_1)
	v_add3_u32 v30, v32, v27, v30
.LBB985_164:                            ;   in Loop: Header=BB985_165 Depth=1
	s_and_b32 vcc_lo, exec_lo, s9
	s_cbranch_vccnz .LBB985_170
.LBB985_165:                            ; =>This Loop Header: Depth=1
                                        ;     Child Loop BB985_168 Depth 2
	v_and_b32_e32 v27, 0xff, v31
	s_mov_b32 s9, -1
                                        ; implicit-def: $vgpr31
	s_delay_alu instid0(VALU_DEP_1)
	v_cmp_ne_u16_e32 vcc_lo, 2, v27
	v_mov_b32_e32 v27, v30
                                        ; implicit-def: $vgpr30
	s_cmp_lg_u32 vcc_lo, exec_lo
	s_cbranch_scc1 .LBB985_164
; %bb.166:                              ;   in Loop: Header=BB985_165 Depth=1
	global_load_b64 v[30:31], v28, s[10:11] scale_offset scope:SCOPE_DEV
	s_mov_b32 s9, exec_lo
	s_wait_loadcnt 0x0
	v_and_b32_e32 v32, 0xff, v31
	s_wait_xcnt 0x0
	s_delay_alu instid0(VALU_DEP_1)
	v_cmpx_eq_u16_e32 0, v32
	s_cbranch_execz .LBB985_163
; %bb.167:                              ;   in Loop: Header=BB985_165 Depth=1
	v_lshl_add_u64 v[32:33], v[28:29], 3, s[10:11]
	s_mov_b32 s16, 0
.LBB985_168:                            ;   Parent Loop BB985_165 Depth=1
                                        ; =>  This Inner Loop Header: Depth=2
	global_load_b64 v[30:31], v[32:33], off scope:SCOPE_DEV
	s_wait_loadcnt 0x0
	v_and_b32_e32 v54, 0xff, v31
	s_delay_alu instid0(VALU_DEP_1)
	v_cmp_ne_u16_e32 vcc_lo, 0, v54
	s_or_b32 s16, vcc_lo, s16
	s_wait_xcnt 0x0
	s_and_not1_b32 exec_lo, exec_lo, s16
	s_cbranch_execnz .LBB985_168
; %bb.169:                              ;   in Loop: Header=BB985_165 Depth=1
	s_or_b32 exec_lo, exec_lo, s16
	s_branch .LBB985_163
.LBB985_170:
	s_and_saveexec_b32 s9, s7
	s_cbranch_execz .LBB985_172
; %bb.171:
	s_add_co_i32 s16, s30, 32
	v_dual_mov_b32 v29, 2 :: v_dual_add_nc_u32 v28, v27, v26
	v_dual_mov_b32 v30, s16 :: v_dual_mov_b32 v31, 0
	global_store_b64 v30, v[28:29], s[10:11] scale_offset scope:SCOPE_DEV
	ds_store_b64 v31, v[26:27] offset:5120
.LBB985_172:
	s_wait_xcnt 0x0
	s_or_b32 exec_lo, exec_lo, s9
	s_delay_alu instid0(SALU_CYCLE_1)
	s_and_b32 exec_lo, exec_lo, s2
; %bb.173:
	v_mov_b32_e32 v26, 0
	ds_store_b32 v26, v27 offset:12
.LBB985_174:
	s_or_b32 exec_lo, exec_lo, s8
	s_wait_dscnt 0x0
	v_dual_mov_b32 v26, 0 :: v_dual_cndmask_b32 v28, v43, v42, s7
	s_wait_storecnt 0x0
	s_barrier_signal -1
	s_barrier_wait -1
	ds_load_b32 v27, v26 offset:12
	v_cndmask_b32_e64 v28, v28, 0, s2
	s_wait_dscnt 0x0
	s_barrier_signal -1
	s_barrier_wait -1
	s_mov_b32 s7, 0
	v_add_nc_u32_e32 v42, v27, v28
	ds_load_b64 v[26:27], v26 offset:5120
	v_add_nc_u32_e32 v33, v42, v25
	s_wait_dscnt 0x0
	s_delay_alu instid0(VALU_DEP_1) | instskip(NEXT) | instid1(VALU_DEP_1)
	v_dual_add_nc_u32 v32, v33, v36 :: v_dual_mov_b32 v28, v27
	v_add_nc_u32_e32 v31, v32, v37
	s_delay_alu instid0(VALU_DEP_1)
	v_add_nc_u32_e32 v30, v31, v38
.LBB985_175:
	s_and_b32 vcc_lo, exec_lo, s7
	s_cbranch_vccz .LBB985_185
; %bb.176:
	v_mov_b32_dpp v26, v41 row_shr:1 row_mask:0xf bank_mask:0xf
	s_delay_alu instid0(VALU_DEP_1) | instskip(NEXT) | instid1(VALU_DEP_1)
	v_cndmask_b32_e64 v26, v26, 0, s3
	v_add_nc_u32_e32 v26, v26, v41
	s_delay_alu instid0(VALU_DEP_1) | instskip(NEXT) | instid1(VALU_DEP_1)
	v_mov_b32_dpp v27, v26 row_shr:2 row_mask:0xf bank_mask:0xf
	v_cndmask_b32_e64 v27, 0, v27, s5
	s_delay_alu instid0(VALU_DEP_1) | instskip(NEXT) | instid1(VALU_DEP_1)
	v_add_nc_u32_e32 v26, v26, v27
	v_mov_b32_dpp v27, v26 row_shr:4 row_mask:0xf bank_mask:0xf
	s_delay_alu instid0(VALU_DEP_1) | instskip(NEXT) | instid1(VALU_DEP_1)
	v_cndmask_b32_e64 v27, 0, v27, s6
	v_add_nc_u32_e32 v26, v26, v27
	s_delay_alu instid0(VALU_DEP_1) | instskip(NEXT) | instid1(VALU_DEP_1)
	v_mov_b32_dpp v27, v26 row_shr:8 row_mask:0xf bank_mask:0xf
	v_cndmask_b32_e64 v27, 0, v27, s4
	s_delay_alu instid0(VALU_DEP_1) | instskip(SKIP_3) | instid1(VALU_DEP_1)
	v_add_nc_u32_e32 v26, v26, v27
	ds_swizzle_b32 v27, v26 offset:swizzle(BROADCAST,32,15)
	s_wait_dscnt 0x0
	v_cndmask_b32_e64 v27, v27, 0, s1
	v_add_nc_u32_e32 v26, v26, v27
	s_and_saveexec_b32 s1, s0
; %bb.177:
	v_lshlrev_b32_e32 v27, 2, v40
	ds_store_b32 v27, v26
; %bb.178:
	s_or_b32 exec_lo, exec_lo, s1
	s_delay_alu instid0(SALU_CYCLE_1)
	s_mov_b32 s0, exec_lo
	s_wait_dscnt 0x0
	s_barrier_signal -1
	s_barrier_wait -1
	v_cmpx_gt_u32_e32 4, v0
	s_cbranch_execz .LBB985_180
; %bb.179:
	v_dual_lshlrev_b32 v27, 2, v0 :: v_dual_bitop2_b32 v29, 3, v39 bitop3:0x40
	ds_load_b32 v28, v27
	v_cmp_ne_u32_e32 vcc_lo, 0, v29
	s_wait_dscnt 0x0
	v_mov_b32_dpp v30, v28 row_shr:1 row_mask:0xf bank_mask:0xf
	s_delay_alu instid0(VALU_DEP_1) | instskip(SKIP_1) | instid1(VALU_DEP_2)
	v_cndmask_b32_e32 v30, 0, v30, vcc_lo
	v_cmp_lt_u32_e32 vcc_lo, 1, v29
	v_add_nc_u32_e32 v28, v30, v28
	s_delay_alu instid0(VALU_DEP_1) | instskip(NEXT) | instid1(VALU_DEP_1)
	v_mov_b32_dpp v30, v28 row_shr:2 row_mask:0xf bank_mask:0xf
	v_cndmask_b32_e32 v29, 0, v30, vcc_lo
	s_delay_alu instid0(VALU_DEP_1)
	v_add_nc_u32_e32 v28, v28, v29
	ds_store_b32 v27, v28
.LBB985_180:
	s_or_b32 exec_lo, exec_lo, s0
	v_dual_mov_b32 v27, 0 :: v_dual_mov_b32 v28, 0
	s_mov_b32 s0, exec_lo
	s_wait_dscnt 0x0
	s_barrier_signal -1
	s_barrier_wait -1
	v_cmpx_lt_u32_e32 31, v0
; %bb.181:
	v_lshl_add_u32 v28, v40, 2, -4
	ds_load_b32 v28, v28
; %bb.182:
	s_or_b32 exec_lo, exec_lo, s0
	v_sub_co_u32 v29, vcc_lo, v39, 1
	s_wait_dscnt 0x0
	v_add_nc_u32_e32 v26, v28, v26
	s_delay_alu instid0(VALU_DEP_2) | instskip(NEXT) | instid1(VALU_DEP_1)
	v_cmp_gt_i32_e64 s0, 0, v29
	v_cndmask_b32_e64 v29, v29, v39, s0
	s_delay_alu instid0(VALU_DEP_1)
	v_lshlrev_b32_e32 v29, 2, v29
	ds_bpermute_b32 v29, v29, v26
	ds_load_b32 v26, v27 offset:12
	s_and_saveexec_b32 s0, s2
	s_cbranch_execz .LBB985_184
; %bb.183:
	v_dual_mov_b32 v30, 0 :: v_dual_mov_b32 v27, 2
	s_wait_dscnt 0x0
	global_store_b64 v30, v[26:27], s[10:11] offset:256 scope:SCOPE_DEV
.LBB985_184:
	s_wait_xcnt 0x0
	s_or_b32 exec_lo, exec_lo, s0
	s_wait_dscnt 0x1
	v_cndmask_b32_e32 v27, v29, v28, vcc_lo
	s_wait_storecnt_dscnt 0x0
	s_barrier_signal -1
	s_barrier_wait -1
	s_delay_alu instid0(VALU_DEP_1) | instskip(NEXT) | instid1(VALU_DEP_1)
	v_cndmask_b32_e64 v42, v27, 0, s2
	v_dual_mov_b32 v28, 0 :: v_dual_add_nc_u32 v33, v42, v25
	s_delay_alu instid0(VALU_DEP_1) | instskip(NEXT) | instid1(VALU_DEP_1)
	v_add_nc_u32_e32 v32, v33, v36
	v_add_nc_u32_e32 v31, v32, v37
	s_delay_alu instid0(VALU_DEP_1)
	v_add_nc_u32_e32 v30, v31, v38
.LBB985_185:
	s_delay_alu instid0(VALU_DEP_4)
	v_dual_add_nc_u32 v25, v28, v26 :: v_dual_bitop2_b32 v24, 1, v24 bitop3:0x40
	v_cmp_gt_u32_e64 s0, 0x81, v26
	s_mov_b32 s4, -1
	v_cmp_lt_u32_e64 s1, v42, v25
	v_cmp_eq_u32_e64 s3, 1, v24
	s_and_b32 vcc_lo, exec_lo, s0
	s_cbranch_vccz .LBB985_197
; %bb.186:
	s_or_b32 s1, s29, s1
	s_delay_alu instid0(SALU_CYCLE_1) | instskip(NEXT) | instid1(SALU_CYCLE_1)
	s_and_b32 s3, s1, s3
	s_and_saveexec_b32 s1, s3
	s_cbranch_execz .LBB985_188
; %bb.187:
	s_lshl_b64 s[4:5], s[14:15], 3
	s_delay_alu instid0(SALU_CYCLE_1)
	s_add_nc_u64 s[4:5], s[20:21], s[4:5]
	global_store_b64 v42, v[14:15], s[4:5] scale_offset
.LBB985_188:
	s_wait_xcnt 0x0
	s_or_b32 exec_lo, exec_lo, s1
	v_and_b32_e32 v27, 1, v23
	v_cmp_lt_u32_e32 vcc_lo, v33, v25
	s_delay_alu instid0(VALU_DEP_2) | instskip(SKIP_1) | instid1(SALU_CYCLE_1)
	v_cmp_eq_u32_e64 s1, 1, v27
	s_or_b32 s3, s29, vcc_lo
	s_and_b32 s3, s3, s1
	s_delay_alu instid0(SALU_CYCLE_1)
	s_and_saveexec_b32 s1, s3
	s_cbranch_execz .LBB985_190
; %bb.189:
	s_lshl_b64 s[4:5], s[14:15], 3
	s_delay_alu instid0(SALU_CYCLE_1)
	s_add_nc_u64 s[4:5], s[20:21], s[4:5]
	global_store_b64 v33, v[16:17], s[4:5] scale_offset
.LBB985_190:
	s_wait_xcnt 0x0
	s_or_b32 exec_lo, exec_lo, s1
	v_and_b32_e32 v27, 1, v35
	v_cmp_lt_u32_e32 vcc_lo, v32, v25
	s_delay_alu instid0(VALU_DEP_2) | instskip(SKIP_1) | instid1(SALU_CYCLE_1)
	v_cmp_eq_u32_e64 s1, 1, v27
	s_or_b32 s3, s29, vcc_lo
	s_and_b32 s3, s3, s1
	s_delay_alu instid0(SALU_CYCLE_1)
	;; [unrolled: 17-line block ×4, first 2 shown]
	s_and_saveexec_b32 s1, s3
	s_cbranch_execz .LBB985_196
; %bb.195:
	s_lshl_b64 s[4:5], s[14:15], 3
	s_delay_alu instid0(SALU_CYCLE_1)
	s_add_nc_u64 s[4:5], s[20:21], s[4:5]
	global_store_b64 v30, v[20:21], s[4:5] scale_offset
.LBB985_196:
	s_wait_xcnt 0x0
	s_or_b32 exec_lo, exec_lo, s1
	s_mov_b32 s4, 0
.LBB985_197:
	s_delay_alu instid0(SALU_CYCLE_1)
	s_and_b32 vcc_lo, exec_lo, s4
	s_cbranch_vccz .LBB985_211
; %bb.198:
	s_mov_b32 s1, exec_lo
	v_cmpx_eq_u32_e32 1, v24
; %bb.199:
	v_sub_nc_u32_e32 v27, v42, v28
	s_delay_alu instid0(VALU_DEP_1)
	v_lshlrev_b32_e32 v27, 3, v27
	ds_store_b64 v27, v[14:15]
; %bb.200:
	s_or_b32 exec_lo, exec_lo, s1
	v_and_b32_e32 v14, 1, v23
	s_mov_b32 s1, exec_lo
	s_delay_alu instid0(VALU_DEP_1)
	v_cmpx_eq_u32_e32 1, v14
; %bb.201:
	v_sub_nc_u32_e32 v14, v33, v28
	s_delay_alu instid0(VALU_DEP_1)
	v_lshlrev_b32_e32 v14, 3, v14
	ds_store_b64 v14, v[16:17]
; %bb.202:
	s_or_b32 exec_lo, exec_lo, s1
	v_and_b32_e32 v14, 1, v35
	s_mov_b32 s1, exec_lo
	s_delay_alu instid0(VALU_DEP_1)
	;; [unrolled: 11-line block ×4, first 2 shown]
	v_cmpx_eq_u32_e32 1, v10
; %bb.207:
	v_sub_nc_u32_e32 v10, v30, v28
	s_delay_alu instid0(VALU_DEP_1)
	v_lshlrev_b32_e32 v10, 3, v10
	ds_store_b64 v10, v[20:21]
; %bb.208:
	s_or_b32 exec_lo, exec_lo, s1
	v_dual_mov_b32 v29, 0 :: v_dual_lshlrev_b32 v12, 3, v0
	s_lshl_b64 s[4:5], s[14:15], 3
	v_mov_b32_e32 v13, v0
	s_mov_b32 s1, 0
	s_delay_alu instid0(VALU_DEP_2) | instskip(SKIP_3) | instid1(VALU_DEP_1)
	v_lshlrev_b64_e32 v[10:11], 3, v[28:29]
	s_wait_storecnt_dscnt 0x0
	s_barrier_signal -1
	s_barrier_wait -1
	v_add_nc_u64_e32 v[10:11], s[20:21], v[10:11]
	s_delay_alu instid0(VALU_DEP_1)
	v_add_nc_u64_e32 v[10:11], s[4:5], v[10:11]
.LBB985_209:                            ; =>This Inner Loop Header: Depth=1
	ds_load_b64 v[14:15], v12
	v_readfirstlane_b32 s4, v10
	v_readfirstlane_b32 s5, v11
	v_add_nc_u32_e32 v12, 0x400, v12
	s_wait_dscnt 0x0
	global_store_b64 v13, v[14:15], s[4:5] scale_offset
	s_wait_xcnt 0x0
	v_add_nc_u32_e32 v13, 0x80, v13
	s_delay_alu instid0(VALU_DEP_1) | instskip(SKIP_1) | instid1(SALU_CYCLE_1)
	v_cmp_ge_u32_e32 vcc_lo, v13, v26
	s_or_b32 s1, vcc_lo, s1
	s_and_not1_b32 exec_lo, exec_lo, s1
	s_cbranch_execnz .LBB985_209
; %bb.210:
	s_or_b32 exec_lo, exec_lo, s1
.LBB985_211:
	s_delay_alu instid0(SALU_CYCLE_1)
	s_and_b32 vcc_lo, exec_lo, s0
	s_mov_b32 s0, -1
	s_wait_storecnt 0x0
	s_barrier_signal -1
	s_barrier_wait -1
	s_cbranch_vccnz .LBB985_215
; %bb.212:
	s_and_b32 vcc_lo, exec_lo, s0
	s_cbranch_vccnz .LBB985_226
.LBB985_213:
	s_and_b32 s0, s2, s28
	s_delay_alu instid0(SALU_CYCLE_1)
	s_and_saveexec_b32 s1, s0
	s_cbranch_execnz .LBB985_239
.LBB985_214:
	s_endpgm
.LBB985_215:
	v_cmp_lt_u32_e32 vcc_lo, v42, v25
	v_cmp_eq_u32_e64 s0, 1, v24
	s_or_b32 s1, s29, vcc_lo
	s_delay_alu instid0(SALU_CYCLE_1) | instskip(NEXT) | instid1(SALU_CYCLE_1)
	s_and_b32 s1, s1, s0
	s_and_saveexec_b32 s0, s1
	s_cbranch_execz .LBB985_217
; %bb.216:
	s_lshl_b64 s[4:5], s[14:15], 3
	s_delay_alu instid0(SALU_CYCLE_1)
	s_add_nc_u64 s[4:5], s[22:23], s[4:5]
	global_store_b64 v42, v[6:7], s[4:5] scale_offset
.LBB985_217:
	s_wait_xcnt 0x0
	s_or_b32 exec_lo, exec_lo, s0
	v_and_b32_e32 v10, 1, v23
	v_cmp_lt_u32_e32 vcc_lo, v33, v25
	s_delay_alu instid0(VALU_DEP_2) | instskip(SKIP_1) | instid1(SALU_CYCLE_1)
	v_cmp_eq_u32_e64 s0, 1, v10
	s_or_b32 s1, s29, vcc_lo
	s_and_b32 s1, s1, s0
	s_delay_alu instid0(SALU_CYCLE_1)
	s_and_saveexec_b32 s0, s1
	s_cbranch_execz .LBB985_219
; %bb.218:
	s_lshl_b64 s[4:5], s[14:15], 3
	s_delay_alu instid0(SALU_CYCLE_1)
	s_add_nc_u64 s[4:5], s[22:23], s[4:5]
	global_store_b64 v33, v[8:9], s[4:5] scale_offset
.LBB985_219:
	s_wait_xcnt 0x0
	s_or_b32 exec_lo, exec_lo, s0
	v_and_b32_e32 v10, 1, v35
	v_cmp_lt_u32_e32 vcc_lo, v32, v25
	s_delay_alu instid0(VALU_DEP_2) | instskip(SKIP_1) | instid1(SALU_CYCLE_1)
	v_cmp_eq_u32_e64 s0, 1, v10
	s_or_b32 s1, s29, vcc_lo
	s_and_b32 s1, s1, s0
	s_delay_alu instid0(SALU_CYCLE_1)
	;; [unrolled: 17-line block ×4, first 2 shown]
	s_and_saveexec_b32 s0, s1
	s_cbranch_execz .LBB985_225
; %bb.224:
	s_lshl_b64 s[4:5], s[14:15], 3
	s_delay_alu instid0(SALU_CYCLE_1)
	s_add_nc_u64 s[4:5], s[22:23], s[4:5]
	global_store_b64 v30, v[18:19], s[4:5] scale_offset
.LBB985_225:
	s_wait_xcnt 0x0
	s_or_b32 exec_lo, exec_lo, s0
	s_branch .LBB985_213
.LBB985_226:
	s_mov_b32 s0, exec_lo
	v_cmpx_eq_u32_e32 1, v24
; %bb.227:
	v_sub_nc_u32_e32 v10, v42, v28
	s_delay_alu instid0(VALU_DEP_1)
	v_lshlrev_b32_e32 v10, 3, v10
	ds_store_b64 v10, v[6:7]
; %bb.228:
	s_or_b32 exec_lo, exec_lo, s0
	v_and_b32_e32 v6, 1, v23
	s_mov_b32 s0, exec_lo
	s_delay_alu instid0(VALU_DEP_1)
	v_cmpx_eq_u32_e32 1, v6
; %bb.229:
	v_sub_nc_u32_e32 v6, v33, v28
	s_delay_alu instid0(VALU_DEP_1)
	v_lshlrev_b32_e32 v6, 3, v6
	ds_store_b64 v6, v[8:9]
; %bb.230:
	s_or_b32 exec_lo, exec_lo, s0
	v_and_b32_e32 v6, 1, v35
	s_mov_b32 s0, exec_lo
	s_delay_alu instid0(VALU_DEP_1)
	;; [unrolled: 11-line block ×4, first 2 shown]
	v_cmpx_eq_u32_e32 1, v2
; %bb.235:
	v_sub_nc_u32_e32 v2, v30, v28
	s_delay_alu instid0(VALU_DEP_1)
	v_lshlrev_b32_e32 v2, 3, v2
	ds_store_b64 v2, v[18:19]
; %bb.236:
	s_or_b32 exec_lo, exec_lo, s0
	v_mov_b32_e32 v29, 0
	s_lshl_b64 s[0:1], s[14:15], 3
	s_wait_storecnt_dscnt 0x0
	s_barrier_signal -1
	s_barrier_wait -1
	v_lshlrev_b64_e32 v[2:3], 3, v[28:29]
	s_delay_alu instid0(VALU_DEP_1) | instskip(NEXT) | instid1(VALU_DEP_1)
	v_add_nc_u64_e32 v[2:3], s[22:23], v[2:3]
	v_add_nc_u64_e32 v[2:3], s[0:1], v[2:3]
	s_mov_b32 s0, 0
.LBB985_237:                            ; =>This Inner Loop Header: Depth=1
	ds_load_b64 v[4:5], v1
	v_readfirstlane_b32 s4, v2
	v_readfirstlane_b32 s5, v3
	v_add_nc_u32_e32 v1, 0x400, v1
	s_wait_dscnt 0x0
	global_store_b64 v0, v[4:5], s[4:5] scale_offset
	s_wait_xcnt 0x0
	v_add_nc_u32_e32 v0, 0x80, v0
	s_delay_alu instid0(VALU_DEP_1) | instskip(SKIP_1) | instid1(SALU_CYCLE_1)
	v_cmp_ge_u32_e32 vcc_lo, v0, v26
	s_or_b32 s0, vcc_lo, s0
	s_and_not1_b32 exec_lo, exec_lo, s0
	s_cbranch_execnz .LBB985_237
; %bb.238:
	s_or_b32 exec_lo, exec_lo, s0
	s_and_b32 s0, s2, s28
	s_delay_alu instid0(SALU_CYCLE_1)
	s_and_saveexec_b32 s1, s0
	s_cbranch_execz .LBB985_214
.LBB985_239:
	v_mov_b32_e32 v27, 0
	s_delay_alu instid0(VALU_DEP_1) | instskip(SKIP_1) | instid1(VALU_DEP_1)
	v_add_nc_u64_e32 v[0:1], s[14:15], v[26:27]
	v_mov_b32_e32 v29, v27
	v_add_nc_u64_e32 v[0:1], v[0:1], v[28:29]
	global_store_b64 v27, v[0:1], s[12:13]
	s_endpgm
	.section	.rodata,"a",@progbits
	.p2align	6, 0x0
	.amdhsa_kernel _ZN7rocprim17ROCPRIM_400000_NS6detail17trampoline_kernelINS0_14default_configENS1_25partition_config_selectorILNS1_17partition_subalgoE9EllbEEZZNS1_14partition_implILS5_9ELb0ES3_jPlS8_PNS0_10empty_typeENS0_5tupleIJS8_S9_EEENSB_IJS8_SA_EEENS0_18inequality_wrapperIZN2at6native12_GLOBAL__N_124unique_dim_cuda_templateIfEESt5tupleIJNSF_6TensorESK_SK_EERKSK_lbbbEUlllE0_EEPmJS9_EEE10hipError_tPvRmT3_T4_T5_T6_T7_T9_mT8_P12ihipStream_tbDpT10_ENKUlT_T0_E_clISt17integral_constantIbLb0EES19_IbLb1EEEEDaS15_S16_EUlS15_E_NS1_11comp_targetILNS1_3genE0ELNS1_11target_archE4294967295ELNS1_3gpuE0ELNS1_3repE0EEENS1_30default_config_static_selectorELNS0_4arch9wavefront6targetE0EEEvT1_
		.amdhsa_group_segment_fixed_size 5128
		.amdhsa_private_segment_fixed_size 0
		.amdhsa_kernarg_size 136
		.amdhsa_user_sgpr_count 2
		.amdhsa_user_sgpr_dispatch_ptr 0
		.amdhsa_user_sgpr_queue_ptr 0
		.amdhsa_user_sgpr_kernarg_segment_ptr 1
		.amdhsa_user_sgpr_dispatch_id 0
		.amdhsa_user_sgpr_kernarg_preload_length 0
		.amdhsa_user_sgpr_kernarg_preload_offset 0
		.amdhsa_user_sgpr_private_segment_size 0
		.amdhsa_wavefront_size32 1
		.amdhsa_uses_dynamic_stack 0
		.amdhsa_enable_private_segment 0
		.amdhsa_system_sgpr_workgroup_id_x 1
		.amdhsa_system_sgpr_workgroup_id_y 0
		.amdhsa_system_sgpr_workgroup_id_z 0
		.amdhsa_system_sgpr_workgroup_info 0
		.amdhsa_system_vgpr_workitem_id 0
		.amdhsa_next_free_vgpr 55
		.amdhsa_next_free_sgpr 36
		.amdhsa_named_barrier_count 0
		.amdhsa_reserve_vcc 1
		.amdhsa_float_round_mode_32 0
		.amdhsa_float_round_mode_16_64 0
		.amdhsa_float_denorm_mode_32 3
		.amdhsa_float_denorm_mode_16_64 3
		.amdhsa_fp16_overflow 0
		.amdhsa_memory_ordered 1
		.amdhsa_forward_progress 1
		.amdhsa_inst_pref_size 75
		.amdhsa_round_robin_scheduling 0
		.amdhsa_exception_fp_ieee_invalid_op 0
		.amdhsa_exception_fp_denorm_src 0
		.amdhsa_exception_fp_ieee_div_zero 0
		.amdhsa_exception_fp_ieee_overflow 0
		.amdhsa_exception_fp_ieee_underflow 0
		.amdhsa_exception_fp_ieee_inexact 0
		.amdhsa_exception_int_div_zero 0
	.end_amdhsa_kernel
	.section	.text._ZN7rocprim17ROCPRIM_400000_NS6detail17trampoline_kernelINS0_14default_configENS1_25partition_config_selectorILNS1_17partition_subalgoE9EllbEEZZNS1_14partition_implILS5_9ELb0ES3_jPlS8_PNS0_10empty_typeENS0_5tupleIJS8_S9_EEENSB_IJS8_SA_EEENS0_18inequality_wrapperIZN2at6native12_GLOBAL__N_124unique_dim_cuda_templateIfEESt5tupleIJNSF_6TensorESK_SK_EERKSK_lbbbEUlllE0_EEPmJS9_EEE10hipError_tPvRmT3_T4_T5_T6_T7_T9_mT8_P12ihipStream_tbDpT10_ENKUlT_T0_E_clISt17integral_constantIbLb0EES19_IbLb1EEEEDaS15_S16_EUlS15_E_NS1_11comp_targetILNS1_3genE0ELNS1_11target_archE4294967295ELNS1_3gpuE0ELNS1_3repE0EEENS1_30default_config_static_selectorELNS0_4arch9wavefront6targetE0EEEvT1_,"axG",@progbits,_ZN7rocprim17ROCPRIM_400000_NS6detail17trampoline_kernelINS0_14default_configENS1_25partition_config_selectorILNS1_17partition_subalgoE9EllbEEZZNS1_14partition_implILS5_9ELb0ES3_jPlS8_PNS0_10empty_typeENS0_5tupleIJS8_S9_EEENSB_IJS8_SA_EEENS0_18inequality_wrapperIZN2at6native12_GLOBAL__N_124unique_dim_cuda_templateIfEESt5tupleIJNSF_6TensorESK_SK_EERKSK_lbbbEUlllE0_EEPmJS9_EEE10hipError_tPvRmT3_T4_T5_T6_T7_T9_mT8_P12ihipStream_tbDpT10_ENKUlT_T0_E_clISt17integral_constantIbLb0EES19_IbLb1EEEEDaS15_S16_EUlS15_E_NS1_11comp_targetILNS1_3genE0ELNS1_11target_archE4294967295ELNS1_3gpuE0ELNS1_3repE0EEENS1_30default_config_static_selectorELNS0_4arch9wavefront6targetE0EEEvT1_,comdat
.Lfunc_end985:
	.size	_ZN7rocprim17ROCPRIM_400000_NS6detail17trampoline_kernelINS0_14default_configENS1_25partition_config_selectorILNS1_17partition_subalgoE9EllbEEZZNS1_14partition_implILS5_9ELb0ES3_jPlS8_PNS0_10empty_typeENS0_5tupleIJS8_S9_EEENSB_IJS8_SA_EEENS0_18inequality_wrapperIZN2at6native12_GLOBAL__N_124unique_dim_cuda_templateIfEESt5tupleIJNSF_6TensorESK_SK_EERKSK_lbbbEUlllE0_EEPmJS9_EEE10hipError_tPvRmT3_T4_T5_T6_T7_T9_mT8_P12ihipStream_tbDpT10_ENKUlT_T0_E_clISt17integral_constantIbLb0EES19_IbLb1EEEEDaS15_S16_EUlS15_E_NS1_11comp_targetILNS1_3genE0ELNS1_11target_archE4294967295ELNS1_3gpuE0ELNS1_3repE0EEENS1_30default_config_static_selectorELNS0_4arch9wavefront6targetE0EEEvT1_, .Lfunc_end985-_ZN7rocprim17ROCPRIM_400000_NS6detail17trampoline_kernelINS0_14default_configENS1_25partition_config_selectorILNS1_17partition_subalgoE9EllbEEZZNS1_14partition_implILS5_9ELb0ES3_jPlS8_PNS0_10empty_typeENS0_5tupleIJS8_S9_EEENSB_IJS8_SA_EEENS0_18inequality_wrapperIZN2at6native12_GLOBAL__N_124unique_dim_cuda_templateIfEESt5tupleIJNSF_6TensorESK_SK_EERKSK_lbbbEUlllE0_EEPmJS9_EEE10hipError_tPvRmT3_T4_T5_T6_T7_T9_mT8_P12ihipStream_tbDpT10_ENKUlT_T0_E_clISt17integral_constantIbLb0EES19_IbLb1EEEEDaS15_S16_EUlS15_E_NS1_11comp_targetILNS1_3genE0ELNS1_11target_archE4294967295ELNS1_3gpuE0ELNS1_3repE0EEENS1_30default_config_static_selectorELNS0_4arch9wavefront6targetE0EEEvT1_
                                        ; -- End function
	.set _ZN7rocprim17ROCPRIM_400000_NS6detail17trampoline_kernelINS0_14default_configENS1_25partition_config_selectorILNS1_17partition_subalgoE9EllbEEZZNS1_14partition_implILS5_9ELb0ES3_jPlS8_PNS0_10empty_typeENS0_5tupleIJS8_S9_EEENSB_IJS8_SA_EEENS0_18inequality_wrapperIZN2at6native12_GLOBAL__N_124unique_dim_cuda_templateIfEESt5tupleIJNSF_6TensorESK_SK_EERKSK_lbbbEUlllE0_EEPmJS9_EEE10hipError_tPvRmT3_T4_T5_T6_T7_T9_mT8_P12ihipStream_tbDpT10_ENKUlT_T0_E_clISt17integral_constantIbLb0EES19_IbLb1EEEEDaS15_S16_EUlS15_E_NS1_11comp_targetILNS1_3genE0ELNS1_11target_archE4294967295ELNS1_3gpuE0ELNS1_3repE0EEENS1_30default_config_static_selectorELNS0_4arch9wavefront6targetE0EEEvT1_.num_vgpr, 55
	.set _ZN7rocprim17ROCPRIM_400000_NS6detail17trampoline_kernelINS0_14default_configENS1_25partition_config_selectorILNS1_17partition_subalgoE9EllbEEZZNS1_14partition_implILS5_9ELb0ES3_jPlS8_PNS0_10empty_typeENS0_5tupleIJS8_S9_EEENSB_IJS8_SA_EEENS0_18inequality_wrapperIZN2at6native12_GLOBAL__N_124unique_dim_cuda_templateIfEESt5tupleIJNSF_6TensorESK_SK_EERKSK_lbbbEUlllE0_EEPmJS9_EEE10hipError_tPvRmT3_T4_T5_T6_T7_T9_mT8_P12ihipStream_tbDpT10_ENKUlT_T0_E_clISt17integral_constantIbLb0EES19_IbLb1EEEEDaS15_S16_EUlS15_E_NS1_11comp_targetILNS1_3genE0ELNS1_11target_archE4294967295ELNS1_3gpuE0ELNS1_3repE0EEENS1_30default_config_static_selectorELNS0_4arch9wavefront6targetE0EEEvT1_.num_agpr, 0
	.set _ZN7rocprim17ROCPRIM_400000_NS6detail17trampoline_kernelINS0_14default_configENS1_25partition_config_selectorILNS1_17partition_subalgoE9EllbEEZZNS1_14partition_implILS5_9ELb0ES3_jPlS8_PNS0_10empty_typeENS0_5tupleIJS8_S9_EEENSB_IJS8_SA_EEENS0_18inequality_wrapperIZN2at6native12_GLOBAL__N_124unique_dim_cuda_templateIfEESt5tupleIJNSF_6TensorESK_SK_EERKSK_lbbbEUlllE0_EEPmJS9_EEE10hipError_tPvRmT3_T4_T5_T6_T7_T9_mT8_P12ihipStream_tbDpT10_ENKUlT_T0_E_clISt17integral_constantIbLb0EES19_IbLb1EEEEDaS15_S16_EUlS15_E_NS1_11comp_targetILNS1_3genE0ELNS1_11target_archE4294967295ELNS1_3gpuE0ELNS1_3repE0EEENS1_30default_config_static_selectorELNS0_4arch9wavefront6targetE0EEEvT1_.numbered_sgpr, 36
	.set _ZN7rocprim17ROCPRIM_400000_NS6detail17trampoline_kernelINS0_14default_configENS1_25partition_config_selectorILNS1_17partition_subalgoE9EllbEEZZNS1_14partition_implILS5_9ELb0ES3_jPlS8_PNS0_10empty_typeENS0_5tupleIJS8_S9_EEENSB_IJS8_SA_EEENS0_18inequality_wrapperIZN2at6native12_GLOBAL__N_124unique_dim_cuda_templateIfEESt5tupleIJNSF_6TensorESK_SK_EERKSK_lbbbEUlllE0_EEPmJS9_EEE10hipError_tPvRmT3_T4_T5_T6_T7_T9_mT8_P12ihipStream_tbDpT10_ENKUlT_T0_E_clISt17integral_constantIbLb0EES19_IbLb1EEEEDaS15_S16_EUlS15_E_NS1_11comp_targetILNS1_3genE0ELNS1_11target_archE4294967295ELNS1_3gpuE0ELNS1_3repE0EEENS1_30default_config_static_selectorELNS0_4arch9wavefront6targetE0EEEvT1_.num_named_barrier, 0
	.set _ZN7rocprim17ROCPRIM_400000_NS6detail17trampoline_kernelINS0_14default_configENS1_25partition_config_selectorILNS1_17partition_subalgoE9EllbEEZZNS1_14partition_implILS5_9ELb0ES3_jPlS8_PNS0_10empty_typeENS0_5tupleIJS8_S9_EEENSB_IJS8_SA_EEENS0_18inequality_wrapperIZN2at6native12_GLOBAL__N_124unique_dim_cuda_templateIfEESt5tupleIJNSF_6TensorESK_SK_EERKSK_lbbbEUlllE0_EEPmJS9_EEE10hipError_tPvRmT3_T4_T5_T6_T7_T9_mT8_P12ihipStream_tbDpT10_ENKUlT_T0_E_clISt17integral_constantIbLb0EES19_IbLb1EEEEDaS15_S16_EUlS15_E_NS1_11comp_targetILNS1_3genE0ELNS1_11target_archE4294967295ELNS1_3gpuE0ELNS1_3repE0EEENS1_30default_config_static_selectorELNS0_4arch9wavefront6targetE0EEEvT1_.private_seg_size, 0
	.set _ZN7rocprim17ROCPRIM_400000_NS6detail17trampoline_kernelINS0_14default_configENS1_25partition_config_selectorILNS1_17partition_subalgoE9EllbEEZZNS1_14partition_implILS5_9ELb0ES3_jPlS8_PNS0_10empty_typeENS0_5tupleIJS8_S9_EEENSB_IJS8_SA_EEENS0_18inequality_wrapperIZN2at6native12_GLOBAL__N_124unique_dim_cuda_templateIfEESt5tupleIJNSF_6TensorESK_SK_EERKSK_lbbbEUlllE0_EEPmJS9_EEE10hipError_tPvRmT3_T4_T5_T6_T7_T9_mT8_P12ihipStream_tbDpT10_ENKUlT_T0_E_clISt17integral_constantIbLb0EES19_IbLb1EEEEDaS15_S16_EUlS15_E_NS1_11comp_targetILNS1_3genE0ELNS1_11target_archE4294967295ELNS1_3gpuE0ELNS1_3repE0EEENS1_30default_config_static_selectorELNS0_4arch9wavefront6targetE0EEEvT1_.uses_vcc, 1
	.set _ZN7rocprim17ROCPRIM_400000_NS6detail17trampoline_kernelINS0_14default_configENS1_25partition_config_selectorILNS1_17partition_subalgoE9EllbEEZZNS1_14partition_implILS5_9ELb0ES3_jPlS8_PNS0_10empty_typeENS0_5tupleIJS8_S9_EEENSB_IJS8_SA_EEENS0_18inequality_wrapperIZN2at6native12_GLOBAL__N_124unique_dim_cuda_templateIfEESt5tupleIJNSF_6TensorESK_SK_EERKSK_lbbbEUlllE0_EEPmJS9_EEE10hipError_tPvRmT3_T4_T5_T6_T7_T9_mT8_P12ihipStream_tbDpT10_ENKUlT_T0_E_clISt17integral_constantIbLb0EES19_IbLb1EEEEDaS15_S16_EUlS15_E_NS1_11comp_targetILNS1_3genE0ELNS1_11target_archE4294967295ELNS1_3gpuE0ELNS1_3repE0EEENS1_30default_config_static_selectorELNS0_4arch9wavefront6targetE0EEEvT1_.uses_flat_scratch, 0
	.set _ZN7rocprim17ROCPRIM_400000_NS6detail17trampoline_kernelINS0_14default_configENS1_25partition_config_selectorILNS1_17partition_subalgoE9EllbEEZZNS1_14partition_implILS5_9ELb0ES3_jPlS8_PNS0_10empty_typeENS0_5tupleIJS8_S9_EEENSB_IJS8_SA_EEENS0_18inequality_wrapperIZN2at6native12_GLOBAL__N_124unique_dim_cuda_templateIfEESt5tupleIJNSF_6TensorESK_SK_EERKSK_lbbbEUlllE0_EEPmJS9_EEE10hipError_tPvRmT3_T4_T5_T6_T7_T9_mT8_P12ihipStream_tbDpT10_ENKUlT_T0_E_clISt17integral_constantIbLb0EES19_IbLb1EEEEDaS15_S16_EUlS15_E_NS1_11comp_targetILNS1_3genE0ELNS1_11target_archE4294967295ELNS1_3gpuE0ELNS1_3repE0EEENS1_30default_config_static_selectorELNS0_4arch9wavefront6targetE0EEEvT1_.has_dyn_sized_stack, 0
	.set _ZN7rocprim17ROCPRIM_400000_NS6detail17trampoline_kernelINS0_14default_configENS1_25partition_config_selectorILNS1_17partition_subalgoE9EllbEEZZNS1_14partition_implILS5_9ELb0ES3_jPlS8_PNS0_10empty_typeENS0_5tupleIJS8_S9_EEENSB_IJS8_SA_EEENS0_18inequality_wrapperIZN2at6native12_GLOBAL__N_124unique_dim_cuda_templateIfEESt5tupleIJNSF_6TensorESK_SK_EERKSK_lbbbEUlllE0_EEPmJS9_EEE10hipError_tPvRmT3_T4_T5_T6_T7_T9_mT8_P12ihipStream_tbDpT10_ENKUlT_T0_E_clISt17integral_constantIbLb0EES19_IbLb1EEEEDaS15_S16_EUlS15_E_NS1_11comp_targetILNS1_3genE0ELNS1_11target_archE4294967295ELNS1_3gpuE0ELNS1_3repE0EEENS1_30default_config_static_selectorELNS0_4arch9wavefront6targetE0EEEvT1_.has_recursion, 0
	.set _ZN7rocprim17ROCPRIM_400000_NS6detail17trampoline_kernelINS0_14default_configENS1_25partition_config_selectorILNS1_17partition_subalgoE9EllbEEZZNS1_14partition_implILS5_9ELb0ES3_jPlS8_PNS0_10empty_typeENS0_5tupleIJS8_S9_EEENSB_IJS8_SA_EEENS0_18inequality_wrapperIZN2at6native12_GLOBAL__N_124unique_dim_cuda_templateIfEESt5tupleIJNSF_6TensorESK_SK_EERKSK_lbbbEUlllE0_EEPmJS9_EEE10hipError_tPvRmT3_T4_T5_T6_T7_T9_mT8_P12ihipStream_tbDpT10_ENKUlT_T0_E_clISt17integral_constantIbLb0EES19_IbLb1EEEEDaS15_S16_EUlS15_E_NS1_11comp_targetILNS1_3genE0ELNS1_11target_archE4294967295ELNS1_3gpuE0ELNS1_3repE0EEENS1_30default_config_static_selectorELNS0_4arch9wavefront6targetE0EEEvT1_.has_indirect_call, 0
	.section	.AMDGPU.csdata,"",@progbits
; Kernel info:
; codeLenInByte = 9540
; TotalNumSgprs: 38
; NumVgprs: 55
; ScratchSize: 0
; MemoryBound: 0
; FloatMode: 240
; IeeeMode: 1
; LDSByteSize: 5128 bytes/workgroup (compile time only)
; SGPRBlocks: 0
; VGPRBlocks: 3
; NumSGPRsForWavesPerEU: 38
; NumVGPRsForWavesPerEU: 55
; NamedBarCnt: 0
; Occupancy: 16
; WaveLimiterHint : 1
; COMPUTE_PGM_RSRC2:SCRATCH_EN: 0
; COMPUTE_PGM_RSRC2:USER_SGPR: 2
; COMPUTE_PGM_RSRC2:TRAP_HANDLER: 0
; COMPUTE_PGM_RSRC2:TGID_X_EN: 1
; COMPUTE_PGM_RSRC2:TGID_Y_EN: 0
; COMPUTE_PGM_RSRC2:TGID_Z_EN: 0
; COMPUTE_PGM_RSRC2:TIDIG_COMP_CNT: 0
	.section	.text._ZN7rocprim17ROCPRIM_400000_NS6detail17trampoline_kernelINS0_14default_configENS1_25partition_config_selectorILNS1_17partition_subalgoE9EllbEEZZNS1_14partition_implILS5_9ELb0ES3_jPlS8_PNS0_10empty_typeENS0_5tupleIJS8_S9_EEENSB_IJS8_SA_EEENS0_18inequality_wrapperIZN2at6native12_GLOBAL__N_124unique_dim_cuda_templateIfEESt5tupleIJNSF_6TensorESK_SK_EERKSK_lbbbEUlllE0_EEPmJS9_EEE10hipError_tPvRmT3_T4_T5_T6_T7_T9_mT8_P12ihipStream_tbDpT10_ENKUlT_T0_E_clISt17integral_constantIbLb0EES19_IbLb1EEEEDaS15_S16_EUlS15_E_NS1_11comp_targetILNS1_3genE5ELNS1_11target_archE942ELNS1_3gpuE9ELNS1_3repE0EEENS1_30default_config_static_selectorELNS0_4arch9wavefront6targetE0EEEvT1_,"axG",@progbits,_ZN7rocprim17ROCPRIM_400000_NS6detail17trampoline_kernelINS0_14default_configENS1_25partition_config_selectorILNS1_17partition_subalgoE9EllbEEZZNS1_14partition_implILS5_9ELb0ES3_jPlS8_PNS0_10empty_typeENS0_5tupleIJS8_S9_EEENSB_IJS8_SA_EEENS0_18inequality_wrapperIZN2at6native12_GLOBAL__N_124unique_dim_cuda_templateIfEESt5tupleIJNSF_6TensorESK_SK_EERKSK_lbbbEUlllE0_EEPmJS9_EEE10hipError_tPvRmT3_T4_T5_T6_T7_T9_mT8_P12ihipStream_tbDpT10_ENKUlT_T0_E_clISt17integral_constantIbLb0EES19_IbLb1EEEEDaS15_S16_EUlS15_E_NS1_11comp_targetILNS1_3genE5ELNS1_11target_archE942ELNS1_3gpuE9ELNS1_3repE0EEENS1_30default_config_static_selectorELNS0_4arch9wavefront6targetE0EEEvT1_,comdat
	.globl	_ZN7rocprim17ROCPRIM_400000_NS6detail17trampoline_kernelINS0_14default_configENS1_25partition_config_selectorILNS1_17partition_subalgoE9EllbEEZZNS1_14partition_implILS5_9ELb0ES3_jPlS8_PNS0_10empty_typeENS0_5tupleIJS8_S9_EEENSB_IJS8_SA_EEENS0_18inequality_wrapperIZN2at6native12_GLOBAL__N_124unique_dim_cuda_templateIfEESt5tupleIJNSF_6TensorESK_SK_EERKSK_lbbbEUlllE0_EEPmJS9_EEE10hipError_tPvRmT3_T4_T5_T6_T7_T9_mT8_P12ihipStream_tbDpT10_ENKUlT_T0_E_clISt17integral_constantIbLb0EES19_IbLb1EEEEDaS15_S16_EUlS15_E_NS1_11comp_targetILNS1_3genE5ELNS1_11target_archE942ELNS1_3gpuE9ELNS1_3repE0EEENS1_30default_config_static_selectorELNS0_4arch9wavefront6targetE0EEEvT1_ ; -- Begin function _ZN7rocprim17ROCPRIM_400000_NS6detail17trampoline_kernelINS0_14default_configENS1_25partition_config_selectorILNS1_17partition_subalgoE9EllbEEZZNS1_14partition_implILS5_9ELb0ES3_jPlS8_PNS0_10empty_typeENS0_5tupleIJS8_S9_EEENSB_IJS8_SA_EEENS0_18inequality_wrapperIZN2at6native12_GLOBAL__N_124unique_dim_cuda_templateIfEESt5tupleIJNSF_6TensorESK_SK_EERKSK_lbbbEUlllE0_EEPmJS9_EEE10hipError_tPvRmT3_T4_T5_T6_T7_T9_mT8_P12ihipStream_tbDpT10_ENKUlT_T0_E_clISt17integral_constantIbLb0EES19_IbLb1EEEEDaS15_S16_EUlS15_E_NS1_11comp_targetILNS1_3genE5ELNS1_11target_archE942ELNS1_3gpuE9ELNS1_3repE0EEENS1_30default_config_static_selectorELNS0_4arch9wavefront6targetE0EEEvT1_
	.p2align	8
	.type	_ZN7rocprim17ROCPRIM_400000_NS6detail17trampoline_kernelINS0_14default_configENS1_25partition_config_selectorILNS1_17partition_subalgoE9EllbEEZZNS1_14partition_implILS5_9ELb0ES3_jPlS8_PNS0_10empty_typeENS0_5tupleIJS8_S9_EEENSB_IJS8_SA_EEENS0_18inequality_wrapperIZN2at6native12_GLOBAL__N_124unique_dim_cuda_templateIfEESt5tupleIJNSF_6TensorESK_SK_EERKSK_lbbbEUlllE0_EEPmJS9_EEE10hipError_tPvRmT3_T4_T5_T6_T7_T9_mT8_P12ihipStream_tbDpT10_ENKUlT_T0_E_clISt17integral_constantIbLb0EES19_IbLb1EEEEDaS15_S16_EUlS15_E_NS1_11comp_targetILNS1_3genE5ELNS1_11target_archE942ELNS1_3gpuE9ELNS1_3repE0EEENS1_30default_config_static_selectorELNS0_4arch9wavefront6targetE0EEEvT1_,@function
_ZN7rocprim17ROCPRIM_400000_NS6detail17trampoline_kernelINS0_14default_configENS1_25partition_config_selectorILNS1_17partition_subalgoE9EllbEEZZNS1_14partition_implILS5_9ELb0ES3_jPlS8_PNS0_10empty_typeENS0_5tupleIJS8_S9_EEENSB_IJS8_SA_EEENS0_18inequality_wrapperIZN2at6native12_GLOBAL__N_124unique_dim_cuda_templateIfEESt5tupleIJNSF_6TensorESK_SK_EERKSK_lbbbEUlllE0_EEPmJS9_EEE10hipError_tPvRmT3_T4_T5_T6_T7_T9_mT8_P12ihipStream_tbDpT10_ENKUlT_T0_E_clISt17integral_constantIbLb0EES19_IbLb1EEEEDaS15_S16_EUlS15_E_NS1_11comp_targetILNS1_3genE5ELNS1_11target_archE942ELNS1_3gpuE9ELNS1_3repE0EEENS1_30default_config_static_selectorELNS0_4arch9wavefront6targetE0EEEvT1_: ; @_ZN7rocprim17ROCPRIM_400000_NS6detail17trampoline_kernelINS0_14default_configENS1_25partition_config_selectorILNS1_17partition_subalgoE9EllbEEZZNS1_14partition_implILS5_9ELb0ES3_jPlS8_PNS0_10empty_typeENS0_5tupleIJS8_S9_EEENSB_IJS8_SA_EEENS0_18inequality_wrapperIZN2at6native12_GLOBAL__N_124unique_dim_cuda_templateIfEESt5tupleIJNSF_6TensorESK_SK_EERKSK_lbbbEUlllE0_EEPmJS9_EEE10hipError_tPvRmT3_T4_T5_T6_T7_T9_mT8_P12ihipStream_tbDpT10_ENKUlT_T0_E_clISt17integral_constantIbLb0EES19_IbLb1EEEEDaS15_S16_EUlS15_E_NS1_11comp_targetILNS1_3genE5ELNS1_11target_archE942ELNS1_3gpuE9ELNS1_3repE0EEENS1_30default_config_static_selectorELNS0_4arch9wavefront6targetE0EEEvT1_
; %bb.0:
	.section	.rodata,"a",@progbits
	.p2align	6, 0x0
	.amdhsa_kernel _ZN7rocprim17ROCPRIM_400000_NS6detail17trampoline_kernelINS0_14default_configENS1_25partition_config_selectorILNS1_17partition_subalgoE9EllbEEZZNS1_14partition_implILS5_9ELb0ES3_jPlS8_PNS0_10empty_typeENS0_5tupleIJS8_S9_EEENSB_IJS8_SA_EEENS0_18inequality_wrapperIZN2at6native12_GLOBAL__N_124unique_dim_cuda_templateIfEESt5tupleIJNSF_6TensorESK_SK_EERKSK_lbbbEUlllE0_EEPmJS9_EEE10hipError_tPvRmT3_T4_T5_T6_T7_T9_mT8_P12ihipStream_tbDpT10_ENKUlT_T0_E_clISt17integral_constantIbLb0EES19_IbLb1EEEEDaS15_S16_EUlS15_E_NS1_11comp_targetILNS1_3genE5ELNS1_11target_archE942ELNS1_3gpuE9ELNS1_3repE0EEENS1_30default_config_static_selectorELNS0_4arch9wavefront6targetE0EEEvT1_
		.amdhsa_group_segment_fixed_size 0
		.amdhsa_private_segment_fixed_size 0
		.amdhsa_kernarg_size 136
		.amdhsa_user_sgpr_count 2
		.amdhsa_user_sgpr_dispatch_ptr 0
		.amdhsa_user_sgpr_queue_ptr 0
		.amdhsa_user_sgpr_kernarg_segment_ptr 1
		.amdhsa_user_sgpr_dispatch_id 0
		.amdhsa_user_sgpr_kernarg_preload_length 0
		.amdhsa_user_sgpr_kernarg_preload_offset 0
		.amdhsa_user_sgpr_private_segment_size 0
		.amdhsa_wavefront_size32 1
		.amdhsa_uses_dynamic_stack 0
		.amdhsa_enable_private_segment 0
		.amdhsa_system_sgpr_workgroup_id_x 1
		.amdhsa_system_sgpr_workgroup_id_y 0
		.amdhsa_system_sgpr_workgroup_id_z 0
		.amdhsa_system_sgpr_workgroup_info 0
		.amdhsa_system_vgpr_workitem_id 0
		.amdhsa_next_free_vgpr 1
		.amdhsa_next_free_sgpr 1
		.amdhsa_named_barrier_count 0
		.amdhsa_reserve_vcc 0
		.amdhsa_float_round_mode_32 0
		.amdhsa_float_round_mode_16_64 0
		.amdhsa_float_denorm_mode_32 3
		.amdhsa_float_denorm_mode_16_64 3
		.amdhsa_fp16_overflow 0
		.amdhsa_memory_ordered 1
		.amdhsa_forward_progress 1
		.amdhsa_inst_pref_size 0
		.amdhsa_round_robin_scheduling 0
		.amdhsa_exception_fp_ieee_invalid_op 0
		.amdhsa_exception_fp_denorm_src 0
		.amdhsa_exception_fp_ieee_div_zero 0
		.amdhsa_exception_fp_ieee_overflow 0
		.amdhsa_exception_fp_ieee_underflow 0
		.amdhsa_exception_fp_ieee_inexact 0
		.amdhsa_exception_int_div_zero 0
	.end_amdhsa_kernel
	.section	.text._ZN7rocprim17ROCPRIM_400000_NS6detail17trampoline_kernelINS0_14default_configENS1_25partition_config_selectorILNS1_17partition_subalgoE9EllbEEZZNS1_14partition_implILS5_9ELb0ES3_jPlS8_PNS0_10empty_typeENS0_5tupleIJS8_S9_EEENSB_IJS8_SA_EEENS0_18inequality_wrapperIZN2at6native12_GLOBAL__N_124unique_dim_cuda_templateIfEESt5tupleIJNSF_6TensorESK_SK_EERKSK_lbbbEUlllE0_EEPmJS9_EEE10hipError_tPvRmT3_T4_T5_T6_T7_T9_mT8_P12ihipStream_tbDpT10_ENKUlT_T0_E_clISt17integral_constantIbLb0EES19_IbLb1EEEEDaS15_S16_EUlS15_E_NS1_11comp_targetILNS1_3genE5ELNS1_11target_archE942ELNS1_3gpuE9ELNS1_3repE0EEENS1_30default_config_static_selectorELNS0_4arch9wavefront6targetE0EEEvT1_,"axG",@progbits,_ZN7rocprim17ROCPRIM_400000_NS6detail17trampoline_kernelINS0_14default_configENS1_25partition_config_selectorILNS1_17partition_subalgoE9EllbEEZZNS1_14partition_implILS5_9ELb0ES3_jPlS8_PNS0_10empty_typeENS0_5tupleIJS8_S9_EEENSB_IJS8_SA_EEENS0_18inequality_wrapperIZN2at6native12_GLOBAL__N_124unique_dim_cuda_templateIfEESt5tupleIJNSF_6TensorESK_SK_EERKSK_lbbbEUlllE0_EEPmJS9_EEE10hipError_tPvRmT3_T4_T5_T6_T7_T9_mT8_P12ihipStream_tbDpT10_ENKUlT_T0_E_clISt17integral_constantIbLb0EES19_IbLb1EEEEDaS15_S16_EUlS15_E_NS1_11comp_targetILNS1_3genE5ELNS1_11target_archE942ELNS1_3gpuE9ELNS1_3repE0EEENS1_30default_config_static_selectorELNS0_4arch9wavefront6targetE0EEEvT1_,comdat
.Lfunc_end986:
	.size	_ZN7rocprim17ROCPRIM_400000_NS6detail17trampoline_kernelINS0_14default_configENS1_25partition_config_selectorILNS1_17partition_subalgoE9EllbEEZZNS1_14partition_implILS5_9ELb0ES3_jPlS8_PNS0_10empty_typeENS0_5tupleIJS8_S9_EEENSB_IJS8_SA_EEENS0_18inequality_wrapperIZN2at6native12_GLOBAL__N_124unique_dim_cuda_templateIfEESt5tupleIJNSF_6TensorESK_SK_EERKSK_lbbbEUlllE0_EEPmJS9_EEE10hipError_tPvRmT3_T4_T5_T6_T7_T9_mT8_P12ihipStream_tbDpT10_ENKUlT_T0_E_clISt17integral_constantIbLb0EES19_IbLb1EEEEDaS15_S16_EUlS15_E_NS1_11comp_targetILNS1_3genE5ELNS1_11target_archE942ELNS1_3gpuE9ELNS1_3repE0EEENS1_30default_config_static_selectorELNS0_4arch9wavefront6targetE0EEEvT1_, .Lfunc_end986-_ZN7rocprim17ROCPRIM_400000_NS6detail17trampoline_kernelINS0_14default_configENS1_25partition_config_selectorILNS1_17partition_subalgoE9EllbEEZZNS1_14partition_implILS5_9ELb0ES3_jPlS8_PNS0_10empty_typeENS0_5tupleIJS8_S9_EEENSB_IJS8_SA_EEENS0_18inequality_wrapperIZN2at6native12_GLOBAL__N_124unique_dim_cuda_templateIfEESt5tupleIJNSF_6TensorESK_SK_EERKSK_lbbbEUlllE0_EEPmJS9_EEE10hipError_tPvRmT3_T4_T5_T6_T7_T9_mT8_P12ihipStream_tbDpT10_ENKUlT_T0_E_clISt17integral_constantIbLb0EES19_IbLb1EEEEDaS15_S16_EUlS15_E_NS1_11comp_targetILNS1_3genE5ELNS1_11target_archE942ELNS1_3gpuE9ELNS1_3repE0EEENS1_30default_config_static_selectorELNS0_4arch9wavefront6targetE0EEEvT1_
                                        ; -- End function
	.set _ZN7rocprim17ROCPRIM_400000_NS6detail17trampoline_kernelINS0_14default_configENS1_25partition_config_selectorILNS1_17partition_subalgoE9EllbEEZZNS1_14partition_implILS5_9ELb0ES3_jPlS8_PNS0_10empty_typeENS0_5tupleIJS8_S9_EEENSB_IJS8_SA_EEENS0_18inequality_wrapperIZN2at6native12_GLOBAL__N_124unique_dim_cuda_templateIfEESt5tupleIJNSF_6TensorESK_SK_EERKSK_lbbbEUlllE0_EEPmJS9_EEE10hipError_tPvRmT3_T4_T5_T6_T7_T9_mT8_P12ihipStream_tbDpT10_ENKUlT_T0_E_clISt17integral_constantIbLb0EES19_IbLb1EEEEDaS15_S16_EUlS15_E_NS1_11comp_targetILNS1_3genE5ELNS1_11target_archE942ELNS1_3gpuE9ELNS1_3repE0EEENS1_30default_config_static_selectorELNS0_4arch9wavefront6targetE0EEEvT1_.num_vgpr, 0
	.set _ZN7rocprim17ROCPRIM_400000_NS6detail17trampoline_kernelINS0_14default_configENS1_25partition_config_selectorILNS1_17partition_subalgoE9EllbEEZZNS1_14partition_implILS5_9ELb0ES3_jPlS8_PNS0_10empty_typeENS0_5tupleIJS8_S9_EEENSB_IJS8_SA_EEENS0_18inequality_wrapperIZN2at6native12_GLOBAL__N_124unique_dim_cuda_templateIfEESt5tupleIJNSF_6TensorESK_SK_EERKSK_lbbbEUlllE0_EEPmJS9_EEE10hipError_tPvRmT3_T4_T5_T6_T7_T9_mT8_P12ihipStream_tbDpT10_ENKUlT_T0_E_clISt17integral_constantIbLb0EES19_IbLb1EEEEDaS15_S16_EUlS15_E_NS1_11comp_targetILNS1_3genE5ELNS1_11target_archE942ELNS1_3gpuE9ELNS1_3repE0EEENS1_30default_config_static_selectorELNS0_4arch9wavefront6targetE0EEEvT1_.num_agpr, 0
	.set _ZN7rocprim17ROCPRIM_400000_NS6detail17trampoline_kernelINS0_14default_configENS1_25partition_config_selectorILNS1_17partition_subalgoE9EllbEEZZNS1_14partition_implILS5_9ELb0ES3_jPlS8_PNS0_10empty_typeENS0_5tupleIJS8_S9_EEENSB_IJS8_SA_EEENS0_18inequality_wrapperIZN2at6native12_GLOBAL__N_124unique_dim_cuda_templateIfEESt5tupleIJNSF_6TensorESK_SK_EERKSK_lbbbEUlllE0_EEPmJS9_EEE10hipError_tPvRmT3_T4_T5_T6_T7_T9_mT8_P12ihipStream_tbDpT10_ENKUlT_T0_E_clISt17integral_constantIbLb0EES19_IbLb1EEEEDaS15_S16_EUlS15_E_NS1_11comp_targetILNS1_3genE5ELNS1_11target_archE942ELNS1_3gpuE9ELNS1_3repE0EEENS1_30default_config_static_selectorELNS0_4arch9wavefront6targetE0EEEvT1_.numbered_sgpr, 0
	.set _ZN7rocprim17ROCPRIM_400000_NS6detail17trampoline_kernelINS0_14default_configENS1_25partition_config_selectorILNS1_17partition_subalgoE9EllbEEZZNS1_14partition_implILS5_9ELb0ES3_jPlS8_PNS0_10empty_typeENS0_5tupleIJS8_S9_EEENSB_IJS8_SA_EEENS0_18inequality_wrapperIZN2at6native12_GLOBAL__N_124unique_dim_cuda_templateIfEESt5tupleIJNSF_6TensorESK_SK_EERKSK_lbbbEUlllE0_EEPmJS9_EEE10hipError_tPvRmT3_T4_T5_T6_T7_T9_mT8_P12ihipStream_tbDpT10_ENKUlT_T0_E_clISt17integral_constantIbLb0EES19_IbLb1EEEEDaS15_S16_EUlS15_E_NS1_11comp_targetILNS1_3genE5ELNS1_11target_archE942ELNS1_3gpuE9ELNS1_3repE0EEENS1_30default_config_static_selectorELNS0_4arch9wavefront6targetE0EEEvT1_.num_named_barrier, 0
	.set _ZN7rocprim17ROCPRIM_400000_NS6detail17trampoline_kernelINS0_14default_configENS1_25partition_config_selectorILNS1_17partition_subalgoE9EllbEEZZNS1_14partition_implILS5_9ELb0ES3_jPlS8_PNS0_10empty_typeENS0_5tupleIJS8_S9_EEENSB_IJS8_SA_EEENS0_18inequality_wrapperIZN2at6native12_GLOBAL__N_124unique_dim_cuda_templateIfEESt5tupleIJNSF_6TensorESK_SK_EERKSK_lbbbEUlllE0_EEPmJS9_EEE10hipError_tPvRmT3_T4_T5_T6_T7_T9_mT8_P12ihipStream_tbDpT10_ENKUlT_T0_E_clISt17integral_constantIbLb0EES19_IbLb1EEEEDaS15_S16_EUlS15_E_NS1_11comp_targetILNS1_3genE5ELNS1_11target_archE942ELNS1_3gpuE9ELNS1_3repE0EEENS1_30default_config_static_selectorELNS0_4arch9wavefront6targetE0EEEvT1_.private_seg_size, 0
	.set _ZN7rocprim17ROCPRIM_400000_NS6detail17trampoline_kernelINS0_14default_configENS1_25partition_config_selectorILNS1_17partition_subalgoE9EllbEEZZNS1_14partition_implILS5_9ELb0ES3_jPlS8_PNS0_10empty_typeENS0_5tupleIJS8_S9_EEENSB_IJS8_SA_EEENS0_18inequality_wrapperIZN2at6native12_GLOBAL__N_124unique_dim_cuda_templateIfEESt5tupleIJNSF_6TensorESK_SK_EERKSK_lbbbEUlllE0_EEPmJS9_EEE10hipError_tPvRmT3_T4_T5_T6_T7_T9_mT8_P12ihipStream_tbDpT10_ENKUlT_T0_E_clISt17integral_constantIbLb0EES19_IbLb1EEEEDaS15_S16_EUlS15_E_NS1_11comp_targetILNS1_3genE5ELNS1_11target_archE942ELNS1_3gpuE9ELNS1_3repE0EEENS1_30default_config_static_selectorELNS0_4arch9wavefront6targetE0EEEvT1_.uses_vcc, 0
	.set _ZN7rocprim17ROCPRIM_400000_NS6detail17trampoline_kernelINS0_14default_configENS1_25partition_config_selectorILNS1_17partition_subalgoE9EllbEEZZNS1_14partition_implILS5_9ELb0ES3_jPlS8_PNS0_10empty_typeENS0_5tupleIJS8_S9_EEENSB_IJS8_SA_EEENS0_18inequality_wrapperIZN2at6native12_GLOBAL__N_124unique_dim_cuda_templateIfEESt5tupleIJNSF_6TensorESK_SK_EERKSK_lbbbEUlllE0_EEPmJS9_EEE10hipError_tPvRmT3_T4_T5_T6_T7_T9_mT8_P12ihipStream_tbDpT10_ENKUlT_T0_E_clISt17integral_constantIbLb0EES19_IbLb1EEEEDaS15_S16_EUlS15_E_NS1_11comp_targetILNS1_3genE5ELNS1_11target_archE942ELNS1_3gpuE9ELNS1_3repE0EEENS1_30default_config_static_selectorELNS0_4arch9wavefront6targetE0EEEvT1_.uses_flat_scratch, 0
	.set _ZN7rocprim17ROCPRIM_400000_NS6detail17trampoline_kernelINS0_14default_configENS1_25partition_config_selectorILNS1_17partition_subalgoE9EllbEEZZNS1_14partition_implILS5_9ELb0ES3_jPlS8_PNS0_10empty_typeENS0_5tupleIJS8_S9_EEENSB_IJS8_SA_EEENS0_18inequality_wrapperIZN2at6native12_GLOBAL__N_124unique_dim_cuda_templateIfEESt5tupleIJNSF_6TensorESK_SK_EERKSK_lbbbEUlllE0_EEPmJS9_EEE10hipError_tPvRmT3_T4_T5_T6_T7_T9_mT8_P12ihipStream_tbDpT10_ENKUlT_T0_E_clISt17integral_constantIbLb0EES19_IbLb1EEEEDaS15_S16_EUlS15_E_NS1_11comp_targetILNS1_3genE5ELNS1_11target_archE942ELNS1_3gpuE9ELNS1_3repE0EEENS1_30default_config_static_selectorELNS0_4arch9wavefront6targetE0EEEvT1_.has_dyn_sized_stack, 0
	.set _ZN7rocprim17ROCPRIM_400000_NS6detail17trampoline_kernelINS0_14default_configENS1_25partition_config_selectorILNS1_17partition_subalgoE9EllbEEZZNS1_14partition_implILS5_9ELb0ES3_jPlS8_PNS0_10empty_typeENS0_5tupleIJS8_S9_EEENSB_IJS8_SA_EEENS0_18inequality_wrapperIZN2at6native12_GLOBAL__N_124unique_dim_cuda_templateIfEESt5tupleIJNSF_6TensorESK_SK_EERKSK_lbbbEUlllE0_EEPmJS9_EEE10hipError_tPvRmT3_T4_T5_T6_T7_T9_mT8_P12ihipStream_tbDpT10_ENKUlT_T0_E_clISt17integral_constantIbLb0EES19_IbLb1EEEEDaS15_S16_EUlS15_E_NS1_11comp_targetILNS1_3genE5ELNS1_11target_archE942ELNS1_3gpuE9ELNS1_3repE0EEENS1_30default_config_static_selectorELNS0_4arch9wavefront6targetE0EEEvT1_.has_recursion, 0
	.set _ZN7rocprim17ROCPRIM_400000_NS6detail17trampoline_kernelINS0_14default_configENS1_25partition_config_selectorILNS1_17partition_subalgoE9EllbEEZZNS1_14partition_implILS5_9ELb0ES3_jPlS8_PNS0_10empty_typeENS0_5tupleIJS8_S9_EEENSB_IJS8_SA_EEENS0_18inequality_wrapperIZN2at6native12_GLOBAL__N_124unique_dim_cuda_templateIfEESt5tupleIJNSF_6TensorESK_SK_EERKSK_lbbbEUlllE0_EEPmJS9_EEE10hipError_tPvRmT3_T4_T5_T6_T7_T9_mT8_P12ihipStream_tbDpT10_ENKUlT_T0_E_clISt17integral_constantIbLb0EES19_IbLb1EEEEDaS15_S16_EUlS15_E_NS1_11comp_targetILNS1_3genE5ELNS1_11target_archE942ELNS1_3gpuE9ELNS1_3repE0EEENS1_30default_config_static_selectorELNS0_4arch9wavefront6targetE0EEEvT1_.has_indirect_call, 0
	.section	.AMDGPU.csdata,"",@progbits
; Kernel info:
; codeLenInByte = 0
; TotalNumSgprs: 0
; NumVgprs: 0
; ScratchSize: 0
; MemoryBound: 0
; FloatMode: 240
; IeeeMode: 1
; LDSByteSize: 0 bytes/workgroup (compile time only)
; SGPRBlocks: 0
; VGPRBlocks: 0
; NumSGPRsForWavesPerEU: 1
; NumVGPRsForWavesPerEU: 1
; NamedBarCnt: 0
; Occupancy: 16
; WaveLimiterHint : 0
; COMPUTE_PGM_RSRC2:SCRATCH_EN: 0
; COMPUTE_PGM_RSRC2:USER_SGPR: 2
; COMPUTE_PGM_RSRC2:TRAP_HANDLER: 0
; COMPUTE_PGM_RSRC2:TGID_X_EN: 1
; COMPUTE_PGM_RSRC2:TGID_Y_EN: 0
; COMPUTE_PGM_RSRC2:TGID_Z_EN: 0
; COMPUTE_PGM_RSRC2:TIDIG_COMP_CNT: 0
	.section	.text._ZN7rocprim17ROCPRIM_400000_NS6detail17trampoline_kernelINS0_14default_configENS1_25partition_config_selectorILNS1_17partition_subalgoE9EllbEEZZNS1_14partition_implILS5_9ELb0ES3_jPlS8_PNS0_10empty_typeENS0_5tupleIJS8_S9_EEENSB_IJS8_SA_EEENS0_18inequality_wrapperIZN2at6native12_GLOBAL__N_124unique_dim_cuda_templateIfEESt5tupleIJNSF_6TensorESK_SK_EERKSK_lbbbEUlllE0_EEPmJS9_EEE10hipError_tPvRmT3_T4_T5_T6_T7_T9_mT8_P12ihipStream_tbDpT10_ENKUlT_T0_E_clISt17integral_constantIbLb0EES19_IbLb1EEEEDaS15_S16_EUlS15_E_NS1_11comp_targetILNS1_3genE4ELNS1_11target_archE910ELNS1_3gpuE8ELNS1_3repE0EEENS1_30default_config_static_selectorELNS0_4arch9wavefront6targetE0EEEvT1_,"axG",@progbits,_ZN7rocprim17ROCPRIM_400000_NS6detail17trampoline_kernelINS0_14default_configENS1_25partition_config_selectorILNS1_17partition_subalgoE9EllbEEZZNS1_14partition_implILS5_9ELb0ES3_jPlS8_PNS0_10empty_typeENS0_5tupleIJS8_S9_EEENSB_IJS8_SA_EEENS0_18inequality_wrapperIZN2at6native12_GLOBAL__N_124unique_dim_cuda_templateIfEESt5tupleIJNSF_6TensorESK_SK_EERKSK_lbbbEUlllE0_EEPmJS9_EEE10hipError_tPvRmT3_T4_T5_T6_T7_T9_mT8_P12ihipStream_tbDpT10_ENKUlT_T0_E_clISt17integral_constantIbLb0EES19_IbLb1EEEEDaS15_S16_EUlS15_E_NS1_11comp_targetILNS1_3genE4ELNS1_11target_archE910ELNS1_3gpuE8ELNS1_3repE0EEENS1_30default_config_static_selectorELNS0_4arch9wavefront6targetE0EEEvT1_,comdat
	.globl	_ZN7rocprim17ROCPRIM_400000_NS6detail17trampoline_kernelINS0_14default_configENS1_25partition_config_selectorILNS1_17partition_subalgoE9EllbEEZZNS1_14partition_implILS5_9ELb0ES3_jPlS8_PNS0_10empty_typeENS0_5tupleIJS8_S9_EEENSB_IJS8_SA_EEENS0_18inequality_wrapperIZN2at6native12_GLOBAL__N_124unique_dim_cuda_templateIfEESt5tupleIJNSF_6TensorESK_SK_EERKSK_lbbbEUlllE0_EEPmJS9_EEE10hipError_tPvRmT3_T4_T5_T6_T7_T9_mT8_P12ihipStream_tbDpT10_ENKUlT_T0_E_clISt17integral_constantIbLb0EES19_IbLb1EEEEDaS15_S16_EUlS15_E_NS1_11comp_targetILNS1_3genE4ELNS1_11target_archE910ELNS1_3gpuE8ELNS1_3repE0EEENS1_30default_config_static_selectorELNS0_4arch9wavefront6targetE0EEEvT1_ ; -- Begin function _ZN7rocprim17ROCPRIM_400000_NS6detail17trampoline_kernelINS0_14default_configENS1_25partition_config_selectorILNS1_17partition_subalgoE9EllbEEZZNS1_14partition_implILS5_9ELb0ES3_jPlS8_PNS0_10empty_typeENS0_5tupleIJS8_S9_EEENSB_IJS8_SA_EEENS0_18inequality_wrapperIZN2at6native12_GLOBAL__N_124unique_dim_cuda_templateIfEESt5tupleIJNSF_6TensorESK_SK_EERKSK_lbbbEUlllE0_EEPmJS9_EEE10hipError_tPvRmT3_T4_T5_T6_T7_T9_mT8_P12ihipStream_tbDpT10_ENKUlT_T0_E_clISt17integral_constantIbLb0EES19_IbLb1EEEEDaS15_S16_EUlS15_E_NS1_11comp_targetILNS1_3genE4ELNS1_11target_archE910ELNS1_3gpuE8ELNS1_3repE0EEENS1_30default_config_static_selectorELNS0_4arch9wavefront6targetE0EEEvT1_
	.p2align	8
	.type	_ZN7rocprim17ROCPRIM_400000_NS6detail17trampoline_kernelINS0_14default_configENS1_25partition_config_selectorILNS1_17partition_subalgoE9EllbEEZZNS1_14partition_implILS5_9ELb0ES3_jPlS8_PNS0_10empty_typeENS0_5tupleIJS8_S9_EEENSB_IJS8_SA_EEENS0_18inequality_wrapperIZN2at6native12_GLOBAL__N_124unique_dim_cuda_templateIfEESt5tupleIJNSF_6TensorESK_SK_EERKSK_lbbbEUlllE0_EEPmJS9_EEE10hipError_tPvRmT3_T4_T5_T6_T7_T9_mT8_P12ihipStream_tbDpT10_ENKUlT_T0_E_clISt17integral_constantIbLb0EES19_IbLb1EEEEDaS15_S16_EUlS15_E_NS1_11comp_targetILNS1_3genE4ELNS1_11target_archE910ELNS1_3gpuE8ELNS1_3repE0EEENS1_30default_config_static_selectorELNS0_4arch9wavefront6targetE0EEEvT1_,@function
_ZN7rocprim17ROCPRIM_400000_NS6detail17trampoline_kernelINS0_14default_configENS1_25partition_config_selectorILNS1_17partition_subalgoE9EllbEEZZNS1_14partition_implILS5_9ELb0ES3_jPlS8_PNS0_10empty_typeENS0_5tupleIJS8_S9_EEENSB_IJS8_SA_EEENS0_18inequality_wrapperIZN2at6native12_GLOBAL__N_124unique_dim_cuda_templateIfEESt5tupleIJNSF_6TensorESK_SK_EERKSK_lbbbEUlllE0_EEPmJS9_EEE10hipError_tPvRmT3_T4_T5_T6_T7_T9_mT8_P12ihipStream_tbDpT10_ENKUlT_T0_E_clISt17integral_constantIbLb0EES19_IbLb1EEEEDaS15_S16_EUlS15_E_NS1_11comp_targetILNS1_3genE4ELNS1_11target_archE910ELNS1_3gpuE8ELNS1_3repE0EEENS1_30default_config_static_selectorELNS0_4arch9wavefront6targetE0EEEvT1_: ; @_ZN7rocprim17ROCPRIM_400000_NS6detail17trampoline_kernelINS0_14default_configENS1_25partition_config_selectorILNS1_17partition_subalgoE9EllbEEZZNS1_14partition_implILS5_9ELb0ES3_jPlS8_PNS0_10empty_typeENS0_5tupleIJS8_S9_EEENSB_IJS8_SA_EEENS0_18inequality_wrapperIZN2at6native12_GLOBAL__N_124unique_dim_cuda_templateIfEESt5tupleIJNSF_6TensorESK_SK_EERKSK_lbbbEUlllE0_EEPmJS9_EEE10hipError_tPvRmT3_T4_T5_T6_T7_T9_mT8_P12ihipStream_tbDpT10_ENKUlT_T0_E_clISt17integral_constantIbLb0EES19_IbLb1EEEEDaS15_S16_EUlS15_E_NS1_11comp_targetILNS1_3genE4ELNS1_11target_archE910ELNS1_3gpuE8ELNS1_3repE0EEENS1_30default_config_static_selectorELNS0_4arch9wavefront6targetE0EEEvT1_
; %bb.0:
	.section	.rodata,"a",@progbits
	.p2align	6, 0x0
	.amdhsa_kernel _ZN7rocprim17ROCPRIM_400000_NS6detail17trampoline_kernelINS0_14default_configENS1_25partition_config_selectorILNS1_17partition_subalgoE9EllbEEZZNS1_14partition_implILS5_9ELb0ES3_jPlS8_PNS0_10empty_typeENS0_5tupleIJS8_S9_EEENSB_IJS8_SA_EEENS0_18inequality_wrapperIZN2at6native12_GLOBAL__N_124unique_dim_cuda_templateIfEESt5tupleIJNSF_6TensorESK_SK_EERKSK_lbbbEUlllE0_EEPmJS9_EEE10hipError_tPvRmT3_T4_T5_T6_T7_T9_mT8_P12ihipStream_tbDpT10_ENKUlT_T0_E_clISt17integral_constantIbLb0EES19_IbLb1EEEEDaS15_S16_EUlS15_E_NS1_11comp_targetILNS1_3genE4ELNS1_11target_archE910ELNS1_3gpuE8ELNS1_3repE0EEENS1_30default_config_static_selectorELNS0_4arch9wavefront6targetE0EEEvT1_
		.amdhsa_group_segment_fixed_size 0
		.amdhsa_private_segment_fixed_size 0
		.amdhsa_kernarg_size 136
		.amdhsa_user_sgpr_count 2
		.amdhsa_user_sgpr_dispatch_ptr 0
		.amdhsa_user_sgpr_queue_ptr 0
		.amdhsa_user_sgpr_kernarg_segment_ptr 1
		.amdhsa_user_sgpr_dispatch_id 0
		.amdhsa_user_sgpr_kernarg_preload_length 0
		.amdhsa_user_sgpr_kernarg_preload_offset 0
		.amdhsa_user_sgpr_private_segment_size 0
		.amdhsa_wavefront_size32 1
		.amdhsa_uses_dynamic_stack 0
		.amdhsa_enable_private_segment 0
		.amdhsa_system_sgpr_workgroup_id_x 1
		.amdhsa_system_sgpr_workgroup_id_y 0
		.amdhsa_system_sgpr_workgroup_id_z 0
		.amdhsa_system_sgpr_workgroup_info 0
		.amdhsa_system_vgpr_workitem_id 0
		.amdhsa_next_free_vgpr 1
		.amdhsa_next_free_sgpr 1
		.amdhsa_named_barrier_count 0
		.amdhsa_reserve_vcc 0
		.amdhsa_float_round_mode_32 0
		.amdhsa_float_round_mode_16_64 0
		.amdhsa_float_denorm_mode_32 3
		.amdhsa_float_denorm_mode_16_64 3
		.amdhsa_fp16_overflow 0
		.amdhsa_memory_ordered 1
		.amdhsa_forward_progress 1
		.amdhsa_inst_pref_size 0
		.amdhsa_round_robin_scheduling 0
		.amdhsa_exception_fp_ieee_invalid_op 0
		.amdhsa_exception_fp_denorm_src 0
		.amdhsa_exception_fp_ieee_div_zero 0
		.amdhsa_exception_fp_ieee_overflow 0
		.amdhsa_exception_fp_ieee_underflow 0
		.amdhsa_exception_fp_ieee_inexact 0
		.amdhsa_exception_int_div_zero 0
	.end_amdhsa_kernel
	.section	.text._ZN7rocprim17ROCPRIM_400000_NS6detail17trampoline_kernelINS0_14default_configENS1_25partition_config_selectorILNS1_17partition_subalgoE9EllbEEZZNS1_14partition_implILS5_9ELb0ES3_jPlS8_PNS0_10empty_typeENS0_5tupleIJS8_S9_EEENSB_IJS8_SA_EEENS0_18inequality_wrapperIZN2at6native12_GLOBAL__N_124unique_dim_cuda_templateIfEESt5tupleIJNSF_6TensorESK_SK_EERKSK_lbbbEUlllE0_EEPmJS9_EEE10hipError_tPvRmT3_T4_T5_T6_T7_T9_mT8_P12ihipStream_tbDpT10_ENKUlT_T0_E_clISt17integral_constantIbLb0EES19_IbLb1EEEEDaS15_S16_EUlS15_E_NS1_11comp_targetILNS1_3genE4ELNS1_11target_archE910ELNS1_3gpuE8ELNS1_3repE0EEENS1_30default_config_static_selectorELNS0_4arch9wavefront6targetE0EEEvT1_,"axG",@progbits,_ZN7rocprim17ROCPRIM_400000_NS6detail17trampoline_kernelINS0_14default_configENS1_25partition_config_selectorILNS1_17partition_subalgoE9EllbEEZZNS1_14partition_implILS5_9ELb0ES3_jPlS8_PNS0_10empty_typeENS0_5tupleIJS8_S9_EEENSB_IJS8_SA_EEENS0_18inequality_wrapperIZN2at6native12_GLOBAL__N_124unique_dim_cuda_templateIfEESt5tupleIJNSF_6TensorESK_SK_EERKSK_lbbbEUlllE0_EEPmJS9_EEE10hipError_tPvRmT3_T4_T5_T6_T7_T9_mT8_P12ihipStream_tbDpT10_ENKUlT_T0_E_clISt17integral_constantIbLb0EES19_IbLb1EEEEDaS15_S16_EUlS15_E_NS1_11comp_targetILNS1_3genE4ELNS1_11target_archE910ELNS1_3gpuE8ELNS1_3repE0EEENS1_30default_config_static_selectorELNS0_4arch9wavefront6targetE0EEEvT1_,comdat
.Lfunc_end987:
	.size	_ZN7rocprim17ROCPRIM_400000_NS6detail17trampoline_kernelINS0_14default_configENS1_25partition_config_selectorILNS1_17partition_subalgoE9EllbEEZZNS1_14partition_implILS5_9ELb0ES3_jPlS8_PNS0_10empty_typeENS0_5tupleIJS8_S9_EEENSB_IJS8_SA_EEENS0_18inequality_wrapperIZN2at6native12_GLOBAL__N_124unique_dim_cuda_templateIfEESt5tupleIJNSF_6TensorESK_SK_EERKSK_lbbbEUlllE0_EEPmJS9_EEE10hipError_tPvRmT3_T4_T5_T6_T7_T9_mT8_P12ihipStream_tbDpT10_ENKUlT_T0_E_clISt17integral_constantIbLb0EES19_IbLb1EEEEDaS15_S16_EUlS15_E_NS1_11comp_targetILNS1_3genE4ELNS1_11target_archE910ELNS1_3gpuE8ELNS1_3repE0EEENS1_30default_config_static_selectorELNS0_4arch9wavefront6targetE0EEEvT1_, .Lfunc_end987-_ZN7rocprim17ROCPRIM_400000_NS6detail17trampoline_kernelINS0_14default_configENS1_25partition_config_selectorILNS1_17partition_subalgoE9EllbEEZZNS1_14partition_implILS5_9ELb0ES3_jPlS8_PNS0_10empty_typeENS0_5tupleIJS8_S9_EEENSB_IJS8_SA_EEENS0_18inequality_wrapperIZN2at6native12_GLOBAL__N_124unique_dim_cuda_templateIfEESt5tupleIJNSF_6TensorESK_SK_EERKSK_lbbbEUlllE0_EEPmJS9_EEE10hipError_tPvRmT3_T4_T5_T6_T7_T9_mT8_P12ihipStream_tbDpT10_ENKUlT_T0_E_clISt17integral_constantIbLb0EES19_IbLb1EEEEDaS15_S16_EUlS15_E_NS1_11comp_targetILNS1_3genE4ELNS1_11target_archE910ELNS1_3gpuE8ELNS1_3repE0EEENS1_30default_config_static_selectorELNS0_4arch9wavefront6targetE0EEEvT1_
                                        ; -- End function
	.set _ZN7rocprim17ROCPRIM_400000_NS6detail17trampoline_kernelINS0_14default_configENS1_25partition_config_selectorILNS1_17partition_subalgoE9EllbEEZZNS1_14partition_implILS5_9ELb0ES3_jPlS8_PNS0_10empty_typeENS0_5tupleIJS8_S9_EEENSB_IJS8_SA_EEENS0_18inequality_wrapperIZN2at6native12_GLOBAL__N_124unique_dim_cuda_templateIfEESt5tupleIJNSF_6TensorESK_SK_EERKSK_lbbbEUlllE0_EEPmJS9_EEE10hipError_tPvRmT3_T4_T5_T6_T7_T9_mT8_P12ihipStream_tbDpT10_ENKUlT_T0_E_clISt17integral_constantIbLb0EES19_IbLb1EEEEDaS15_S16_EUlS15_E_NS1_11comp_targetILNS1_3genE4ELNS1_11target_archE910ELNS1_3gpuE8ELNS1_3repE0EEENS1_30default_config_static_selectorELNS0_4arch9wavefront6targetE0EEEvT1_.num_vgpr, 0
	.set _ZN7rocprim17ROCPRIM_400000_NS6detail17trampoline_kernelINS0_14default_configENS1_25partition_config_selectorILNS1_17partition_subalgoE9EllbEEZZNS1_14partition_implILS5_9ELb0ES3_jPlS8_PNS0_10empty_typeENS0_5tupleIJS8_S9_EEENSB_IJS8_SA_EEENS0_18inequality_wrapperIZN2at6native12_GLOBAL__N_124unique_dim_cuda_templateIfEESt5tupleIJNSF_6TensorESK_SK_EERKSK_lbbbEUlllE0_EEPmJS9_EEE10hipError_tPvRmT3_T4_T5_T6_T7_T9_mT8_P12ihipStream_tbDpT10_ENKUlT_T0_E_clISt17integral_constantIbLb0EES19_IbLb1EEEEDaS15_S16_EUlS15_E_NS1_11comp_targetILNS1_3genE4ELNS1_11target_archE910ELNS1_3gpuE8ELNS1_3repE0EEENS1_30default_config_static_selectorELNS0_4arch9wavefront6targetE0EEEvT1_.num_agpr, 0
	.set _ZN7rocprim17ROCPRIM_400000_NS6detail17trampoline_kernelINS0_14default_configENS1_25partition_config_selectorILNS1_17partition_subalgoE9EllbEEZZNS1_14partition_implILS5_9ELb0ES3_jPlS8_PNS0_10empty_typeENS0_5tupleIJS8_S9_EEENSB_IJS8_SA_EEENS0_18inequality_wrapperIZN2at6native12_GLOBAL__N_124unique_dim_cuda_templateIfEESt5tupleIJNSF_6TensorESK_SK_EERKSK_lbbbEUlllE0_EEPmJS9_EEE10hipError_tPvRmT3_T4_T5_T6_T7_T9_mT8_P12ihipStream_tbDpT10_ENKUlT_T0_E_clISt17integral_constantIbLb0EES19_IbLb1EEEEDaS15_S16_EUlS15_E_NS1_11comp_targetILNS1_3genE4ELNS1_11target_archE910ELNS1_3gpuE8ELNS1_3repE0EEENS1_30default_config_static_selectorELNS0_4arch9wavefront6targetE0EEEvT1_.numbered_sgpr, 0
	.set _ZN7rocprim17ROCPRIM_400000_NS6detail17trampoline_kernelINS0_14default_configENS1_25partition_config_selectorILNS1_17partition_subalgoE9EllbEEZZNS1_14partition_implILS5_9ELb0ES3_jPlS8_PNS0_10empty_typeENS0_5tupleIJS8_S9_EEENSB_IJS8_SA_EEENS0_18inequality_wrapperIZN2at6native12_GLOBAL__N_124unique_dim_cuda_templateIfEESt5tupleIJNSF_6TensorESK_SK_EERKSK_lbbbEUlllE0_EEPmJS9_EEE10hipError_tPvRmT3_T4_T5_T6_T7_T9_mT8_P12ihipStream_tbDpT10_ENKUlT_T0_E_clISt17integral_constantIbLb0EES19_IbLb1EEEEDaS15_S16_EUlS15_E_NS1_11comp_targetILNS1_3genE4ELNS1_11target_archE910ELNS1_3gpuE8ELNS1_3repE0EEENS1_30default_config_static_selectorELNS0_4arch9wavefront6targetE0EEEvT1_.num_named_barrier, 0
	.set _ZN7rocprim17ROCPRIM_400000_NS6detail17trampoline_kernelINS0_14default_configENS1_25partition_config_selectorILNS1_17partition_subalgoE9EllbEEZZNS1_14partition_implILS5_9ELb0ES3_jPlS8_PNS0_10empty_typeENS0_5tupleIJS8_S9_EEENSB_IJS8_SA_EEENS0_18inequality_wrapperIZN2at6native12_GLOBAL__N_124unique_dim_cuda_templateIfEESt5tupleIJNSF_6TensorESK_SK_EERKSK_lbbbEUlllE0_EEPmJS9_EEE10hipError_tPvRmT3_T4_T5_T6_T7_T9_mT8_P12ihipStream_tbDpT10_ENKUlT_T0_E_clISt17integral_constantIbLb0EES19_IbLb1EEEEDaS15_S16_EUlS15_E_NS1_11comp_targetILNS1_3genE4ELNS1_11target_archE910ELNS1_3gpuE8ELNS1_3repE0EEENS1_30default_config_static_selectorELNS0_4arch9wavefront6targetE0EEEvT1_.private_seg_size, 0
	.set _ZN7rocprim17ROCPRIM_400000_NS6detail17trampoline_kernelINS0_14default_configENS1_25partition_config_selectorILNS1_17partition_subalgoE9EllbEEZZNS1_14partition_implILS5_9ELb0ES3_jPlS8_PNS0_10empty_typeENS0_5tupleIJS8_S9_EEENSB_IJS8_SA_EEENS0_18inequality_wrapperIZN2at6native12_GLOBAL__N_124unique_dim_cuda_templateIfEESt5tupleIJNSF_6TensorESK_SK_EERKSK_lbbbEUlllE0_EEPmJS9_EEE10hipError_tPvRmT3_T4_T5_T6_T7_T9_mT8_P12ihipStream_tbDpT10_ENKUlT_T0_E_clISt17integral_constantIbLb0EES19_IbLb1EEEEDaS15_S16_EUlS15_E_NS1_11comp_targetILNS1_3genE4ELNS1_11target_archE910ELNS1_3gpuE8ELNS1_3repE0EEENS1_30default_config_static_selectorELNS0_4arch9wavefront6targetE0EEEvT1_.uses_vcc, 0
	.set _ZN7rocprim17ROCPRIM_400000_NS6detail17trampoline_kernelINS0_14default_configENS1_25partition_config_selectorILNS1_17partition_subalgoE9EllbEEZZNS1_14partition_implILS5_9ELb0ES3_jPlS8_PNS0_10empty_typeENS0_5tupleIJS8_S9_EEENSB_IJS8_SA_EEENS0_18inequality_wrapperIZN2at6native12_GLOBAL__N_124unique_dim_cuda_templateIfEESt5tupleIJNSF_6TensorESK_SK_EERKSK_lbbbEUlllE0_EEPmJS9_EEE10hipError_tPvRmT3_T4_T5_T6_T7_T9_mT8_P12ihipStream_tbDpT10_ENKUlT_T0_E_clISt17integral_constantIbLb0EES19_IbLb1EEEEDaS15_S16_EUlS15_E_NS1_11comp_targetILNS1_3genE4ELNS1_11target_archE910ELNS1_3gpuE8ELNS1_3repE0EEENS1_30default_config_static_selectorELNS0_4arch9wavefront6targetE0EEEvT1_.uses_flat_scratch, 0
	.set _ZN7rocprim17ROCPRIM_400000_NS6detail17trampoline_kernelINS0_14default_configENS1_25partition_config_selectorILNS1_17partition_subalgoE9EllbEEZZNS1_14partition_implILS5_9ELb0ES3_jPlS8_PNS0_10empty_typeENS0_5tupleIJS8_S9_EEENSB_IJS8_SA_EEENS0_18inequality_wrapperIZN2at6native12_GLOBAL__N_124unique_dim_cuda_templateIfEESt5tupleIJNSF_6TensorESK_SK_EERKSK_lbbbEUlllE0_EEPmJS9_EEE10hipError_tPvRmT3_T4_T5_T6_T7_T9_mT8_P12ihipStream_tbDpT10_ENKUlT_T0_E_clISt17integral_constantIbLb0EES19_IbLb1EEEEDaS15_S16_EUlS15_E_NS1_11comp_targetILNS1_3genE4ELNS1_11target_archE910ELNS1_3gpuE8ELNS1_3repE0EEENS1_30default_config_static_selectorELNS0_4arch9wavefront6targetE0EEEvT1_.has_dyn_sized_stack, 0
	.set _ZN7rocprim17ROCPRIM_400000_NS6detail17trampoline_kernelINS0_14default_configENS1_25partition_config_selectorILNS1_17partition_subalgoE9EllbEEZZNS1_14partition_implILS5_9ELb0ES3_jPlS8_PNS0_10empty_typeENS0_5tupleIJS8_S9_EEENSB_IJS8_SA_EEENS0_18inequality_wrapperIZN2at6native12_GLOBAL__N_124unique_dim_cuda_templateIfEESt5tupleIJNSF_6TensorESK_SK_EERKSK_lbbbEUlllE0_EEPmJS9_EEE10hipError_tPvRmT3_T4_T5_T6_T7_T9_mT8_P12ihipStream_tbDpT10_ENKUlT_T0_E_clISt17integral_constantIbLb0EES19_IbLb1EEEEDaS15_S16_EUlS15_E_NS1_11comp_targetILNS1_3genE4ELNS1_11target_archE910ELNS1_3gpuE8ELNS1_3repE0EEENS1_30default_config_static_selectorELNS0_4arch9wavefront6targetE0EEEvT1_.has_recursion, 0
	.set _ZN7rocprim17ROCPRIM_400000_NS6detail17trampoline_kernelINS0_14default_configENS1_25partition_config_selectorILNS1_17partition_subalgoE9EllbEEZZNS1_14partition_implILS5_9ELb0ES3_jPlS8_PNS0_10empty_typeENS0_5tupleIJS8_S9_EEENSB_IJS8_SA_EEENS0_18inequality_wrapperIZN2at6native12_GLOBAL__N_124unique_dim_cuda_templateIfEESt5tupleIJNSF_6TensorESK_SK_EERKSK_lbbbEUlllE0_EEPmJS9_EEE10hipError_tPvRmT3_T4_T5_T6_T7_T9_mT8_P12ihipStream_tbDpT10_ENKUlT_T0_E_clISt17integral_constantIbLb0EES19_IbLb1EEEEDaS15_S16_EUlS15_E_NS1_11comp_targetILNS1_3genE4ELNS1_11target_archE910ELNS1_3gpuE8ELNS1_3repE0EEENS1_30default_config_static_selectorELNS0_4arch9wavefront6targetE0EEEvT1_.has_indirect_call, 0
	.section	.AMDGPU.csdata,"",@progbits
; Kernel info:
; codeLenInByte = 0
; TotalNumSgprs: 0
; NumVgprs: 0
; ScratchSize: 0
; MemoryBound: 0
; FloatMode: 240
; IeeeMode: 1
; LDSByteSize: 0 bytes/workgroup (compile time only)
; SGPRBlocks: 0
; VGPRBlocks: 0
; NumSGPRsForWavesPerEU: 1
; NumVGPRsForWavesPerEU: 1
; NamedBarCnt: 0
; Occupancy: 16
; WaveLimiterHint : 0
; COMPUTE_PGM_RSRC2:SCRATCH_EN: 0
; COMPUTE_PGM_RSRC2:USER_SGPR: 2
; COMPUTE_PGM_RSRC2:TRAP_HANDLER: 0
; COMPUTE_PGM_RSRC2:TGID_X_EN: 1
; COMPUTE_PGM_RSRC2:TGID_Y_EN: 0
; COMPUTE_PGM_RSRC2:TGID_Z_EN: 0
; COMPUTE_PGM_RSRC2:TIDIG_COMP_CNT: 0
	.section	.text._ZN7rocprim17ROCPRIM_400000_NS6detail17trampoline_kernelINS0_14default_configENS1_25partition_config_selectorILNS1_17partition_subalgoE9EllbEEZZNS1_14partition_implILS5_9ELb0ES3_jPlS8_PNS0_10empty_typeENS0_5tupleIJS8_S9_EEENSB_IJS8_SA_EEENS0_18inequality_wrapperIZN2at6native12_GLOBAL__N_124unique_dim_cuda_templateIfEESt5tupleIJNSF_6TensorESK_SK_EERKSK_lbbbEUlllE0_EEPmJS9_EEE10hipError_tPvRmT3_T4_T5_T6_T7_T9_mT8_P12ihipStream_tbDpT10_ENKUlT_T0_E_clISt17integral_constantIbLb0EES19_IbLb1EEEEDaS15_S16_EUlS15_E_NS1_11comp_targetILNS1_3genE3ELNS1_11target_archE908ELNS1_3gpuE7ELNS1_3repE0EEENS1_30default_config_static_selectorELNS0_4arch9wavefront6targetE0EEEvT1_,"axG",@progbits,_ZN7rocprim17ROCPRIM_400000_NS6detail17trampoline_kernelINS0_14default_configENS1_25partition_config_selectorILNS1_17partition_subalgoE9EllbEEZZNS1_14partition_implILS5_9ELb0ES3_jPlS8_PNS0_10empty_typeENS0_5tupleIJS8_S9_EEENSB_IJS8_SA_EEENS0_18inequality_wrapperIZN2at6native12_GLOBAL__N_124unique_dim_cuda_templateIfEESt5tupleIJNSF_6TensorESK_SK_EERKSK_lbbbEUlllE0_EEPmJS9_EEE10hipError_tPvRmT3_T4_T5_T6_T7_T9_mT8_P12ihipStream_tbDpT10_ENKUlT_T0_E_clISt17integral_constantIbLb0EES19_IbLb1EEEEDaS15_S16_EUlS15_E_NS1_11comp_targetILNS1_3genE3ELNS1_11target_archE908ELNS1_3gpuE7ELNS1_3repE0EEENS1_30default_config_static_selectorELNS0_4arch9wavefront6targetE0EEEvT1_,comdat
	.globl	_ZN7rocprim17ROCPRIM_400000_NS6detail17trampoline_kernelINS0_14default_configENS1_25partition_config_selectorILNS1_17partition_subalgoE9EllbEEZZNS1_14partition_implILS5_9ELb0ES3_jPlS8_PNS0_10empty_typeENS0_5tupleIJS8_S9_EEENSB_IJS8_SA_EEENS0_18inequality_wrapperIZN2at6native12_GLOBAL__N_124unique_dim_cuda_templateIfEESt5tupleIJNSF_6TensorESK_SK_EERKSK_lbbbEUlllE0_EEPmJS9_EEE10hipError_tPvRmT3_T4_T5_T6_T7_T9_mT8_P12ihipStream_tbDpT10_ENKUlT_T0_E_clISt17integral_constantIbLb0EES19_IbLb1EEEEDaS15_S16_EUlS15_E_NS1_11comp_targetILNS1_3genE3ELNS1_11target_archE908ELNS1_3gpuE7ELNS1_3repE0EEENS1_30default_config_static_selectorELNS0_4arch9wavefront6targetE0EEEvT1_ ; -- Begin function _ZN7rocprim17ROCPRIM_400000_NS6detail17trampoline_kernelINS0_14default_configENS1_25partition_config_selectorILNS1_17partition_subalgoE9EllbEEZZNS1_14partition_implILS5_9ELb0ES3_jPlS8_PNS0_10empty_typeENS0_5tupleIJS8_S9_EEENSB_IJS8_SA_EEENS0_18inequality_wrapperIZN2at6native12_GLOBAL__N_124unique_dim_cuda_templateIfEESt5tupleIJNSF_6TensorESK_SK_EERKSK_lbbbEUlllE0_EEPmJS9_EEE10hipError_tPvRmT3_T4_T5_T6_T7_T9_mT8_P12ihipStream_tbDpT10_ENKUlT_T0_E_clISt17integral_constantIbLb0EES19_IbLb1EEEEDaS15_S16_EUlS15_E_NS1_11comp_targetILNS1_3genE3ELNS1_11target_archE908ELNS1_3gpuE7ELNS1_3repE0EEENS1_30default_config_static_selectorELNS0_4arch9wavefront6targetE0EEEvT1_
	.p2align	8
	.type	_ZN7rocprim17ROCPRIM_400000_NS6detail17trampoline_kernelINS0_14default_configENS1_25partition_config_selectorILNS1_17partition_subalgoE9EllbEEZZNS1_14partition_implILS5_9ELb0ES3_jPlS8_PNS0_10empty_typeENS0_5tupleIJS8_S9_EEENSB_IJS8_SA_EEENS0_18inequality_wrapperIZN2at6native12_GLOBAL__N_124unique_dim_cuda_templateIfEESt5tupleIJNSF_6TensorESK_SK_EERKSK_lbbbEUlllE0_EEPmJS9_EEE10hipError_tPvRmT3_T4_T5_T6_T7_T9_mT8_P12ihipStream_tbDpT10_ENKUlT_T0_E_clISt17integral_constantIbLb0EES19_IbLb1EEEEDaS15_S16_EUlS15_E_NS1_11comp_targetILNS1_3genE3ELNS1_11target_archE908ELNS1_3gpuE7ELNS1_3repE0EEENS1_30default_config_static_selectorELNS0_4arch9wavefront6targetE0EEEvT1_,@function
_ZN7rocprim17ROCPRIM_400000_NS6detail17trampoline_kernelINS0_14default_configENS1_25partition_config_selectorILNS1_17partition_subalgoE9EllbEEZZNS1_14partition_implILS5_9ELb0ES3_jPlS8_PNS0_10empty_typeENS0_5tupleIJS8_S9_EEENSB_IJS8_SA_EEENS0_18inequality_wrapperIZN2at6native12_GLOBAL__N_124unique_dim_cuda_templateIfEESt5tupleIJNSF_6TensorESK_SK_EERKSK_lbbbEUlllE0_EEPmJS9_EEE10hipError_tPvRmT3_T4_T5_T6_T7_T9_mT8_P12ihipStream_tbDpT10_ENKUlT_T0_E_clISt17integral_constantIbLb0EES19_IbLb1EEEEDaS15_S16_EUlS15_E_NS1_11comp_targetILNS1_3genE3ELNS1_11target_archE908ELNS1_3gpuE7ELNS1_3repE0EEENS1_30default_config_static_selectorELNS0_4arch9wavefront6targetE0EEEvT1_: ; @_ZN7rocprim17ROCPRIM_400000_NS6detail17trampoline_kernelINS0_14default_configENS1_25partition_config_selectorILNS1_17partition_subalgoE9EllbEEZZNS1_14partition_implILS5_9ELb0ES3_jPlS8_PNS0_10empty_typeENS0_5tupleIJS8_S9_EEENSB_IJS8_SA_EEENS0_18inequality_wrapperIZN2at6native12_GLOBAL__N_124unique_dim_cuda_templateIfEESt5tupleIJNSF_6TensorESK_SK_EERKSK_lbbbEUlllE0_EEPmJS9_EEE10hipError_tPvRmT3_T4_T5_T6_T7_T9_mT8_P12ihipStream_tbDpT10_ENKUlT_T0_E_clISt17integral_constantIbLb0EES19_IbLb1EEEEDaS15_S16_EUlS15_E_NS1_11comp_targetILNS1_3genE3ELNS1_11target_archE908ELNS1_3gpuE7ELNS1_3repE0EEENS1_30default_config_static_selectorELNS0_4arch9wavefront6targetE0EEEvT1_
; %bb.0:
	.section	.rodata,"a",@progbits
	.p2align	6, 0x0
	.amdhsa_kernel _ZN7rocprim17ROCPRIM_400000_NS6detail17trampoline_kernelINS0_14default_configENS1_25partition_config_selectorILNS1_17partition_subalgoE9EllbEEZZNS1_14partition_implILS5_9ELb0ES3_jPlS8_PNS0_10empty_typeENS0_5tupleIJS8_S9_EEENSB_IJS8_SA_EEENS0_18inequality_wrapperIZN2at6native12_GLOBAL__N_124unique_dim_cuda_templateIfEESt5tupleIJNSF_6TensorESK_SK_EERKSK_lbbbEUlllE0_EEPmJS9_EEE10hipError_tPvRmT3_T4_T5_T6_T7_T9_mT8_P12ihipStream_tbDpT10_ENKUlT_T0_E_clISt17integral_constantIbLb0EES19_IbLb1EEEEDaS15_S16_EUlS15_E_NS1_11comp_targetILNS1_3genE3ELNS1_11target_archE908ELNS1_3gpuE7ELNS1_3repE0EEENS1_30default_config_static_selectorELNS0_4arch9wavefront6targetE0EEEvT1_
		.amdhsa_group_segment_fixed_size 0
		.amdhsa_private_segment_fixed_size 0
		.amdhsa_kernarg_size 136
		.amdhsa_user_sgpr_count 2
		.amdhsa_user_sgpr_dispatch_ptr 0
		.amdhsa_user_sgpr_queue_ptr 0
		.amdhsa_user_sgpr_kernarg_segment_ptr 1
		.amdhsa_user_sgpr_dispatch_id 0
		.amdhsa_user_sgpr_kernarg_preload_length 0
		.amdhsa_user_sgpr_kernarg_preload_offset 0
		.amdhsa_user_sgpr_private_segment_size 0
		.amdhsa_wavefront_size32 1
		.amdhsa_uses_dynamic_stack 0
		.amdhsa_enable_private_segment 0
		.amdhsa_system_sgpr_workgroup_id_x 1
		.amdhsa_system_sgpr_workgroup_id_y 0
		.amdhsa_system_sgpr_workgroup_id_z 0
		.amdhsa_system_sgpr_workgroup_info 0
		.amdhsa_system_vgpr_workitem_id 0
		.amdhsa_next_free_vgpr 1
		.amdhsa_next_free_sgpr 1
		.amdhsa_named_barrier_count 0
		.amdhsa_reserve_vcc 0
		.amdhsa_float_round_mode_32 0
		.amdhsa_float_round_mode_16_64 0
		.amdhsa_float_denorm_mode_32 3
		.amdhsa_float_denorm_mode_16_64 3
		.amdhsa_fp16_overflow 0
		.amdhsa_memory_ordered 1
		.amdhsa_forward_progress 1
		.amdhsa_inst_pref_size 0
		.amdhsa_round_robin_scheduling 0
		.amdhsa_exception_fp_ieee_invalid_op 0
		.amdhsa_exception_fp_denorm_src 0
		.amdhsa_exception_fp_ieee_div_zero 0
		.amdhsa_exception_fp_ieee_overflow 0
		.amdhsa_exception_fp_ieee_underflow 0
		.amdhsa_exception_fp_ieee_inexact 0
		.amdhsa_exception_int_div_zero 0
	.end_amdhsa_kernel
	.section	.text._ZN7rocprim17ROCPRIM_400000_NS6detail17trampoline_kernelINS0_14default_configENS1_25partition_config_selectorILNS1_17partition_subalgoE9EllbEEZZNS1_14partition_implILS5_9ELb0ES3_jPlS8_PNS0_10empty_typeENS0_5tupleIJS8_S9_EEENSB_IJS8_SA_EEENS0_18inequality_wrapperIZN2at6native12_GLOBAL__N_124unique_dim_cuda_templateIfEESt5tupleIJNSF_6TensorESK_SK_EERKSK_lbbbEUlllE0_EEPmJS9_EEE10hipError_tPvRmT3_T4_T5_T6_T7_T9_mT8_P12ihipStream_tbDpT10_ENKUlT_T0_E_clISt17integral_constantIbLb0EES19_IbLb1EEEEDaS15_S16_EUlS15_E_NS1_11comp_targetILNS1_3genE3ELNS1_11target_archE908ELNS1_3gpuE7ELNS1_3repE0EEENS1_30default_config_static_selectorELNS0_4arch9wavefront6targetE0EEEvT1_,"axG",@progbits,_ZN7rocprim17ROCPRIM_400000_NS6detail17trampoline_kernelINS0_14default_configENS1_25partition_config_selectorILNS1_17partition_subalgoE9EllbEEZZNS1_14partition_implILS5_9ELb0ES3_jPlS8_PNS0_10empty_typeENS0_5tupleIJS8_S9_EEENSB_IJS8_SA_EEENS0_18inequality_wrapperIZN2at6native12_GLOBAL__N_124unique_dim_cuda_templateIfEESt5tupleIJNSF_6TensorESK_SK_EERKSK_lbbbEUlllE0_EEPmJS9_EEE10hipError_tPvRmT3_T4_T5_T6_T7_T9_mT8_P12ihipStream_tbDpT10_ENKUlT_T0_E_clISt17integral_constantIbLb0EES19_IbLb1EEEEDaS15_S16_EUlS15_E_NS1_11comp_targetILNS1_3genE3ELNS1_11target_archE908ELNS1_3gpuE7ELNS1_3repE0EEENS1_30default_config_static_selectorELNS0_4arch9wavefront6targetE0EEEvT1_,comdat
.Lfunc_end988:
	.size	_ZN7rocprim17ROCPRIM_400000_NS6detail17trampoline_kernelINS0_14default_configENS1_25partition_config_selectorILNS1_17partition_subalgoE9EllbEEZZNS1_14partition_implILS5_9ELb0ES3_jPlS8_PNS0_10empty_typeENS0_5tupleIJS8_S9_EEENSB_IJS8_SA_EEENS0_18inequality_wrapperIZN2at6native12_GLOBAL__N_124unique_dim_cuda_templateIfEESt5tupleIJNSF_6TensorESK_SK_EERKSK_lbbbEUlllE0_EEPmJS9_EEE10hipError_tPvRmT3_T4_T5_T6_T7_T9_mT8_P12ihipStream_tbDpT10_ENKUlT_T0_E_clISt17integral_constantIbLb0EES19_IbLb1EEEEDaS15_S16_EUlS15_E_NS1_11comp_targetILNS1_3genE3ELNS1_11target_archE908ELNS1_3gpuE7ELNS1_3repE0EEENS1_30default_config_static_selectorELNS0_4arch9wavefront6targetE0EEEvT1_, .Lfunc_end988-_ZN7rocprim17ROCPRIM_400000_NS6detail17trampoline_kernelINS0_14default_configENS1_25partition_config_selectorILNS1_17partition_subalgoE9EllbEEZZNS1_14partition_implILS5_9ELb0ES3_jPlS8_PNS0_10empty_typeENS0_5tupleIJS8_S9_EEENSB_IJS8_SA_EEENS0_18inequality_wrapperIZN2at6native12_GLOBAL__N_124unique_dim_cuda_templateIfEESt5tupleIJNSF_6TensorESK_SK_EERKSK_lbbbEUlllE0_EEPmJS9_EEE10hipError_tPvRmT3_T4_T5_T6_T7_T9_mT8_P12ihipStream_tbDpT10_ENKUlT_T0_E_clISt17integral_constantIbLb0EES19_IbLb1EEEEDaS15_S16_EUlS15_E_NS1_11comp_targetILNS1_3genE3ELNS1_11target_archE908ELNS1_3gpuE7ELNS1_3repE0EEENS1_30default_config_static_selectorELNS0_4arch9wavefront6targetE0EEEvT1_
                                        ; -- End function
	.set _ZN7rocprim17ROCPRIM_400000_NS6detail17trampoline_kernelINS0_14default_configENS1_25partition_config_selectorILNS1_17partition_subalgoE9EllbEEZZNS1_14partition_implILS5_9ELb0ES3_jPlS8_PNS0_10empty_typeENS0_5tupleIJS8_S9_EEENSB_IJS8_SA_EEENS0_18inequality_wrapperIZN2at6native12_GLOBAL__N_124unique_dim_cuda_templateIfEESt5tupleIJNSF_6TensorESK_SK_EERKSK_lbbbEUlllE0_EEPmJS9_EEE10hipError_tPvRmT3_T4_T5_T6_T7_T9_mT8_P12ihipStream_tbDpT10_ENKUlT_T0_E_clISt17integral_constantIbLb0EES19_IbLb1EEEEDaS15_S16_EUlS15_E_NS1_11comp_targetILNS1_3genE3ELNS1_11target_archE908ELNS1_3gpuE7ELNS1_3repE0EEENS1_30default_config_static_selectorELNS0_4arch9wavefront6targetE0EEEvT1_.num_vgpr, 0
	.set _ZN7rocprim17ROCPRIM_400000_NS6detail17trampoline_kernelINS0_14default_configENS1_25partition_config_selectorILNS1_17partition_subalgoE9EllbEEZZNS1_14partition_implILS5_9ELb0ES3_jPlS8_PNS0_10empty_typeENS0_5tupleIJS8_S9_EEENSB_IJS8_SA_EEENS0_18inequality_wrapperIZN2at6native12_GLOBAL__N_124unique_dim_cuda_templateIfEESt5tupleIJNSF_6TensorESK_SK_EERKSK_lbbbEUlllE0_EEPmJS9_EEE10hipError_tPvRmT3_T4_T5_T6_T7_T9_mT8_P12ihipStream_tbDpT10_ENKUlT_T0_E_clISt17integral_constantIbLb0EES19_IbLb1EEEEDaS15_S16_EUlS15_E_NS1_11comp_targetILNS1_3genE3ELNS1_11target_archE908ELNS1_3gpuE7ELNS1_3repE0EEENS1_30default_config_static_selectorELNS0_4arch9wavefront6targetE0EEEvT1_.num_agpr, 0
	.set _ZN7rocprim17ROCPRIM_400000_NS6detail17trampoline_kernelINS0_14default_configENS1_25partition_config_selectorILNS1_17partition_subalgoE9EllbEEZZNS1_14partition_implILS5_9ELb0ES3_jPlS8_PNS0_10empty_typeENS0_5tupleIJS8_S9_EEENSB_IJS8_SA_EEENS0_18inequality_wrapperIZN2at6native12_GLOBAL__N_124unique_dim_cuda_templateIfEESt5tupleIJNSF_6TensorESK_SK_EERKSK_lbbbEUlllE0_EEPmJS9_EEE10hipError_tPvRmT3_T4_T5_T6_T7_T9_mT8_P12ihipStream_tbDpT10_ENKUlT_T0_E_clISt17integral_constantIbLb0EES19_IbLb1EEEEDaS15_S16_EUlS15_E_NS1_11comp_targetILNS1_3genE3ELNS1_11target_archE908ELNS1_3gpuE7ELNS1_3repE0EEENS1_30default_config_static_selectorELNS0_4arch9wavefront6targetE0EEEvT1_.numbered_sgpr, 0
	.set _ZN7rocprim17ROCPRIM_400000_NS6detail17trampoline_kernelINS0_14default_configENS1_25partition_config_selectorILNS1_17partition_subalgoE9EllbEEZZNS1_14partition_implILS5_9ELb0ES3_jPlS8_PNS0_10empty_typeENS0_5tupleIJS8_S9_EEENSB_IJS8_SA_EEENS0_18inequality_wrapperIZN2at6native12_GLOBAL__N_124unique_dim_cuda_templateIfEESt5tupleIJNSF_6TensorESK_SK_EERKSK_lbbbEUlllE0_EEPmJS9_EEE10hipError_tPvRmT3_T4_T5_T6_T7_T9_mT8_P12ihipStream_tbDpT10_ENKUlT_T0_E_clISt17integral_constantIbLb0EES19_IbLb1EEEEDaS15_S16_EUlS15_E_NS1_11comp_targetILNS1_3genE3ELNS1_11target_archE908ELNS1_3gpuE7ELNS1_3repE0EEENS1_30default_config_static_selectorELNS0_4arch9wavefront6targetE0EEEvT1_.num_named_barrier, 0
	.set _ZN7rocprim17ROCPRIM_400000_NS6detail17trampoline_kernelINS0_14default_configENS1_25partition_config_selectorILNS1_17partition_subalgoE9EllbEEZZNS1_14partition_implILS5_9ELb0ES3_jPlS8_PNS0_10empty_typeENS0_5tupleIJS8_S9_EEENSB_IJS8_SA_EEENS0_18inequality_wrapperIZN2at6native12_GLOBAL__N_124unique_dim_cuda_templateIfEESt5tupleIJNSF_6TensorESK_SK_EERKSK_lbbbEUlllE0_EEPmJS9_EEE10hipError_tPvRmT3_T4_T5_T6_T7_T9_mT8_P12ihipStream_tbDpT10_ENKUlT_T0_E_clISt17integral_constantIbLb0EES19_IbLb1EEEEDaS15_S16_EUlS15_E_NS1_11comp_targetILNS1_3genE3ELNS1_11target_archE908ELNS1_3gpuE7ELNS1_3repE0EEENS1_30default_config_static_selectorELNS0_4arch9wavefront6targetE0EEEvT1_.private_seg_size, 0
	.set _ZN7rocprim17ROCPRIM_400000_NS6detail17trampoline_kernelINS0_14default_configENS1_25partition_config_selectorILNS1_17partition_subalgoE9EllbEEZZNS1_14partition_implILS5_9ELb0ES3_jPlS8_PNS0_10empty_typeENS0_5tupleIJS8_S9_EEENSB_IJS8_SA_EEENS0_18inequality_wrapperIZN2at6native12_GLOBAL__N_124unique_dim_cuda_templateIfEESt5tupleIJNSF_6TensorESK_SK_EERKSK_lbbbEUlllE0_EEPmJS9_EEE10hipError_tPvRmT3_T4_T5_T6_T7_T9_mT8_P12ihipStream_tbDpT10_ENKUlT_T0_E_clISt17integral_constantIbLb0EES19_IbLb1EEEEDaS15_S16_EUlS15_E_NS1_11comp_targetILNS1_3genE3ELNS1_11target_archE908ELNS1_3gpuE7ELNS1_3repE0EEENS1_30default_config_static_selectorELNS0_4arch9wavefront6targetE0EEEvT1_.uses_vcc, 0
	.set _ZN7rocprim17ROCPRIM_400000_NS6detail17trampoline_kernelINS0_14default_configENS1_25partition_config_selectorILNS1_17partition_subalgoE9EllbEEZZNS1_14partition_implILS5_9ELb0ES3_jPlS8_PNS0_10empty_typeENS0_5tupleIJS8_S9_EEENSB_IJS8_SA_EEENS0_18inequality_wrapperIZN2at6native12_GLOBAL__N_124unique_dim_cuda_templateIfEESt5tupleIJNSF_6TensorESK_SK_EERKSK_lbbbEUlllE0_EEPmJS9_EEE10hipError_tPvRmT3_T4_T5_T6_T7_T9_mT8_P12ihipStream_tbDpT10_ENKUlT_T0_E_clISt17integral_constantIbLb0EES19_IbLb1EEEEDaS15_S16_EUlS15_E_NS1_11comp_targetILNS1_3genE3ELNS1_11target_archE908ELNS1_3gpuE7ELNS1_3repE0EEENS1_30default_config_static_selectorELNS0_4arch9wavefront6targetE0EEEvT1_.uses_flat_scratch, 0
	.set _ZN7rocprim17ROCPRIM_400000_NS6detail17trampoline_kernelINS0_14default_configENS1_25partition_config_selectorILNS1_17partition_subalgoE9EllbEEZZNS1_14partition_implILS5_9ELb0ES3_jPlS8_PNS0_10empty_typeENS0_5tupleIJS8_S9_EEENSB_IJS8_SA_EEENS0_18inequality_wrapperIZN2at6native12_GLOBAL__N_124unique_dim_cuda_templateIfEESt5tupleIJNSF_6TensorESK_SK_EERKSK_lbbbEUlllE0_EEPmJS9_EEE10hipError_tPvRmT3_T4_T5_T6_T7_T9_mT8_P12ihipStream_tbDpT10_ENKUlT_T0_E_clISt17integral_constantIbLb0EES19_IbLb1EEEEDaS15_S16_EUlS15_E_NS1_11comp_targetILNS1_3genE3ELNS1_11target_archE908ELNS1_3gpuE7ELNS1_3repE0EEENS1_30default_config_static_selectorELNS0_4arch9wavefront6targetE0EEEvT1_.has_dyn_sized_stack, 0
	.set _ZN7rocprim17ROCPRIM_400000_NS6detail17trampoline_kernelINS0_14default_configENS1_25partition_config_selectorILNS1_17partition_subalgoE9EllbEEZZNS1_14partition_implILS5_9ELb0ES3_jPlS8_PNS0_10empty_typeENS0_5tupleIJS8_S9_EEENSB_IJS8_SA_EEENS0_18inequality_wrapperIZN2at6native12_GLOBAL__N_124unique_dim_cuda_templateIfEESt5tupleIJNSF_6TensorESK_SK_EERKSK_lbbbEUlllE0_EEPmJS9_EEE10hipError_tPvRmT3_T4_T5_T6_T7_T9_mT8_P12ihipStream_tbDpT10_ENKUlT_T0_E_clISt17integral_constantIbLb0EES19_IbLb1EEEEDaS15_S16_EUlS15_E_NS1_11comp_targetILNS1_3genE3ELNS1_11target_archE908ELNS1_3gpuE7ELNS1_3repE0EEENS1_30default_config_static_selectorELNS0_4arch9wavefront6targetE0EEEvT1_.has_recursion, 0
	.set _ZN7rocprim17ROCPRIM_400000_NS6detail17trampoline_kernelINS0_14default_configENS1_25partition_config_selectorILNS1_17partition_subalgoE9EllbEEZZNS1_14partition_implILS5_9ELb0ES3_jPlS8_PNS0_10empty_typeENS0_5tupleIJS8_S9_EEENSB_IJS8_SA_EEENS0_18inequality_wrapperIZN2at6native12_GLOBAL__N_124unique_dim_cuda_templateIfEESt5tupleIJNSF_6TensorESK_SK_EERKSK_lbbbEUlllE0_EEPmJS9_EEE10hipError_tPvRmT3_T4_T5_T6_T7_T9_mT8_P12ihipStream_tbDpT10_ENKUlT_T0_E_clISt17integral_constantIbLb0EES19_IbLb1EEEEDaS15_S16_EUlS15_E_NS1_11comp_targetILNS1_3genE3ELNS1_11target_archE908ELNS1_3gpuE7ELNS1_3repE0EEENS1_30default_config_static_selectorELNS0_4arch9wavefront6targetE0EEEvT1_.has_indirect_call, 0
	.section	.AMDGPU.csdata,"",@progbits
; Kernel info:
; codeLenInByte = 0
; TotalNumSgprs: 0
; NumVgprs: 0
; ScratchSize: 0
; MemoryBound: 0
; FloatMode: 240
; IeeeMode: 1
; LDSByteSize: 0 bytes/workgroup (compile time only)
; SGPRBlocks: 0
; VGPRBlocks: 0
; NumSGPRsForWavesPerEU: 1
; NumVGPRsForWavesPerEU: 1
; NamedBarCnt: 0
; Occupancy: 16
; WaveLimiterHint : 0
; COMPUTE_PGM_RSRC2:SCRATCH_EN: 0
; COMPUTE_PGM_RSRC2:USER_SGPR: 2
; COMPUTE_PGM_RSRC2:TRAP_HANDLER: 0
; COMPUTE_PGM_RSRC2:TGID_X_EN: 1
; COMPUTE_PGM_RSRC2:TGID_Y_EN: 0
; COMPUTE_PGM_RSRC2:TGID_Z_EN: 0
; COMPUTE_PGM_RSRC2:TIDIG_COMP_CNT: 0
	.section	.text._ZN7rocprim17ROCPRIM_400000_NS6detail17trampoline_kernelINS0_14default_configENS1_25partition_config_selectorILNS1_17partition_subalgoE9EllbEEZZNS1_14partition_implILS5_9ELb0ES3_jPlS8_PNS0_10empty_typeENS0_5tupleIJS8_S9_EEENSB_IJS8_SA_EEENS0_18inequality_wrapperIZN2at6native12_GLOBAL__N_124unique_dim_cuda_templateIfEESt5tupleIJNSF_6TensorESK_SK_EERKSK_lbbbEUlllE0_EEPmJS9_EEE10hipError_tPvRmT3_T4_T5_T6_T7_T9_mT8_P12ihipStream_tbDpT10_ENKUlT_T0_E_clISt17integral_constantIbLb0EES19_IbLb1EEEEDaS15_S16_EUlS15_E_NS1_11comp_targetILNS1_3genE2ELNS1_11target_archE906ELNS1_3gpuE6ELNS1_3repE0EEENS1_30default_config_static_selectorELNS0_4arch9wavefront6targetE0EEEvT1_,"axG",@progbits,_ZN7rocprim17ROCPRIM_400000_NS6detail17trampoline_kernelINS0_14default_configENS1_25partition_config_selectorILNS1_17partition_subalgoE9EllbEEZZNS1_14partition_implILS5_9ELb0ES3_jPlS8_PNS0_10empty_typeENS0_5tupleIJS8_S9_EEENSB_IJS8_SA_EEENS0_18inequality_wrapperIZN2at6native12_GLOBAL__N_124unique_dim_cuda_templateIfEESt5tupleIJNSF_6TensorESK_SK_EERKSK_lbbbEUlllE0_EEPmJS9_EEE10hipError_tPvRmT3_T4_T5_T6_T7_T9_mT8_P12ihipStream_tbDpT10_ENKUlT_T0_E_clISt17integral_constantIbLb0EES19_IbLb1EEEEDaS15_S16_EUlS15_E_NS1_11comp_targetILNS1_3genE2ELNS1_11target_archE906ELNS1_3gpuE6ELNS1_3repE0EEENS1_30default_config_static_selectorELNS0_4arch9wavefront6targetE0EEEvT1_,comdat
	.globl	_ZN7rocprim17ROCPRIM_400000_NS6detail17trampoline_kernelINS0_14default_configENS1_25partition_config_selectorILNS1_17partition_subalgoE9EllbEEZZNS1_14partition_implILS5_9ELb0ES3_jPlS8_PNS0_10empty_typeENS0_5tupleIJS8_S9_EEENSB_IJS8_SA_EEENS0_18inequality_wrapperIZN2at6native12_GLOBAL__N_124unique_dim_cuda_templateIfEESt5tupleIJNSF_6TensorESK_SK_EERKSK_lbbbEUlllE0_EEPmJS9_EEE10hipError_tPvRmT3_T4_T5_T6_T7_T9_mT8_P12ihipStream_tbDpT10_ENKUlT_T0_E_clISt17integral_constantIbLb0EES19_IbLb1EEEEDaS15_S16_EUlS15_E_NS1_11comp_targetILNS1_3genE2ELNS1_11target_archE906ELNS1_3gpuE6ELNS1_3repE0EEENS1_30default_config_static_selectorELNS0_4arch9wavefront6targetE0EEEvT1_ ; -- Begin function _ZN7rocprim17ROCPRIM_400000_NS6detail17trampoline_kernelINS0_14default_configENS1_25partition_config_selectorILNS1_17partition_subalgoE9EllbEEZZNS1_14partition_implILS5_9ELb0ES3_jPlS8_PNS0_10empty_typeENS0_5tupleIJS8_S9_EEENSB_IJS8_SA_EEENS0_18inequality_wrapperIZN2at6native12_GLOBAL__N_124unique_dim_cuda_templateIfEESt5tupleIJNSF_6TensorESK_SK_EERKSK_lbbbEUlllE0_EEPmJS9_EEE10hipError_tPvRmT3_T4_T5_T6_T7_T9_mT8_P12ihipStream_tbDpT10_ENKUlT_T0_E_clISt17integral_constantIbLb0EES19_IbLb1EEEEDaS15_S16_EUlS15_E_NS1_11comp_targetILNS1_3genE2ELNS1_11target_archE906ELNS1_3gpuE6ELNS1_3repE0EEENS1_30default_config_static_selectorELNS0_4arch9wavefront6targetE0EEEvT1_
	.p2align	8
	.type	_ZN7rocprim17ROCPRIM_400000_NS6detail17trampoline_kernelINS0_14default_configENS1_25partition_config_selectorILNS1_17partition_subalgoE9EllbEEZZNS1_14partition_implILS5_9ELb0ES3_jPlS8_PNS0_10empty_typeENS0_5tupleIJS8_S9_EEENSB_IJS8_SA_EEENS0_18inequality_wrapperIZN2at6native12_GLOBAL__N_124unique_dim_cuda_templateIfEESt5tupleIJNSF_6TensorESK_SK_EERKSK_lbbbEUlllE0_EEPmJS9_EEE10hipError_tPvRmT3_T4_T5_T6_T7_T9_mT8_P12ihipStream_tbDpT10_ENKUlT_T0_E_clISt17integral_constantIbLb0EES19_IbLb1EEEEDaS15_S16_EUlS15_E_NS1_11comp_targetILNS1_3genE2ELNS1_11target_archE906ELNS1_3gpuE6ELNS1_3repE0EEENS1_30default_config_static_selectorELNS0_4arch9wavefront6targetE0EEEvT1_,@function
_ZN7rocprim17ROCPRIM_400000_NS6detail17trampoline_kernelINS0_14default_configENS1_25partition_config_selectorILNS1_17partition_subalgoE9EllbEEZZNS1_14partition_implILS5_9ELb0ES3_jPlS8_PNS0_10empty_typeENS0_5tupleIJS8_S9_EEENSB_IJS8_SA_EEENS0_18inequality_wrapperIZN2at6native12_GLOBAL__N_124unique_dim_cuda_templateIfEESt5tupleIJNSF_6TensorESK_SK_EERKSK_lbbbEUlllE0_EEPmJS9_EEE10hipError_tPvRmT3_T4_T5_T6_T7_T9_mT8_P12ihipStream_tbDpT10_ENKUlT_T0_E_clISt17integral_constantIbLb0EES19_IbLb1EEEEDaS15_S16_EUlS15_E_NS1_11comp_targetILNS1_3genE2ELNS1_11target_archE906ELNS1_3gpuE6ELNS1_3repE0EEENS1_30default_config_static_selectorELNS0_4arch9wavefront6targetE0EEEvT1_: ; @_ZN7rocprim17ROCPRIM_400000_NS6detail17trampoline_kernelINS0_14default_configENS1_25partition_config_selectorILNS1_17partition_subalgoE9EllbEEZZNS1_14partition_implILS5_9ELb0ES3_jPlS8_PNS0_10empty_typeENS0_5tupleIJS8_S9_EEENSB_IJS8_SA_EEENS0_18inequality_wrapperIZN2at6native12_GLOBAL__N_124unique_dim_cuda_templateIfEESt5tupleIJNSF_6TensorESK_SK_EERKSK_lbbbEUlllE0_EEPmJS9_EEE10hipError_tPvRmT3_T4_T5_T6_T7_T9_mT8_P12ihipStream_tbDpT10_ENKUlT_T0_E_clISt17integral_constantIbLb0EES19_IbLb1EEEEDaS15_S16_EUlS15_E_NS1_11comp_targetILNS1_3genE2ELNS1_11target_archE906ELNS1_3gpuE6ELNS1_3repE0EEENS1_30default_config_static_selectorELNS0_4arch9wavefront6targetE0EEEvT1_
; %bb.0:
	.section	.rodata,"a",@progbits
	.p2align	6, 0x0
	.amdhsa_kernel _ZN7rocprim17ROCPRIM_400000_NS6detail17trampoline_kernelINS0_14default_configENS1_25partition_config_selectorILNS1_17partition_subalgoE9EllbEEZZNS1_14partition_implILS5_9ELb0ES3_jPlS8_PNS0_10empty_typeENS0_5tupleIJS8_S9_EEENSB_IJS8_SA_EEENS0_18inequality_wrapperIZN2at6native12_GLOBAL__N_124unique_dim_cuda_templateIfEESt5tupleIJNSF_6TensorESK_SK_EERKSK_lbbbEUlllE0_EEPmJS9_EEE10hipError_tPvRmT3_T4_T5_T6_T7_T9_mT8_P12ihipStream_tbDpT10_ENKUlT_T0_E_clISt17integral_constantIbLb0EES19_IbLb1EEEEDaS15_S16_EUlS15_E_NS1_11comp_targetILNS1_3genE2ELNS1_11target_archE906ELNS1_3gpuE6ELNS1_3repE0EEENS1_30default_config_static_selectorELNS0_4arch9wavefront6targetE0EEEvT1_
		.amdhsa_group_segment_fixed_size 0
		.amdhsa_private_segment_fixed_size 0
		.amdhsa_kernarg_size 136
		.amdhsa_user_sgpr_count 2
		.amdhsa_user_sgpr_dispatch_ptr 0
		.amdhsa_user_sgpr_queue_ptr 0
		.amdhsa_user_sgpr_kernarg_segment_ptr 1
		.amdhsa_user_sgpr_dispatch_id 0
		.amdhsa_user_sgpr_kernarg_preload_length 0
		.amdhsa_user_sgpr_kernarg_preload_offset 0
		.amdhsa_user_sgpr_private_segment_size 0
		.amdhsa_wavefront_size32 1
		.amdhsa_uses_dynamic_stack 0
		.amdhsa_enable_private_segment 0
		.amdhsa_system_sgpr_workgroup_id_x 1
		.amdhsa_system_sgpr_workgroup_id_y 0
		.amdhsa_system_sgpr_workgroup_id_z 0
		.amdhsa_system_sgpr_workgroup_info 0
		.amdhsa_system_vgpr_workitem_id 0
		.amdhsa_next_free_vgpr 1
		.amdhsa_next_free_sgpr 1
		.amdhsa_named_barrier_count 0
		.amdhsa_reserve_vcc 0
		.amdhsa_float_round_mode_32 0
		.amdhsa_float_round_mode_16_64 0
		.amdhsa_float_denorm_mode_32 3
		.amdhsa_float_denorm_mode_16_64 3
		.amdhsa_fp16_overflow 0
		.amdhsa_memory_ordered 1
		.amdhsa_forward_progress 1
		.amdhsa_inst_pref_size 0
		.amdhsa_round_robin_scheduling 0
		.amdhsa_exception_fp_ieee_invalid_op 0
		.amdhsa_exception_fp_denorm_src 0
		.amdhsa_exception_fp_ieee_div_zero 0
		.amdhsa_exception_fp_ieee_overflow 0
		.amdhsa_exception_fp_ieee_underflow 0
		.amdhsa_exception_fp_ieee_inexact 0
		.amdhsa_exception_int_div_zero 0
	.end_amdhsa_kernel
	.section	.text._ZN7rocprim17ROCPRIM_400000_NS6detail17trampoline_kernelINS0_14default_configENS1_25partition_config_selectorILNS1_17partition_subalgoE9EllbEEZZNS1_14partition_implILS5_9ELb0ES3_jPlS8_PNS0_10empty_typeENS0_5tupleIJS8_S9_EEENSB_IJS8_SA_EEENS0_18inequality_wrapperIZN2at6native12_GLOBAL__N_124unique_dim_cuda_templateIfEESt5tupleIJNSF_6TensorESK_SK_EERKSK_lbbbEUlllE0_EEPmJS9_EEE10hipError_tPvRmT3_T4_T5_T6_T7_T9_mT8_P12ihipStream_tbDpT10_ENKUlT_T0_E_clISt17integral_constantIbLb0EES19_IbLb1EEEEDaS15_S16_EUlS15_E_NS1_11comp_targetILNS1_3genE2ELNS1_11target_archE906ELNS1_3gpuE6ELNS1_3repE0EEENS1_30default_config_static_selectorELNS0_4arch9wavefront6targetE0EEEvT1_,"axG",@progbits,_ZN7rocprim17ROCPRIM_400000_NS6detail17trampoline_kernelINS0_14default_configENS1_25partition_config_selectorILNS1_17partition_subalgoE9EllbEEZZNS1_14partition_implILS5_9ELb0ES3_jPlS8_PNS0_10empty_typeENS0_5tupleIJS8_S9_EEENSB_IJS8_SA_EEENS0_18inequality_wrapperIZN2at6native12_GLOBAL__N_124unique_dim_cuda_templateIfEESt5tupleIJNSF_6TensorESK_SK_EERKSK_lbbbEUlllE0_EEPmJS9_EEE10hipError_tPvRmT3_T4_T5_T6_T7_T9_mT8_P12ihipStream_tbDpT10_ENKUlT_T0_E_clISt17integral_constantIbLb0EES19_IbLb1EEEEDaS15_S16_EUlS15_E_NS1_11comp_targetILNS1_3genE2ELNS1_11target_archE906ELNS1_3gpuE6ELNS1_3repE0EEENS1_30default_config_static_selectorELNS0_4arch9wavefront6targetE0EEEvT1_,comdat
.Lfunc_end989:
	.size	_ZN7rocprim17ROCPRIM_400000_NS6detail17trampoline_kernelINS0_14default_configENS1_25partition_config_selectorILNS1_17partition_subalgoE9EllbEEZZNS1_14partition_implILS5_9ELb0ES3_jPlS8_PNS0_10empty_typeENS0_5tupleIJS8_S9_EEENSB_IJS8_SA_EEENS0_18inequality_wrapperIZN2at6native12_GLOBAL__N_124unique_dim_cuda_templateIfEESt5tupleIJNSF_6TensorESK_SK_EERKSK_lbbbEUlllE0_EEPmJS9_EEE10hipError_tPvRmT3_T4_T5_T6_T7_T9_mT8_P12ihipStream_tbDpT10_ENKUlT_T0_E_clISt17integral_constantIbLb0EES19_IbLb1EEEEDaS15_S16_EUlS15_E_NS1_11comp_targetILNS1_3genE2ELNS1_11target_archE906ELNS1_3gpuE6ELNS1_3repE0EEENS1_30default_config_static_selectorELNS0_4arch9wavefront6targetE0EEEvT1_, .Lfunc_end989-_ZN7rocprim17ROCPRIM_400000_NS6detail17trampoline_kernelINS0_14default_configENS1_25partition_config_selectorILNS1_17partition_subalgoE9EllbEEZZNS1_14partition_implILS5_9ELb0ES3_jPlS8_PNS0_10empty_typeENS0_5tupleIJS8_S9_EEENSB_IJS8_SA_EEENS0_18inequality_wrapperIZN2at6native12_GLOBAL__N_124unique_dim_cuda_templateIfEESt5tupleIJNSF_6TensorESK_SK_EERKSK_lbbbEUlllE0_EEPmJS9_EEE10hipError_tPvRmT3_T4_T5_T6_T7_T9_mT8_P12ihipStream_tbDpT10_ENKUlT_T0_E_clISt17integral_constantIbLb0EES19_IbLb1EEEEDaS15_S16_EUlS15_E_NS1_11comp_targetILNS1_3genE2ELNS1_11target_archE906ELNS1_3gpuE6ELNS1_3repE0EEENS1_30default_config_static_selectorELNS0_4arch9wavefront6targetE0EEEvT1_
                                        ; -- End function
	.set _ZN7rocprim17ROCPRIM_400000_NS6detail17trampoline_kernelINS0_14default_configENS1_25partition_config_selectorILNS1_17partition_subalgoE9EllbEEZZNS1_14partition_implILS5_9ELb0ES3_jPlS8_PNS0_10empty_typeENS0_5tupleIJS8_S9_EEENSB_IJS8_SA_EEENS0_18inequality_wrapperIZN2at6native12_GLOBAL__N_124unique_dim_cuda_templateIfEESt5tupleIJNSF_6TensorESK_SK_EERKSK_lbbbEUlllE0_EEPmJS9_EEE10hipError_tPvRmT3_T4_T5_T6_T7_T9_mT8_P12ihipStream_tbDpT10_ENKUlT_T0_E_clISt17integral_constantIbLb0EES19_IbLb1EEEEDaS15_S16_EUlS15_E_NS1_11comp_targetILNS1_3genE2ELNS1_11target_archE906ELNS1_3gpuE6ELNS1_3repE0EEENS1_30default_config_static_selectorELNS0_4arch9wavefront6targetE0EEEvT1_.num_vgpr, 0
	.set _ZN7rocprim17ROCPRIM_400000_NS6detail17trampoline_kernelINS0_14default_configENS1_25partition_config_selectorILNS1_17partition_subalgoE9EllbEEZZNS1_14partition_implILS5_9ELb0ES3_jPlS8_PNS0_10empty_typeENS0_5tupleIJS8_S9_EEENSB_IJS8_SA_EEENS0_18inequality_wrapperIZN2at6native12_GLOBAL__N_124unique_dim_cuda_templateIfEESt5tupleIJNSF_6TensorESK_SK_EERKSK_lbbbEUlllE0_EEPmJS9_EEE10hipError_tPvRmT3_T4_T5_T6_T7_T9_mT8_P12ihipStream_tbDpT10_ENKUlT_T0_E_clISt17integral_constantIbLb0EES19_IbLb1EEEEDaS15_S16_EUlS15_E_NS1_11comp_targetILNS1_3genE2ELNS1_11target_archE906ELNS1_3gpuE6ELNS1_3repE0EEENS1_30default_config_static_selectorELNS0_4arch9wavefront6targetE0EEEvT1_.num_agpr, 0
	.set _ZN7rocprim17ROCPRIM_400000_NS6detail17trampoline_kernelINS0_14default_configENS1_25partition_config_selectorILNS1_17partition_subalgoE9EllbEEZZNS1_14partition_implILS5_9ELb0ES3_jPlS8_PNS0_10empty_typeENS0_5tupleIJS8_S9_EEENSB_IJS8_SA_EEENS0_18inequality_wrapperIZN2at6native12_GLOBAL__N_124unique_dim_cuda_templateIfEESt5tupleIJNSF_6TensorESK_SK_EERKSK_lbbbEUlllE0_EEPmJS9_EEE10hipError_tPvRmT3_T4_T5_T6_T7_T9_mT8_P12ihipStream_tbDpT10_ENKUlT_T0_E_clISt17integral_constantIbLb0EES19_IbLb1EEEEDaS15_S16_EUlS15_E_NS1_11comp_targetILNS1_3genE2ELNS1_11target_archE906ELNS1_3gpuE6ELNS1_3repE0EEENS1_30default_config_static_selectorELNS0_4arch9wavefront6targetE0EEEvT1_.numbered_sgpr, 0
	.set _ZN7rocprim17ROCPRIM_400000_NS6detail17trampoline_kernelINS0_14default_configENS1_25partition_config_selectorILNS1_17partition_subalgoE9EllbEEZZNS1_14partition_implILS5_9ELb0ES3_jPlS8_PNS0_10empty_typeENS0_5tupleIJS8_S9_EEENSB_IJS8_SA_EEENS0_18inequality_wrapperIZN2at6native12_GLOBAL__N_124unique_dim_cuda_templateIfEESt5tupleIJNSF_6TensorESK_SK_EERKSK_lbbbEUlllE0_EEPmJS9_EEE10hipError_tPvRmT3_T4_T5_T6_T7_T9_mT8_P12ihipStream_tbDpT10_ENKUlT_T0_E_clISt17integral_constantIbLb0EES19_IbLb1EEEEDaS15_S16_EUlS15_E_NS1_11comp_targetILNS1_3genE2ELNS1_11target_archE906ELNS1_3gpuE6ELNS1_3repE0EEENS1_30default_config_static_selectorELNS0_4arch9wavefront6targetE0EEEvT1_.num_named_barrier, 0
	.set _ZN7rocprim17ROCPRIM_400000_NS6detail17trampoline_kernelINS0_14default_configENS1_25partition_config_selectorILNS1_17partition_subalgoE9EllbEEZZNS1_14partition_implILS5_9ELb0ES3_jPlS8_PNS0_10empty_typeENS0_5tupleIJS8_S9_EEENSB_IJS8_SA_EEENS0_18inequality_wrapperIZN2at6native12_GLOBAL__N_124unique_dim_cuda_templateIfEESt5tupleIJNSF_6TensorESK_SK_EERKSK_lbbbEUlllE0_EEPmJS9_EEE10hipError_tPvRmT3_T4_T5_T6_T7_T9_mT8_P12ihipStream_tbDpT10_ENKUlT_T0_E_clISt17integral_constantIbLb0EES19_IbLb1EEEEDaS15_S16_EUlS15_E_NS1_11comp_targetILNS1_3genE2ELNS1_11target_archE906ELNS1_3gpuE6ELNS1_3repE0EEENS1_30default_config_static_selectorELNS0_4arch9wavefront6targetE0EEEvT1_.private_seg_size, 0
	.set _ZN7rocprim17ROCPRIM_400000_NS6detail17trampoline_kernelINS0_14default_configENS1_25partition_config_selectorILNS1_17partition_subalgoE9EllbEEZZNS1_14partition_implILS5_9ELb0ES3_jPlS8_PNS0_10empty_typeENS0_5tupleIJS8_S9_EEENSB_IJS8_SA_EEENS0_18inequality_wrapperIZN2at6native12_GLOBAL__N_124unique_dim_cuda_templateIfEESt5tupleIJNSF_6TensorESK_SK_EERKSK_lbbbEUlllE0_EEPmJS9_EEE10hipError_tPvRmT3_T4_T5_T6_T7_T9_mT8_P12ihipStream_tbDpT10_ENKUlT_T0_E_clISt17integral_constantIbLb0EES19_IbLb1EEEEDaS15_S16_EUlS15_E_NS1_11comp_targetILNS1_3genE2ELNS1_11target_archE906ELNS1_3gpuE6ELNS1_3repE0EEENS1_30default_config_static_selectorELNS0_4arch9wavefront6targetE0EEEvT1_.uses_vcc, 0
	.set _ZN7rocprim17ROCPRIM_400000_NS6detail17trampoline_kernelINS0_14default_configENS1_25partition_config_selectorILNS1_17partition_subalgoE9EllbEEZZNS1_14partition_implILS5_9ELb0ES3_jPlS8_PNS0_10empty_typeENS0_5tupleIJS8_S9_EEENSB_IJS8_SA_EEENS0_18inequality_wrapperIZN2at6native12_GLOBAL__N_124unique_dim_cuda_templateIfEESt5tupleIJNSF_6TensorESK_SK_EERKSK_lbbbEUlllE0_EEPmJS9_EEE10hipError_tPvRmT3_T4_T5_T6_T7_T9_mT8_P12ihipStream_tbDpT10_ENKUlT_T0_E_clISt17integral_constantIbLb0EES19_IbLb1EEEEDaS15_S16_EUlS15_E_NS1_11comp_targetILNS1_3genE2ELNS1_11target_archE906ELNS1_3gpuE6ELNS1_3repE0EEENS1_30default_config_static_selectorELNS0_4arch9wavefront6targetE0EEEvT1_.uses_flat_scratch, 0
	.set _ZN7rocprim17ROCPRIM_400000_NS6detail17trampoline_kernelINS0_14default_configENS1_25partition_config_selectorILNS1_17partition_subalgoE9EllbEEZZNS1_14partition_implILS5_9ELb0ES3_jPlS8_PNS0_10empty_typeENS0_5tupleIJS8_S9_EEENSB_IJS8_SA_EEENS0_18inequality_wrapperIZN2at6native12_GLOBAL__N_124unique_dim_cuda_templateIfEESt5tupleIJNSF_6TensorESK_SK_EERKSK_lbbbEUlllE0_EEPmJS9_EEE10hipError_tPvRmT3_T4_T5_T6_T7_T9_mT8_P12ihipStream_tbDpT10_ENKUlT_T0_E_clISt17integral_constantIbLb0EES19_IbLb1EEEEDaS15_S16_EUlS15_E_NS1_11comp_targetILNS1_3genE2ELNS1_11target_archE906ELNS1_3gpuE6ELNS1_3repE0EEENS1_30default_config_static_selectorELNS0_4arch9wavefront6targetE0EEEvT1_.has_dyn_sized_stack, 0
	.set _ZN7rocprim17ROCPRIM_400000_NS6detail17trampoline_kernelINS0_14default_configENS1_25partition_config_selectorILNS1_17partition_subalgoE9EllbEEZZNS1_14partition_implILS5_9ELb0ES3_jPlS8_PNS0_10empty_typeENS0_5tupleIJS8_S9_EEENSB_IJS8_SA_EEENS0_18inequality_wrapperIZN2at6native12_GLOBAL__N_124unique_dim_cuda_templateIfEESt5tupleIJNSF_6TensorESK_SK_EERKSK_lbbbEUlllE0_EEPmJS9_EEE10hipError_tPvRmT3_T4_T5_T6_T7_T9_mT8_P12ihipStream_tbDpT10_ENKUlT_T0_E_clISt17integral_constantIbLb0EES19_IbLb1EEEEDaS15_S16_EUlS15_E_NS1_11comp_targetILNS1_3genE2ELNS1_11target_archE906ELNS1_3gpuE6ELNS1_3repE0EEENS1_30default_config_static_selectorELNS0_4arch9wavefront6targetE0EEEvT1_.has_recursion, 0
	.set _ZN7rocprim17ROCPRIM_400000_NS6detail17trampoline_kernelINS0_14default_configENS1_25partition_config_selectorILNS1_17partition_subalgoE9EllbEEZZNS1_14partition_implILS5_9ELb0ES3_jPlS8_PNS0_10empty_typeENS0_5tupleIJS8_S9_EEENSB_IJS8_SA_EEENS0_18inequality_wrapperIZN2at6native12_GLOBAL__N_124unique_dim_cuda_templateIfEESt5tupleIJNSF_6TensorESK_SK_EERKSK_lbbbEUlllE0_EEPmJS9_EEE10hipError_tPvRmT3_T4_T5_T6_T7_T9_mT8_P12ihipStream_tbDpT10_ENKUlT_T0_E_clISt17integral_constantIbLb0EES19_IbLb1EEEEDaS15_S16_EUlS15_E_NS1_11comp_targetILNS1_3genE2ELNS1_11target_archE906ELNS1_3gpuE6ELNS1_3repE0EEENS1_30default_config_static_selectorELNS0_4arch9wavefront6targetE0EEEvT1_.has_indirect_call, 0
	.section	.AMDGPU.csdata,"",@progbits
; Kernel info:
; codeLenInByte = 0
; TotalNumSgprs: 0
; NumVgprs: 0
; ScratchSize: 0
; MemoryBound: 0
; FloatMode: 240
; IeeeMode: 1
; LDSByteSize: 0 bytes/workgroup (compile time only)
; SGPRBlocks: 0
; VGPRBlocks: 0
; NumSGPRsForWavesPerEU: 1
; NumVGPRsForWavesPerEU: 1
; NamedBarCnt: 0
; Occupancy: 16
; WaveLimiterHint : 0
; COMPUTE_PGM_RSRC2:SCRATCH_EN: 0
; COMPUTE_PGM_RSRC2:USER_SGPR: 2
; COMPUTE_PGM_RSRC2:TRAP_HANDLER: 0
; COMPUTE_PGM_RSRC2:TGID_X_EN: 1
; COMPUTE_PGM_RSRC2:TGID_Y_EN: 0
; COMPUTE_PGM_RSRC2:TGID_Z_EN: 0
; COMPUTE_PGM_RSRC2:TIDIG_COMP_CNT: 0
	.section	.text._ZN7rocprim17ROCPRIM_400000_NS6detail17trampoline_kernelINS0_14default_configENS1_25partition_config_selectorILNS1_17partition_subalgoE9EllbEEZZNS1_14partition_implILS5_9ELb0ES3_jPlS8_PNS0_10empty_typeENS0_5tupleIJS8_S9_EEENSB_IJS8_SA_EEENS0_18inequality_wrapperIZN2at6native12_GLOBAL__N_124unique_dim_cuda_templateIfEESt5tupleIJNSF_6TensorESK_SK_EERKSK_lbbbEUlllE0_EEPmJS9_EEE10hipError_tPvRmT3_T4_T5_T6_T7_T9_mT8_P12ihipStream_tbDpT10_ENKUlT_T0_E_clISt17integral_constantIbLb0EES19_IbLb1EEEEDaS15_S16_EUlS15_E_NS1_11comp_targetILNS1_3genE10ELNS1_11target_archE1200ELNS1_3gpuE4ELNS1_3repE0EEENS1_30default_config_static_selectorELNS0_4arch9wavefront6targetE0EEEvT1_,"axG",@progbits,_ZN7rocprim17ROCPRIM_400000_NS6detail17trampoline_kernelINS0_14default_configENS1_25partition_config_selectorILNS1_17partition_subalgoE9EllbEEZZNS1_14partition_implILS5_9ELb0ES3_jPlS8_PNS0_10empty_typeENS0_5tupleIJS8_S9_EEENSB_IJS8_SA_EEENS0_18inequality_wrapperIZN2at6native12_GLOBAL__N_124unique_dim_cuda_templateIfEESt5tupleIJNSF_6TensorESK_SK_EERKSK_lbbbEUlllE0_EEPmJS9_EEE10hipError_tPvRmT3_T4_T5_T6_T7_T9_mT8_P12ihipStream_tbDpT10_ENKUlT_T0_E_clISt17integral_constantIbLb0EES19_IbLb1EEEEDaS15_S16_EUlS15_E_NS1_11comp_targetILNS1_3genE10ELNS1_11target_archE1200ELNS1_3gpuE4ELNS1_3repE0EEENS1_30default_config_static_selectorELNS0_4arch9wavefront6targetE0EEEvT1_,comdat
	.globl	_ZN7rocprim17ROCPRIM_400000_NS6detail17trampoline_kernelINS0_14default_configENS1_25partition_config_selectorILNS1_17partition_subalgoE9EllbEEZZNS1_14partition_implILS5_9ELb0ES3_jPlS8_PNS0_10empty_typeENS0_5tupleIJS8_S9_EEENSB_IJS8_SA_EEENS0_18inequality_wrapperIZN2at6native12_GLOBAL__N_124unique_dim_cuda_templateIfEESt5tupleIJNSF_6TensorESK_SK_EERKSK_lbbbEUlllE0_EEPmJS9_EEE10hipError_tPvRmT3_T4_T5_T6_T7_T9_mT8_P12ihipStream_tbDpT10_ENKUlT_T0_E_clISt17integral_constantIbLb0EES19_IbLb1EEEEDaS15_S16_EUlS15_E_NS1_11comp_targetILNS1_3genE10ELNS1_11target_archE1200ELNS1_3gpuE4ELNS1_3repE0EEENS1_30default_config_static_selectorELNS0_4arch9wavefront6targetE0EEEvT1_ ; -- Begin function _ZN7rocprim17ROCPRIM_400000_NS6detail17trampoline_kernelINS0_14default_configENS1_25partition_config_selectorILNS1_17partition_subalgoE9EllbEEZZNS1_14partition_implILS5_9ELb0ES3_jPlS8_PNS0_10empty_typeENS0_5tupleIJS8_S9_EEENSB_IJS8_SA_EEENS0_18inequality_wrapperIZN2at6native12_GLOBAL__N_124unique_dim_cuda_templateIfEESt5tupleIJNSF_6TensorESK_SK_EERKSK_lbbbEUlllE0_EEPmJS9_EEE10hipError_tPvRmT3_T4_T5_T6_T7_T9_mT8_P12ihipStream_tbDpT10_ENKUlT_T0_E_clISt17integral_constantIbLb0EES19_IbLb1EEEEDaS15_S16_EUlS15_E_NS1_11comp_targetILNS1_3genE10ELNS1_11target_archE1200ELNS1_3gpuE4ELNS1_3repE0EEENS1_30default_config_static_selectorELNS0_4arch9wavefront6targetE0EEEvT1_
	.p2align	8
	.type	_ZN7rocprim17ROCPRIM_400000_NS6detail17trampoline_kernelINS0_14default_configENS1_25partition_config_selectorILNS1_17partition_subalgoE9EllbEEZZNS1_14partition_implILS5_9ELb0ES3_jPlS8_PNS0_10empty_typeENS0_5tupleIJS8_S9_EEENSB_IJS8_SA_EEENS0_18inequality_wrapperIZN2at6native12_GLOBAL__N_124unique_dim_cuda_templateIfEESt5tupleIJNSF_6TensorESK_SK_EERKSK_lbbbEUlllE0_EEPmJS9_EEE10hipError_tPvRmT3_T4_T5_T6_T7_T9_mT8_P12ihipStream_tbDpT10_ENKUlT_T0_E_clISt17integral_constantIbLb0EES19_IbLb1EEEEDaS15_S16_EUlS15_E_NS1_11comp_targetILNS1_3genE10ELNS1_11target_archE1200ELNS1_3gpuE4ELNS1_3repE0EEENS1_30default_config_static_selectorELNS0_4arch9wavefront6targetE0EEEvT1_,@function
_ZN7rocprim17ROCPRIM_400000_NS6detail17trampoline_kernelINS0_14default_configENS1_25partition_config_selectorILNS1_17partition_subalgoE9EllbEEZZNS1_14partition_implILS5_9ELb0ES3_jPlS8_PNS0_10empty_typeENS0_5tupleIJS8_S9_EEENSB_IJS8_SA_EEENS0_18inequality_wrapperIZN2at6native12_GLOBAL__N_124unique_dim_cuda_templateIfEESt5tupleIJNSF_6TensorESK_SK_EERKSK_lbbbEUlllE0_EEPmJS9_EEE10hipError_tPvRmT3_T4_T5_T6_T7_T9_mT8_P12ihipStream_tbDpT10_ENKUlT_T0_E_clISt17integral_constantIbLb0EES19_IbLb1EEEEDaS15_S16_EUlS15_E_NS1_11comp_targetILNS1_3genE10ELNS1_11target_archE1200ELNS1_3gpuE4ELNS1_3repE0EEENS1_30default_config_static_selectorELNS0_4arch9wavefront6targetE0EEEvT1_: ; @_ZN7rocprim17ROCPRIM_400000_NS6detail17trampoline_kernelINS0_14default_configENS1_25partition_config_selectorILNS1_17partition_subalgoE9EllbEEZZNS1_14partition_implILS5_9ELb0ES3_jPlS8_PNS0_10empty_typeENS0_5tupleIJS8_S9_EEENSB_IJS8_SA_EEENS0_18inequality_wrapperIZN2at6native12_GLOBAL__N_124unique_dim_cuda_templateIfEESt5tupleIJNSF_6TensorESK_SK_EERKSK_lbbbEUlllE0_EEPmJS9_EEE10hipError_tPvRmT3_T4_T5_T6_T7_T9_mT8_P12ihipStream_tbDpT10_ENKUlT_T0_E_clISt17integral_constantIbLb0EES19_IbLb1EEEEDaS15_S16_EUlS15_E_NS1_11comp_targetILNS1_3genE10ELNS1_11target_archE1200ELNS1_3gpuE4ELNS1_3repE0EEENS1_30default_config_static_selectorELNS0_4arch9wavefront6targetE0EEEvT1_
; %bb.0:
	.section	.rodata,"a",@progbits
	.p2align	6, 0x0
	.amdhsa_kernel _ZN7rocprim17ROCPRIM_400000_NS6detail17trampoline_kernelINS0_14default_configENS1_25partition_config_selectorILNS1_17partition_subalgoE9EllbEEZZNS1_14partition_implILS5_9ELb0ES3_jPlS8_PNS0_10empty_typeENS0_5tupleIJS8_S9_EEENSB_IJS8_SA_EEENS0_18inequality_wrapperIZN2at6native12_GLOBAL__N_124unique_dim_cuda_templateIfEESt5tupleIJNSF_6TensorESK_SK_EERKSK_lbbbEUlllE0_EEPmJS9_EEE10hipError_tPvRmT3_T4_T5_T6_T7_T9_mT8_P12ihipStream_tbDpT10_ENKUlT_T0_E_clISt17integral_constantIbLb0EES19_IbLb1EEEEDaS15_S16_EUlS15_E_NS1_11comp_targetILNS1_3genE10ELNS1_11target_archE1200ELNS1_3gpuE4ELNS1_3repE0EEENS1_30default_config_static_selectorELNS0_4arch9wavefront6targetE0EEEvT1_
		.amdhsa_group_segment_fixed_size 0
		.amdhsa_private_segment_fixed_size 0
		.amdhsa_kernarg_size 136
		.amdhsa_user_sgpr_count 2
		.amdhsa_user_sgpr_dispatch_ptr 0
		.amdhsa_user_sgpr_queue_ptr 0
		.amdhsa_user_sgpr_kernarg_segment_ptr 1
		.amdhsa_user_sgpr_dispatch_id 0
		.amdhsa_user_sgpr_kernarg_preload_length 0
		.amdhsa_user_sgpr_kernarg_preload_offset 0
		.amdhsa_user_sgpr_private_segment_size 0
		.amdhsa_wavefront_size32 1
		.amdhsa_uses_dynamic_stack 0
		.amdhsa_enable_private_segment 0
		.amdhsa_system_sgpr_workgroup_id_x 1
		.amdhsa_system_sgpr_workgroup_id_y 0
		.amdhsa_system_sgpr_workgroup_id_z 0
		.amdhsa_system_sgpr_workgroup_info 0
		.amdhsa_system_vgpr_workitem_id 0
		.amdhsa_next_free_vgpr 1
		.amdhsa_next_free_sgpr 1
		.amdhsa_named_barrier_count 0
		.amdhsa_reserve_vcc 0
		.amdhsa_float_round_mode_32 0
		.amdhsa_float_round_mode_16_64 0
		.amdhsa_float_denorm_mode_32 3
		.amdhsa_float_denorm_mode_16_64 3
		.amdhsa_fp16_overflow 0
		.amdhsa_memory_ordered 1
		.amdhsa_forward_progress 1
		.amdhsa_inst_pref_size 0
		.amdhsa_round_robin_scheduling 0
		.amdhsa_exception_fp_ieee_invalid_op 0
		.amdhsa_exception_fp_denorm_src 0
		.amdhsa_exception_fp_ieee_div_zero 0
		.amdhsa_exception_fp_ieee_overflow 0
		.amdhsa_exception_fp_ieee_underflow 0
		.amdhsa_exception_fp_ieee_inexact 0
		.amdhsa_exception_int_div_zero 0
	.end_amdhsa_kernel
	.section	.text._ZN7rocprim17ROCPRIM_400000_NS6detail17trampoline_kernelINS0_14default_configENS1_25partition_config_selectorILNS1_17partition_subalgoE9EllbEEZZNS1_14partition_implILS5_9ELb0ES3_jPlS8_PNS0_10empty_typeENS0_5tupleIJS8_S9_EEENSB_IJS8_SA_EEENS0_18inequality_wrapperIZN2at6native12_GLOBAL__N_124unique_dim_cuda_templateIfEESt5tupleIJNSF_6TensorESK_SK_EERKSK_lbbbEUlllE0_EEPmJS9_EEE10hipError_tPvRmT3_T4_T5_T6_T7_T9_mT8_P12ihipStream_tbDpT10_ENKUlT_T0_E_clISt17integral_constantIbLb0EES19_IbLb1EEEEDaS15_S16_EUlS15_E_NS1_11comp_targetILNS1_3genE10ELNS1_11target_archE1200ELNS1_3gpuE4ELNS1_3repE0EEENS1_30default_config_static_selectorELNS0_4arch9wavefront6targetE0EEEvT1_,"axG",@progbits,_ZN7rocprim17ROCPRIM_400000_NS6detail17trampoline_kernelINS0_14default_configENS1_25partition_config_selectorILNS1_17partition_subalgoE9EllbEEZZNS1_14partition_implILS5_9ELb0ES3_jPlS8_PNS0_10empty_typeENS0_5tupleIJS8_S9_EEENSB_IJS8_SA_EEENS0_18inequality_wrapperIZN2at6native12_GLOBAL__N_124unique_dim_cuda_templateIfEESt5tupleIJNSF_6TensorESK_SK_EERKSK_lbbbEUlllE0_EEPmJS9_EEE10hipError_tPvRmT3_T4_T5_T6_T7_T9_mT8_P12ihipStream_tbDpT10_ENKUlT_T0_E_clISt17integral_constantIbLb0EES19_IbLb1EEEEDaS15_S16_EUlS15_E_NS1_11comp_targetILNS1_3genE10ELNS1_11target_archE1200ELNS1_3gpuE4ELNS1_3repE0EEENS1_30default_config_static_selectorELNS0_4arch9wavefront6targetE0EEEvT1_,comdat
.Lfunc_end990:
	.size	_ZN7rocprim17ROCPRIM_400000_NS6detail17trampoline_kernelINS0_14default_configENS1_25partition_config_selectorILNS1_17partition_subalgoE9EllbEEZZNS1_14partition_implILS5_9ELb0ES3_jPlS8_PNS0_10empty_typeENS0_5tupleIJS8_S9_EEENSB_IJS8_SA_EEENS0_18inequality_wrapperIZN2at6native12_GLOBAL__N_124unique_dim_cuda_templateIfEESt5tupleIJNSF_6TensorESK_SK_EERKSK_lbbbEUlllE0_EEPmJS9_EEE10hipError_tPvRmT3_T4_T5_T6_T7_T9_mT8_P12ihipStream_tbDpT10_ENKUlT_T0_E_clISt17integral_constantIbLb0EES19_IbLb1EEEEDaS15_S16_EUlS15_E_NS1_11comp_targetILNS1_3genE10ELNS1_11target_archE1200ELNS1_3gpuE4ELNS1_3repE0EEENS1_30default_config_static_selectorELNS0_4arch9wavefront6targetE0EEEvT1_, .Lfunc_end990-_ZN7rocprim17ROCPRIM_400000_NS6detail17trampoline_kernelINS0_14default_configENS1_25partition_config_selectorILNS1_17partition_subalgoE9EllbEEZZNS1_14partition_implILS5_9ELb0ES3_jPlS8_PNS0_10empty_typeENS0_5tupleIJS8_S9_EEENSB_IJS8_SA_EEENS0_18inequality_wrapperIZN2at6native12_GLOBAL__N_124unique_dim_cuda_templateIfEESt5tupleIJNSF_6TensorESK_SK_EERKSK_lbbbEUlllE0_EEPmJS9_EEE10hipError_tPvRmT3_T4_T5_T6_T7_T9_mT8_P12ihipStream_tbDpT10_ENKUlT_T0_E_clISt17integral_constantIbLb0EES19_IbLb1EEEEDaS15_S16_EUlS15_E_NS1_11comp_targetILNS1_3genE10ELNS1_11target_archE1200ELNS1_3gpuE4ELNS1_3repE0EEENS1_30default_config_static_selectorELNS0_4arch9wavefront6targetE0EEEvT1_
                                        ; -- End function
	.set _ZN7rocprim17ROCPRIM_400000_NS6detail17trampoline_kernelINS0_14default_configENS1_25partition_config_selectorILNS1_17partition_subalgoE9EllbEEZZNS1_14partition_implILS5_9ELb0ES3_jPlS8_PNS0_10empty_typeENS0_5tupleIJS8_S9_EEENSB_IJS8_SA_EEENS0_18inequality_wrapperIZN2at6native12_GLOBAL__N_124unique_dim_cuda_templateIfEESt5tupleIJNSF_6TensorESK_SK_EERKSK_lbbbEUlllE0_EEPmJS9_EEE10hipError_tPvRmT3_T4_T5_T6_T7_T9_mT8_P12ihipStream_tbDpT10_ENKUlT_T0_E_clISt17integral_constantIbLb0EES19_IbLb1EEEEDaS15_S16_EUlS15_E_NS1_11comp_targetILNS1_3genE10ELNS1_11target_archE1200ELNS1_3gpuE4ELNS1_3repE0EEENS1_30default_config_static_selectorELNS0_4arch9wavefront6targetE0EEEvT1_.num_vgpr, 0
	.set _ZN7rocprim17ROCPRIM_400000_NS6detail17trampoline_kernelINS0_14default_configENS1_25partition_config_selectorILNS1_17partition_subalgoE9EllbEEZZNS1_14partition_implILS5_9ELb0ES3_jPlS8_PNS0_10empty_typeENS0_5tupleIJS8_S9_EEENSB_IJS8_SA_EEENS0_18inequality_wrapperIZN2at6native12_GLOBAL__N_124unique_dim_cuda_templateIfEESt5tupleIJNSF_6TensorESK_SK_EERKSK_lbbbEUlllE0_EEPmJS9_EEE10hipError_tPvRmT3_T4_T5_T6_T7_T9_mT8_P12ihipStream_tbDpT10_ENKUlT_T0_E_clISt17integral_constantIbLb0EES19_IbLb1EEEEDaS15_S16_EUlS15_E_NS1_11comp_targetILNS1_3genE10ELNS1_11target_archE1200ELNS1_3gpuE4ELNS1_3repE0EEENS1_30default_config_static_selectorELNS0_4arch9wavefront6targetE0EEEvT1_.num_agpr, 0
	.set _ZN7rocprim17ROCPRIM_400000_NS6detail17trampoline_kernelINS0_14default_configENS1_25partition_config_selectorILNS1_17partition_subalgoE9EllbEEZZNS1_14partition_implILS5_9ELb0ES3_jPlS8_PNS0_10empty_typeENS0_5tupleIJS8_S9_EEENSB_IJS8_SA_EEENS0_18inequality_wrapperIZN2at6native12_GLOBAL__N_124unique_dim_cuda_templateIfEESt5tupleIJNSF_6TensorESK_SK_EERKSK_lbbbEUlllE0_EEPmJS9_EEE10hipError_tPvRmT3_T4_T5_T6_T7_T9_mT8_P12ihipStream_tbDpT10_ENKUlT_T0_E_clISt17integral_constantIbLb0EES19_IbLb1EEEEDaS15_S16_EUlS15_E_NS1_11comp_targetILNS1_3genE10ELNS1_11target_archE1200ELNS1_3gpuE4ELNS1_3repE0EEENS1_30default_config_static_selectorELNS0_4arch9wavefront6targetE0EEEvT1_.numbered_sgpr, 0
	.set _ZN7rocprim17ROCPRIM_400000_NS6detail17trampoline_kernelINS0_14default_configENS1_25partition_config_selectorILNS1_17partition_subalgoE9EllbEEZZNS1_14partition_implILS5_9ELb0ES3_jPlS8_PNS0_10empty_typeENS0_5tupleIJS8_S9_EEENSB_IJS8_SA_EEENS0_18inequality_wrapperIZN2at6native12_GLOBAL__N_124unique_dim_cuda_templateIfEESt5tupleIJNSF_6TensorESK_SK_EERKSK_lbbbEUlllE0_EEPmJS9_EEE10hipError_tPvRmT3_T4_T5_T6_T7_T9_mT8_P12ihipStream_tbDpT10_ENKUlT_T0_E_clISt17integral_constantIbLb0EES19_IbLb1EEEEDaS15_S16_EUlS15_E_NS1_11comp_targetILNS1_3genE10ELNS1_11target_archE1200ELNS1_3gpuE4ELNS1_3repE0EEENS1_30default_config_static_selectorELNS0_4arch9wavefront6targetE0EEEvT1_.num_named_barrier, 0
	.set _ZN7rocprim17ROCPRIM_400000_NS6detail17trampoline_kernelINS0_14default_configENS1_25partition_config_selectorILNS1_17partition_subalgoE9EllbEEZZNS1_14partition_implILS5_9ELb0ES3_jPlS8_PNS0_10empty_typeENS0_5tupleIJS8_S9_EEENSB_IJS8_SA_EEENS0_18inequality_wrapperIZN2at6native12_GLOBAL__N_124unique_dim_cuda_templateIfEESt5tupleIJNSF_6TensorESK_SK_EERKSK_lbbbEUlllE0_EEPmJS9_EEE10hipError_tPvRmT3_T4_T5_T6_T7_T9_mT8_P12ihipStream_tbDpT10_ENKUlT_T0_E_clISt17integral_constantIbLb0EES19_IbLb1EEEEDaS15_S16_EUlS15_E_NS1_11comp_targetILNS1_3genE10ELNS1_11target_archE1200ELNS1_3gpuE4ELNS1_3repE0EEENS1_30default_config_static_selectorELNS0_4arch9wavefront6targetE0EEEvT1_.private_seg_size, 0
	.set _ZN7rocprim17ROCPRIM_400000_NS6detail17trampoline_kernelINS0_14default_configENS1_25partition_config_selectorILNS1_17partition_subalgoE9EllbEEZZNS1_14partition_implILS5_9ELb0ES3_jPlS8_PNS0_10empty_typeENS0_5tupleIJS8_S9_EEENSB_IJS8_SA_EEENS0_18inequality_wrapperIZN2at6native12_GLOBAL__N_124unique_dim_cuda_templateIfEESt5tupleIJNSF_6TensorESK_SK_EERKSK_lbbbEUlllE0_EEPmJS9_EEE10hipError_tPvRmT3_T4_T5_T6_T7_T9_mT8_P12ihipStream_tbDpT10_ENKUlT_T0_E_clISt17integral_constantIbLb0EES19_IbLb1EEEEDaS15_S16_EUlS15_E_NS1_11comp_targetILNS1_3genE10ELNS1_11target_archE1200ELNS1_3gpuE4ELNS1_3repE0EEENS1_30default_config_static_selectorELNS0_4arch9wavefront6targetE0EEEvT1_.uses_vcc, 0
	.set _ZN7rocprim17ROCPRIM_400000_NS6detail17trampoline_kernelINS0_14default_configENS1_25partition_config_selectorILNS1_17partition_subalgoE9EllbEEZZNS1_14partition_implILS5_9ELb0ES3_jPlS8_PNS0_10empty_typeENS0_5tupleIJS8_S9_EEENSB_IJS8_SA_EEENS0_18inequality_wrapperIZN2at6native12_GLOBAL__N_124unique_dim_cuda_templateIfEESt5tupleIJNSF_6TensorESK_SK_EERKSK_lbbbEUlllE0_EEPmJS9_EEE10hipError_tPvRmT3_T4_T5_T6_T7_T9_mT8_P12ihipStream_tbDpT10_ENKUlT_T0_E_clISt17integral_constantIbLb0EES19_IbLb1EEEEDaS15_S16_EUlS15_E_NS1_11comp_targetILNS1_3genE10ELNS1_11target_archE1200ELNS1_3gpuE4ELNS1_3repE0EEENS1_30default_config_static_selectorELNS0_4arch9wavefront6targetE0EEEvT1_.uses_flat_scratch, 0
	.set _ZN7rocprim17ROCPRIM_400000_NS6detail17trampoline_kernelINS0_14default_configENS1_25partition_config_selectorILNS1_17partition_subalgoE9EllbEEZZNS1_14partition_implILS5_9ELb0ES3_jPlS8_PNS0_10empty_typeENS0_5tupleIJS8_S9_EEENSB_IJS8_SA_EEENS0_18inequality_wrapperIZN2at6native12_GLOBAL__N_124unique_dim_cuda_templateIfEESt5tupleIJNSF_6TensorESK_SK_EERKSK_lbbbEUlllE0_EEPmJS9_EEE10hipError_tPvRmT3_T4_T5_T6_T7_T9_mT8_P12ihipStream_tbDpT10_ENKUlT_T0_E_clISt17integral_constantIbLb0EES19_IbLb1EEEEDaS15_S16_EUlS15_E_NS1_11comp_targetILNS1_3genE10ELNS1_11target_archE1200ELNS1_3gpuE4ELNS1_3repE0EEENS1_30default_config_static_selectorELNS0_4arch9wavefront6targetE0EEEvT1_.has_dyn_sized_stack, 0
	.set _ZN7rocprim17ROCPRIM_400000_NS6detail17trampoline_kernelINS0_14default_configENS1_25partition_config_selectorILNS1_17partition_subalgoE9EllbEEZZNS1_14partition_implILS5_9ELb0ES3_jPlS8_PNS0_10empty_typeENS0_5tupleIJS8_S9_EEENSB_IJS8_SA_EEENS0_18inequality_wrapperIZN2at6native12_GLOBAL__N_124unique_dim_cuda_templateIfEESt5tupleIJNSF_6TensorESK_SK_EERKSK_lbbbEUlllE0_EEPmJS9_EEE10hipError_tPvRmT3_T4_T5_T6_T7_T9_mT8_P12ihipStream_tbDpT10_ENKUlT_T0_E_clISt17integral_constantIbLb0EES19_IbLb1EEEEDaS15_S16_EUlS15_E_NS1_11comp_targetILNS1_3genE10ELNS1_11target_archE1200ELNS1_3gpuE4ELNS1_3repE0EEENS1_30default_config_static_selectorELNS0_4arch9wavefront6targetE0EEEvT1_.has_recursion, 0
	.set _ZN7rocprim17ROCPRIM_400000_NS6detail17trampoline_kernelINS0_14default_configENS1_25partition_config_selectorILNS1_17partition_subalgoE9EllbEEZZNS1_14partition_implILS5_9ELb0ES3_jPlS8_PNS0_10empty_typeENS0_5tupleIJS8_S9_EEENSB_IJS8_SA_EEENS0_18inequality_wrapperIZN2at6native12_GLOBAL__N_124unique_dim_cuda_templateIfEESt5tupleIJNSF_6TensorESK_SK_EERKSK_lbbbEUlllE0_EEPmJS9_EEE10hipError_tPvRmT3_T4_T5_T6_T7_T9_mT8_P12ihipStream_tbDpT10_ENKUlT_T0_E_clISt17integral_constantIbLb0EES19_IbLb1EEEEDaS15_S16_EUlS15_E_NS1_11comp_targetILNS1_3genE10ELNS1_11target_archE1200ELNS1_3gpuE4ELNS1_3repE0EEENS1_30default_config_static_selectorELNS0_4arch9wavefront6targetE0EEEvT1_.has_indirect_call, 0
	.section	.AMDGPU.csdata,"",@progbits
; Kernel info:
; codeLenInByte = 0
; TotalNumSgprs: 0
; NumVgprs: 0
; ScratchSize: 0
; MemoryBound: 0
; FloatMode: 240
; IeeeMode: 1
; LDSByteSize: 0 bytes/workgroup (compile time only)
; SGPRBlocks: 0
; VGPRBlocks: 0
; NumSGPRsForWavesPerEU: 1
; NumVGPRsForWavesPerEU: 1
; NamedBarCnt: 0
; Occupancy: 16
; WaveLimiterHint : 0
; COMPUTE_PGM_RSRC2:SCRATCH_EN: 0
; COMPUTE_PGM_RSRC2:USER_SGPR: 2
; COMPUTE_PGM_RSRC2:TRAP_HANDLER: 0
; COMPUTE_PGM_RSRC2:TGID_X_EN: 1
; COMPUTE_PGM_RSRC2:TGID_Y_EN: 0
; COMPUTE_PGM_RSRC2:TGID_Z_EN: 0
; COMPUTE_PGM_RSRC2:TIDIG_COMP_CNT: 0
	.section	.text._ZN7rocprim17ROCPRIM_400000_NS6detail17trampoline_kernelINS0_14default_configENS1_25partition_config_selectorILNS1_17partition_subalgoE9EllbEEZZNS1_14partition_implILS5_9ELb0ES3_jPlS8_PNS0_10empty_typeENS0_5tupleIJS8_S9_EEENSB_IJS8_SA_EEENS0_18inequality_wrapperIZN2at6native12_GLOBAL__N_124unique_dim_cuda_templateIfEESt5tupleIJNSF_6TensorESK_SK_EERKSK_lbbbEUlllE0_EEPmJS9_EEE10hipError_tPvRmT3_T4_T5_T6_T7_T9_mT8_P12ihipStream_tbDpT10_ENKUlT_T0_E_clISt17integral_constantIbLb0EES19_IbLb1EEEEDaS15_S16_EUlS15_E_NS1_11comp_targetILNS1_3genE9ELNS1_11target_archE1100ELNS1_3gpuE3ELNS1_3repE0EEENS1_30default_config_static_selectorELNS0_4arch9wavefront6targetE0EEEvT1_,"axG",@progbits,_ZN7rocprim17ROCPRIM_400000_NS6detail17trampoline_kernelINS0_14default_configENS1_25partition_config_selectorILNS1_17partition_subalgoE9EllbEEZZNS1_14partition_implILS5_9ELb0ES3_jPlS8_PNS0_10empty_typeENS0_5tupleIJS8_S9_EEENSB_IJS8_SA_EEENS0_18inequality_wrapperIZN2at6native12_GLOBAL__N_124unique_dim_cuda_templateIfEESt5tupleIJNSF_6TensorESK_SK_EERKSK_lbbbEUlllE0_EEPmJS9_EEE10hipError_tPvRmT3_T4_T5_T6_T7_T9_mT8_P12ihipStream_tbDpT10_ENKUlT_T0_E_clISt17integral_constantIbLb0EES19_IbLb1EEEEDaS15_S16_EUlS15_E_NS1_11comp_targetILNS1_3genE9ELNS1_11target_archE1100ELNS1_3gpuE3ELNS1_3repE0EEENS1_30default_config_static_selectorELNS0_4arch9wavefront6targetE0EEEvT1_,comdat
	.globl	_ZN7rocprim17ROCPRIM_400000_NS6detail17trampoline_kernelINS0_14default_configENS1_25partition_config_selectorILNS1_17partition_subalgoE9EllbEEZZNS1_14partition_implILS5_9ELb0ES3_jPlS8_PNS0_10empty_typeENS0_5tupleIJS8_S9_EEENSB_IJS8_SA_EEENS0_18inequality_wrapperIZN2at6native12_GLOBAL__N_124unique_dim_cuda_templateIfEESt5tupleIJNSF_6TensorESK_SK_EERKSK_lbbbEUlllE0_EEPmJS9_EEE10hipError_tPvRmT3_T4_T5_T6_T7_T9_mT8_P12ihipStream_tbDpT10_ENKUlT_T0_E_clISt17integral_constantIbLb0EES19_IbLb1EEEEDaS15_S16_EUlS15_E_NS1_11comp_targetILNS1_3genE9ELNS1_11target_archE1100ELNS1_3gpuE3ELNS1_3repE0EEENS1_30default_config_static_selectorELNS0_4arch9wavefront6targetE0EEEvT1_ ; -- Begin function _ZN7rocprim17ROCPRIM_400000_NS6detail17trampoline_kernelINS0_14default_configENS1_25partition_config_selectorILNS1_17partition_subalgoE9EllbEEZZNS1_14partition_implILS5_9ELb0ES3_jPlS8_PNS0_10empty_typeENS0_5tupleIJS8_S9_EEENSB_IJS8_SA_EEENS0_18inequality_wrapperIZN2at6native12_GLOBAL__N_124unique_dim_cuda_templateIfEESt5tupleIJNSF_6TensorESK_SK_EERKSK_lbbbEUlllE0_EEPmJS9_EEE10hipError_tPvRmT3_T4_T5_T6_T7_T9_mT8_P12ihipStream_tbDpT10_ENKUlT_T0_E_clISt17integral_constantIbLb0EES19_IbLb1EEEEDaS15_S16_EUlS15_E_NS1_11comp_targetILNS1_3genE9ELNS1_11target_archE1100ELNS1_3gpuE3ELNS1_3repE0EEENS1_30default_config_static_selectorELNS0_4arch9wavefront6targetE0EEEvT1_
	.p2align	8
	.type	_ZN7rocprim17ROCPRIM_400000_NS6detail17trampoline_kernelINS0_14default_configENS1_25partition_config_selectorILNS1_17partition_subalgoE9EllbEEZZNS1_14partition_implILS5_9ELb0ES3_jPlS8_PNS0_10empty_typeENS0_5tupleIJS8_S9_EEENSB_IJS8_SA_EEENS0_18inequality_wrapperIZN2at6native12_GLOBAL__N_124unique_dim_cuda_templateIfEESt5tupleIJNSF_6TensorESK_SK_EERKSK_lbbbEUlllE0_EEPmJS9_EEE10hipError_tPvRmT3_T4_T5_T6_T7_T9_mT8_P12ihipStream_tbDpT10_ENKUlT_T0_E_clISt17integral_constantIbLb0EES19_IbLb1EEEEDaS15_S16_EUlS15_E_NS1_11comp_targetILNS1_3genE9ELNS1_11target_archE1100ELNS1_3gpuE3ELNS1_3repE0EEENS1_30default_config_static_selectorELNS0_4arch9wavefront6targetE0EEEvT1_,@function
_ZN7rocprim17ROCPRIM_400000_NS6detail17trampoline_kernelINS0_14default_configENS1_25partition_config_selectorILNS1_17partition_subalgoE9EllbEEZZNS1_14partition_implILS5_9ELb0ES3_jPlS8_PNS0_10empty_typeENS0_5tupleIJS8_S9_EEENSB_IJS8_SA_EEENS0_18inequality_wrapperIZN2at6native12_GLOBAL__N_124unique_dim_cuda_templateIfEESt5tupleIJNSF_6TensorESK_SK_EERKSK_lbbbEUlllE0_EEPmJS9_EEE10hipError_tPvRmT3_T4_T5_T6_T7_T9_mT8_P12ihipStream_tbDpT10_ENKUlT_T0_E_clISt17integral_constantIbLb0EES19_IbLb1EEEEDaS15_S16_EUlS15_E_NS1_11comp_targetILNS1_3genE9ELNS1_11target_archE1100ELNS1_3gpuE3ELNS1_3repE0EEENS1_30default_config_static_selectorELNS0_4arch9wavefront6targetE0EEEvT1_: ; @_ZN7rocprim17ROCPRIM_400000_NS6detail17trampoline_kernelINS0_14default_configENS1_25partition_config_selectorILNS1_17partition_subalgoE9EllbEEZZNS1_14partition_implILS5_9ELb0ES3_jPlS8_PNS0_10empty_typeENS0_5tupleIJS8_S9_EEENSB_IJS8_SA_EEENS0_18inequality_wrapperIZN2at6native12_GLOBAL__N_124unique_dim_cuda_templateIfEESt5tupleIJNSF_6TensorESK_SK_EERKSK_lbbbEUlllE0_EEPmJS9_EEE10hipError_tPvRmT3_T4_T5_T6_T7_T9_mT8_P12ihipStream_tbDpT10_ENKUlT_T0_E_clISt17integral_constantIbLb0EES19_IbLb1EEEEDaS15_S16_EUlS15_E_NS1_11comp_targetILNS1_3genE9ELNS1_11target_archE1100ELNS1_3gpuE3ELNS1_3repE0EEENS1_30default_config_static_selectorELNS0_4arch9wavefront6targetE0EEEvT1_
; %bb.0:
	.section	.rodata,"a",@progbits
	.p2align	6, 0x0
	.amdhsa_kernel _ZN7rocprim17ROCPRIM_400000_NS6detail17trampoline_kernelINS0_14default_configENS1_25partition_config_selectorILNS1_17partition_subalgoE9EllbEEZZNS1_14partition_implILS5_9ELb0ES3_jPlS8_PNS0_10empty_typeENS0_5tupleIJS8_S9_EEENSB_IJS8_SA_EEENS0_18inequality_wrapperIZN2at6native12_GLOBAL__N_124unique_dim_cuda_templateIfEESt5tupleIJNSF_6TensorESK_SK_EERKSK_lbbbEUlllE0_EEPmJS9_EEE10hipError_tPvRmT3_T4_T5_T6_T7_T9_mT8_P12ihipStream_tbDpT10_ENKUlT_T0_E_clISt17integral_constantIbLb0EES19_IbLb1EEEEDaS15_S16_EUlS15_E_NS1_11comp_targetILNS1_3genE9ELNS1_11target_archE1100ELNS1_3gpuE3ELNS1_3repE0EEENS1_30default_config_static_selectorELNS0_4arch9wavefront6targetE0EEEvT1_
		.amdhsa_group_segment_fixed_size 0
		.amdhsa_private_segment_fixed_size 0
		.amdhsa_kernarg_size 136
		.amdhsa_user_sgpr_count 2
		.amdhsa_user_sgpr_dispatch_ptr 0
		.amdhsa_user_sgpr_queue_ptr 0
		.amdhsa_user_sgpr_kernarg_segment_ptr 1
		.amdhsa_user_sgpr_dispatch_id 0
		.amdhsa_user_sgpr_kernarg_preload_length 0
		.amdhsa_user_sgpr_kernarg_preload_offset 0
		.amdhsa_user_sgpr_private_segment_size 0
		.amdhsa_wavefront_size32 1
		.amdhsa_uses_dynamic_stack 0
		.amdhsa_enable_private_segment 0
		.amdhsa_system_sgpr_workgroup_id_x 1
		.amdhsa_system_sgpr_workgroup_id_y 0
		.amdhsa_system_sgpr_workgroup_id_z 0
		.amdhsa_system_sgpr_workgroup_info 0
		.amdhsa_system_vgpr_workitem_id 0
		.amdhsa_next_free_vgpr 1
		.amdhsa_next_free_sgpr 1
		.amdhsa_named_barrier_count 0
		.amdhsa_reserve_vcc 0
		.amdhsa_float_round_mode_32 0
		.amdhsa_float_round_mode_16_64 0
		.amdhsa_float_denorm_mode_32 3
		.amdhsa_float_denorm_mode_16_64 3
		.amdhsa_fp16_overflow 0
		.amdhsa_memory_ordered 1
		.amdhsa_forward_progress 1
		.amdhsa_inst_pref_size 0
		.amdhsa_round_robin_scheduling 0
		.amdhsa_exception_fp_ieee_invalid_op 0
		.amdhsa_exception_fp_denorm_src 0
		.amdhsa_exception_fp_ieee_div_zero 0
		.amdhsa_exception_fp_ieee_overflow 0
		.amdhsa_exception_fp_ieee_underflow 0
		.amdhsa_exception_fp_ieee_inexact 0
		.amdhsa_exception_int_div_zero 0
	.end_amdhsa_kernel
	.section	.text._ZN7rocprim17ROCPRIM_400000_NS6detail17trampoline_kernelINS0_14default_configENS1_25partition_config_selectorILNS1_17partition_subalgoE9EllbEEZZNS1_14partition_implILS5_9ELb0ES3_jPlS8_PNS0_10empty_typeENS0_5tupleIJS8_S9_EEENSB_IJS8_SA_EEENS0_18inequality_wrapperIZN2at6native12_GLOBAL__N_124unique_dim_cuda_templateIfEESt5tupleIJNSF_6TensorESK_SK_EERKSK_lbbbEUlllE0_EEPmJS9_EEE10hipError_tPvRmT3_T4_T5_T6_T7_T9_mT8_P12ihipStream_tbDpT10_ENKUlT_T0_E_clISt17integral_constantIbLb0EES19_IbLb1EEEEDaS15_S16_EUlS15_E_NS1_11comp_targetILNS1_3genE9ELNS1_11target_archE1100ELNS1_3gpuE3ELNS1_3repE0EEENS1_30default_config_static_selectorELNS0_4arch9wavefront6targetE0EEEvT1_,"axG",@progbits,_ZN7rocprim17ROCPRIM_400000_NS6detail17trampoline_kernelINS0_14default_configENS1_25partition_config_selectorILNS1_17partition_subalgoE9EllbEEZZNS1_14partition_implILS5_9ELb0ES3_jPlS8_PNS0_10empty_typeENS0_5tupleIJS8_S9_EEENSB_IJS8_SA_EEENS0_18inequality_wrapperIZN2at6native12_GLOBAL__N_124unique_dim_cuda_templateIfEESt5tupleIJNSF_6TensorESK_SK_EERKSK_lbbbEUlllE0_EEPmJS9_EEE10hipError_tPvRmT3_T4_T5_T6_T7_T9_mT8_P12ihipStream_tbDpT10_ENKUlT_T0_E_clISt17integral_constantIbLb0EES19_IbLb1EEEEDaS15_S16_EUlS15_E_NS1_11comp_targetILNS1_3genE9ELNS1_11target_archE1100ELNS1_3gpuE3ELNS1_3repE0EEENS1_30default_config_static_selectorELNS0_4arch9wavefront6targetE0EEEvT1_,comdat
.Lfunc_end991:
	.size	_ZN7rocprim17ROCPRIM_400000_NS6detail17trampoline_kernelINS0_14default_configENS1_25partition_config_selectorILNS1_17partition_subalgoE9EllbEEZZNS1_14partition_implILS5_9ELb0ES3_jPlS8_PNS0_10empty_typeENS0_5tupleIJS8_S9_EEENSB_IJS8_SA_EEENS0_18inequality_wrapperIZN2at6native12_GLOBAL__N_124unique_dim_cuda_templateIfEESt5tupleIJNSF_6TensorESK_SK_EERKSK_lbbbEUlllE0_EEPmJS9_EEE10hipError_tPvRmT3_T4_T5_T6_T7_T9_mT8_P12ihipStream_tbDpT10_ENKUlT_T0_E_clISt17integral_constantIbLb0EES19_IbLb1EEEEDaS15_S16_EUlS15_E_NS1_11comp_targetILNS1_3genE9ELNS1_11target_archE1100ELNS1_3gpuE3ELNS1_3repE0EEENS1_30default_config_static_selectorELNS0_4arch9wavefront6targetE0EEEvT1_, .Lfunc_end991-_ZN7rocprim17ROCPRIM_400000_NS6detail17trampoline_kernelINS0_14default_configENS1_25partition_config_selectorILNS1_17partition_subalgoE9EllbEEZZNS1_14partition_implILS5_9ELb0ES3_jPlS8_PNS0_10empty_typeENS0_5tupleIJS8_S9_EEENSB_IJS8_SA_EEENS0_18inequality_wrapperIZN2at6native12_GLOBAL__N_124unique_dim_cuda_templateIfEESt5tupleIJNSF_6TensorESK_SK_EERKSK_lbbbEUlllE0_EEPmJS9_EEE10hipError_tPvRmT3_T4_T5_T6_T7_T9_mT8_P12ihipStream_tbDpT10_ENKUlT_T0_E_clISt17integral_constantIbLb0EES19_IbLb1EEEEDaS15_S16_EUlS15_E_NS1_11comp_targetILNS1_3genE9ELNS1_11target_archE1100ELNS1_3gpuE3ELNS1_3repE0EEENS1_30default_config_static_selectorELNS0_4arch9wavefront6targetE0EEEvT1_
                                        ; -- End function
	.set _ZN7rocprim17ROCPRIM_400000_NS6detail17trampoline_kernelINS0_14default_configENS1_25partition_config_selectorILNS1_17partition_subalgoE9EllbEEZZNS1_14partition_implILS5_9ELb0ES3_jPlS8_PNS0_10empty_typeENS0_5tupleIJS8_S9_EEENSB_IJS8_SA_EEENS0_18inequality_wrapperIZN2at6native12_GLOBAL__N_124unique_dim_cuda_templateIfEESt5tupleIJNSF_6TensorESK_SK_EERKSK_lbbbEUlllE0_EEPmJS9_EEE10hipError_tPvRmT3_T4_T5_T6_T7_T9_mT8_P12ihipStream_tbDpT10_ENKUlT_T0_E_clISt17integral_constantIbLb0EES19_IbLb1EEEEDaS15_S16_EUlS15_E_NS1_11comp_targetILNS1_3genE9ELNS1_11target_archE1100ELNS1_3gpuE3ELNS1_3repE0EEENS1_30default_config_static_selectorELNS0_4arch9wavefront6targetE0EEEvT1_.num_vgpr, 0
	.set _ZN7rocprim17ROCPRIM_400000_NS6detail17trampoline_kernelINS0_14default_configENS1_25partition_config_selectorILNS1_17partition_subalgoE9EllbEEZZNS1_14partition_implILS5_9ELb0ES3_jPlS8_PNS0_10empty_typeENS0_5tupleIJS8_S9_EEENSB_IJS8_SA_EEENS0_18inequality_wrapperIZN2at6native12_GLOBAL__N_124unique_dim_cuda_templateIfEESt5tupleIJNSF_6TensorESK_SK_EERKSK_lbbbEUlllE0_EEPmJS9_EEE10hipError_tPvRmT3_T4_T5_T6_T7_T9_mT8_P12ihipStream_tbDpT10_ENKUlT_T0_E_clISt17integral_constantIbLb0EES19_IbLb1EEEEDaS15_S16_EUlS15_E_NS1_11comp_targetILNS1_3genE9ELNS1_11target_archE1100ELNS1_3gpuE3ELNS1_3repE0EEENS1_30default_config_static_selectorELNS0_4arch9wavefront6targetE0EEEvT1_.num_agpr, 0
	.set _ZN7rocprim17ROCPRIM_400000_NS6detail17trampoline_kernelINS0_14default_configENS1_25partition_config_selectorILNS1_17partition_subalgoE9EllbEEZZNS1_14partition_implILS5_9ELb0ES3_jPlS8_PNS0_10empty_typeENS0_5tupleIJS8_S9_EEENSB_IJS8_SA_EEENS0_18inequality_wrapperIZN2at6native12_GLOBAL__N_124unique_dim_cuda_templateIfEESt5tupleIJNSF_6TensorESK_SK_EERKSK_lbbbEUlllE0_EEPmJS9_EEE10hipError_tPvRmT3_T4_T5_T6_T7_T9_mT8_P12ihipStream_tbDpT10_ENKUlT_T0_E_clISt17integral_constantIbLb0EES19_IbLb1EEEEDaS15_S16_EUlS15_E_NS1_11comp_targetILNS1_3genE9ELNS1_11target_archE1100ELNS1_3gpuE3ELNS1_3repE0EEENS1_30default_config_static_selectorELNS0_4arch9wavefront6targetE0EEEvT1_.numbered_sgpr, 0
	.set _ZN7rocprim17ROCPRIM_400000_NS6detail17trampoline_kernelINS0_14default_configENS1_25partition_config_selectorILNS1_17partition_subalgoE9EllbEEZZNS1_14partition_implILS5_9ELb0ES3_jPlS8_PNS0_10empty_typeENS0_5tupleIJS8_S9_EEENSB_IJS8_SA_EEENS0_18inequality_wrapperIZN2at6native12_GLOBAL__N_124unique_dim_cuda_templateIfEESt5tupleIJNSF_6TensorESK_SK_EERKSK_lbbbEUlllE0_EEPmJS9_EEE10hipError_tPvRmT3_T4_T5_T6_T7_T9_mT8_P12ihipStream_tbDpT10_ENKUlT_T0_E_clISt17integral_constantIbLb0EES19_IbLb1EEEEDaS15_S16_EUlS15_E_NS1_11comp_targetILNS1_3genE9ELNS1_11target_archE1100ELNS1_3gpuE3ELNS1_3repE0EEENS1_30default_config_static_selectorELNS0_4arch9wavefront6targetE0EEEvT1_.num_named_barrier, 0
	.set _ZN7rocprim17ROCPRIM_400000_NS6detail17trampoline_kernelINS0_14default_configENS1_25partition_config_selectorILNS1_17partition_subalgoE9EllbEEZZNS1_14partition_implILS5_9ELb0ES3_jPlS8_PNS0_10empty_typeENS0_5tupleIJS8_S9_EEENSB_IJS8_SA_EEENS0_18inequality_wrapperIZN2at6native12_GLOBAL__N_124unique_dim_cuda_templateIfEESt5tupleIJNSF_6TensorESK_SK_EERKSK_lbbbEUlllE0_EEPmJS9_EEE10hipError_tPvRmT3_T4_T5_T6_T7_T9_mT8_P12ihipStream_tbDpT10_ENKUlT_T0_E_clISt17integral_constantIbLb0EES19_IbLb1EEEEDaS15_S16_EUlS15_E_NS1_11comp_targetILNS1_3genE9ELNS1_11target_archE1100ELNS1_3gpuE3ELNS1_3repE0EEENS1_30default_config_static_selectorELNS0_4arch9wavefront6targetE0EEEvT1_.private_seg_size, 0
	.set _ZN7rocprim17ROCPRIM_400000_NS6detail17trampoline_kernelINS0_14default_configENS1_25partition_config_selectorILNS1_17partition_subalgoE9EllbEEZZNS1_14partition_implILS5_9ELb0ES3_jPlS8_PNS0_10empty_typeENS0_5tupleIJS8_S9_EEENSB_IJS8_SA_EEENS0_18inequality_wrapperIZN2at6native12_GLOBAL__N_124unique_dim_cuda_templateIfEESt5tupleIJNSF_6TensorESK_SK_EERKSK_lbbbEUlllE0_EEPmJS9_EEE10hipError_tPvRmT3_T4_T5_T6_T7_T9_mT8_P12ihipStream_tbDpT10_ENKUlT_T0_E_clISt17integral_constantIbLb0EES19_IbLb1EEEEDaS15_S16_EUlS15_E_NS1_11comp_targetILNS1_3genE9ELNS1_11target_archE1100ELNS1_3gpuE3ELNS1_3repE0EEENS1_30default_config_static_selectorELNS0_4arch9wavefront6targetE0EEEvT1_.uses_vcc, 0
	.set _ZN7rocprim17ROCPRIM_400000_NS6detail17trampoline_kernelINS0_14default_configENS1_25partition_config_selectorILNS1_17partition_subalgoE9EllbEEZZNS1_14partition_implILS5_9ELb0ES3_jPlS8_PNS0_10empty_typeENS0_5tupleIJS8_S9_EEENSB_IJS8_SA_EEENS0_18inequality_wrapperIZN2at6native12_GLOBAL__N_124unique_dim_cuda_templateIfEESt5tupleIJNSF_6TensorESK_SK_EERKSK_lbbbEUlllE0_EEPmJS9_EEE10hipError_tPvRmT3_T4_T5_T6_T7_T9_mT8_P12ihipStream_tbDpT10_ENKUlT_T0_E_clISt17integral_constantIbLb0EES19_IbLb1EEEEDaS15_S16_EUlS15_E_NS1_11comp_targetILNS1_3genE9ELNS1_11target_archE1100ELNS1_3gpuE3ELNS1_3repE0EEENS1_30default_config_static_selectorELNS0_4arch9wavefront6targetE0EEEvT1_.uses_flat_scratch, 0
	.set _ZN7rocprim17ROCPRIM_400000_NS6detail17trampoline_kernelINS0_14default_configENS1_25partition_config_selectorILNS1_17partition_subalgoE9EllbEEZZNS1_14partition_implILS5_9ELb0ES3_jPlS8_PNS0_10empty_typeENS0_5tupleIJS8_S9_EEENSB_IJS8_SA_EEENS0_18inequality_wrapperIZN2at6native12_GLOBAL__N_124unique_dim_cuda_templateIfEESt5tupleIJNSF_6TensorESK_SK_EERKSK_lbbbEUlllE0_EEPmJS9_EEE10hipError_tPvRmT3_T4_T5_T6_T7_T9_mT8_P12ihipStream_tbDpT10_ENKUlT_T0_E_clISt17integral_constantIbLb0EES19_IbLb1EEEEDaS15_S16_EUlS15_E_NS1_11comp_targetILNS1_3genE9ELNS1_11target_archE1100ELNS1_3gpuE3ELNS1_3repE0EEENS1_30default_config_static_selectorELNS0_4arch9wavefront6targetE0EEEvT1_.has_dyn_sized_stack, 0
	.set _ZN7rocprim17ROCPRIM_400000_NS6detail17trampoline_kernelINS0_14default_configENS1_25partition_config_selectorILNS1_17partition_subalgoE9EllbEEZZNS1_14partition_implILS5_9ELb0ES3_jPlS8_PNS0_10empty_typeENS0_5tupleIJS8_S9_EEENSB_IJS8_SA_EEENS0_18inequality_wrapperIZN2at6native12_GLOBAL__N_124unique_dim_cuda_templateIfEESt5tupleIJNSF_6TensorESK_SK_EERKSK_lbbbEUlllE0_EEPmJS9_EEE10hipError_tPvRmT3_T4_T5_T6_T7_T9_mT8_P12ihipStream_tbDpT10_ENKUlT_T0_E_clISt17integral_constantIbLb0EES19_IbLb1EEEEDaS15_S16_EUlS15_E_NS1_11comp_targetILNS1_3genE9ELNS1_11target_archE1100ELNS1_3gpuE3ELNS1_3repE0EEENS1_30default_config_static_selectorELNS0_4arch9wavefront6targetE0EEEvT1_.has_recursion, 0
	.set _ZN7rocprim17ROCPRIM_400000_NS6detail17trampoline_kernelINS0_14default_configENS1_25partition_config_selectorILNS1_17partition_subalgoE9EllbEEZZNS1_14partition_implILS5_9ELb0ES3_jPlS8_PNS0_10empty_typeENS0_5tupleIJS8_S9_EEENSB_IJS8_SA_EEENS0_18inequality_wrapperIZN2at6native12_GLOBAL__N_124unique_dim_cuda_templateIfEESt5tupleIJNSF_6TensorESK_SK_EERKSK_lbbbEUlllE0_EEPmJS9_EEE10hipError_tPvRmT3_T4_T5_T6_T7_T9_mT8_P12ihipStream_tbDpT10_ENKUlT_T0_E_clISt17integral_constantIbLb0EES19_IbLb1EEEEDaS15_S16_EUlS15_E_NS1_11comp_targetILNS1_3genE9ELNS1_11target_archE1100ELNS1_3gpuE3ELNS1_3repE0EEENS1_30default_config_static_selectorELNS0_4arch9wavefront6targetE0EEEvT1_.has_indirect_call, 0
	.section	.AMDGPU.csdata,"",@progbits
; Kernel info:
; codeLenInByte = 0
; TotalNumSgprs: 0
; NumVgprs: 0
; ScratchSize: 0
; MemoryBound: 0
; FloatMode: 240
; IeeeMode: 1
; LDSByteSize: 0 bytes/workgroup (compile time only)
; SGPRBlocks: 0
; VGPRBlocks: 0
; NumSGPRsForWavesPerEU: 1
; NumVGPRsForWavesPerEU: 1
; NamedBarCnt: 0
; Occupancy: 16
; WaveLimiterHint : 0
; COMPUTE_PGM_RSRC2:SCRATCH_EN: 0
; COMPUTE_PGM_RSRC2:USER_SGPR: 2
; COMPUTE_PGM_RSRC2:TRAP_HANDLER: 0
; COMPUTE_PGM_RSRC2:TGID_X_EN: 1
; COMPUTE_PGM_RSRC2:TGID_Y_EN: 0
; COMPUTE_PGM_RSRC2:TGID_Z_EN: 0
; COMPUTE_PGM_RSRC2:TIDIG_COMP_CNT: 0
	.section	.text._ZN7rocprim17ROCPRIM_400000_NS6detail17trampoline_kernelINS0_14default_configENS1_25partition_config_selectorILNS1_17partition_subalgoE9EllbEEZZNS1_14partition_implILS5_9ELb0ES3_jPlS8_PNS0_10empty_typeENS0_5tupleIJS8_S9_EEENSB_IJS8_SA_EEENS0_18inequality_wrapperIZN2at6native12_GLOBAL__N_124unique_dim_cuda_templateIfEESt5tupleIJNSF_6TensorESK_SK_EERKSK_lbbbEUlllE0_EEPmJS9_EEE10hipError_tPvRmT3_T4_T5_T6_T7_T9_mT8_P12ihipStream_tbDpT10_ENKUlT_T0_E_clISt17integral_constantIbLb0EES19_IbLb1EEEEDaS15_S16_EUlS15_E_NS1_11comp_targetILNS1_3genE8ELNS1_11target_archE1030ELNS1_3gpuE2ELNS1_3repE0EEENS1_30default_config_static_selectorELNS0_4arch9wavefront6targetE0EEEvT1_,"axG",@progbits,_ZN7rocprim17ROCPRIM_400000_NS6detail17trampoline_kernelINS0_14default_configENS1_25partition_config_selectorILNS1_17partition_subalgoE9EllbEEZZNS1_14partition_implILS5_9ELb0ES3_jPlS8_PNS0_10empty_typeENS0_5tupleIJS8_S9_EEENSB_IJS8_SA_EEENS0_18inequality_wrapperIZN2at6native12_GLOBAL__N_124unique_dim_cuda_templateIfEESt5tupleIJNSF_6TensorESK_SK_EERKSK_lbbbEUlllE0_EEPmJS9_EEE10hipError_tPvRmT3_T4_T5_T6_T7_T9_mT8_P12ihipStream_tbDpT10_ENKUlT_T0_E_clISt17integral_constantIbLb0EES19_IbLb1EEEEDaS15_S16_EUlS15_E_NS1_11comp_targetILNS1_3genE8ELNS1_11target_archE1030ELNS1_3gpuE2ELNS1_3repE0EEENS1_30default_config_static_selectorELNS0_4arch9wavefront6targetE0EEEvT1_,comdat
	.globl	_ZN7rocprim17ROCPRIM_400000_NS6detail17trampoline_kernelINS0_14default_configENS1_25partition_config_selectorILNS1_17partition_subalgoE9EllbEEZZNS1_14partition_implILS5_9ELb0ES3_jPlS8_PNS0_10empty_typeENS0_5tupleIJS8_S9_EEENSB_IJS8_SA_EEENS0_18inequality_wrapperIZN2at6native12_GLOBAL__N_124unique_dim_cuda_templateIfEESt5tupleIJNSF_6TensorESK_SK_EERKSK_lbbbEUlllE0_EEPmJS9_EEE10hipError_tPvRmT3_T4_T5_T6_T7_T9_mT8_P12ihipStream_tbDpT10_ENKUlT_T0_E_clISt17integral_constantIbLb0EES19_IbLb1EEEEDaS15_S16_EUlS15_E_NS1_11comp_targetILNS1_3genE8ELNS1_11target_archE1030ELNS1_3gpuE2ELNS1_3repE0EEENS1_30default_config_static_selectorELNS0_4arch9wavefront6targetE0EEEvT1_ ; -- Begin function _ZN7rocprim17ROCPRIM_400000_NS6detail17trampoline_kernelINS0_14default_configENS1_25partition_config_selectorILNS1_17partition_subalgoE9EllbEEZZNS1_14partition_implILS5_9ELb0ES3_jPlS8_PNS0_10empty_typeENS0_5tupleIJS8_S9_EEENSB_IJS8_SA_EEENS0_18inequality_wrapperIZN2at6native12_GLOBAL__N_124unique_dim_cuda_templateIfEESt5tupleIJNSF_6TensorESK_SK_EERKSK_lbbbEUlllE0_EEPmJS9_EEE10hipError_tPvRmT3_T4_T5_T6_T7_T9_mT8_P12ihipStream_tbDpT10_ENKUlT_T0_E_clISt17integral_constantIbLb0EES19_IbLb1EEEEDaS15_S16_EUlS15_E_NS1_11comp_targetILNS1_3genE8ELNS1_11target_archE1030ELNS1_3gpuE2ELNS1_3repE0EEENS1_30default_config_static_selectorELNS0_4arch9wavefront6targetE0EEEvT1_
	.p2align	8
	.type	_ZN7rocprim17ROCPRIM_400000_NS6detail17trampoline_kernelINS0_14default_configENS1_25partition_config_selectorILNS1_17partition_subalgoE9EllbEEZZNS1_14partition_implILS5_9ELb0ES3_jPlS8_PNS0_10empty_typeENS0_5tupleIJS8_S9_EEENSB_IJS8_SA_EEENS0_18inequality_wrapperIZN2at6native12_GLOBAL__N_124unique_dim_cuda_templateIfEESt5tupleIJNSF_6TensorESK_SK_EERKSK_lbbbEUlllE0_EEPmJS9_EEE10hipError_tPvRmT3_T4_T5_T6_T7_T9_mT8_P12ihipStream_tbDpT10_ENKUlT_T0_E_clISt17integral_constantIbLb0EES19_IbLb1EEEEDaS15_S16_EUlS15_E_NS1_11comp_targetILNS1_3genE8ELNS1_11target_archE1030ELNS1_3gpuE2ELNS1_3repE0EEENS1_30default_config_static_selectorELNS0_4arch9wavefront6targetE0EEEvT1_,@function
_ZN7rocprim17ROCPRIM_400000_NS6detail17trampoline_kernelINS0_14default_configENS1_25partition_config_selectorILNS1_17partition_subalgoE9EllbEEZZNS1_14partition_implILS5_9ELb0ES3_jPlS8_PNS0_10empty_typeENS0_5tupleIJS8_S9_EEENSB_IJS8_SA_EEENS0_18inequality_wrapperIZN2at6native12_GLOBAL__N_124unique_dim_cuda_templateIfEESt5tupleIJNSF_6TensorESK_SK_EERKSK_lbbbEUlllE0_EEPmJS9_EEE10hipError_tPvRmT3_T4_T5_T6_T7_T9_mT8_P12ihipStream_tbDpT10_ENKUlT_T0_E_clISt17integral_constantIbLb0EES19_IbLb1EEEEDaS15_S16_EUlS15_E_NS1_11comp_targetILNS1_3genE8ELNS1_11target_archE1030ELNS1_3gpuE2ELNS1_3repE0EEENS1_30default_config_static_selectorELNS0_4arch9wavefront6targetE0EEEvT1_: ; @_ZN7rocprim17ROCPRIM_400000_NS6detail17trampoline_kernelINS0_14default_configENS1_25partition_config_selectorILNS1_17partition_subalgoE9EllbEEZZNS1_14partition_implILS5_9ELb0ES3_jPlS8_PNS0_10empty_typeENS0_5tupleIJS8_S9_EEENSB_IJS8_SA_EEENS0_18inequality_wrapperIZN2at6native12_GLOBAL__N_124unique_dim_cuda_templateIfEESt5tupleIJNSF_6TensorESK_SK_EERKSK_lbbbEUlllE0_EEPmJS9_EEE10hipError_tPvRmT3_T4_T5_T6_T7_T9_mT8_P12ihipStream_tbDpT10_ENKUlT_T0_E_clISt17integral_constantIbLb0EES19_IbLb1EEEEDaS15_S16_EUlS15_E_NS1_11comp_targetILNS1_3genE8ELNS1_11target_archE1030ELNS1_3gpuE2ELNS1_3repE0EEENS1_30default_config_static_selectorELNS0_4arch9wavefront6targetE0EEEvT1_
; %bb.0:
	.section	.rodata,"a",@progbits
	.p2align	6, 0x0
	.amdhsa_kernel _ZN7rocprim17ROCPRIM_400000_NS6detail17trampoline_kernelINS0_14default_configENS1_25partition_config_selectorILNS1_17partition_subalgoE9EllbEEZZNS1_14partition_implILS5_9ELb0ES3_jPlS8_PNS0_10empty_typeENS0_5tupleIJS8_S9_EEENSB_IJS8_SA_EEENS0_18inequality_wrapperIZN2at6native12_GLOBAL__N_124unique_dim_cuda_templateIfEESt5tupleIJNSF_6TensorESK_SK_EERKSK_lbbbEUlllE0_EEPmJS9_EEE10hipError_tPvRmT3_T4_T5_T6_T7_T9_mT8_P12ihipStream_tbDpT10_ENKUlT_T0_E_clISt17integral_constantIbLb0EES19_IbLb1EEEEDaS15_S16_EUlS15_E_NS1_11comp_targetILNS1_3genE8ELNS1_11target_archE1030ELNS1_3gpuE2ELNS1_3repE0EEENS1_30default_config_static_selectorELNS0_4arch9wavefront6targetE0EEEvT1_
		.amdhsa_group_segment_fixed_size 0
		.amdhsa_private_segment_fixed_size 0
		.amdhsa_kernarg_size 136
		.amdhsa_user_sgpr_count 2
		.amdhsa_user_sgpr_dispatch_ptr 0
		.amdhsa_user_sgpr_queue_ptr 0
		.amdhsa_user_sgpr_kernarg_segment_ptr 1
		.amdhsa_user_sgpr_dispatch_id 0
		.amdhsa_user_sgpr_kernarg_preload_length 0
		.amdhsa_user_sgpr_kernarg_preload_offset 0
		.amdhsa_user_sgpr_private_segment_size 0
		.amdhsa_wavefront_size32 1
		.amdhsa_uses_dynamic_stack 0
		.amdhsa_enable_private_segment 0
		.amdhsa_system_sgpr_workgroup_id_x 1
		.amdhsa_system_sgpr_workgroup_id_y 0
		.amdhsa_system_sgpr_workgroup_id_z 0
		.amdhsa_system_sgpr_workgroup_info 0
		.amdhsa_system_vgpr_workitem_id 0
		.amdhsa_next_free_vgpr 1
		.amdhsa_next_free_sgpr 1
		.amdhsa_named_barrier_count 0
		.amdhsa_reserve_vcc 0
		.amdhsa_float_round_mode_32 0
		.amdhsa_float_round_mode_16_64 0
		.amdhsa_float_denorm_mode_32 3
		.amdhsa_float_denorm_mode_16_64 3
		.amdhsa_fp16_overflow 0
		.amdhsa_memory_ordered 1
		.amdhsa_forward_progress 1
		.amdhsa_inst_pref_size 0
		.amdhsa_round_robin_scheduling 0
		.amdhsa_exception_fp_ieee_invalid_op 0
		.amdhsa_exception_fp_denorm_src 0
		.amdhsa_exception_fp_ieee_div_zero 0
		.amdhsa_exception_fp_ieee_overflow 0
		.amdhsa_exception_fp_ieee_underflow 0
		.amdhsa_exception_fp_ieee_inexact 0
		.amdhsa_exception_int_div_zero 0
	.end_amdhsa_kernel
	.section	.text._ZN7rocprim17ROCPRIM_400000_NS6detail17trampoline_kernelINS0_14default_configENS1_25partition_config_selectorILNS1_17partition_subalgoE9EllbEEZZNS1_14partition_implILS5_9ELb0ES3_jPlS8_PNS0_10empty_typeENS0_5tupleIJS8_S9_EEENSB_IJS8_SA_EEENS0_18inequality_wrapperIZN2at6native12_GLOBAL__N_124unique_dim_cuda_templateIfEESt5tupleIJNSF_6TensorESK_SK_EERKSK_lbbbEUlllE0_EEPmJS9_EEE10hipError_tPvRmT3_T4_T5_T6_T7_T9_mT8_P12ihipStream_tbDpT10_ENKUlT_T0_E_clISt17integral_constantIbLb0EES19_IbLb1EEEEDaS15_S16_EUlS15_E_NS1_11comp_targetILNS1_3genE8ELNS1_11target_archE1030ELNS1_3gpuE2ELNS1_3repE0EEENS1_30default_config_static_selectorELNS0_4arch9wavefront6targetE0EEEvT1_,"axG",@progbits,_ZN7rocprim17ROCPRIM_400000_NS6detail17trampoline_kernelINS0_14default_configENS1_25partition_config_selectorILNS1_17partition_subalgoE9EllbEEZZNS1_14partition_implILS5_9ELb0ES3_jPlS8_PNS0_10empty_typeENS0_5tupleIJS8_S9_EEENSB_IJS8_SA_EEENS0_18inequality_wrapperIZN2at6native12_GLOBAL__N_124unique_dim_cuda_templateIfEESt5tupleIJNSF_6TensorESK_SK_EERKSK_lbbbEUlllE0_EEPmJS9_EEE10hipError_tPvRmT3_T4_T5_T6_T7_T9_mT8_P12ihipStream_tbDpT10_ENKUlT_T0_E_clISt17integral_constantIbLb0EES19_IbLb1EEEEDaS15_S16_EUlS15_E_NS1_11comp_targetILNS1_3genE8ELNS1_11target_archE1030ELNS1_3gpuE2ELNS1_3repE0EEENS1_30default_config_static_selectorELNS0_4arch9wavefront6targetE0EEEvT1_,comdat
.Lfunc_end992:
	.size	_ZN7rocprim17ROCPRIM_400000_NS6detail17trampoline_kernelINS0_14default_configENS1_25partition_config_selectorILNS1_17partition_subalgoE9EllbEEZZNS1_14partition_implILS5_9ELb0ES3_jPlS8_PNS0_10empty_typeENS0_5tupleIJS8_S9_EEENSB_IJS8_SA_EEENS0_18inequality_wrapperIZN2at6native12_GLOBAL__N_124unique_dim_cuda_templateIfEESt5tupleIJNSF_6TensorESK_SK_EERKSK_lbbbEUlllE0_EEPmJS9_EEE10hipError_tPvRmT3_T4_T5_T6_T7_T9_mT8_P12ihipStream_tbDpT10_ENKUlT_T0_E_clISt17integral_constantIbLb0EES19_IbLb1EEEEDaS15_S16_EUlS15_E_NS1_11comp_targetILNS1_3genE8ELNS1_11target_archE1030ELNS1_3gpuE2ELNS1_3repE0EEENS1_30default_config_static_selectorELNS0_4arch9wavefront6targetE0EEEvT1_, .Lfunc_end992-_ZN7rocprim17ROCPRIM_400000_NS6detail17trampoline_kernelINS0_14default_configENS1_25partition_config_selectorILNS1_17partition_subalgoE9EllbEEZZNS1_14partition_implILS5_9ELb0ES3_jPlS8_PNS0_10empty_typeENS0_5tupleIJS8_S9_EEENSB_IJS8_SA_EEENS0_18inequality_wrapperIZN2at6native12_GLOBAL__N_124unique_dim_cuda_templateIfEESt5tupleIJNSF_6TensorESK_SK_EERKSK_lbbbEUlllE0_EEPmJS9_EEE10hipError_tPvRmT3_T4_T5_T6_T7_T9_mT8_P12ihipStream_tbDpT10_ENKUlT_T0_E_clISt17integral_constantIbLb0EES19_IbLb1EEEEDaS15_S16_EUlS15_E_NS1_11comp_targetILNS1_3genE8ELNS1_11target_archE1030ELNS1_3gpuE2ELNS1_3repE0EEENS1_30default_config_static_selectorELNS0_4arch9wavefront6targetE0EEEvT1_
                                        ; -- End function
	.set _ZN7rocprim17ROCPRIM_400000_NS6detail17trampoline_kernelINS0_14default_configENS1_25partition_config_selectorILNS1_17partition_subalgoE9EllbEEZZNS1_14partition_implILS5_9ELb0ES3_jPlS8_PNS0_10empty_typeENS0_5tupleIJS8_S9_EEENSB_IJS8_SA_EEENS0_18inequality_wrapperIZN2at6native12_GLOBAL__N_124unique_dim_cuda_templateIfEESt5tupleIJNSF_6TensorESK_SK_EERKSK_lbbbEUlllE0_EEPmJS9_EEE10hipError_tPvRmT3_T4_T5_T6_T7_T9_mT8_P12ihipStream_tbDpT10_ENKUlT_T0_E_clISt17integral_constantIbLb0EES19_IbLb1EEEEDaS15_S16_EUlS15_E_NS1_11comp_targetILNS1_3genE8ELNS1_11target_archE1030ELNS1_3gpuE2ELNS1_3repE0EEENS1_30default_config_static_selectorELNS0_4arch9wavefront6targetE0EEEvT1_.num_vgpr, 0
	.set _ZN7rocprim17ROCPRIM_400000_NS6detail17trampoline_kernelINS0_14default_configENS1_25partition_config_selectorILNS1_17partition_subalgoE9EllbEEZZNS1_14partition_implILS5_9ELb0ES3_jPlS8_PNS0_10empty_typeENS0_5tupleIJS8_S9_EEENSB_IJS8_SA_EEENS0_18inequality_wrapperIZN2at6native12_GLOBAL__N_124unique_dim_cuda_templateIfEESt5tupleIJNSF_6TensorESK_SK_EERKSK_lbbbEUlllE0_EEPmJS9_EEE10hipError_tPvRmT3_T4_T5_T6_T7_T9_mT8_P12ihipStream_tbDpT10_ENKUlT_T0_E_clISt17integral_constantIbLb0EES19_IbLb1EEEEDaS15_S16_EUlS15_E_NS1_11comp_targetILNS1_3genE8ELNS1_11target_archE1030ELNS1_3gpuE2ELNS1_3repE0EEENS1_30default_config_static_selectorELNS0_4arch9wavefront6targetE0EEEvT1_.num_agpr, 0
	.set _ZN7rocprim17ROCPRIM_400000_NS6detail17trampoline_kernelINS0_14default_configENS1_25partition_config_selectorILNS1_17partition_subalgoE9EllbEEZZNS1_14partition_implILS5_9ELb0ES3_jPlS8_PNS0_10empty_typeENS0_5tupleIJS8_S9_EEENSB_IJS8_SA_EEENS0_18inequality_wrapperIZN2at6native12_GLOBAL__N_124unique_dim_cuda_templateIfEESt5tupleIJNSF_6TensorESK_SK_EERKSK_lbbbEUlllE0_EEPmJS9_EEE10hipError_tPvRmT3_T4_T5_T6_T7_T9_mT8_P12ihipStream_tbDpT10_ENKUlT_T0_E_clISt17integral_constantIbLb0EES19_IbLb1EEEEDaS15_S16_EUlS15_E_NS1_11comp_targetILNS1_3genE8ELNS1_11target_archE1030ELNS1_3gpuE2ELNS1_3repE0EEENS1_30default_config_static_selectorELNS0_4arch9wavefront6targetE0EEEvT1_.numbered_sgpr, 0
	.set _ZN7rocprim17ROCPRIM_400000_NS6detail17trampoline_kernelINS0_14default_configENS1_25partition_config_selectorILNS1_17partition_subalgoE9EllbEEZZNS1_14partition_implILS5_9ELb0ES3_jPlS8_PNS0_10empty_typeENS0_5tupleIJS8_S9_EEENSB_IJS8_SA_EEENS0_18inequality_wrapperIZN2at6native12_GLOBAL__N_124unique_dim_cuda_templateIfEESt5tupleIJNSF_6TensorESK_SK_EERKSK_lbbbEUlllE0_EEPmJS9_EEE10hipError_tPvRmT3_T4_T5_T6_T7_T9_mT8_P12ihipStream_tbDpT10_ENKUlT_T0_E_clISt17integral_constantIbLb0EES19_IbLb1EEEEDaS15_S16_EUlS15_E_NS1_11comp_targetILNS1_3genE8ELNS1_11target_archE1030ELNS1_3gpuE2ELNS1_3repE0EEENS1_30default_config_static_selectorELNS0_4arch9wavefront6targetE0EEEvT1_.num_named_barrier, 0
	.set _ZN7rocprim17ROCPRIM_400000_NS6detail17trampoline_kernelINS0_14default_configENS1_25partition_config_selectorILNS1_17partition_subalgoE9EllbEEZZNS1_14partition_implILS5_9ELb0ES3_jPlS8_PNS0_10empty_typeENS0_5tupleIJS8_S9_EEENSB_IJS8_SA_EEENS0_18inequality_wrapperIZN2at6native12_GLOBAL__N_124unique_dim_cuda_templateIfEESt5tupleIJNSF_6TensorESK_SK_EERKSK_lbbbEUlllE0_EEPmJS9_EEE10hipError_tPvRmT3_T4_T5_T6_T7_T9_mT8_P12ihipStream_tbDpT10_ENKUlT_T0_E_clISt17integral_constantIbLb0EES19_IbLb1EEEEDaS15_S16_EUlS15_E_NS1_11comp_targetILNS1_3genE8ELNS1_11target_archE1030ELNS1_3gpuE2ELNS1_3repE0EEENS1_30default_config_static_selectorELNS0_4arch9wavefront6targetE0EEEvT1_.private_seg_size, 0
	.set _ZN7rocprim17ROCPRIM_400000_NS6detail17trampoline_kernelINS0_14default_configENS1_25partition_config_selectorILNS1_17partition_subalgoE9EllbEEZZNS1_14partition_implILS5_9ELb0ES3_jPlS8_PNS0_10empty_typeENS0_5tupleIJS8_S9_EEENSB_IJS8_SA_EEENS0_18inequality_wrapperIZN2at6native12_GLOBAL__N_124unique_dim_cuda_templateIfEESt5tupleIJNSF_6TensorESK_SK_EERKSK_lbbbEUlllE0_EEPmJS9_EEE10hipError_tPvRmT3_T4_T5_T6_T7_T9_mT8_P12ihipStream_tbDpT10_ENKUlT_T0_E_clISt17integral_constantIbLb0EES19_IbLb1EEEEDaS15_S16_EUlS15_E_NS1_11comp_targetILNS1_3genE8ELNS1_11target_archE1030ELNS1_3gpuE2ELNS1_3repE0EEENS1_30default_config_static_selectorELNS0_4arch9wavefront6targetE0EEEvT1_.uses_vcc, 0
	.set _ZN7rocprim17ROCPRIM_400000_NS6detail17trampoline_kernelINS0_14default_configENS1_25partition_config_selectorILNS1_17partition_subalgoE9EllbEEZZNS1_14partition_implILS5_9ELb0ES3_jPlS8_PNS0_10empty_typeENS0_5tupleIJS8_S9_EEENSB_IJS8_SA_EEENS0_18inequality_wrapperIZN2at6native12_GLOBAL__N_124unique_dim_cuda_templateIfEESt5tupleIJNSF_6TensorESK_SK_EERKSK_lbbbEUlllE0_EEPmJS9_EEE10hipError_tPvRmT3_T4_T5_T6_T7_T9_mT8_P12ihipStream_tbDpT10_ENKUlT_T0_E_clISt17integral_constantIbLb0EES19_IbLb1EEEEDaS15_S16_EUlS15_E_NS1_11comp_targetILNS1_3genE8ELNS1_11target_archE1030ELNS1_3gpuE2ELNS1_3repE0EEENS1_30default_config_static_selectorELNS0_4arch9wavefront6targetE0EEEvT1_.uses_flat_scratch, 0
	.set _ZN7rocprim17ROCPRIM_400000_NS6detail17trampoline_kernelINS0_14default_configENS1_25partition_config_selectorILNS1_17partition_subalgoE9EllbEEZZNS1_14partition_implILS5_9ELb0ES3_jPlS8_PNS0_10empty_typeENS0_5tupleIJS8_S9_EEENSB_IJS8_SA_EEENS0_18inequality_wrapperIZN2at6native12_GLOBAL__N_124unique_dim_cuda_templateIfEESt5tupleIJNSF_6TensorESK_SK_EERKSK_lbbbEUlllE0_EEPmJS9_EEE10hipError_tPvRmT3_T4_T5_T6_T7_T9_mT8_P12ihipStream_tbDpT10_ENKUlT_T0_E_clISt17integral_constantIbLb0EES19_IbLb1EEEEDaS15_S16_EUlS15_E_NS1_11comp_targetILNS1_3genE8ELNS1_11target_archE1030ELNS1_3gpuE2ELNS1_3repE0EEENS1_30default_config_static_selectorELNS0_4arch9wavefront6targetE0EEEvT1_.has_dyn_sized_stack, 0
	.set _ZN7rocprim17ROCPRIM_400000_NS6detail17trampoline_kernelINS0_14default_configENS1_25partition_config_selectorILNS1_17partition_subalgoE9EllbEEZZNS1_14partition_implILS5_9ELb0ES3_jPlS8_PNS0_10empty_typeENS0_5tupleIJS8_S9_EEENSB_IJS8_SA_EEENS0_18inequality_wrapperIZN2at6native12_GLOBAL__N_124unique_dim_cuda_templateIfEESt5tupleIJNSF_6TensorESK_SK_EERKSK_lbbbEUlllE0_EEPmJS9_EEE10hipError_tPvRmT3_T4_T5_T6_T7_T9_mT8_P12ihipStream_tbDpT10_ENKUlT_T0_E_clISt17integral_constantIbLb0EES19_IbLb1EEEEDaS15_S16_EUlS15_E_NS1_11comp_targetILNS1_3genE8ELNS1_11target_archE1030ELNS1_3gpuE2ELNS1_3repE0EEENS1_30default_config_static_selectorELNS0_4arch9wavefront6targetE0EEEvT1_.has_recursion, 0
	.set _ZN7rocprim17ROCPRIM_400000_NS6detail17trampoline_kernelINS0_14default_configENS1_25partition_config_selectorILNS1_17partition_subalgoE9EllbEEZZNS1_14partition_implILS5_9ELb0ES3_jPlS8_PNS0_10empty_typeENS0_5tupleIJS8_S9_EEENSB_IJS8_SA_EEENS0_18inequality_wrapperIZN2at6native12_GLOBAL__N_124unique_dim_cuda_templateIfEESt5tupleIJNSF_6TensorESK_SK_EERKSK_lbbbEUlllE0_EEPmJS9_EEE10hipError_tPvRmT3_T4_T5_T6_T7_T9_mT8_P12ihipStream_tbDpT10_ENKUlT_T0_E_clISt17integral_constantIbLb0EES19_IbLb1EEEEDaS15_S16_EUlS15_E_NS1_11comp_targetILNS1_3genE8ELNS1_11target_archE1030ELNS1_3gpuE2ELNS1_3repE0EEENS1_30default_config_static_selectorELNS0_4arch9wavefront6targetE0EEEvT1_.has_indirect_call, 0
	.section	.AMDGPU.csdata,"",@progbits
; Kernel info:
; codeLenInByte = 0
; TotalNumSgprs: 0
; NumVgprs: 0
; ScratchSize: 0
; MemoryBound: 0
; FloatMode: 240
; IeeeMode: 1
; LDSByteSize: 0 bytes/workgroup (compile time only)
; SGPRBlocks: 0
; VGPRBlocks: 0
; NumSGPRsForWavesPerEU: 1
; NumVGPRsForWavesPerEU: 1
; NamedBarCnt: 0
; Occupancy: 16
; WaveLimiterHint : 0
; COMPUTE_PGM_RSRC2:SCRATCH_EN: 0
; COMPUTE_PGM_RSRC2:USER_SGPR: 2
; COMPUTE_PGM_RSRC2:TRAP_HANDLER: 0
; COMPUTE_PGM_RSRC2:TGID_X_EN: 1
; COMPUTE_PGM_RSRC2:TGID_Y_EN: 0
; COMPUTE_PGM_RSRC2:TGID_Z_EN: 0
; COMPUTE_PGM_RSRC2:TIDIG_COMP_CNT: 0
	.section	.text._ZN7rocprim17ROCPRIM_400000_NS6detail17trampoline_kernelINS0_14default_configENS1_37merge_sort_block_sort_config_selectorIlNS0_10empty_typeEEEZNS1_21merge_sort_block_sortIS3_PlS8_PS5_S9_ZN2at6native12_GLOBAL__N_124unique_dim_cuda_templateIbEESt5tupleIJNSA_6TensorESF_SF_EERKSF_lbbbEUlllE_EE10hipError_tT0_T1_T2_T3_mRjT4_P12ihipStream_tbNS1_7vsmem_tEEUlT_E_NS1_11comp_targetILNS1_3genE0ELNS1_11target_archE4294967295ELNS1_3gpuE0ELNS1_3repE0EEENS1_30default_config_static_selectorELNS0_4arch9wavefront6targetE0EEEvSM_,"axG",@progbits,_ZN7rocprim17ROCPRIM_400000_NS6detail17trampoline_kernelINS0_14default_configENS1_37merge_sort_block_sort_config_selectorIlNS0_10empty_typeEEEZNS1_21merge_sort_block_sortIS3_PlS8_PS5_S9_ZN2at6native12_GLOBAL__N_124unique_dim_cuda_templateIbEESt5tupleIJNSA_6TensorESF_SF_EERKSF_lbbbEUlllE_EE10hipError_tT0_T1_T2_T3_mRjT4_P12ihipStream_tbNS1_7vsmem_tEEUlT_E_NS1_11comp_targetILNS1_3genE0ELNS1_11target_archE4294967295ELNS1_3gpuE0ELNS1_3repE0EEENS1_30default_config_static_selectorELNS0_4arch9wavefront6targetE0EEEvSM_,comdat
	.globl	_ZN7rocprim17ROCPRIM_400000_NS6detail17trampoline_kernelINS0_14default_configENS1_37merge_sort_block_sort_config_selectorIlNS0_10empty_typeEEEZNS1_21merge_sort_block_sortIS3_PlS8_PS5_S9_ZN2at6native12_GLOBAL__N_124unique_dim_cuda_templateIbEESt5tupleIJNSA_6TensorESF_SF_EERKSF_lbbbEUlllE_EE10hipError_tT0_T1_T2_T3_mRjT4_P12ihipStream_tbNS1_7vsmem_tEEUlT_E_NS1_11comp_targetILNS1_3genE0ELNS1_11target_archE4294967295ELNS1_3gpuE0ELNS1_3repE0EEENS1_30default_config_static_selectorELNS0_4arch9wavefront6targetE0EEEvSM_ ; -- Begin function _ZN7rocprim17ROCPRIM_400000_NS6detail17trampoline_kernelINS0_14default_configENS1_37merge_sort_block_sort_config_selectorIlNS0_10empty_typeEEEZNS1_21merge_sort_block_sortIS3_PlS8_PS5_S9_ZN2at6native12_GLOBAL__N_124unique_dim_cuda_templateIbEESt5tupleIJNSA_6TensorESF_SF_EERKSF_lbbbEUlllE_EE10hipError_tT0_T1_T2_T3_mRjT4_P12ihipStream_tbNS1_7vsmem_tEEUlT_E_NS1_11comp_targetILNS1_3genE0ELNS1_11target_archE4294967295ELNS1_3gpuE0ELNS1_3repE0EEENS1_30default_config_static_selectorELNS0_4arch9wavefront6targetE0EEEvSM_
	.p2align	8
	.type	_ZN7rocprim17ROCPRIM_400000_NS6detail17trampoline_kernelINS0_14default_configENS1_37merge_sort_block_sort_config_selectorIlNS0_10empty_typeEEEZNS1_21merge_sort_block_sortIS3_PlS8_PS5_S9_ZN2at6native12_GLOBAL__N_124unique_dim_cuda_templateIbEESt5tupleIJNSA_6TensorESF_SF_EERKSF_lbbbEUlllE_EE10hipError_tT0_T1_T2_T3_mRjT4_P12ihipStream_tbNS1_7vsmem_tEEUlT_E_NS1_11comp_targetILNS1_3genE0ELNS1_11target_archE4294967295ELNS1_3gpuE0ELNS1_3repE0EEENS1_30default_config_static_selectorELNS0_4arch9wavefront6targetE0EEEvSM_,@function
_ZN7rocprim17ROCPRIM_400000_NS6detail17trampoline_kernelINS0_14default_configENS1_37merge_sort_block_sort_config_selectorIlNS0_10empty_typeEEEZNS1_21merge_sort_block_sortIS3_PlS8_PS5_S9_ZN2at6native12_GLOBAL__N_124unique_dim_cuda_templateIbEESt5tupleIJNSA_6TensorESF_SF_EERKSF_lbbbEUlllE_EE10hipError_tT0_T1_T2_T3_mRjT4_P12ihipStream_tbNS1_7vsmem_tEEUlT_E_NS1_11comp_targetILNS1_3genE0ELNS1_11target_archE4294967295ELNS1_3gpuE0ELNS1_3repE0EEENS1_30default_config_static_selectorELNS0_4arch9wavefront6targetE0EEEvSM_: ; @_ZN7rocprim17ROCPRIM_400000_NS6detail17trampoline_kernelINS0_14default_configENS1_37merge_sort_block_sort_config_selectorIlNS0_10empty_typeEEEZNS1_21merge_sort_block_sortIS3_PlS8_PS5_S9_ZN2at6native12_GLOBAL__N_124unique_dim_cuda_templateIbEESt5tupleIJNSA_6TensorESF_SF_EERKSF_lbbbEUlllE_EE10hipError_tT0_T1_T2_T3_mRjT4_P12ihipStream_tbNS1_7vsmem_tEEUlT_E_NS1_11comp_targetILNS1_3genE0ELNS1_11target_archE4294967295ELNS1_3gpuE0ELNS1_3repE0EEENS1_30default_config_static_selectorELNS0_4arch9wavefront6targetE0EEEvSM_
; %bb.0:
	s_clause 0x1
	s_load_b32 s4, s[0:1], 0x0
	s_load_b64 s[8:9], s[0:1], 0x48
	s_bfe_u32 s2, ttmp6, 0x40010
	s_and_b32 s3, ttmp7, 0xffff
	s_add_co_i32 s2, s2, 1
	s_bfe_u32 s6, ttmp6, 0x4000c
	s_mul_i32 s2, s3, s2
	s_bfe_u32 s5, ttmp6, 0x40004
	s_add_co_i32 s6, s6, 1
	s_bfe_u32 s7, ttmp6, 0x40014
	s_add_co_i32 s5, s5, s2
	s_and_b32 s2, ttmp6, 15
	s_mul_i32 s6, ttmp9, s6
	s_lshr_b32 s10, ttmp7, 16
	s_add_co_i32 s7, s7, 1
	s_add_co_i32 s2, s2, s6
	s_mul_i32 s6, s10, s7
	s_bfe_u32 s7, ttmp6, 0x40008
	s_getreg_b32 s11, hwreg(HW_REG_IB_STS2, 6, 4)
	s_add_co_i32 s7, s7, s6
	s_cmp_eq_u32 s11, 0
	s_cselect_b32 s6, s10, s7
	s_cselect_b32 s3, s3, s5
	s_wait_kmcnt 0x0
	s_mul_i32 s6, s9, s6
	s_cselect_b32 s9, ttmp9, s2
	s_add_co_i32 s2, s6, s3
	s_mov_b32 s3, 0
	s_mul_i32 s2, s2, s8
	s_delay_alu instid0(SALU_CYCLE_1) | instskip(NEXT) | instid1(SALU_CYCLE_1)
	s_add_co_i32 s2, s2, s9
	s_cmp_ge_u32 s2, s4
	s_cbranch_scc1 .LBB993_1229
; %bb.1:
	s_clause 0x2
	s_load_b64 s[4:5], s[0:1], 0x8
	s_load_b128 s[20:23], s[0:1], 0x18
	s_load_b128 s[12:15], s[0:1], 0x38
	v_and_b32_e32 v18, 0x3ff, v0
	s_add_nc_u64 s[16:17], s[0:1], 0x48
	s_wait_xcnt 0x0
	s_lshl_b64 s[0:1], s[2:3], 14
	s_wait_kmcnt 0x0
	s_lshr_b64 s[6:7], s[4:5], 11
	s_add_nc_u64 s[18:19], s[20:21], s[0:1]
	s_cmp_lg_u64 s[6:7], s[2:3]
	s_add_nc_u64 s[10:11], s[22:23], s[0:1]
	s_cbranch_scc0 .LBB993_8
; %bb.2:
	s_clause 0x7
	global_load_b64 v[2:3], v18, s[18:19] scale_offset
	global_load_b64 v[4:5], v18, s[18:19] offset:2048 scale_offset
	global_load_b64 v[6:7], v18, s[18:19] offset:4096 scale_offset
	global_load_b64 v[8:9], v18, s[18:19] offset:6144 scale_offset
	global_load_b64 v[10:11], v18, s[18:19] offset:8192 scale_offset
	global_load_b64 v[12:13], v18, s[18:19] offset:10240 scale_offset
	global_load_b64 v[14:15], v18, s[18:19] offset:12288 scale_offset
	global_load_b64 v[16:17], v18, s[18:19] offset:14336 scale_offset
	v_dual_lshrrev_b32 v19, 2, v18 :: v_dual_lshlrev_b32 v1, 3, v18
	v_add_nc_u32_e32 v20, 0x100, v18
	v_add_nc_u32_e32 v21, 0x200, v18
	;; [unrolled: 1-line block ×3, first 2 shown]
	v_or_b32_e32 v23, 0x400, v18
	v_add_nc_u32_e32 v24, 0x500, v18
	v_add_nc_u32_e32 v25, 0x600, v18
	;; [unrolled: 1-line block ×3, first 2 shown]
	v_dual_lshlrev_b32 v27, 1, v18 :: v_dual_lshrrev_b32 v20, 2, v20
	v_and_b32_e32 v19, 0xf8, v19
	v_dual_lshrrev_b32 v21, 2, v21 :: v_dual_lshrrev_b32 v22, 2, v22
	v_dual_lshrrev_b32 v23, 2, v23 :: v_dual_lshrrev_b32 v28, 2, v24
	;; [unrolled: 1-line block ×3, first 2 shown]
	v_and_b32_e32 v27, 0x7f8, v27
	v_add_nc_u32_e32 v24, v19, v1
	v_and_b32_e32 v19, 0x1f8, v20
	v_and_b32_e32 v20, 0x1f8, v21
	;; [unrolled: 1-line block ×7, first 2 shown]
	v_lshl_add_u32 v32, v18, 6, v27
	v_dual_add_nc_u32 v25, v19, v1 :: v_dual_add_nc_u32 v26, v20, v1
	v_add_nc_u32_e32 v27, v21, v1
	s_cmp_lt_u32 s9, s8
	v_dual_add_nc_u32 v28, v22, v1 :: v_dual_add_nc_u32 v29, v23, v1
	v_dual_add_nc_u32 v30, v30, v1 :: v_dual_add_nc_u32 v31, v31, v1
	s_mov_b32 s1, 0
	s_cselect_b32 s0, 12, 18
	v_bfe_u32 v19, v0, 10, 10
	s_add_nc_u64 s[0:1], s[16:17], s[0:1]
	v_bfe_u32 v20, v0, 20, 10
	s_wait_loadcnt 0x7
	ds_store_b64 v24, v[2:3]
	s_wait_loadcnt 0x6
	ds_store_b64 v25, v[4:5] offset:2048
	s_wait_loadcnt 0x5
	ds_store_b64 v26, v[6:7] offset:4096
	;; [unrolled: 2-line block ×7, first 2 shown]
	s_wait_dscnt 0x0
	s_barrier_signal -1
	s_barrier_wait -1
	ds_load_2addr_b64 v[14:17], v32 offset1:1
	ds_load_2addr_b64 v[10:13], v32 offset0:2 offset1:3
	ds_load_2addr_b64 v[6:9], v32 offset0:4 offset1:5
	ds_load_2addr_b64 v[2:5], v32 offset0:6 offset1:7
	s_wait_dscnt 0x0
	s_barrier_signal -1
	s_barrier_wait -1
	s_clause 0x1
	s_load_u16 s5, s[16:17], 0xe
	s_nop 0
	s_load_u16 s0, s[0:1], 0x0
	s_wait_xcnt 0x0
	s_mov_b32 s1, exec_lo
	s_wait_kmcnt 0x0
	v_mad_u32_u24 v19, v20, s5, v19
	v_cmp_gt_i64_e64 s5, s[12:13], 0
	s_delay_alu instid0(VALU_DEP_2) | instskip(NEXT) | instid1(VALU_DEP_2)
	v_mul_lo_u32 v19, v19, s0
	v_cndmask_b32_e64 v33, 0, 1, s5
	s_delay_alu instid0(VALU_DEP_2) | instskip(SKIP_1) | instid1(VALU_DEP_2)
	v_add_lshl_u32 v34, v19, v18, 3
	v_mov_b32_e32 v19, 0
	v_cmpx_gt_u32_e32 0x800, v34
	s_cbranch_execz .LBB993_190
; %bb.3:
	s_and_not1_b32 vcc_lo, exec_lo, s5
	s_cbranch_vccnz .LBB993_18
; %bb.4:
	v_mad_nc_u64_u32 v[20:21], v16, s12, s[14:15]
	v_mad_nc_u64_u32 v[22:23], v14, s12, s[14:15]
	s_mov_b32 s21, 0
	s_mov_b64 s[6:7], s[12:13]
                                        ; implicit-def: $sgpr20
                                        ; implicit-def: $sgpr22
                                        ; implicit-def: $sgpr24
                                        ; implicit-def: $sgpr23
                                        ; implicit-def: $sgpr25
	s_delay_alu instid0(VALU_DEP_2) | instskip(NEXT) | instid1(VALU_DEP_2)
	v_mad_u32 v21, v17, s12, v21
	v_mad_u32 v23, v15, s12, v23
	s_delay_alu instid0(VALU_DEP_2) | instskip(NEXT) | instid1(VALU_DEP_2)
	v_mad_u32 v21, v16, s13, v21
	v_mad_u32 v23, v14, s13, v23
	s_branch .LBB993_6
.LBB993_5:                              ;   in Loop: Header=BB993_6 Depth=1
	s_or_b32 exec_lo, exec_lo, s26
	s_or_b32 s26, vcc_lo, s0
	s_and_b32 s0, vcc_lo, s0
	s_and_b32 s26, s26, s25
	s_delay_alu instid0(SALU_CYCLE_1) | instskip(SKIP_1) | instid1(SALU_CYCLE_1)
	s_or_b32 s0, s0, s26
	s_and_b32 s26, exec_lo, s24
	s_or_b32 s21, s26, s21
	s_and_not1_b32 s25, s25, exec_lo
	s_and_b32 s0, s0, exec_lo
	s_and_not1_b32 s22, s22, exec_lo
	s_and_b32 s26, s23, exec_lo
	s_and_not1_b32 s20, s20, exec_lo
	s_or_b32 s25, s25, s0
	s_or_b32 s22, s22, s26
	;; [unrolled: 1-line block ×3, first 2 shown]
	s_and_not1_b32 exec_lo, exec_lo, s21
	s_cbranch_execz .LBB993_9
.LBB993_6:                              ; =>This Inner Loop Header: Depth=1
	global_load_u8 v35, v[20:21], off
	global_load_u8 v36, v[22:23], off
	s_or_b32 s23, s23, exec_lo
	s_or_b32 s24, s24, exec_lo
	s_wait_loadcnt 0x1
	v_cmp_eq_u16_e32 vcc_lo, 0, v35
	s_wait_loadcnt 0x0
	v_cmp_ne_u16_e64 s0, 0, v36
	s_xor_b32 s27, vcc_lo, s0
	s_delay_alu instid0(SALU_CYCLE_1)
	s_and_saveexec_b32 s26, s27
	s_cbranch_execz .LBB993_5
; %bb.7:                                ;   in Loop: Header=BB993_6 Depth=1
	s_add_nc_u64 s[6:7], s[6:7], -1
	v_add_nc_u64_e32 v[20:21], 1, v[20:21]
	s_cmp_eq_u64 s[6:7], 0
	v_add_nc_u64_e32 v[22:23], 1, v[22:23]
	s_cselect_b32 s27, -1, 0
	s_and_not1_b32 s24, s24, exec_lo
	s_and_b32 s27, s27, exec_lo
	s_and_not1_b32 s23, s23, exec_lo
	s_or_b32 s24, s24, s27
	s_branch .LBB993_5
.LBB993_8:
	s_mov_b32 s20, s3
                                        ; implicit-def: $vgpr2_vgpr3
	s_cbranch_execnz .LBB993_585
	s_branch .LBB993_1227
.LBB993_9:
	s_or_b32 exec_lo, exec_lo, s21
	s_and_saveexec_b32 s0, s22
	s_delay_alu instid0(SALU_CYCLE_1)
	s_xor_b32 s0, exec_lo, s0
; %bb.10:
	v_dual_cndmask_b32 v21, v17, v15, s20 :: v_dual_cndmask_b32 v20, v16, v14, s20
	v_dual_cndmask_b32 v15, v15, v17, s20 :: v_dual_cndmask_b32 v14, v14, v16, s20
	s_delay_alu instid0(VALU_DEP_2)
	v_mov_b64_e32 v[16:17], v[20:21]
; %bb.11:
	s_or_b32 exec_lo, exec_lo, s0
	v_mad_nc_u64_u32 v[20:21], v12, s12, s[14:15]
	v_mad_nc_u64_u32 v[22:23], v10, s12, s[14:15]
	s_mov_b32 s21, 0
	s_mov_b64 s[6:7], s[12:13]
                                        ; implicit-def: $sgpr20
                                        ; implicit-def: $sgpr22
                                        ; implicit-def: $sgpr24
                                        ; implicit-def: $sgpr23
                                        ; implicit-def: $sgpr25
	s_delay_alu instid0(VALU_DEP_2) | instskip(NEXT) | instid1(VALU_DEP_2)
	v_mad_u32 v21, v13, s12, v21
	v_mad_u32 v23, v11, s12, v23
	s_delay_alu instid0(VALU_DEP_2) | instskip(NEXT) | instid1(VALU_DEP_2)
	v_mad_u32 v21, v12, s13, v21
	v_mad_u32 v23, v10, s13, v23
	s_branch .LBB993_13
.LBB993_12:                             ;   in Loop: Header=BB993_13 Depth=1
	s_or_b32 exec_lo, exec_lo, s26
	s_or_b32 s26, vcc_lo, s0
	s_and_b32 s0, vcc_lo, s0
	s_and_b32 s26, s26, s25
	s_delay_alu instid0(SALU_CYCLE_1) | instskip(SKIP_1) | instid1(SALU_CYCLE_1)
	s_or_b32 s0, s0, s26
	s_and_b32 s26, exec_lo, s24
	s_or_b32 s21, s26, s21
	s_and_not1_b32 s25, s25, exec_lo
	s_and_b32 s0, s0, exec_lo
	s_and_not1_b32 s22, s22, exec_lo
	s_and_b32 s26, s23, exec_lo
	s_and_not1_b32 s20, s20, exec_lo
	s_or_b32 s25, s25, s0
	s_or_b32 s22, s22, s26
	;; [unrolled: 1-line block ×3, first 2 shown]
	s_and_not1_b32 exec_lo, exec_lo, s21
	s_cbranch_execz .LBB993_15
.LBB993_13:                             ; =>This Inner Loop Header: Depth=1
	global_load_u8 v35, v[20:21], off
	global_load_u8 v36, v[22:23], off
	s_or_b32 s23, s23, exec_lo
	s_or_b32 s24, s24, exec_lo
	s_wait_loadcnt 0x1
	v_cmp_eq_u16_e32 vcc_lo, 0, v35
	s_wait_loadcnt 0x0
	v_cmp_ne_u16_e64 s0, 0, v36
	s_xor_b32 s27, vcc_lo, s0
	s_delay_alu instid0(SALU_CYCLE_1)
	s_and_saveexec_b32 s26, s27
	s_cbranch_execz .LBB993_12
; %bb.14:                               ;   in Loop: Header=BB993_13 Depth=1
	s_add_nc_u64 s[6:7], s[6:7], -1
	v_add_nc_u64_e32 v[20:21], 1, v[20:21]
	s_cmp_eq_u64 s[6:7], 0
	v_add_nc_u64_e32 v[22:23], 1, v[22:23]
	s_cselect_b32 s27, -1, 0
	s_and_not1_b32 s24, s24, exec_lo
	s_and_b32 s27, s27, exec_lo
	s_and_not1_b32 s23, s23, exec_lo
	s_or_b32 s24, s24, s27
	s_branch .LBB993_12
.LBB993_15:
	s_or_b32 exec_lo, exec_lo, s21
	s_and_saveexec_b32 s0, s22
	s_delay_alu instid0(SALU_CYCLE_1)
	s_xor_b32 s0, exec_lo, s0
; %bb.16:
	v_dual_cndmask_b32 v21, v11, v13, s20 :: v_dual_cndmask_b32 v20, v10, v12, s20
	v_dual_cndmask_b32 v13, v13, v11, s20 :: v_dual_cndmask_b32 v12, v12, v10, s20
	s_delay_alu instid0(VALU_DEP_2)
	v_mov_b64_e32 v[10:11], v[20:21]
; %bb.17:
	s_or_b32 exec_lo, exec_lo, s0
.LBB993_18:
	s_delay_alu instid0(SALU_CYCLE_1)
	s_and_not1_b32 vcc_lo, exec_lo, s5
	s_cbranch_vccnz .LBB993_32
; %bb.19:
	v_mad_nc_u64_u32 v[20:21], v8, s12, s[14:15]
	v_mad_nc_u64_u32 v[22:23], v6, s12, s[14:15]
	s_mov_b32 s21, 0
	s_mov_b64 s[6:7], s[12:13]
                                        ; implicit-def: $sgpr20
                                        ; implicit-def: $sgpr22
                                        ; implicit-def: $sgpr24
                                        ; implicit-def: $sgpr23
                                        ; implicit-def: $sgpr25
	s_delay_alu instid0(VALU_DEP_2) | instskip(NEXT) | instid1(VALU_DEP_2)
	v_mad_u32 v21, v9, s12, v21
	v_mad_u32 v23, v7, s12, v23
	s_delay_alu instid0(VALU_DEP_2) | instskip(NEXT) | instid1(VALU_DEP_2)
	v_mad_u32 v21, v8, s13, v21
	v_mad_u32 v23, v6, s13, v23
	s_branch .LBB993_21
.LBB993_20:                             ;   in Loop: Header=BB993_21 Depth=1
	s_or_b32 exec_lo, exec_lo, s26
	s_or_b32 s26, vcc_lo, s0
	s_and_b32 s0, vcc_lo, s0
	s_and_b32 s26, s26, s25
	s_delay_alu instid0(SALU_CYCLE_1) | instskip(SKIP_1) | instid1(SALU_CYCLE_1)
	s_or_b32 s0, s0, s26
	s_and_b32 s26, exec_lo, s24
	s_or_b32 s21, s26, s21
	s_and_not1_b32 s25, s25, exec_lo
	s_and_b32 s0, s0, exec_lo
	s_and_not1_b32 s22, s22, exec_lo
	s_and_b32 s26, s23, exec_lo
	s_and_not1_b32 s20, s20, exec_lo
	s_or_b32 s25, s25, s0
	s_or_b32 s22, s22, s26
	;; [unrolled: 1-line block ×3, first 2 shown]
	s_and_not1_b32 exec_lo, exec_lo, s21
	s_cbranch_execz .LBB993_23
.LBB993_21:                             ; =>This Inner Loop Header: Depth=1
	global_load_u8 v35, v[20:21], off
	global_load_u8 v36, v[22:23], off
	s_or_b32 s23, s23, exec_lo
	s_or_b32 s24, s24, exec_lo
	s_wait_loadcnt 0x1
	v_cmp_eq_u16_e32 vcc_lo, 0, v35
	s_wait_loadcnt 0x0
	v_cmp_ne_u16_e64 s0, 0, v36
	s_xor_b32 s27, vcc_lo, s0
	s_delay_alu instid0(SALU_CYCLE_1)
	s_and_saveexec_b32 s26, s27
	s_cbranch_execz .LBB993_20
; %bb.22:                               ;   in Loop: Header=BB993_21 Depth=1
	s_add_nc_u64 s[6:7], s[6:7], -1
	v_add_nc_u64_e32 v[20:21], 1, v[20:21]
	s_cmp_eq_u64 s[6:7], 0
	v_add_nc_u64_e32 v[22:23], 1, v[22:23]
	s_cselect_b32 s27, -1, 0
	s_and_not1_b32 s24, s24, exec_lo
	s_and_b32 s27, s27, exec_lo
	s_and_not1_b32 s23, s23, exec_lo
	s_or_b32 s24, s24, s27
	s_branch .LBB993_20
.LBB993_23:
	s_or_b32 exec_lo, exec_lo, s21
	s_and_saveexec_b32 s0, s22
	s_delay_alu instid0(SALU_CYCLE_1)
	s_xor_b32 s0, exec_lo, s0
; %bb.24:
	v_dual_cndmask_b32 v21, v7, v9, s20 :: v_dual_cndmask_b32 v20, v6, v8, s20
	v_dual_cndmask_b32 v9, v9, v7, s20 :: v_dual_cndmask_b32 v8, v8, v6, s20
	s_delay_alu instid0(VALU_DEP_2)
	v_mov_b64_e32 v[6:7], v[20:21]
; %bb.25:
	s_or_b32 exec_lo, exec_lo, s0
	v_mad_nc_u64_u32 v[20:21], v4, s12, s[14:15]
	v_mad_nc_u64_u32 v[22:23], v2, s12, s[14:15]
	s_mov_b32 s21, 0
	s_mov_b64 s[6:7], s[12:13]
                                        ; implicit-def: $sgpr20
                                        ; implicit-def: $sgpr22
                                        ; implicit-def: $sgpr24
                                        ; implicit-def: $sgpr23
                                        ; implicit-def: $sgpr25
	s_delay_alu instid0(VALU_DEP_2) | instskip(NEXT) | instid1(VALU_DEP_2)
	v_mad_u32 v21, v5, s12, v21
	v_mad_u32 v23, v3, s12, v23
	s_delay_alu instid0(VALU_DEP_2) | instskip(NEXT) | instid1(VALU_DEP_2)
	v_mad_u32 v21, v4, s13, v21
	v_mad_u32 v23, v2, s13, v23
	s_branch .LBB993_27
.LBB993_26:                             ;   in Loop: Header=BB993_27 Depth=1
	s_or_b32 exec_lo, exec_lo, s26
	s_or_b32 s26, vcc_lo, s0
	s_and_b32 s0, vcc_lo, s0
	s_and_b32 s26, s26, s25
	s_delay_alu instid0(SALU_CYCLE_1) | instskip(SKIP_1) | instid1(SALU_CYCLE_1)
	s_or_b32 s0, s0, s26
	s_and_b32 s26, exec_lo, s24
	s_or_b32 s21, s26, s21
	s_and_not1_b32 s25, s25, exec_lo
	s_and_b32 s0, s0, exec_lo
	s_and_not1_b32 s22, s22, exec_lo
	s_and_b32 s26, s23, exec_lo
	s_and_not1_b32 s20, s20, exec_lo
	s_or_b32 s25, s25, s0
	s_or_b32 s22, s22, s26
	;; [unrolled: 1-line block ×3, first 2 shown]
	s_and_not1_b32 exec_lo, exec_lo, s21
	s_cbranch_execz .LBB993_29
.LBB993_27:                             ; =>This Inner Loop Header: Depth=1
	global_load_u8 v35, v[20:21], off
	global_load_u8 v36, v[22:23], off
	s_or_b32 s23, s23, exec_lo
	s_or_b32 s24, s24, exec_lo
	s_wait_loadcnt 0x1
	v_cmp_eq_u16_e32 vcc_lo, 0, v35
	s_wait_loadcnt 0x0
	v_cmp_ne_u16_e64 s0, 0, v36
	s_xor_b32 s27, vcc_lo, s0
	s_delay_alu instid0(SALU_CYCLE_1)
	s_and_saveexec_b32 s26, s27
	s_cbranch_execz .LBB993_26
; %bb.28:                               ;   in Loop: Header=BB993_27 Depth=1
	s_add_nc_u64 s[6:7], s[6:7], -1
	v_add_nc_u64_e32 v[20:21], 1, v[20:21]
	s_cmp_eq_u64 s[6:7], 0
	v_add_nc_u64_e32 v[22:23], 1, v[22:23]
	s_cselect_b32 s27, -1, 0
	s_and_not1_b32 s24, s24, exec_lo
	s_and_b32 s27, s27, exec_lo
	s_and_not1_b32 s23, s23, exec_lo
	s_or_b32 s24, s24, s27
	s_branch .LBB993_26
.LBB993_29:
	s_or_b32 exec_lo, exec_lo, s21
	s_and_saveexec_b32 s0, s22
	s_delay_alu instid0(SALU_CYCLE_1)
	s_xor_b32 s0, exec_lo, s0
; %bb.30:
	v_dual_cndmask_b32 v21, v3, v5, s20 :: v_dual_cndmask_b32 v20, v2, v4, s20
	v_dual_cndmask_b32 v5, v5, v3, s20 :: v_dual_cndmask_b32 v4, v4, v2, s20
	s_delay_alu instid0(VALU_DEP_2)
	v_mov_b64_e32 v[2:3], v[20:21]
; %bb.31:
	s_or_b32 exec_lo, exec_lo, s0
.LBB993_32:
	s_delay_alu instid0(SALU_CYCLE_1)
	s_and_b32 vcc_lo, exec_lo, s5
	s_cbranch_vccz .LBB993_46
; %bb.33:
	s_delay_alu instid0(VALU_DEP_1) | instskip(SKIP_3) | instid1(VALU_DEP_2)
	v_mad_nc_u64_u32 v[20:21], v10, s12, s[14:15]
	v_mad_nc_u64_u32 v[22:23], v16, s12, s[14:15]
	s_mov_b32 s20, 0
	s_mov_b64 s[6:7], s[12:13]
                                        ; implicit-def: $sgpr5
                                        ; implicit-def: $sgpr21
                                        ; implicit-def: $sgpr23
                                        ; implicit-def: $sgpr22
                                        ; implicit-def: $sgpr24
	v_mad_u32 v21, v11, s12, v21
	s_delay_alu instid0(VALU_DEP_2) | instskip(NEXT) | instid1(VALU_DEP_2)
	v_mad_u32 v23, v17, s12, v23
	v_mad_u32 v21, v10, s13, v21
	s_delay_alu instid0(VALU_DEP_2)
	v_mad_u32 v23, v16, s13, v23
	s_branch .LBB993_35
.LBB993_34:                             ;   in Loop: Header=BB993_35 Depth=1
	s_or_b32 exec_lo, exec_lo, s25
	s_or_b32 s25, vcc_lo, s0
	s_and_b32 s0, vcc_lo, s0
	s_and_b32 s25, s25, s24
	s_delay_alu instid0(SALU_CYCLE_1) | instskip(SKIP_1) | instid1(SALU_CYCLE_1)
	s_or_b32 s0, s0, s25
	s_and_b32 s25, exec_lo, s23
	s_or_b32 s20, s25, s20
	s_and_not1_b32 s24, s24, exec_lo
	s_and_b32 s0, s0, exec_lo
	s_and_not1_b32 s21, s21, exec_lo
	s_and_b32 s25, s22, exec_lo
	s_and_not1_b32 s5, s5, exec_lo
	s_or_b32 s24, s24, s0
	s_or_b32 s21, s21, s25
	;; [unrolled: 1-line block ×3, first 2 shown]
	s_and_not1_b32 exec_lo, exec_lo, s20
	s_cbranch_execz .LBB993_37
.LBB993_35:                             ; =>This Inner Loop Header: Depth=1
	global_load_u8 v35, v[20:21], off
	global_load_u8 v36, v[22:23], off
	s_or_b32 s22, s22, exec_lo
	s_or_b32 s23, s23, exec_lo
	s_wait_loadcnt 0x1
	v_cmp_eq_u16_e32 vcc_lo, 0, v35
	s_wait_loadcnt 0x0
	v_cmp_ne_u16_e64 s0, 0, v36
	s_xor_b32 s26, vcc_lo, s0
	s_delay_alu instid0(SALU_CYCLE_1)
	s_and_saveexec_b32 s25, s26
	s_cbranch_execz .LBB993_34
; %bb.36:                               ;   in Loop: Header=BB993_35 Depth=1
	s_add_nc_u64 s[6:7], s[6:7], -1
	v_add_nc_u64_e32 v[20:21], 1, v[20:21]
	s_cmp_eq_u64 s[6:7], 0
	v_add_nc_u64_e32 v[22:23], 1, v[22:23]
	s_cselect_b32 s26, -1, 0
	s_and_not1_b32 s23, s23, exec_lo
	s_and_b32 s26, s26, exec_lo
	s_and_not1_b32 s22, s22, exec_lo
	s_or_b32 s23, s23, s26
	s_branch .LBB993_34
.LBB993_37:
	s_or_b32 exec_lo, exec_lo, s20
	s_and_saveexec_b32 s0, s21
	s_delay_alu instid0(SALU_CYCLE_1)
	s_xor_b32 s0, exec_lo, s0
; %bb.38:
	v_dual_cndmask_b32 v21, v17, v11, s5 :: v_dual_cndmask_b32 v20, v16, v10, s5
	v_dual_cndmask_b32 v11, v11, v17, s5 :: v_dual_cndmask_b32 v10, v10, v16, s5
	s_delay_alu instid0(VALU_DEP_2)
	v_mov_b64_e32 v[16:17], v[20:21]
; %bb.39:
	s_or_b32 exec_lo, exec_lo, s0
	v_mad_nc_u64_u32 v[20:21], v6, s12, s[14:15]
	v_mad_nc_u64_u32 v[22:23], v12, s12, s[14:15]
	s_mov_b32 s20, 0
	s_mov_b64 s[6:7], s[12:13]
                                        ; implicit-def: $sgpr5
                                        ; implicit-def: $sgpr21
                                        ; implicit-def: $sgpr23
                                        ; implicit-def: $sgpr22
                                        ; implicit-def: $sgpr24
	s_delay_alu instid0(VALU_DEP_2) | instskip(NEXT) | instid1(VALU_DEP_2)
	v_mad_u32 v21, v7, s12, v21
	v_mad_u32 v23, v13, s12, v23
	s_delay_alu instid0(VALU_DEP_2) | instskip(NEXT) | instid1(VALU_DEP_2)
	v_mad_u32 v21, v6, s13, v21
	v_mad_u32 v23, v12, s13, v23
	s_branch .LBB993_41
.LBB993_40:                             ;   in Loop: Header=BB993_41 Depth=1
	s_or_b32 exec_lo, exec_lo, s25
	s_or_b32 s25, vcc_lo, s0
	s_and_b32 s0, vcc_lo, s0
	s_and_b32 s25, s25, s24
	s_delay_alu instid0(SALU_CYCLE_1) | instskip(SKIP_1) | instid1(SALU_CYCLE_1)
	s_or_b32 s0, s0, s25
	s_and_b32 s25, exec_lo, s23
	s_or_b32 s20, s25, s20
	s_and_not1_b32 s24, s24, exec_lo
	s_and_b32 s0, s0, exec_lo
	s_and_not1_b32 s21, s21, exec_lo
	s_and_b32 s25, s22, exec_lo
	s_and_not1_b32 s5, s5, exec_lo
	s_or_b32 s24, s24, s0
	s_or_b32 s21, s21, s25
	;; [unrolled: 1-line block ×3, first 2 shown]
	s_and_not1_b32 exec_lo, exec_lo, s20
	s_cbranch_execz .LBB993_43
.LBB993_41:                             ; =>This Inner Loop Header: Depth=1
	global_load_u8 v35, v[20:21], off
	global_load_u8 v36, v[22:23], off
	s_or_b32 s22, s22, exec_lo
	s_or_b32 s23, s23, exec_lo
	s_wait_loadcnt 0x1
	v_cmp_eq_u16_e32 vcc_lo, 0, v35
	s_wait_loadcnt 0x0
	v_cmp_ne_u16_e64 s0, 0, v36
	s_xor_b32 s26, vcc_lo, s0
	s_delay_alu instid0(SALU_CYCLE_1)
	s_and_saveexec_b32 s25, s26
	s_cbranch_execz .LBB993_40
; %bb.42:                               ;   in Loop: Header=BB993_41 Depth=1
	s_add_nc_u64 s[6:7], s[6:7], -1
	v_add_nc_u64_e32 v[20:21], 1, v[20:21]
	s_cmp_eq_u64 s[6:7], 0
	v_add_nc_u64_e32 v[22:23], 1, v[22:23]
	s_cselect_b32 s26, -1, 0
	s_and_not1_b32 s23, s23, exec_lo
	s_and_b32 s26, s26, exec_lo
	s_and_not1_b32 s22, s22, exec_lo
	s_or_b32 s23, s23, s26
	s_branch .LBB993_40
.LBB993_43:
	s_or_b32 exec_lo, exec_lo, s20
	s_and_saveexec_b32 s0, s21
	s_delay_alu instid0(SALU_CYCLE_1)
	s_xor_b32 s0, exec_lo, s0
; %bb.44:
	v_dual_cndmask_b32 v21, v13, v7, s5 :: v_dual_cndmask_b32 v20, v12, v6, s5
	v_dual_cndmask_b32 v7, v7, v13, s5 :: v_dual_cndmask_b32 v6, v6, v12, s5
	s_delay_alu instid0(VALU_DEP_2)
	v_mov_b64_e32 v[12:13], v[20:21]
; %bb.45:
	s_or_b32 exec_lo, exec_lo, s0
.LBB993_46:
	v_cmp_ne_u32_e32 vcc_lo, 1, v33
	s_cbranch_vccnz .LBB993_60
; %bb.47:
	s_delay_alu instid0(VALU_DEP_2) | instskip(SKIP_3) | instid1(VALU_DEP_2)
	v_mad_nc_u64_u32 v[20:21], v2, s12, s[14:15]
	v_mad_nc_u64_u32 v[22:23], v8, s12, s[14:15]
	s_mov_b32 s20, 0
	s_mov_b64 s[6:7], s[12:13]
                                        ; implicit-def: $sgpr5
                                        ; implicit-def: $sgpr21
                                        ; implicit-def: $sgpr23
                                        ; implicit-def: $sgpr22
                                        ; implicit-def: $sgpr24
	v_mad_u32 v21, v3, s12, v21
	s_delay_alu instid0(VALU_DEP_2) | instskip(NEXT) | instid1(VALU_DEP_2)
	v_mad_u32 v23, v9, s12, v23
	v_mad_u32 v21, v2, s13, v21
	s_delay_alu instid0(VALU_DEP_2)
	v_mad_u32 v23, v8, s13, v23
	s_branch .LBB993_49
.LBB993_48:                             ;   in Loop: Header=BB993_49 Depth=1
	s_or_b32 exec_lo, exec_lo, s25
	s_or_b32 s25, vcc_lo, s0
	s_and_b32 s0, vcc_lo, s0
	s_and_b32 s25, s25, s24
	s_delay_alu instid0(SALU_CYCLE_1) | instskip(SKIP_1) | instid1(SALU_CYCLE_1)
	s_or_b32 s0, s0, s25
	s_and_b32 s25, exec_lo, s23
	s_or_b32 s20, s25, s20
	s_and_not1_b32 s24, s24, exec_lo
	s_and_b32 s0, s0, exec_lo
	s_and_not1_b32 s21, s21, exec_lo
	s_and_b32 s25, s22, exec_lo
	s_and_not1_b32 s5, s5, exec_lo
	s_or_b32 s24, s24, s0
	s_or_b32 s21, s21, s25
	;; [unrolled: 1-line block ×3, first 2 shown]
	s_and_not1_b32 exec_lo, exec_lo, s20
	s_cbranch_execz .LBB993_51
.LBB993_49:                             ; =>This Inner Loop Header: Depth=1
	global_load_u8 v35, v[20:21], off
	global_load_u8 v36, v[22:23], off
	s_or_b32 s22, s22, exec_lo
	s_or_b32 s23, s23, exec_lo
	s_wait_loadcnt 0x1
	v_cmp_eq_u16_e32 vcc_lo, 0, v35
	s_wait_loadcnt 0x0
	v_cmp_ne_u16_e64 s0, 0, v36
	s_xor_b32 s26, vcc_lo, s0
	s_delay_alu instid0(SALU_CYCLE_1)
	s_and_saveexec_b32 s25, s26
	s_cbranch_execz .LBB993_48
; %bb.50:                               ;   in Loop: Header=BB993_49 Depth=1
	s_add_nc_u64 s[6:7], s[6:7], -1
	v_add_nc_u64_e32 v[20:21], 1, v[20:21]
	s_cmp_eq_u64 s[6:7], 0
	v_add_nc_u64_e32 v[22:23], 1, v[22:23]
	s_cselect_b32 s26, -1, 0
	s_and_not1_b32 s23, s23, exec_lo
	s_and_b32 s26, s26, exec_lo
	s_and_not1_b32 s22, s22, exec_lo
	s_or_b32 s23, s23, s26
	s_branch .LBB993_48
.LBB993_51:
	s_or_b32 exec_lo, exec_lo, s20
	s_and_saveexec_b32 s0, s21
	s_delay_alu instid0(SALU_CYCLE_1)
	s_xor_b32 s0, exec_lo, s0
; %bb.52:
	v_dual_cndmask_b32 v21, v9, v3, s5 :: v_dual_cndmask_b32 v20, v8, v2, s5
	v_dual_cndmask_b32 v3, v3, v9, s5 :: v_dual_cndmask_b32 v2, v2, v8, s5
	s_delay_alu instid0(VALU_DEP_2)
	v_mov_b64_e32 v[8:9], v[20:21]
; %bb.53:
	s_or_b32 exec_lo, exec_lo, s0
	v_mad_nc_u64_u32 v[20:21], v16, s12, s[14:15]
	v_mad_nc_u64_u32 v[22:23], v14, s12, s[14:15]
	s_mov_b32 s20, 0
	s_mov_b64 s[6:7], s[12:13]
                                        ; implicit-def: $sgpr5
                                        ; implicit-def: $sgpr21
                                        ; implicit-def: $sgpr23
                                        ; implicit-def: $sgpr22
                                        ; implicit-def: $sgpr24
	s_delay_alu instid0(VALU_DEP_2) | instskip(NEXT) | instid1(VALU_DEP_2)
	v_mad_u32 v21, v17, s12, v21
	v_mad_u32 v23, v15, s12, v23
	s_delay_alu instid0(VALU_DEP_2) | instskip(NEXT) | instid1(VALU_DEP_2)
	v_mad_u32 v21, v16, s13, v21
	v_mad_u32 v23, v14, s13, v23
	s_branch .LBB993_55
.LBB993_54:                             ;   in Loop: Header=BB993_55 Depth=1
	s_or_b32 exec_lo, exec_lo, s25
	s_or_b32 s25, vcc_lo, s0
	s_and_b32 s0, vcc_lo, s0
	s_and_b32 s25, s25, s24
	s_delay_alu instid0(SALU_CYCLE_1) | instskip(SKIP_1) | instid1(SALU_CYCLE_1)
	s_or_b32 s0, s0, s25
	s_and_b32 s25, exec_lo, s23
	s_or_b32 s20, s25, s20
	s_and_not1_b32 s24, s24, exec_lo
	s_and_b32 s0, s0, exec_lo
	s_and_not1_b32 s21, s21, exec_lo
	s_and_b32 s25, s22, exec_lo
	s_and_not1_b32 s5, s5, exec_lo
	s_or_b32 s24, s24, s0
	s_or_b32 s21, s21, s25
	;; [unrolled: 1-line block ×3, first 2 shown]
	s_and_not1_b32 exec_lo, exec_lo, s20
	s_cbranch_execz .LBB993_57
.LBB993_55:                             ; =>This Inner Loop Header: Depth=1
	global_load_u8 v35, v[20:21], off
	global_load_u8 v36, v[22:23], off
	s_or_b32 s22, s22, exec_lo
	s_or_b32 s23, s23, exec_lo
	s_wait_loadcnt 0x1
	v_cmp_eq_u16_e32 vcc_lo, 0, v35
	s_wait_loadcnt 0x0
	v_cmp_ne_u16_e64 s0, 0, v36
	s_xor_b32 s26, vcc_lo, s0
	s_delay_alu instid0(SALU_CYCLE_1)
	s_and_saveexec_b32 s25, s26
	s_cbranch_execz .LBB993_54
; %bb.56:                               ;   in Loop: Header=BB993_55 Depth=1
	s_add_nc_u64 s[6:7], s[6:7], -1
	v_add_nc_u64_e32 v[20:21], 1, v[20:21]
	s_cmp_eq_u64 s[6:7], 0
	v_add_nc_u64_e32 v[22:23], 1, v[22:23]
	s_cselect_b32 s26, -1, 0
	s_and_not1_b32 s23, s23, exec_lo
	s_and_b32 s26, s26, exec_lo
	s_and_not1_b32 s22, s22, exec_lo
	s_or_b32 s23, s23, s26
	s_branch .LBB993_54
.LBB993_57:
	s_or_b32 exec_lo, exec_lo, s20
	s_and_saveexec_b32 s0, s21
	s_delay_alu instid0(SALU_CYCLE_1)
	s_xor_b32 s0, exec_lo, s0
; %bb.58:
	v_dual_cndmask_b32 v21, v17, v15, s5 :: v_dual_cndmask_b32 v20, v16, v14, s5
	v_dual_cndmask_b32 v15, v15, v17, s5 :: v_dual_cndmask_b32 v14, v14, v16, s5
	s_delay_alu instid0(VALU_DEP_2)
	v_mov_b64_e32 v[16:17], v[20:21]
; %bb.59:
	s_or_b32 exec_lo, exec_lo, s0
.LBB993_60:
	v_cmp_ne_u32_e32 vcc_lo, 1, v33
	s_cbranch_vccnz .LBB993_74
; %bb.61:
	s_delay_alu instid0(VALU_DEP_3) | instskip(SKIP_3) | instid1(VALU_DEP_2)
	v_mad_nc_u64_u32 v[20:21], v12, s12, s[14:15]
	v_mad_nc_u64_u32 v[22:23], v10, s12, s[14:15]
	s_mov_b32 s20, 0
	s_mov_b64 s[6:7], s[12:13]
                                        ; implicit-def: $sgpr5
                                        ; implicit-def: $sgpr21
                                        ; implicit-def: $sgpr23
                                        ; implicit-def: $sgpr22
                                        ; implicit-def: $sgpr24
	v_mad_u32 v21, v13, s12, v21
	s_delay_alu instid0(VALU_DEP_2) | instskip(NEXT) | instid1(VALU_DEP_2)
	v_mad_u32 v23, v11, s12, v23
	v_mad_u32 v21, v12, s13, v21
	s_delay_alu instid0(VALU_DEP_2)
	v_mad_u32 v23, v10, s13, v23
	s_branch .LBB993_63
.LBB993_62:                             ;   in Loop: Header=BB993_63 Depth=1
	s_or_b32 exec_lo, exec_lo, s25
	s_or_b32 s25, vcc_lo, s0
	s_and_b32 s0, vcc_lo, s0
	s_and_b32 s25, s25, s24
	s_delay_alu instid0(SALU_CYCLE_1) | instskip(SKIP_1) | instid1(SALU_CYCLE_1)
	s_or_b32 s0, s0, s25
	s_and_b32 s25, exec_lo, s23
	s_or_b32 s20, s25, s20
	s_and_not1_b32 s24, s24, exec_lo
	s_and_b32 s0, s0, exec_lo
	s_and_not1_b32 s21, s21, exec_lo
	s_and_b32 s25, s22, exec_lo
	s_and_not1_b32 s5, s5, exec_lo
	s_or_b32 s24, s24, s0
	s_or_b32 s21, s21, s25
	;; [unrolled: 1-line block ×3, first 2 shown]
	s_and_not1_b32 exec_lo, exec_lo, s20
	s_cbranch_execz .LBB993_65
.LBB993_63:                             ; =>This Inner Loop Header: Depth=1
	global_load_u8 v35, v[20:21], off
	global_load_u8 v36, v[22:23], off
	s_or_b32 s22, s22, exec_lo
	s_or_b32 s23, s23, exec_lo
	s_wait_loadcnt 0x1
	v_cmp_eq_u16_e32 vcc_lo, 0, v35
	s_wait_loadcnt 0x0
	v_cmp_ne_u16_e64 s0, 0, v36
	s_xor_b32 s26, vcc_lo, s0
	s_delay_alu instid0(SALU_CYCLE_1)
	s_and_saveexec_b32 s25, s26
	s_cbranch_execz .LBB993_62
; %bb.64:                               ;   in Loop: Header=BB993_63 Depth=1
	s_add_nc_u64 s[6:7], s[6:7], -1
	v_add_nc_u64_e32 v[20:21], 1, v[20:21]
	s_cmp_eq_u64 s[6:7], 0
	v_add_nc_u64_e32 v[22:23], 1, v[22:23]
	s_cselect_b32 s26, -1, 0
	s_and_not1_b32 s23, s23, exec_lo
	s_and_b32 s26, s26, exec_lo
	s_and_not1_b32 s22, s22, exec_lo
	s_or_b32 s23, s23, s26
	s_branch .LBB993_62
.LBB993_65:
	s_or_b32 exec_lo, exec_lo, s20
	s_and_saveexec_b32 s0, s21
	s_delay_alu instid0(SALU_CYCLE_1)
	s_xor_b32 s0, exec_lo, s0
; %bb.66:
	v_dual_cndmask_b32 v21, v11, v13, s5 :: v_dual_cndmask_b32 v20, v10, v12, s5
	v_dual_cndmask_b32 v13, v13, v11, s5 :: v_dual_cndmask_b32 v12, v12, v10, s5
	s_delay_alu instid0(VALU_DEP_2)
	v_mov_b64_e32 v[10:11], v[20:21]
; %bb.67:
	s_or_b32 exec_lo, exec_lo, s0
	v_mad_nc_u64_u32 v[20:21], v8, s12, s[14:15]
	v_mad_nc_u64_u32 v[22:23], v6, s12, s[14:15]
	s_mov_b32 s20, 0
	s_mov_b64 s[6:7], s[12:13]
                                        ; implicit-def: $sgpr5
                                        ; implicit-def: $sgpr21
                                        ; implicit-def: $sgpr23
                                        ; implicit-def: $sgpr22
                                        ; implicit-def: $sgpr24
	s_delay_alu instid0(VALU_DEP_2) | instskip(NEXT) | instid1(VALU_DEP_2)
	v_mad_u32 v21, v9, s12, v21
	v_mad_u32 v23, v7, s12, v23
	s_delay_alu instid0(VALU_DEP_2) | instskip(NEXT) | instid1(VALU_DEP_2)
	v_mad_u32 v21, v8, s13, v21
	v_mad_u32 v23, v6, s13, v23
	s_branch .LBB993_69
.LBB993_68:                             ;   in Loop: Header=BB993_69 Depth=1
	s_or_b32 exec_lo, exec_lo, s25
	s_or_b32 s25, vcc_lo, s0
	s_and_b32 s0, vcc_lo, s0
	s_and_b32 s25, s25, s24
	s_delay_alu instid0(SALU_CYCLE_1) | instskip(SKIP_1) | instid1(SALU_CYCLE_1)
	s_or_b32 s0, s0, s25
	s_and_b32 s25, exec_lo, s23
	s_or_b32 s20, s25, s20
	s_and_not1_b32 s24, s24, exec_lo
	s_and_b32 s0, s0, exec_lo
	s_and_not1_b32 s21, s21, exec_lo
	s_and_b32 s25, s22, exec_lo
	s_and_not1_b32 s5, s5, exec_lo
	s_or_b32 s24, s24, s0
	s_or_b32 s21, s21, s25
	;; [unrolled: 1-line block ×3, first 2 shown]
	s_and_not1_b32 exec_lo, exec_lo, s20
	s_cbranch_execz .LBB993_71
.LBB993_69:                             ; =>This Inner Loop Header: Depth=1
	global_load_u8 v35, v[20:21], off
	global_load_u8 v36, v[22:23], off
	s_or_b32 s22, s22, exec_lo
	s_or_b32 s23, s23, exec_lo
	s_wait_loadcnt 0x1
	v_cmp_eq_u16_e32 vcc_lo, 0, v35
	s_wait_loadcnt 0x0
	v_cmp_ne_u16_e64 s0, 0, v36
	s_xor_b32 s26, vcc_lo, s0
	s_delay_alu instid0(SALU_CYCLE_1)
	s_and_saveexec_b32 s25, s26
	s_cbranch_execz .LBB993_68
; %bb.70:                               ;   in Loop: Header=BB993_69 Depth=1
	s_add_nc_u64 s[6:7], s[6:7], -1
	v_add_nc_u64_e32 v[20:21], 1, v[20:21]
	s_cmp_eq_u64 s[6:7], 0
	v_add_nc_u64_e32 v[22:23], 1, v[22:23]
	s_cselect_b32 s26, -1, 0
	s_and_not1_b32 s23, s23, exec_lo
	s_and_b32 s26, s26, exec_lo
	s_and_not1_b32 s22, s22, exec_lo
	s_or_b32 s23, s23, s26
	s_branch .LBB993_68
.LBB993_71:
	s_or_b32 exec_lo, exec_lo, s20
	s_and_saveexec_b32 s0, s21
	s_delay_alu instid0(SALU_CYCLE_1)
	s_xor_b32 s0, exec_lo, s0
; %bb.72:
	v_dual_cndmask_b32 v21, v7, v9, s5 :: v_dual_cndmask_b32 v20, v6, v8, s5
	v_dual_cndmask_b32 v9, v9, v7, s5 :: v_dual_cndmask_b32 v8, v8, v6, s5
	s_delay_alu instid0(VALU_DEP_2)
	v_mov_b64_e32 v[6:7], v[20:21]
; %bb.73:
	s_or_b32 exec_lo, exec_lo, s0
.LBB993_74:
	v_cmp_ne_u32_e32 vcc_lo, 1, v33
	s_cbranch_vccnz .LBB993_88
; %bb.75:
	v_mad_nc_u64_u32 v[20:21], v4, s12, s[14:15]
	v_mad_nc_u64_u32 v[22:23], v2, s12, s[14:15]
	s_mov_b32 s20, 0
	s_mov_b64 s[6:7], s[12:13]
                                        ; implicit-def: $sgpr5
                                        ; implicit-def: $sgpr21
                                        ; implicit-def: $sgpr23
                                        ; implicit-def: $sgpr22
                                        ; implicit-def: $sgpr24
	s_delay_alu instid0(VALU_DEP_2) | instskip(NEXT) | instid1(VALU_DEP_2)
	v_mad_u32 v21, v5, s12, v21
	v_mad_u32 v23, v3, s12, v23
	s_delay_alu instid0(VALU_DEP_2) | instskip(NEXT) | instid1(VALU_DEP_2)
	v_mad_u32 v21, v4, s13, v21
	v_mad_u32 v23, v2, s13, v23
	s_branch .LBB993_77
.LBB993_76:                             ;   in Loop: Header=BB993_77 Depth=1
	s_or_b32 exec_lo, exec_lo, s25
	s_or_b32 s25, vcc_lo, s0
	s_and_b32 s0, vcc_lo, s0
	s_and_b32 s25, s25, s24
	s_delay_alu instid0(SALU_CYCLE_1) | instskip(SKIP_1) | instid1(SALU_CYCLE_1)
	s_or_b32 s0, s0, s25
	s_and_b32 s25, exec_lo, s23
	s_or_b32 s20, s25, s20
	s_and_not1_b32 s24, s24, exec_lo
	s_and_b32 s0, s0, exec_lo
	s_and_not1_b32 s21, s21, exec_lo
	s_and_b32 s25, s22, exec_lo
	s_and_not1_b32 s5, s5, exec_lo
	s_or_b32 s24, s24, s0
	s_or_b32 s21, s21, s25
	;; [unrolled: 1-line block ×3, first 2 shown]
	s_and_not1_b32 exec_lo, exec_lo, s20
	s_cbranch_execz .LBB993_79
.LBB993_77:                             ; =>This Inner Loop Header: Depth=1
	global_load_u8 v35, v[20:21], off
	global_load_u8 v36, v[22:23], off
	s_or_b32 s22, s22, exec_lo
	s_or_b32 s23, s23, exec_lo
	s_wait_loadcnt 0x1
	v_cmp_eq_u16_e32 vcc_lo, 0, v35
	s_wait_loadcnt 0x0
	v_cmp_ne_u16_e64 s0, 0, v36
	s_xor_b32 s26, vcc_lo, s0
	s_delay_alu instid0(SALU_CYCLE_1)
	s_and_saveexec_b32 s25, s26
	s_cbranch_execz .LBB993_76
; %bb.78:                               ;   in Loop: Header=BB993_77 Depth=1
	s_add_nc_u64 s[6:7], s[6:7], -1
	v_add_nc_u64_e32 v[20:21], 1, v[20:21]
	s_cmp_eq_u64 s[6:7], 0
	v_add_nc_u64_e32 v[22:23], 1, v[22:23]
	s_cselect_b32 s26, -1, 0
	s_and_not1_b32 s23, s23, exec_lo
	s_and_b32 s26, s26, exec_lo
	s_and_not1_b32 s22, s22, exec_lo
	s_or_b32 s23, s23, s26
	s_branch .LBB993_76
.LBB993_79:
	s_or_b32 exec_lo, exec_lo, s20
	s_and_saveexec_b32 s0, s21
	s_delay_alu instid0(SALU_CYCLE_1)
	s_xor_b32 s0, exec_lo, s0
; %bb.80:
	v_dual_cndmask_b32 v21, v3, v5, s5 :: v_dual_cndmask_b32 v20, v2, v4, s5
	v_dual_cndmask_b32 v5, v5, v3, s5 :: v_dual_cndmask_b32 v4, v4, v2, s5
	s_delay_alu instid0(VALU_DEP_2)
	v_mov_b64_e32 v[2:3], v[20:21]
; %bb.81:
	s_or_b32 exec_lo, exec_lo, s0
	v_mad_nc_u64_u32 v[20:21], v10, s12, s[14:15]
	v_mad_nc_u64_u32 v[22:23], v16, s12, s[14:15]
	s_mov_b32 s20, 0
	s_mov_b64 s[6:7], s[12:13]
                                        ; implicit-def: $sgpr5
                                        ; implicit-def: $sgpr21
                                        ; implicit-def: $sgpr23
                                        ; implicit-def: $sgpr22
                                        ; implicit-def: $sgpr24
	s_delay_alu instid0(VALU_DEP_2) | instskip(NEXT) | instid1(VALU_DEP_2)
	v_mad_u32 v21, v11, s12, v21
	v_mad_u32 v23, v17, s12, v23
	s_delay_alu instid0(VALU_DEP_2) | instskip(NEXT) | instid1(VALU_DEP_2)
	v_mad_u32 v21, v10, s13, v21
	v_mad_u32 v23, v16, s13, v23
	s_branch .LBB993_83
.LBB993_82:                             ;   in Loop: Header=BB993_83 Depth=1
	s_or_b32 exec_lo, exec_lo, s25
	s_or_b32 s25, vcc_lo, s0
	s_and_b32 s0, vcc_lo, s0
	s_and_b32 s25, s25, s24
	s_delay_alu instid0(SALU_CYCLE_1) | instskip(SKIP_1) | instid1(SALU_CYCLE_1)
	s_or_b32 s0, s0, s25
	s_and_b32 s25, exec_lo, s23
	s_or_b32 s20, s25, s20
	s_and_not1_b32 s24, s24, exec_lo
	s_and_b32 s0, s0, exec_lo
	s_and_not1_b32 s21, s21, exec_lo
	s_and_b32 s25, s22, exec_lo
	s_and_not1_b32 s5, s5, exec_lo
	s_or_b32 s24, s24, s0
	s_or_b32 s21, s21, s25
	;; [unrolled: 1-line block ×3, first 2 shown]
	s_and_not1_b32 exec_lo, exec_lo, s20
	s_cbranch_execz .LBB993_85
.LBB993_83:                             ; =>This Inner Loop Header: Depth=1
	global_load_u8 v35, v[20:21], off
	global_load_u8 v36, v[22:23], off
	s_or_b32 s22, s22, exec_lo
	s_or_b32 s23, s23, exec_lo
	s_wait_loadcnt 0x1
	v_cmp_eq_u16_e32 vcc_lo, 0, v35
	s_wait_loadcnt 0x0
	v_cmp_ne_u16_e64 s0, 0, v36
	s_xor_b32 s26, vcc_lo, s0
	s_delay_alu instid0(SALU_CYCLE_1)
	s_and_saveexec_b32 s25, s26
	s_cbranch_execz .LBB993_82
; %bb.84:                               ;   in Loop: Header=BB993_83 Depth=1
	s_add_nc_u64 s[6:7], s[6:7], -1
	v_add_nc_u64_e32 v[20:21], 1, v[20:21]
	s_cmp_eq_u64 s[6:7], 0
	v_add_nc_u64_e32 v[22:23], 1, v[22:23]
	s_cselect_b32 s26, -1, 0
	s_and_not1_b32 s23, s23, exec_lo
	s_and_b32 s26, s26, exec_lo
	s_and_not1_b32 s22, s22, exec_lo
	s_or_b32 s23, s23, s26
	s_branch .LBB993_82
.LBB993_85:
	s_or_b32 exec_lo, exec_lo, s20
	s_and_saveexec_b32 s0, s21
	s_delay_alu instid0(SALU_CYCLE_1)
	s_xor_b32 s0, exec_lo, s0
; %bb.86:
	v_dual_cndmask_b32 v21, v17, v11, s5 :: v_dual_cndmask_b32 v20, v16, v10, s5
	v_dual_cndmask_b32 v11, v11, v17, s5 :: v_dual_cndmask_b32 v10, v10, v16, s5
	s_delay_alu instid0(VALU_DEP_2)
	v_mov_b64_e32 v[16:17], v[20:21]
; %bb.87:
	s_or_b32 exec_lo, exec_lo, s0
.LBB993_88:
	v_cmp_ne_u32_e32 vcc_lo, 1, v33
	s_cbranch_vccnz .LBB993_102
; %bb.89:
	s_delay_alu instid0(VALU_DEP_3) | instskip(SKIP_3) | instid1(VALU_DEP_2)
	v_mad_nc_u64_u32 v[20:21], v6, s12, s[14:15]
	v_mad_nc_u64_u32 v[22:23], v12, s12, s[14:15]
	s_mov_b32 s20, 0
	s_mov_b64 s[6:7], s[12:13]
                                        ; implicit-def: $sgpr5
                                        ; implicit-def: $sgpr21
                                        ; implicit-def: $sgpr23
                                        ; implicit-def: $sgpr22
                                        ; implicit-def: $sgpr24
	v_mad_u32 v21, v7, s12, v21
	s_delay_alu instid0(VALU_DEP_2) | instskip(NEXT) | instid1(VALU_DEP_2)
	v_mad_u32 v23, v13, s12, v23
	v_mad_u32 v21, v6, s13, v21
	s_delay_alu instid0(VALU_DEP_2)
	v_mad_u32 v23, v12, s13, v23
	s_branch .LBB993_91
.LBB993_90:                             ;   in Loop: Header=BB993_91 Depth=1
	s_or_b32 exec_lo, exec_lo, s25
	s_or_b32 s25, vcc_lo, s0
	s_and_b32 s0, vcc_lo, s0
	s_and_b32 s25, s25, s24
	s_delay_alu instid0(SALU_CYCLE_1) | instskip(SKIP_1) | instid1(SALU_CYCLE_1)
	s_or_b32 s0, s0, s25
	s_and_b32 s25, exec_lo, s23
	s_or_b32 s20, s25, s20
	s_and_not1_b32 s24, s24, exec_lo
	s_and_b32 s0, s0, exec_lo
	s_and_not1_b32 s21, s21, exec_lo
	s_and_b32 s25, s22, exec_lo
	s_and_not1_b32 s5, s5, exec_lo
	s_or_b32 s24, s24, s0
	s_or_b32 s21, s21, s25
	;; [unrolled: 1-line block ×3, first 2 shown]
	s_and_not1_b32 exec_lo, exec_lo, s20
	s_cbranch_execz .LBB993_93
.LBB993_91:                             ; =>This Inner Loop Header: Depth=1
	global_load_u8 v35, v[20:21], off
	global_load_u8 v36, v[22:23], off
	s_or_b32 s22, s22, exec_lo
	s_or_b32 s23, s23, exec_lo
	s_wait_loadcnt 0x1
	v_cmp_eq_u16_e32 vcc_lo, 0, v35
	s_wait_loadcnt 0x0
	v_cmp_ne_u16_e64 s0, 0, v36
	s_xor_b32 s26, vcc_lo, s0
	s_delay_alu instid0(SALU_CYCLE_1)
	s_and_saveexec_b32 s25, s26
	s_cbranch_execz .LBB993_90
; %bb.92:                               ;   in Loop: Header=BB993_91 Depth=1
	s_add_nc_u64 s[6:7], s[6:7], -1
	v_add_nc_u64_e32 v[20:21], 1, v[20:21]
	s_cmp_eq_u64 s[6:7], 0
	v_add_nc_u64_e32 v[22:23], 1, v[22:23]
	s_cselect_b32 s26, -1, 0
	s_and_not1_b32 s23, s23, exec_lo
	s_and_b32 s26, s26, exec_lo
	s_and_not1_b32 s22, s22, exec_lo
	s_or_b32 s23, s23, s26
	s_branch .LBB993_90
.LBB993_93:
	s_or_b32 exec_lo, exec_lo, s20
	s_and_saveexec_b32 s0, s21
	s_delay_alu instid0(SALU_CYCLE_1)
	s_xor_b32 s0, exec_lo, s0
; %bb.94:
	v_dual_cndmask_b32 v21, v13, v7, s5 :: v_dual_cndmask_b32 v20, v12, v6, s5
	v_dual_cndmask_b32 v7, v7, v13, s5 :: v_dual_cndmask_b32 v6, v6, v12, s5
	s_delay_alu instid0(VALU_DEP_2)
	v_mov_b64_e32 v[12:13], v[20:21]
; %bb.95:
	s_or_b32 exec_lo, exec_lo, s0
	v_mad_nc_u64_u32 v[20:21], v2, s12, s[14:15]
	v_mad_nc_u64_u32 v[22:23], v8, s12, s[14:15]
	s_mov_b32 s20, 0
	s_mov_b64 s[6:7], s[12:13]
                                        ; implicit-def: $sgpr5
                                        ; implicit-def: $sgpr21
                                        ; implicit-def: $sgpr23
                                        ; implicit-def: $sgpr22
                                        ; implicit-def: $sgpr24
	s_delay_alu instid0(VALU_DEP_2) | instskip(NEXT) | instid1(VALU_DEP_2)
	v_mad_u32 v21, v3, s12, v21
	v_mad_u32 v23, v9, s12, v23
	s_delay_alu instid0(VALU_DEP_2) | instskip(NEXT) | instid1(VALU_DEP_2)
	v_mad_u32 v21, v2, s13, v21
	v_mad_u32 v23, v8, s13, v23
	s_branch .LBB993_97
.LBB993_96:                             ;   in Loop: Header=BB993_97 Depth=1
	s_or_b32 exec_lo, exec_lo, s25
	s_or_b32 s25, vcc_lo, s0
	s_and_b32 s0, vcc_lo, s0
	s_and_b32 s25, s25, s24
	s_delay_alu instid0(SALU_CYCLE_1) | instskip(SKIP_1) | instid1(SALU_CYCLE_1)
	s_or_b32 s0, s0, s25
	s_and_b32 s25, exec_lo, s23
	s_or_b32 s20, s25, s20
	s_and_not1_b32 s24, s24, exec_lo
	s_and_b32 s0, s0, exec_lo
	s_and_not1_b32 s21, s21, exec_lo
	s_and_b32 s25, s22, exec_lo
	s_and_not1_b32 s5, s5, exec_lo
	s_or_b32 s24, s24, s0
	s_or_b32 s21, s21, s25
	;; [unrolled: 1-line block ×3, first 2 shown]
	s_and_not1_b32 exec_lo, exec_lo, s20
	s_cbranch_execz .LBB993_99
.LBB993_97:                             ; =>This Inner Loop Header: Depth=1
	global_load_u8 v35, v[20:21], off
	global_load_u8 v36, v[22:23], off
	s_or_b32 s22, s22, exec_lo
	s_or_b32 s23, s23, exec_lo
	s_wait_loadcnt 0x1
	v_cmp_eq_u16_e32 vcc_lo, 0, v35
	s_wait_loadcnt 0x0
	v_cmp_ne_u16_e64 s0, 0, v36
	s_xor_b32 s26, vcc_lo, s0
	s_delay_alu instid0(SALU_CYCLE_1)
	s_and_saveexec_b32 s25, s26
	s_cbranch_execz .LBB993_96
; %bb.98:                               ;   in Loop: Header=BB993_97 Depth=1
	s_add_nc_u64 s[6:7], s[6:7], -1
	v_add_nc_u64_e32 v[20:21], 1, v[20:21]
	s_cmp_eq_u64 s[6:7], 0
	v_add_nc_u64_e32 v[22:23], 1, v[22:23]
	s_cselect_b32 s26, -1, 0
	s_and_not1_b32 s23, s23, exec_lo
	s_and_b32 s26, s26, exec_lo
	s_and_not1_b32 s22, s22, exec_lo
	s_or_b32 s23, s23, s26
	s_branch .LBB993_96
.LBB993_99:
	s_or_b32 exec_lo, exec_lo, s20
	s_and_saveexec_b32 s0, s21
	s_delay_alu instid0(SALU_CYCLE_1)
	s_xor_b32 s0, exec_lo, s0
; %bb.100:
	v_dual_cndmask_b32 v21, v9, v3, s5 :: v_dual_cndmask_b32 v20, v8, v2, s5
	v_dual_cndmask_b32 v3, v3, v9, s5 :: v_dual_cndmask_b32 v2, v2, v8, s5
	s_delay_alu instid0(VALU_DEP_2)
	v_mov_b64_e32 v[8:9], v[20:21]
; %bb.101:
	s_or_b32 exec_lo, exec_lo, s0
.LBB993_102:
	v_cmp_ne_u32_e32 vcc_lo, 1, v33
	s_cbranch_vccnz .LBB993_116
; %bb.103:
	s_delay_alu instid0(VALU_DEP_3) | instskip(SKIP_3) | instid1(VALU_DEP_2)
	v_mad_nc_u64_u32 v[20:21], v16, s12, s[14:15]
	v_mad_nc_u64_u32 v[22:23], v14, s12, s[14:15]
	s_mov_b32 s20, 0
	s_mov_b64 s[6:7], s[12:13]
                                        ; implicit-def: $sgpr5
                                        ; implicit-def: $sgpr21
                                        ; implicit-def: $sgpr23
                                        ; implicit-def: $sgpr22
                                        ; implicit-def: $sgpr24
	v_mad_u32 v21, v17, s12, v21
	s_delay_alu instid0(VALU_DEP_2) | instskip(NEXT) | instid1(VALU_DEP_2)
	v_mad_u32 v23, v15, s12, v23
	v_mad_u32 v21, v16, s13, v21
	s_delay_alu instid0(VALU_DEP_2)
	v_mad_u32 v23, v14, s13, v23
	s_branch .LBB993_105
.LBB993_104:                            ;   in Loop: Header=BB993_105 Depth=1
	s_or_b32 exec_lo, exec_lo, s25
	s_or_b32 s25, vcc_lo, s0
	s_and_b32 s0, vcc_lo, s0
	s_and_b32 s25, s25, s24
	s_delay_alu instid0(SALU_CYCLE_1) | instskip(SKIP_1) | instid1(SALU_CYCLE_1)
	s_or_b32 s0, s0, s25
	s_and_b32 s25, exec_lo, s23
	s_or_b32 s20, s25, s20
	s_and_not1_b32 s24, s24, exec_lo
	s_and_b32 s0, s0, exec_lo
	s_and_not1_b32 s21, s21, exec_lo
	s_and_b32 s25, s22, exec_lo
	s_and_not1_b32 s5, s5, exec_lo
	s_or_b32 s24, s24, s0
	s_or_b32 s21, s21, s25
	;; [unrolled: 1-line block ×3, first 2 shown]
	s_and_not1_b32 exec_lo, exec_lo, s20
	s_cbranch_execz .LBB993_107
.LBB993_105:                            ; =>This Inner Loop Header: Depth=1
	global_load_u8 v35, v[20:21], off
	global_load_u8 v36, v[22:23], off
	s_or_b32 s22, s22, exec_lo
	s_or_b32 s23, s23, exec_lo
	s_wait_loadcnt 0x1
	v_cmp_eq_u16_e32 vcc_lo, 0, v35
	s_wait_loadcnt 0x0
	v_cmp_ne_u16_e64 s0, 0, v36
	s_xor_b32 s26, vcc_lo, s0
	s_delay_alu instid0(SALU_CYCLE_1)
	s_and_saveexec_b32 s25, s26
	s_cbranch_execz .LBB993_104
; %bb.106:                              ;   in Loop: Header=BB993_105 Depth=1
	s_add_nc_u64 s[6:7], s[6:7], -1
	v_add_nc_u64_e32 v[20:21], 1, v[20:21]
	s_cmp_eq_u64 s[6:7], 0
	v_add_nc_u64_e32 v[22:23], 1, v[22:23]
	s_cselect_b32 s26, -1, 0
	s_and_not1_b32 s23, s23, exec_lo
	s_and_b32 s26, s26, exec_lo
	s_and_not1_b32 s22, s22, exec_lo
	s_or_b32 s23, s23, s26
	s_branch .LBB993_104
.LBB993_107:
	s_or_b32 exec_lo, exec_lo, s20
	s_and_saveexec_b32 s0, s21
	s_delay_alu instid0(SALU_CYCLE_1)
	s_xor_b32 s0, exec_lo, s0
; %bb.108:
	v_dual_cndmask_b32 v21, v17, v15, s5 :: v_dual_cndmask_b32 v20, v16, v14, s5
	v_dual_cndmask_b32 v15, v15, v17, s5 :: v_dual_cndmask_b32 v14, v14, v16, s5
	s_delay_alu instid0(VALU_DEP_2)
	v_mov_b64_e32 v[16:17], v[20:21]
; %bb.109:
	s_or_b32 exec_lo, exec_lo, s0
	v_mad_nc_u64_u32 v[20:21], v12, s12, s[14:15]
	v_mad_nc_u64_u32 v[22:23], v10, s12, s[14:15]
	s_mov_b32 s20, 0
	s_mov_b64 s[6:7], s[12:13]
                                        ; implicit-def: $sgpr5
                                        ; implicit-def: $sgpr21
                                        ; implicit-def: $sgpr23
                                        ; implicit-def: $sgpr22
                                        ; implicit-def: $sgpr24
	s_delay_alu instid0(VALU_DEP_2) | instskip(NEXT) | instid1(VALU_DEP_2)
	v_mad_u32 v21, v13, s12, v21
	v_mad_u32 v23, v11, s12, v23
	s_delay_alu instid0(VALU_DEP_2) | instskip(NEXT) | instid1(VALU_DEP_2)
	v_mad_u32 v21, v12, s13, v21
	v_mad_u32 v23, v10, s13, v23
	s_branch .LBB993_111
.LBB993_110:                            ;   in Loop: Header=BB993_111 Depth=1
	s_or_b32 exec_lo, exec_lo, s25
	s_or_b32 s25, vcc_lo, s0
	s_and_b32 s0, vcc_lo, s0
	s_and_b32 s25, s25, s24
	s_delay_alu instid0(SALU_CYCLE_1) | instskip(SKIP_1) | instid1(SALU_CYCLE_1)
	s_or_b32 s0, s0, s25
	s_and_b32 s25, exec_lo, s23
	s_or_b32 s20, s25, s20
	s_and_not1_b32 s24, s24, exec_lo
	s_and_b32 s0, s0, exec_lo
	s_and_not1_b32 s21, s21, exec_lo
	s_and_b32 s25, s22, exec_lo
	s_and_not1_b32 s5, s5, exec_lo
	s_or_b32 s24, s24, s0
	s_or_b32 s21, s21, s25
	s_or_b32 s5, s5, s0
	s_and_not1_b32 exec_lo, exec_lo, s20
	s_cbranch_execz .LBB993_113
.LBB993_111:                            ; =>This Inner Loop Header: Depth=1
	global_load_u8 v35, v[20:21], off
	global_load_u8 v36, v[22:23], off
	s_or_b32 s22, s22, exec_lo
	s_or_b32 s23, s23, exec_lo
	s_wait_loadcnt 0x1
	v_cmp_eq_u16_e32 vcc_lo, 0, v35
	s_wait_loadcnt 0x0
	v_cmp_ne_u16_e64 s0, 0, v36
	s_xor_b32 s26, vcc_lo, s0
	s_delay_alu instid0(SALU_CYCLE_1)
	s_and_saveexec_b32 s25, s26
	s_cbranch_execz .LBB993_110
; %bb.112:                              ;   in Loop: Header=BB993_111 Depth=1
	s_add_nc_u64 s[6:7], s[6:7], -1
	v_add_nc_u64_e32 v[20:21], 1, v[20:21]
	s_cmp_eq_u64 s[6:7], 0
	v_add_nc_u64_e32 v[22:23], 1, v[22:23]
	s_cselect_b32 s26, -1, 0
	s_and_not1_b32 s23, s23, exec_lo
	s_and_b32 s26, s26, exec_lo
	s_and_not1_b32 s22, s22, exec_lo
	s_or_b32 s23, s23, s26
	s_branch .LBB993_110
.LBB993_113:
	s_or_b32 exec_lo, exec_lo, s20
	s_and_saveexec_b32 s0, s21
	s_delay_alu instid0(SALU_CYCLE_1)
	s_xor_b32 s0, exec_lo, s0
; %bb.114:
	v_dual_cndmask_b32 v21, v11, v13, s5 :: v_dual_cndmask_b32 v20, v10, v12, s5
	v_dual_cndmask_b32 v13, v13, v11, s5 :: v_dual_cndmask_b32 v12, v12, v10, s5
	s_delay_alu instid0(VALU_DEP_2)
	v_mov_b64_e32 v[10:11], v[20:21]
; %bb.115:
	s_or_b32 exec_lo, exec_lo, s0
.LBB993_116:
	v_cmp_ne_u32_e32 vcc_lo, 1, v33
	s_cbranch_vccnz .LBB993_190
; %bb.117:
	s_delay_alu instid0(VALU_DEP_3) | instskip(SKIP_3) | instid1(VALU_DEP_2)
	v_mad_nc_u64_u32 v[20:21], v8, s12, s[14:15]
	v_mad_nc_u64_u32 v[22:23], v6, s12, s[14:15]
	s_mov_b32 s20, 0
	s_mov_b64 s[6:7], s[12:13]
                                        ; implicit-def: $sgpr5
                                        ; implicit-def: $sgpr21
                                        ; implicit-def: $sgpr23
                                        ; implicit-def: $sgpr22
                                        ; implicit-def: $sgpr24
	v_mad_u32 v21, v9, s12, v21
	s_delay_alu instid0(VALU_DEP_2) | instskip(NEXT) | instid1(VALU_DEP_2)
	v_mad_u32 v23, v7, s12, v23
	v_mad_u32 v21, v8, s13, v21
	s_delay_alu instid0(VALU_DEP_2)
	v_mad_u32 v23, v6, s13, v23
	s_branch .LBB993_119
.LBB993_118:                            ;   in Loop: Header=BB993_119 Depth=1
	s_or_b32 exec_lo, exec_lo, s25
	s_or_b32 s25, vcc_lo, s0
	s_and_b32 s0, vcc_lo, s0
	s_and_b32 s25, s25, s24
	s_delay_alu instid0(SALU_CYCLE_1) | instskip(SKIP_1) | instid1(SALU_CYCLE_1)
	s_or_b32 s0, s0, s25
	s_and_b32 s25, exec_lo, s23
	s_or_b32 s20, s25, s20
	s_and_not1_b32 s24, s24, exec_lo
	s_and_b32 s0, s0, exec_lo
	s_and_not1_b32 s21, s21, exec_lo
	s_and_b32 s25, s22, exec_lo
	s_and_not1_b32 s5, s5, exec_lo
	s_or_b32 s24, s24, s0
	s_or_b32 s21, s21, s25
	;; [unrolled: 1-line block ×3, first 2 shown]
	s_and_not1_b32 exec_lo, exec_lo, s20
	s_cbranch_execz .LBB993_121
.LBB993_119:                            ; =>This Inner Loop Header: Depth=1
	global_load_u8 v35, v[20:21], off
	global_load_u8 v36, v[22:23], off
	s_or_b32 s22, s22, exec_lo
	s_or_b32 s23, s23, exec_lo
	s_wait_loadcnt 0x1
	v_cmp_eq_u16_e32 vcc_lo, 0, v35
	s_wait_loadcnt 0x0
	v_cmp_ne_u16_e64 s0, 0, v36
	s_xor_b32 s26, vcc_lo, s0
	s_delay_alu instid0(SALU_CYCLE_1)
	s_and_saveexec_b32 s25, s26
	s_cbranch_execz .LBB993_118
; %bb.120:                              ;   in Loop: Header=BB993_119 Depth=1
	s_add_nc_u64 s[6:7], s[6:7], -1
	v_add_nc_u64_e32 v[20:21], 1, v[20:21]
	s_cmp_eq_u64 s[6:7], 0
	v_add_nc_u64_e32 v[22:23], 1, v[22:23]
	s_cselect_b32 s26, -1, 0
	s_and_not1_b32 s23, s23, exec_lo
	s_and_b32 s26, s26, exec_lo
	s_and_not1_b32 s22, s22, exec_lo
	s_or_b32 s23, s23, s26
	s_branch .LBB993_118
.LBB993_121:
	s_or_b32 exec_lo, exec_lo, s20
	s_and_saveexec_b32 s0, s21
	s_delay_alu instid0(SALU_CYCLE_1)
	s_xor_b32 s0, exec_lo, s0
; %bb.122:
	v_dual_cndmask_b32 v21, v7, v9, s5 :: v_dual_cndmask_b32 v20, v6, v8, s5
	v_dual_cndmask_b32 v9, v9, v7, s5 :: v_dual_cndmask_b32 v8, v8, v6, s5
	s_delay_alu instid0(VALU_DEP_2)
	v_mov_b64_e32 v[6:7], v[20:21]
; %bb.123:
	s_or_b32 exec_lo, exec_lo, s0
	v_mad_nc_u64_u32 v[20:21], v4, s12, s[14:15]
	v_mad_nc_u64_u32 v[22:23], v2, s12, s[14:15]
	s_mov_b32 s20, 0
	s_mov_b64 s[6:7], s[12:13]
                                        ; implicit-def: $sgpr5
                                        ; implicit-def: $sgpr21
                                        ; implicit-def: $sgpr23
                                        ; implicit-def: $sgpr22
                                        ; implicit-def: $sgpr24
	s_delay_alu instid0(VALU_DEP_2) | instskip(NEXT) | instid1(VALU_DEP_2)
	v_mad_u32 v21, v5, s12, v21
	v_mad_u32 v23, v3, s12, v23
	s_delay_alu instid0(VALU_DEP_2) | instskip(NEXT) | instid1(VALU_DEP_2)
	v_mad_u32 v21, v4, s13, v21
	v_mad_u32 v23, v2, s13, v23
	s_branch .LBB993_125
.LBB993_124:                            ;   in Loop: Header=BB993_125 Depth=1
	s_or_b32 exec_lo, exec_lo, s25
	s_or_b32 s25, vcc_lo, s0
	s_and_b32 s0, vcc_lo, s0
	s_and_b32 s25, s25, s24
	s_delay_alu instid0(SALU_CYCLE_1) | instskip(SKIP_1) | instid1(SALU_CYCLE_1)
	s_or_b32 s0, s0, s25
	s_and_b32 s25, exec_lo, s23
	s_or_b32 s20, s25, s20
	s_and_not1_b32 s24, s24, exec_lo
	s_and_b32 s0, s0, exec_lo
	s_and_not1_b32 s21, s21, exec_lo
	s_and_b32 s25, s22, exec_lo
	s_and_not1_b32 s5, s5, exec_lo
	s_or_b32 s24, s24, s0
	s_or_b32 s21, s21, s25
	;; [unrolled: 1-line block ×3, first 2 shown]
	s_and_not1_b32 exec_lo, exec_lo, s20
	s_cbranch_execz .LBB993_127
.LBB993_125:                            ; =>This Inner Loop Header: Depth=1
	global_load_u8 v35, v[20:21], off
	global_load_u8 v36, v[22:23], off
	s_or_b32 s22, s22, exec_lo
	s_or_b32 s23, s23, exec_lo
	s_wait_loadcnt 0x1
	v_cmp_eq_u16_e32 vcc_lo, 0, v35
	s_wait_loadcnt 0x0
	v_cmp_ne_u16_e64 s0, 0, v36
	s_xor_b32 s26, vcc_lo, s0
	s_delay_alu instid0(SALU_CYCLE_1)
	s_and_saveexec_b32 s25, s26
	s_cbranch_execz .LBB993_124
; %bb.126:                              ;   in Loop: Header=BB993_125 Depth=1
	s_add_nc_u64 s[6:7], s[6:7], -1
	v_add_nc_u64_e32 v[20:21], 1, v[20:21]
	s_cmp_eq_u64 s[6:7], 0
	v_add_nc_u64_e32 v[22:23], 1, v[22:23]
	s_cselect_b32 s26, -1, 0
	s_and_not1_b32 s23, s23, exec_lo
	s_and_b32 s26, s26, exec_lo
	s_and_not1_b32 s22, s22, exec_lo
	s_or_b32 s23, s23, s26
	s_branch .LBB993_124
.LBB993_127:
	s_or_b32 exec_lo, exec_lo, s20
	s_and_saveexec_b32 s0, s21
	s_delay_alu instid0(SALU_CYCLE_1)
	s_xor_b32 s0, exec_lo, s0
; %bb.128:
	v_dual_cndmask_b32 v21, v3, v5, s5 :: v_dual_cndmask_b32 v20, v2, v4, s5
	v_dual_cndmask_b32 v5, v5, v3, s5 :: v_dual_cndmask_b32 v4, v4, v2, s5
	s_delay_alu instid0(VALU_DEP_2)
	v_mov_b64_e32 v[2:3], v[20:21]
; %bb.129:
	s_or_b32 exec_lo, exec_lo, s0
	v_mad_nc_u64_u32 v[20:21], v10, s12, s[14:15]
	v_mad_nc_u64_u32 v[22:23], v16, s12, s[14:15]
	s_mov_b32 s20, 0
	s_mov_b64 s[6:7], s[12:13]
                                        ; implicit-def: $sgpr5
                                        ; implicit-def: $sgpr21
                                        ; implicit-def: $sgpr23
                                        ; implicit-def: $sgpr22
                                        ; implicit-def: $sgpr24
	s_delay_alu instid0(VALU_DEP_2) | instskip(NEXT) | instid1(VALU_DEP_2)
	v_mad_u32 v21, v11, s12, v21
	v_mad_u32 v23, v17, s12, v23
	s_delay_alu instid0(VALU_DEP_2) | instskip(NEXT) | instid1(VALU_DEP_2)
	v_mad_u32 v21, v10, s13, v21
	v_mad_u32 v23, v16, s13, v23
	s_branch .LBB993_131
.LBB993_130:                            ;   in Loop: Header=BB993_131 Depth=1
	s_or_b32 exec_lo, exec_lo, s25
	s_or_b32 s25, vcc_lo, s0
	s_and_b32 s0, vcc_lo, s0
	s_and_b32 s25, s25, s24
	s_delay_alu instid0(SALU_CYCLE_1) | instskip(SKIP_1) | instid1(SALU_CYCLE_1)
	s_or_b32 s0, s0, s25
	s_and_b32 s25, exec_lo, s23
	s_or_b32 s20, s25, s20
	s_and_not1_b32 s24, s24, exec_lo
	s_and_b32 s0, s0, exec_lo
	s_and_not1_b32 s21, s21, exec_lo
	s_and_b32 s25, s22, exec_lo
	s_and_not1_b32 s5, s5, exec_lo
	s_or_b32 s24, s24, s0
	s_or_b32 s21, s21, s25
	;; [unrolled: 1-line block ×3, first 2 shown]
	s_and_not1_b32 exec_lo, exec_lo, s20
	s_cbranch_execz .LBB993_133
.LBB993_131:                            ; =>This Inner Loop Header: Depth=1
	global_load_u8 v35, v[20:21], off
	global_load_u8 v36, v[22:23], off
	s_or_b32 s22, s22, exec_lo
	s_or_b32 s23, s23, exec_lo
	s_wait_loadcnt 0x1
	v_cmp_eq_u16_e32 vcc_lo, 0, v35
	s_wait_loadcnt 0x0
	v_cmp_ne_u16_e64 s0, 0, v36
	s_xor_b32 s26, vcc_lo, s0
	s_delay_alu instid0(SALU_CYCLE_1)
	s_and_saveexec_b32 s25, s26
	s_cbranch_execz .LBB993_130
; %bb.132:                              ;   in Loop: Header=BB993_131 Depth=1
	s_add_nc_u64 s[6:7], s[6:7], -1
	v_add_nc_u64_e32 v[20:21], 1, v[20:21]
	s_cmp_eq_u64 s[6:7], 0
	v_add_nc_u64_e32 v[22:23], 1, v[22:23]
	s_cselect_b32 s26, -1, 0
	s_and_not1_b32 s23, s23, exec_lo
	s_and_b32 s26, s26, exec_lo
	s_and_not1_b32 s22, s22, exec_lo
	s_or_b32 s23, s23, s26
	s_branch .LBB993_130
.LBB993_133:
	s_or_b32 exec_lo, exec_lo, s20
	s_and_saveexec_b32 s0, s21
	s_delay_alu instid0(SALU_CYCLE_1)
	s_xor_b32 s0, exec_lo, s0
; %bb.134:
	v_dual_cndmask_b32 v21, v17, v11, s5 :: v_dual_cndmask_b32 v20, v16, v10, s5
	v_dual_cndmask_b32 v11, v11, v17, s5 :: v_dual_cndmask_b32 v10, v10, v16, s5
	s_delay_alu instid0(VALU_DEP_2)
	v_mov_b64_e32 v[16:17], v[20:21]
; %bb.135:
	s_or_b32 exec_lo, exec_lo, s0
	v_mad_nc_u64_u32 v[20:21], v6, s12, s[14:15]
	v_mad_nc_u64_u32 v[22:23], v12, s12, s[14:15]
	s_mov_b32 s20, 0
	s_mov_b64 s[6:7], s[12:13]
                                        ; implicit-def: $sgpr5
                                        ; implicit-def: $sgpr21
                                        ; implicit-def: $sgpr23
                                        ; implicit-def: $sgpr22
                                        ; implicit-def: $sgpr24
	s_delay_alu instid0(VALU_DEP_2) | instskip(NEXT) | instid1(VALU_DEP_2)
	v_mad_u32 v21, v7, s12, v21
	v_mad_u32 v23, v13, s12, v23
	s_delay_alu instid0(VALU_DEP_2) | instskip(NEXT) | instid1(VALU_DEP_2)
	v_mad_u32 v21, v6, s13, v21
	v_mad_u32 v23, v12, s13, v23
	s_branch .LBB993_137
.LBB993_136:                            ;   in Loop: Header=BB993_137 Depth=1
	s_or_b32 exec_lo, exec_lo, s25
	s_or_b32 s25, vcc_lo, s0
	s_and_b32 s0, vcc_lo, s0
	s_and_b32 s25, s25, s24
	s_delay_alu instid0(SALU_CYCLE_1) | instskip(SKIP_1) | instid1(SALU_CYCLE_1)
	s_or_b32 s0, s0, s25
	s_and_b32 s25, exec_lo, s23
	s_or_b32 s20, s25, s20
	s_and_not1_b32 s24, s24, exec_lo
	s_and_b32 s0, s0, exec_lo
	s_and_not1_b32 s21, s21, exec_lo
	s_and_b32 s25, s22, exec_lo
	s_and_not1_b32 s5, s5, exec_lo
	s_or_b32 s24, s24, s0
	s_or_b32 s21, s21, s25
	s_or_b32 s5, s5, s0
	s_and_not1_b32 exec_lo, exec_lo, s20
	s_cbranch_execz .LBB993_139
.LBB993_137:                            ; =>This Inner Loop Header: Depth=1
	global_load_u8 v35, v[20:21], off
	global_load_u8 v36, v[22:23], off
	s_or_b32 s22, s22, exec_lo
	s_or_b32 s23, s23, exec_lo
	s_wait_loadcnt 0x1
	v_cmp_eq_u16_e32 vcc_lo, 0, v35
	s_wait_loadcnt 0x0
	v_cmp_ne_u16_e64 s0, 0, v36
	s_xor_b32 s26, vcc_lo, s0
	s_delay_alu instid0(SALU_CYCLE_1)
	s_and_saveexec_b32 s25, s26
	s_cbranch_execz .LBB993_136
; %bb.138:                              ;   in Loop: Header=BB993_137 Depth=1
	s_add_nc_u64 s[6:7], s[6:7], -1
	v_add_nc_u64_e32 v[20:21], 1, v[20:21]
	s_cmp_eq_u64 s[6:7], 0
	v_add_nc_u64_e32 v[22:23], 1, v[22:23]
	s_cselect_b32 s26, -1, 0
	s_and_not1_b32 s23, s23, exec_lo
	s_and_b32 s26, s26, exec_lo
	s_and_not1_b32 s22, s22, exec_lo
	s_or_b32 s23, s23, s26
	s_branch .LBB993_136
.LBB993_139:
	s_or_b32 exec_lo, exec_lo, s20
	s_and_saveexec_b32 s0, s21
	s_delay_alu instid0(SALU_CYCLE_1)
	s_xor_b32 s0, exec_lo, s0
; %bb.140:
	v_dual_cndmask_b32 v21, v13, v7, s5 :: v_dual_cndmask_b32 v20, v12, v6, s5
	v_dual_cndmask_b32 v7, v7, v13, s5 :: v_dual_cndmask_b32 v6, v6, v12, s5
	s_delay_alu instid0(VALU_DEP_2)
	v_mov_b64_e32 v[12:13], v[20:21]
; %bb.141:
	s_or_b32 exec_lo, exec_lo, s0
	v_mad_nc_u64_u32 v[20:21], v2, s12, s[14:15]
	v_mad_nc_u64_u32 v[22:23], v8, s12, s[14:15]
	s_mov_b32 s20, 0
	s_mov_b64 s[6:7], s[12:13]
                                        ; implicit-def: $sgpr5
                                        ; implicit-def: $sgpr21
                                        ; implicit-def: $sgpr23
                                        ; implicit-def: $sgpr22
                                        ; implicit-def: $sgpr24
	s_delay_alu instid0(VALU_DEP_2) | instskip(NEXT) | instid1(VALU_DEP_2)
	v_mad_u32 v21, v3, s12, v21
	v_mad_u32 v23, v9, s12, v23
	s_delay_alu instid0(VALU_DEP_2) | instskip(NEXT) | instid1(VALU_DEP_2)
	v_mad_u32 v21, v2, s13, v21
	v_mad_u32 v23, v8, s13, v23
	s_branch .LBB993_143
.LBB993_142:                            ;   in Loop: Header=BB993_143 Depth=1
	s_or_b32 exec_lo, exec_lo, s25
	s_or_b32 s25, vcc_lo, s0
	s_and_b32 s0, vcc_lo, s0
	s_and_b32 s25, s25, s24
	s_delay_alu instid0(SALU_CYCLE_1) | instskip(SKIP_1) | instid1(SALU_CYCLE_1)
	s_or_b32 s0, s0, s25
	s_and_b32 s25, exec_lo, s23
	s_or_b32 s20, s25, s20
	s_and_not1_b32 s24, s24, exec_lo
	s_and_b32 s0, s0, exec_lo
	s_and_not1_b32 s21, s21, exec_lo
	s_and_b32 s25, s22, exec_lo
	s_and_not1_b32 s5, s5, exec_lo
	s_or_b32 s24, s24, s0
	s_or_b32 s21, s21, s25
	;; [unrolled: 1-line block ×3, first 2 shown]
	s_and_not1_b32 exec_lo, exec_lo, s20
	s_cbranch_execz .LBB993_145
.LBB993_143:                            ; =>This Inner Loop Header: Depth=1
	global_load_u8 v35, v[20:21], off
	global_load_u8 v36, v[22:23], off
	s_or_b32 s22, s22, exec_lo
	s_or_b32 s23, s23, exec_lo
	s_wait_loadcnt 0x1
	v_cmp_eq_u16_e32 vcc_lo, 0, v35
	s_wait_loadcnt 0x0
	v_cmp_ne_u16_e64 s0, 0, v36
	s_xor_b32 s26, vcc_lo, s0
	s_delay_alu instid0(SALU_CYCLE_1)
	s_and_saveexec_b32 s25, s26
	s_cbranch_execz .LBB993_142
; %bb.144:                              ;   in Loop: Header=BB993_143 Depth=1
	s_add_nc_u64 s[6:7], s[6:7], -1
	v_add_nc_u64_e32 v[20:21], 1, v[20:21]
	s_cmp_eq_u64 s[6:7], 0
	v_add_nc_u64_e32 v[22:23], 1, v[22:23]
	s_cselect_b32 s26, -1, 0
	s_and_not1_b32 s23, s23, exec_lo
	s_and_b32 s26, s26, exec_lo
	s_and_not1_b32 s22, s22, exec_lo
	s_or_b32 s23, s23, s26
	s_branch .LBB993_142
.LBB993_145:
	s_or_b32 exec_lo, exec_lo, s20
	s_and_saveexec_b32 s0, s21
	s_delay_alu instid0(SALU_CYCLE_1)
	s_xor_b32 s0, exec_lo, s0
; %bb.146:
	v_dual_cndmask_b32 v21, v9, v3, s5 :: v_dual_cndmask_b32 v20, v8, v2, s5
	v_dual_cndmask_b32 v3, v3, v9, s5 :: v_dual_cndmask_b32 v2, v2, v8, s5
	s_delay_alu instid0(VALU_DEP_2)
	v_mov_b64_e32 v[8:9], v[20:21]
; %bb.147:
	s_or_b32 exec_lo, exec_lo, s0
	v_mad_nc_u64_u32 v[20:21], v16, s12, s[14:15]
	v_mad_nc_u64_u32 v[22:23], v14, s12, s[14:15]
	s_mov_b32 s20, 0
	s_mov_b64 s[6:7], s[12:13]
                                        ; implicit-def: $sgpr5
                                        ; implicit-def: $sgpr21
                                        ; implicit-def: $sgpr23
                                        ; implicit-def: $sgpr22
                                        ; implicit-def: $sgpr24
	s_delay_alu instid0(VALU_DEP_2) | instskip(NEXT) | instid1(VALU_DEP_2)
	v_mad_u32 v21, v17, s12, v21
	v_mad_u32 v23, v15, s12, v23
	s_delay_alu instid0(VALU_DEP_2) | instskip(NEXT) | instid1(VALU_DEP_2)
	v_mad_u32 v21, v16, s13, v21
	v_mad_u32 v23, v14, s13, v23
	s_branch .LBB993_149
.LBB993_148:                            ;   in Loop: Header=BB993_149 Depth=1
	s_or_b32 exec_lo, exec_lo, s25
	s_or_b32 s25, vcc_lo, s0
	s_and_b32 s0, vcc_lo, s0
	s_and_b32 s25, s25, s24
	s_delay_alu instid0(SALU_CYCLE_1) | instskip(SKIP_1) | instid1(SALU_CYCLE_1)
	s_or_b32 s0, s0, s25
	s_and_b32 s25, exec_lo, s23
	s_or_b32 s20, s25, s20
	s_and_not1_b32 s24, s24, exec_lo
	s_and_b32 s0, s0, exec_lo
	s_and_not1_b32 s21, s21, exec_lo
	s_and_b32 s25, s22, exec_lo
	s_and_not1_b32 s5, s5, exec_lo
	s_or_b32 s24, s24, s0
	s_or_b32 s21, s21, s25
	;; [unrolled: 1-line block ×3, first 2 shown]
	s_and_not1_b32 exec_lo, exec_lo, s20
	s_cbranch_execz .LBB993_151
.LBB993_149:                            ; =>This Inner Loop Header: Depth=1
	global_load_u8 v35, v[20:21], off
	global_load_u8 v36, v[22:23], off
	s_or_b32 s22, s22, exec_lo
	s_or_b32 s23, s23, exec_lo
	s_wait_loadcnt 0x1
	v_cmp_eq_u16_e32 vcc_lo, 0, v35
	s_wait_loadcnt 0x0
	v_cmp_ne_u16_e64 s0, 0, v36
	s_xor_b32 s26, vcc_lo, s0
	s_delay_alu instid0(SALU_CYCLE_1)
	s_and_saveexec_b32 s25, s26
	s_cbranch_execz .LBB993_148
; %bb.150:                              ;   in Loop: Header=BB993_149 Depth=1
	s_add_nc_u64 s[6:7], s[6:7], -1
	v_add_nc_u64_e32 v[20:21], 1, v[20:21]
	s_cmp_eq_u64 s[6:7], 0
	v_add_nc_u64_e32 v[22:23], 1, v[22:23]
	s_cselect_b32 s26, -1, 0
	s_and_not1_b32 s23, s23, exec_lo
	s_and_b32 s26, s26, exec_lo
	s_and_not1_b32 s22, s22, exec_lo
	s_or_b32 s23, s23, s26
	s_branch .LBB993_148
.LBB993_151:
	s_or_b32 exec_lo, exec_lo, s20
	s_and_saveexec_b32 s0, s21
	s_delay_alu instid0(SALU_CYCLE_1)
	s_xor_b32 s0, exec_lo, s0
; %bb.152:
	v_dual_cndmask_b32 v21, v17, v15, s5 :: v_dual_cndmask_b32 v20, v16, v14, s5
	v_dual_cndmask_b32 v15, v15, v17, s5 :: v_dual_cndmask_b32 v14, v14, v16, s5
	s_delay_alu instid0(VALU_DEP_2)
	v_mov_b64_e32 v[16:17], v[20:21]
; %bb.153:
	s_or_b32 exec_lo, exec_lo, s0
	v_mad_nc_u64_u32 v[20:21], v12, s12, s[14:15]
	v_mad_nc_u64_u32 v[22:23], v10, s12, s[14:15]
	s_mov_b32 s20, 0
	s_mov_b64 s[6:7], s[12:13]
                                        ; implicit-def: $sgpr5
                                        ; implicit-def: $sgpr21
                                        ; implicit-def: $sgpr23
                                        ; implicit-def: $sgpr22
                                        ; implicit-def: $sgpr24
	s_delay_alu instid0(VALU_DEP_2) | instskip(NEXT) | instid1(VALU_DEP_2)
	v_mad_u32 v21, v13, s12, v21
	v_mad_u32 v23, v11, s12, v23
	s_delay_alu instid0(VALU_DEP_2) | instskip(NEXT) | instid1(VALU_DEP_2)
	v_mad_u32 v21, v12, s13, v21
	v_mad_u32 v23, v10, s13, v23
	s_branch .LBB993_155
.LBB993_154:                            ;   in Loop: Header=BB993_155 Depth=1
	s_or_b32 exec_lo, exec_lo, s25
	s_or_b32 s25, vcc_lo, s0
	s_and_b32 s0, vcc_lo, s0
	s_and_b32 s25, s25, s24
	s_delay_alu instid0(SALU_CYCLE_1) | instskip(SKIP_1) | instid1(SALU_CYCLE_1)
	s_or_b32 s0, s0, s25
	s_and_b32 s25, exec_lo, s23
	s_or_b32 s20, s25, s20
	s_and_not1_b32 s24, s24, exec_lo
	s_and_b32 s0, s0, exec_lo
	s_and_not1_b32 s21, s21, exec_lo
	s_and_b32 s25, s22, exec_lo
	s_and_not1_b32 s5, s5, exec_lo
	s_or_b32 s24, s24, s0
	s_or_b32 s21, s21, s25
	;; [unrolled: 1-line block ×3, first 2 shown]
	s_and_not1_b32 exec_lo, exec_lo, s20
	s_cbranch_execz .LBB993_157
.LBB993_155:                            ; =>This Inner Loop Header: Depth=1
	global_load_u8 v35, v[20:21], off
	global_load_u8 v36, v[22:23], off
	s_or_b32 s22, s22, exec_lo
	s_or_b32 s23, s23, exec_lo
	s_wait_loadcnt 0x1
	v_cmp_eq_u16_e32 vcc_lo, 0, v35
	s_wait_loadcnt 0x0
	v_cmp_ne_u16_e64 s0, 0, v36
	s_xor_b32 s26, vcc_lo, s0
	s_delay_alu instid0(SALU_CYCLE_1)
	s_and_saveexec_b32 s25, s26
	s_cbranch_execz .LBB993_154
; %bb.156:                              ;   in Loop: Header=BB993_155 Depth=1
	s_add_nc_u64 s[6:7], s[6:7], -1
	v_add_nc_u64_e32 v[20:21], 1, v[20:21]
	s_cmp_eq_u64 s[6:7], 0
	v_add_nc_u64_e32 v[22:23], 1, v[22:23]
	s_cselect_b32 s26, -1, 0
	s_and_not1_b32 s23, s23, exec_lo
	s_and_b32 s26, s26, exec_lo
	s_and_not1_b32 s22, s22, exec_lo
	s_or_b32 s23, s23, s26
	s_branch .LBB993_154
.LBB993_157:
	s_or_b32 exec_lo, exec_lo, s20
	s_and_saveexec_b32 s0, s21
	s_delay_alu instid0(SALU_CYCLE_1)
	s_xor_b32 s0, exec_lo, s0
; %bb.158:
	v_dual_cndmask_b32 v21, v11, v13, s5 :: v_dual_cndmask_b32 v20, v10, v12, s5
	v_dual_cndmask_b32 v13, v13, v11, s5 :: v_dual_cndmask_b32 v12, v12, v10, s5
	s_delay_alu instid0(VALU_DEP_2)
	v_mov_b64_e32 v[10:11], v[20:21]
; %bb.159:
	s_or_b32 exec_lo, exec_lo, s0
	v_mad_nc_u64_u32 v[20:21], v8, s12, s[14:15]
	v_mad_nc_u64_u32 v[22:23], v6, s12, s[14:15]
	s_mov_b32 s20, 0
	s_mov_b64 s[6:7], s[12:13]
                                        ; implicit-def: $sgpr5
                                        ; implicit-def: $sgpr21
                                        ; implicit-def: $sgpr23
                                        ; implicit-def: $sgpr22
                                        ; implicit-def: $sgpr24
	s_delay_alu instid0(VALU_DEP_2) | instskip(NEXT) | instid1(VALU_DEP_2)
	v_mad_u32 v21, v9, s12, v21
	v_mad_u32 v23, v7, s12, v23
	s_delay_alu instid0(VALU_DEP_2) | instskip(NEXT) | instid1(VALU_DEP_2)
	v_mad_u32 v21, v8, s13, v21
	v_mad_u32 v23, v6, s13, v23
	s_branch .LBB993_161
.LBB993_160:                            ;   in Loop: Header=BB993_161 Depth=1
	s_or_b32 exec_lo, exec_lo, s25
	s_or_b32 s25, vcc_lo, s0
	s_and_b32 s0, vcc_lo, s0
	s_and_b32 s25, s25, s24
	s_delay_alu instid0(SALU_CYCLE_1) | instskip(SKIP_1) | instid1(SALU_CYCLE_1)
	s_or_b32 s0, s0, s25
	s_and_b32 s25, exec_lo, s23
	s_or_b32 s20, s25, s20
	s_and_not1_b32 s24, s24, exec_lo
	s_and_b32 s0, s0, exec_lo
	s_and_not1_b32 s21, s21, exec_lo
	s_and_b32 s25, s22, exec_lo
	s_and_not1_b32 s5, s5, exec_lo
	s_or_b32 s24, s24, s0
	s_or_b32 s21, s21, s25
	;; [unrolled: 1-line block ×3, first 2 shown]
	s_and_not1_b32 exec_lo, exec_lo, s20
	s_cbranch_execz .LBB993_163
.LBB993_161:                            ; =>This Inner Loop Header: Depth=1
	global_load_u8 v35, v[20:21], off
	global_load_u8 v36, v[22:23], off
	s_or_b32 s22, s22, exec_lo
	s_or_b32 s23, s23, exec_lo
	s_wait_loadcnt 0x1
	v_cmp_eq_u16_e32 vcc_lo, 0, v35
	s_wait_loadcnt 0x0
	v_cmp_ne_u16_e64 s0, 0, v36
	s_xor_b32 s26, vcc_lo, s0
	s_delay_alu instid0(SALU_CYCLE_1)
	s_and_saveexec_b32 s25, s26
	s_cbranch_execz .LBB993_160
; %bb.162:                              ;   in Loop: Header=BB993_161 Depth=1
	s_add_nc_u64 s[6:7], s[6:7], -1
	v_add_nc_u64_e32 v[20:21], 1, v[20:21]
	s_cmp_eq_u64 s[6:7], 0
	v_add_nc_u64_e32 v[22:23], 1, v[22:23]
	s_cselect_b32 s26, -1, 0
	s_and_not1_b32 s23, s23, exec_lo
	s_and_b32 s26, s26, exec_lo
	s_and_not1_b32 s22, s22, exec_lo
	s_or_b32 s23, s23, s26
	s_branch .LBB993_160
.LBB993_163:
	s_or_b32 exec_lo, exec_lo, s20
	s_and_saveexec_b32 s0, s21
	s_delay_alu instid0(SALU_CYCLE_1)
	s_xor_b32 s0, exec_lo, s0
; %bb.164:
	v_dual_cndmask_b32 v21, v7, v9, s5 :: v_dual_cndmask_b32 v20, v6, v8, s5
	v_dual_cndmask_b32 v9, v9, v7, s5 :: v_dual_cndmask_b32 v8, v8, v6, s5
	s_delay_alu instid0(VALU_DEP_2)
	v_mov_b64_e32 v[6:7], v[20:21]
; %bb.165:
	s_or_b32 exec_lo, exec_lo, s0
	v_mad_nc_u64_u32 v[20:21], v4, s12, s[14:15]
	v_mad_nc_u64_u32 v[22:23], v2, s12, s[14:15]
	s_mov_b32 s20, 0
	s_mov_b64 s[6:7], s[12:13]
                                        ; implicit-def: $sgpr5
                                        ; implicit-def: $sgpr21
                                        ; implicit-def: $sgpr23
                                        ; implicit-def: $sgpr22
                                        ; implicit-def: $sgpr24
	s_delay_alu instid0(VALU_DEP_2) | instskip(NEXT) | instid1(VALU_DEP_2)
	v_mad_u32 v21, v5, s12, v21
	v_mad_u32 v23, v3, s12, v23
	s_delay_alu instid0(VALU_DEP_2) | instskip(NEXT) | instid1(VALU_DEP_2)
	v_mad_u32 v21, v4, s13, v21
	v_mad_u32 v23, v2, s13, v23
	s_branch .LBB993_167
.LBB993_166:                            ;   in Loop: Header=BB993_167 Depth=1
	s_or_b32 exec_lo, exec_lo, s25
	s_or_b32 s25, vcc_lo, s0
	s_and_b32 s0, vcc_lo, s0
	s_and_b32 s25, s25, s24
	s_delay_alu instid0(SALU_CYCLE_1) | instskip(SKIP_1) | instid1(SALU_CYCLE_1)
	s_or_b32 s0, s0, s25
	s_and_b32 s25, exec_lo, s23
	s_or_b32 s20, s25, s20
	s_and_not1_b32 s24, s24, exec_lo
	s_and_b32 s0, s0, exec_lo
	s_and_not1_b32 s21, s21, exec_lo
	s_and_b32 s25, s22, exec_lo
	s_and_not1_b32 s5, s5, exec_lo
	s_or_b32 s24, s24, s0
	s_or_b32 s21, s21, s25
	;; [unrolled: 1-line block ×3, first 2 shown]
	s_and_not1_b32 exec_lo, exec_lo, s20
	s_cbranch_execz .LBB993_169
.LBB993_167:                            ; =>This Inner Loop Header: Depth=1
	global_load_u8 v35, v[20:21], off
	global_load_u8 v36, v[22:23], off
	s_or_b32 s22, s22, exec_lo
	s_or_b32 s23, s23, exec_lo
	s_wait_loadcnt 0x1
	v_cmp_eq_u16_e32 vcc_lo, 0, v35
	s_wait_loadcnt 0x0
	v_cmp_ne_u16_e64 s0, 0, v36
	s_xor_b32 s26, vcc_lo, s0
	s_delay_alu instid0(SALU_CYCLE_1)
	s_and_saveexec_b32 s25, s26
	s_cbranch_execz .LBB993_166
; %bb.168:                              ;   in Loop: Header=BB993_167 Depth=1
	s_add_nc_u64 s[6:7], s[6:7], -1
	v_add_nc_u64_e32 v[20:21], 1, v[20:21]
	s_cmp_eq_u64 s[6:7], 0
	v_add_nc_u64_e32 v[22:23], 1, v[22:23]
	s_cselect_b32 s26, -1, 0
	s_and_not1_b32 s23, s23, exec_lo
	s_and_b32 s26, s26, exec_lo
	s_and_not1_b32 s22, s22, exec_lo
	s_or_b32 s23, s23, s26
	s_branch .LBB993_166
.LBB993_169:
	s_or_b32 exec_lo, exec_lo, s20
	s_and_saveexec_b32 s0, s21
	s_delay_alu instid0(SALU_CYCLE_1)
	s_xor_b32 s0, exec_lo, s0
; %bb.170:
	v_dual_cndmask_b32 v21, v3, v5, s5 :: v_dual_cndmask_b32 v20, v2, v4, s5
	v_dual_cndmask_b32 v5, v5, v3, s5 :: v_dual_cndmask_b32 v4, v4, v2, s5
	s_delay_alu instid0(VALU_DEP_2)
	v_mov_b64_e32 v[2:3], v[20:21]
; %bb.171:
	s_or_b32 exec_lo, exec_lo, s0
	v_mad_nc_u64_u32 v[20:21], v10, s12, s[14:15]
	v_mad_nc_u64_u32 v[22:23], v16, s12, s[14:15]
	s_mov_b32 s20, 0
	s_mov_b64 s[6:7], s[12:13]
                                        ; implicit-def: $sgpr5
                                        ; implicit-def: $sgpr21
                                        ; implicit-def: $sgpr23
                                        ; implicit-def: $sgpr22
                                        ; implicit-def: $sgpr24
	s_delay_alu instid0(VALU_DEP_2) | instskip(NEXT) | instid1(VALU_DEP_2)
	v_mad_u32 v21, v11, s12, v21
	v_mad_u32 v23, v17, s12, v23
	s_delay_alu instid0(VALU_DEP_2) | instskip(NEXT) | instid1(VALU_DEP_2)
	v_mad_u32 v21, v10, s13, v21
	v_mad_u32 v23, v16, s13, v23
	s_branch .LBB993_173
.LBB993_172:                            ;   in Loop: Header=BB993_173 Depth=1
	s_or_b32 exec_lo, exec_lo, s25
	s_or_b32 s25, vcc_lo, s0
	s_and_b32 s0, vcc_lo, s0
	s_and_b32 s25, s25, s24
	s_delay_alu instid0(SALU_CYCLE_1) | instskip(SKIP_1) | instid1(SALU_CYCLE_1)
	s_or_b32 s0, s0, s25
	s_and_b32 s25, exec_lo, s23
	s_or_b32 s20, s25, s20
	s_and_not1_b32 s24, s24, exec_lo
	s_and_b32 s0, s0, exec_lo
	s_and_not1_b32 s21, s21, exec_lo
	s_and_b32 s25, s22, exec_lo
	s_and_not1_b32 s5, s5, exec_lo
	s_or_b32 s24, s24, s0
	s_or_b32 s21, s21, s25
	;; [unrolled: 1-line block ×3, first 2 shown]
	s_and_not1_b32 exec_lo, exec_lo, s20
	s_cbranch_execz .LBB993_175
.LBB993_173:                            ; =>This Inner Loop Header: Depth=1
	global_load_u8 v35, v[20:21], off
	global_load_u8 v36, v[22:23], off
	s_or_b32 s22, s22, exec_lo
	s_or_b32 s23, s23, exec_lo
	s_wait_loadcnt 0x1
	v_cmp_eq_u16_e32 vcc_lo, 0, v35
	s_wait_loadcnt 0x0
	v_cmp_ne_u16_e64 s0, 0, v36
	s_xor_b32 s26, vcc_lo, s0
	s_delay_alu instid0(SALU_CYCLE_1)
	s_and_saveexec_b32 s25, s26
	s_cbranch_execz .LBB993_172
; %bb.174:                              ;   in Loop: Header=BB993_173 Depth=1
	s_add_nc_u64 s[6:7], s[6:7], -1
	v_add_nc_u64_e32 v[20:21], 1, v[20:21]
	s_cmp_eq_u64 s[6:7], 0
	v_add_nc_u64_e32 v[22:23], 1, v[22:23]
	s_cselect_b32 s26, -1, 0
	s_and_not1_b32 s23, s23, exec_lo
	s_and_b32 s26, s26, exec_lo
	s_and_not1_b32 s22, s22, exec_lo
	s_or_b32 s23, s23, s26
	s_branch .LBB993_172
.LBB993_175:
	s_or_b32 exec_lo, exec_lo, s20
	s_and_saveexec_b32 s0, s21
	s_delay_alu instid0(SALU_CYCLE_1)
	s_xor_b32 s0, exec_lo, s0
; %bb.176:
	v_dual_cndmask_b32 v21, v17, v11, s5 :: v_dual_cndmask_b32 v20, v16, v10, s5
	v_dual_cndmask_b32 v11, v11, v17, s5 :: v_dual_cndmask_b32 v10, v10, v16, s5
	s_delay_alu instid0(VALU_DEP_2)
	v_mov_b64_e32 v[16:17], v[20:21]
; %bb.177:
	s_or_b32 exec_lo, exec_lo, s0
	v_mad_nc_u64_u32 v[20:21], v6, s12, s[14:15]
	v_mad_nc_u64_u32 v[22:23], v12, s12, s[14:15]
	s_mov_b32 s20, 0
	s_mov_b64 s[6:7], s[12:13]
                                        ; implicit-def: $sgpr5
                                        ; implicit-def: $sgpr21
                                        ; implicit-def: $sgpr23
                                        ; implicit-def: $sgpr22
                                        ; implicit-def: $sgpr24
	s_delay_alu instid0(VALU_DEP_2) | instskip(NEXT) | instid1(VALU_DEP_2)
	v_mad_u32 v21, v7, s12, v21
	v_mad_u32 v23, v13, s12, v23
	s_delay_alu instid0(VALU_DEP_2) | instskip(NEXT) | instid1(VALU_DEP_2)
	v_mad_u32 v21, v6, s13, v21
	v_mad_u32 v23, v12, s13, v23
	s_branch .LBB993_179
.LBB993_178:                            ;   in Loop: Header=BB993_179 Depth=1
	s_or_b32 exec_lo, exec_lo, s25
	s_or_b32 s25, vcc_lo, s0
	s_and_b32 s0, vcc_lo, s0
	s_and_b32 s25, s25, s24
	s_delay_alu instid0(SALU_CYCLE_1) | instskip(SKIP_1) | instid1(SALU_CYCLE_1)
	s_or_b32 s0, s0, s25
	s_and_b32 s25, exec_lo, s23
	s_or_b32 s20, s25, s20
	s_and_not1_b32 s24, s24, exec_lo
	s_and_b32 s0, s0, exec_lo
	s_and_not1_b32 s21, s21, exec_lo
	s_and_b32 s25, s22, exec_lo
	s_and_not1_b32 s5, s5, exec_lo
	s_or_b32 s24, s24, s0
	s_or_b32 s21, s21, s25
	;; [unrolled: 1-line block ×3, first 2 shown]
	s_and_not1_b32 exec_lo, exec_lo, s20
	s_cbranch_execz .LBB993_181
.LBB993_179:                            ; =>This Inner Loop Header: Depth=1
	global_load_u8 v35, v[20:21], off
	global_load_u8 v36, v[22:23], off
	s_or_b32 s22, s22, exec_lo
	s_or_b32 s23, s23, exec_lo
	s_wait_loadcnt 0x1
	v_cmp_eq_u16_e32 vcc_lo, 0, v35
	s_wait_loadcnt 0x0
	v_cmp_ne_u16_e64 s0, 0, v36
	s_xor_b32 s26, vcc_lo, s0
	s_delay_alu instid0(SALU_CYCLE_1)
	s_and_saveexec_b32 s25, s26
	s_cbranch_execz .LBB993_178
; %bb.180:                              ;   in Loop: Header=BB993_179 Depth=1
	s_add_nc_u64 s[6:7], s[6:7], -1
	v_add_nc_u64_e32 v[20:21], 1, v[20:21]
	s_cmp_eq_u64 s[6:7], 0
	v_add_nc_u64_e32 v[22:23], 1, v[22:23]
	s_cselect_b32 s26, -1, 0
	s_and_not1_b32 s23, s23, exec_lo
	s_and_b32 s26, s26, exec_lo
	s_and_not1_b32 s22, s22, exec_lo
	s_or_b32 s23, s23, s26
	s_branch .LBB993_178
.LBB993_181:
	s_or_b32 exec_lo, exec_lo, s20
	s_and_saveexec_b32 s0, s21
	s_delay_alu instid0(SALU_CYCLE_1)
	s_xor_b32 s0, exec_lo, s0
; %bb.182:
	v_dual_cndmask_b32 v21, v13, v7, s5 :: v_dual_cndmask_b32 v20, v12, v6, s5
	v_dual_cndmask_b32 v7, v7, v13, s5 :: v_dual_cndmask_b32 v6, v6, v12, s5
	s_delay_alu instid0(VALU_DEP_2)
	v_mov_b64_e32 v[12:13], v[20:21]
; %bb.183:
	s_or_b32 exec_lo, exec_lo, s0
	v_mad_nc_u64_u32 v[20:21], v2, s12, s[14:15]
	v_mad_nc_u64_u32 v[22:23], v8, s12, s[14:15]
	s_mov_b32 s20, 0
	s_mov_b64 s[6:7], s[12:13]
                                        ; implicit-def: $sgpr5
                                        ; implicit-def: $sgpr21
                                        ; implicit-def: $sgpr23
                                        ; implicit-def: $sgpr22
                                        ; implicit-def: $sgpr24
	s_delay_alu instid0(VALU_DEP_2) | instskip(NEXT) | instid1(VALU_DEP_2)
	v_mad_u32 v21, v3, s12, v21
	v_mad_u32 v23, v9, s12, v23
	s_delay_alu instid0(VALU_DEP_2) | instskip(NEXT) | instid1(VALU_DEP_2)
	v_mad_u32 v21, v2, s13, v21
	v_mad_u32 v23, v8, s13, v23
	s_branch .LBB993_185
.LBB993_184:                            ;   in Loop: Header=BB993_185 Depth=1
	s_or_b32 exec_lo, exec_lo, s25
	s_or_b32 s25, vcc_lo, s0
	s_and_b32 s0, vcc_lo, s0
	s_and_b32 s25, s25, s24
	s_delay_alu instid0(SALU_CYCLE_1) | instskip(SKIP_1) | instid1(SALU_CYCLE_1)
	s_or_b32 s0, s0, s25
	s_and_b32 s25, exec_lo, s23
	s_or_b32 s20, s25, s20
	s_and_not1_b32 s24, s24, exec_lo
	s_and_b32 s0, s0, exec_lo
	s_and_not1_b32 s21, s21, exec_lo
	s_and_b32 s25, s22, exec_lo
	s_and_not1_b32 s5, s5, exec_lo
	s_or_b32 s24, s24, s0
	s_or_b32 s21, s21, s25
	;; [unrolled: 1-line block ×3, first 2 shown]
	s_and_not1_b32 exec_lo, exec_lo, s20
	s_cbranch_execz .LBB993_187
.LBB993_185:                            ; =>This Inner Loop Header: Depth=1
	global_load_u8 v35, v[20:21], off
	global_load_u8 v36, v[22:23], off
	s_or_b32 s22, s22, exec_lo
	s_or_b32 s23, s23, exec_lo
	s_wait_loadcnt 0x1
	v_cmp_eq_u16_e32 vcc_lo, 0, v35
	s_wait_loadcnt 0x0
	v_cmp_ne_u16_e64 s0, 0, v36
	s_xor_b32 s26, vcc_lo, s0
	s_delay_alu instid0(SALU_CYCLE_1)
	s_and_saveexec_b32 s25, s26
	s_cbranch_execz .LBB993_184
; %bb.186:                              ;   in Loop: Header=BB993_185 Depth=1
	s_add_nc_u64 s[6:7], s[6:7], -1
	v_add_nc_u64_e32 v[20:21], 1, v[20:21]
	s_cmp_eq_u64 s[6:7], 0
	v_add_nc_u64_e32 v[22:23], 1, v[22:23]
	s_cselect_b32 s26, -1, 0
	s_and_not1_b32 s23, s23, exec_lo
	s_and_b32 s26, s26, exec_lo
	s_and_not1_b32 s22, s22, exec_lo
	s_or_b32 s23, s23, s26
	s_branch .LBB993_184
.LBB993_187:
	s_or_b32 exec_lo, exec_lo, s20
	s_and_saveexec_b32 s0, s21
	s_delay_alu instid0(SALU_CYCLE_1)
	s_xor_b32 s0, exec_lo, s0
; %bb.188:
	v_dual_cndmask_b32 v21, v9, v3, s5 :: v_dual_cndmask_b32 v20, v8, v2, s5
	v_dual_cndmask_b32 v3, v3, v9, s5 :: v_dual_cndmask_b32 v2, v2, v8, s5
	s_delay_alu instid0(VALU_DEP_2)
	v_mov_b64_e32 v[8:9], v[20:21]
; %bb.189:
	s_or_b32 exec_lo, exec_lo, s0
.LBB993_190:
	s_delay_alu instid0(SALU_CYCLE_1) | instskip(SKIP_4) | instid1(VALU_DEP_1)
	s_or_b32 exec_lo, exec_lo, s1
	v_mbcnt_lo_u32_b32 v20, -1, 0
	v_and_b32_e32 v21, 0xffffff00, v34
	s_mov_b32 s1, 0
	s_mov_b32 s5, exec_lo
	v_dual_lshlrev_b32 v36, 3, v20 :: v_dual_lshlrev_b32 v34, 3, v21
	v_sub_nc_u32_e64 v35, 0x800, v21 clamp
	s_delay_alu instid0(VALU_DEP_2) | instskip(SKIP_1) | instid1(VALU_DEP_4)
	v_or_b32_e32 v22, 8, v36
	v_and_b32_e32 v42, 0xf0, v36
	v_lshl_or_b32 v37, v20, 6, v34
	ds_store_b128 v37, v[14:17]
	ds_store_b128 v37, v[10:13] offset:16
	v_min_u32_e32 v38, v35, v22
	v_and_b32_e32 v22, 8, v36
	v_lshl_or_b32 v41, v42, 3, v34
	ds_store_b128 v37, v[6:9] offset:32
	ds_store_b128 v37, v[2:5] offset:48
	v_add_min_u32_e64 v39, v38, 8, v35
	v_min_u32_e32 v43, v35, v22
	v_sub_nc_u32_e32 v22, v38, v42
	; wave barrier
	s_delay_alu instid0(VALU_DEP_3) | instskip(NEXT) | instid1(VALU_DEP_2)
	v_sub_nc_u32_e32 v21, v39, v38
	v_min_u32_e32 v44, v43, v22
	s_delay_alu instid0(VALU_DEP_2) | instskip(NEXT) | instid1(VALU_DEP_1)
	v_sub_nc_u32_e64 v40, v43, v21 clamp
	v_cmpx_lt_u32_e64 v40, v44
	s_cbranch_execz .LBB993_201
; %bb.191:
	v_dual_lshlrev_b32 v20, 3, v38 :: v_dual_lshlrev_b32 v21, 3, v43
	s_delay_alu instid0(VALU_DEP_1)
	v_add3_u32 v45, v34, v20, v21
	s_branch .LBB993_194
.LBB993_192:                            ;   in Loop: Header=BB993_194 Depth=1
	s_or_b32 exec_lo, exec_lo, s21
.LBB993_193:                            ;   in Loop: Header=BB993_194 Depth=1
	s_delay_alu instid0(VALU_DEP_1) | instskip(NEXT) | instid1(VALU_DEP_1)
	v_dual_add_nc_u32 v20, 1, v46 :: v_dual_cndmask_b32 v44, v44, v46, s20
	v_cndmask_b32_e64 v40, v20, v40, s20
	s_delay_alu instid0(VALU_DEP_1) | instskip(SKIP_1) | instid1(SALU_CYCLE_1)
	v_cmp_ge_u32_e32 vcc_lo, v40, v44
	s_or_b32 s1, vcc_lo, s1
	s_and_not1_b32 exec_lo, exec_lo, s1
	s_cbranch_execz .LBB993_200
.LBB993_194:                            ; =>This Loop Header: Depth=1
                                        ;     Child Loop BB993_197 Depth 2
	v_add_nc_u32_e32 v20, v44, v40
	v_cmp_ne_u32_e32 vcc_lo, 1, v33
	s_delay_alu instid0(VALU_DEP_2)
	v_lshrrev_b32_e32 v46, 1, v20
	s_cbranch_vccnz .LBB993_199
; %bb.195:                              ;   in Loop: Header=BB993_194 Depth=1
	s_delay_alu instid0(VALU_DEP_1) | instskip(SKIP_3) | instid1(VALU_DEP_2)
	v_not_b32_e32 v20, v46
	v_lshl_add_u32 v21, v46, 3, v41
	s_mov_b32 s21, 0
	s_mov_b64 s[6:7], s[12:13]
                                        ; implicit-def: $sgpr20
                                        ; implicit-def: $sgpr22
                                        ; implicit-def: $sgpr23
                                        ; implicit-def: $sgpr24
	v_lshl_add_u32 v20, v20, 3, v45
	ds_load_b64 v[48:49], v20
	ds_load_b64 v[50:51], v21
	s_wait_dscnt 0x1
	v_mad_nc_u64_u32 v[20:21], v48, s12, s[14:15]
	s_wait_dscnt 0x0
	v_mad_nc_u64_u32 v[22:23], v50, s12, s[14:15]
	s_delay_alu instid0(VALU_DEP_2) | instskip(NEXT) | instid1(VALU_DEP_2)
	v_mad_u32 v21, v49, s12, v21
	v_mad_u32 v23, v51, s12, v23
	s_delay_alu instid0(VALU_DEP_2) | instskip(NEXT) | instid1(VALU_DEP_2)
	v_mad_u32 v21, v48, s13, v21
	v_mad_u32 v23, v50, s13, v23
	s_branch .LBB993_197
.LBB993_196:                            ;   in Loop: Header=BB993_197 Depth=2
	s_or_b32 exec_lo, exec_lo, s0
	s_delay_alu instid0(SALU_CYCLE_1) | instskip(NEXT) | instid1(SALU_CYCLE_1)
	s_and_b32 s0, exec_lo, s22
	s_or_b32 s21, s0, s21
	s_and_not1_b32 s0, s24, exec_lo
	s_and_b32 s24, s25, exec_lo
	s_and_not1_b32 s20, s20, exec_lo
	s_and_b32 s25, s23, exec_lo
	s_or_b32 s24, s0, s24
	s_or_b32 s20, s20, s25
	s_and_not1_b32 exec_lo, exec_lo, s21
	s_cbranch_execz .LBB993_192
.LBB993_197:                            ;   Parent Loop BB993_194 Depth=1
                                        ; =>  This Inner Loop Header: Depth=2
	global_load_u8 v47, v[20:21], off
	global_load_u8 v48, v[22:23], off
	s_and_not1_b32 s23, s23, exec_lo
	s_or_b32 s22, s22, exec_lo
	s_wait_loadcnt 0x1
	v_cmp_eq_u16_e32 vcc_lo, 0, v47
	s_wait_loadcnt 0x0
	v_cmp_ne_u16_e64 s0, 0, v48
	s_or_b32 s25, vcc_lo, s0
	s_and_b32 s26, vcc_lo, s0
	s_and_b32 s25, s25, s24
	s_xor_b32 s27, vcc_lo, s0
	s_or_b32 s25, s26, s25
	s_delay_alu instid0(SALU_CYCLE_1) | instskip(NEXT) | instid1(SALU_CYCLE_1)
	s_and_b32 s26, s25, exec_lo
	s_or_b32 s23, s23, s26
	s_and_saveexec_b32 s0, s27
	s_cbranch_execz .LBB993_196
; %bb.198:                              ;   in Loop: Header=BB993_197 Depth=2
	s_add_nc_u64 s[6:7], s[6:7], -1
	v_add_nc_u64_e32 v[20:21], 1, v[20:21]
	s_cmp_eq_u64 s[6:7], 0
	v_add_nc_u64_e32 v[22:23], 1, v[22:23]
	s_cselect_b32 s24, -1, 0
	s_and_not1_b32 s22, s22, exec_lo
	s_and_b32 s24, s24, exec_lo
	s_and_not1_b32 s23, s23, exec_lo
	s_or_b32 s22, s22, s24
                                        ; implicit-def: $sgpr24
	s_branch .LBB993_196
.LBB993_199:                            ;   in Loop: Header=BB993_194 Depth=1
	s_mov_b32 s20, 0
	s_branch .LBB993_193
.LBB993_200:
	s_or_b32 exec_lo, exec_lo, s1
.LBB993_201:
	s_delay_alu instid0(SALU_CYCLE_1) | instskip(SKIP_2) | instid1(VALU_DEP_2)
	s_or_b32 exec_lo, exec_lo, s5
	v_dual_add_nc_u32 v21, v38, v43 :: v_dual_add_nc_u32 v20, v40, v42
	v_cmp_lt_i64_e64 s5, s[12:13], 1
	v_sub_nc_u32_e32 v21, v21, v40
	s_delay_alu instid0(VALU_DEP_3) | instskip(NEXT) | instid1(VALU_DEP_2)
	v_cmp_le_u32_e32 vcc_lo, v20, v38
	v_cmp_le_u32_e64 s0, v21, v39
	s_or_b32 s0, vcc_lo, s0
	s_delay_alu instid0(SALU_CYCLE_1)
	s_and_saveexec_b32 s20, s0
	s_cbranch_execz .LBB993_269
; %bb.202:
	s_mov_b32 s1, exec_lo
	v_cmp_ge_u32_e32 vcc_lo, v20, v38
                                        ; implicit-def: $vgpr2_vgpr3
	v_cmpx_lt_u32_e64 v20, v38
; %bb.203:
	v_lshl_add_u32 v2, v40, 3, v41
	ds_load_b64 v[2:3], v2
; %bb.204:
	s_or_b32 exec_lo, exec_lo, s1
	v_cmp_ge_u32_e64 s0, v21, v39
	s_mov_b32 s6, exec_lo
                                        ; implicit-def: $vgpr4_vgpr5
	v_cmpx_lt_u32_e64 v21, v39
; %bb.205:
	v_lshl_add_u32 v4, v21, 3, v34
	ds_load_b64 v[4:5], v4
; %bb.206:
	s_or_b32 exec_lo, exec_lo, s6
	s_or_b32 s1, vcc_lo, s0
	s_xor_b32 s6, vcc_lo, -1
	s_nor_b32 s7, s1, s5
	s_or_b32 s1, s0, s6
	s_and_saveexec_b32 s21, s7
	s_cbranch_execz .LBB993_212
; %bb.207:
	s_wait_dscnt 0x0
	v_mad_nc_u64_u32 v[6:7], v4, s12, s[14:15]
	v_mad_nc_u64_u32 v[8:9], v2, s12, s[14:15]
	s_mov_b32 s22, 0
	s_mov_b64 s[6:7], s[12:13]
                                        ; implicit-def: $sgpr23
                                        ; implicit-def: $sgpr24
                                        ; implicit-def: $sgpr25
                                        ; implicit-def: $sgpr26
	s_delay_alu instid0(VALU_DEP_2) | instskip(NEXT) | instid1(VALU_DEP_2)
	v_mad_u32 v7, v5, s12, v7
	v_mad_u32 v9, v3, s12, v9
	s_delay_alu instid0(VALU_DEP_2) | instskip(NEXT) | instid1(VALU_DEP_2)
	v_mad_u32 v7, v4, s13, v7
	v_mad_u32 v9, v2, s13, v9
	s_branch .LBB993_209
.LBB993_208:                            ;   in Loop: Header=BB993_209 Depth=1
	s_or_b32 exec_lo, exec_lo, s0
	s_delay_alu instid0(SALU_CYCLE_1) | instskip(NEXT) | instid1(SALU_CYCLE_1)
	s_and_b32 s0, exec_lo, s24
	s_or_b32 s22, s0, s22
	s_and_not1_b32 s0, s26, exec_lo
	s_and_b32 s26, s27, exec_lo
	s_and_not1_b32 s23, s23, exec_lo
	s_and_b32 s27, s25, exec_lo
	s_or_b32 s26, s0, s26
	s_or_b32 s23, s23, s27
	s_and_not1_b32 exec_lo, exec_lo, s22
	s_cbranch_execz .LBB993_211
.LBB993_209:                            ; =>This Inner Loop Header: Depth=1
	global_load_u8 v10, v[6:7], off
	global_load_u8 v11, v[8:9], off
	s_and_not1_b32 s25, s25, exec_lo
	s_or_b32 s24, s24, exec_lo
	s_wait_loadcnt 0x1
	v_cmp_eq_u16_e32 vcc_lo, 0, v10
	s_wait_loadcnt 0x0
	v_cmp_ne_u16_e64 s0, 0, v11
	s_or_b32 s27, vcc_lo, s0
	s_and_b32 s28, vcc_lo, s0
	s_and_b32 s27, s27, s26
	s_xor_b32 s29, vcc_lo, s0
	s_or_b32 s27, s28, s27
	s_delay_alu instid0(SALU_CYCLE_1) | instskip(NEXT) | instid1(SALU_CYCLE_1)
	s_and_b32 s28, s27, exec_lo
	s_or_b32 s25, s25, s28
	s_and_saveexec_b32 s0, s29
	s_cbranch_execz .LBB993_208
; %bb.210:                              ;   in Loop: Header=BB993_209 Depth=1
	s_add_nc_u64 s[6:7], s[6:7], -1
	v_add_nc_u64_e32 v[6:7], 1, v[6:7]
	s_cmp_eq_u64 s[6:7], 0
	v_add_nc_u64_e32 v[8:9], 1, v[8:9]
	s_cselect_b32 s26, -1, 0
	s_and_not1_b32 s24, s24, exec_lo
	s_and_b32 s26, s26, exec_lo
	s_and_not1_b32 s25, s25, exec_lo
	s_or_b32 s24, s24, s26
                                        ; implicit-def: $sgpr26
	s_branch .LBB993_208
.LBB993_211:
	s_or_b32 exec_lo, exec_lo, s22
	s_xor_b32 s0, s23, -1
	s_and_not1_b32 s1, s1, exec_lo
	s_and_b32 s0, s0, exec_lo
	s_delay_alu instid0(SALU_CYCLE_1)
	s_or_b32 s1, s1, s0
.LBB993_212:
	s_or_b32 exec_lo, exec_lo, s21
	v_dual_cndmask_b32 v6, v21, v20, s1 :: v_dual_cndmask_b32 v7, v39, v38, s1
	s_mov_b32 s22, -1
	s_mov_b32 s21, -1
	s_mov_b32 s23, exec_lo
	s_delay_alu instid0(VALU_DEP_1) | instskip(NEXT) | instid1(VALU_DEP_1)
	v_add_nc_u32_e32 v8, 1, v6
	v_add_min_u32_e64 v6, v7, -1, v8
	s_delay_alu instid0(VALU_DEP_1)
	v_lshl_add_u32 v6, v6, 3, v34
	ds_load_b64 v[6:7], v6
	s_wait_dscnt 0x0
	v_cndmask_b32_e64 v14, v7, v5, s1
	v_dual_cndmask_b32 v10, v8, v21, s1 :: v_dual_cndmask_b32 v15, v6, v4, s1
	v_dual_cndmask_b32 v11, v20, v8, s1 :: v_dual_cndmask_b32 v16, v3, v7, s1
	v_cndmask_b32_e64 v22, v2, v6, s1
	s_delay_alu instid0(VALU_DEP_3)
	v_cmpx_lt_u32_e64 v10, v39
	s_cbranch_execz .LBB993_220
; %bb.213:
	s_delay_alu instid0(VALU_DEP_3) | instskip(SKIP_1) | instid1(SALU_CYCLE_1)
	v_cmp_lt_u32_e64 s21, v11, v38
	s_xor_b32 s0, s5, -1
	s_and_b32 s0, s21, s0
	s_delay_alu instid0(SALU_CYCLE_1)
	s_and_saveexec_b32 s24, s0
	s_cbranch_execz .LBB993_219
; %bb.214:
	v_mad_nc_u64_u32 v[6:7], v15, s12, s[14:15]
	v_mad_nc_u64_u32 v[8:9], v22, s12, s[14:15]
	s_mov_b32 s25, 0
	s_mov_b64 s[6:7], s[12:13]
                                        ; implicit-def: $sgpr26
                                        ; implicit-def: $sgpr27
                                        ; implicit-def: $sgpr28
                                        ; implicit-def: $sgpr29
	s_delay_alu instid0(VALU_DEP_2) | instskip(NEXT) | instid1(VALU_DEP_2)
	v_mad_u32 v7, v14, s12, v7
	v_mad_u32 v9, v16, s12, v9
	s_delay_alu instid0(VALU_DEP_2) | instskip(NEXT) | instid1(VALU_DEP_2)
	v_mad_u32 v7, v15, s13, v7
	v_mad_u32 v9, v22, s13, v9
	s_branch .LBB993_216
.LBB993_215:                            ;   in Loop: Header=BB993_216 Depth=1
	s_or_b32 exec_lo, exec_lo, s0
	s_delay_alu instid0(SALU_CYCLE_1) | instskip(NEXT) | instid1(SALU_CYCLE_1)
	s_and_b32 s0, exec_lo, s27
	s_or_b32 s25, s0, s25
	s_and_not1_b32 s0, s29, exec_lo
	s_and_b32 s29, s30, exec_lo
	s_and_not1_b32 s26, s26, exec_lo
	s_and_b32 s30, s28, exec_lo
	s_or_b32 s29, s0, s29
	s_or_b32 s26, s26, s30
	s_and_not1_b32 exec_lo, exec_lo, s25
	s_cbranch_execz .LBB993_218
.LBB993_216:                            ; =>This Inner Loop Header: Depth=1
	global_load_u8 v12, v[6:7], off
	global_load_u8 v13, v[8:9], off
	s_and_not1_b32 s28, s28, exec_lo
	s_or_b32 s27, s27, exec_lo
	s_wait_loadcnt 0x1
	v_cmp_eq_u16_e32 vcc_lo, 0, v12
	s_wait_loadcnt 0x0
	v_cmp_ne_u16_e64 s0, 0, v13
	s_or_b32 s30, vcc_lo, s0
	s_and_b32 s31, vcc_lo, s0
	s_and_b32 s30, s30, s29
	s_xor_b32 s33, vcc_lo, s0
	s_or_b32 s30, s31, s30
	s_delay_alu instid0(SALU_CYCLE_1) | instskip(NEXT) | instid1(SALU_CYCLE_1)
	s_and_b32 s31, s30, exec_lo
	s_or_b32 s28, s28, s31
	s_and_saveexec_b32 s0, s33
	s_cbranch_execz .LBB993_215
; %bb.217:                              ;   in Loop: Header=BB993_216 Depth=1
	s_add_nc_u64 s[6:7], s[6:7], -1
	v_add_nc_u64_e32 v[6:7], 1, v[6:7]
	s_cmp_eq_u64 s[6:7], 0
	v_add_nc_u64_e32 v[8:9], 1, v[8:9]
	s_cselect_b32 s29, -1, 0
	s_and_not1_b32 s27, s27, exec_lo
	s_and_b32 s29, s29, exec_lo
	s_and_not1_b32 s28, s28, exec_lo
	s_or_b32 s27, s27, s29
                                        ; implicit-def: $sgpr29
	s_branch .LBB993_215
.LBB993_218:
	s_or_b32 exec_lo, exec_lo, s25
	s_xor_b32 s0, s26, -1
	s_and_not1_b32 s6, s21, exec_lo
	s_and_b32 s0, s0, exec_lo
	s_delay_alu instid0(SALU_CYCLE_1)
	s_or_b32 s21, s6, s0
.LBB993_219:
	s_or_b32 exec_lo, exec_lo, s24
	s_delay_alu instid0(SALU_CYCLE_1)
	s_or_not1_b32 s21, s21, exec_lo
.LBB993_220:
	s_or_b32 exec_lo, exec_lo, s23
	v_dual_cndmask_b32 v6, v10, v11, s21 :: v_dual_cndmask_b32 v7, v39, v38, s21
	s_mov_b32 s23, exec_lo
	s_delay_alu instid0(VALU_DEP_1) | instskip(NEXT) | instid1(VALU_DEP_1)
	v_add_nc_u32_e32 v8, 1, v6
	v_add_min_u32_e64 v6, v7, -1, v8
	s_delay_alu instid0(VALU_DEP_1)
	v_lshl_add_u32 v6, v6, 3, v34
	ds_load_b64 v[6:7], v6
	s_wait_dscnt 0x0
	v_dual_cndmask_b32 v17, v6, v15, s21 :: v_dual_cndmask_b32 v12, v8, v10, s21
	v_cndmask_b32_e64 v13, v11, v8, s21
	v_dual_cndmask_b32 v10, v7, v14, s21 :: v_dual_cndmask_b32 v11, v16, v7, s21
	v_cndmask_b32_e64 v23, v22, v6, s21
	s_delay_alu instid0(VALU_DEP_4)
	v_cmpx_lt_u32_e64 v12, v39
	s_cbranch_execz .LBB993_228
; %bb.221:
	v_cmp_lt_u32_e64 s22, v13, v38
	s_xor_b32 s0, s5, -1
	s_delay_alu instid0(SALU_CYCLE_1) | instskip(NEXT) | instid1(SALU_CYCLE_1)
	s_and_b32 s0, s22, s0
	s_and_saveexec_b32 s24, s0
	s_cbranch_execz .LBB993_227
; %bb.222:
	v_mad_nc_u64_u32 v[6:7], v17, s12, s[14:15]
	v_mad_nc_u64_u32 v[8:9], v23, s12, s[14:15]
	s_mov_b32 s25, 0
	s_mov_b64 s[6:7], s[12:13]
                                        ; implicit-def: $sgpr26
                                        ; implicit-def: $sgpr27
                                        ; implicit-def: $sgpr28
                                        ; implicit-def: $sgpr29
	s_delay_alu instid0(VALU_DEP_2) | instskip(NEXT) | instid1(VALU_DEP_2)
	v_mad_u32 v7, v10, s12, v7
	v_mad_u32 v9, v11, s12, v9
	s_delay_alu instid0(VALU_DEP_2) | instskip(NEXT) | instid1(VALU_DEP_2)
	v_mad_u32 v7, v17, s13, v7
	v_mad_u32 v9, v23, s13, v9
	s_branch .LBB993_224
.LBB993_223:                            ;   in Loop: Header=BB993_224 Depth=1
	s_or_b32 exec_lo, exec_lo, s0
	s_delay_alu instid0(SALU_CYCLE_1) | instskip(NEXT) | instid1(SALU_CYCLE_1)
	s_and_b32 s0, exec_lo, s27
	s_or_b32 s25, s0, s25
	s_and_not1_b32 s0, s29, exec_lo
	s_and_b32 s29, s30, exec_lo
	s_and_not1_b32 s26, s26, exec_lo
	s_and_b32 s30, s28, exec_lo
	s_or_b32 s29, s0, s29
	s_or_b32 s26, s26, s30
	s_and_not1_b32 exec_lo, exec_lo, s25
	s_cbranch_execz .LBB993_226
.LBB993_224:                            ; =>This Inner Loop Header: Depth=1
	global_load_u8 v20, v[6:7], off
	global_load_u8 v21, v[8:9], off
	s_and_not1_b32 s28, s28, exec_lo
	s_or_b32 s27, s27, exec_lo
	s_wait_loadcnt 0x1
	v_cmp_eq_u16_e32 vcc_lo, 0, v20
	s_wait_loadcnt 0x0
	v_cmp_ne_u16_e64 s0, 0, v21
	s_or_b32 s30, vcc_lo, s0
	s_and_b32 s31, vcc_lo, s0
	s_and_b32 s30, s30, s29
	s_xor_b32 s33, vcc_lo, s0
	s_or_b32 s30, s31, s30
	s_delay_alu instid0(SALU_CYCLE_1) | instskip(NEXT) | instid1(SALU_CYCLE_1)
	s_and_b32 s31, s30, exec_lo
	s_or_b32 s28, s28, s31
	s_and_saveexec_b32 s0, s33
	s_cbranch_execz .LBB993_223
; %bb.225:                              ;   in Loop: Header=BB993_224 Depth=1
	s_add_nc_u64 s[6:7], s[6:7], -1
	v_add_nc_u64_e32 v[6:7], 1, v[6:7]
	s_cmp_eq_u64 s[6:7], 0
	v_add_nc_u64_e32 v[8:9], 1, v[8:9]
	s_cselect_b32 s29, -1, 0
	s_and_not1_b32 s27, s27, exec_lo
	s_and_b32 s29, s29, exec_lo
	s_and_not1_b32 s28, s28, exec_lo
	s_or_b32 s27, s27, s29
                                        ; implicit-def: $sgpr29
	s_branch .LBB993_223
.LBB993_226:
	s_or_b32 exec_lo, exec_lo, s25
	s_xor_b32 s0, s26, -1
	s_and_not1_b32 s6, s22, exec_lo
	s_and_b32 s0, s0, exec_lo
	s_delay_alu instid0(SALU_CYCLE_1)
	s_or_b32 s22, s6, s0
.LBB993_227:
	s_or_b32 exec_lo, exec_lo, s24
	s_delay_alu instid0(SALU_CYCLE_1)
	s_or_not1_b32 s22, s22, exec_lo
.LBB993_228:
	s_or_b32 exec_lo, exec_lo, s23
	v_dual_cndmask_b32 v6, v12, v13, s22 :: v_dual_cndmask_b32 v7, v39, v38, s22
	s_mov_b32 s24, -1
	s_mov_b32 s23, -1
	s_mov_b32 s25, exec_lo
	s_delay_alu instid0(VALU_DEP_1) | instskip(NEXT) | instid1(VALU_DEP_1)
	v_add_nc_u32_e32 v8, 1, v6
	v_add_min_u32_e64 v6, v7, -1, v8
	s_delay_alu instid0(VALU_DEP_1)
	v_lshl_add_u32 v6, v6, 3, v34
	ds_load_b64 v[6:7], v6
	s_wait_dscnt 0x0
	v_dual_cndmask_b32 v40, v6, v17, s22 :: v_dual_cndmask_b32 v20, v8, v12, s22
	v_dual_cndmask_b32 v12, v7, v10, s22 :: v_dual_cndmask_b32 v21, v13, v8, s22
	v_cndmask_b32_e64 v13, v11, v7, s22
	v_cndmask_b32_e64 v41, v23, v6, s22
	s_delay_alu instid0(VALU_DEP_4)
	v_cmpx_lt_u32_e64 v20, v39
	s_cbranch_execz .LBB993_236
; %bb.229:
	v_cmp_lt_u32_e64 s23, v21, v38
	s_xor_b32 s0, s5, -1
	s_delay_alu instid0(SALU_CYCLE_1) | instskip(NEXT) | instid1(SALU_CYCLE_1)
	s_and_b32 s0, s23, s0
	s_and_saveexec_b32 s26, s0
	s_cbranch_execz .LBB993_235
; %bb.230:
	v_mad_nc_u64_u32 v[6:7], v40, s12, s[14:15]
	v_mad_nc_u64_u32 v[8:9], v41, s12, s[14:15]
	s_mov_b32 s27, 0
	s_mov_b64 s[6:7], s[12:13]
                                        ; implicit-def: $sgpr28
                                        ; implicit-def: $sgpr29
                                        ; implicit-def: $sgpr30
                                        ; implicit-def: $sgpr31
	s_delay_alu instid0(VALU_DEP_2) | instskip(NEXT) | instid1(VALU_DEP_2)
	v_mad_u32 v7, v12, s12, v7
	v_mad_u32 v9, v13, s12, v9
	s_delay_alu instid0(VALU_DEP_2) | instskip(NEXT) | instid1(VALU_DEP_2)
	v_mad_u32 v7, v40, s13, v7
	v_mad_u32 v9, v41, s13, v9
	s_branch .LBB993_232
.LBB993_231:                            ;   in Loop: Header=BB993_232 Depth=1
	s_or_b32 exec_lo, exec_lo, s0
	s_delay_alu instid0(SALU_CYCLE_1) | instskip(NEXT) | instid1(SALU_CYCLE_1)
	s_and_b32 s0, exec_lo, s29
	s_or_b32 s27, s0, s27
	s_and_not1_b32 s0, s31, exec_lo
	s_and_b32 s31, s33, exec_lo
	s_and_not1_b32 s28, s28, exec_lo
	s_and_b32 s33, s30, exec_lo
	s_or_b32 s31, s0, s31
	s_or_b32 s28, s28, s33
	s_and_not1_b32 exec_lo, exec_lo, s27
	s_cbranch_execz .LBB993_234
.LBB993_232:                            ; =>This Inner Loop Header: Depth=1
	global_load_u8 v42, v[6:7], off
	global_load_u8 v43, v[8:9], off
	s_and_not1_b32 s30, s30, exec_lo
	s_or_b32 s29, s29, exec_lo
	s_wait_loadcnt 0x1
	v_cmp_eq_u16_e32 vcc_lo, 0, v42
	s_wait_loadcnt 0x0
	v_cmp_ne_u16_e64 s0, 0, v43
	s_or_b32 s33, vcc_lo, s0
	s_and_b32 s34, vcc_lo, s0
	s_and_b32 s33, s33, s31
	s_xor_b32 s35, vcc_lo, s0
	s_or_b32 s33, s34, s33
	s_delay_alu instid0(SALU_CYCLE_1) | instskip(NEXT) | instid1(SALU_CYCLE_1)
	s_and_b32 s34, s33, exec_lo
	s_or_b32 s30, s30, s34
	s_and_saveexec_b32 s0, s35
	s_cbranch_execz .LBB993_231
; %bb.233:                              ;   in Loop: Header=BB993_232 Depth=1
	s_add_nc_u64 s[6:7], s[6:7], -1
	v_add_nc_u64_e32 v[6:7], 1, v[6:7]
	s_cmp_eq_u64 s[6:7], 0
	v_add_nc_u64_e32 v[8:9], 1, v[8:9]
	s_cselect_b32 s31, -1, 0
	s_and_not1_b32 s29, s29, exec_lo
	s_and_b32 s31, s31, exec_lo
	s_and_not1_b32 s30, s30, exec_lo
	s_or_b32 s29, s29, s31
                                        ; implicit-def: $sgpr31
	s_branch .LBB993_231
.LBB993_234:
	s_or_b32 exec_lo, exec_lo, s27
	s_xor_b32 s0, s28, -1
	s_and_not1_b32 s6, s23, exec_lo
	s_and_b32 s0, s0, exec_lo
	s_delay_alu instid0(SALU_CYCLE_1)
	s_or_b32 s23, s6, s0
.LBB993_235:
	s_or_b32 exec_lo, exec_lo, s26
	s_delay_alu instid0(SALU_CYCLE_1)
	s_or_not1_b32 s23, s23, exec_lo
.LBB993_236:
	s_or_b32 exec_lo, exec_lo, s25
	v_dual_cndmask_b32 v6, v20, v21, s23 :: v_dual_cndmask_b32 v7, v39, v38, s23
	s_mov_b32 s25, exec_lo
	s_delay_alu instid0(VALU_DEP_1) | instskip(NEXT) | instid1(VALU_DEP_1)
	v_add_nc_u32_e32 v8, 1, v6
	v_add_min_u32_e64 v6, v7, -1, v8
	s_delay_alu instid0(VALU_DEP_1)
	v_lshl_add_u32 v6, v6, 3, v34
	ds_load_b64 v[6:7], v6
	s_wait_dscnt 0x0
	v_cndmask_b32_e64 v42, v7, v12, s23
	v_dual_cndmask_b32 v20, v8, v20, s23 :: v_dual_cndmask_b32 v44, v13, v7, s23
	v_cndmask_b32_e64 v21, v21, v8, s23
	v_dual_cndmask_b32 v43, v6, v40, s23 :: v_dual_cndmask_b32 v45, v41, v6, s23
	s_delay_alu instid0(VALU_DEP_3)
	v_cmpx_lt_u32_e64 v20, v39
	s_cbranch_execz .LBB993_244
; %bb.237:
	s_delay_alu instid0(VALU_DEP_3) | instskip(SKIP_1) | instid1(SALU_CYCLE_1)
	v_cmp_lt_u32_e64 s24, v21, v38
	s_xor_b32 s0, s5, -1
	s_and_b32 s0, s24, s0
	s_delay_alu instid0(SALU_CYCLE_1)
	s_and_saveexec_b32 s26, s0
	s_cbranch_execz .LBB993_243
; %bb.238:
	v_mad_nc_u64_u32 v[6:7], v43, s12, s[14:15]
	v_mad_nc_u64_u32 v[8:9], v45, s12, s[14:15]
	s_mov_b32 s27, 0
	s_mov_b64 s[6:7], s[12:13]
                                        ; implicit-def: $sgpr28
                                        ; implicit-def: $sgpr29
                                        ; implicit-def: $sgpr30
                                        ; implicit-def: $sgpr31
	s_delay_alu instid0(VALU_DEP_2) | instskip(NEXT) | instid1(VALU_DEP_2)
	v_mad_u32 v7, v42, s12, v7
	v_mad_u32 v9, v44, s12, v9
	s_delay_alu instid0(VALU_DEP_2) | instskip(NEXT) | instid1(VALU_DEP_2)
	v_mad_u32 v7, v43, s13, v7
	v_mad_u32 v9, v45, s13, v9
	s_branch .LBB993_240
.LBB993_239:                            ;   in Loop: Header=BB993_240 Depth=1
	s_or_b32 exec_lo, exec_lo, s0
	s_delay_alu instid0(SALU_CYCLE_1) | instskip(NEXT) | instid1(SALU_CYCLE_1)
	s_and_b32 s0, exec_lo, s29
	s_or_b32 s27, s0, s27
	s_and_not1_b32 s0, s31, exec_lo
	s_and_b32 s31, s33, exec_lo
	s_and_not1_b32 s28, s28, exec_lo
	s_and_b32 s33, s30, exec_lo
	s_or_b32 s31, s0, s31
	s_or_b32 s28, s28, s33
	s_and_not1_b32 exec_lo, exec_lo, s27
	s_cbranch_execz .LBB993_242
.LBB993_240:                            ; =>This Inner Loop Header: Depth=1
	global_load_u8 v46, v[6:7], off
	global_load_u8 v47, v[8:9], off
	s_and_not1_b32 s30, s30, exec_lo
	s_or_b32 s29, s29, exec_lo
	s_wait_loadcnt 0x1
	v_cmp_eq_u16_e32 vcc_lo, 0, v46
	s_wait_loadcnt 0x0
	v_cmp_ne_u16_e64 s0, 0, v47
	s_or_b32 s33, vcc_lo, s0
	s_and_b32 s34, vcc_lo, s0
	s_and_b32 s33, s33, s31
	s_xor_b32 s35, vcc_lo, s0
	s_or_b32 s33, s34, s33
	s_delay_alu instid0(SALU_CYCLE_1) | instskip(NEXT) | instid1(SALU_CYCLE_1)
	s_and_b32 s34, s33, exec_lo
	s_or_b32 s30, s30, s34
	s_and_saveexec_b32 s0, s35
	s_cbranch_execz .LBB993_239
; %bb.241:                              ;   in Loop: Header=BB993_240 Depth=1
	s_add_nc_u64 s[6:7], s[6:7], -1
	v_add_nc_u64_e32 v[6:7], 1, v[6:7]
	s_cmp_eq_u64 s[6:7], 0
	v_add_nc_u64_e32 v[8:9], 1, v[8:9]
	s_cselect_b32 s31, -1, 0
	s_and_not1_b32 s29, s29, exec_lo
	s_and_b32 s31, s31, exec_lo
	s_and_not1_b32 s30, s30, exec_lo
	s_or_b32 s29, s29, s31
                                        ; implicit-def: $sgpr31
	s_branch .LBB993_239
.LBB993_242:
	s_or_b32 exec_lo, exec_lo, s27
	s_xor_b32 s0, s28, -1
	s_and_not1_b32 s6, s24, exec_lo
	s_and_b32 s0, s0, exec_lo
	s_delay_alu instid0(SALU_CYCLE_1)
	s_or_b32 s24, s6, s0
.LBB993_243:
	s_or_b32 exec_lo, exec_lo, s26
	s_delay_alu instid0(SALU_CYCLE_1)
	s_or_not1_b32 s24, s24, exec_lo
.LBB993_244:
	s_or_b32 exec_lo, exec_lo, s25
	v_dual_cndmask_b32 v6, v20, v21, s24 :: v_dual_cndmask_b32 v7, v39, v38, s24
	s_mov_b32 s25, -1
	s_mov_b32 s26, -1
	s_mov_b32 s27, exec_lo
	s_delay_alu instid0(VALU_DEP_1) | instskip(NEXT) | instid1(VALU_DEP_1)
	v_add_nc_u32_e32 v8, 1, v6
	v_add_min_u32_e64 v6, v7, -1, v8
	s_delay_alu instid0(VALU_DEP_1)
	v_lshl_add_u32 v6, v6, 3, v34
	ds_load_b64 v[6:7], v6
	s_wait_dscnt 0x0
	v_dual_cndmask_b32 v46, v7, v42, s24 :: v_dual_cndmask_b32 v47, v6, v43, s24
	v_cndmask_b32_e64 v20, v8, v20, s24
	v_dual_cndmask_b32 v21, v21, v8, s24 :: v_dual_cndmask_b32 v48, v44, v7, s24
	v_cndmask_b32_e64 v49, v45, v6, s24
	s_delay_alu instid0(VALU_DEP_3)
	v_cmpx_lt_u32_e64 v20, v39
	s_cbranch_execz .LBB993_252
; %bb.245:
	s_delay_alu instid0(VALU_DEP_3) | instskip(SKIP_1) | instid1(SALU_CYCLE_1)
	v_cmp_lt_u32_e64 s26, v21, v38
	s_xor_b32 s0, s5, -1
	s_and_b32 s0, s26, s0
	s_delay_alu instid0(SALU_CYCLE_1)
	s_and_saveexec_b32 s28, s0
	s_cbranch_execz .LBB993_251
; %bb.246:
	v_mad_nc_u64_u32 v[6:7], v47, s12, s[14:15]
	v_mad_nc_u64_u32 v[8:9], v49, s12, s[14:15]
	s_mov_b32 s29, 0
	s_mov_b64 s[6:7], s[12:13]
                                        ; implicit-def: $sgpr30
                                        ; implicit-def: $sgpr31
                                        ; implicit-def: $sgpr33
                                        ; implicit-def: $sgpr34
	s_delay_alu instid0(VALU_DEP_2) | instskip(NEXT) | instid1(VALU_DEP_2)
	v_mad_u32 v7, v46, s12, v7
	v_mad_u32 v9, v48, s12, v9
	s_delay_alu instid0(VALU_DEP_2) | instskip(NEXT) | instid1(VALU_DEP_2)
	v_mad_u32 v7, v47, s13, v7
	v_mad_u32 v9, v49, s13, v9
	s_branch .LBB993_248
.LBB993_247:                            ;   in Loop: Header=BB993_248 Depth=1
	s_or_b32 exec_lo, exec_lo, s0
	s_delay_alu instid0(SALU_CYCLE_1) | instskip(NEXT) | instid1(SALU_CYCLE_1)
	s_and_b32 s0, exec_lo, s31
	s_or_b32 s29, s0, s29
	s_and_not1_b32 s0, s34, exec_lo
	s_and_b32 s34, s35, exec_lo
	s_and_not1_b32 s30, s30, exec_lo
	s_and_b32 s35, s33, exec_lo
	s_or_b32 s34, s0, s34
	s_or_b32 s30, s30, s35
	s_and_not1_b32 exec_lo, exec_lo, s29
	s_cbranch_execz .LBB993_250
.LBB993_248:                            ; =>This Inner Loop Header: Depth=1
	global_load_u8 v50, v[6:7], off
	global_load_u8 v51, v[8:9], off
	s_and_not1_b32 s33, s33, exec_lo
	s_or_b32 s31, s31, exec_lo
	s_wait_loadcnt 0x1
	v_cmp_eq_u16_e32 vcc_lo, 0, v50
	s_wait_loadcnt 0x0
	v_cmp_ne_u16_e64 s0, 0, v51
	s_or_b32 s35, vcc_lo, s0
	s_and_b32 s36, vcc_lo, s0
	s_and_b32 s35, s35, s34
	s_xor_b32 s37, vcc_lo, s0
	s_or_b32 s35, s36, s35
	s_delay_alu instid0(SALU_CYCLE_1) | instskip(NEXT) | instid1(SALU_CYCLE_1)
	s_and_b32 s36, s35, exec_lo
	s_or_b32 s33, s33, s36
	s_and_saveexec_b32 s0, s37
	s_cbranch_execz .LBB993_247
; %bb.249:                              ;   in Loop: Header=BB993_248 Depth=1
	s_add_nc_u64 s[6:7], s[6:7], -1
	v_add_nc_u64_e32 v[6:7], 1, v[6:7]
	s_cmp_eq_u64 s[6:7], 0
	v_add_nc_u64_e32 v[8:9], 1, v[8:9]
	s_cselect_b32 s34, -1, 0
	s_and_not1_b32 s31, s31, exec_lo
	s_and_b32 s34, s34, exec_lo
	s_and_not1_b32 s33, s33, exec_lo
	s_or_b32 s31, s31, s34
                                        ; implicit-def: $sgpr34
	s_branch .LBB993_247
.LBB993_250:
	s_or_b32 exec_lo, exec_lo, s29
	s_xor_b32 s0, s30, -1
	s_and_not1_b32 s6, s26, exec_lo
	s_and_b32 s0, s0, exec_lo
	s_delay_alu instid0(SALU_CYCLE_1)
	s_or_b32 s26, s6, s0
.LBB993_251:
	s_or_b32 exec_lo, exec_lo, s28
	s_delay_alu instid0(SALU_CYCLE_1)
	s_or_not1_b32 s26, s26, exec_lo
.LBB993_252:
	s_or_b32 exec_lo, exec_lo, s27
	v_dual_cndmask_b32 v6, v20, v21, s26 :: v_dual_cndmask_b32 v7, v39, v38, s26
	s_mov_b32 s27, exec_lo
	s_delay_alu instid0(VALU_DEP_1) | instskip(NEXT) | instid1(VALU_DEP_1)
	v_add_nc_u32_e32 v8, 1, v6
	v_add_min_u32_e64 v6, v7, -1, v8
	s_delay_alu instid0(VALU_DEP_1)
	v_lshl_add_u32 v6, v6, 3, v34
	ds_load_b64 v[6:7], v6
	s_wait_dscnt 0x0
	v_dual_cndmask_b32 v51, v7, v46, s26 :: v_dual_cndmask_b32 v52, v6, v47, s26
	v_cndmask_b32_e64 v53, v8, v20, s26
	v_dual_cndmask_b32 v50, v21, v8, s26 :: v_dual_cndmask_b32 v54, v48, v7, s26
	v_cndmask_b32_e64 v55, v49, v6, s26
	s_delay_alu instid0(VALU_DEP_3)
	v_cmpx_lt_u32_e64 v53, v39
	s_cbranch_execz .LBB993_260
; %bb.253:
	s_delay_alu instid0(VALU_DEP_3) | instskip(SKIP_1) | instid1(SALU_CYCLE_1)
	v_cmp_lt_u32_e64 s25, v50, v38
	s_xor_b32 s0, s5, -1
	s_and_b32 s0, s25, s0
	s_delay_alu instid0(SALU_CYCLE_1)
	s_and_saveexec_b32 s28, s0
	s_cbranch_execz .LBB993_259
; %bb.254:
	v_mad_nc_u64_u32 v[6:7], v52, s12, s[14:15]
	v_mad_nc_u64_u32 v[8:9], v55, s12, s[14:15]
	s_mov_b32 s29, 0
	s_mov_b64 s[6:7], s[12:13]
                                        ; implicit-def: $sgpr30
                                        ; implicit-def: $sgpr31
                                        ; implicit-def: $sgpr33
                                        ; implicit-def: $sgpr34
	s_delay_alu instid0(VALU_DEP_2) | instskip(NEXT) | instid1(VALU_DEP_2)
	v_mad_u32 v7, v51, s12, v7
	v_mad_u32 v9, v54, s12, v9
	s_delay_alu instid0(VALU_DEP_2) | instskip(NEXT) | instid1(VALU_DEP_2)
	v_mad_u32 v7, v52, s13, v7
	v_mad_u32 v9, v55, s13, v9
	s_branch .LBB993_256
.LBB993_255:                            ;   in Loop: Header=BB993_256 Depth=1
	s_or_b32 exec_lo, exec_lo, s0
	s_delay_alu instid0(SALU_CYCLE_1) | instskip(NEXT) | instid1(SALU_CYCLE_1)
	s_and_b32 s0, exec_lo, s31
	s_or_b32 s29, s0, s29
	s_and_not1_b32 s0, s34, exec_lo
	s_and_b32 s34, s35, exec_lo
	s_and_not1_b32 s30, s30, exec_lo
	s_and_b32 s35, s33, exec_lo
	s_or_b32 s34, s0, s34
	s_or_b32 s30, s30, s35
	s_and_not1_b32 exec_lo, exec_lo, s29
	s_cbranch_execz .LBB993_258
.LBB993_256:                            ; =>This Inner Loop Header: Depth=1
	global_load_u8 v20, v[6:7], off
	global_load_u8 v21, v[8:9], off
	s_and_not1_b32 s33, s33, exec_lo
	s_or_b32 s31, s31, exec_lo
	s_wait_loadcnt 0x1
	v_cmp_eq_u16_e32 vcc_lo, 0, v20
	s_wait_loadcnt 0x0
	v_cmp_ne_u16_e64 s0, 0, v21
	s_or_b32 s35, vcc_lo, s0
	s_and_b32 s36, vcc_lo, s0
	s_and_b32 s35, s35, s34
	s_xor_b32 s37, vcc_lo, s0
	s_or_b32 s35, s36, s35
	s_delay_alu instid0(SALU_CYCLE_1) | instskip(NEXT) | instid1(SALU_CYCLE_1)
	s_and_b32 s36, s35, exec_lo
	s_or_b32 s33, s33, s36
	s_and_saveexec_b32 s0, s37
	s_cbranch_execz .LBB993_255
; %bb.257:                              ;   in Loop: Header=BB993_256 Depth=1
	s_add_nc_u64 s[6:7], s[6:7], -1
	v_add_nc_u64_e32 v[6:7], 1, v[6:7]
	s_cmp_eq_u64 s[6:7], 0
	v_add_nc_u64_e32 v[8:9], 1, v[8:9]
	s_cselect_b32 s34, -1, 0
	s_and_not1_b32 s31, s31, exec_lo
	s_and_b32 s34, s34, exec_lo
	s_and_not1_b32 s33, s33, exec_lo
	s_or_b32 s31, s31, s34
                                        ; implicit-def: $sgpr34
	s_branch .LBB993_255
.LBB993_258:
	s_or_b32 exec_lo, exec_lo, s29
	s_xor_b32 s0, s30, -1
	s_and_not1_b32 s6, s25, exec_lo
	s_and_b32 s0, s0, exec_lo
	s_delay_alu instid0(SALU_CYCLE_1)
	s_or_b32 s25, s6, s0
.LBB993_259:
	s_or_b32 exec_lo, exec_lo, s28
	s_delay_alu instid0(SALU_CYCLE_1)
	s_or_not1_b32 s25, s25, exec_lo
.LBB993_260:
	s_or_b32 exec_lo, exec_lo, s27
	v_dual_cndmask_b32 v6, v53, v50, s25 :: v_dual_cndmask_b32 v9, v46, v48, s26
	v_dual_cndmask_b32 v7, v39, v38, s25 :: v_dual_cndmask_b32 v13, v12, v13, s23
	;; [unrolled: 1-line block ×3, first 2 shown]
	s_delay_alu instid0(VALU_DEP_3) | instskip(SKIP_2) | instid1(VALU_DEP_3)
	v_dual_add_nc_u32 v56, 1, v6 :: v_dual_cndmask_b32 v8, v47, v49, s26
	v_dual_cndmask_b32 v10, v17, v23, s22 :: v_dual_cndmask_b32 v17, v14, v16, s21
	v_dual_cndmask_b32 v16, v15, v22, s21 :: v_dual_cndmask_b32 v15, v5, v3, s1
	v_add_min_u32_e64 v6, v7, -1, v56
	v_dual_cndmask_b32 v7, v42, v44, s24 :: v_dual_cndmask_b32 v22, v56, v53, s25
	v_cndmask_b32_e64 v3, v51, v54, s25
	s_delay_alu instid0(VALU_DEP_3)
	v_lshl_add_u32 v6, v6, 3, v34
	ds_load_b64 v[20:21], v6
	v_dual_cndmask_b32 v6, v43, v45, s24 :: v_dual_cndmask_b32 v14, v4, v2, s1
	v_cndmask_b32_e64 v2, v52, v55, s25
	s_mov_b32 s1, exec_lo
	s_wait_dscnt 0x0
	v_dual_cndmask_b32 v5, v54, v21, s25 :: v_dual_cndmask_b32 v4, v55, v20, s25
	v_cmpx_lt_u32_e64 v22, v39
	s_cbranch_execz .LBB993_268
; %bb.261:
	v_dual_cndmask_b32 v22, v50, v56, s25 :: v_dual_cndmask_b32 v39, v21, v51, s25
	s_delay_alu instid0(VALU_DEP_1) | instskip(NEXT) | instid1(VALU_DEP_2)
	v_cmp_ge_u32_e32 vcc_lo, v22, v38
	v_dual_cndmask_b32 v40, v20, v52, s25 :: v_dual_cndmask_b32 v21, v5, v39, vcc_lo
	s_delay_alu instid0(VALU_DEP_1) | instskip(SKIP_1) | instid1(SALU_CYCLE_1)
	v_cndmask_b32_e32 v20, v4, v40, vcc_lo
	s_nor_b32 s0, vcc_lo, s5
	s_and_saveexec_b32 s21, s0
	s_cbranch_execz .LBB993_267
; %bb.262:
	v_mad_nc_u64_u32 v[20:21], v40, s12, s[14:15]
	v_mad_nc_u64_u32 v[22:23], v4, s12, s[14:15]
	s_mov_b32 s22, 0
	s_mov_b64 s[6:7], s[12:13]
                                        ; implicit-def: $sgpr23
                                        ; implicit-def: $sgpr24
                                        ; implicit-def: $sgpr25
                                        ; implicit-def: $sgpr26
	s_delay_alu instid0(VALU_DEP_2) | instskip(NEXT) | instid1(VALU_DEP_2)
	v_mad_u32 v21, v39, s12, v21
	v_mad_u32 v23, v5, s12, v23
	s_delay_alu instid0(VALU_DEP_2) | instskip(NEXT) | instid1(VALU_DEP_2)
	v_mad_u32 v21, v40, s13, v21
	v_mad_u32 v23, v4, s13, v23
	s_branch .LBB993_264
.LBB993_263:                            ;   in Loop: Header=BB993_264 Depth=1
	s_or_b32 exec_lo, exec_lo, s0
	s_delay_alu instid0(SALU_CYCLE_1) | instskip(NEXT) | instid1(SALU_CYCLE_1)
	s_and_b32 s0, exec_lo, s24
	s_or_b32 s22, s0, s22
	s_and_not1_b32 s0, s26, exec_lo
	s_and_b32 s26, s27, exec_lo
	s_and_not1_b32 s23, s23, exec_lo
	s_and_b32 s27, s25, exec_lo
	s_or_b32 s26, s0, s26
	s_or_b32 s23, s23, s27
	s_and_not1_b32 exec_lo, exec_lo, s22
	s_cbranch_execz .LBB993_266
.LBB993_264:                            ; =>This Inner Loop Header: Depth=1
	global_load_u8 v38, v[20:21], off
	global_load_u8 v41, v[22:23], off
	s_and_not1_b32 s25, s25, exec_lo
	s_or_b32 s24, s24, exec_lo
	s_wait_loadcnt 0x1
	v_cmp_eq_u16_e32 vcc_lo, 0, v38
	s_wait_loadcnt 0x0
	v_cmp_ne_u16_e64 s0, 0, v41
	s_or_b32 s27, vcc_lo, s0
	s_and_b32 s28, vcc_lo, s0
	s_and_b32 s27, s27, s26
	s_xor_b32 s29, vcc_lo, s0
	s_or_b32 s27, s28, s27
	s_delay_alu instid0(SALU_CYCLE_1) | instskip(NEXT) | instid1(SALU_CYCLE_1)
	s_and_b32 s28, s27, exec_lo
	s_or_b32 s25, s25, s28
	s_and_saveexec_b32 s0, s29
	s_cbranch_execz .LBB993_263
; %bb.265:                              ;   in Loop: Header=BB993_264 Depth=1
	s_add_nc_u64 s[6:7], s[6:7], -1
	v_add_nc_u64_e32 v[20:21], 1, v[20:21]
	s_cmp_eq_u64 s[6:7], 0
	v_add_nc_u64_e32 v[22:23], 1, v[22:23]
	s_cselect_b32 s26, -1, 0
	s_and_not1_b32 s24, s24, exec_lo
	s_and_b32 s26, s26, exec_lo
	s_and_not1_b32 s25, s25, exec_lo
	s_or_b32 s24, s24, s26
                                        ; implicit-def: $sgpr26
	s_branch .LBB993_263
.LBB993_266:
	s_or_b32 exec_lo, exec_lo, s22
	v_dual_cndmask_b32 v21, v5, v39, s23 :: v_dual_cndmask_b32 v20, v4, v40, s23
.LBB993_267:
	s_or_b32 exec_lo, exec_lo, s21
	s_delay_alu instid0(VALU_DEP_1)
	v_mov_b64_e32 v[4:5], v[20:21]
.LBB993_268:
	s_or_b32 exec_lo, exec_lo, s1
.LBB993_269:
	s_delay_alu instid0(SALU_CYCLE_1)
	s_or_b32 exec_lo, exec_lo, s20
	v_and_b32_e32 v42, 0xe0, v36
	s_mov_b32 s1, exec_lo
	; wave barrier
	ds_store_b128 v37, v[14:17]
	ds_store_b128 v37, v[10:13] offset:16
	v_or_b32_e32 v20, 16, v42
	v_lshl_add_u32 v41, v42, 3, v34
	ds_store_b128 v37, v[6:9] offset:32
	ds_store_b128 v37, v[2:5] offset:48
	; wave barrier
	v_min_u32_e32 v38, v35, v20
	v_and_b32_e32 v20, 24, v36
	s_delay_alu instid0(VALU_DEP_2) | instskip(NEXT) | instid1(VALU_DEP_2)
	v_add_min_u32_e64 v39, v38, 16, v35
	v_min_u32_e32 v43, v35, v20
	v_sub_nc_u32_e32 v21, v38, v42
	s_delay_alu instid0(VALU_DEP_3) | instskip(NEXT) | instid1(VALU_DEP_2)
	v_sub_nc_u32_e32 v20, v39, v38
	v_min_u32_e32 v44, v43, v21
	s_delay_alu instid0(VALU_DEP_2) | instskip(NEXT) | instid1(VALU_DEP_1)
	v_sub_nc_u32_e64 v40, v43, v20 clamp
	v_cmpx_lt_u32_e64 v40, v44
	s_cbranch_execz .LBB993_279
; %bb.270:
	v_dual_lshlrev_b32 v20, 3, v38 :: v_dual_lshlrev_b32 v21, 3, v43
	s_mov_b32 s20, 0
	s_delay_alu instid0(VALU_DEP_1)
	v_add3_u32 v45, v34, v20, v21
	s_branch .LBB993_273
.LBB993_271:                            ;   in Loop: Header=BB993_273 Depth=1
	s_or_b32 exec_lo, exec_lo, s22
.LBB993_272:                            ;   in Loop: Header=BB993_273 Depth=1
	s_delay_alu instid0(VALU_DEP_1) | instskip(NEXT) | instid1(VALU_DEP_1)
	v_dual_add_nc_u32 v20, 1, v46 :: v_dual_cndmask_b32 v44, v44, v46, s21
	v_cndmask_b32_e64 v40, v20, v40, s21
	s_delay_alu instid0(VALU_DEP_1) | instskip(SKIP_1) | instid1(SALU_CYCLE_1)
	v_cmp_ge_u32_e32 vcc_lo, v40, v44
	s_or_b32 s20, vcc_lo, s20
	s_and_not1_b32 exec_lo, exec_lo, s20
	s_cbranch_execz .LBB993_278
.LBB993_273:                            ; =>This Loop Header: Depth=1
                                        ;     Child Loop BB993_276 Depth 2
	v_add_nc_u32_e32 v20, v44, v40
	v_cmp_ne_u32_e32 vcc_lo, 1, v33
	s_mov_b32 s21, 0
	s_delay_alu instid0(VALU_DEP_2)
	v_lshrrev_b32_e32 v46, 1, v20
	s_cbranch_vccnz .LBB993_272
; %bb.274:                              ;   in Loop: Header=BB993_273 Depth=1
	s_delay_alu instid0(VALU_DEP_1) | instskip(SKIP_3) | instid1(VALU_DEP_2)
	v_not_b32_e32 v20, v46
	v_lshl_add_u32 v21, v46, 3, v41
	s_mov_b32 s22, 0
	s_mov_b64 s[6:7], s[12:13]
                                        ; implicit-def: $sgpr21
                                        ; implicit-def: $sgpr23
                                        ; implicit-def: $sgpr24
                                        ; implicit-def: $sgpr25
	v_lshl_add_u32 v20, v20, 3, v45
	ds_load_b64 v[48:49], v20
	ds_load_b64 v[50:51], v21
	s_wait_dscnt 0x1
	v_mad_nc_u64_u32 v[20:21], v48, s12, s[14:15]
	s_wait_dscnt 0x0
	v_mad_nc_u64_u32 v[22:23], v50, s12, s[14:15]
	s_delay_alu instid0(VALU_DEP_2) | instskip(NEXT) | instid1(VALU_DEP_2)
	v_mad_u32 v21, v49, s12, v21
	v_mad_u32 v23, v51, s12, v23
	s_delay_alu instid0(VALU_DEP_2) | instskip(NEXT) | instid1(VALU_DEP_2)
	v_mad_u32 v21, v48, s13, v21
	v_mad_u32 v23, v50, s13, v23
	s_branch .LBB993_276
.LBB993_275:                            ;   in Loop: Header=BB993_276 Depth=2
	s_or_b32 exec_lo, exec_lo, s0
	s_delay_alu instid0(SALU_CYCLE_1) | instskip(NEXT) | instid1(SALU_CYCLE_1)
	s_and_b32 s0, exec_lo, s23
	s_or_b32 s22, s0, s22
	s_and_not1_b32 s0, s25, exec_lo
	s_and_b32 s25, s26, exec_lo
	s_and_not1_b32 s21, s21, exec_lo
	s_and_b32 s26, s24, exec_lo
	s_or_b32 s25, s0, s25
	s_or_b32 s21, s21, s26
	s_and_not1_b32 exec_lo, exec_lo, s22
	s_cbranch_execz .LBB993_271
.LBB993_276:                            ;   Parent Loop BB993_273 Depth=1
                                        ; =>  This Inner Loop Header: Depth=2
	global_load_u8 v47, v[20:21], off
	global_load_u8 v48, v[22:23], off
	s_and_not1_b32 s24, s24, exec_lo
	s_or_b32 s23, s23, exec_lo
	s_wait_loadcnt 0x1
	v_cmp_eq_u16_e32 vcc_lo, 0, v47
	s_wait_loadcnt 0x0
	v_cmp_ne_u16_e64 s0, 0, v48
	s_or_b32 s26, vcc_lo, s0
	s_and_b32 s27, vcc_lo, s0
	s_and_b32 s26, s26, s25
	s_xor_b32 s28, vcc_lo, s0
	s_or_b32 s26, s27, s26
	s_delay_alu instid0(SALU_CYCLE_1) | instskip(NEXT) | instid1(SALU_CYCLE_1)
	s_and_b32 s27, s26, exec_lo
	s_or_b32 s24, s24, s27
	s_and_saveexec_b32 s0, s28
	s_cbranch_execz .LBB993_275
; %bb.277:                              ;   in Loop: Header=BB993_276 Depth=2
	s_add_nc_u64 s[6:7], s[6:7], -1
	v_add_nc_u64_e32 v[20:21], 1, v[20:21]
	s_cmp_eq_u64 s[6:7], 0
	v_add_nc_u64_e32 v[22:23], 1, v[22:23]
	s_cselect_b32 s25, -1, 0
	s_and_not1_b32 s23, s23, exec_lo
	s_and_b32 s25, s25, exec_lo
	s_and_not1_b32 s24, s24, exec_lo
	s_or_b32 s23, s23, s25
                                        ; implicit-def: $sgpr25
	s_branch .LBB993_275
.LBB993_278:
	s_or_b32 exec_lo, exec_lo, s20
.LBB993_279:
	s_delay_alu instid0(SALU_CYCLE_1) | instskip(SKIP_1) | instid1(VALU_DEP_1)
	s_or_b32 exec_lo, exec_lo, s1
	v_dual_add_nc_u32 v21, v38, v43 :: v_dual_add_nc_u32 v20, v40, v42
	v_sub_nc_u32_e32 v21, v21, v40
	s_delay_alu instid0(VALU_DEP_2) | instskip(NEXT) | instid1(VALU_DEP_2)
	v_cmp_le_u32_e32 vcc_lo, v20, v38
	v_cmp_le_u32_e64 s0, v21, v39
	s_or_b32 s0, vcc_lo, s0
	s_delay_alu instid0(SALU_CYCLE_1)
	s_and_saveexec_b32 s20, s0
	s_cbranch_execz .LBB993_347
; %bb.280:
	s_mov_b32 s1, exec_lo
	v_cmp_ge_u32_e32 vcc_lo, v20, v38
                                        ; implicit-def: $vgpr2_vgpr3
	v_cmpx_lt_u32_e64 v20, v38
; %bb.281:
	v_lshl_add_u32 v2, v40, 3, v41
	ds_load_b64 v[2:3], v2
; %bb.282:
	s_or_b32 exec_lo, exec_lo, s1
	v_cmp_ge_u32_e64 s0, v21, v39
	s_mov_b32 s6, exec_lo
                                        ; implicit-def: $vgpr4_vgpr5
	v_cmpx_lt_u32_e64 v21, v39
; %bb.283:
	v_lshl_add_u32 v4, v21, 3, v34
	ds_load_b64 v[4:5], v4
; %bb.284:
	s_or_b32 exec_lo, exec_lo, s6
	s_or_b32 s1, vcc_lo, s0
	s_xor_b32 s6, vcc_lo, -1
	s_nor_b32 s7, s1, s5
	s_or_b32 s1, s0, s6
	s_and_saveexec_b32 s21, s7
	s_cbranch_execz .LBB993_290
; %bb.285:
	s_wait_dscnt 0x0
	v_mad_nc_u64_u32 v[6:7], v4, s12, s[14:15]
	v_mad_nc_u64_u32 v[8:9], v2, s12, s[14:15]
	s_mov_b32 s22, 0
	s_mov_b64 s[6:7], s[12:13]
                                        ; implicit-def: $sgpr23
                                        ; implicit-def: $sgpr24
                                        ; implicit-def: $sgpr25
                                        ; implicit-def: $sgpr26
	s_delay_alu instid0(VALU_DEP_2) | instskip(NEXT) | instid1(VALU_DEP_2)
	v_mad_u32 v7, v5, s12, v7
	v_mad_u32 v9, v3, s12, v9
	s_delay_alu instid0(VALU_DEP_2) | instskip(NEXT) | instid1(VALU_DEP_2)
	v_mad_u32 v7, v4, s13, v7
	v_mad_u32 v9, v2, s13, v9
	s_branch .LBB993_287
.LBB993_286:                            ;   in Loop: Header=BB993_287 Depth=1
	s_or_b32 exec_lo, exec_lo, s0
	s_delay_alu instid0(SALU_CYCLE_1) | instskip(NEXT) | instid1(SALU_CYCLE_1)
	s_and_b32 s0, exec_lo, s24
	s_or_b32 s22, s0, s22
	s_and_not1_b32 s0, s26, exec_lo
	s_and_b32 s26, s27, exec_lo
	s_and_not1_b32 s23, s23, exec_lo
	s_and_b32 s27, s25, exec_lo
	s_or_b32 s26, s0, s26
	s_or_b32 s23, s23, s27
	s_and_not1_b32 exec_lo, exec_lo, s22
	s_cbranch_execz .LBB993_289
.LBB993_287:                            ; =>This Inner Loop Header: Depth=1
	global_load_u8 v10, v[6:7], off
	global_load_u8 v11, v[8:9], off
	s_and_not1_b32 s25, s25, exec_lo
	s_or_b32 s24, s24, exec_lo
	s_wait_loadcnt 0x1
	v_cmp_eq_u16_e32 vcc_lo, 0, v10
	s_wait_loadcnt 0x0
	v_cmp_ne_u16_e64 s0, 0, v11
	s_or_b32 s27, vcc_lo, s0
	s_and_b32 s28, vcc_lo, s0
	s_and_b32 s27, s27, s26
	s_xor_b32 s29, vcc_lo, s0
	s_or_b32 s27, s28, s27
	s_delay_alu instid0(SALU_CYCLE_1) | instskip(NEXT) | instid1(SALU_CYCLE_1)
	s_and_b32 s28, s27, exec_lo
	s_or_b32 s25, s25, s28
	s_and_saveexec_b32 s0, s29
	s_cbranch_execz .LBB993_286
; %bb.288:                              ;   in Loop: Header=BB993_287 Depth=1
	s_add_nc_u64 s[6:7], s[6:7], -1
	v_add_nc_u64_e32 v[6:7], 1, v[6:7]
	s_cmp_eq_u64 s[6:7], 0
	v_add_nc_u64_e32 v[8:9], 1, v[8:9]
	s_cselect_b32 s26, -1, 0
	s_and_not1_b32 s24, s24, exec_lo
	s_and_b32 s26, s26, exec_lo
	s_and_not1_b32 s25, s25, exec_lo
	s_or_b32 s24, s24, s26
                                        ; implicit-def: $sgpr26
	s_branch .LBB993_286
.LBB993_289:
	s_or_b32 exec_lo, exec_lo, s22
	s_xor_b32 s0, s23, -1
	s_and_not1_b32 s1, s1, exec_lo
	s_and_b32 s0, s0, exec_lo
	s_delay_alu instid0(SALU_CYCLE_1)
	s_or_b32 s1, s1, s0
.LBB993_290:
	s_or_b32 exec_lo, exec_lo, s21
	v_dual_cndmask_b32 v6, v21, v20, s1 :: v_dual_cndmask_b32 v7, v39, v38, s1
	s_mov_b32 s22, -1
	s_mov_b32 s21, -1
	s_mov_b32 s23, exec_lo
	s_delay_alu instid0(VALU_DEP_1) | instskip(NEXT) | instid1(VALU_DEP_1)
	v_add_nc_u32_e32 v8, 1, v6
	v_add_min_u32_e64 v6, v7, -1, v8
	s_delay_alu instid0(VALU_DEP_1)
	v_lshl_add_u32 v6, v6, 3, v34
	ds_load_b64 v[6:7], v6
	s_wait_dscnt 0x0
	v_cndmask_b32_e64 v14, v7, v5, s1
	v_dual_cndmask_b32 v10, v8, v21, s1 :: v_dual_cndmask_b32 v15, v6, v4, s1
	v_dual_cndmask_b32 v11, v20, v8, s1 :: v_dual_cndmask_b32 v16, v3, v7, s1
	v_cndmask_b32_e64 v22, v2, v6, s1
	s_delay_alu instid0(VALU_DEP_3)
	v_cmpx_lt_u32_e64 v10, v39
	s_cbranch_execz .LBB993_298
; %bb.291:
	s_delay_alu instid0(VALU_DEP_3) | instskip(SKIP_1) | instid1(SALU_CYCLE_1)
	v_cmp_lt_u32_e64 s21, v11, v38
	s_xor_b32 s0, s5, -1
	s_and_b32 s0, s21, s0
	s_delay_alu instid0(SALU_CYCLE_1)
	s_and_saveexec_b32 s24, s0
	s_cbranch_execz .LBB993_297
; %bb.292:
	v_mad_nc_u64_u32 v[6:7], v15, s12, s[14:15]
	v_mad_nc_u64_u32 v[8:9], v22, s12, s[14:15]
	s_mov_b32 s25, 0
	s_mov_b64 s[6:7], s[12:13]
                                        ; implicit-def: $sgpr26
                                        ; implicit-def: $sgpr27
                                        ; implicit-def: $sgpr28
                                        ; implicit-def: $sgpr29
	s_delay_alu instid0(VALU_DEP_2) | instskip(NEXT) | instid1(VALU_DEP_2)
	v_mad_u32 v7, v14, s12, v7
	v_mad_u32 v9, v16, s12, v9
	s_delay_alu instid0(VALU_DEP_2) | instskip(NEXT) | instid1(VALU_DEP_2)
	v_mad_u32 v7, v15, s13, v7
	v_mad_u32 v9, v22, s13, v9
	s_branch .LBB993_294
.LBB993_293:                            ;   in Loop: Header=BB993_294 Depth=1
	s_or_b32 exec_lo, exec_lo, s0
	s_delay_alu instid0(SALU_CYCLE_1) | instskip(NEXT) | instid1(SALU_CYCLE_1)
	s_and_b32 s0, exec_lo, s27
	s_or_b32 s25, s0, s25
	s_and_not1_b32 s0, s29, exec_lo
	s_and_b32 s29, s30, exec_lo
	s_and_not1_b32 s26, s26, exec_lo
	s_and_b32 s30, s28, exec_lo
	s_or_b32 s29, s0, s29
	s_or_b32 s26, s26, s30
	s_and_not1_b32 exec_lo, exec_lo, s25
	s_cbranch_execz .LBB993_296
.LBB993_294:                            ; =>This Inner Loop Header: Depth=1
	global_load_u8 v12, v[6:7], off
	global_load_u8 v13, v[8:9], off
	s_and_not1_b32 s28, s28, exec_lo
	s_or_b32 s27, s27, exec_lo
	s_wait_loadcnt 0x1
	v_cmp_eq_u16_e32 vcc_lo, 0, v12
	s_wait_loadcnt 0x0
	v_cmp_ne_u16_e64 s0, 0, v13
	s_or_b32 s30, vcc_lo, s0
	s_and_b32 s31, vcc_lo, s0
	s_and_b32 s30, s30, s29
	s_xor_b32 s33, vcc_lo, s0
	s_or_b32 s30, s31, s30
	s_delay_alu instid0(SALU_CYCLE_1) | instskip(NEXT) | instid1(SALU_CYCLE_1)
	s_and_b32 s31, s30, exec_lo
	s_or_b32 s28, s28, s31
	s_and_saveexec_b32 s0, s33
	s_cbranch_execz .LBB993_293
; %bb.295:                              ;   in Loop: Header=BB993_294 Depth=1
	s_add_nc_u64 s[6:7], s[6:7], -1
	v_add_nc_u64_e32 v[6:7], 1, v[6:7]
	s_cmp_eq_u64 s[6:7], 0
	v_add_nc_u64_e32 v[8:9], 1, v[8:9]
	s_cselect_b32 s29, -1, 0
	s_and_not1_b32 s27, s27, exec_lo
	s_and_b32 s29, s29, exec_lo
	s_and_not1_b32 s28, s28, exec_lo
	s_or_b32 s27, s27, s29
                                        ; implicit-def: $sgpr29
	s_branch .LBB993_293
.LBB993_296:
	s_or_b32 exec_lo, exec_lo, s25
	s_xor_b32 s0, s26, -1
	s_and_not1_b32 s6, s21, exec_lo
	s_and_b32 s0, s0, exec_lo
	s_delay_alu instid0(SALU_CYCLE_1)
	s_or_b32 s21, s6, s0
.LBB993_297:
	s_or_b32 exec_lo, exec_lo, s24
	s_delay_alu instid0(SALU_CYCLE_1)
	s_or_not1_b32 s21, s21, exec_lo
.LBB993_298:
	s_or_b32 exec_lo, exec_lo, s23
	v_dual_cndmask_b32 v6, v10, v11, s21 :: v_dual_cndmask_b32 v7, v39, v38, s21
	s_mov_b32 s23, exec_lo
	s_delay_alu instid0(VALU_DEP_1) | instskip(NEXT) | instid1(VALU_DEP_1)
	v_add_nc_u32_e32 v8, 1, v6
	v_add_min_u32_e64 v6, v7, -1, v8
	s_delay_alu instid0(VALU_DEP_1)
	v_lshl_add_u32 v6, v6, 3, v34
	ds_load_b64 v[6:7], v6
	s_wait_dscnt 0x0
	v_dual_cndmask_b32 v17, v6, v15, s21 :: v_dual_cndmask_b32 v12, v8, v10, s21
	v_cndmask_b32_e64 v13, v11, v8, s21
	v_dual_cndmask_b32 v10, v7, v14, s21 :: v_dual_cndmask_b32 v11, v16, v7, s21
	v_cndmask_b32_e64 v23, v22, v6, s21
	s_delay_alu instid0(VALU_DEP_4)
	v_cmpx_lt_u32_e64 v12, v39
	s_cbranch_execz .LBB993_306
; %bb.299:
	v_cmp_lt_u32_e64 s22, v13, v38
	s_xor_b32 s0, s5, -1
	s_delay_alu instid0(SALU_CYCLE_1) | instskip(NEXT) | instid1(SALU_CYCLE_1)
	s_and_b32 s0, s22, s0
	s_and_saveexec_b32 s24, s0
	s_cbranch_execz .LBB993_305
; %bb.300:
	v_mad_nc_u64_u32 v[6:7], v17, s12, s[14:15]
	v_mad_nc_u64_u32 v[8:9], v23, s12, s[14:15]
	s_mov_b32 s25, 0
	s_mov_b64 s[6:7], s[12:13]
                                        ; implicit-def: $sgpr26
                                        ; implicit-def: $sgpr27
                                        ; implicit-def: $sgpr28
                                        ; implicit-def: $sgpr29
	s_delay_alu instid0(VALU_DEP_2) | instskip(NEXT) | instid1(VALU_DEP_2)
	v_mad_u32 v7, v10, s12, v7
	v_mad_u32 v9, v11, s12, v9
	s_delay_alu instid0(VALU_DEP_2) | instskip(NEXT) | instid1(VALU_DEP_2)
	v_mad_u32 v7, v17, s13, v7
	v_mad_u32 v9, v23, s13, v9
	s_branch .LBB993_302
.LBB993_301:                            ;   in Loop: Header=BB993_302 Depth=1
	s_or_b32 exec_lo, exec_lo, s0
	s_delay_alu instid0(SALU_CYCLE_1) | instskip(NEXT) | instid1(SALU_CYCLE_1)
	s_and_b32 s0, exec_lo, s27
	s_or_b32 s25, s0, s25
	s_and_not1_b32 s0, s29, exec_lo
	s_and_b32 s29, s30, exec_lo
	s_and_not1_b32 s26, s26, exec_lo
	s_and_b32 s30, s28, exec_lo
	s_or_b32 s29, s0, s29
	s_or_b32 s26, s26, s30
	s_and_not1_b32 exec_lo, exec_lo, s25
	s_cbranch_execz .LBB993_304
.LBB993_302:                            ; =>This Inner Loop Header: Depth=1
	global_load_u8 v20, v[6:7], off
	global_load_u8 v21, v[8:9], off
	s_and_not1_b32 s28, s28, exec_lo
	s_or_b32 s27, s27, exec_lo
	s_wait_loadcnt 0x1
	v_cmp_eq_u16_e32 vcc_lo, 0, v20
	s_wait_loadcnt 0x0
	v_cmp_ne_u16_e64 s0, 0, v21
	s_or_b32 s30, vcc_lo, s0
	s_and_b32 s31, vcc_lo, s0
	s_and_b32 s30, s30, s29
	s_xor_b32 s33, vcc_lo, s0
	s_or_b32 s30, s31, s30
	s_delay_alu instid0(SALU_CYCLE_1) | instskip(NEXT) | instid1(SALU_CYCLE_1)
	s_and_b32 s31, s30, exec_lo
	s_or_b32 s28, s28, s31
	s_and_saveexec_b32 s0, s33
	s_cbranch_execz .LBB993_301
; %bb.303:                              ;   in Loop: Header=BB993_302 Depth=1
	s_add_nc_u64 s[6:7], s[6:7], -1
	v_add_nc_u64_e32 v[6:7], 1, v[6:7]
	s_cmp_eq_u64 s[6:7], 0
	v_add_nc_u64_e32 v[8:9], 1, v[8:9]
	s_cselect_b32 s29, -1, 0
	s_and_not1_b32 s27, s27, exec_lo
	s_and_b32 s29, s29, exec_lo
	s_and_not1_b32 s28, s28, exec_lo
	s_or_b32 s27, s27, s29
                                        ; implicit-def: $sgpr29
	s_branch .LBB993_301
.LBB993_304:
	s_or_b32 exec_lo, exec_lo, s25
	s_xor_b32 s0, s26, -1
	s_and_not1_b32 s6, s22, exec_lo
	s_and_b32 s0, s0, exec_lo
	s_delay_alu instid0(SALU_CYCLE_1)
	s_or_b32 s22, s6, s0
.LBB993_305:
	s_or_b32 exec_lo, exec_lo, s24
	s_delay_alu instid0(SALU_CYCLE_1)
	s_or_not1_b32 s22, s22, exec_lo
.LBB993_306:
	s_or_b32 exec_lo, exec_lo, s23
	v_dual_cndmask_b32 v6, v12, v13, s22 :: v_dual_cndmask_b32 v7, v39, v38, s22
	s_mov_b32 s24, -1
	s_mov_b32 s23, -1
	s_mov_b32 s25, exec_lo
	s_delay_alu instid0(VALU_DEP_1) | instskip(NEXT) | instid1(VALU_DEP_1)
	v_add_nc_u32_e32 v8, 1, v6
	v_add_min_u32_e64 v6, v7, -1, v8
	s_delay_alu instid0(VALU_DEP_1)
	v_lshl_add_u32 v6, v6, 3, v34
	ds_load_b64 v[6:7], v6
	s_wait_dscnt 0x0
	v_dual_cndmask_b32 v40, v6, v17, s22 :: v_dual_cndmask_b32 v20, v8, v12, s22
	v_dual_cndmask_b32 v12, v7, v10, s22 :: v_dual_cndmask_b32 v21, v13, v8, s22
	v_cndmask_b32_e64 v13, v11, v7, s22
	v_cndmask_b32_e64 v41, v23, v6, s22
	s_delay_alu instid0(VALU_DEP_4)
	v_cmpx_lt_u32_e64 v20, v39
	s_cbranch_execz .LBB993_314
; %bb.307:
	v_cmp_lt_u32_e64 s23, v21, v38
	s_xor_b32 s0, s5, -1
	s_delay_alu instid0(SALU_CYCLE_1) | instskip(NEXT) | instid1(SALU_CYCLE_1)
	s_and_b32 s0, s23, s0
	s_and_saveexec_b32 s26, s0
	s_cbranch_execz .LBB993_313
; %bb.308:
	v_mad_nc_u64_u32 v[6:7], v40, s12, s[14:15]
	v_mad_nc_u64_u32 v[8:9], v41, s12, s[14:15]
	s_mov_b32 s27, 0
	s_mov_b64 s[6:7], s[12:13]
                                        ; implicit-def: $sgpr28
                                        ; implicit-def: $sgpr29
                                        ; implicit-def: $sgpr30
                                        ; implicit-def: $sgpr31
	s_delay_alu instid0(VALU_DEP_2) | instskip(NEXT) | instid1(VALU_DEP_2)
	v_mad_u32 v7, v12, s12, v7
	v_mad_u32 v9, v13, s12, v9
	s_delay_alu instid0(VALU_DEP_2) | instskip(NEXT) | instid1(VALU_DEP_2)
	v_mad_u32 v7, v40, s13, v7
	v_mad_u32 v9, v41, s13, v9
	s_branch .LBB993_310
.LBB993_309:                            ;   in Loop: Header=BB993_310 Depth=1
	s_or_b32 exec_lo, exec_lo, s0
	s_delay_alu instid0(SALU_CYCLE_1) | instskip(NEXT) | instid1(SALU_CYCLE_1)
	s_and_b32 s0, exec_lo, s29
	s_or_b32 s27, s0, s27
	s_and_not1_b32 s0, s31, exec_lo
	s_and_b32 s31, s33, exec_lo
	s_and_not1_b32 s28, s28, exec_lo
	s_and_b32 s33, s30, exec_lo
	s_or_b32 s31, s0, s31
	s_or_b32 s28, s28, s33
	s_and_not1_b32 exec_lo, exec_lo, s27
	s_cbranch_execz .LBB993_312
.LBB993_310:                            ; =>This Inner Loop Header: Depth=1
	global_load_u8 v42, v[6:7], off
	global_load_u8 v43, v[8:9], off
	s_and_not1_b32 s30, s30, exec_lo
	s_or_b32 s29, s29, exec_lo
	s_wait_loadcnt 0x1
	v_cmp_eq_u16_e32 vcc_lo, 0, v42
	s_wait_loadcnt 0x0
	v_cmp_ne_u16_e64 s0, 0, v43
	s_or_b32 s33, vcc_lo, s0
	s_and_b32 s34, vcc_lo, s0
	s_and_b32 s33, s33, s31
	s_xor_b32 s35, vcc_lo, s0
	s_or_b32 s33, s34, s33
	s_delay_alu instid0(SALU_CYCLE_1) | instskip(NEXT) | instid1(SALU_CYCLE_1)
	s_and_b32 s34, s33, exec_lo
	s_or_b32 s30, s30, s34
	s_and_saveexec_b32 s0, s35
	s_cbranch_execz .LBB993_309
; %bb.311:                              ;   in Loop: Header=BB993_310 Depth=1
	s_add_nc_u64 s[6:7], s[6:7], -1
	v_add_nc_u64_e32 v[6:7], 1, v[6:7]
	s_cmp_eq_u64 s[6:7], 0
	v_add_nc_u64_e32 v[8:9], 1, v[8:9]
	s_cselect_b32 s31, -1, 0
	s_and_not1_b32 s29, s29, exec_lo
	s_and_b32 s31, s31, exec_lo
	s_and_not1_b32 s30, s30, exec_lo
	s_or_b32 s29, s29, s31
                                        ; implicit-def: $sgpr31
	s_branch .LBB993_309
.LBB993_312:
	s_or_b32 exec_lo, exec_lo, s27
	s_xor_b32 s0, s28, -1
	s_and_not1_b32 s6, s23, exec_lo
	s_and_b32 s0, s0, exec_lo
	s_delay_alu instid0(SALU_CYCLE_1)
	s_or_b32 s23, s6, s0
.LBB993_313:
	s_or_b32 exec_lo, exec_lo, s26
	s_delay_alu instid0(SALU_CYCLE_1)
	s_or_not1_b32 s23, s23, exec_lo
.LBB993_314:
	s_or_b32 exec_lo, exec_lo, s25
	v_dual_cndmask_b32 v6, v20, v21, s23 :: v_dual_cndmask_b32 v7, v39, v38, s23
	s_mov_b32 s25, exec_lo
	s_delay_alu instid0(VALU_DEP_1) | instskip(NEXT) | instid1(VALU_DEP_1)
	v_add_nc_u32_e32 v8, 1, v6
	v_add_min_u32_e64 v6, v7, -1, v8
	s_delay_alu instid0(VALU_DEP_1)
	v_lshl_add_u32 v6, v6, 3, v34
	ds_load_b64 v[6:7], v6
	s_wait_dscnt 0x0
	v_cndmask_b32_e64 v42, v7, v12, s23
	v_dual_cndmask_b32 v20, v8, v20, s23 :: v_dual_cndmask_b32 v44, v13, v7, s23
	v_cndmask_b32_e64 v21, v21, v8, s23
	v_dual_cndmask_b32 v43, v6, v40, s23 :: v_dual_cndmask_b32 v45, v41, v6, s23
	s_delay_alu instid0(VALU_DEP_3)
	v_cmpx_lt_u32_e64 v20, v39
	s_cbranch_execz .LBB993_322
; %bb.315:
	s_delay_alu instid0(VALU_DEP_3) | instskip(SKIP_1) | instid1(SALU_CYCLE_1)
	v_cmp_lt_u32_e64 s24, v21, v38
	s_xor_b32 s0, s5, -1
	s_and_b32 s0, s24, s0
	s_delay_alu instid0(SALU_CYCLE_1)
	s_and_saveexec_b32 s26, s0
	s_cbranch_execz .LBB993_321
; %bb.316:
	v_mad_nc_u64_u32 v[6:7], v43, s12, s[14:15]
	v_mad_nc_u64_u32 v[8:9], v45, s12, s[14:15]
	s_mov_b32 s27, 0
	s_mov_b64 s[6:7], s[12:13]
                                        ; implicit-def: $sgpr28
                                        ; implicit-def: $sgpr29
                                        ; implicit-def: $sgpr30
                                        ; implicit-def: $sgpr31
	s_delay_alu instid0(VALU_DEP_2) | instskip(NEXT) | instid1(VALU_DEP_2)
	v_mad_u32 v7, v42, s12, v7
	v_mad_u32 v9, v44, s12, v9
	s_delay_alu instid0(VALU_DEP_2) | instskip(NEXT) | instid1(VALU_DEP_2)
	v_mad_u32 v7, v43, s13, v7
	v_mad_u32 v9, v45, s13, v9
	s_branch .LBB993_318
.LBB993_317:                            ;   in Loop: Header=BB993_318 Depth=1
	s_or_b32 exec_lo, exec_lo, s0
	s_delay_alu instid0(SALU_CYCLE_1) | instskip(NEXT) | instid1(SALU_CYCLE_1)
	s_and_b32 s0, exec_lo, s29
	s_or_b32 s27, s0, s27
	s_and_not1_b32 s0, s31, exec_lo
	s_and_b32 s31, s33, exec_lo
	s_and_not1_b32 s28, s28, exec_lo
	s_and_b32 s33, s30, exec_lo
	s_or_b32 s31, s0, s31
	s_or_b32 s28, s28, s33
	s_and_not1_b32 exec_lo, exec_lo, s27
	s_cbranch_execz .LBB993_320
.LBB993_318:                            ; =>This Inner Loop Header: Depth=1
	global_load_u8 v46, v[6:7], off
	global_load_u8 v47, v[8:9], off
	s_and_not1_b32 s30, s30, exec_lo
	s_or_b32 s29, s29, exec_lo
	s_wait_loadcnt 0x1
	v_cmp_eq_u16_e32 vcc_lo, 0, v46
	s_wait_loadcnt 0x0
	v_cmp_ne_u16_e64 s0, 0, v47
	s_or_b32 s33, vcc_lo, s0
	s_and_b32 s34, vcc_lo, s0
	s_and_b32 s33, s33, s31
	s_xor_b32 s35, vcc_lo, s0
	s_or_b32 s33, s34, s33
	s_delay_alu instid0(SALU_CYCLE_1) | instskip(NEXT) | instid1(SALU_CYCLE_1)
	s_and_b32 s34, s33, exec_lo
	s_or_b32 s30, s30, s34
	s_and_saveexec_b32 s0, s35
	s_cbranch_execz .LBB993_317
; %bb.319:                              ;   in Loop: Header=BB993_318 Depth=1
	s_add_nc_u64 s[6:7], s[6:7], -1
	v_add_nc_u64_e32 v[6:7], 1, v[6:7]
	s_cmp_eq_u64 s[6:7], 0
	v_add_nc_u64_e32 v[8:9], 1, v[8:9]
	s_cselect_b32 s31, -1, 0
	s_and_not1_b32 s29, s29, exec_lo
	s_and_b32 s31, s31, exec_lo
	s_and_not1_b32 s30, s30, exec_lo
	s_or_b32 s29, s29, s31
                                        ; implicit-def: $sgpr31
	s_branch .LBB993_317
.LBB993_320:
	s_or_b32 exec_lo, exec_lo, s27
	s_xor_b32 s0, s28, -1
	s_and_not1_b32 s6, s24, exec_lo
	s_and_b32 s0, s0, exec_lo
	s_delay_alu instid0(SALU_CYCLE_1)
	s_or_b32 s24, s6, s0
.LBB993_321:
	s_or_b32 exec_lo, exec_lo, s26
	s_delay_alu instid0(SALU_CYCLE_1)
	s_or_not1_b32 s24, s24, exec_lo
.LBB993_322:
	s_or_b32 exec_lo, exec_lo, s25
	v_dual_cndmask_b32 v6, v20, v21, s24 :: v_dual_cndmask_b32 v7, v39, v38, s24
	s_mov_b32 s25, -1
	s_mov_b32 s26, -1
	s_mov_b32 s27, exec_lo
	s_delay_alu instid0(VALU_DEP_1) | instskip(NEXT) | instid1(VALU_DEP_1)
	v_add_nc_u32_e32 v8, 1, v6
	v_add_min_u32_e64 v6, v7, -1, v8
	s_delay_alu instid0(VALU_DEP_1)
	v_lshl_add_u32 v6, v6, 3, v34
	ds_load_b64 v[6:7], v6
	s_wait_dscnt 0x0
	v_dual_cndmask_b32 v46, v7, v42, s24 :: v_dual_cndmask_b32 v47, v6, v43, s24
	v_cndmask_b32_e64 v20, v8, v20, s24
	v_dual_cndmask_b32 v21, v21, v8, s24 :: v_dual_cndmask_b32 v48, v44, v7, s24
	v_cndmask_b32_e64 v49, v45, v6, s24
	s_delay_alu instid0(VALU_DEP_3)
	v_cmpx_lt_u32_e64 v20, v39
	s_cbranch_execz .LBB993_330
; %bb.323:
	s_delay_alu instid0(VALU_DEP_3) | instskip(SKIP_1) | instid1(SALU_CYCLE_1)
	v_cmp_lt_u32_e64 s26, v21, v38
	s_xor_b32 s0, s5, -1
	s_and_b32 s0, s26, s0
	s_delay_alu instid0(SALU_CYCLE_1)
	s_and_saveexec_b32 s28, s0
	s_cbranch_execz .LBB993_329
; %bb.324:
	v_mad_nc_u64_u32 v[6:7], v47, s12, s[14:15]
	v_mad_nc_u64_u32 v[8:9], v49, s12, s[14:15]
	s_mov_b32 s29, 0
	s_mov_b64 s[6:7], s[12:13]
                                        ; implicit-def: $sgpr30
                                        ; implicit-def: $sgpr31
                                        ; implicit-def: $sgpr33
                                        ; implicit-def: $sgpr34
	s_delay_alu instid0(VALU_DEP_2) | instskip(NEXT) | instid1(VALU_DEP_2)
	v_mad_u32 v7, v46, s12, v7
	v_mad_u32 v9, v48, s12, v9
	s_delay_alu instid0(VALU_DEP_2) | instskip(NEXT) | instid1(VALU_DEP_2)
	v_mad_u32 v7, v47, s13, v7
	v_mad_u32 v9, v49, s13, v9
	s_branch .LBB993_326
.LBB993_325:                            ;   in Loop: Header=BB993_326 Depth=1
	s_or_b32 exec_lo, exec_lo, s0
	s_delay_alu instid0(SALU_CYCLE_1) | instskip(NEXT) | instid1(SALU_CYCLE_1)
	s_and_b32 s0, exec_lo, s31
	s_or_b32 s29, s0, s29
	s_and_not1_b32 s0, s34, exec_lo
	s_and_b32 s34, s35, exec_lo
	s_and_not1_b32 s30, s30, exec_lo
	s_and_b32 s35, s33, exec_lo
	s_or_b32 s34, s0, s34
	s_or_b32 s30, s30, s35
	s_and_not1_b32 exec_lo, exec_lo, s29
	s_cbranch_execz .LBB993_328
.LBB993_326:                            ; =>This Inner Loop Header: Depth=1
	global_load_u8 v50, v[6:7], off
	global_load_u8 v51, v[8:9], off
	s_and_not1_b32 s33, s33, exec_lo
	s_or_b32 s31, s31, exec_lo
	s_wait_loadcnt 0x1
	v_cmp_eq_u16_e32 vcc_lo, 0, v50
	s_wait_loadcnt 0x0
	v_cmp_ne_u16_e64 s0, 0, v51
	s_or_b32 s35, vcc_lo, s0
	s_and_b32 s36, vcc_lo, s0
	s_and_b32 s35, s35, s34
	s_xor_b32 s37, vcc_lo, s0
	s_or_b32 s35, s36, s35
	s_delay_alu instid0(SALU_CYCLE_1) | instskip(NEXT) | instid1(SALU_CYCLE_1)
	s_and_b32 s36, s35, exec_lo
	s_or_b32 s33, s33, s36
	s_and_saveexec_b32 s0, s37
	s_cbranch_execz .LBB993_325
; %bb.327:                              ;   in Loop: Header=BB993_326 Depth=1
	s_add_nc_u64 s[6:7], s[6:7], -1
	v_add_nc_u64_e32 v[6:7], 1, v[6:7]
	s_cmp_eq_u64 s[6:7], 0
	v_add_nc_u64_e32 v[8:9], 1, v[8:9]
	s_cselect_b32 s34, -1, 0
	s_and_not1_b32 s31, s31, exec_lo
	s_and_b32 s34, s34, exec_lo
	s_and_not1_b32 s33, s33, exec_lo
	s_or_b32 s31, s31, s34
                                        ; implicit-def: $sgpr34
	s_branch .LBB993_325
.LBB993_328:
	s_or_b32 exec_lo, exec_lo, s29
	s_xor_b32 s0, s30, -1
	s_and_not1_b32 s6, s26, exec_lo
	s_and_b32 s0, s0, exec_lo
	s_delay_alu instid0(SALU_CYCLE_1)
	s_or_b32 s26, s6, s0
.LBB993_329:
	s_or_b32 exec_lo, exec_lo, s28
	s_delay_alu instid0(SALU_CYCLE_1)
	s_or_not1_b32 s26, s26, exec_lo
.LBB993_330:
	s_or_b32 exec_lo, exec_lo, s27
	v_dual_cndmask_b32 v6, v20, v21, s26 :: v_dual_cndmask_b32 v7, v39, v38, s26
	s_mov_b32 s27, exec_lo
	s_delay_alu instid0(VALU_DEP_1) | instskip(NEXT) | instid1(VALU_DEP_1)
	v_add_nc_u32_e32 v8, 1, v6
	v_add_min_u32_e64 v6, v7, -1, v8
	s_delay_alu instid0(VALU_DEP_1)
	v_lshl_add_u32 v6, v6, 3, v34
	ds_load_b64 v[6:7], v6
	s_wait_dscnt 0x0
	v_dual_cndmask_b32 v51, v7, v46, s26 :: v_dual_cndmask_b32 v52, v6, v47, s26
	v_cndmask_b32_e64 v53, v8, v20, s26
	v_dual_cndmask_b32 v50, v21, v8, s26 :: v_dual_cndmask_b32 v54, v48, v7, s26
	v_cndmask_b32_e64 v55, v49, v6, s26
	s_delay_alu instid0(VALU_DEP_3)
	v_cmpx_lt_u32_e64 v53, v39
	s_cbranch_execz .LBB993_338
; %bb.331:
	s_delay_alu instid0(VALU_DEP_3) | instskip(SKIP_1) | instid1(SALU_CYCLE_1)
	v_cmp_lt_u32_e64 s25, v50, v38
	s_xor_b32 s0, s5, -1
	s_and_b32 s0, s25, s0
	s_delay_alu instid0(SALU_CYCLE_1)
	s_and_saveexec_b32 s28, s0
	s_cbranch_execz .LBB993_337
; %bb.332:
	v_mad_nc_u64_u32 v[6:7], v52, s12, s[14:15]
	v_mad_nc_u64_u32 v[8:9], v55, s12, s[14:15]
	s_mov_b32 s29, 0
	s_mov_b64 s[6:7], s[12:13]
                                        ; implicit-def: $sgpr30
                                        ; implicit-def: $sgpr31
                                        ; implicit-def: $sgpr33
                                        ; implicit-def: $sgpr34
	s_delay_alu instid0(VALU_DEP_2) | instskip(NEXT) | instid1(VALU_DEP_2)
	v_mad_u32 v7, v51, s12, v7
	v_mad_u32 v9, v54, s12, v9
	s_delay_alu instid0(VALU_DEP_2) | instskip(NEXT) | instid1(VALU_DEP_2)
	v_mad_u32 v7, v52, s13, v7
	v_mad_u32 v9, v55, s13, v9
	s_branch .LBB993_334
.LBB993_333:                            ;   in Loop: Header=BB993_334 Depth=1
	s_or_b32 exec_lo, exec_lo, s0
	s_delay_alu instid0(SALU_CYCLE_1) | instskip(NEXT) | instid1(SALU_CYCLE_1)
	s_and_b32 s0, exec_lo, s31
	s_or_b32 s29, s0, s29
	s_and_not1_b32 s0, s34, exec_lo
	s_and_b32 s34, s35, exec_lo
	s_and_not1_b32 s30, s30, exec_lo
	s_and_b32 s35, s33, exec_lo
	s_or_b32 s34, s0, s34
	s_or_b32 s30, s30, s35
	s_and_not1_b32 exec_lo, exec_lo, s29
	s_cbranch_execz .LBB993_336
.LBB993_334:                            ; =>This Inner Loop Header: Depth=1
	global_load_u8 v20, v[6:7], off
	global_load_u8 v21, v[8:9], off
	s_and_not1_b32 s33, s33, exec_lo
	s_or_b32 s31, s31, exec_lo
	s_wait_loadcnt 0x1
	v_cmp_eq_u16_e32 vcc_lo, 0, v20
	s_wait_loadcnt 0x0
	v_cmp_ne_u16_e64 s0, 0, v21
	s_or_b32 s35, vcc_lo, s0
	s_and_b32 s36, vcc_lo, s0
	s_and_b32 s35, s35, s34
	s_xor_b32 s37, vcc_lo, s0
	s_or_b32 s35, s36, s35
	s_delay_alu instid0(SALU_CYCLE_1) | instskip(NEXT) | instid1(SALU_CYCLE_1)
	s_and_b32 s36, s35, exec_lo
	s_or_b32 s33, s33, s36
	s_and_saveexec_b32 s0, s37
	s_cbranch_execz .LBB993_333
; %bb.335:                              ;   in Loop: Header=BB993_334 Depth=1
	s_add_nc_u64 s[6:7], s[6:7], -1
	v_add_nc_u64_e32 v[6:7], 1, v[6:7]
	s_cmp_eq_u64 s[6:7], 0
	v_add_nc_u64_e32 v[8:9], 1, v[8:9]
	s_cselect_b32 s34, -1, 0
	s_and_not1_b32 s31, s31, exec_lo
	s_and_b32 s34, s34, exec_lo
	s_and_not1_b32 s33, s33, exec_lo
	s_or_b32 s31, s31, s34
                                        ; implicit-def: $sgpr34
	s_branch .LBB993_333
.LBB993_336:
	s_or_b32 exec_lo, exec_lo, s29
	s_xor_b32 s0, s30, -1
	s_and_not1_b32 s6, s25, exec_lo
	s_and_b32 s0, s0, exec_lo
	s_delay_alu instid0(SALU_CYCLE_1)
	s_or_b32 s25, s6, s0
.LBB993_337:
	s_or_b32 exec_lo, exec_lo, s28
	s_delay_alu instid0(SALU_CYCLE_1)
	s_or_not1_b32 s25, s25, exec_lo
.LBB993_338:
	s_or_b32 exec_lo, exec_lo, s27
	v_dual_cndmask_b32 v6, v53, v50, s25 :: v_dual_cndmask_b32 v9, v46, v48, s26
	v_dual_cndmask_b32 v7, v39, v38, s25 :: v_dual_cndmask_b32 v13, v12, v13, s23
	;; [unrolled: 1-line block ×3, first 2 shown]
	s_delay_alu instid0(VALU_DEP_3) | instskip(SKIP_2) | instid1(VALU_DEP_3)
	v_dual_add_nc_u32 v56, 1, v6 :: v_dual_cndmask_b32 v8, v47, v49, s26
	v_dual_cndmask_b32 v10, v17, v23, s22 :: v_dual_cndmask_b32 v17, v14, v16, s21
	v_dual_cndmask_b32 v16, v15, v22, s21 :: v_dual_cndmask_b32 v15, v5, v3, s1
	v_add_min_u32_e64 v6, v7, -1, v56
	v_dual_cndmask_b32 v7, v42, v44, s24 :: v_dual_cndmask_b32 v22, v56, v53, s25
	v_cndmask_b32_e64 v3, v51, v54, s25
	s_delay_alu instid0(VALU_DEP_3)
	v_lshl_add_u32 v6, v6, 3, v34
	ds_load_b64 v[20:21], v6
	v_dual_cndmask_b32 v6, v43, v45, s24 :: v_dual_cndmask_b32 v14, v4, v2, s1
	v_cndmask_b32_e64 v2, v52, v55, s25
	s_mov_b32 s1, exec_lo
	s_wait_dscnt 0x0
	v_dual_cndmask_b32 v5, v54, v21, s25 :: v_dual_cndmask_b32 v4, v55, v20, s25
	v_cmpx_lt_u32_e64 v22, v39
	s_cbranch_execz .LBB993_346
; %bb.339:
	v_dual_cndmask_b32 v22, v50, v56, s25 :: v_dual_cndmask_b32 v39, v21, v51, s25
	s_delay_alu instid0(VALU_DEP_1) | instskip(NEXT) | instid1(VALU_DEP_2)
	v_cmp_ge_u32_e32 vcc_lo, v22, v38
	v_dual_cndmask_b32 v40, v20, v52, s25 :: v_dual_cndmask_b32 v21, v5, v39, vcc_lo
	s_delay_alu instid0(VALU_DEP_1) | instskip(SKIP_1) | instid1(SALU_CYCLE_1)
	v_cndmask_b32_e32 v20, v4, v40, vcc_lo
	s_nor_b32 s0, vcc_lo, s5
	s_and_saveexec_b32 s21, s0
	s_cbranch_execz .LBB993_345
; %bb.340:
	v_mad_nc_u64_u32 v[20:21], v40, s12, s[14:15]
	v_mad_nc_u64_u32 v[22:23], v4, s12, s[14:15]
	s_mov_b32 s22, 0
	s_mov_b64 s[6:7], s[12:13]
                                        ; implicit-def: $sgpr23
                                        ; implicit-def: $sgpr24
                                        ; implicit-def: $sgpr25
                                        ; implicit-def: $sgpr26
	s_delay_alu instid0(VALU_DEP_2) | instskip(NEXT) | instid1(VALU_DEP_2)
	v_mad_u32 v21, v39, s12, v21
	v_mad_u32 v23, v5, s12, v23
	s_delay_alu instid0(VALU_DEP_2) | instskip(NEXT) | instid1(VALU_DEP_2)
	v_mad_u32 v21, v40, s13, v21
	v_mad_u32 v23, v4, s13, v23
	s_branch .LBB993_342
.LBB993_341:                            ;   in Loop: Header=BB993_342 Depth=1
	s_or_b32 exec_lo, exec_lo, s0
	s_delay_alu instid0(SALU_CYCLE_1) | instskip(NEXT) | instid1(SALU_CYCLE_1)
	s_and_b32 s0, exec_lo, s24
	s_or_b32 s22, s0, s22
	s_and_not1_b32 s0, s26, exec_lo
	s_and_b32 s26, s27, exec_lo
	s_and_not1_b32 s23, s23, exec_lo
	s_and_b32 s27, s25, exec_lo
	s_or_b32 s26, s0, s26
	s_or_b32 s23, s23, s27
	s_and_not1_b32 exec_lo, exec_lo, s22
	s_cbranch_execz .LBB993_344
.LBB993_342:                            ; =>This Inner Loop Header: Depth=1
	global_load_u8 v38, v[20:21], off
	global_load_u8 v41, v[22:23], off
	s_and_not1_b32 s25, s25, exec_lo
	s_or_b32 s24, s24, exec_lo
	s_wait_loadcnt 0x1
	v_cmp_eq_u16_e32 vcc_lo, 0, v38
	s_wait_loadcnt 0x0
	v_cmp_ne_u16_e64 s0, 0, v41
	s_or_b32 s27, vcc_lo, s0
	s_and_b32 s28, vcc_lo, s0
	s_and_b32 s27, s27, s26
	s_xor_b32 s29, vcc_lo, s0
	s_or_b32 s27, s28, s27
	s_delay_alu instid0(SALU_CYCLE_1) | instskip(NEXT) | instid1(SALU_CYCLE_1)
	s_and_b32 s28, s27, exec_lo
	s_or_b32 s25, s25, s28
	s_and_saveexec_b32 s0, s29
	s_cbranch_execz .LBB993_341
; %bb.343:                              ;   in Loop: Header=BB993_342 Depth=1
	s_add_nc_u64 s[6:7], s[6:7], -1
	v_add_nc_u64_e32 v[20:21], 1, v[20:21]
	s_cmp_eq_u64 s[6:7], 0
	v_add_nc_u64_e32 v[22:23], 1, v[22:23]
	s_cselect_b32 s26, -1, 0
	s_and_not1_b32 s24, s24, exec_lo
	s_and_b32 s26, s26, exec_lo
	s_and_not1_b32 s25, s25, exec_lo
	s_or_b32 s24, s24, s26
                                        ; implicit-def: $sgpr26
	s_branch .LBB993_341
.LBB993_344:
	s_or_b32 exec_lo, exec_lo, s22
	v_dual_cndmask_b32 v21, v5, v39, s23 :: v_dual_cndmask_b32 v20, v4, v40, s23
.LBB993_345:
	s_or_b32 exec_lo, exec_lo, s21
	s_delay_alu instid0(VALU_DEP_1)
	v_mov_b64_e32 v[4:5], v[20:21]
.LBB993_346:
	s_or_b32 exec_lo, exec_lo, s1
.LBB993_347:
	s_delay_alu instid0(SALU_CYCLE_1)
	s_or_b32 exec_lo, exec_lo, s20
	v_and_b32_e32 v42, 0xc0, v36
	s_mov_b32 s1, exec_lo
	; wave barrier
	ds_store_b128 v37, v[14:17]
	ds_store_b128 v37, v[10:13] offset:16
	v_or_b32_e32 v20, 32, v42
	v_lshl_add_u32 v41, v42, 3, v34
	ds_store_b128 v37, v[6:9] offset:32
	ds_store_b128 v37, v[2:5] offset:48
	; wave barrier
	v_min_u32_e32 v38, v35, v20
	v_and_b32_e32 v20, 56, v36
	s_delay_alu instid0(VALU_DEP_2) | instskip(NEXT) | instid1(VALU_DEP_2)
	v_add_min_u32_e64 v39, v38, 32, v35
	v_min_u32_e32 v43, v35, v20
	v_sub_nc_u32_e32 v21, v38, v42
	s_delay_alu instid0(VALU_DEP_3) | instskip(NEXT) | instid1(VALU_DEP_2)
	v_sub_nc_u32_e32 v20, v39, v38
	v_min_u32_e32 v44, v43, v21
	s_delay_alu instid0(VALU_DEP_2) | instskip(NEXT) | instid1(VALU_DEP_1)
	v_sub_nc_u32_e64 v40, v43, v20 clamp
	v_cmpx_lt_u32_e64 v40, v44
	s_cbranch_execz .LBB993_357
; %bb.348:
	v_dual_lshlrev_b32 v20, 3, v38 :: v_dual_lshlrev_b32 v21, 3, v43
	s_mov_b32 s20, 0
	s_delay_alu instid0(VALU_DEP_1)
	v_add3_u32 v45, v34, v20, v21
	s_branch .LBB993_351
.LBB993_349:                            ;   in Loop: Header=BB993_351 Depth=1
	s_or_b32 exec_lo, exec_lo, s22
.LBB993_350:                            ;   in Loop: Header=BB993_351 Depth=1
	s_delay_alu instid0(VALU_DEP_1) | instskip(NEXT) | instid1(VALU_DEP_1)
	v_dual_add_nc_u32 v20, 1, v46 :: v_dual_cndmask_b32 v44, v44, v46, s21
	v_cndmask_b32_e64 v40, v20, v40, s21
	s_delay_alu instid0(VALU_DEP_1) | instskip(SKIP_1) | instid1(SALU_CYCLE_1)
	v_cmp_ge_u32_e32 vcc_lo, v40, v44
	s_or_b32 s20, vcc_lo, s20
	s_and_not1_b32 exec_lo, exec_lo, s20
	s_cbranch_execz .LBB993_356
.LBB993_351:                            ; =>This Loop Header: Depth=1
                                        ;     Child Loop BB993_354 Depth 2
	v_add_nc_u32_e32 v20, v44, v40
	v_cmp_ne_u32_e32 vcc_lo, 1, v33
	s_mov_b32 s21, 0
	s_delay_alu instid0(VALU_DEP_2)
	v_lshrrev_b32_e32 v46, 1, v20
	s_cbranch_vccnz .LBB993_350
; %bb.352:                              ;   in Loop: Header=BB993_351 Depth=1
	s_delay_alu instid0(VALU_DEP_1) | instskip(SKIP_3) | instid1(VALU_DEP_2)
	v_not_b32_e32 v20, v46
	v_lshl_add_u32 v21, v46, 3, v41
	s_mov_b32 s22, 0
	s_mov_b64 s[6:7], s[12:13]
                                        ; implicit-def: $sgpr21
                                        ; implicit-def: $sgpr23
                                        ; implicit-def: $sgpr24
                                        ; implicit-def: $sgpr25
	v_lshl_add_u32 v20, v20, 3, v45
	ds_load_b64 v[48:49], v20
	ds_load_b64 v[50:51], v21
	s_wait_dscnt 0x1
	v_mad_nc_u64_u32 v[20:21], v48, s12, s[14:15]
	s_wait_dscnt 0x0
	v_mad_nc_u64_u32 v[22:23], v50, s12, s[14:15]
	s_delay_alu instid0(VALU_DEP_2) | instskip(NEXT) | instid1(VALU_DEP_2)
	v_mad_u32 v21, v49, s12, v21
	v_mad_u32 v23, v51, s12, v23
	s_delay_alu instid0(VALU_DEP_2) | instskip(NEXT) | instid1(VALU_DEP_2)
	v_mad_u32 v21, v48, s13, v21
	v_mad_u32 v23, v50, s13, v23
	s_branch .LBB993_354
.LBB993_353:                            ;   in Loop: Header=BB993_354 Depth=2
	s_or_b32 exec_lo, exec_lo, s0
	s_delay_alu instid0(SALU_CYCLE_1) | instskip(NEXT) | instid1(SALU_CYCLE_1)
	s_and_b32 s0, exec_lo, s23
	s_or_b32 s22, s0, s22
	s_and_not1_b32 s0, s25, exec_lo
	s_and_b32 s25, s26, exec_lo
	s_and_not1_b32 s21, s21, exec_lo
	s_and_b32 s26, s24, exec_lo
	s_or_b32 s25, s0, s25
	s_or_b32 s21, s21, s26
	s_and_not1_b32 exec_lo, exec_lo, s22
	s_cbranch_execz .LBB993_349
.LBB993_354:                            ;   Parent Loop BB993_351 Depth=1
                                        ; =>  This Inner Loop Header: Depth=2
	global_load_u8 v47, v[20:21], off
	global_load_u8 v48, v[22:23], off
	s_and_not1_b32 s24, s24, exec_lo
	s_or_b32 s23, s23, exec_lo
	s_wait_loadcnt 0x1
	v_cmp_eq_u16_e32 vcc_lo, 0, v47
	s_wait_loadcnt 0x0
	v_cmp_ne_u16_e64 s0, 0, v48
	s_or_b32 s26, vcc_lo, s0
	s_and_b32 s27, vcc_lo, s0
	s_and_b32 s26, s26, s25
	s_xor_b32 s28, vcc_lo, s0
	s_or_b32 s26, s27, s26
	s_delay_alu instid0(SALU_CYCLE_1) | instskip(NEXT) | instid1(SALU_CYCLE_1)
	s_and_b32 s27, s26, exec_lo
	s_or_b32 s24, s24, s27
	s_and_saveexec_b32 s0, s28
	s_cbranch_execz .LBB993_353
; %bb.355:                              ;   in Loop: Header=BB993_354 Depth=2
	s_add_nc_u64 s[6:7], s[6:7], -1
	v_add_nc_u64_e32 v[20:21], 1, v[20:21]
	s_cmp_eq_u64 s[6:7], 0
	v_add_nc_u64_e32 v[22:23], 1, v[22:23]
	s_cselect_b32 s25, -1, 0
	s_and_not1_b32 s23, s23, exec_lo
	s_and_b32 s25, s25, exec_lo
	s_and_not1_b32 s24, s24, exec_lo
	s_or_b32 s23, s23, s25
                                        ; implicit-def: $sgpr25
	s_branch .LBB993_353
.LBB993_356:
	s_or_b32 exec_lo, exec_lo, s20
.LBB993_357:
	s_delay_alu instid0(SALU_CYCLE_1) | instskip(SKIP_1) | instid1(VALU_DEP_1)
	s_or_b32 exec_lo, exec_lo, s1
	v_dual_add_nc_u32 v21, v38, v43 :: v_dual_add_nc_u32 v20, v40, v42
	v_sub_nc_u32_e32 v21, v21, v40
	s_delay_alu instid0(VALU_DEP_2) | instskip(NEXT) | instid1(VALU_DEP_2)
	v_cmp_le_u32_e32 vcc_lo, v20, v38
	v_cmp_le_u32_e64 s0, v21, v39
	s_or_b32 s0, vcc_lo, s0
	s_delay_alu instid0(SALU_CYCLE_1)
	s_and_saveexec_b32 s20, s0
	s_cbranch_execz .LBB993_425
; %bb.358:
	s_mov_b32 s1, exec_lo
	v_cmp_ge_u32_e32 vcc_lo, v20, v38
                                        ; implicit-def: $vgpr2_vgpr3
	v_cmpx_lt_u32_e64 v20, v38
; %bb.359:
	v_lshl_add_u32 v2, v40, 3, v41
	ds_load_b64 v[2:3], v2
; %bb.360:
	s_or_b32 exec_lo, exec_lo, s1
	v_cmp_ge_u32_e64 s0, v21, v39
	s_mov_b32 s6, exec_lo
                                        ; implicit-def: $vgpr4_vgpr5
	v_cmpx_lt_u32_e64 v21, v39
; %bb.361:
	v_lshl_add_u32 v4, v21, 3, v34
	ds_load_b64 v[4:5], v4
; %bb.362:
	s_or_b32 exec_lo, exec_lo, s6
	s_or_b32 s1, vcc_lo, s0
	s_xor_b32 s6, vcc_lo, -1
	s_nor_b32 s7, s1, s5
	s_or_b32 s1, s0, s6
	s_and_saveexec_b32 s21, s7
	s_cbranch_execz .LBB993_368
; %bb.363:
	s_wait_dscnt 0x0
	v_mad_nc_u64_u32 v[6:7], v4, s12, s[14:15]
	v_mad_nc_u64_u32 v[8:9], v2, s12, s[14:15]
	s_mov_b32 s22, 0
	s_mov_b64 s[6:7], s[12:13]
                                        ; implicit-def: $sgpr23
                                        ; implicit-def: $sgpr24
                                        ; implicit-def: $sgpr25
                                        ; implicit-def: $sgpr26
	s_delay_alu instid0(VALU_DEP_2) | instskip(NEXT) | instid1(VALU_DEP_2)
	v_mad_u32 v7, v5, s12, v7
	v_mad_u32 v9, v3, s12, v9
	s_delay_alu instid0(VALU_DEP_2) | instskip(NEXT) | instid1(VALU_DEP_2)
	v_mad_u32 v7, v4, s13, v7
	v_mad_u32 v9, v2, s13, v9
	s_branch .LBB993_365
.LBB993_364:                            ;   in Loop: Header=BB993_365 Depth=1
	s_or_b32 exec_lo, exec_lo, s0
	s_delay_alu instid0(SALU_CYCLE_1) | instskip(NEXT) | instid1(SALU_CYCLE_1)
	s_and_b32 s0, exec_lo, s24
	s_or_b32 s22, s0, s22
	s_and_not1_b32 s0, s26, exec_lo
	s_and_b32 s26, s27, exec_lo
	s_and_not1_b32 s23, s23, exec_lo
	s_and_b32 s27, s25, exec_lo
	s_or_b32 s26, s0, s26
	s_or_b32 s23, s23, s27
	s_and_not1_b32 exec_lo, exec_lo, s22
	s_cbranch_execz .LBB993_367
.LBB993_365:                            ; =>This Inner Loop Header: Depth=1
	global_load_u8 v10, v[6:7], off
	global_load_u8 v11, v[8:9], off
	s_and_not1_b32 s25, s25, exec_lo
	s_or_b32 s24, s24, exec_lo
	s_wait_loadcnt 0x1
	v_cmp_eq_u16_e32 vcc_lo, 0, v10
	s_wait_loadcnt 0x0
	v_cmp_ne_u16_e64 s0, 0, v11
	s_or_b32 s27, vcc_lo, s0
	s_and_b32 s28, vcc_lo, s0
	s_and_b32 s27, s27, s26
	s_xor_b32 s29, vcc_lo, s0
	s_or_b32 s27, s28, s27
	s_delay_alu instid0(SALU_CYCLE_1) | instskip(NEXT) | instid1(SALU_CYCLE_1)
	s_and_b32 s28, s27, exec_lo
	s_or_b32 s25, s25, s28
	s_and_saveexec_b32 s0, s29
	s_cbranch_execz .LBB993_364
; %bb.366:                              ;   in Loop: Header=BB993_365 Depth=1
	s_add_nc_u64 s[6:7], s[6:7], -1
	v_add_nc_u64_e32 v[6:7], 1, v[6:7]
	s_cmp_eq_u64 s[6:7], 0
	v_add_nc_u64_e32 v[8:9], 1, v[8:9]
	s_cselect_b32 s26, -1, 0
	s_and_not1_b32 s24, s24, exec_lo
	s_and_b32 s26, s26, exec_lo
	s_and_not1_b32 s25, s25, exec_lo
	s_or_b32 s24, s24, s26
                                        ; implicit-def: $sgpr26
	s_branch .LBB993_364
.LBB993_367:
	s_or_b32 exec_lo, exec_lo, s22
	s_xor_b32 s0, s23, -1
	s_and_not1_b32 s1, s1, exec_lo
	s_and_b32 s0, s0, exec_lo
	s_delay_alu instid0(SALU_CYCLE_1)
	s_or_b32 s1, s1, s0
.LBB993_368:
	s_or_b32 exec_lo, exec_lo, s21
	v_dual_cndmask_b32 v6, v21, v20, s1 :: v_dual_cndmask_b32 v7, v39, v38, s1
	s_mov_b32 s22, -1
	s_mov_b32 s21, -1
	s_mov_b32 s23, exec_lo
	s_delay_alu instid0(VALU_DEP_1) | instskip(NEXT) | instid1(VALU_DEP_1)
	v_add_nc_u32_e32 v8, 1, v6
	v_add_min_u32_e64 v6, v7, -1, v8
	s_delay_alu instid0(VALU_DEP_1)
	v_lshl_add_u32 v6, v6, 3, v34
	ds_load_b64 v[6:7], v6
	s_wait_dscnt 0x0
	v_cndmask_b32_e64 v14, v7, v5, s1
	v_dual_cndmask_b32 v10, v8, v21, s1 :: v_dual_cndmask_b32 v15, v6, v4, s1
	v_dual_cndmask_b32 v11, v20, v8, s1 :: v_dual_cndmask_b32 v16, v3, v7, s1
	v_cndmask_b32_e64 v22, v2, v6, s1
	s_delay_alu instid0(VALU_DEP_3)
	v_cmpx_lt_u32_e64 v10, v39
	s_cbranch_execz .LBB993_376
; %bb.369:
	s_delay_alu instid0(VALU_DEP_3) | instskip(SKIP_1) | instid1(SALU_CYCLE_1)
	v_cmp_lt_u32_e64 s21, v11, v38
	s_xor_b32 s0, s5, -1
	s_and_b32 s0, s21, s0
	s_delay_alu instid0(SALU_CYCLE_1)
	s_and_saveexec_b32 s24, s0
	s_cbranch_execz .LBB993_375
; %bb.370:
	v_mad_nc_u64_u32 v[6:7], v15, s12, s[14:15]
	v_mad_nc_u64_u32 v[8:9], v22, s12, s[14:15]
	s_mov_b32 s25, 0
	s_mov_b64 s[6:7], s[12:13]
                                        ; implicit-def: $sgpr26
                                        ; implicit-def: $sgpr27
                                        ; implicit-def: $sgpr28
                                        ; implicit-def: $sgpr29
	s_delay_alu instid0(VALU_DEP_2) | instskip(NEXT) | instid1(VALU_DEP_2)
	v_mad_u32 v7, v14, s12, v7
	v_mad_u32 v9, v16, s12, v9
	s_delay_alu instid0(VALU_DEP_2) | instskip(NEXT) | instid1(VALU_DEP_2)
	v_mad_u32 v7, v15, s13, v7
	v_mad_u32 v9, v22, s13, v9
	s_branch .LBB993_372
.LBB993_371:                            ;   in Loop: Header=BB993_372 Depth=1
	s_or_b32 exec_lo, exec_lo, s0
	s_delay_alu instid0(SALU_CYCLE_1) | instskip(NEXT) | instid1(SALU_CYCLE_1)
	s_and_b32 s0, exec_lo, s27
	s_or_b32 s25, s0, s25
	s_and_not1_b32 s0, s29, exec_lo
	s_and_b32 s29, s30, exec_lo
	s_and_not1_b32 s26, s26, exec_lo
	s_and_b32 s30, s28, exec_lo
	s_or_b32 s29, s0, s29
	s_or_b32 s26, s26, s30
	s_and_not1_b32 exec_lo, exec_lo, s25
	s_cbranch_execz .LBB993_374
.LBB993_372:                            ; =>This Inner Loop Header: Depth=1
	global_load_u8 v12, v[6:7], off
	global_load_u8 v13, v[8:9], off
	s_and_not1_b32 s28, s28, exec_lo
	s_or_b32 s27, s27, exec_lo
	s_wait_loadcnt 0x1
	v_cmp_eq_u16_e32 vcc_lo, 0, v12
	s_wait_loadcnt 0x0
	v_cmp_ne_u16_e64 s0, 0, v13
	s_or_b32 s30, vcc_lo, s0
	s_and_b32 s31, vcc_lo, s0
	s_and_b32 s30, s30, s29
	s_xor_b32 s33, vcc_lo, s0
	s_or_b32 s30, s31, s30
	s_delay_alu instid0(SALU_CYCLE_1) | instskip(NEXT) | instid1(SALU_CYCLE_1)
	s_and_b32 s31, s30, exec_lo
	s_or_b32 s28, s28, s31
	s_and_saveexec_b32 s0, s33
	s_cbranch_execz .LBB993_371
; %bb.373:                              ;   in Loop: Header=BB993_372 Depth=1
	s_add_nc_u64 s[6:7], s[6:7], -1
	v_add_nc_u64_e32 v[6:7], 1, v[6:7]
	s_cmp_eq_u64 s[6:7], 0
	v_add_nc_u64_e32 v[8:9], 1, v[8:9]
	s_cselect_b32 s29, -1, 0
	s_and_not1_b32 s27, s27, exec_lo
	s_and_b32 s29, s29, exec_lo
	s_and_not1_b32 s28, s28, exec_lo
	s_or_b32 s27, s27, s29
                                        ; implicit-def: $sgpr29
	s_branch .LBB993_371
.LBB993_374:
	s_or_b32 exec_lo, exec_lo, s25
	s_xor_b32 s0, s26, -1
	s_and_not1_b32 s6, s21, exec_lo
	s_and_b32 s0, s0, exec_lo
	s_delay_alu instid0(SALU_CYCLE_1)
	s_or_b32 s21, s6, s0
.LBB993_375:
	s_or_b32 exec_lo, exec_lo, s24
	s_delay_alu instid0(SALU_CYCLE_1)
	s_or_not1_b32 s21, s21, exec_lo
.LBB993_376:
	s_or_b32 exec_lo, exec_lo, s23
	v_dual_cndmask_b32 v6, v10, v11, s21 :: v_dual_cndmask_b32 v7, v39, v38, s21
	s_mov_b32 s23, exec_lo
	s_delay_alu instid0(VALU_DEP_1) | instskip(NEXT) | instid1(VALU_DEP_1)
	v_add_nc_u32_e32 v8, 1, v6
	v_add_min_u32_e64 v6, v7, -1, v8
	s_delay_alu instid0(VALU_DEP_1)
	v_lshl_add_u32 v6, v6, 3, v34
	ds_load_b64 v[6:7], v6
	s_wait_dscnt 0x0
	v_dual_cndmask_b32 v17, v6, v15, s21 :: v_dual_cndmask_b32 v12, v8, v10, s21
	v_cndmask_b32_e64 v13, v11, v8, s21
	v_dual_cndmask_b32 v10, v7, v14, s21 :: v_dual_cndmask_b32 v11, v16, v7, s21
	v_cndmask_b32_e64 v23, v22, v6, s21
	s_delay_alu instid0(VALU_DEP_4)
	v_cmpx_lt_u32_e64 v12, v39
	s_cbranch_execz .LBB993_384
; %bb.377:
	v_cmp_lt_u32_e64 s22, v13, v38
	s_xor_b32 s0, s5, -1
	s_delay_alu instid0(SALU_CYCLE_1) | instskip(NEXT) | instid1(SALU_CYCLE_1)
	s_and_b32 s0, s22, s0
	s_and_saveexec_b32 s24, s0
	s_cbranch_execz .LBB993_383
; %bb.378:
	v_mad_nc_u64_u32 v[6:7], v17, s12, s[14:15]
	v_mad_nc_u64_u32 v[8:9], v23, s12, s[14:15]
	s_mov_b32 s25, 0
	s_mov_b64 s[6:7], s[12:13]
                                        ; implicit-def: $sgpr26
                                        ; implicit-def: $sgpr27
                                        ; implicit-def: $sgpr28
                                        ; implicit-def: $sgpr29
	s_delay_alu instid0(VALU_DEP_2) | instskip(NEXT) | instid1(VALU_DEP_2)
	v_mad_u32 v7, v10, s12, v7
	v_mad_u32 v9, v11, s12, v9
	s_delay_alu instid0(VALU_DEP_2) | instskip(NEXT) | instid1(VALU_DEP_2)
	v_mad_u32 v7, v17, s13, v7
	v_mad_u32 v9, v23, s13, v9
	s_branch .LBB993_380
.LBB993_379:                            ;   in Loop: Header=BB993_380 Depth=1
	s_or_b32 exec_lo, exec_lo, s0
	s_delay_alu instid0(SALU_CYCLE_1) | instskip(NEXT) | instid1(SALU_CYCLE_1)
	s_and_b32 s0, exec_lo, s27
	s_or_b32 s25, s0, s25
	s_and_not1_b32 s0, s29, exec_lo
	s_and_b32 s29, s30, exec_lo
	s_and_not1_b32 s26, s26, exec_lo
	s_and_b32 s30, s28, exec_lo
	s_or_b32 s29, s0, s29
	s_or_b32 s26, s26, s30
	s_and_not1_b32 exec_lo, exec_lo, s25
	s_cbranch_execz .LBB993_382
.LBB993_380:                            ; =>This Inner Loop Header: Depth=1
	global_load_u8 v20, v[6:7], off
	global_load_u8 v21, v[8:9], off
	s_and_not1_b32 s28, s28, exec_lo
	s_or_b32 s27, s27, exec_lo
	s_wait_loadcnt 0x1
	v_cmp_eq_u16_e32 vcc_lo, 0, v20
	s_wait_loadcnt 0x0
	v_cmp_ne_u16_e64 s0, 0, v21
	s_or_b32 s30, vcc_lo, s0
	s_and_b32 s31, vcc_lo, s0
	s_and_b32 s30, s30, s29
	s_xor_b32 s33, vcc_lo, s0
	s_or_b32 s30, s31, s30
	s_delay_alu instid0(SALU_CYCLE_1) | instskip(NEXT) | instid1(SALU_CYCLE_1)
	s_and_b32 s31, s30, exec_lo
	s_or_b32 s28, s28, s31
	s_and_saveexec_b32 s0, s33
	s_cbranch_execz .LBB993_379
; %bb.381:                              ;   in Loop: Header=BB993_380 Depth=1
	s_add_nc_u64 s[6:7], s[6:7], -1
	v_add_nc_u64_e32 v[6:7], 1, v[6:7]
	s_cmp_eq_u64 s[6:7], 0
	v_add_nc_u64_e32 v[8:9], 1, v[8:9]
	s_cselect_b32 s29, -1, 0
	s_and_not1_b32 s27, s27, exec_lo
	s_and_b32 s29, s29, exec_lo
	s_and_not1_b32 s28, s28, exec_lo
	s_or_b32 s27, s27, s29
                                        ; implicit-def: $sgpr29
	s_branch .LBB993_379
.LBB993_382:
	s_or_b32 exec_lo, exec_lo, s25
	s_xor_b32 s0, s26, -1
	s_and_not1_b32 s6, s22, exec_lo
	s_and_b32 s0, s0, exec_lo
	s_delay_alu instid0(SALU_CYCLE_1)
	s_or_b32 s22, s6, s0
.LBB993_383:
	s_or_b32 exec_lo, exec_lo, s24
	s_delay_alu instid0(SALU_CYCLE_1)
	s_or_not1_b32 s22, s22, exec_lo
.LBB993_384:
	s_or_b32 exec_lo, exec_lo, s23
	v_dual_cndmask_b32 v6, v12, v13, s22 :: v_dual_cndmask_b32 v7, v39, v38, s22
	s_mov_b32 s24, -1
	s_mov_b32 s23, -1
	s_mov_b32 s25, exec_lo
	s_delay_alu instid0(VALU_DEP_1) | instskip(NEXT) | instid1(VALU_DEP_1)
	v_add_nc_u32_e32 v8, 1, v6
	v_add_min_u32_e64 v6, v7, -1, v8
	s_delay_alu instid0(VALU_DEP_1)
	v_lshl_add_u32 v6, v6, 3, v34
	ds_load_b64 v[6:7], v6
	s_wait_dscnt 0x0
	v_dual_cndmask_b32 v40, v6, v17, s22 :: v_dual_cndmask_b32 v20, v8, v12, s22
	v_dual_cndmask_b32 v12, v7, v10, s22 :: v_dual_cndmask_b32 v21, v13, v8, s22
	v_cndmask_b32_e64 v13, v11, v7, s22
	v_cndmask_b32_e64 v41, v23, v6, s22
	s_delay_alu instid0(VALU_DEP_4)
	v_cmpx_lt_u32_e64 v20, v39
	s_cbranch_execz .LBB993_392
; %bb.385:
	v_cmp_lt_u32_e64 s23, v21, v38
	s_xor_b32 s0, s5, -1
	s_delay_alu instid0(SALU_CYCLE_1) | instskip(NEXT) | instid1(SALU_CYCLE_1)
	s_and_b32 s0, s23, s0
	s_and_saveexec_b32 s26, s0
	s_cbranch_execz .LBB993_391
; %bb.386:
	v_mad_nc_u64_u32 v[6:7], v40, s12, s[14:15]
	v_mad_nc_u64_u32 v[8:9], v41, s12, s[14:15]
	s_mov_b32 s27, 0
	s_mov_b64 s[6:7], s[12:13]
                                        ; implicit-def: $sgpr28
                                        ; implicit-def: $sgpr29
                                        ; implicit-def: $sgpr30
                                        ; implicit-def: $sgpr31
	s_delay_alu instid0(VALU_DEP_2) | instskip(NEXT) | instid1(VALU_DEP_2)
	v_mad_u32 v7, v12, s12, v7
	v_mad_u32 v9, v13, s12, v9
	s_delay_alu instid0(VALU_DEP_2) | instskip(NEXT) | instid1(VALU_DEP_2)
	v_mad_u32 v7, v40, s13, v7
	v_mad_u32 v9, v41, s13, v9
	s_branch .LBB993_388
.LBB993_387:                            ;   in Loop: Header=BB993_388 Depth=1
	s_or_b32 exec_lo, exec_lo, s0
	s_delay_alu instid0(SALU_CYCLE_1) | instskip(NEXT) | instid1(SALU_CYCLE_1)
	s_and_b32 s0, exec_lo, s29
	s_or_b32 s27, s0, s27
	s_and_not1_b32 s0, s31, exec_lo
	s_and_b32 s31, s33, exec_lo
	s_and_not1_b32 s28, s28, exec_lo
	s_and_b32 s33, s30, exec_lo
	s_or_b32 s31, s0, s31
	s_or_b32 s28, s28, s33
	s_and_not1_b32 exec_lo, exec_lo, s27
	s_cbranch_execz .LBB993_390
.LBB993_388:                            ; =>This Inner Loop Header: Depth=1
	global_load_u8 v42, v[6:7], off
	global_load_u8 v43, v[8:9], off
	s_and_not1_b32 s30, s30, exec_lo
	s_or_b32 s29, s29, exec_lo
	s_wait_loadcnt 0x1
	v_cmp_eq_u16_e32 vcc_lo, 0, v42
	s_wait_loadcnt 0x0
	v_cmp_ne_u16_e64 s0, 0, v43
	s_or_b32 s33, vcc_lo, s0
	s_and_b32 s34, vcc_lo, s0
	s_and_b32 s33, s33, s31
	s_xor_b32 s35, vcc_lo, s0
	s_or_b32 s33, s34, s33
	s_delay_alu instid0(SALU_CYCLE_1) | instskip(NEXT) | instid1(SALU_CYCLE_1)
	s_and_b32 s34, s33, exec_lo
	s_or_b32 s30, s30, s34
	s_and_saveexec_b32 s0, s35
	s_cbranch_execz .LBB993_387
; %bb.389:                              ;   in Loop: Header=BB993_388 Depth=1
	s_add_nc_u64 s[6:7], s[6:7], -1
	v_add_nc_u64_e32 v[6:7], 1, v[6:7]
	s_cmp_eq_u64 s[6:7], 0
	v_add_nc_u64_e32 v[8:9], 1, v[8:9]
	s_cselect_b32 s31, -1, 0
	s_and_not1_b32 s29, s29, exec_lo
	s_and_b32 s31, s31, exec_lo
	s_and_not1_b32 s30, s30, exec_lo
	s_or_b32 s29, s29, s31
                                        ; implicit-def: $sgpr31
	s_branch .LBB993_387
.LBB993_390:
	s_or_b32 exec_lo, exec_lo, s27
	s_xor_b32 s0, s28, -1
	s_and_not1_b32 s6, s23, exec_lo
	s_and_b32 s0, s0, exec_lo
	s_delay_alu instid0(SALU_CYCLE_1)
	s_or_b32 s23, s6, s0
.LBB993_391:
	s_or_b32 exec_lo, exec_lo, s26
	s_delay_alu instid0(SALU_CYCLE_1)
	s_or_not1_b32 s23, s23, exec_lo
.LBB993_392:
	s_or_b32 exec_lo, exec_lo, s25
	v_dual_cndmask_b32 v6, v20, v21, s23 :: v_dual_cndmask_b32 v7, v39, v38, s23
	s_mov_b32 s25, exec_lo
	s_delay_alu instid0(VALU_DEP_1) | instskip(NEXT) | instid1(VALU_DEP_1)
	v_add_nc_u32_e32 v8, 1, v6
	v_add_min_u32_e64 v6, v7, -1, v8
	s_delay_alu instid0(VALU_DEP_1)
	v_lshl_add_u32 v6, v6, 3, v34
	ds_load_b64 v[6:7], v6
	s_wait_dscnt 0x0
	v_cndmask_b32_e64 v42, v7, v12, s23
	v_dual_cndmask_b32 v20, v8, v20, s23 :: v_dual_cndmask_b32 v44, v13, v7, s23
	v_cndmask_b32_e64 v21, v21, v8, s23
	v_dual_cndmask_b32 v43, v6, v40, s23 :: v_dual_cndmask_b32 v45, v41, v6, s23
	s_delay_alu instid0(VALU_DEP_3)
	v_cmpx_lt_u32_e64 v20, v39
	s_cbranch_execz .LBB993_400
; %bb.393:
	s_delay_alu instid0(VALU_DEP_3) | instskip(SKIP_1) | instid1(SALU_CYCLE_1)
	v_cmp_lt_u32_e64 s24, v21, v38
	s_xor_b32 s0, s5, -1
	s_and_b32 s0, s24, s0
	s_delay_alu instid0(SALU_CYCLE_1)
	s_and_saveexec_b32 s26, s0
	s_cbranch_execz .LBB993_399
; %bb.394:
	v_mad_nc_u64_u32 v[6:7], v43, s12, s[14:15]
	v_mad_nc_u64_u32 v[8:9], v45, s12, s[14:15]
	s_mov_b32 s27, 0
	s_mov_b64 s[6:7], s[12:13]
                                        ; implicit-def: $sgpr28
                                        ; implicit-def: $sgpr29
                                        ; implicit-def: $sgpr30
                                        ; implicit-def: $sgpr31
	s_delay_alu instid0(VALU_DEP_2) | instskip(NEXT) | instid1(VALU_DEP_2)
	v_mad_u32 v7, v42, s12, v7
	v_mad_u32 v9, v44, s12, v9
	s_delay_alu instid0(VALU_DEP_2) | instskip(NEXT) | instid1(VALU_DEP_2)
	v_mad_u32 v7, v43, s13, v7
	v_mad_u32 v9, v45, s13, v9
	s_branch .LBB993_396
.LBB993_395:                            ;   in Loop: Header=BB993_396 Depth=1
	s_or_b32 exec_lo, exec_lo, s0
	s_delay_alu instid0(SALU_CYCLE_1) | instskip(NEXT) | instid1(SALU_CYCLE_1)
	s_and_b32 s0, exec_lo, s29
	s_or_b32 s27, s0, s27
	s_and_not1_b32 s0, s31, exec_lo
	s_and_b32 s31, s33, exec_lo
	s_and_not1_b32 s28, s28, exec_lo
	s_and_b32 s33, s30, exec_lo
	s_or_b32 s31, s0, s31
	s_or_b32 s28, s28, s33
	s_and_not1_b32 exec_lo, exec_lo, s27
	s_cbranch_execz .LBB993_398
.LBB993_396:                            ; =>This Inner Loop Header: Depth=1
	global_load_u8 v46, v[6:7], off
	global_load_u8 v47, v[8:9], off
	s_and_not1_b32 s30, s30, exec_lo
	s_or_b32 s29, s29, exec_lo
	s_wait_loadcnt 0x1
	v_cmp_eq_u16_e32 vcc_lo, 0, v46
	s_wait_loadcnt 0x0
	v_cmp_ne_u16_e64 s0, 0, v47
	s_or_b32 s33, vcc_lo, s0
	s_and_b32 s34, vcc_lo, s0
	s_and_b32 s33, s33, s31
	s_xor_b32 s35, vcc_lo, s0
	s_or_b32 s33, s34, s33
	s_delay_alu instid0(SALU_CYCLE_1) | instskip(NEXT) | instid1(SALU_CYCLE_1)
	s_and_b32 s34, s33, exec_lo
	s_or_b32 s30, s30, s34
	s_and_saveexec_b32 s0, s35
	s_cbranch_execz .LBB993_395
; %bb.397:                              ;   in Loop: Header=BB993_396 Depth=1
	s_add_nc_u64 s[6:7], s[6:7], -1
	v_add_nc_u64_e32 v[6:7], 1, v[6:7]
	s_cmp_eq_u64 s[6:7], 0
	v_add_nc_u64_e32 v[8:9], 1, v[8:9]
	s_cselect_b32 s31, -1, 0
	s_and_not1_b32 s29, s29, exec_lo
	s_and_b32 s31, s31, exec_lo
	s_and_not1_b32 s30, s30, exec_lo
	s_or_b32 s29, s29, s31
                                        ; implicit-def: $sgpr31
	s_branch .LBB993_395
.LBB993_398:
	s_or_b32 exec_lo, exec_lo, s27
	s_xor_b32 s0, s28, -1
	s_and_not1_b32 s6, s24, exec_lo
	s_and_b32 s0, s0, exec_lo
	s_delay_alu instid0(SALU_CYCLE_1)
	s_or_b32 s24, s6, s0
.LBB993_399:
	s_or_b32 exec_lo, exec_lo, s26
	s_delay_alu instid0(SALU_CYCLE_1)
	s_or_not1_b32 s24, s24, exec_lo
.LBB993_400:
	s_or_b32 exec_lo, exec_lo, s25
	v_dual_cndmask_b32 v6, v20, v21, s24 :: v_dual_cndmask_b32 v7, v39, v38, s24
	s_mov_b32 s25, -1
	s_mov_b32 s26, -1
	s_mov_b32 s27, exec_lo
	s_delay_alu instid0(VALU_DEP_1) | instskip(NEXT) | instid1(VALU_DEP_1)
	v_add_nc_u32_e32 v8, 1, v6
	v_add_min_u32_e64 v6, v7, -1, v8
	s_delay_alu instid0(VALU_DEP_1)
	v_lshl_add_u32 v6, v6, 3, v34
	ds_load_b64 v[6:7], v6
	s_wait_dscnt 0x0
	v_dual_cndmask_b32 v46, v7, v42, s24 :: v_dual_cndmask_b32 v47, v6, v43, s24
	v_cndmask_b32_e64 v20, v8, v20, s24
	v_dual_cndmask_b32 v21, v21, v8, s24 :: v_dual_cndmask_b32 v48, v44, v7, s24
	v_cndmask_b32_e64 v49, v45, v6, s24
	s_delay_alu instid0(VALU_DEP_3)
	v_cmpx_lt_u32_e64 v20, v39
	s_cbranch_execz .LBB993_408
; %bb.401:
	s_delay_alu instid0(VALU_DEP_3) | instskip(SKIP_1) | instid1(SALU_CYCLE_1)
	v_cmp_lt_u32_e64 s26, v21, v38
	s_xor_b32 s0, s5, -1
	s_and_b32 s0, s26, s0
	s_delay_alu instid0(SALU_CYCLE_1)
	s_and_saveexec_b32 s28, s0
	s_cbranch_execz .LBB993_407
; %bb.402:
	v_mad_nc_u64_u32 v[6:7], v47, s12, s[14:15]
	v_mad_nc_u64_u32 v[8:9], v49, s12, s[14:15]
	s_mov_b32 s29, 0
	s_mov_b64 s[6:7], s[12:13]
                                        ; implicit-def: $sgpr30
                                        ; implicit-def: $sgpr31
                                        ; implicit-def: $sgpr33
                                        ; implicit-def: $sgpr34
	s_delay_alu instid0(VALU_DEP_2) | instskip(NEXT) | instid1(VALU_DEP_2)
	v_mad_u32 v7, v46, s12, v7
	v_mad_u32 v9, v48, s12, v9
	s_delay_alu instid0(VALU_DEP_2) | instskip(NEXT) | instid1(VALU_DEP_2)
	v_mad_u32 v7, v47, s13, v7
	v_mad_u32 v9, v49, s13, v9
	s_branch .LBB993_404
.LBB993_403:                            ;   in Loop: Header=BB993_404 Depth=1
	s_or_b32 exec_lo, exec_lo, s0
	s_delay_alu instid0(SALU_CYCLE_1) | instskip(NEXT) | instid1(SALU_CYCLE_1)
	s_and_b32 s0, exec_lo, s31
	s_or_b32 s29, s0, s29
	s_and_not1_b32 s0, s34, exec_lo
	s_and_b32 s34, s35, exec_lo
	s_and_not1_b32 s30, s30, exec_lo
	s_and_b32 s35, s33, exec_lo
	s_or_b32 s34, s0, s34
	s_or_b32 s30, s30, s35
	s_and_not1_b32 exec_lo, exec_lo, s29
	s_cbranch_execz .LBB993_406
.LBB993_404:                            ; =>This Inner Loop Header: Depth=1
	global_load_u8 v50, v[6:7], off
	global_load_u8 v51, v[8:9], off
	s_and_not1_b32 s33, s33, exec_lo
	s_or_b32 s31, s31, exec_lo
	s_wait_loadcnt 0x1
	v_cmp_eq_u16_e32 vcc_lo, 0, v50
	s_wait_loadcnt 0x0
	v_cmp_ne_u16_e64 s0, 0, v51
	s_or_b32 s35, vcc_lo, s0
	s_and_b32 s36, vcc_lo, s0
	s_and_b32 s35, s35, s34
	s_xor_b32 s37, vcc_lo, s0
	s_or_b32 s35, s36, s35
	s_delay_alu instid0(SALU_CYCLE_1) | instskip(NEXT) | instid1(SALU_CYCLE_1)
	s_and_b32 s36, s35, exec_lo
	s_or_b32 s33, s33, s36
	s_and_saveexec_b32 s0, s37
	s_cbranch_execz .LBB993_403
; %bb.405:                              ;   in Loop: Header=BB993_404 Depth=1
	s_add_nc_u64 s[6:7], s[6:7], -1
	v_add_nc_u64_e32 v[6:7], 1, v[6:7]
	s_cmp_eq_u64 s[6:7], 0
	v_add_nc_u64_e32 v[8:9], 1, v[8:9]
	s_cselect_b32 s34, -1, 0
	s_and_not1_b32 s31, s31, exec_lo
	s_and_b32 s34, s34, exec_lo
	s_and_not1_b32 s33, s33, exec_lo
	s_or_b32 s31, s31, s34
                                        ; implicit-def: $sgpr34
	s_branch .LBB993_403
.LBB993_406:
	s_or_b32 exec_lo, exec_lo, s29
	s_xor_b32 s0, s30, -1
	s_and_not1_b32 s6, s26, exec_lo
	s_and_b32 s0, s0, exec_lo
	s_delay_alu instid0(SALU_CYCLE_1)
	s_or_b32 s26, s6, s0
.LBB993_407:
	s_or_b32 exec_lo, exec_lo, s28
	s_delay_alu instid0(SALU_CYCLE_1)
	s_or_not1_b32 s26, s26, exec_lo
.LBB993_408:
	s_or_b32 exec_lo, exec_lo, s27
	v_dual_cndmask_b32 v6, v20, v21, s26 :: v_dual_cndmask_b32 v7, v39, v38, s26
	s_mov_b32 s27, exec_lo
	s_delay_alu instid0(VALU_DEP_1) | instskip(NEXT) | instid1(VALU_DEP_1)
	v_add_nc_u32_e32 v8, 1, v6
	v_add_min_u32_e64 v6, v7, -1, v8
	s_delay_alu instid0(VALU_DEP_1)
	v_lshl_add_u32 v6, v6, 3, v34
	ds_load_b64 v[6:7], v6
	s_wait_dscnt 0x0
	v_dual_cndmask_b32 v51, v7, v46, s26 :: v_dual_cndmask_b32 v52, v6, v47, s26
	v_cndmask_b32_e64 v53, v8, v20, s26
	v_dual_cndmask_b32 v50, v21, v8, s26 :: v_dual_cndmask_b32 v54, v48, v7, s26
	v_cndmask_b32_e64 v55, v49, v6, s26
	s_delay_alu instid0(VALU_DEP_3)
	v_cmpx_lt_u32_e64 v53, v39
	s_cbranch_execz .LBB993_416
; %bb.409:
	s_delay_alu instid0(VALU_DEP_3) | instskip(SKIP_1) | instid1(SALU_CYCLE_1)
	v_cmp_lt_u32_e64 s25, v50, v38
	s_xor_b32 s0, s5, -1
	s_and_b32 s0, s25, s0
	s_delay_alu instid0(SALU_CYCLE_1)
	s_and_saveexec_b32 s28, s0
	s_cbranch_execz .LBB993_415
; %bb.410:
	v_mad_nc_u64_u32 v[6:7], v52, s12, s[14:15]
	v_mad_nc_u64_u32 v[8:9], v55, s12, s[14:15]
	s_mov_b32 s29, 0
	s_mov_b64 s[6:7], s[12:13]
                                        ; implicit-def: $sgpr30
                                        ; implicit-def: $sgpr31
                                        ; implicit-def: $sgpr33
                                        ; implicit-def: $sgpr34
	s_delay_alu instid0(VALU_DEP_2) | instskip(NEXT) | instid1(VALU_DEP_2)
	v_mad_u32 v7, v51, s12, v7
	v_mad_u32 v9, v54, s12, v9
	s_delay_alu instid0(VALU_DEP_2) | instskip(NEXT) | instid1(VALU_DEP_2)
	v_mad_u32 v7, v52, s13, v7
	v_mad_u32 v9, v55, s13, v9
	s_branch .LBB993_412
.LBB993_411:                            ;   in Loop: Header=BB993_412 Depth=1
	s_or_b32 exec_lo, exec_lo, s0
	s_delay_alu instid0(SALU_CYCLE_1) | instskip(NEXT) | instid1(SALU_CYCLE_1)
	s_and_b32 s0, exec_lo, s31
	s_or_b32 s29, s0, s29
	s_and_not1_b32 s0, s34, exec_lo
	s_and_b32 s34, s35, exec_lo
	s_and_not1_b32 s30, s30, exec_lo
	s_and_b32 s35, s33, exec_lo
	s_or_b32 s34, s0, s34
	s_or_b32 s30, s30, s35
	s_and_not1_b32 exec_lo, exec_lo, s29
	s_cbranch_execz .LBB993_414
.LBB993_412:                            ; =>This Inner Loop Header: Depth=1
	global_load_u8 v20, v[6:7], off
	global_load_u8 v21, v[8:9], off
	s_and_not1_b32 s33, s33, exec_lo
	s_or_b32 s31, s31, exec_lo
	s_wait_loadcnt 0x1
	v_cmp_eq_u16_e32 vcc_lo, 0, v20
	s_wait_loadcnt 0x0
	v_cmp_ne_u16_e64 s0, 0, v21
	s_or_b32 s35, vcc_lo, s0
	s_and_b32 s36, vcc_lo, s0
	s_and_b32 s35, s35, s34
	s_xor_b32 s37, vcc_lo, s0
	s_or_b32 s35, s36, s35
	s_delay_alu instid0(SALU_CYCLE_1) | instskip(NEXT) | instid1(SALU_CYCLE_1)
	s_and_b32 s36, s35, exec_lo
	s_or_b32 s33, s33, s36
	s_and_saveexec_b32 s0, s37
	s_cbranch_execz .LBB993_411
; %bb.413:                              ;   in Loop: Header=BB993_412 Depth=1
	s_add_nc_u64 s[6:7], s[6:7], -1
	v_add_nc_u64_e32 v[6:7], 1, v[6:7]
	s_cmp_eq_u64 s[6:7], 0
	v_add_nc_u64_e32 v[8:9], 1, v[8:9]
	s_cselect_b32 s34, -1, 0
	s_and_not1_b32 s31, s31, exec_lo
	s_and_b32 s34, s34, exec_lo
	s_and_not1_b32 s33, s33, exec_lo
	s_or_b32 s31, s31, s34
                                        ; implicit-def: $sgpr34
	s_branch .LBB993_411
.LBB993_414:
	s_or_b32 exec_lo, exec_lo, s29
	s_xor_b32 s0, s30, -1
	s_and_not1_b32 s6, s25, exec_lo
	s_and_b32 s0, s0, exec_lo
	s_delay_alu instid0(SALU_CYCLE_1)
	s_or_b32 s25, s6, s0
.LBB993_415:
	s_or_b32 exec_lo, exec_lo, s28
	s_delay_alu instid0(SALU_CYCLE_1)
	s_or_not1_b32 s25, s25, exec_lo
.LBB993_416:
	s_or_b32 exec_lo, exec_lo, s27
	v_dual_cndmask_b32 v6, v53, v50, s25 :: v_dual_cndmask_b32 v9, v46, v48, s26
	v_dual_cndmask_b32 v7, v39, v38, s25 :: v_dual_cndmask_b32 v13, v12, v13, s23
	;; [unrolled: 1-line block ×3, first 2 shown]
	s_delay_alu instid0(VALU_DEP_3) | instskip(SKIP_2) | instid1(VALU_DEP_3)
	v_dual_add_nc_u32 v56, 1, v6 :: v_dual_cndmask_b32 v8, v47, v49, s26
	v_dual_cndmask_b32 v10, v17, v23, s22 :: v_dual_cndmask_b32 v17, v14, v16, s21
	v_dual_cndmask_b32 v16, v15, v22, s21 :: v_dual_cndmask_b32 v15, v5, v3, s1
	v_add_min_u32_e64 v6, v7, -1, v56
	v_dual_cndmask_b32 v7, v42, v44, s24 :: v_dual_cndmask_b32 v22, v56, v53, s25
	v_cndmask_b32_e64 v3, v51, v54, s25
	s_delay_alu instid0(VALU_DEP_3)
	v_lshl_add_u32 v6, v6, 3, v34
	ds_load_b64 v[20:21], v6
	v_dual_cndmask_b32 v6, v43, v45, s24 :: v_dual_cndmask_b32 v14, v4, v2, s1
	v_cndmask_b32_e64 v2, v52, v55, s25
	s_mov_b32 s1, exec_lo
	s_wait_dscnt 0x0
	v_dual_cndmask_b32 v5, v54, v21, s25 :: v_dual_cndmask_b32 v4, v55, v20, s25
	v_cmpx_lt_u32_e64 v22, v39
	s_cbranch_execz .LBB993_424
; %bb.417:
	v_dual_cndmask_b32 v22, v50, v56, s25 :: v_dual_cndmask_b32 v39, v21, v51, s25
	s_delay_alu instid0(VALU_DEP_1) | instskip(NEXT) | instid1(VALU_DEP_2)
	v_cmp_ge_u32_e32 vcc_lo, v22, v38
	v_dual_cndmask_b32 v40, v20, v52, s25 :: v_dual_cndmask_b32 v21, v5, v39, vcc_lo
	s_delay_alu instid0(VALU_DEP_1) | instskip(SKIP_1) | instid1(SALU_CYCLE_1)
	v_cndmask_b32_e32 v20, v4, v40, vcc_lo
	s_nor_b32 s0, vcc_lo, s5
	s_and_saveexec_b32 s21, s0
	s_cbranch_execz .LBB993_423
; %bb.418:
	v_mad_nc_u64_u32 v[20:21], v40, s12, s[14:15]
	v_mad_nc_u64_u32 v[22:23], v4, s12, s[14:15]
	s_mov_b32 s22, 0
	s_mov_b64 s[6:7], s[12:13]
                                        ; implicit-def: $sgpr23
                                        ; implicit-def: $sgpr24
                                        ; implicit-def: $sgpr25
                                        ; implicit-def: $sgpr26
	s_delay_alu instid0(VALU_DEP_2) | instskip(NEXT) | instid1(VALU_DEP_2)
	v_mad_u32 v21, v39, s12, v21
	v_mad_u32 v23, v5, s12, v23
	s_delay_alu instid0(VALU_DEP_2) | instskip(NEXT) | instid1(VALU_DEP_2)
	v_mad_u32 v21, v40, s13, v21
	v_mad_u32 v23, v4, s13, v23
	s_branch .LBB993_420
.LBB993_419:                            ;   in Loop: Header=BB993_420 Depth=1
	s_or_b32 exec_lo, exec_lo, s0
	s_delay_alu instid0(SALU_CYCLE_1) | instskip(NEXT) | instid1(SALU_CYCLE_1)
	s_and_b32 s0, exec_lo, s24
	s_or_b32 s22, s0, s22
	s_and_not1_b32 s0, s26, exec_lo
	s_and_b32 s26, s27, exec_lo
	s_and_not1_b32 s23, s23, exec_lo
	s_and_b32 s27, s25, exec_lo
	s_or_b32 s26, s0, s26
	s_or_b32 s23, s23, s27
	s_and_not1_b32 exec_lo, exec_lo, s22
	s_cbranch_execz .LBB993_422
.LBB993_420:                            ; =>This Inner Loop Header: Depth=1
	global_load_u8 v38, v[20:21], off
	global_load_u8 v41, v[22:23], off
	s_and_not1_b32 s25, s25, exec_lo
	s_or_b32 s24, s24, exec_lo
	s_wait_loadcnt 0x1
	v_cmp_eq_u16_e32 vcc_lo, 0, v38
	s_wait_loadcnt 0x0
	v_cmp_ne_u16_e64 s0, 0, v41
	s_or_b32 s27, vcc_lo, s0
	s_and_b32 s28, vcc_lo, s0
	s_and_b32 s27, s27, s26
	s_xor_b32 s29, vcc_lo, s0
	s_or_b32 s27, s28, s27
	s_delay_alu instid0(SALU_CYCLE_1) | instskip(NEXT) | instid1(SALU_CYCLE_1)
	s_and_b32 s28, s27, exec_lo
	s_or_b32 s25, s25, s28
	s_and_saveexec_b32 s0, s29
	s_cbranch_execz .LBB993_419
; %bb.421:                              ;   in Loop: Header=BB993_420 Depth=1
	s_add_nc_u64 s[6:7], s[6:7], -1
	v_add_nc_u64_e32 v[20:21], 1, v[20:21]
	s_cmp_eq_u64 s[6:7], 0
	v_add_nc_u64_e32 v[22:23], 1, v[22:23]
	s_cselect_b32 s26, -1, 0
	s_and_not1_b32 s24, s24, exec_lo
	s_and_b32 s26, s26, exec_lo
	s_and_not1_b32 s25, s25, exec_lo
	s_or_b32 s24, s24, s26
                                        ; implicit-def: $sgpr26
	s_branch .LBB993_419
.LBB993_422:
	s_or_b32 exec_lo, exec_lo, s22
	v_dual_cndmask_b32 v21, v5, v39, s23 :: v_dual_cndmask_b32 v20, v4, v40, s23
.LBB993_423:
	s_or_b32 exec_lo, exec_lo, s21
	s_delay_alu instid0(VALU_DEP_1)
	v_mov_b64_e32 v[4:5], v[20:21]
.LBB993_424:
	s_or_b32 exec_lo, exec_lo, s1
.LBB993_425:
	s_delay_alu instid0(SALU_CYCLE_1)
	s_or_b32 exec_lo, exec_lo, s20
	v_and_b32_e32 v40, 0x80, v36
	s_mov_b32 s1, exec_lo
	; wave barrier
	ds_store_b128 v37, v[14:17]
	ds_store_b128 v37, v[10:13] offset:16
	v_or_b32_e32 v20, 64, v40
	v_lshl_add_u32 v39, v40, 3, v34
	ds_store_b128 v37, v[6:9] offset:32
	ds_store_b128 v37, v[2:5] offset:48
	; wave barrier
	v_min_u32_e32 v38, v35, v20
	v_and_b32_e32 v20, 0x78, v36
	s_delay_alu instid0(VALU_DEP_2) | instskip(NEXT) | instid1(VALU_DEP_2)
	v_add_min_u32_e64 v36, v38, 64, v35
	v_min_u32_e32 v41, v35, v20
	s_delay_alu instid0(VALU_DEP_2) | instskip(NEXT) | instid1(VALU_DEP_1)
	v_dual_sub_nc_u32 v21, v38, v40 :: v_dual_sub_nc_u32 v20, v36, v38
	v_min_u32_e32 v42, v41, v21
	s_delay_alu instid0(VALU_DEP_2) | instskip(NEXT) | instid1(VALU_DEP_1)
	v_sub_nc_u32_e64 v35, v41, v20 clamp
	v_cmpx_lt_u32_e64 v35, v42
	s_cbranch_execz .LBB993_435
; %bb.426:
	v_dual_lshlrev_b32 v20, 3, v38 :: v_dual_lshlrev_b32 v21, 3, v41
	s_mov_b32 s20, 0
	s_delay_alu instid0(VALU_DEP_1)
	v_add3_u32 v37, v34, v20, v21
	s_branch .LBB993_429
.LBB993_427:                            ;   in Loop: Header=BB993_429 Depth=1
	s_or_b32 exec_lo, exec_lo, s22
.LBB993_428:                            ;   in Loop: Header=BB993_429 Depth=1
	s_delay_alu instid0(VALU_DEP_1) | instskip(NEXT) | instid1(VALU_DEP_1)
	v_dual_add_nc_u32 v20, 1, v43 :: v_dual_cndmask_b32 v42, v42, v43, s21
	v_cndmask_b32_e64 v35, v20, v35, s21
	s_delay_alu instid0(VALU_DEP_1) | instskip(SKIP_1) | instid1(SALU_CYCLE_1)
	v_cmp_ge_u32_e32 vcc_lo, v35, v42
	s_or_b32 s20, vcc_lo, s20
	s_and_not1_b32 exec_lo, exec_lo, s20
	s_cbranch_execz .LBB993_434
.LBB993_429:                            ; =>This Loop Header: Depth=1
                                        ;     Child Loop BB993_432 Depth 2
	v_add_nc_u32_e32 v20, v42, v35
	v_cmp_ne_u32_e32 vcc_lo, 1, v33
	s_mov_b32 s21, 0
	s_delay_alu instid0(VALU_DEP_2)
	v_lshrrev_b32_e32 v43, 1, v20
	s_cbranch_vccnz .LBB993_428
; %bb.430:                              ;   in Loop: Header=BB993_429 Depth=1
	s_delay_alu instid0(VALU_DEP_1) | instskip(SKIP_3) | instid1(VALU_DEP_2)
	v_not_b32_e32 v20, v43
	v_lshl_add_u32 v21, v43, 3, v39
	s_mov_b32 s22, 0
	s_mov_b64 s[6:7], s[12:13]
                                        ; implicit-def: $sgpr21
                                        ; implicit-def: $sgpr23
                                        ; implicit-def: $sgpr24
                                        ; implicit-def: $sgpr25
	v_lshl_add_u32 v20, v20, 3, v37
	ds_load_b64 v[44:45], v20
	ds_load_b64 v[46:47], v21
	s_wait_dscnt 0x1
	v_mad_nc_u64_u32 v[20:21], v44, s12, s[14:15]
	s_wait_dscnt 0x0
	v_mad_nc_u64_u32 v[22:23], v46, s12, s[14:15]
	s_delay_alu instid0(VALU_DEP_2) | instskip(NEXT) | instid1(VALU_DEP_2)
	v_mad_u32 v21, v45, s12, v21
	v_mad_u32 v23, v47, s12, v23
	s_delay_alu instid0(VALU_DEP_2) | instskip(NEXT) | instid1(VALU_DEP_2)
	v_mad_u32 v21, v44, s13, v21
	v_mad_u32 v23, v46, s13, v23
	s_branch .LBB993_432
.LBB993_431:                            ;   in Loop: Header=BB993_432 Depth=2
	s_or_b32 exec_lo, exec_lo, s0
	s_delay_alu instid0(SALU_CYCLE_1) | instskip(NEXT) | instid1(SALU_CYCLE_1)
	s_and_b32 s0, exec_lo, s23
	s_or_b32 s22, s0, s22
	s_and_not1_b32 s0, s25, exec_lo
	s_and_b32 s25, s26, exec_lo
	s_and_not1_b32 s21, s21, exec_lo
	s_and_b32 s26, s24, exec_lo
	s_or_b32 s25, s0, s25
	s_or_b32 s21, s21, s26
	s_and_not1_b32 exec_lo, exec_lo, s22
	s_cbranch_execz .LBB993_427
.LBB993_432:                            ;   Parent Loop BB993_429 Depth=1
                                        ; =>  This Inner Loop Header: Depth=2
	global_load_u8 v44, v[20:21], off
	global_load_u8 v45, v[22:23], off
	s_and_not1_b32 s24, s24, exec_lo
	s_or_b32 s23, s23, exec_lo
	s_wait_loadcnt 0x1
	v_cmp_eq_u16_e32 vcc_lo, 0, v44
	s_wait_loadcnt 0x0
	v_cmp_ne_u16_e64 s0, 0, v45
	s_or_b32 s26, vcc_lo, s0
	s_and_b32 s27, vcc_lo, s0
	s_and_b32 s26, s26, s25
	s_xor_b32 s28, vcc_lo, s0
	s_or_b32 s26, s27, s26
	s_delay_alu instid0(SALU_CYCLE_1) | instskip(NEXT) | instid1(SALU_CYCLE_1)
	s_and_b32 s27, s26, exec_lo
	s_or_b32 s24, s24, s27
	s_and_saveexec_b32 s0, s28
	s_cbranch_execz .LBB993_431
; %bb.433:                              ;   in Loop: Header=BB993_432 Depth=2
	s_add_nc_u64 s[6:7], s[6:7], -1
	v_add_nc_u64_e32 v[20:21], 1, v[20:21]
	s_cmp_eq_u64 s[6:7], 0
	v_add_nc_u64_e32 v[22:23], 1, v[22:23]
	s_cselect_b32 s25, -1, 0
	s_and_not1_b32 s23, s23, exec_lo
	s_and_b32 s25, s25, exec_lo
	s_and_not1_b32 s24, s24, exec_lo
	s_or_b32 s23, s23, s25
                                        ; implicit-def: $sgpr25
	s_branch .LBB993_431
.LBB993_434:
	s_or_b32 exec_lo, exec_lo, s20
.LBB993_435:
	s_delay_alu instid0(SALU_CYCLE_1) | instskip(SKIP_1) | instid1(VALU_DEP_1)
	s_or_b32 exec_lo, exec_lo, s1
	v_dual_add_nc_u32 v21, v38, v41 :: v_dual_add_nc_u32 v20, v35, v40
	v_sub_nc_u32_e32 v21, v21, v35
	s_delay_alu instid0(VALU_DEP_2) | instskip(NEXT) | instid1(VALU_DEP_2)
	v_cmp_le_u32_e32 vcc_lo, v20, v38
	v_cmp_le_u32_e64 s0, v21, v36
	s_or_b32 s0, vcc_lo, s0
	s_delay_alu instid0(SALU_CYCLE_1)
	s_and_saveexec_b32 s20, s0
	s_cbranch_execz .LBB993_503
; %bb.436:
	s_mov_b32 s1, exec_lo
	v_cmp_ge_u32_e32 vcc_lo, v20, v38
                                        ; implicit-def: $vgpr2_vgpr3
	v_cmpx_lt_u32_e64 v20, v38
; %bb.437:
	v_lshl_add_u32 v2, v35, 3, v39
	ds_load_b64 v[2:3], v2
; %bb.438:
	s_or_b32 exec_lo, exec_lo, s1
	v_cmp_ge_u32_e64 s0, v21, v36
	s_mov_b32 s6, exec_lo
                                        ; implicit-def: $vgpr4_vgpr5
	v_cmpx_lt_u32_e64 v21, v36
; %bb.439:
	v_lshl_add_u32 v4, v21, 3, v34
	ds_load_b64 v[4:5], v4
; %bb.440:
	s_or_b32 exec_lo, exec_lo, s6
	s_or_b32 s1, vcc_lo, s0
	s_xor_b32 s6, vcc_lo, -1
	s_nor_b32 s7, s1, s5
	s_or_b32 s1, s0, s6
	s_and_saveexec_b32 s21, s7
	s_cbranch_execz .LBB993_446
; %bb.441:
	s_wait_dscnt 0x0
	v_mad_nc_u64_u32 v[6:7], v4, s12, s[14:15]
	v_mad_nc_u64_u32 v[8:9], v2, s12, s[14:15]
	s_mov_b32 s22, 0
	s_mov_b64 s[6:7], s[12:13]
                                        ; implicit-def: $sgpr23
                                        ; implicit-def: $sgpr24
                                        ; implicit-def: $sgpr25
                                        ; implicit-def: $sgpr26
	s_delay_alu instid0(VALU_DEP_2) | instskip(NEXT) | instid1(VALU_DEP_2)
	v_mad_u32 v7, v5, s12, v7
	v_mad_u32 v9, v3, s12, v9
	s_delay_alu instid0(VALU_DEP_2) | instskip(NEXT) | instid1(VALU_DEP_2)
	v_mad_u32 v7, v4, s13, v7
	v_mad_u32 v9, v2, s13, v9
	s_branch .LBB993_443
.LBB993_442:                            ;   in Loop: Header=BB993_443 Depth=1
	s_or_b32 exec_lo, exec_lo, s0
	s_delay_alu instid0(SALU_CYCLE_1) | instskip(NEXT) | instid1(SALU_CYCLE_1)
	s_and_b32 s0, exec_lo, s24
	s_or_b32 s22, s0, s22
	s_and_not1_b32 s0, s26, exec_lo
	s_and_b32 s26, s27, exec_lo
	s_and_not1_b32 s23, s23, exec_lo
	s_and_b32 s27, s25, exec_lo
	s_or_b32 s26, s0, s26
	s_or_b32 s23, s23, s27
	s_and_not1_b32 exec_lo, exec_lo, s22
	s_cbranch_execz .LBB993_445
.LBB993_443:                            ; =>This Inner Loop Header: Depth=1
	global_load_u8 v10, v[6:7], off
	global_load_u8 v11, v[8:9], off
	s_and_not1_b32 s25, s25, exec_lo
	s_or_b32 s24, s24, exec_lo
	s_wait_loadcnt 0x1
	v_cmp_eq_u16_e32 vcc_lo, 0, v10
	s_wait_loadcnt 0x0
	v_cmp_ne_u16_e64 s0, 0, v11
	s_or_b32 s27, vcc_lo, s0
	s_and_b32 s28, vcc_lo, s0
	s_and_b32 s27, s27, s26
	s_xor_b32 s29, vcc_lo, s0
	s_or_b32 s27, s28, s27
	s_delay_alu instid0(SALU_CYCLE_1) | instskip(NEXT) | instid1(SALU_CYCLE_1)
	s_and_b32 s28, s27, exec_lo
	s_or_b32 s25, s25, s28
	s_and_saveexec_b32 s0, s29
	s_cbranch_execz .LBB993_442
; %bb.444:                              ;   in Loop: Header=BB993_443 Depth=1
	s_add_nc_u64 s[6:7], s[6:7], -1
	v_add_nc_u64_e32 v[6:7], 1, v[6:7]
	s_cmp_eq_u64 s[6:7], 0
	v_add_nc_u64_e32 v[8:9], 1, v[8:9]
	s_cselect_b32 s26, -1, 0
	s_and_not1_b32 s24, s24, exec_lo
	s_and_b32 s26, s26, exec_lo
	s_and_not1_b32 s25, s25, exec_lo
	s_or_b32 s24, s24, s26
                                        ; implicit-def: $sgpr26
	s_branch .LBB993_442
.LBB993_445:
	s_or_b32 exec_lo, exec_lo, s22
	s_xor_b32 s0, s23, -1
	s_and_not1_b32 s1, s1, exec_lo
	s_and_b32 s0, s0, exec_lo
	s_delay_alu instid0(SALU_CYCLE_1)
	s_or_b32 s1, s1, s0
.LBB993_446:
	s_or_b32 exec_lo, exec_lo, s21
	v_dual_cndmask_b32 v6, v21, v20, s1 :: v_dual_cndmask_b32 v7, v36, v38, s1
	s_mov_b32 s22, -1
	s_mov_b32 s21, -1
	s_mov_b32 s23, exec_lo
	s_delay_alu instid0(VALU_DEP_1) | instskip(NEXT) | instid1(VALU_DEP_1)
	v_add_nc_u32_e32 v8, 1, v6
	v_add_min_u32_e64 v6, v7, -1, v8
	s_delay_alu instid0(VALU_DEP_1)
	v_lshl_add_u32 v6, v6, 3, v34
	ds_load_b64 v[6:7], v6
	s_wait_dscnt 0x0
	v_cndmask_b32_e64 v14, v7, v5, s1
	v_dual_cndmask_b32 v10, v8, v21, s1 :: v_dual_cndmask_b32 v15, v6, v4, s1
	v_dual_cndmask_b32 v11, v20, v8, s1 :: v_dual_cndmask_b32 v16, v3, v7, s1
	v_cndmask_b32_e64 v22, v2, v6, s1
	s_delay_alu instid0(VALU_DEP_3)
	v_cmpx_lt_u32_e64 v10, v36
	s_cbranch_execz .LBB993_454
; %bb.447:
	s_delay_alu instid0(VALU_DEP_3) | instskip(SKIP_1) | instid1(SALU_CYCLE_1)
	v_cmp_lt_u32_e64 s21, v11, v38
	s_xor_b32 s0, s5, -1
	s_and_b32 s0, s21, s0
	s_delay_alu instid0(SALU_CYCLE_1)
	s_and_saveexec_b32 s24, s0
	s_cbranch_execz .LBB993_453
; %bb.448:
	v_mad_nc_u64_u32 v[6:7], v15, s12, s[14:15]
	v_mad_nc_u64_u32 v[8:9], v22, s12, s[14:15]
	s_mov_b32 s25, 0
	s_mov_b64 s[6:7], s[12:13]
                                        ; implicit-def: $sgpr26
                                        ; implicit-def: $sgpr27
                                        ; implicit-def: $sgpr28
                                        ; implicit-def: $sgpr29
	s_delay_alu instid0(VALU_DEP_2) | instskip(NEXT) | instid1(VALU_DEP_2)
	v_mad_u32 v7, v14, s12, v7
	v_mad_u32 v9, v16, s12, v9
	s_delay_alu instid0(VALU_DEP_2) | instskip(NEXT) | instid1(VALU_DEP_2)
	v_mad_u32 v7, v15, s13, v7
	v_mad_u32 v9, v22, s13, v9
	s_branch .LBB993_450
.LBB993_449:                            ;   in Loop: Header=BB993_450 Depth=1
	s_or_b32 exec_lo, exec_lo, s0
	s_delay_alu instid0(SALU_CYCLE_1) | instskip(NEXT) | instid1(SALU_CYCLE_1)
	s_and_b32 s0, exec_lo, s27
	s_or_b32 s25, s0, s25
	s_and_not1_b32 s0, s29, exec_lo
	s_and_b32 s29, s30, exec_lo
	s_and_not1_b32 s26, s26, exec_lo
	s_and_b32 s30, s28, exec_lo
	s_or_b32 s29, s0, s29
	s_or_b32 s26, s26, s30
	s_and_not1_b32 exec_lo, exec_lo, s25
	s_cbranch_execz .LBB993_452
.LBB993_450:                            ; =>This Inner Loop Header: Depth=1
	global_load_u8 v12, v[6:7], off
	global_load_u8 v13, v[8:9], off
	s_and_not1_b32 s28, s28, exec_lo
	s_or_b32 s27, s27, exec_lo
	s_wait_loadcnt 0x1
	v_cmp_eq_u16_e32 vcc_lo, 0, v12
	s_wait_loadcnt 0x0
	v_cmp_ne_u16_e64 s0, 0, v13
	s_or_b32 s30, vcc_lo, s0
	s_and_b32 s31, vcc_lo, s0
	s_and_b32 s30, s30, s29
	s_xor_b32 s33, vcc_lo, s0
	s_or_b32 s30, s31, s30
	s_delay_alu instid0(SALU_CYCLE_1) | instskip(NEXT) | instid1(SALU_CYCLE_1)
	s_and_b32 s31, s30, exec_lo
	s_or_b32 s28, s28, s31
	s_and_saveexec_b32 s0, s33
	s_cbranch_execz .LBB993_449
; %bb.451:                              ;   in Loop: Header=BB993_450 Depth=1
	s_add_nc_u64 s[6:7], s[6:7], -1
	v_add_nc_u64_e32 v[6:7], 1, v[6:7]
	s_cmp_eq_u64 s[6:7], 0
	v_add_nc_u64_e32 v[8:9], 1, v[8:9]
	s_cselect_b32 s29, -1, 0
	s_and_not1_b32 s27, s27, exec_lo
	s_and_b32 s29, s29, exec_lo
	s_and_not1_b32 s28, s28, exec_lo
	s_or_b32 s27, s27, s29
                                        ; implicit-def: $sgpr29
	s_branch .LBB993_449
.LBB993_452:
	s_or_b32 exec_lo, exec_lo, s25
	s_xor_b32 s0, s26, -1
	s_and_not1_b32 s6, s21, exec_lo
	s_and_b32 s0, s0, exec_lo
	s_delay_alu instid0(SALU_CYCLE_1)
	s_or_b32 s21, s6, s0
.LBB993_453:
	s_or_b32 exec_lo, exec_lo, s24
	s_delay_alu instid0(SALU_CYCLE_1)
	s_or_not1_b32 s21, s21, exec_lo
.LBB993_454:
	s_or_b32 exec_lo, exec_lo, s23
	v_dual_cndmask_b32 v6, v10, v11, s21 :: v_dual_cndmask_b32 v7, v36, v38, s21
	s_mov_b32 s23, exec_lo
	s_delay_alu instid0(VALU_DEP_1) | instskip(NEXT) | instid1(VALU_DEP_1)
	v_add_nc_u32_e32 v8, 1, v6
	v_add_min_u32_e64 v6, v7, -1, v8
	s_delay_alu instid0(VALU_DEP_1)
	v_lshl_add_u32 v6, v6, 3, v34
	ds_load_b64 v[6:7], v6
	s_wait_dscnt 0x0
	v_dual_cndmask_b32 v17, v6, v15, s21 :: v_dual_cndmask_b32 v12, v8, v10, s21
	v_cndmask_b32_e64 v13, v11, v8, s21
	v_dual_cndmask_b32 v10, v7, v14, s21 :: v_dual_cndmask_b32 v11, v16, v7, s21
	v_cndmask_b32_e64 v23, v22, v6, s21
	s_delay_alu instid0(VALU_DEP_4)
	v_cmpx_lt_u32_e64 v12, v36
	s_cbranch_execz .LBB993_462
; %bb.455:
	v_cmp_lt_u32_e64 s22, v13, v38
	s_xor_b32 s0, s5, -1
	s_delay_alu instid0(SALU_CYCLE_1) | instskip(NEXT) | instid1(SALU_CYCLE_1)
	s_and_b32 s0, s22, s0
	s_and_saveexec_b32 s24, s0
	s_cbranch_execz .LBB993_461
; %bb.456:
	v_mad_nc_u64_u32 v[6:7], v17, s12, s[14:15]
	v_mad_nc_u64_u32 v[8:9], v23, s12, s[14:15]
	s_mov_b32 s25, 0
	s_mov_b64 s[6:7], s[12:13]
                                        ; implicit-def: $sgpr26
                                        ; implicit-def: $sgpr27
                                        ; implicit-def: $sgpr28
                                        ; implicit-def: $sgpr29
	s_delay_alu instid0(VALU_DEP_2) | instskip(NEXT) | instid1(VALU_DEP_2)
	v_mad_u32 v7, v10, s12, v7
	v_mad_u32 v9, v11, s12, v9
	s_delay_alu instid0(VALU_DEP_2) | instskip(NEXT) | instid1(VALU_DEP_2)
	v_mad_u32 v7, v17, s13, v7
	v_mad_u32 v9, v23, s13, v9
	s_branch .LBB993_458
.LBB993_457:                            ;   in Loop: Header=BB993_458 Depth=1
	s_or_b32 exec_lo, exec_lo, s0
	s_delay_alu instid0(SALU_CYCLE_1) | instskip(NEXT) | instid1(SALU_CYCLE_1)
	s_and_b32 s0, exec_lo, s27
	s_or_b32 s25, s0, s25
	s_and_not1_b32 s0, s29, exec_lo
	s_and_b32 s29, s30, exec_lo
	s_and_not1_b32 s26, s26, exec_lo
	s_and_b32 s30, s28, exec_lo
	s_or_b32 s29, s0, s29
	s_or_b32 s26, s26, s30
	s_and_not1_b32 exec_lo, exec_lo, s25
	s_cbranch_execz .LBB993_460
.LBB993_458:                            ; =>This Inner Loop Header: Depth=1
	global_load_u8 v20, v[6:7], off
	global_load_u8 v21, v[8:9], off
	s_and_not1_b32 s28, s28, exec_lo
	s_or_b32 s27, s27, exec_lo
	s_wait_loadcnt 0x1
	v_cmp_eq_u16_e32 vcc_lo, 0, v20
	s_wait_loadcnt 0x0
	v_cmp_ne_u16_e64 s0, 0, v21
	s_or_b32 s30, vcc_lo, s0
	s_and_b32 s31, vcc_lo, s0
	s_and_b32 s30, s30, s29
	s_xor_b32 s33, vcc_lo, s0
	s_or_b32 s30, s31, s30
	s_delay_alu instid0(SALU_CYCLE_1) | instskip(NEXT) | instid1(SALU_CYCLE_1)
	s_and_b32 s31, s30, exec_lo
	s_or_b32 s28, s28, s31
	s_and_saveexec_b32 s0, s33
	s_cbranch_execz .LBB993_457
; %bb.459:                              ;   in Loop: Header=BB993_458 Depth=1
	s_add_nc_u64 s[6:7], s[6:7], -1
	v_add_nc_u64_e32 v[6:7], 1, v[6:7]
	s_cmp_eq_u64 s[6:7], 0
	v_add_nc_u64_e32 v[8:9], 1, v[8:9]
	s_cselect_b32 s29, -1, 0
	s_and_not1_b32 s27, s27, exec_lo
	s_and_b32 s29, s29, exec_lo
	s_and_not1_b32 s28, s28, exec_lo
	s_or_b32 s27, s27, s29
                                        ; implicit-def: $sgpr29
	s_branch .LBB993_457
.LBB993_460:
	s_or_b32 exec_lo, exec_lo, s25
	s_xor_b32 s0, s26, -1
	s_and_not1_b32 s6, s22, exec_lo
	s_and_b32 s0, s0, exec_lo
	s_delay_alu instid0(SALU_CYCLE_1)
	s_or_b32 s22, s6, s0
.LBB993_461:
	s_or_b32 exec_lo, exec_lo, s24
	s_delay_alu instid0(SALU_CYCLE_1)
	s_or_not1_b32 s22, s22, exec_lo
.LBB993_462:
	s_or_b32 exec_lo, exec_lo, s23
	v_cndmask_b32_e64 v6, v12, v13, s22
	v_cndmask_b32_e64 v7, v36, v38, s22
	s_mov_b32 s24, -1
	s_mov_b32 s23, -1
	s_mov_b32 s25, exec_lo
	v_add_nc_u32_e32 v8, 1, v6
	s_delay_alu instid0(VALU_DEP_1) | instskip(SKIP_1) | instid1(VALU_DEP_2)
	v_add_min_u32_e64 v6, v7, -1, v8
	v_cndmask_b32_e64 v21, v13, v8, s22
	v_lshl_add_u32 v6, v6, 3, v34
	ds_load_b64 v[6:7], v6
	s_wait_dscnt 0x0
	v_dual_cndmask_b32 v35, v6, v17, s22 :: v_dual_cndmask_b32 v13, v11, v7, s22
	v_dual_cndmask_b32 v20, v8, v12, s22 :: v_dual_cndmask_b32 v12, v7, v10, s22
	v_cndmask_b32_e64 v37, v23, v6, s22
	s_delay_alu instid0(VALU_DEP_2)
	v_cmpx_lt_u32_e64 v20, v36
	s_cbranch_execz .LBB993_470
; %bb.463:
	v_cmp_lt_u32_e64 s23, v21, v38
	s_xor_b32 s0, s5, -1
	s_delay_alu instid0(SALU_CYCLE_1) | instskip(NEXT) | instid1(SALU_CYCLE_1)
	s_and_b32 s0, s23, s0
	s_and_saveexec_b32 s26, s0
	s_cbranch_execz .LBB993_469
; %bb.464:
	v_mad_nc_u64_u32 v[6:7], v35, s12, s[14:15]
	v_mad_nc_u64_u32 v[8:9], v37, s12, s[14:15]
	s_mov_b32 s27, 0
	s_mov_b64 s[6:7], s[12:13]
                                        ; implicit-def: $sgpr28
                                        ; implicit-def: $sgpr29
                                        ; implicit-def: $sgpr30
                                        ; implicit-def: $sgpr31
	s_delay_alu instid0(VALU_DEP_2) | instskip(NEXT) | instid1(VALU_DEP_2)
	v_mad_u32 v7, v12, s12, v7
	v_mad_u32 v9, v13, s12, v9
	s_delay_alu instid0(VALU_DEP_2) | instskip(NEXT) | instid1(VALU_DEP_2)
	v_mad_u32 v7, v35, s13, v7
	v_mad_u32 v9, v37, s13, v9
	s_branch .LBB993_466
.LBB993_465:                            ;   in Loop: Header=BB993_466 Depth=1
	s_or_b32 exec_lo, exec_lo, s0
	s_delay_alu instid0(SALU_CYCLE_1) | instskip(NEXT) | instid1(SALU_CYCLE_1)
	s_and_b32 s0, exec_lo, s29
	s_or_b32 s27, s0, s27
	s_and_not1_b32 s0, s31, exec_lo
	s_and_b32 s31, s33, exec_lo
	s_and_not1_b32 s28, s28, exec_lo
	s_and_b32 s33, s30, exec_lo
	s_or_b32 s31, s0, s31
	s_or_b32 s28, s28, s33
	s_and_not1_b32 exec_lo, exec_lo, s27
	s_cbranch_execz .LBB993_468
.LBB993_466:                            ; =>This Inner Loop Header: Depth=1
	global_load_u8 v39, v[6:7], off
	global_load_u8 v40, v[8:9], off
	s_and_not1_b32 s30, s30, exec_lo
	s_or_b32 s29, s29, exec_lo
	s_wait_loadcnt 0x1
	v_cmp_eq_u16_e32 vcc_lo, 0, v39
	s_wait_loadcnt 0x0
	v_cmp_ne_u16_e64 s0, 0, v40
	s_or_b32 s33, vcc_lo, s0
	s_and_b32 s34, vcc_lo, s0
	s_and_b32 s33, s33, s31
	s_xor_b32 s35, vcc_lo, s0
	s_or_b32 s33, s34, s33
	s_delay_alu instid0(SALU_CYCLE_1) | instskip(NEXT) | instid1(SALU_CYCLE_1)
	s_and_b32 s34, s33, exec_lo
	s_or_b32 s30, s30, s34
	s_and_saveexec_b32 s0, s35
	s_cbranch_execz .LBB993_465
; %bb.467:                              ;   in Loop: Header=BB993_466 Depth=1
	s_add_nc_u64 s[6:7], s[6:7], -1
	v_add_nc_u64_e32 v[6:7], 1, v[6:7]
	s_cmp_eq_u64 s[6:7], 0
	v_add_nc_u64_e32 v[8:9], 1, v[8:9]
	s_cselect_b32 s31, -1, 0
	s_and_not1_b32 s29, s29, exec_lo
	s_and_b32 s31, s31, exec_lo
	s_and_not1_b32 s30, s30, exec_lo
	s_or_b32 s29, s29, s31
                                        ; implicit-def: $sgpr31
	s_branch .LBB993_465
.LBB993_468:
	s_or_b32 exec_lo, exec_lo, s27
	s_xor_b32 s0, s28, -1
	s_and_not1_b32 s6, s23, exec_lo
	s_and_b32 s0, s0, exec_lo
	s_delay_alu instid0(SALU_CYCLE_1)
	s_or_b32 s23, s6, s0
.LBB993_469:
	s_or_b32 exec_lo, exec_lo, s26
	s_delay_alu instid0(SALU_CYCLE_1)
	s_or_not1_b32 s23, s23, exec_lo
.LBB993_470:
	s_or_b32 exec_lo, exec_lo, s25
	v_cndmask_b32_e64 v6, v20, v21, s23
	v_cndmask_b32_e64 v7, v36, v38, s23
	s_mov_b32 s25, exec_lo
	s_delay_alu instid0(VALU_DEP_2) | instskip(NEXT) | instid1(VALU_DEP_1)
	v_add_nc_u32_e32 v8, 1, v6
	v_add_min_u32_e64 v6, v7, -1, v8
	s_delay_alu instid0(VALU_DEP_1)
	v_lshl_add_u32 v6, v6, 3, v34
	ds_load_b64 v[6:7], v6
	s_wait_dscnt 0x0
	v_cndmask_b32_e64 v39, v7, v12, s23
	v_dual_cndmask_b32 v20, v8, v20, s23 :: v_dual_cndmask_b32 v41, v13, v7, s23
	v_dual_cndmask_b32 v21, v21, v8, s23 :: v_dual_cndmask_b32 v40, v6, v35, s23
	v_cndmask_b32_e64 v42, v37, v6, s23
	s_delay_alu instid0(VALU_DEP_3)
	v_cmpx_lt_u32_e64 v20, v36
	s_cbranch_execz .LBB993_478
; %bb.471:
	s_delay_alu instid0(VALU_DEP_3) | instskip(SKIP_1) | instid1(SALU_CYCLE_1)
	v_cmp_lt_u32_e64 s24, v21, v38
	s_xor_b32 s0, s5, -1
	s_and_b32 s0, s24, s0
	s_delay_alu instid0(SALU_CYCLE_1)
	s_and_saveexec_b32 s26, s0
	s_cbranch_execz .LBB993_477
; %bb.472:
	v_mad_nc_u64_u32 v[6:7], v40, s12, s[14:15]
	v_mad_nc_u64_u32 v[8:9], v42, s12, s[14:15]
	s_mov_b32 s27, 0
	s_mov_b64 s[6:7], s[12:13]
                                        ; implicit-def: $sgpr28
                                        ; implicit-def: $sgpr29
                                        ; implicit-def: $sgpr30
                                        ; implicit-def: $sgpr31
	s_delay_alu instid0(VALU_DEP_2) | instskip(NEXT) | instid1(VALU_DEP_2)
	v_mad_u32 v7, v39, s12, v7
	v_mad_u32 v9, v41, s12, v9
	s_delay_alu instid0(VALU_DEP_2) | instskip(NEXT) | instid1(VALU_DEP_2)
	v_mad_u32 v7, v40, s13, v7
	v_mad_u32 v9, v42, s13, v9
	s_branch .LBB993_474
.LBB993_473:                            ;   in Loop: Header=BB993_474 Depth=1
	s_or_b32 exec_lo, exec_lo, s0
	s_delay_alu instid0(SALU_CYCLE_1) | instskip(NEXT) | instid1(SALU_CYCLE_1)
	s_and_b32 s0, exec_lo, s29
	s_or_b32 s27, s0, s27
	s_and_not1_b32 s0, s31, exec_lo
	s_and_b32 s31, s33, exec_lo
	s_and_not1_b32 s28, s28, exec_lo
	s_and_b32 s33, s30, exec_lo
	s_or_b32 s31, s0, s31
	s_or_b32 s28, s28, s33
	s_and_not1_b32 exec_lo, exec_lo, s27
	s_cbranch_execz .LBB993_476
.LBB993_474:                            ; =>This Inner Loop Header: Depth=1
	global_load_u8 v43, v[6:7], off
	global_load_u8 v44, v[8:9], off
	s_and_not1_b32 s30, s30, exec_lo
	s_or_b32 s29, s29, exec_lo
	s_wait_loadcnt 0x1
	v_cmp_eq_u16_e32 vcc_lo, 0, v43
	s_wait_loadcnt 0x0
	v_cmp_ne_u16_e64 s0, 0, v44
	s_or_b32 s33, vcc_lo, s0
	s_and_b32 s34, vcc_lo, s0
	s_and_b32 s33, s33, s31
	s_xor_b32 s35, vcc_lo, s0
	s_or_b32 s33, s34, s33
	s_delay_alu instid0(SALU_CYCLE_1) | instskip(NEXT) | instid1(SALU_CYCLE_1)
	s_and_b32 s34, s33, exec_lo
	s_or_b32 s30, s30, s34
	s_and_saveexec_b32 s0, s35
	s_cbranch_execz .LBB993_473
; %bb.475:                              ;   in Loop: Header=BB993_474 Depth=1
	s_add_nc_u64 s[6:7], s[6:7], -1
	v_add_nc_u64_e32 v[6:7], 1, v[6:7]
	s_cmp_eq_u64 s[6:7], 0
	v_add_nc_u64_e32 v[8:9], 1, v[8:9]
	s_cselect_b32 s31, -1, 0
	s_and_not1_b32 s29, s29, exec_lo
	s_and_b32 s31, s31, exec_lo
	s_and_not1_b32 s30, s30, exec_lo
	s_or_b32 s29, s29, s31
                                        ; implicit-def: $sgpr31
	s_branch .LBB993_473
.LBB993_476:
	s_or_b32 exec_lo, exec_lo, s27
	s_xor_b32 s0, s28, -1
	s_and_not1_b32 s6, s24, exec_lo
	s_and_b32 s0, s0, exec_lo
	s_delay_alu instid0(SALU_CYCLE_1)
	s_or_b32 s24, s6, s0
.LBB993_477:
	s_or_b32 exec_lo, exec_lo, s26
	s_delay_alu instid0(SALU_CYCLE_1)
	s_or_not1_b32 s24, s24, exec_lo
.LBB993_478:
	s_or_b32 exec_lo, exec_lo, s25
	v_cndmask_b32_e64 v6, v20, v21, s24
	v_cndmask_b32_e64 v7, v36, v38, s24
	s_mov_b32 s25, -1
	s_mov_b32 s26, -1
	s_mov_b32 s27, exec_lo
	v_add_nc_u32_e32 v8, 1, v6
	s_delay_alu instid0(VALU_DEP_1) | instskip(NEXT) | instid1(VALU_DEP_1)
	v_add_min_u32_e64 v6, v7, -1, v8
	v_lshl_add_u32 v6, v6, 3, v34
	ds_load_b64 v[6:7], v6
	s_wait_dscnt 0x0
	v_dual_cndmask_b32 v43, v7, v39, s24 :: v_dual_cndmask_b32 v20, v8, v20, s24
	v_cndmask_b32_e64 v45, v41, v7, s24
	v_cndmask_b32_e64 v21, v21, v8, s24
	;; [unrolled: 1-line block ×4, first 2 shown]
	v_cmpx_lt_u32_e64 v20, v36
	s_cbranch_execz .LBB993_486
; %bb.479:
	v_cmp_lt_u32_e64 s26, v21, v38
	s_xor_b32 s0, s5, -1
	s_delay_alu instid0(SALU_CYCLE_1) | instskip(NEXT) | instid1(SALU_CYCLE_1)
	s_and_b32 s0, s26, s0
	s_and_saveexec_b32 s28, s0
	s_cbranch_execz .LBB993_485
; %bb.480:
	v_mad_nc_u64_u32 v[6:7], v44, s12, s[14:15]
	v_mad_nc_u64_u32 v[8:9], v46, s12, s[14:15]
	s_mov_b32 s29, 0
	s_mov_b64 s[6:7], s[12:13]
                                        ; implicit-def: $sgpr30
                                        ; implicit-def: $sgpr31
                                        ; implicit-def: $sgpr33
                                        ; implicit-def: $sgpr34
	s_delay_alu instid0(VALU_DEP_2) | instskip(NEXT) | instid1(VALU_DEP_2)
	v_mad_u32 v7, v43, s12, v7
	v_mad_u32 v9, v45, s12, v9
	s_delay_alu instid0(VALU_DEP_2) | instskip(NEXT) | instid1(VALU_DEP_2)
	v_mad_u32 v7, v44, s13, v7
	v_mad_u32 v9, v46, s13, v9
	s_branch .LBB993_482
.LBB993_481:                            ;   in Loop: Header=BB993_482 Depth=1
	s_or_b32 exec_lo, exec_lo, s0
	s_delay_alu instid0(SALU_CYCLE_1) | instskip(NEXT) | instid1(SALU_CYCLE_1)
	s_and_b32 s0, exec_lo, s31
	s_or_b32 s29, s0, s29
	s_and_not1_b32 s0, s34, exec_lo
	s_and_b32 s34, s35, exec_lo
	s_and_not1_b32 s30, s30, exec_lo
	s_and_b32 s35, s33, exec_lo
	s_or_b32 s34, s0, s34
	s_or_b32 s30, s30, s35
	s_and_not1_b32 exec_lo, exec_lo, s29
	s_cbranch_execz .LBB993_484
.LBB993_482:                            ; =>This Inner Loop Header: Depth=1
	global_load_u8 v47, v[6:7], off
	global_load_u8 v48, v[8:9], off
	s_and_not1_b32 s33, s33, exec_lo
	s_or_b32 s31, s31, exec_lo
	s_wait_loadcnt 0x1
	v_cmp_eq_u16_e32 vcc_lo, 0, v47
	s_wait_loadcnt 0x0
	v_cmp_ne_u16_e64 s0, 0, v48
	s_or_b32 s35, vcc_lo, s0
	s_and_b32 s36, vcc_lo, s0
	s_and_b32 s35, s35, s34
	s_xor_b32 s37, vcc_lo, s0
	s_or_b32 s35, s36, s35
	s_delay_alu instid0(SALU_CYCLE_1) | instskip(NEXT) | instid1(SALU_CYCLE_1)
	s_and_b32 s36, s35, exec_lo
	s_or_b32 s33, s33, s36
	s_and_saveexec_b32 s0, s37
	s_cbranch_execz .LBB993_481
; %bb.483:                              ;   in Loop: Header=BB993_482 Depth=1
	s_add_nc_u64 s[6:7], s[6:7], -1
	v_add_nc_u64_e32 v[6:7], 1, v[6:7]
	s_cmp_eq_u64 s[6:7], 0
	v_add_nc_u64_e32 v[8:9], 1, v[8:9]
	s_cselect_b32 s34, -1, 0
	s_and_not1_b32 s31, s31, exec_lo
	s_and_b32 s34, s34, exec_lo
	s_and_not1_b32 s33, s33, exec_lo
	s_or_b32 s31, s31, s34
                                        ; implicit-def: $sgpr34
	s_branch .LBB993_481
.LBB993_484:
	s_or_b32 exec_lo, exec_lo, s29
	s_xor_b32 s0, s30, -1
	s_and_not1_b32 s6, s26, exec_lo
	s_and_b32 s0, s0, exec_lo
	s_delay_alu instid0(SALU_CYCLE_1)
	s_or_b32 s26, s6, s0
.LBB993_485:
	s_or_b32 exec_lo, exec_lo, s28
	s_delay_alu instid0(SALU_CYCLE_1)
	s_or_not1_b32 s26, s26, exec_lo
.LBB993_486:
	s_or_b32 exec_lo, exec_lo, s27
	v_cndmask_b32_e64 v6, v20, v21, s26
	v_cndmask_b32_e64 v7, v36, v38, s26
	s_mov_b32 s27, exec_lo
	s_delay_alu instid0(VALU_DEP_2) | instskip(NEXT) | instid1(VALU_DEP_1)
	v_add_nc_u32_e32 v8, 1, v6
	v_add_min_u32_e64 v6, v7, -1, v8
	s_delay_alu instid0(VALU_DEP_1)
	v_lshl_add_u32 v6, v6, 3, v34
	ds_load_b64 v[6:7], v6
	s_wait_dscnt 0x0
	v_dual_cndmask_b32 v48, v7, v43, s26 :: v_dual_cndmask_b32 v50, v8, v20, s26
	v_cndmask_b32_e64 v51, v45, v7, s26
	v_cndmask_b32_e64 v47, v21, v8, s26
	;; [unrolled: 1-line block ×4, first 2 shown]
	v_cmpx_lt_u32_e64 v50, v36
	s_cbranch_execz .LBB993_494
; %bb.487:
	v_cmp_lt_u32_e64 s25, v47, v38
	s_xor_b32 s0, s5, -1
	s_delay_alu instid0(SALU_CYCLE_1) | instskip(NEXT) | instid1(SALU_CYCLE_1)
	s_and_b32 s0, s25, s0
	s_and_saveexec_b32 s28, s0
	s_cbranch_execz .LBB993_493
; %bb.488:
	v_mad_nc_u64_u32 v[6:7], v49, s12, s[14:15]
	v_mad_nc_u64_u32 v[8:9], v52, s12, s[14:15]
	s_mov_b32 s29, 0
	s_mov_b64 s[6:7], s[12:13]
                                        ; implicit-def: $sgpr30
                                        ; implicit-def: $sgpr31
                                        ; implicit-def: $sgpr33
                                        ; implicit-def: $sgpr34
	s_delay_alu instid0(VALU_DEP_2) | instskip(NEXT) | instid1(VALU_DEP_2)
	v_mad_u32 v7, v48, s12, v7
	v_mad_u32 v9, v51, s12, v9
	s_delay_alu instid0(VALU_DEP_2) | instskip(NEXT) | instid1(VALU_DEP_2)
	v_mad_u32 v7, v49, s13, v7
	v_mad_u32 v9, v52, s13, v9
	s_branch .LBB993_490
.LBB993_489:                            ;   in Loop: Header=BB993_490 Depth=1
	s_or_b32 exec_lo, exec_lo, s0
	s_delay_alu instid0(SALU_CYCLE_1) | instskip(NEXT) | instid1(SALU_CYCLE_1)
	s_and_b32 s0, exec_lo, s31
	s_or_b32 s29, s0, s29
	s_and_not1_b32 s0, s34, exec_lo
	s_and_b32 s34, s35, exec_lo
	s_and_not1_b32 s30, s30, exec_lo
	s_and_b32 s35, s33, exec_lo
	s_or_b32 s34, s0, s34
	s_or_b32 s30, s30, s35
	s_and_not1_b32 exec_lo, exec_lo, s29
	s_cbranch_execz .LBB993_492
.LBB993_490:                            ; =>This Inner Loop Header: Depth=1
	global_load_u8 v20, v[6:7], off
	global_load_u8 v21, v[8:9], off
	s_and_not1_b32 s33, s33, exec_lo
	s_or_b32 s31, s31, exec_lo
	s_wait_loadcnt 0x1
	v_cmp_eq_u16_e32 vcc_lo, 0, v20
	s_wait_loadcnt 0x0
	v_cmp_ne_u16_e64 s0, 0, v21
	s_or_b32 s35, vcc_lo, s0
	s_and_b32 s36, vcc_lo, s0
	s_and_b32 s35, s35, s34
	s_xor_b32 s37, vcc_lo, s0
	s_or_b32 s35, s36, s35
	s_delay_alu instid0(SALU_CYCLE_1) | instskip(NEXT) | instid1(SALU_CYCLE_1)
	s_and_b32 s36, s35, exec_lo
	s_or_b32 s33, s33, s36
	s_and_saveexec_b32 s0, s37
	s_cbranch_execz .LBB993_489
; %bb.491:                              ;   in Loop: Header=BB993_490 Depth=1
	s_add_nc_u64 s[6:7], s[6:7], -1
	v_add_nc_u64_e32 v[6:7], 1, v[6:7]
	s_cmp_eq_u64 s[6:7], 0
	v_add_nc_u64_e32 v[8:9], 1, v[8:9]
	s_cselect_b32 s34, -1, 0
	s_and_not1_b32 s31, s31, exec_lo
	s_and_b32 s34, s34, exec_lo
	s_and_not1_b32 s33, s33, exec_lo
	s_or_b32 s31, s31, s34
                                        ; implicit-def: $sgpr34
	s_branch .LBB993_489
.LBB993_492:
	s_or_b32 exec_lo, exec_lo, s29
	s_xor_b32 s0, s30, -1
	s_and_not1_b32 s6, s25, exec_lo
	s_and_b32 s0, s0, exec_lo
	s_delay_alu instid0(SALU_CYCLE_1)
	s_or_b32 s25, s6, s0
.LBB993_493:
	s_or_b32 exec_lo, exec_lo, s28
	s_delay_alu instid0(SALU_CYCLE_1)
	s_or_not1_b32 s25, s25, exec_lo
.LBB993_494:
	s_or_b32 exec_lo, exec_lo, s27
	v_dual_cndmask_b32 v6, v50, v47, s25 :: v_dual_cndmask_b32 v7, v36, v38, s25
	v_cndmask_b32_e64 v8, v44, v46, s26
	v_dual_cndmask_b32 v13, v12, v13, s23 :: v_dual_cndmask_b32 v11, v10, v11, s22
	s_delay_alu instid0(VALU_DEP_3) | instskip(SKIP_2) | instid1(VALU_DEP_3)
	v_dual_add_nc_u32 v53, 1, v6 :: v_dual_cndmask_b32 v9, v43, v45, s26
	v_dual_cndmask_b32 v10, v17, v23, s22 :: v_dual_cndmask_b32 v17, v14, v16, s21
	v_dual_cndmask_b32 v16, v15, v22, s21 :: v_dual_cndmask_b32 v15, v5, v3, s1
	v_add_min_u32_e64 v6, v7, -1, v53
	v_dual_cndmask_b32 v7, v39, v41, s24 :: v_dual_cndmask_b32 v14, v4, v2, s1
	v_cndmask_b32_e64 v2, v49, v52, s25
	v_dual_cndmask_b32 v22, v53, v50, s25 :: v_dual_cndmask_b32 v3, v48, v51, s25
	s_delay_alu instid0(VALU_DEP_4)
	v_lshl_add_u32 v6, v6, 3, v34
	s_mov_b32 s1, exec_lo
	v_cndmask_b32_e64 v12, v35, v37, s23
	ds_load_b64 v[20:21], v6
	s_wait_dscnt 0x0
	v_dual_cndmask_b32 v6, v40, v42, s24 :: v_dual_cndmask_b32 v5, v51, v21, s25
	v_cndmask_b32_e64 v4, v52, v20, s25
	v_cmpx_lt_u32_e64 v22, v36
	s_cbranch_execz .LBB993_502
; %bb.495:
	v_dual_cndmask_b32 v22, v47, v53, s25 :: v_dual_cndmask_b32 v34, v21, v48, s25
	s_delay_alu instid0(VALU_DEP_1) | instskip(NEXT) | instid1(VALU_DEP_2)
	v_cmp_ge_u32_e32 vcc_lo, v22, v38
	v_dual_cndmask_b32 v35, v20, v49, s25 :: v_dual_cndmask_b32 v21, v5, v34, vcc_lo
	s_delay_alu instid0(VALU_DEP_1) | instskip(SKIP_1) | instid1(SALU_CYCLE_1)
	v_cndmask_b32_e32 v20, v4, v35, vcc_lo
	s_nor_b32 s0, vcc_lo, s5
	s_and_saveexec_b32 s21, s0
	s_cbranch_execz .LBB993_501
; %bb.496:
	v_mad_nc_u64_u32 v[20:21], v35, s12, s[14:15]
	v_mad_nc_u64_u32 v[22:23], v4, s12, s[14:15]
	s_mov_b32 s22, 0
	s_mov_b64 s[6:7], s[12:13]
                                        ; implicit-def: $sgpr23
                                        ; implicit-def: $sgpr24
                                        ; implicit-def: $sgpr25
                                        ; implicit-def: $sgpr26
	s_delay_alu instid0(VALU_DEP_2) | instskip(NEXT) | instid1(VALU_DEP_2)
	v_mad_u32 v21, v34, s12, v21
	v_mad_u32 v23, v5, s12, v23
	s_delay_alu instid0(VALU_DEP_2) | instskip(NEXT) | instid1(VALU_DEP_2)
	v_mad_u32 v21, v35, s13, v21
	v_mad_u32 v23, v4, s13, v23
	s_branch .LBB993_498
.LBB993_497:                            ;   in Loop: Header=BB993_498 Depth=1
	s_or_b32 exec_lo, exec_lo, s0
	s_delay_alu instid0(SALU_CYCLE_1) | instskip(NEXT) | instid1(SALU_CYCLE_1)
	s_and_b32 s0, exec_lo, s24
	s_or_b32 s22, s0, s22
	s_and_not1_b32 s0, s26, exec_lo
	s_and_b32 s26, s27, exec_lo
	s_and_not1_b32 s23, s23, exec_lo
	s_and_b32 s27, s25, exec_lo
	s_or_b32 s26, s0, s26
	s_or_b32 s23, s23, s27
	s_and_not1_b32 exec_lo, exec_lo, s22
	s_cbranch_execz .LBB993_500
.LBB993_498:                            ; =>This Inner Loop Header: Depth=1
	global_load_u8 v36, v[20:21], off
	global_load_u8 v37, v[22:23], off
	s_and_not1_b32 s25, s25, exec_lo
	s_or_b32 s24, s24, exec_lo
	s_wait_loadcnt 0x1
	v_cmp_eq_u16_e32 vcc_lo, 0, v36
	s_wait_loadcnt 0x0
	v_cmp_ne_u16_e64 s0, 0, v37
	s_or_b32 s27, vcc_lo, s0
	s_and_b32 s28, vcc_lo, s0
	s_and_b32 s27, s27, s26
	s_xor_b32 s29, vcc_lo, s0
	s_or_b32 s27, s28, s27
	s_delay_alu instid0(SALU_CYCLE_1) | instskip(NEXT) | instid1(SALU_CYCLE_1)
	s_and_b32 s28, s27, exec_lo
	s_or_b32 s25, s25, s28
	s_and_saveexec_b32 s0, s29
	s_cbranch_execz .LBB993_497
; %bb.499:                              ;   in Loop: Header=BB993_498 Depth=1
	s_add_nc_u64 s[6:7], s[6:7], -1
	v_add_nc_u64_e32 v[20:21], 1, v[20:21]
	s_cmp_eq_u64 s[6:7], 0
	v_add_nc_u64_e32 v[22:23], 1, v[22:23]
	s_cselect_b32 s26, -1, 0
	s_and_not1_b32 s24, s24, exec_lo
	s_and_b32 s26, s26, exec_lo
	s_and_not1_b32 s25, s25, exec_lo
	s_or_b32 s24, s24, s26
                                        ; implicit-def: $sgpr26
	s_branch .LBB993_497
.LBB993_500:
	s_or_b32 exec_lo, exec_lo, s22
	v_dual_cndmask_b32 v21, v5, v34, s23 :: v_dual_cndmask_b32 v20, v4, v35, s23
.LBB993_501:
	s_or_b32 exec_lo, exec_lo, s21
	s_delay_alu instid0(VALU_DEP_1)
	v_mov_b64_e32 v[4:5], v[20:21]
.LBB993_502:
	s_or_b32 exec_lo, exec_lo, s1
.LBB993_503:
	s_delay_alu instid0(SALU_CYCLE_1)
	s_or_b32 exec_lo, exec_lo, s20
	v_lshlrev_b32_e32 v34, 3, v1
	s_movk_i32 s21, 0x80
	s_xor_b32 s20, s5, -1
	; wave barrier
	s_wait_dscnt 0x0
	s_barrier_signal -1
	s_barrier_wait -1
.LBB993_504:                            ; =>This Loop Header: Depth=1
                                        ;     Child Loop BB993_508 Depth 2
                                        ;       Child Loop BB993_511 Depth 3
                                        ;     Child Loop BB993_522 Depth 2
                                        ;     Child Loop BB993_529 Depth 2
	;; [unrolled: 1-line block ×8, first 2 shown]
	s_lshl_b32 s22, s21, 1
	s_mov_b32 s1, exec_lo
	s_sub_co_i32 s0, 0, s22
	ds_store_b128 v34, v[14:17]
	ds_store_b128 v34, v[10:13] offset:16
	ds_store_b128 v34, v[6:9] offset:32
	;; [unrolled: 1-line block ×3, first 2 shown]
	v_and_b32_e32 v39, s0, v1
	s_add_co_i32 s0, s22, -1
	s_wait_dscnt 0x0
	s_barrier_signal -1
	s_barrier_wait -1
	v_add_min_u32_e64 v35, v39, s21, 0x800
	s_delay_alu instid0(VALU_DEP_1) | instskip(NEXT) | instid1(VALU_DEP_1)
	v_add_min_u32_e64 v36, v35, s21, 0x800
	v_dual_sub_nc_u32 v21, v36, v35 :: v_dual_bitop2_b32 v20, s0, v1 bitop3:0x40
	v_lshlrev_b32_e32 v38, 3, v39
	s_delay_alu instid0(VALU_DEP_2) | instskip(SKIP_1) | instid1(VALU_DEP_2)
	v_min_u32_e32 v40, 0x800, v20
	v_sub_nc_u32_e32 v20, v35, v39
	v_sub_nc_u32_e64 v37, v40, v21 clamp
	s_delay_alu instid0(VALU_DEP_2) | instskip(NEXT) | instid1(VALU_DEP_1)
	v_min_u32_e32 v41, v40, v20
	v_cmpx_lt_u32_e64 v37, v41
	s_cbranch_execz .LBB993_514
; %bb.505:                              ;   in Loop: Header=BB993_504 Depth=1
	v_lshlrev_b32_e32 v20, 3, v40
	s_mov_b32 s23, 0
	s_delay_alu instid0(VALU_DEP_1)
	v_lshl_add_u32 v42, v35, 3, v20
	s_branch .LBB993_508
.LBB993_506:                            ;   in Loop: Header=BB993_508 Depth=2
	s_or_b32 exec_lo, exec_lo, s25
.LBB993_507:                            ;   in Loop: Header=BB993_508 Depth=2
	s_delay_alu instid0(VALU_DEP_1) | instskip(NEXT) | instid1(VALU_DEP_1)
	v_dual_add_nc_u32 v20, 1, v43 :: v_dual_cndmask_b32 v41, v41, v43, s24
	v_cndmask_b32_e64 v37, v20, v37, s24
	s_delay_alu instid0(VALU_DEP_1) | instskip(SKIP_1) | instid1(SALU_CYCLE_1)
	v_cmp_ge_u32_e32 vcc_lo, v37, v41
	s_or_b32 s23, vcc_lo, s23
	s_and_not1_b32 exec_lo, exec_lo, s23
	s_cbranch_execz .LBB993_513
.LBB993_508:                            ;   Parent Loop BB993_504 Depth=1
                                        ; =>  This Loop Header: Depth=2
                                        ;       Child Loop BB993_511 Depth 3
	v_add_nc_u32_e32 v20, v41, v37
	v_cmp_ne_u32_e32 vcc_lo, 1, v33
	s_mov_b32 s24, 0
	s_delay_alu instid0(VALU_DEP_2)
	v_lshrrev_b32_e32 v43, 1, v20
	s_cbranch_vccnz .LBB993_507
; %bb.509:                              ;   in Loop: Header=BB993_508 Depth=2
	s_delay_alu instid0(VALU_DEP_1) | instskip(SKIP_3) | instid1(VALU_DEP_2)
	v_not_b32_e32 v20, v43
	v_lshl_add_u32 v21, v43, 3, v38
	s_mov_b32 s25, 0
	s_mov_b64 s[6:7], s[12:13]
                                        ; implicit-def: $sgpr24
                                        ; implicit-def: $sgpr26
                                        ; implicit-def: $sgpr27
                                        ; implicit-def: $sgpr28
	v_lshl_add_u32 v20, v20, 3, v42
	ds_load_b64 v[44:45], v20
	ds_load_b64 v[46:47], v21
	s_wait_dscnt 0x1
	v_mad_nc_u64_u32 v[20:21], v44, s12, s[14:15]
	s_wait_dscnt 0x0
	v_mad_nc_u64_u32 v[22:23], v46, s12, s[14:15]
	s_delay_alu instid0(VALU_DEP_2) | instskip(NEXT) | instid1(VALU_DEP_2)
	v_mad_u32 v21, v45, s12, v21
	v_mad_u32 v23, v47, s12, v23
	s_delay_alu instid0(VALU_DEP_2) | instskip(NEXT) | instid1(VALU_DEP_2)
	v_mad_u32 v21, v44, s13, v21
	v_mad_u32 v23, v46, s13, v23
	s_branch .LBB993_511
.LBB993_510:                            ;   in Loop: Header=BB993_511 Depth=3
	s_or_b32 exec_lo, exec_lo, s0
	s_delay_alu instid0(SALU_CYCLE_1) | instskip(NEXT) | instid1(SALU_CYCLE_1)
	s_and_b32 s0, exec_lo, s26
	s_or_b32 s25, s0, s25
	s_and_not1_b32 s0, s28, exec_lo
	s_and_b32 s28, s29, exec_lo
	s_and_not1_b32 s24, s24, exec_lo
	s_and_b32 s29, s27, exec_lo
	s_or_b32 s28, s0, s28
	s_or_b32 s24, s24, s29
	s_and_not1_b32 exec_lo, exec_lo, s25
	s_cbranch_execz .LBB993_506
.LBB993_511:                            ;   Parent Loop BB993_504 Depth=1
                                        ;     Parent Loop BB993_508 Depth=2
                                        ; =>    This Inner Loop Header: Depth=3
	global_load_u8 v44, v[20:21], off
	global_load_u8 v45, v[22:23], off
	s_and_not1_b32 s27, s27, exec_lo
	s_or_b32 s26, s26, exec_lo
	s_wait_loadcnt 0x1
	v_cmp_eq_u16_e32 vcc_lo, 0, v44
	s_wait_loadcnt 0x0
	v_cmp_ne_u16_e64 s0, 0, v45
	s_or_b32 s29, vcc_lo, s0
	s_and_b32 s30, vcc_lo, s0
	s_and_b32 s29, s29, s28
	s_xor_b32 s31, vcc_lo, s0
	s_or_b32 s29, s30, s29
	s_delay_alu instid0(SALU_CYCLE_1) | instskip(NEXT) | instid1(SALU_CYCLE_1)
	s_and_b32 s30, s29, exec_lo
	s_or_b32 s27, s27, s30
	s_and_saveexec_b32 s0, s31
	s_cbranch_execz .LBB993_510
; %bb.512:                              ;   in Loop: Header=BB993_511 Depth=3
	s_add_nc_u64 s[6:7], s[6:7], -1
	v_add_nc_u64_e32 v[20:21], 1, v[20:21]
	s_cmp_eq_u64 s[6:7], 0
	v_add_nc_u64_e32 v[22:23], 1, v[22:23]
	s_cselect_b32 s28, -1, 0
	s_and_not1_b32 s26, s26, exec_lo
	s_and_b32 s28, s28, exec_lo
	s_and_not1_b32 s27, s27, exec_lo
	s_or_b32 s26, s26, s28
                                        ; implicit-def: $sgpr28
	s_branch .LBB993_510
.LBB993_513:                            ;   in Loop: Header=BB993_504 Depth=1
	s_or_b32 exec_lo, exec_lo, s23
.LBB993_514:                            ;   in Loop: Header=BB993_504 Depth=1
	s_delay_alu instid0(SALU_CYCLE_1) | instskip(SKIP_1) | instid1(VALU_DEP_1)
	s_or_b32 exec_lo, exec_lo, s1
	v_dual_sub_nc_u32 v21, v40, v37 :: v_dual_add_nc_u32 v20, v37, v39
	v_add_nc_u32_e32 v21, v21, v35
	s_delay_alu instid0(VALU_DEP_2) | instskip(NEXT) | instid1(VALU_DEP_2)
	v_cmp_le_u32_e32 vcc_lo, v20, v35
	v_cmp_le_u32_e64 s0, v21, v36
	s_or_b32 s0, vcc_lo, s0
	s_delay_alu instid0(SALU_CYCLE_1)
	s_and_saveexec_b32 s23, s0
	s_cbranch_execz .LBB993_582
; %bb.515:                              ;   in Loop: Header=BB993_504 Depth=1
	s_mov_b32 s1, exec_lo
	v_cmp_ge_u32_e32 vcc_lo, v20, v35
                                        ; implicit-def: $vgpr2_vgpr3
	v_cmpx_lt_u32_e64 v20, v35
; %bb.516:                              ;   in Loop: Header=BB993_504 Depth=1
	v_lshl_add_u32 v2, v37, 3, v38
	ds_load_b64 v[2:3], v2
; %bb.517:                              ;   in Loop: Header=BB993_504 Depth=1
	s_or_b32 exec_lo, exec_lo, s1
	v_cmp_ge_u32_e64 s0, v21, v36
	s_mov_b32 s6, exec_lo
                                        ; implicit-def: $vgpr14_vgpr15
	v_cmpx_lt_u32_e64 v21, v36
; %bb.518:                              ;   in Loop: Header=BB993_504 Depth=1
	v_lshlrev_b32_e32 v4, 3, v21
	ds_load_b64 v[14:15], v4
; %bb.519:                              ;   in Loop: Header=BB993_504 Depth=1
	s_or_b32 exec_lo, exec_lo, s6
	s_or_b32 s1, vcc_lo, s0
	s_xor_b32 s6, vcc_lo, -1
	s_nor_b32 s7, s1, s5
	s_or_b32 s1, s0, s6
	s_and_saveexec_b32 s24, s7
	s_cbranch_execz .LBB993_525
; %bb.520:                              ;   in Loop: Header=BB993_504 Depth=1
	s_wait_dscnt 0x0
	v_mad_nc_u64_u32 v[4:5], v14, s12, s[14:15]
	v_mad_nc_u64_u32 v[6:7], v2, s12, s[14:15]
	s_mov_b32 s25, 0
	s_mov_b64 s[6:7], s[12:13]
                                        ; implicit-def: $sgpr26
                                        ; implicit-def: $sgpr27
                                        ; implicit-def: $sgpr28
                                        ; implicit-def: $sgpr29
	s_delay_alu instid0(VALU_DEP_2) | instskip(NEXT) | instid1(VALU_DEP_2)
	v_mad_u32 v5, v15, s12, v5
	v_mad_u32 v7, v3, s12, v7
	s_delay_alu instid0(VALU_DEP_2) | instskip(NEXT) | instid1(VALU_DEP_2)
	v_mad_u32 v5, v14, s13, v5
	v_mad_u32 v7, v2, s13, v7
	s_branch .LBB993_522
.LBB993_521:                            ;   in Loop: Header=BB993_522 Depth=2
	s_or_b32 exec_lo, exec_lo, s0
	s_delay_alu instid0(SALU_CYCLE_1) | instskip(NEXT) | instid1(SALU_CYCLE_1)
	s_and_b32 s0, exec_lo, s27
	s_or_b32 s25, s0, s25
	s_and_not1_b32 s0, s29, exec_lo
	s_and_b32 s29, s30, exec_lo
	s_and_not1_b32 s26, s26, exec_lo
	s_and_b32 s30, s28, exec_lo
	s_or_b32 s29, s0, s29
	s_or_b32 s26, s26, s30
	s_and_not1_b32 exec_lo, exec_lo, s25
	s_cbranch_execz .LBB993_524
.LBB993_522:                            ;   Parent Loop BB993_504 Depth=1
                                        ; =>  This Inner Loop Header: Depth=2
	global_load_u8 v8, v[4:5], off
	global_load_u8 v9, v[6:7], off
	s_and_not1_b32 s28, s28, exec_lo
	s_or_b32 s27, s27, exec_lo
	s_wait_loadcnt 0x1
	v_cmp_eq_u16_e32 vcc_lo, 0, v8
	s_wait_loadcnt 0x0
	v_cmp_ne_u16_e64 s0, 0, v9
	s_or_b32 s30, vcc_lo, s0
	s_and_b32 s31, vcc_lo, s0
	s_and_b32 s30, s30, s29
	s_xor_b32 s33, vcc_lo, s0
	s_or_b32 s30, s31, s30
	s_delay_alu instid0(SALU_CYCLE_1) | instskip(NEXT) | instid1(SALU_CYCLE_1)
	s_and_b32 s31, s30, exec_lo
	s_or_b32 s28, s28, s31
	s_and_saveexec_b32 s0, s33
	s_cbranch_execz .LBB993_521
; %bb.523:                              ;   in Loop: Header=BB993_522 Depth=2
	s_add_nc_u64 s[6:7], s[6:7], -1
	v_add_nc_u64_e32 v[4:5], 1, v[4:5]
	s_cmp_eq_u64 s[6:7], 0
	v_add_nc_u64_e32 v[6:7], 1, v[6:7]
	s_cselect_b32 s29, -1, 0
	s_and_not1_b32 s27, s27, exec_lo
	s_and_b32 s29, s29, exec_lo
	s_and_not1_b32 s28, s28, exec_lo
	s_or_b32 s27, s27, s29
                                        ; implicit-def: $sgpr29
	s_branch .LBB993_521
.LBB993_524:                            ;   in Loop: Header=BB993_504 Depth=1
	s_or_b32 exec_lo, exec_lo, s25
	s_xor_b32 s0, s26, -1
	s_and_not1_b32 s1, s1, exec_lo
	s_and_b32 s0, s0, exec_lo
	s_delay_alu instid0(SALU_CYCLE_1)
	s_or_b32 s1, s1, s0
.LBB993_525:                            ;   in Loop: Header=BB993_504 Depth=1
	s_or_b32 exec_lo, exec_lo, s24
	v_dual_cndmask_b32 v4, v21, v20, s1 :: v_dual_cndmask_b32 v5, v36, v35, s1
	s_mov_b32 s25, -1
	s_mov_b32 s24, -1
	s_mov_b32 s26, exec_lo
	s_delay_alu instid0(VALU_DEP_1) | instskip(NEXT) | instid1(VALU_DEP_1)
	v_add_nc_u32_e32 v6, 1, v4
	v_add_min_u32_e64 v4, v5, -1, v6
	s_delay_alu instid0(VALU_DEP_1)
	v_dual_lshlrev_b32 v4, 3, v4 :: v_dual_cndmask_b32 v8, v6, v21, s1
	v_cndmask_b32_e64 v9, v20, v6, s1
	ds_load_b64 v[4:5], v4
	s_wait_dscnt 0x0
	v_dual_cndmask_b32 v16, v5, v15, s1 :: v_dual_cndmask_b32 v20, v4, v14, s1
	v_dual_cndmask_b32 v17, v3, v5, s1 :: v_dual_cndmask_b32 v21, v2, v4, s1
	v_cmpx_lt_u32_e64 v8, v36
	s_cbranch_execz .LBB993_533
; %bb.526:                              ;   in Loop: Header=BB993_504 Depth=1
	v_cmp_lt_u32_e64 s24, v9, v35
	s_and_b32 s0, s24, s20
	s_delay_alu instid0(SALU_CYCLE_1)
	s_and_saveexec_b32 s27, s0
	s_cbranch_execz .LBB993_532
; %bb.527:                              ;   in Loop: Header=BB993_504 Depth=1
	v_mad_nc_u64_u32 v[4:5], v20, s12, s[14:15]
	v_mad_nc_u64_u32 v[6:7], v21, s12, s[14:15]
	s_mov_b32 s28, 0
	s_mov_b64 s[6:7], s[12:13]
                                        ; implicit-def: $sgpr29
                                        ; implicit-def: $sgpr30
                                        ; implicit-def: $sgpr31
                                        ; implicit-def: $sgpr33
	s_delay_alu instid0(VALU_DEP_2) | instskip(NEXT) | instid1(VALU_DEP_2)
	v_mad_u32 v5, v16, s12, v5
	v_mad_u32 v7, v17, s12, v7
	s_delay_alu instid0(VALU_DEP_2) | instskip(NEXT) | instid1(VALU_DEP_2)
	v_mad_u32 v5, v20, s13, v5
	v_mad_u32 v7, v21, s13, v7
	s_branch .LBB993_529
.LBB993_528:                            ;   in Loop: Header=BB993_529 Depth=2
	s_or_b32 exec_lo, exec_lo, s0
	s_delay_alu instid0(SALU_CYCLE_1) | instskip(NEXT) | instid1(SALU_CYCLE_1)
	s_and_b32 s0, exec_lo, s30
	s_or_b32 s28, s0, s28
	s_and_not1_b32 s0, s33, exec_lo
	s_and_b32 s33, s34, exec_lo
	s_and_not1_b32 s29, s29, exec_lo
	s_and_b32 s34, s31, exec_lo
	s_or_b32 s33, s0, s33
	s_or_b32 s29, s29, s34
	s_and_not1_b32 exec_lo, exec_lo, s28
	s_cbranch_execz .LBB993_531
.LBB993_529:                            ;   Parent Loop BB993_504 Depth=1
                                        ; =>  This Inner Loop Header: Depth=2
	global_load_u8 v10, v[4:5], off
	global_load_u8 v11, v[6:7], off
	s_and_not1_b32 s31, s31, exec_lo
	s_or_b32 s30, s30, exec_lo
	s_wait_loadcnt 0x1
	v_cmp_eq_u16_e32 vcc_lo, 0, v10
	s_wait_loadcnt 0x0
	v_cmp_ne_u16_e64 s0, 0, v11
	s_or_b32 s34, vcc_lo, s0
	s_and_b32 s35, vcc_lo, s0
	s_and_b32 s34, s34, s33
	s_xor_b32 s36, vcc_lo, s0
	s_or_b32 s34, s35, s34
	s_delay_alu instid0(SALU_CYCLE_1) | instskip(NEXT) | instid1(SALU_CYCLE_1)
	s_and_b32 s35, s34, exec_lo
	s_or_b32 s31, s31, s35
	s_and_saveexec_b32 s0, s36
	s_cbranch_execz .LBB993_528
; %bb.530:                              ;   in Loop: Header=BB993_529 Depth=2
	s_add_nc_u64 s[6:7], s[6:7], -1
	v_add_nc_u64_e32 v[4:5], 1, v[4:5]
	s_cmp_eq_u64 s[6:7], 0
	v_add_nc_u64_e32 v[6:7], 1, v[6:7]
	s_cselect_b32 s33, -1, 0
	s_and_not1_b32 s30, s30, exec_lo
	s_and_b32 s33, s33, exec_lo
	s_and_not1_b32 s31, s31, exec_lo
	s_or_b32 s30, s30, s33
                                        ; implicit-def: $sgpr33
	s_branch .LBB993_528
.LBB993_531:                            ;   in Loop: Header=BB993_504 Depth=1
	s_or_b32 exec_lo, exec_lo, s28
	s_xor_b32 s0, s29, -1
	s_and_not1_b32 s6, s24, exec_lo
	s_and_b32 s0, s0, exec_lo
	s_delay_alu instid0(SALU_CYCLE_1)
	s_or_b32 s24, s6, s0
.LBB993_532:                            ;   in Loop: Header=BB993_504 Depth=1
	s_or_b32 exec_lo, exec_lo, s27
	s_delay_alu instid0(SALU_CYCLE_1)
	s_or_not1_b32 s24, s24, exec_lo
.LBB993_533:                            ;   in Loop: Header=BB993_504 Depth=1
	s_or_b32 exec_lo, exec_lo, s26
	v_cndmask_b32_e64 v4, v8, v9, s24
	v_cndmask_b32_e64 v5, v36, v35, s24
	s_mov_b32 s26, exec_lo
	s_delay_alu instid0(VALU_DEP_2) | instskip(NEXT) | instid1(VALU_DEP_1)
	v_add_nc_u32_e32 v6, 1, v4
	v_add_min_u32_e64 v4, v5, -1, v6
	v_dual_cndmask_b32 v8, v6, v8, s24 :: v_dual_cndmask_b32 v9, v9, v6, s24
	s_delay_alu instid0(VALU_DEP_2)
	v_lshlrev_b32_e32 v4, 3, v4
	ds_load_b64 v[4:5], v4
	s_wait_dscnt 0x0
	v_cndmask_b32_e64 v10, v5, v16, s24
	v_dual_cndmask_b32 v22, v4, v20, s24 :: v_dual_cndmask_b32 v11, v17, v5, s24
	v_cndmask_b32_e64 v23, v21, v4, s24
	v_cmpx_lt_u32_e64 v8, v36
	s_cbranch_execz .LBB993_541
; %bb.534:                              ;   in Loop: Header=BB993_504 Depth=1
	v_cmp_lt_u32_e64 s25, v9, v35
	s_and_b32 s0, s25, s20
	s_delay_alu instid0(SALU_CYCLE_1)
	s_and_saveexec_b32 s27, s0
	s_cbranch_execz .LBB993_540
; %bb.535:                              ;   in Loop: Header=BB993_504 Depth=1
	v_mad_nc_u64_u32 v[4:5], v22, s12, s[14:15]
	v_mad_nc_u64_u32 v[6:7], v23, s12, s[14:15]
	s_mov_b32 s28, 0
	s_mov_b64 s[6:7], s[12:13]
                                        ; implicit-def: $sgpr29
                                        ; implicit-def: $sgpr30
                                        ; implicit-def: $sgpr31
                                        ; implicit-def: $sgpr33
	s_delay_alu instid0(VALU_DEP_2) | instskip(NEXT) | instid1(VALU_DEP_2)
	v_mad_u32 v5, v10, s12, v5
	v_mad_u32 v7, v11, s12, v7
	s_delay_alu instid0(VALU_DEP_2) | instskip(NEXT) | instid1(VALU_DEP_2)
	v_mad_u32 v5, v22, s13, v5
	v_mad_u32 v7, v23, s13, v7
	s_branch .LBB993_537
.LBB993_536:                            ;   in Loop: Header=BB993_537 Depth=2
	s_or_b32 exec_lo, exec_lo, s0
	s_delay_alu instid0(SALU_CYCLE_1) | instskip(NEXT) | instid1(SALU_CYCLE_1)
	s_and_b32 s0, exec_lo, s30
	s_or_b32 s28, s0, s28
	s_and_not1_b32 s0, s33, exec_lo
	s_and_b32 s33, s34, exec_lo
	s_and_not1_b32 s29, s29, exec_lo
	s_and_b32 s34, s31, exec_lo
	s_or_b32 s33, s0, s33
	s_or_b32 s29, s29, s34
	s_and_not1_b32 exec_lo, exec_lo, s28
	s_cbranch_execz .LBB993_539
.LBB993_537:                            ;   Parent Loop BB993_504 Depth=1
                                        ; =>  This Inner Loop Header: Depth=2
	global_load_u8 v12, v[4:5], off
	global_load_u8 v13, v[6:7], off
	s_and_not1_b32 s31, s31, exec_lo
	s_or_b32 s30, s30, exec_lo
	s_wait_loadcnt 0x1
	v_cmp_eq_u16_e32 vcc_lo, 0, v12
	s_wait_loadcnt 0x0
	v_cmp_ne_u16_e64 s0, 0, v13
	s_or_b32 s34, vcc_lo, s0
	s_and_b32 s35, vcc_lo, s0
	s_and_b32 s34, s34, s33
	s_xor_b32 s36, vcc_lo, s0
	s_or_b32 s34, s35, s34
	s_delay_alu instid0(SALU_CYCLE_1) | instskip(NEXT) | instid1(SALU_CYCLE_1)
	s_and_b32 s35, s34, exec_lo
	s_or_b32 s31, s31, s35
	s_and_saveexec_b32 s0, s36
	s_cbranch_execz .LBB993_536
; %bb.538:                              ;   in Loop: Header=BB993_537 Depth=2
	s_add_nc_u64 s[6:7], s[6:7], -1
	v_add_nc_u64_e32 v[4:5], 1, v[4:5]
	s_cmp_eq_u64 s[6:7], 0
	v_add_nc_u64_e32 v[6:7], 1, v[6:7]
	s_cselect_b32 s33, -1, 0
	s_and_not1_b32 s30, s30, exec_lo
	s_and_b32 s33, s33, exec_lo
	s_and_not1_b32 s31, s31, exec_lo
	s_or_b32 s30, s30, s33
                                        ; implicit-def: $sgpr33
	s_branch .LBB993_536
.LBB993_539:                            ;   in Loop: Header=BB993_504 Depth=1
	s_or_b32 exec_lo, exec_lo, s28
	s_xor_b32 s0, s29, -1
	s_and_not1_b32 s6, s25, exec_lo
	s_and_b32 s0, s0, exec_lo
	s_delay_alu instid0(SALU_CYCLE_1)
	s_or_b32 s25, s6, s0
.LBB993_540:                            ;   in Loop: Header=BB993_504 Depth=1
	s_or_b32 exec_lo, exec_lo, s27
	s_delay_alu instid0(SALU_CYCLE_1)
	s_or_not1_b32 s25, s25, exec_lo
.LBB993_541:                            ;   in Loop: Header=BB993_504 Depth=1
	s_or_b32 exec_lo, exec_lo, s26
	v_cndmask_b32_e64 v4, v8, v9, s25
	v_cndmask_b32_e64 v5, v36, v35, s25
	s_mov_b32 s27, -1
	s_mov_b32 s26, -1
	s_mov_b32 s28, exec_lo
	v_add_nc_u32_e32 v6, 1, v4
	s_delay_alu instid0(VALU_DEP_1) | instskip(SKIP_1) | instid1(VALU_DEP_2)
	v_add_min_u32_e64 v4, v5, -1, v6
	v_dual_cndmask_b32 v8, v6, v8, s25 :: v_dual_cndmask_b32 v9, v9, v6, s25
	v_lshlrev_b32_e32 v4, 3, v4
	ds_load_b64 v[4:5], v4
	s_wait_dscnt 0x0
	v_dual_cndmask_b32 v12, v5, v10, s25 :: v_dual_cndmask_b32 v13, v11, v5, s25
	v_dual_cndmask_b32 v37, v4, v22, s25 :: v_dual_cndmask_b32 v38, v23, v4, s25
	v_cmpx_lt_u32_e64 v8, v36
	s_cbranch_execz .LBB993_549
; %bb.542:                              ;   in Loop: Header=BB993_504 Depth=1
	v_cmp_lt_u32_e64 s26, v9, v35
	s_and_b32 s0, s26, s20
	s_delay_alu instid0(SALU_CYCLE_1)
	s_and_saveexec_b32 s29, s0
	s_cbranch_execz .LBB993_548
; %bb.543:                              ;   in Loop: Header=BB993_504 Depth=1
	v_mad_nc_u64_u32 v[4:5], v37, s12, s[14:15]
	v_mad_nc_u64_u32 v[6:7], v38, s12, s[14:15]
	s_mov_b32 s30, 0
	s_mov_b64 s[6:7], s[12:13]
                                        ; implicit-def: $sgpr31
                                        ; implicit-def: $sgpr33
                                        ; implicit-def: $sgpr34
                                        ; implicit-def: $sgpr35
	s_delay_alu instid0(VALU_DEP_2) | instskip(NEXT) | instid1(VALU_DEP_2)
	v_mad_u32 v5, v12, s12, v5
	v_mad_u32 v7, v13, s12, v7
	s_delay_alu instid0(VALU_DEP_2) | instskip(NEXT) | instid1(VALU_DEP_2)
	v_mad_u32 v5, v37, s13, v5
	v_mad_u32 v7, v38, s13, v7
	s_branch .LBB993_545
.LBB993_544:                            ;   in Loop: Header=BB993_545 Depth=2
	s_or_b32 exec_lo, exec_lo, s0
	s_delay_alu instid0(SALU_CYCLE_1) | instskip(NEXT) | instid1(SALU_CYCLE_1)
	s_and_b32 s0, exec_lo, s33
	s_or_b32 s30, s0, s30
	s_and_not1_b32 s0, s35, exec_lo
	s_and_b32 s35, s36, exec_lo
	s_and_not1_b32 s31, s31, exec_lo
	s_and_b32 s36, s34, exec_lo
	s_or_b32 s35, s0, s35
	s_or_b32 s31, s31, s36
	s_and_not1_b32 exec_lo, exec_lo, s30
	s_cbranch_execz .LBB993_547
.LBB993_545:                            ;   Parent Loop BB993_504 Depth=1
                                        ; =>  This Inner Loop Header: Depth=2
	global_load_u8 v39, v[4:5], off
	global_load_u8 v40, v[6:7], off
	s_and_not1_b32 s34, s34, exec_lo
	s_or_b32 s33, s33, exec_lo
	s_wait_loadcnt 0x1
	v_cmp_eq_u16_e32 vcc_lo, 0, v39
	s_wait_loadcnt 0x0
	v_cmp_ne_u16_e64 s0, 0, v40
	s_or_b32 s36, vcc_lo, s0
	s_and_b32 s37, vcc_lo, s0
	s_and_b32 s36, s36, s35
	s_xor_b32 s38, vcc_lo, s0
	s_or_b32 s36, s37, s36
	s_delay_alu instid0(SALU_CYCLE_1) | instskip(NEXT) | instid1(SALU_CYCLE_1)
	s_and_b32 s37, s36, exec_lo
	s_or_b32 s34, s34, s37
	s_and_saveexec_b32 s0, s38
	s_cbranch_execz .LBB993_544
; %bb.546:                              ;   in Loop: Header=BB993_545 Depth=2
	s_add_nc_u64 s[6:7], s[6:7], -1
	v_add_nc_u64_e32 v[4:5], 1, v[4:5]
	s_cmp_eq_u64 s[6:7], 0
	v_add_nc_u64_e32 v[6:7], 1, v[6:7]
	s_cselect_b32 s35, -1, 0
	s_and_not1_b32 s33, s33, exec_lo
	s_and_b32 s35, s35, exec_lo
	s_and_not1_b32 s34, s34, exec_lo
	s_or_b32 s33, s33, s35
                                        ; implicit-def: $sgpr35
	s_branch .LBB993_544
.LBB993_547:                            ;   in Loop: Header=BB993_504 Depth=1
	s_or_b32 exec_lo, exec_lo, s30
	s_xor_b32 s0, s31, -1
	s_and_not1_b32 s6, s26, exec_lo
	s_and_b32 s0, s0, exec_lo
	s_delay_alu instid0(SALU_CYCLE_1)
	s_or_b32 s26, s6, s0
.LBB993_548:                            ;   in Loop: Header=BB993_504 Depth=1
	s_or_b32 exec_lo, exec_lo, s29
	s_delay_alu instid0(SALU_CYCLE_1)
	s_or_not1_b32 s26, s26, exec_lo
.LBB993_549:                            ;   in Loop: Header=BB993_504 Depth=1
	s_or_b32 exec_lo, exec_lo, s28
	v_cndmask_b32_e64 v4, v8, v9, s26
	v_cndmask_b32_e64 v5, v36, v35, s26
	s_mov_b32 s28, exec_lo
	s_delay_alu instid0(VALU_DEP_2) | instskip(NEXT) | instid1(VALU_DEP_1)
	v_add_nc_u32_e32 v6, 1, v4
	v_add_min_u32_e64 v4, v5, -1, v6
	v_dual_cndmask_b32 v8, v6, v8, s26 :: v_dual_cndmask_b32 v9, v9, v6, s26
	s_delay_alu instid0(VALU_DEP_2)
	v_lshlrev_b32_e32 v4, 3, v4
	ds_load_b64 v[4:5], v4
	s_wait_dscnt 0x0
	v_dual_cndmask_b32 v39, v5, v12, s26 :: v_dual_cndmask_b32 v40, v4, v37, s26
	v_dual_cndmask_b32 v41, v13, v5, s26 :: v_dual_cndmask_b32 v42, v38, v4, s26
	v_cmpx_lt_u32_e64 v8, v36
	s_cbranch_execz .LBB993_557
; %bb.550:                              ;   in Loop: Header=BB993_504 Depth=1
	v_cmp_lt_u32_e64 s27, v9, v35
	s_and_b32 s0, s27, s20
	s_delay_alu instid0(SALU_CYCLE_1)
	s_and_saveexec_b32 s29, s0
	s_cbranch_execz .LBB993_556
; %bb.551:                              ;   in Loop: Header=BB993_504 Depth=1
	v_mad_nc_u64_u32 v[4:5], v40, s12, s[14:15]
	v_mad_nc_u64_u32 v[6:7], v42, s12, s[14:15]
	s_mov_b32 s30, 0
	s_mov_b64 s[6:7], s[12:13]
                                        ; implicit-def: $sgpr31
                                        ; implicit-def: $sgpr33
                                        ; implicit-def: $sgpr34
                                        ; implicit-def: $sgpr35
	s_delay_alu instid0(VALU_DEP_2) | instskip(NEXT) | instid1(VALU_DEP_2)
	v_mad_u32 v5, v39, s12, v5
	v_mad_u32 v7, v41, s12, v7
	s_delay_alu instid0(VALU_DEP_2) | instskip(NEXT) | instid1(VALU_DEP_2)
	v_mad_u32 v5, v40, s13, v5
	v_mad_u32 v7, v42, s13, v7
	s_branch .LBB993_553
.LBB993_552:                            ;   in Loop: Header=BB993_553 Depth=2
	s_or_b32 exec_lo, exec_lo, s0
	s_delay_alu instid0(SALU_CYCLE_1) | instskip(NEXT) | instid1(SALU_CYCLE_1)
	s_and_b32 s0, exec_lo, s33
	s_or_b32 s30, s0, s30
	s_and_not1_b32 s0, s35, exec_lo
	s_and_b32 s35, s36, exec_lo
	s_and_not1_b32 s31, s31, exec_lo
	s_and_b32 s36, s34, exec_lo
	s_or_b32 s35, s0, s35
	s_or_b32 s31, s31, s36
	s_and_not1_b32 exec_lo, exec_lo, s30
	s_cbranch_execz .LBB993_555
.LBB993_553:                            ;   Parent Loop BB993_504 Depth=1
                                        ; =>  This Inner Loop Header: Depth=2
	global_load_u8 v43, v[4:5], off
	global_load_u8 v44, v[6:7], off
	s_and_not1_b32 s34, s34, exec_lo
	s_or_b32 s33, s33, exec_lo
	s_wait_loadcnt 0x1
	v_cmp_eq_u16_e32 vcc_lo, 0, v43
	s_wait_loadcnt 0x0
	v_cmp_ne_u16_e64 s0, 0, v44
	s_or_b32 s36, vcc_lo, s0
	s_and_b32 s37, vcc_lo, s0
	s_and_b32 s36, s36, s35
	s_xor_b32 s38, vcc_lo, s0
	s_or_b32 s36, s37, s36
	s_delay_alu instid0(SALU_CYCLE_1) | instskip(NEXT) | instid1(SALU_CYCLE_1)
	s_and_b32 s37, s36, exec_lo
	s_or_b32 s34, s34, s37
	s_and_saveexec_b32 s0, s38
	s_cbranch_execz .LBB993_552
; %bb.554:                              ;   in Loop: Header=BB993_553 Depth=2
	s_add_nc_u64 s[6:7], s[6:7], -1
	v_add_nc_u64_e32 v[4:5], 1, v[4:5]
	s_cmp_eq_u64 s[6:7], 0
	v_add_nc_u64_e32 v[6:7], 1, v[6:7]
	s_cselect_b32 s35, -1, 0
	s_and_not1_b32 s33, s33, exec_lo
	s_and_b32 s35, s35, exec_lo
	s_and_not1_b32 s34, s34, exec_lo
	s_or_b32 s33, s33, s35
                                        ; implicit-def: $sgpr35
	s_branch .LBB993_552
.LBB993_555:                            ;   in Loop: Header=BB993_504 Depth=1
	s_or_b32 exec_lo, exec_lo, s30
	s_xor_b32 s0, s31, -1
	s_and_not1_b32 s6, s27, exec_lo
	s_and_b32 s0, s0, exec_lo
	s_delay_alu instid0(SALU_CYCLE_1)
	s_or_b32 s27, s6, s0
.LBB993_556:                            ;   in Loop: Header=BB993_504 Depth=1
	s_or_b32 exec_lo, exec_lo, s29
	s_delay_alu instid0(SALU_CYCLE_1)
	s_or_not1_b32 s27, s27, exec_lo
.LBB993_557:                            ;   in Loop: Header=BB993_504 Depth=1
	s_or_b32 exec_lo, exec_lo, s28
	v_cndmask_b32_e64 v4, v8, v9, s27
	v_cndmask_b32_e64 v5, v36, v35, s27
	s_mov_b32 s28, -1
	s_mov_b32 s29, -1
	s_mov_b32 s30, exec_lo
	v_add_nc_u32_e32 v6, 1, v4
	s_delay_alu instid0(VALU_DEP_1) | instskip(SKIP_1) | instid1(VALU_DEP_2)
	v_add_min_u32_e64 v4, v5, -1, v6
	v_dual_cndmask_b32 v8, v6, v8, s27 :: v_dual_cndmask_b32 v9, v9, v6, s27
	v_lshlrev_b32_e32 v4, 3, v4
	ds_load_b64 v[4:5], v4
	s_wait_dscnt 0x0
	v_dual_cndmask_b32 v43, v5, v39, s27 :: v_dual_cndmask_b32 v44, v4, v40, s27
	v_dual_cndmask_b32 v45, v41, v5, s27 :: v_dual_cndmask_b32 v46, v42, v4, s27
	v_cmpx_lt_u32_e64 v8, v36
	s_cbranch_execz .LBB993_565
; %bb.558:                              ;   in Loop: Header=BB993_504 Depth=1
	v_cmp_lt_u32_e64 s29, v9, v35
	s_and_b32 s0, s29, s20
	s_delay_alu instid0(SALU_CYCLE_1)
	s_and_saveexec_b32 s31, s0
	s_cbranch_execz .LBB993_564
; %bb.559:                              ;   in Loop: Header=BB993_504 Depth=1
	v_mad_nc_u64_u32 v[4:5], v44, s12, s[14:15]
	v_mad_nc_u64_u32 v[6:7], v46, s12, s[14:15]
	s_mov_b32 s33, 0
	s_mov_b64 s[6:7], s[12:13]
                                        ; implicit-def: $sgpr34
                                        ; implicit-def: $sgpr35
                                        ; implicit-def: $sgpr36
                                        ; implicit-def: $sgpr37
	s_delay_alu instid0(VALU_DEP_2) | instskip(NEXT) | instid1(VALU_DEP_2)
	v_mad_u32 v5, v43, s12, v5
	v_mad_u32 v7, v45, s12, v7
	s_delay_alu instid0(VALU_DEP_2) | instskip(NEXT) | instid1(VALU_DEP_2)
	v_mad_u32 v5, v44, s13, v5
	v_mad_u32 v7, v46, s13, v7
	s_branch .LBB993_561
.LBB993_560:                            ;   in Loop: Header=BB993_561 Depth=2
	s_or_b32 exec_lo, exec_lo, s0
	s_delay_alu instid0(SALU_CYCLE_1) | instskip(NEXT) | instid1(SALU_CYCLE_1)
	s_and_b32 s0, exec_lo, s35
	s_or_b32 s33, s0, s33
	s_and_not1_b32 s0, s37, exec_lo
	s_and_b32 s37, s38, exec_lo
	s_and_not1_b32 s34, s34, exec_lo
	s_and_b32 s38, s36, exec_lo
	s_or_b32 s37, s0, s37
	s_or_b32 s34, s34, s38
	s_and_not1_b32 exec_lo, exec_lo, s33
	s_cbranch_execz .LBB993_563
.LBB993_561:                            ;   Parent Loop BB993_504 Depth=1
                                        ; =>  This Inner Loop Header: Depth=2
	global_load_u8 v47, v[4:5], off
	global_load_u8 v48, v[6:7], off
	s_and_not1_b32 s36, s36, exec_lo
	s_or_b32 s35, s35, exec_lo
	s_wait_loadcnt 0x1
	v_cmp_eq_u16_e32 vcc_lo, 0, v47
	s_wait_loadcnt 0x0
	v_cmp_ne_u16_e64 s0, 0, v48
	s_or_b32 s38, vcc_lo, s0
	s_and_b32 s39, vcc_lo, s0
	s_and_b32 s38, s38, s37
	s_xor_b32 s40, vcc_lo, s0
	s_or_b32 s38, s39, s38
	s_delay_alu instid0(SALU_CYCLE_1) | instskip(NEXT) | instid1(SALU_CYCLE_1)
	s_and_b32 s39, s38, exec_lo
	s_or_b32 s36, s36, s39
	s_and_saveexec_b32 s0, s40
	s_cbranch_execz .LBB993_560
; %bb.562:                              ;   in Loop: Header=BB993_561 Depth=2
	s_add_nc_u64 s[6:7], s[6:7], -1
	v_add_nc_u64_e32 v[4:5], 1, v[4:5]
	s_cmp_eq_u64 s[6:7], 0
	v_add_nc_u64_e32 v[6:7], 1, v[6:7]
	s_cselect_b32 s37, -1, 0
	s_and_not1_b32 s35, s35, exec_lo
	s_and_b32 s37, s37, exec_lo
	s_and_not1_b32 s36, s36, exec_lo
	s_or_b32 s35, s35, s37
                                        ; implicit-def: $sgpr37
	s_branch .LBB993_560
.LBB993_563:                            ;   in Loop: Header=BB993_504 Depth=1
	s_or_b32 exec_lo, exec_lo, s33
	s_xor_b32 s0, s34, -1
	s_and_not1_b32 s6, s29, exec_lo
	s_and_b32 s0, s0, exec_lo
	s_delay_alu instid0(SALU_CYCLE_1)
	s_or_b32 s29, s6, s0
.LBB993_564:                            ;   in Loop: Header=BB993_504 Depth=1
	s_or_b32 exec_lo, exec_lo, s31
	s_delay_alu instid0(SALU_CYCLE_1)
	s_or_not1_b32 s29, s29, exec_lo
.LBB993_565:                            ;   in Loop: Header=BB993_504 Depth=1
	s_or_b32 exec_lo, exec_lo, s30
	v_cndmask_b32_e64 v4, v8, v9, s29
	v_cndmask_b32_e64 v5, v36, v35, s29
	s_mov_b32 s30, exec_lo
	s_delay_alu instid0(VALU_DEP_2) | instskip(NEXT) | instid1(VALU_DEP_1)
	v_add_nc_u32_e32 v6, 1, v4
	v_add_min_u32_e64 v4, v5, -1, v6
	v_dual_cndmask_b32 v51, v6, v8, s29 :: v_dual_cndmask_b32 v8, v9, v6, s29
	s_delay_alu instid0(VALU_DEP_2)
	v_lshlrev_b32_e32 v4, 3, v4
	ds_load_b64 v[4:5], v4
	s_wait_dscnt 0x0
	v_dual_cndmask_b32 v47, v5, v43, s29 :: v_dual_cndmask_b32 v48, v4, v44, s29
	v_dual_cndmask_b32 v49, v45, v5, s29 :: v_dual_cndmask_b32 v50, v46, v4, s29
	v_cmpx_lt_u32_e64 v51, v36
	s_cbranch_execz .LBB993_573
; %bb.566:                              ;   in Loop: Header=BB993_504 Depth=1
	v_cmp_lt_u32_e64 s28, v8, v35
	s_and_b32 s0, s28, s20
	s_delay_alu instid0(SALU_CYCLE_1)
	s_and_saveexec_b32 s31, s0
	s_cbranch_execz .LBB993_572
; %bb.567:                              ;   in Loop: Header=BB993_504 Depth=1
	v_mad_nc_u64_u32 v[4:5], v48, s12, s[14:15]
	v_mad_nc_u64_u32 v[6:7], v50, s12, s[14:15]
	s_mov_b32 s33, 0
	s_mov_b64 s[6:7], s[12:13]
                                        ; implicit-def: $sgpr34
                                        ; implicit-def: $sgpr35
                                        ; implicit-def: $sgpr36
                                        ; implicit-def: $sgpr37
	s_delay_alu instid0(VALU_DEP_2) | instskip(NEXT) | instid1(VALU_DEP_2)
	v_mad_u32 v5, v47, s12, v5
	v_mad_u32 v7, v49, s12, v7
	s_delay_alu instid0(VALU_DEP_2) | instskip(NEXT) | instid1(VALU_DEP_2)
	v_mad_u32 v5, v48, s13, v5
	v_mad_u32 v7, v50, s13, v7
	s_branch .LBB993_569
.LBB993_568:                            ;   in Loop: Header=BB993_569 Depth=2
	s_or_b32 exec_lo, exec_lo, s0
	s_delay_alu instid0(SALU_CYCLE_1) | instskip(NEXT) | instid1(SALU_CYCLE_1)
	s_and_b32 s0, exec_lo, s35
	s_or_b32 s33, s0, s33
	s_and_not1_b32 s0, s37, exec_lo
	s_and_b32 s37, s38, exec_lo
	s_and_not1_b32 s34, s34, exec_lo
	s_and_b32 s38, s36, exec_lo
	s_or_b32 s37, s0, s37
	s_or_b32 s34, s34, s38
	s_and_not1_b32 exec_lo, exec_lo, s33
	s_cbranch_execz .LBB993_571
.LBB993_569:                            ;   Parent Loop BB993_504 Depth=1
                                        ; =>  This Inner Loop Header: Depth=2
	global_load_u8 v9, v[4:5], off
	global_load_u8 v52, v[6:7], off
	s_and_not1_b32 s36, s36, exec_lo
	s_or_b32 s35, s35, exec_lo
	s_wait_loadcnt 0x1
	v_cmp_eq_u16_e32 vcc_lo, 0, v9
	s_wait_loadcnt 0x0
	v_cmp_ne_u16_e64 s0, 0, v52
	s_or_b32 s38, vcc_lo, s0
	s_and_b32 s39, vcc_lo, s0
	s_and_b32 s38, s38, s37
	s_xor_b32 s40, vcc_lo, s0
	s_or_b32 s38, s39, s38
	s_delay_alu instid0(SALU_CYCLE_1) | instskip(NEXT) | instid1(SALU_CYCLE_1)
	s_and_b32 s39, s38, exec_lo
	s_or_b32 s36, s36, s39
	s_and_saveexec_b32 s0, s40
	s_cbranch_execz .LBB993_568
; %bb.570:                              ;   in Loop: Header=BB993_569 Depth=2
	s_add_nc_u64 s[6:7], s[6:7], -1
	v_add_nc_u64_e32 v[4:5], 1, v[4:5]
	s_cmp_eq_u64 s[6:7], 0
	v_add_nc_u64_e32 v[6:7], 1, v[6:7]
	s_cselect_b32 s37, -1, 0
	s_and_not1_b32 s35, s35, exec_lo
	s_and_b32 s37, s37, exec_lo
	s_and_not1_b32 s36, s36, exec_lo
	s_or_b32 s35, s35, s37
                                        ; implicit-def: $sgpr37
	s_branch .LBB993_568
.LBB993_571:                            ;   in Loop: Header=BB993_504 Depth=1
	s_or_b32 exec_lo, exec_lo, s33
	s_xor_b32 s0, s34, -1
	s_and_not1_b32 s6, s28, exec_lo
	s_and_b32 s0, s0, exec_lo
	s_delay_alu instid0(SALU_CYCLE_1)
	s_or_b32 s28, s6, s0
.LBB993_572:                            ;   in Loop: Header=BB993_504 Depth=1
	s_or_b32 exec_lo, exec_lo, s31
	s_delay_alu instid0(SALU_CYCLE_1)
	s_or_not1_b32 s28, s28, exec_lo
.LBB993_573:                            ;   in Loop: Header=BB993_504 Depth=1
	s_or_b32 exec_lo, exec_lo, s30
	v_dual_cndmask_b32 v4, v51, v8, s28 :: v_dual_cndmask_b32 v5, v36, v35, s28
	s_mov_b32 s30, exec_lo
	s_delay_alu instid0(VALU_DEP_1) | instskip(NEXT) | instid1(VALU_DEP_1)
	v_add_nc_u32_e32 v9, 1, v4
	v_add_min_u32_e64 v4, v5, -1, v9
	s_delay_alu instid0(VALU_DEP_1) | instskip(SKIP_4) | instid1(VALU_DEP_2)
	v_lshlrev_b32_e32 v4, 3, v4
	ds_load_b64 v[6:7], v4
	s_wait_dscnt 0x0
	v_dual_cndmask_b32 v51, v9, v51, s28 :: v_dual_cndmask_b32 v4, v50, v6, s28
	v_cndmask_b32_e64 v5, v49, v7, s28
	v_cmpx_lt_u32_e64 v51, v36
	s_cbranch_execz .LBB993_581
; %bb.574:                              ;   in Loop: Header=BB993_504 Depth=1
	v_dual_cndmask_b32 v8, v8, v9, s28 :: v_dual_cndmask_b32 v36, v7, v47, s28
	v_cndmask_b32_e64 v51, v6, v48, s28
	s_delay_alu instid0(VALU_DEP_2) | instskip(NEXT) | instid1(VALU_DEP_2)
	v_cmp_ge_u32_e32 vcc_lo, v8, v35
	v_dual_cndmask_b32 v7, v5, v36 :: v_dual_cndmask_b32 v6, v4, v51
	s_nor_b32 s0, vcc_lo, s5
	s_delay_alu instid0(SALU_CYCLE_1)
	s_and_saveexec_b32 s31, s0
	s_cbranch_execz .LBB993_580
; %bb.575:                              ;   in Loop: Header=BB993_504 Depth=1
	v_mad_nc_u64_u32 v[6:7], v51, s12, s[14:15]
	v_mad_nc_u64_u32 v[8:9], v4, s12, s[14:15]
	s_mov_b32 s33, 0
	s_mov_b64 s[6:7], s[12:13]
                                        ; implicit-def: $sgpr34
                                        ; implicit-def: $sgpr35
                                        ; implicit-def: $sgpr36
                                        ; implicit-def: $sgpr37
	s_delay_alu instid0(VALU_DEP_2) | instskip(NEXT) | instid1(VALU_DEP_2)
	v_mad_u32 v7, v36, s12, v7
	v_mad_u32 v9, v5, s12, v9
	s_delay_alu instid0(VALU_DEP_2) | instskip(NEXT) | instid1(VALU_DEP_2)
	v_mad_u32 v7, v51, s13, v7
	v_mad_u32 v9, v4, s13, v9
	s_branch .LBB993_577
.LBB993_576:                            ;   in Loop: Header=BB993_577 Depth=2
	s_or_b32 exec_lo, exec_lo, s0
	s_delay_alu instid0(SALU_CYCLE_1) | instskip(NEXT) | instid1(SALU_CYCLE_1)
	s_and_b32 s0, exec_lo, s35
	s_or_b32 s33, s0, s33
	s_and_not1_b32 s0, s37, exec_lo
	s_and_b32 s37, s38, exec_lo
	s_and_not1_b32 s34, s34, exec_lo
	s_and_b32 s38, s36, exec_lo
	s_or_b32 s37, s0, s37
	s_or_b32 s34, s34, s38
	s_and_not1_b32 exec_lo, exec_lo, s33
	s_cbranch_execz .LBB993_579
.LBB993_577:                            ;   Parent Loop BB993_504 Depth=1
                                        ; =>  This Inner Loop Header: Depth=2
	global_load_u8 v35, v[6:7], off
	global_load_u8 v52, v[8:9], off
	s_and_not1_b32 s36, s36, exec_lo
	s_or_b32 s35, s35, exec_lo
	s_wait_loadcnt 0x1
	v_cmp_eq_u16_e32 vcc_lo, 0, v35
	s_wait_loadcnt 0x0
	v_cmp_ne_u16_e64 s0, 0, v52
	s_or_b32 s38, vcc_lo, s0
	s_and_b32 s39, vcc_lo, s0
	s_and_b32 s38, s38, s37
	s_xor_b32 s40, vcc_lo, s0
	s_or_b32 s38, s39, s38
	s_delay_alu instid0(SALU_CYCLE_1) | instskip(NEXT) | instid1(SALU_CYCLE_1)
	s_and_b32 s39, s38, exec_lo
	s_or_b32 s36, s36, s39
	s_and_saveexec_b32 s0, s40
	s_cbranch_execz .LBB993_576
; %bb.578:                              ;   in Loop: Header=BB993_577 Depth=2
	s_add_nc_u64 s[6:7], s[6:7], -1
	v_add_nc_u64_e32 v[6:7], 1, v[6:7]
	s_cmp_eq_u64 s[6:7], 0
	v_add_nc_u64_e32 v[8:9], 1, v[8:9]
	s_cselect_b32 s37, -1, 0
	s_and_not1_b32 s35, s35, exec_lo
	s_and_b32 s37, s37, exec_lo
	s_and_not1_b32 s36, s36, exec_lo
	s_or_b32 s35, s35, s37
                                        ; implicit-def: $sgpr37
	s_branch .LBB993_576
.LBB993_579:                            ;   in Loop: Header=BB993_504 Depth=1
	s_or_b32 exec_lo, exec_lo, s33
	v_dual_cndmask_b32 v7, v5, v36, s34 :: v_dual_cndmask_b32 v6, v4, v51, s34
.LBB993_580:                            ;   in Loop: Header=BB993_504 Depth=1
	s_or_b32 exec_lo, exec_lo, s31
	s_delay_alu instid0(VALU_DEP_1)
	v_mov_b64_e32 v[4:5], v[6:7]
.LBB993_581:                            ;   in Loop: Header=BB993_504 Depth=1
	s_or_b32 exec_lo, exec_lo, s30
	v_dual_cndmask_b32 v9, v43, v45, s29 :: v_dual_cndmask_b32 v8, v44, v46, s29
	v_dual_cndmask_b32 v7, v39, v41, s27 :: v_dual_cndmask_b32 v6, v40, v42, s27
	;; [unrolled: 1-line block ×7, first 2 shown]
.LBB993_582:                            ;   in Loop: Header=BB993_504 Depth=1
	s_or_b32 exec_lo, exec_lo, s23
	s_cmp_lt_u32 s21, 0x400
	s_barrier_signal -1
	s_barrier_wait -1
	s_cbranch_scc0 .LBB993_584
; %bb.583:                              ;   in Loop: Header=BB993_504 Depth=1
	s_mov_b32 s21, s22
	s_branch .LBB993_504
.LBB993_584:
	s_barrier_signal -1
	s_barrier_wait -1
	ds_store_2addr_b64 v32, v[14:15], v[16:17] offset1:1
	ds_store_2addr_b64 v32, v[10:11], v[12:13] offset0:2 offset1:3
	ds_store_2addr_b64 v32, v[6:7], v[8:9] offset0:4 offset1:5
	;; [unrolled: 1-line block ×3, first 2 shown]
	s_wait_dscnt 0x0
	s_barrier_signal -1
	s_barrier_wait -1
	ds_load_b64 v[4:5], v24
	ds_load_b64 v[6:7], v25 offset:2048
	ds_load_b64 v[8:9], v26 offset:4096
	;; [unrolled: 1-line block ×7, first 2 shown]
	s_mov_b32 s20, -1
	s_wait_dscnt 0x7
	global_store_b64 v18, v[4:5], s[10:11] scale_offset
	s_wait_dscnt 0x6
	global_store_b64 v18, v[6:7], s[10:11] offset:2048 scale_offset
	s_wait_dscnt 0x5
	global_store_b64 v18, v[8:9], s[10:11] offset:4096 scale_offset
	;; [unrolled: 2-line block ×6, first 2 shown]
	s_branch .LBB993_1227
.LBB993_585:
	s_lshl_b64 s[0:1], s[2:3], 11
                                        ; implicit-def: $vgpr2_vgpr3
	s_delay_alu instid0(SALU_CYCLE_1) | instskip(NEXT) | instid1(SALU_CYCLE_1)
	s_sub_co_i32 s21, s4, s0
	v_cmp_gt_u32_e64 s0, s21, v18
	s_wait_xcnt 0x0
	s_and_saveexec_b32 s1, s0
	s_cbranch_execz .LBB993_587
; %bb.586:
	s_wait_dscnt 0x0
	global_load_b64 v[2:3], v18, s[18:19] scale_offset
.LBB993_587:
	s_wait_xcnt 0x0
	s_or_b32 exec_lo, exec_lo, s1
	v_add_nc_u32_e32 v1, 0x100, v18
                                        ; implicit-def: $vgpr4_vgpr5
	s_delay_alu instid0(VALU_DEP_1)
	v_cmp_gt_u32_e64 s1, s21, v1
	s_and_saveexec_b32 s2, s1
	s_cbranch_execz .LBB993_589
; %bb.588:
	global_load_b64 v[4:5], v18, s[18:19] offset:2048 scale_offset
.LBB993_589:
	s_wait_xcnt 0x0
	s_or_b32 exec_lo, exec_lo, s2
	v_add_nc_u32_e32 v19, 0x200, v18
                                        ; implicit-def: $vgpr6_vgpr7
	s_delay_alu instid0(VALU_DEP_1)
	v_cmp_gt_u32_e64 s2, s21, v19
	s_and_saveexec_b32 s3, s2
	s_cbranch_execz .LBB993_591
; %bb.590:
	global_load_b64 v[6:7], v18, s[18:19] offset:4096 scale_offset
.LBB993_591:
	s_wait_xcnt 0x0
	s_or_b32 exec_lo, exec_lo, s3
	v_add_nc_u32_e32 v20, 0x300, v18
                                        ; implicit-def: $vgpr10_vgpr11
	s_delay_alu instid0(VALU_DEP_1)
	v_cmp_gt_u32_e64 s3, s21, v20
	s_and_saveexec_b32 s4, s3
	s_cbranch_execz .LBB993_593
; %bb.592:
	global_load_b64 v[10:11], v18, s[18:19] offset:6144 scale_offset
.LBB993_593:
	s_wait_xcnt 0x0
	s_or_b32 exec_lo, exec_lo, s4
	v_or_b32_e32 v22, 0x400, v18
                                        ; implicit-def: $vgpr8_vgpr9
	s_delay_alu instid0(VALU_DEP_1)
	v_cmp_gt_u32_e64 s4, s21, v22
	s_and_saveexec_b32 s5, s4
	s_cbranch_execz .LBB993_595
; %bb.594:
	global_load_b64 v[8:9], v18, s[18:19] offset:8192 scale_offset
.LBB993_595:
	s_wait_xcnt 0x0
	s_or_b32 exec_lo, exec_lo, s5
	v_add_nc_u32_e32 v23, 0x500, v18
                                        ; implicit-def: $vgpr12_vgpr13
	s_delay_alu instid0(VALU_DEP_1)
	v_cmp_gt_u32_e64 s5, s21, v23
	s_and_saveexec_b32 s6, s5
	s_cbranch_execz .LBB993_597
; %bb.596:
	global_load_b64 v[12:13], v18, s[18:19] offset:10240 scale_offset
.LBB993_597:
	s_wait_xcnt 0x0
	s_or_b32 exec_lo, exec_lo, s6
	v_add_nc_u32_e32 v26, 0x600, v18
                                        ; implicit-def: $vgpr14_vgpr15
	s_delay_alu instid0(VALU_DEP_1)
	v_cmp_gt_u32_e64 s6, s21, v26
	s_and_saveexec_b32 s7, s6
	s_cbranch_execz .LBB993_599
; %bb.598:
	global_load_b64 v[14:15], v18, s[18:19] offset:12288 scale_offset
.LBB993_599:
	s_wait_xcnt 0x0
	s_or_b32 exec_lo, exec_lo, s7
	v_add_nc_u32_e32 v27, 0x700, v18
                                        ; implicit-def: $vgpr16_vgpr17
	s_delay_alu instid0(VALU_DEP_1)
	v_cmp_gt_u32_e64 s20, s21, v27
	s_and_saveexec_b32 s7, s20
	s_cbranch_execz .LBB993_601
; %bb.600:
	global_load_b64 v[16:17], v18, s[18:19] offset:14336 scale_offset
.LBB993_601:
	s_wait_xcnt 0x0
	s_or_b32 exec_lo, exec_lo, s7
	v_dual_lshrrev_b32 v21, 2, v18 :: v_dual_lshrrev_b32 v1, 2, v1
	v_dual_lshrrev_b32 v19, 2, v19 :: v_dual_lshrrev_b32 v24, 2, v20
	v_lshlrev_b32_e32 v20, 3, v18
	s_delay_alu instid0(VALU_DEP_3) | instskip(NEXT) | instid1(VALU_DEP_4)
	v_and_b32_e32 v21, 0xf8, v21
	v_and_b32_e32 v1, 0x1f8, v1
	s_delay_alu instid0(VALU_DEP_4)
	v_and_b32_e32 v25, 0x1f8, v19
	v_and_b32_e32 v28, 0x1f8, v24
	s_cmp_lt_u32 s9, s8
	v_add_nc_u32_e32 v19, v21, v20
	v_dual_add_nc_u32 v21, v1, v20 :: v_dual_lshrrev_b32 v1, 2, v22
	v_dual_lshrrev_b32 v22, 2, v23 :: v_dual_add_nc_u32 v24, v25, v20
	v_dual_lshrrev_b32 v23, 2, v26 :: v_dual_add_nc_u32 v25, v28, v20
	v_lshrrev_b32_e32 v26, 2, v27
	s_wait_loadcnt_dscnt 0x0
	ds_store_b64 v19, v[2:3]
	ds_store_b64 v21, v[4:5] offset:2048
	ds_store_b64 v24, v[6:7] offset:4096
	ds_store_b64 v25, v[10:11] offset:6144
	v_and_b32_e32 v1, 0x1f8, v1
	v_lshlrev_b32_e32 v5, 1, v18
	v_and_b32_e32 v2, 0x3f8, v22
	v_and_b32_e32 v4, 0x3f8, v26
	;; [unrolled: 1-line block ×3, first 2 shown]
	v_add_nc_u32_e32 v26, v1, v20
	v_and_b32_e32 v1, 0x7f8, v5
	s_delay_alu instid0(VALU_DEP_4) | instskip(NEXT) | instid1(VALU_DEP_4)
	v_dual_add_nc_u32 v27, v2, v20 :: v_dual_add_nc_u32 v29, v4, v20
	v_add_nc_u32_e32 v28, v3, v20
	ds_store_b64 v26, v[8:9] offset:8192
	ds_store_b64 v27, v[12:13] offset:10240
	;; [unrolled: 1-line block ×4, first 2 shown]
	v_lshl_add_u32 v30, v18, 6, v1
	s_wait_storecnt_dscnt 0x0
	s_barrier_signal -1
	s_barrier_wait -1
	ds_load_2addr_b64 v[14:17], v30 offset1:1
	ds_load_2addr_b64 v[10:13], v30 offset0:2 offset1:3
	ds_load_2addr_b64 v[6:9], v30 offset0:4 offset1:5
	;; [unrolled: 1-line block ×3, first 2 shown]
	s_wait_dscnt 0x0
	s_barrier_signal -1
	s_barrier_wait -1
	s_load_u16 s7, s[16:17], 0xe
	s_cselect_b32 s8, 12, 18
	s_mov_b32 s9, 0
	v_bfe_u32 v1, v0, 10, 10
	s_wait_xcnt 0x0
	s_add_nc_u64 s[16:17], s[16:17], s[8:9]
	v_bfe_u32 v0, v0, 20, 10
	s_load_u16 s8, s[16:17], 0x0
	v_cmp_gt_i64_e64 s18, s[12:13], 0
	v_cmp_lt_i64_e64 s19, s[12:13], 1
	s_wait_kmcnt 0x0
	v_mad_u32_u24 v0, v0, s7, v1
	s_delay_alu instid0(VALU_DEP_1) | instskip(NEXT) | instid1(VALU_DEP_1)
	v_mul_lo_u32 v0, v0, s8
	v_add_lshl_u32 v31, v0, v18, 3
	s_delay_alu instid0(VALU_DEP_1) | instskip(NEXT) | instid1(VALU_DEP_1)
	v_sub_nc_u32_e64 v32, s21, v31 clamp
	v_cmp_lt_u32_e32 vcc_lo, 1, v32
	s_and_b32 s22, vcc_lo, s18
	s_delay_alu instid0(SALU_CYCLE_1)
	s_and_saveexec_b32 s8, s22
	s_cbranch_execz .LBB993_609
; %bb.602:
	v_mad_nc_u64_u32 v[0:1], v16, s12, s[14:15]
	v_mad_nc_u64_u32 v[22:23], v14, s12, s[14:15]
	s_mov_b64 s[16:17], s[12:13]
                                        ; implicit-def: $sgpr23
                                        ; implicit-def: $sgpr24
                                        ; implicit-def: $sgpr26
                                        ; implicit-def: $sgpr25
                                        ; implicit-def: $sgpr27
	s_delay_alu instid0(VALU_DEP_2) | instskip(NEXT) | instid1(VALU_DEP_2)
	v_mad_u32 v1, v17, s12, v1
	v_mad_u32 v23, v15, s12, v23
	s_delay_alu instid0(VALU_DEP_2) | instskip(NEXT) | instid1(VALU_DEP_2)
	v_mad_u32 v1, v16, s13, v1
	v_mad_u32 v23, v14, s13, v23
	s_branch .LBB993_604
.LBB993_603:                            ;   in Loop: Header=BB993_604 Depth=1
	s_or_b32 exec_lo, exec_lo, s28
	s_or_b32 s28, vcc_lo, s7
	s_and_b32 s7, vcc_lo, s7
	s_and_b32 s28, s28, s27
	s_delay_alu instid0(SALU_CYCLE_1) | instskip(SKIP_1) | instid1(SALU_CYCLE_1)
	s_or_b32 s7, s7, s28
	s_and_b32 s28, exec_lo, s26
	s_or_b32 s9, s28, s9
	s_and_not1_b32 s27, s27, exec_lo
	s_and_b32 s7, s7, exec_lo
	s_and_not1_b32 s24, s24, exec_lo
	s_and_b32 s28, s25, exec_lo
	s_and_not1_b32 s23, s23, exec_lo
	s_or_b32 s27, s27, s7
	s_or_b32 s24, s24, s28
	;; [unrolled: 1-line block ×3, first 2 shown]
	s_and_not1_b32 exec_lo, exec_lo, s9
	s_cbranch_execz .LBB993_606
.LBB993_604:                            ; =>This Inner Loop Header: Depth=1
	global_load_u8 v33, v[0:1], off
	global_load_u8 v34, v[22:23], off
	s_or_b32 s25, s25, exec_lo
	s_or_b32 s26, s26, exec_lo
	s_wait_loadcnt 0x1
	v_cmp_eq_u16_e32 vcc_lo, 0, v33
	s_wait_loadcnt 0x0
	v_cmp_ne_u16_e64 s7, 0, v34
	s_xor_b32 s29, vcc_lo, s7
	s_delay_alu instid0(SALU_CYCLE_1)
	s_and_saveexec_b32 s28, s29
	s_cbranch_execz .LBB993_603
; %bb.605:                              ;   in Loop: Header=BB993_604 Depth=1
	s_add_nc_u64 s[16:17], s[16:17], -1
	v_add_nc_u64_e32 v[0:1], 1, v[0:1]
	s_cmp_eq_u64 s[16:17], 0
	v_add_nc_u64_e32 v[22:23], 1, v[22:23]
	s_cselect_b32 s29, -1, 0
	s_and_not1_b32 s26, s26, exec_lo
	s_and_b32 s29, s29, exec_lo
	s_and_not1_b32 s25, s25, exec_lo
	s_or_b32 s26, s26, s29
	s_branch .LBB993_603
.LBB993_606:
	s_or_b32 exec_lo, exec_lo, s9
	s_and_saveexec_b32 s7, s24
	s_delay_alu instid0(SALU_CYCLE_1)
	s_xor_b32 s7, exec_lo, s7
; %bb.607:
	v_dual_cndmask_b32 v1, v17, v15, s23 :: v_dual_cndmask_b32 v0, v16, v14, s23
	v_dual_cndmask_b32 v15, v15, v17, s23 :: v_dual_cndmask_b32 v14, v14, v16, s23
	s_delay_alu instid0(VALU_DEP_2)
	v_mov_b64_e32 v[16:17], v[0:1]
; %bb.608:
	s_or_b32 exec_lo, exec_lo, s7
.LBB993_609:
	s_delay_alu instid0(SALU_CYCLE_1) | instskip(SKIP_2) | instid1(SALU_CYCLE_1)
	s_or_b32 exec_lo, exec_lo, s8
	v_cmp_lt_u32_e32 vcc_lo, 3, v32
	s_xor_b32 s16, s19, -1
	s_and_b32 s17, vcc_lo, s16
	s_delay_alu instid0(SALU_CYCLE_1)
	s_and_saveexec_b32 s23, s17
	s_cbranch_execz .LBB993_617
; %bb.610:
	v_mad_nc_u64_u32 v[0:1], v12, s12, s[14:15]
	v_mad_nc_u64_u32 v[22:23], v10, s12, s[14:15]
	s_mov_b32 s25, 0
	s_mov_b64 s[8:9], s[12:13]
                                        ; implicit-def: $sgpr24
                                        ; implicit-def: $sgpr26
                                        ; implicit-def: $sgpr28
                                        ; implicit-def: $sgpr27
                                        ; implicit-def: $sgpr29
	s_delay_alu instid0(VALU_DEP_2) | instskip(NEXT) | instid1(VALU_DEP_2)
	v_mad_u32 v1, v13, s12, v1
	v_mad_u32 v23, v11, s12, v23
	s_delay_alu instid0(VALU_DEP_2) | instskip(NEXT) | instid1(VALU_DEP_2)
	v_mad_u32 v1, v12, s13, v1
	v_mad_u32 v23, v10, s13, v23
	s_branch .LBB993_612
.LBB993_611:                            ;   in Loop: Header=BB993_612 Depth=1
	s_or_b32 exec_lo, exec_lo, s30
	s_or_b32 s30, vcc_lo, s7
	s_and_b32 s7, vcc_lo, s7
	s_and_b32 s30, s30, s29
	s_delay_alu instid0(SALU_CYCLE_1) | instskip(SKIP_1) | instid1(SALU_CYCLE_1)
	s_or_b32 s7, s7, s30
	s_and_b32 s30, exec_lo, s28
	s_or_b32 s25, s30, s25
	s_and_not1_b32 s29, s29, exec_lo
	s_and_b32 s7, s7, exec_lo
	s_and_not1_b32 s26, s26, exec_lo
	s_and_b32 s30, s27, exec_lo
	s_and_not1_b32 s24, s24, exec_lo
	s_or_b32 s29, s29, s7
	s_or_b32 s26, s26, s30
	;; [unrolled: 1-line block ×3, first 2 shown]
	s_and_not1_b32 exec_lo, exec_lo, s25
	s_cbranch_execz .LBB993_614
.LBB993_612:                            ; =>This Inner Loop Header: Depth=1
	global_load_u8 v33, v[0:1], off
	global_load_u8 v34, v[22:23], off
	s_or_b32 s27, s27, exec_lo
	s_or_b32 s28, s28, exec_lo
	s_wait_loadcnt 0x1
	v_cmp_eq_u16_e32 vcc_lo, 0, v33
	s_wait_loadcnt 0x0
	v_cmp_ne_u16_e64 s7, 0, v34
	s_xor_b32 s31, vcc_lo, s7
	s_delay_alu instid0(SALU_CYCLE_1)
	s_and_saveexec_b32 s30, s31
	s_cbranch_execz .LBB993_611
; %bb.613:                              ;   in Loop: Header=BB993_612 Depth=1
	s_add_nc_u64 s[8:9], s[8:9], -1
	v_add_nc_u64_e32 v[0:1], 1, v[0:1]
	s_cmp_eq_u64 s[8:9], 0
	v_add_nc_u64_e32 v[22:23], 1, v[22:23]
	s_cselect_b32 s31, -1, 0
	s_and_not1_b32 s28, s28, exec_lo
	s_and_b32 s31, s31, exec_lo
	s_and_not1_b32 s27, s27, exec_lo
	s_or_b32 s28, s28, s31
	s_branch .LBB993_611
.LBB993_614:
	s_or_b32 exec_lo, exec_lo, s25
	s_and_saveexec_b32 s7, s26
	s_delay_alu instid0(SALU_CYCLE_1)
	s_xor_b32 s7, exec_lo, s7
; %bb.615:
	v_dual_cndmask_b32 v1, v11, v13, s24 :: v_dual_cndmask_b32 v0, v10, v12, s24
	v_dual_cndmask_b32 v13, v13, v11, s24 :: v_dual_cndmask_b32 v12, v12, v10, s24
	s_delay_alu instid0(VALU_DEP_2)
	v_mov_b64_e32 v[10:11], v[0:1]
; %bb.616:
	s_or_b32 exec_lo, exec_lo, s7
.LBB993_617:
	s_delay_alu instid0(SALU_CYCLE_1) | instskip(SKIP_2) | instid1(SALU_CYCLE_1)
	s_or_b32 exec_lo, exec_lo, s23
	v_cmp_lt_u32_e32 vcc_lo, 5, v32
	s_and_b32 s23, vcc_lo, s16
	s_and_saveexec_b32 s24, s23
	s_cbranch_execz .LBB993_625
; %bb.618:
	v_mad_nc_u64_u32 v[0:1], v8, s12, s[14:15]
	v_mad_nc_u64_u32 v[22:23], v6, s12, s[14:15]
	s_mov_b32 s26, 0
	s_mov_b64 s[8:9], s[12:13]
                                        ; implicit-def: $sgpr25
                                        ; implicit-def: $sgpr27
                                        ; implicit-def: $sgpr29
                                        ; implicit-def: $sgpr28
                                        ; implicit-def: $sgpr30
	s_delay_alu instid0(VALU_DEP_2) | instskip(NEXT) | instid1(VALU_DEP_2)
	v_mad_u32 v1, v9, s12, v1
	v_mad_u32 v23, v7, s12, v23
	s_delay_alu instid0(VALU_DEP_2) | instskip(NEXT) | instid1(VALU_DEP_2)
	v_mad_u32 v1, v8, s13, v1
	v_mad_u32 v23, v6, s13, v23
	s_branch .LBB993_620
.LBB993_619:                            ;   in Loop: Header=BB993_620 Depth=1
	s_or_b32 exec_lo, exec_lo, s31
	s_or_b32 s31, vcc_lo, s7
	s_and_b32 s7, vcc_lo, s7
	s_and_b32 s31, s31, s30
	s_delay_alu instid0(SALU_CYCLE_1) | instskip(SKIP_1) | instid1(SALU_CYCLE_1)
	s_or_b32 s7, s7, s31
	s_and_b32 s31, exec_lo, s29
	s_or_b32 s26, s31, s26
	s_and_not1_b32 s30, s30, exec_lo
	s_and_b32 s7, s7, exec_lo
	s_and_not1_b32 s27, s27, exec_lo
	s_and_b32 s31, s28, exec_lo
	s_and_not1_b32 s25, s25, exec_lo
	s_or_b32 s30, s30, s7
	s_or_b32 s27, s27, s31
	;; [unrolled: 1-line block ×3, first 2 shown]
	s_and_not1_b32 exec_lo, exec_lo, s26
	s_cbranch_execz .LBB993_622
.LBB993_620:                            ; =>This Inner Loop Header: Depth=1
	global_load_u8 v33, v[0:1], off
	global_load_u8 v34, v[22:23], off
	s_or_b32 s28, s28, exec_lo
	s_or_b32 s29, s29, exec_lo
	s_wait_loadcnt 0x1
	v_cmp_eq_u16_e32 vcc_lo, 0, v33
	s_wait_loadcnt 0x0
	v_cmp_ne_u16_e64 s7, 0, v34
	s_xor_b32 s33, vcc_lo, s7
	s_delay_alu instid0(SALU_CYCLE_1)
	s_and_saveexec_b32 s31, s33
	s_cbranch_execz .LBB993_619
; %bb.621:                              ;   in Loop: Header=BB993_620 Depth=1
	s_add_nc_u64 s[8:9], s[8:9], -1
	v_add_nc_u64_e32 v[0:1], 1, v[0:1]
	s_cmp_eq_u64 s[8:9], 0
	v_add_nc_u64_e32 v[22:23], 1, v[22:23]
	s_cselect_b32 s33, -1, 0
	s_and_not1_b32 s29, s29, exec_lo
	s_and_b32 s33, s33, exec_lo
	s_and_not1_b32 s28, s28, exec_lo
	s_or_b32 s29, s29, s33
	s_branch .LBB993_619
.LBB993_622:
	s_or_b32 exec_lo, exec_lo, s26
	s_and_saveexec_b32 s7, s27
	s_delay_alu instid0(SALU_CYCLE_1)
	s_xor_b32 s7, exec_lo, s7
; %bb.623:
	v_dual_cndmask_b32 v1, v7, v9, s25 :: v_dual_cndmask_b32 v0, v6, v8, s25
	v_dual_cndmask_b32 v9, v9, v7, s25 :: v_dual_cndmask_b32 v8, v8, v6, s25
	s_delay_alu instid0(VALU_DEP_2)
	v_mov_b64_e32 v[6:7], v[0:1]
; %bb.624:
	s_or_b32 exec_lo, exec_lo, s7
.LBB993_625:
	s_delay_alu instid0(SALU_CYCLE_1) | instskip(SKIP_2) | instid1(SALU_CYCLE_1)
	s_or_b32 exec_lo, exec_lo, s24
	v_cmp_lt_u32_e32 vcc_lo, 7, v32
	s_and_b32 s24, vcc_lo, s16
	s_and_saveexec_b32 s25, s24
	s_cbranch_execz .LBB993_633
; %bb.626:
	v_mad_nc_u64_u32 v[0:1], v4, s12, s[14:15]
	v_mad_nc_u64_u32 v[22:23], v2, s12, s[14:15]
	s_mov_b32 s27, 0
	s_mov_b64 s[8:9], s[12:13]
                                        ; implicit-def: $sgpr26
                                        ; implicit-def: $sgpr28
                                        ; implicit-def: $sgpr30
                                        ; implicit-def: $sgpr29
                                        ; implicit-def: $sgpr31
	s_delay_alu instid0(VALU_DEP_2) | instskip(NEXT) | instid1(VALU_DEP_2)
	v_mad_u32 v1, v5, s12, v1
	v_mad_u32 v23, v3, s12, v23
	s_delay_alu instid0(VALU_DEP_2) | instskip(NEXT) | instid1(VALU_DEP_2)
	v_mad_u32 v1, v4, s13, v1
	v_mad_u32 v23, v2, s13, v23
	s_branch .LBB993_628
.LBB993_627:                            ;   in Loop: Header=BB993_628 Depth=1
	s_or_b32 exec_lo, exec_lo, s33
	s_or_b32 s33, vcc_lo, s7
	s_and_b32 s7, vcc_lo, s7
	s_and_b32 s33, s33, s31
	s_delay_alu instid0(SALU_CYCLE_1) | instskip(SKIP_1) | instid1(SALU_CYCLE_1)
	s_or_b32 s7, s7, s33
	s_and_b32 s33, exec_lo, s30
	s_or_b32 s27, s33, s27
	s_and_not1_b32 s31, s31, exec_lo
	s_and_b32 s7, s7, exec_lo
	s_and_not1_b32 s28, s28, exec_lo
	s_and_b32 s33, s29, exec_lo
	s_and_not1_b32 s26, s26, exec_lo
	s_or_b32 s31, s31, s7
	s_or_b32 s28, s28, s33
	;; [unrolled: 1-line block ×3, first 2 shown]
	s_and_not1_b32 exec_lo, exec_lo, s27
	s_cbranch_execz .LBB993_630
.LBB993_628:                            ; =>This Inner Loop Header: Depth=1
	global_load_u8 v33, v[0:1], off
	global_load_u8 v34, v[22:23], off
	s_or_b32 s29, s29, exec_lo
	s_or_b32 s30, s30, exec_lo
	s_wait_loadcnt 0x1
	v_cmp_eq_u16_e32 vcc_lo, 0, v33
	s_wait_loadcnt 0x0
	v_cmp_ne_u16_e64 s7, 0, v34
	s_xor_b32 s34, vcc_lo, s7
	s_delay_alu instid0(SALU_CYCLE_1)
	s_and_saveexec_b32 s33, s34
	s_cbranch_execz .LBB993_627
; %bb.629:                              ;   in Loop: Header=BB993_628 Depth=1
	s_add_nc_u64 s[8:9], s[8:9], -1
	v_add_nc_u64_e32 v[0:1], 1, v[0:1]
	s_cmp_eq_u64 s[8:9], 0
	v_add_nc_u64_e32 v[22:23], 1, v[22:23]
	s_cselect_b32 s34, -1, 0
	s_and_not1_b32 s30, s30, exec_lo
	s_and_b32 s34, s34, exec_lo
	s_and_not1_b32 s29, s29, exec_lo
	s_or_b32 s30, s30, s34
	s_branch .LBB993_627
.LBB993_630:
	s_or_b32 exec_lo, exec_lo, s27
	s_and_saveexec_b32 s7, s28
	s_delay_alu instid0(SALU_CYCLE_1)
	s_xor_b32 s7, exec_lo, s7
; %bb.631:
	v_dual_cndmask_b32 v1, v3, v5, s26 :: v_dual_cndmask_b32 v0, v2, v4, s26
	v_dual_cndmask_b32 v5, v5, v3, s26 :: v_dual_cndmask_b32 v4, v4, v2, s26
	s_delay_alu instid0(VALU_DEP_2)
	v_mov_b64_e32 v[2:3], v[0:1]
; %bb.632:
	s_or_b32 exec_lo, exec_lo, s7
.LBB993_633:
	s_delay_alu instid0(SALU_CYCLE_1) | instskip(SKIP_2) | instid1(SALU_CYCLE_1)
	s_or_b32 exec_lo, exec_lo, s25
	v_cmp_lt_u32_e32 vcc_lo, 2, v32
	s_and_b32 s25, vcc_lo, s16
	s_and_saveexec_b32 s7, s25
	s_delay_alu instid0(SALU_CYCLE_1)
	s_xor_b32 s26, exec_lo, s7
	s_cbranch_execz .LBB993_641
; %bb.634:
	v_mad_nc_u64_u32 v[0:1], v10, s12, s[14:15]
	v_mad_nc_u64_u32 v[22:23], v16, s12, s[14:15]
	s_mov_b32 s28, 0
	s_mov_b64 s[8:9], s[12:13]
                                        ; implicit-def: $sgpr27
                                        ; implicit-def: $sgpr29
                                        ; implicit-def: $sgpr31
                                        ; implicit-def: $sgpr30
                                        ; implicit-def: $sgpr33
	s_delay_alu instid0(VALU_DEP_2) | instskip(NEXT) | instid1(VALU_DEP_2)
	v_mad_u32 v1, v11, s12, v1
	v_mad_u32 v23, v17, s12, v23
	s_delay_alu instid0(VALU_DEP_2) | instskip(NEXT) | instid1(VALU_DEP_2)
	v_mad_u32 v1, v10, s13, v1
	v_mad_u32 v23, v16, s13, v23
	s_branch .LBB993_636
.LBB993_635:                            ;   in Loop: Header=BB993_636 Depth=1
	s_or_b32 exec_lo, exec_lo, s34
	s_or_b32 s34, vcc_lo, s7
	s_and_b32 s7, vcc_lo, s7
	s_and_b32 s34, s34, s33
	s_delay_alu instid0(SALU_CYCLE_1) | instskip(SKIP_1) | instid1(SALU_CYCLE_1)
	s_or_b32 s7, s7, s34
	s_and_b32 s34, exec_lo, s31
	s_or_b32 s28, s34, s28
	s_and_not1_b32 s33, s33, exec_lo
	s_and_b32 s7, s7, exec_lo
	s_and_not1_b32 s29, s29, exec_lo
	s_and_b32 s34, s30, exec_lo
	s_and_not1_b32 s27, s27, exec_lo
	s_or_b32 s33, s33, s7
	s_or_b32 s29, s29, s34
	;; [unrolled: 1-line block ×3, first 2 shown]
	s_and_not1_b32 exec_lo, exec_lo, s28
	s_cbranch_execz .LBB993_638
.LBB993_636:                            ; =>This Inner Loop Header: Depth=1
	global_load_u8 v33, v[0:1], off
	global_load_u8 v34, v[22:23], off
	s_or_b32 s30, s30, exec_lo
	s_or_b32 s31, s31, exec_lo
	s_wait_loadcnt 0x1
	v_cmp_eq_u16_e32 vcc_lo, 0, v33
	s_wait_loadcnt 0x0
	v_cmp_ne_u16_e64 s7, 0, v34
	s_xor_b32 s35, vcc_lo, s7
	s_delay_alu instid0(SALU_CYCLE_1)
	s_and_saveexec_b32 s34, s35
	s_cbranch_execz .LBB993_635
; %bb.637:                              ;   in Loop: Header=BB993_636 Depth=1
	s_add_nc_u64 s[8:9], s[8:9], -1
	v_add_nc_u64_e32 v[0:1], 1, v[0:1]
	s_cmp_eq_u64 s[8:9], 0
	v_add_nc_u64_e32 v[22:23], 1, v[22:23]
	s_cselect_b32 s35, -1, 0
	s_and_not1_b32 s31, s31, exec_lo
	s_and_b32 s35, s35, exec_lo
	s_and_not1_b32 s30, s30, exec_lo
	s_or_b32 s31, s31, s35
	s_branch .LBB993_635
.LBB993_638:
	s_or_b32 exec_lo, exec_lo, s28
	s_and_saveexec_b32 s7, s29
	s_delay_alu instid0(SALU_CYCLE_1)
	s_xor_b32 s7, exec_lo, s7
; %bb.639:
	v_dual_cndmask_b32 v1, v17, v11, s27 :: v_dual_cndmask_b32 v0, v16, v10, s27
	v_dual_cndmask_b32 v11, v11, v17, s27 :: v_dual_cndmask_b32 v10, v10, v16, s27
	s_delay_alu instid0(VALU_DEP_2)
	v_mov_b64_e32 v[16:17], v[0:1]
; %bb.640:
	s_or_b32 exec_lo, exec_lo, s7
.LBB993_641:
	s_delay_alu instid0(SALU_CYCLE_1) | instskip(SKIP_2) | instid1(SALU_CYCLE_1)
	s_or_b32 exec_lo, exec_lo, s26
	v_cmp_lt_u32_e32 vcc_lo, 4, v32
	s_and_b32 s26, vcc_lo, s16
	s_and_saveexec_b32 s27, s26
	s_cbranch_execz .LBB993_649
; %bb.642:
	v_mad_nc_u64_u32 v[0:1], v6, s12, s[14:15]
	v_mad_nc_u64_u32 v[22:23], v12, s12, s[14:15]
	s_mov_b32 s29, 0
	s_mov_b64 s[8:9], s[12:13]
                                        ; implicit-def: $sgpr28
                                        ; implicit-def: $sgpr30
                                        ; implicit-def: $sgpr33
                                        ; implicit-def: $sgpr31
                                        ; implicit-def: $sgpr34
	s_delay_alu instid0(VALU_DEP_2) | instskip(NEXT) | instid1(VALU_DEP_2)
	v_mad_u32 v1, v7, s12, v1
	v_mad_u32 v23, v13, s12, v23
	s_delay_alu instid0(VALU_DEP_2) | instskip(NEXT) | instid1(VALU_DEP_2)
	v_mad_u32 v1, v6, s13, v1
	v_mad_u32 v23, v12, s13, v23
	s_branch .LBB993_644
.LBB993_643:                            ;   in Loop: Header=BB993_644 Depth=1
	s_or_b32 exec_lo, exec_lo, s35
	s_or_b32 s35, vcc_lo, s7
	s_and_b32 s7, vcc_lo, s7
	s_and_b32 s35, s35, s34
	s_delay_alu instid0(SALU_CYCLE_1) | instskip(SKIP_1) | instid1(SALU_CYCLE_1)
	s_or_b32 s7, s7, s35
	s_and_b32 s35, exec_lo, s33
	s_or_b32 s29, s35, s29
	s_and_not1_b32 s34, s34, exec_lo
	s_and_b32 s7, s7, exec_lo
	s_and_not1_b32 s30, s30, exec_lo
	s_and_b32 s35, s31, exec_lo
	s_and_not1_b32 s28, s28, exec_lo
	s_or_b32 s34, s34, s7
	s_or_b32 s30, s30, s35
	;; [unrolled: 1-line block ×3, first 2 shown]
	s_and_not1_b32 exec_lo, exec_lo, s29
	s_cbranch_execz .LBB993_646
.LBB993_644:                            ; =>This Inner Loop Header: Depth=1
	global_load_u8 v33, v[0:1], off
	global_load_u8 v34, v[22:23], off
	s_or_b32 s31, s31, exec_lo
	s_or_b32 s33, s33, exec_lo
	s_wait_loadcnt 0x1
	v_cmp_eq_u16_e32 vcc_lo, 0, v33
	s_wait_loadcnt 0x0
	v_cmp_ne_u16_e64 s7, 0, v34
	s_xor_b32 s36, vcc_lo, s7
	s_delay_alu instid0(SALU_CYCLE_1)
	s_and_saveexec_b32 s35, s36
	s_cbranch_execz .LBB993_643
; %bb.645:                              ;   in Loop: Header=BB993_644 Depth=1
	s_add_nc_u64 s[8:9], s[8:9], -1
	v_add_nc_u64_e32 v[0:1], 1, v[0:1]
	s_cmp_eq_u64 s[8:9], 0
	v_add_nc_u64_e32 v[22:23], 1, v[22:23]
	s_cselect_b32 s36, -1, 0
	s_and_not1_b32 s33, s33, exec_lo
	s_and_b32 s36, s36, exec_lo
	s_and_not1_b32 s31, s31, exec_lo
	s_or_b32 s33, s33, s36
	s_branch .LBB993_643
.LBB993_646:
	s_or_b32 exec_lo, exec_lo, s29
	s_and_saveexec_b32 s7, s30
	s_delay_alu instid0(SALU_CYCLE_1)
	s_xor_b32 s7, exec_lo, s7
; %bb.647:
	v_dual_cndmask_b32 v1, v13, v7, s28 :: v_dual_cndmask_b32 v0, v12, v6, s28
	v_dual_cndmask_b32 v7, v7, v13, s28 :: v_dual_cndmask_b32 v6, v6, v12, s28
	s_delay_alu instid0(VALU_DEP_2)
	v_mov_b64_e32 v[12:13], v[0:1]
; %bb.648:
	s_or_b32 exec_lo, exec_lo, s7
.LBB993_649:
	s_delay_alu instid0(SALU_CYCLE_1) | instskip(SKIP_2) | instid1(SALU_CYCLE_1)
	s_or_b32 exec_lo, exec_lo, s27
	v_cmp_lt_u32_e32 vcc_lo, 6, v32
	s_and_b32 s27, vcc_lo, s16
	s_and_saveexec_b32 s28, s27
	s_cbranch_execnz .LBB993_671
; %bb.650:
	s_or_b32 exec_lo, exec_lo, s28
	s_and_saveexec_b32 s28, s22
	s_cbranch_execnz .LBB993_678
.LBB993_651:
	s_or_b32 exec_lo, exec_lo, s28
	s_and_saveexec_b32 s28, s17
	s_cbranch_execnz .LBB993_685
.LBB993_652:
	s_or_b32 exec_lo, exec_lo, s28
	s_and_saveexec_b32 s28, s23
	s_cbranch_execnz .LBB993_692
.LBB993_653:
	s_or_b32 exec_lo, exec_lo, s28
	s_and_saveexec_b32 s28, s24
	s_cbranch_execnz .LBB993_699
.LBB993_654:
	s_or_b32 exec_lo, exec_lo, s28
	s_and_saveexec_b32 s28, s25
	s_cbranch_execnz .LBB993_706
.LBB993_655:
	s_or_b32 exec_lo, exec_lo, s28
	s_and_saveexec_b32 s28, s26
	s_cbranch_execnz .LBB993_713
.LBB993_656:
	s_or_b32 exec_lo, exec_lo, s28
	s_and_saveexec_b32 s28, s27
	s_cbranch_execnz .LBB993_720
.LBB993_657:
	s_or_b32 exec_lo, exec_lo, s28
	s_and_saveexec_b32 s28, s22
	s_cbranch_execnz .LBB993_727
.LBB993_658:
	s_or_b32 exec_lo, exec_lo, s28
	s_and_saveexec_b32 s28, s17
	s_cbranch_execnz .LBB993_734
.LBB993_659:
	s_or_b32 exec_lo, exec_lo, s28
	s_and_saveexec_b32 s28, s23
	s_cbranch_execnz .LBB993_741
.LBB993_660:
	s_or_b32 exec_lo, exec_lo, s28
	s_and_saveexec_b32 s28, s24
	s_cbranch_execnz .LBB993_748
.LBB993_661:
	s_or_b32 exec_lo, exec_lo, s28
	s_and_saveexec_b32 s28, s25
	s_cbranch_execnz .LBB993_755
.LBB993_662:
	s_or_b32 exec_lo, exec_lo, s28
	s_and_saveexec_b32 s28, s26
	s_cbranch_execnz .LBB993_762
.LBB993_663:
	s_or_b32 exec_lo, exec_lo, s28
	s_and_saveexec_b32 s28, s27
	s_cbranch_execnz .LBB993_769
.LBB993_664:
	s_or_b32 exec_lo, exec_lo, s28
	s_and_saveexec_b32 s28, s22
	s_cbranch_execnz .LBB993_776
.LBB993_665:
	s_or_b32 exec_lo, exec_lo, s28
	s_and_saveexec_b32 s22, s17
	s_cbranch_execnz .LBB993_783
.LBB993_666:
	s_or_b32 exec_lo, exec_lo, s22
	s_and_saveexec_b32 s17, s23
	s_cbranch_execnz .LBB993_790
.LBB993_667:
	s_or_b32 exec_lo, exec_lo, s17
	s_and_saveexec_b32 s17, s24
	s_cbranch_execnz .LBB993_797
.LBB993_668:
	s_or_b32 exec_lo, exec_lo, s17
	s_and_saveexec_b32 s17, s25
	s_cbranch_execnz .LBB993_804
.LBB993_669:
	s_or_b32 exec_lo, exec_lo, s17
	s_and_saveexec_b32 s17, s26
	s_cbranch_execnz .LBB993_811
.LBB993_670:
	s_or_b32 exec_lo, exec_lo, s17
	s_and_saveexec_b32 s17, s27
	s_cbranch_execnz .LBB993_818
	s_branch .LBB993_825
.LBB993_671:
	v_mad_nc_u64_u32 v[0:1], v2, s12, s[14:15]
	v_mad_nc_u64_u32 v[22:23], v8, s12, s[14:15]
	s_mov_b32 s30, 0
	s_mov_b64 s[8:9], s[12:13]
                                        ; implicit-def: $sgpr29
                                        ; implicit-def: $sgpr31
                                        ; implicit-def: $sgpr34
                                        ; implicit-def: $sgpr33
                                        ; implicit-def: $sgpr35
	s_delay_alu instid0(VALU_DEP_2) | instskip(NEXT) | instid1(VALU_DEP_2)
	v_mad_u32 v1, v3, s12, v1
	v_mad_u32 v23, v9, s12, v23
	s_delay_alu instid0(VALU_DEP_2) | instskip(NEXT) | instid1(VALU_DEP_2)
	v_mad_u32 v1, v2, s13, v1
	v_mad_u32 v23, v8, s13, v23
	s_branch .LBB993_673
.LBB993_672:                            ;   in Loop: Header=BB993_673 Depth=1
	s_or_b32 exec_lo, exec_lo, s36
	s_or_b32 s36, vcc_lo, s7
	s_and_b32 s7, vcc_lo, s7
	s_and_b32 s36, s36, s35
	s_delay_alu instid0(SALU_CYCLE_1) | instskip(SKIP_1) | instid1(SALU_CYCLE_1)
	s_or_b32 s7, s7, s36
	s_and_b32 s36, exec_lo, s34
	s_or_b32 s30, s36, s30
	s_and_not1_b32 s35, s35, exec_lo
	s_and_b32 s7, s7, exec_lo
	s_and_not1_b32 s31, s31, exec_lo
	s_and_b32 s36, s33, exec_lo
	s_and_not1_b32 s29, s29, exec_lo
	s_or_b32 s35, s35, s7
	s_or_b32 s31, s31, s36
	;; [unrolled: 1-line block ×3, first 2 shown]
	s_and_not1_b32 exec_lo, exec_lo, s30
	s_cbranch_execz .LBB993_675
.LBB993_673:                            ; =>This Inner Loop Header: Depth=1
	global_load_u8 v32, v[0:1], off
	global_load_u8 v33, v[22:23], off
	s_or_b32 s33, s33, exec_lo
	s_or_b32 s34, s34, exec_lo
	s_wait_loadcnt 0x1
	v_cmp_eq_u16_e32 vcc_lo, 0, v32
	s_wait_loadcnt 0x0
	v_cmp_ne_u16_e64 s7, 0, v33
	s_xor_b32 s37, vcc_lo, s7
	s_delay_alu instid0(SALU_CYCLE_1)
	s_and_saveexec_b32 s36, s37
	s_cbranch_execz .LBB993_672
; %bb.674:                              ;   in Loop: Header=BB993_673 Depth=1
	s_add_nc_u64 s[8:9], s[8:9], -1
	v_add_nc_u64_e32 v[0:1], 1, v[0:1]
	s_cmp_eq_u64 s[8:9], 0
	v_add_nc_u64_e32 v[22:23], 1, v[22:23]
	s_cselect_b32 s37, -1, 0
	s_and_not1_b32 s34, s34, exec_lo
	s_and_b32 s37, s37, exec_lo
	s_and_not1_b32 s33, s33, exec_lo
	s_or_b32 s34, s34, s37
	s_branch .LBB993_672
.LBB993_675:
	s_or_b32 exec_lo, exec_lo, s30
	s_and_saveexec_b32 s7, s31
	s_delay_alu instid0(SALU_CYCLE_1)
	s_xor_b32 s7, exec_lo, s7
; %bb.676:
	v_dual_cndmask_b32 v1, v9, v3, s29 :: v_dual_cndmask_b32 v0, v8, v2, s29
	v_dual_cndmask_b32 v3, v3, v9, s29 :: v_dual_cndmask_b32 v2, v2, v8, s29
	s_delay_alu instid0(VALU_DEP_2)
	v_mov_b64_e32 v[8:9], v[0:1]
; %bb.677:
	s_or_b32 exec_lo, exec_lo, s7
	s_delay_alu instid0(SALU_CYCLE_1)
	s_or_b32 exec_lo, exec_lo, s28
	s_and_saveexec_b32 s28, s22
	s_cbranch_execz .LBB993_651
.LBB993_678:
	v_mad_nc_u64_u32 v[0:1], v16, s12, s[14:15]
	v_mad_nc_u64_u32 v[22:23], v14, s12, s[14:15]
	s_mov_b32 s30, 0
	s_mov_b64 s[8:9], s[12:13]
                                        ; implicit-def: $sgpr29
                                        ; implicit-def: $sgpr31
                                        ; implicit-def: $sgpr34
                                        ; implicit-def: $sgpr33
                                        ; implicit-def: $sgpr35
	s_delay_alu instid0(VALU_DEP_2) | instskip(NEXT) | instid1(VALU_DEP_2)
	v_mad_u32 v1, v17, s12, v1
	v_mad_u32 v23, v15, s12, v23
	s_delay_alu instid0(VALU_DEP_2) | instskip(NEXT) | instid1(VALU_DEP_2)
	v_mad_u32 v1, v16, s13, v1
	v_mad_u32 v23, v14, s13, v23
	s_branch .LBB993_680
.LBB993_679:                            ;   in Loop: Header=BB993_680 Depth=1
	s_or_b32 exec_lo, exec_lo, s36
	s_or_b32 s36, vcc_lo, s7
	s_and_b32 s7, vcc_lo, s7
	s_and_b32 s36, s36, s35
	s_delay_alu instid0(SALU_CYCLE_1) | instskip(SKIP_1) | instid1(SALU_CYCLE_1)
	s_or_b32 s7, s7, s36
	s_and_b32 s36, exec_lo, s34
	s_or_b32 s30, s36, s30
	s_and_not1_b32 s35, s35, exec_lo
	s_and_b32 s7, s7, exec_lo
	s_and_not1_b32 s31, s31, exec_lo
	s_and_b32 s36, s33, exec_lo
	s_and_not1_b32 s29, s29, exec_lo
	s_or_b32 s35, s35, s7
	s_or_b32 s31, s31, s36
	;; [unrolled: 1-line block ×3, first 2 shown]
	s_and_not1_b32 exec_lo, exec_lo, s30
	s_cbranch_execz .LBB993_682
.LBB993_680:                            ; =>This Inner Loop Header: Depth=1
	global_load_u8 v32, v[0:1], off
	global_load_u8 v33, v[22:23], off
	s_or_b32 s33, s33, exec_lo
	s_or_b32 s34, s34, exec_lo
	s_wait_loadcnt 0x1
	v_cmp_eq_u16_e32 vcc_lo, 0, v32
	s_wait_loadcnt 0x0
	v_cmp_ne_u16_e64 s7, 0, v33
	s_xor_b32 s37, vcc_lo, s7
	s_delay_alu instid0(SALU_CYCLE_1)
	s_and_saveexec_b32 s36, s37
	s_cbranch_execz .LBB993_679
; %bb.681:                              ;   in Loop: Header=BB993_680 Depth=1
	s_add_nc_u64 s[8:9], s[8:9], -1
	v_add_nc_u64_e32 v[0:1], 1, v[0:1]
	s_cmp_eq_u64 s[8:9], 0
	v_add_nc_u64_e32 v[22:23], 1, v[22:23]
	s_cselect_b32 s37, -1, 0
	s_and_not1_b32 s34, s34, exec_lo
	s_and_b32 s37, s37, exec_lo
	s_and_not1_b32 s33, s33, exec_lo
	s_or_b32 s34, s34, s37
	s_branch .LBB993_679
.LBB993_682:
	s_or_b32 exec_lo, exec_lo, s30
	s_and_saveexec_b32 s7, s31
	s_delay_alu instid0(SALU_CYCLE_1)
	s_xor_b32 s7, exec_lo, s7
; %bb.683:
	v_dual_cndmask_b32 v1, v17, v15, s29 :: v_dual_cndmask_b32 v0, v16, v14, s29
	v_dual_cndmask_b32 v15, v15, v17, s29 :: v_dual_cndmask_b32 v14, v14, v16, s29
	s_delay_alu instid0(VALU_DEP_2)
	v_mov_b64_e32 v[16:17], v[0:1]
; %bb.684:
	s_or_b32 exec_lo, exec_lo, s7
	s_delay_alu instid0(SALU_CYCLE_1)
	s_or_b32 exec_lo, exec_lo, s28
	s_and_saveexec_b32 s28, s17
	s_cbranch_execz .LBB993_652
.LBB993_685:
	v_mad_nc_u64_u32 v[0:1], v12, s12, s[14:15]
	v_mad_nc_u64_u32 v[22:23], v10, s12, s[14:15]
	s_mov_b32 s30, 0
	s_mov_b64 s[8:9], s[12:13]
                                        ; implicit-def: $sgpr29
                                        ; implicit-def: $sgpr31
                                        ; implicit-def: $sgpr34
                                        ; implicit-def: $sgpr33
                                        ; implicit-def: $sgpr35
	s_delay_alu instid0(VALU_DEP_2) | instskip(NEXT) | instid1(VALU_DEP_2)
	v_mad_u32 v1, v13, s12, v1
	v_mad_u32 v23, v11, s12, v23
	s_delay_alu instid0(VALU_DEP_2) | instskip(NEXT) | instid1(VALU_DEP_2)
	v_mad_u32 v1, v12, s13, v1
	v_mad_u32 v23, v10, s13, v23
	s_branch .LBB993_687
.LBB993_686:                            ;   in Loop: Header=BB993_687 Depth=1
	s_or_b32 exec_lo, exec_lo, s36
	s_or_b32 s36, vcc_lo, s7
	s_and_b32 s7, vcc_lo, s7
	s_and_b32 s36, s36, s35
	s_delay_alu instid0(SALU_CYCLE_1) | instskip(SKIP_1) | instid1(SALU_CYCLE_1)
	s_or_b32 s7, s7, s36
	s_and_b32 s36, exec_lo, s34
	s_or_b32 s30, s36, s30
	s_and_not1_b32 s35, s35, exec_lo
	s_and_b32 s7, s7, exec_lo
	s_and_not1_b32 s31, s31, exec_lo
	s_and_b32 s36, s33, exec_lo
	s_and_not1_b32 s29, s29, exec_lo
	s_or_b32 s35, s35, s7
	s_or_b32 s31, s31, s36
	;; [unrolled: 1-line block ×3, first 2 shown]
	s_and_not1_b32 exec_lo, exec_lo, s30
	s_cbranch_execz .LBB993_689
.LBB993_687:                            ; =>This Inner Loop Header: Depth=1
	global_load_u8 v32, v[0:1], off
	global_load_u8 v33, v[22:23], off
	s_or_b32 s33, s33, exec_lo
	s_or_b32 s34, s34, exec_lo
	s_wait_loadcnt 0x1
	v_cmp_eq_u16_e32 vcc_lo, 0, v32
	s_wait_loadcnt 0x0
	v_cmp_ne_u16_e64 s7, 0, v33
	s_xor_b32 s37, vcc_lo, s7
	s_delay_alu instid0(SALU_CYCLE_1)
	s_and_saveexec_b32 s36, s37
	s_cbranch_execz .LBB993_686
; %bb.688:                              ;   in Loop: Header=BB993_687 Depth=1
	s_add_nc_u64 s[8:9], s[8:9], -1
	v_add_nc_u64_e32 v[0:1], 1, v[0:1]
	s_cmp_eq_u64 s[8:9], 0
	v_add_nc_u64_e32 v[22:23], 1, v[22:23]
	s_cselect_b32 s37, -1, 0
	s_and_not1_b32 s34, s34, exec_lo
	s_and_b32 s37, s37, exec_lo
	s_and_not1_b32 s33, s33, exec_lo
	s_or_b32 s34, s34, s37
	s_branch .LBB993_686
.LBB993_689:
	s_or_b32 exec_lo, exec_lo, s30
	s_and_saveexec_b32 s7, s31
	s_delay_alu instid0(SALU_CYCLE_1)
	s_xor_b32 s7, exec_lo, s7
; %bb.690:
	v_dual_cndmask_b32 v1, v11, v13, s29 :: v_dual_cndmask_b32 v0, v10, v12, s29
	v_dual_cndmask_b32 v13, v13, v11, s29 :: v_dual_cndmask_b32 v12, v12, v10, s29
	s_delay_alu instid0(VALU_DEP_2)
	v_mov_b64_e32 v[10:11], v[0:1]
; %bb.691:
	s_or_b32 exec_lo, exec_lo, s7
	s_delay_alu instid0(SALU_CYCLE_1)
	s_or_b32 exec_lo, exec_lo, s28
	s_and_saveexec_b32 s28, s23
	s_cbranch_execz .LBB993_653
.LBB993_692:
	v_mad_nc_u64_u32 v[0:1], v8, s12, s[14:15]
	v_mad_nc_u64_u32 v[22:23], v6, s12, s[14:15]
	s_mov_b32 s30, 0
	s_mov_b64 s[8:9], s[12:13]
                                        ; implicit-def: $sgpr29
                                        ; implicit-def: $sgpr31
                                        ; implicit-def: $sgpr34
                                        ; implicit-def: $sgpr33
                                        ; implicit-def: $sgpr35
	s_delay_alu instid0(VALU_DEP_2) | instskip(NEXT) | instid1(VALU_DEP_2)
	v_mad_u32 v1, v9, s12, v1
	v_mad_u32 v23, v7, s12, v23
	s_delay_alu instid0(VALU_DEP_2) | instskip(NEXT) | instid1(VALU_DEP_2)
	v_mad_u32 v1, v8, s13, v1
	v_mad_u32 v23, v6, s13, v23
	s_branch .LBB993_694
.LBB993_693:                            ;   in Loop: Header=BB993_694 Depth=1
	s_or_b32 exec_lo, exec_lo, s36
	s_or_b32 s36, vcc_lo, s7
	s_and_b32 s7, vcc_lo, s7
	s_and_b32 s36, s36, s35
	s_delay_alu instid0(SALU_CYCLE_1) | instskip(SKIP_1) | instid1(SALU_CYCLE_1)
	s_or_b32 s7, s7, s36
	s_and_b32 s36, exec_lo, s34
	s_or_b32 s30, s36, s30
	s_and_not1_b32 s35, s35, exec_lo
	s_and_b32 s7, s7, exec_lo
	s_and_not1_b32 s31, s31, exec_lo
	s_and_b32 s36, s33, exec_lo
	s_and_not1_b32 s29, s29, exec_lo
	s_or_b32 s35, s35, s7
	s_or_b32 s31, s31, s36
	;; [unrolled: 1-line block ×3, first 2 shown]
	s_and_not1_b32 exec_lo, exec_lo, s30
	s_cbranch_execz .LBB993_696
.LBB993_694:                            ; =>This Inner Loop Header: Depth=1
	global_load_u8 v32, v[0:1], off
	global_load_u8 v33, v[22:23], off
	s_or_b32 s33, s33, exec_lo
	s_or_b32 s34, s34, exec_lo
	s_wait_loadcnt 0x1
	v_cmp_eq_u16_e32 vcc_lo, 0, v32
	s_wait_loadcnt 0x0
	v_cmp_ne_u16_e64 s7, 0, v33
	s_xor_b32 s37, vcc_lo, s7
	s_delay_alu instid0(SALU_CYCLE_1)
	s_and_saveexec_b32 s36, s37
	s_cbranch_execz .LBB993_693
; %bb.695:                              ;   in Loop: Header=BB993_694 Depth=1
	s_add_nc_u64 s[8:9], s[8:9], -1
	v_add_nc_u64_e32 v[0:1], 1, v[0:1]
	s_cmp_eq_u64 s[8:9], 0
	v_add_nc_u64_e32 v[22:23], 1, v[22:23]
	s_cselect_b32 s37, -1, 0
	s_and_not1_b32 s34, s34, exec_lo
	s_and_b32 s37, s37, exec_lo
	s_and_not1_b32 s33, s33, exec_lo
	s_or_b32 s34, s34, s37
	s_branch .LBB993_693
.LBB993_696:
	s_or_b32 exec_lo, exec_lo, s30
	s_and_saveexec_b32 s7, s31
	s_delay_alu instid0(SALU_CYCLE_1)
	s_xor_b32 s7, exec_lo, s7
; %bb.697:
	v_dual_cndmask_b32 v1, v7, v9, s29 :: v_dual_cndmask_b32 v0, v6, v8, s29
	v_dual_cndmask_b32 v9, v9, v7, s29 :: v_dual_cndmask_b32 v8, v8, v6, s29
	s_delay_alu instid0(VALU_DEP_2)
	v_mov_b64_e32 v[6:7], v[0:1]
; %bb.698:
	s_or_b32 exec_lo, exec_lo, s7
	s_delay_alu instid0(SALU_CYCLE_1)
	s_or_b32 exec_lo, exec_lo, s28
	s_and_saveexec_b32 s28, s24
	s_cbranch_execz .LBB993_654
.LBB993_699:
	v_mad_nc_u64_u32 v[0:1], v4, s12, s[14:15]
	v_mad_nc_u64_u32 v[22:23], v2, s12, s[14:15]
	s_mov_b32 s30, 0
	s_mov_b64 s[8:9], s[12:13]
                                        ; implicit-def: $sgpr29
                                        ; implicit-def: $sgpr31
                                        ; implicit-def: $sgpr34
                                        ; implicit-def: $sgpr33
                                        ; implicit-def: $sgpr35
	s_delay_alu instid0(VALU_DEP_2) | instskip(NEXT) | instid1(VALU_DEP_2)
	v_mad_u32 v1, v5, s12, v1
	v_mad_u32 v23, v3, s12, v23
	s_delay_alu instid0(VALU_DEP_2) | instskip(NEXT) | instid1(VALU_DEP_2)
	v_mad_u32 v1, v4, s13, v1
	v_mad_u32 v23, v2, s13, v23
	s_branch .LBB993_701
.LBB993_700:                            ;   in Loop: Header=BB993_701 Depth=1
	s_or_b32 exec_lo, exec_lo, s36
	s_or_b32 s36, vcc_lo, s7
	s_and_b32 s7, vcc_lo, s7
	s_and_b32 s36, s36, s35
	s_delay_alu instid0(SALU_CYCLE_1) | instskip(SKIP_1) | instid1(SALU_CYCLE_1)
	s_or_b32 s7, s7, s36
	s_and_b32 s36, exec_lo, s34
	s_or_b32 s30, s36, s30
	s_and_not1_b32 s35, s35, exec_lo
	s_and_b32 s7, s7, exec_lo
	s_and_not1_b32 s31, s31, exec_lo
	s_and_b32 s36, s33, exec_lo
	s_and_not1_b32 s29, s29, exec_lo
	s_or_b32 s35, s35, s7
	s_or_b32 s31, s31, s36
	;; [unrolled: 1-line block ×3, first 2 shown]
	s_and_not1_b32 exec_lo, exec_lo, s30
	s_cbranch_execz .LBB993_703
.LBB993_701:                            ; =>This Inner Loop Header: Depth=1
	global_load_u8 v32, v[0:1], off
	global_load_u8 v33, v[22:23], off
	s_or_b32 s33, s33, exec_lo
	s_or_b32 s34, s34, exec_lo
	s_wait_loadcnt 0x1
	v_cmp_eq_u16_e32 vcc_lo, 0, v32
	s_wait_loadcnt 0x0
	v_cmp_ne_u16_e64 s7, 0, v33
	s_xor_b32 s37, vcc_lo, s7
	s_delay_alu instid0(SALU_CYCLE_1)
	s_and_saveexec_b32 s36, s37
	s_cbranch_execz .LBB993_700
; %bb.702:                              ;   in Loop: Header=BB993_701 Depth=1
	s_add_nc_u64 s[8:9], s[8:9], -1
	v_add_nc_u64_e32 v[0:1], 1, v[0:1]
	s_cmp_eq_u64 s[8:9], 0
	v_add_nc_u64_e32 v[22:23], 1, v[22:23]
	s_cselect_b32 s37, -1, 0
	s_and_not1_b32 s34, s34, exec_lo
	s_and_b32 s37, s37, exec_lo
	s_and_not1_b32 s33, s33, exec_lo
	s_or_b32 s34, s34, s37
	s_branch .LBB993_700
.LBB993_703:
	s_or_b32 exec_lo, exec_lo, s30
	s_and_saveexec_b32 s7, s31
	s_delay_alu instid0(SALU_CYCLE_1)
	s_xor_b32 s7, exec_lo, s7
; %bb.704:
	v_dual_cndmask_b32 v1, v3, v5, s29 :: v_dual_cndmask_b32 v0, v2, v4, s29
	v_dual_cndmask_b32 v5, v5, v3, s29 :: v_dual_cndmask_b32 v4, v4, v2, s29
	s_delay_alu instid0(VALU_DEP_2)
	v_mov_b64_e32 v[2:3], v[0:1]
; %bb.705:
	s_or_b32 exec_lo, exec_lo, s7
	s_delay_alu instid0(SALU_CYCLE_1)
	s_or_b32 exec_lo, exec_lo, s28
	s_and_saveexec_b32 s28, s25
	s_cbranch_execz .LBB993_655
.LBB993_706:
	v_mad_nc_u64_u32 v[0:1], v10, s12, s[14:15]
	v_mad_nc_u64_u32 v[22:23], v16, s12, s[14:15]
	s_mov_b32 s30, 0
	s_mov_b64 s[8:9], s[12:13]
                                        ; implicit-def: $sgpr29
                                        ; implicit-def: $sgpr31
                                        ; implicit-def: $sgpr34
                                        ; implicit-def: $sgpr33
                                        ; implicit-def: $sgpr35
	s_delay_alu instid0(VALU_DEP_2) | instskip(NEXT) | instid1(VALU_DEP_2)
	v_mad_u32 v1, v11, s12, v1
	v_mad_u32 v23, v17, s12, v23
	s_delay_alu instid0(VALU_DEP_2) | instskip(NEXT) | instid1(VALU_DEP_2)
	v_mad_u32 v1, v10, s13, v1
	v_mad_u32 v23, v16, s13, v23
	s_branch .LBB993_708
.LBB993_707:                            ;   in Loop: Header=BB993_708 Depth=1
	s_or_b32 exec_lo, exec_lo, s36
	s_or_b32 s36, vcc_lo, s7
	s_and_b32 s7, vcc_lo, s7
	s_and_b32 s36, s36, s35
	s_delay_alu instid0(SALU_CYCLE_1) | instskip(SKIP_1) | instid1(SALU_CYCLE_1)
	s_or_b32 s7, s7, s36
	s_and_b32 s36, exec_lo, s34
	s_or_b32 s30, s36, s30
	s_and_not1_b32 s35, s35, exec_lo
	s_and_b32 s7, s7, exec_lo
	s_and_not1_b32 s31, s31, exec_lo
	s_and_b32 s36, s33, exec_lo
	s_and_not1_b32 s29, s29, exec_lo
	s_or_b32 s35, s35, s7
	s_or_b32 s31, s31, s36
	;; [unrolled: 1-line block ×3, first 2 shown]
	s_and_not1_b32 exec_lo, exec_lo, s30
	s_cbranch_execz .LBB993_710
.LBB993_708:                            ; =>This Inner Loop Header: Depth=1
	global_load_u8 v32, v[0:1], off
	global_load_u8 v33, v[22:23], off
	s_or_b32 s33, s33, exec_lo
	s_or_b32 s34, s34, exec_lo
	s_wait_loadcnt 0x1
	v_cmp_eq_u16_e32 vcc_lo, 0, v32
	s_wait_loadcnt 0x0
	v_cmp_ne_u16_e64 s7, 0, v33
	s_xor_b32 s37, vcc_lo, s7
	s_delay_alu instid0(SALU_CYCLE_1)
	s_and_saveexec_b32 s36, s37
	s_cbranch_execz .LBB993_707
; %bb.709:                              ;   in Loop: Header=BB993_708 Depth=1
	s_add_nc_u64 s[8:9], s[8:9], -1
	v_add_nc_u64_e32 v[0:1], 1, v[0:1]
	s_cmp_eq_u64 s[8:9], 0
	v_add_nc_u64_e32 v[22:23], 1, v[22:23]
	s_cselect_b32 s37, -1, 0
	s_and_not1_b32 s34, s34, exec_lo
	s_and_b32 s37, s37, exec_lo
	s_and_not1_b32 s33, s33, exec_lo
	s_or_b32 s34, s34, s37
	s_branch .LBB993_707
.LBB993_710:
	s_or_b32 exec_lo, exec_lo, s30
	s_and_saveexec_b32 s7, s31
	s_delay_alu instid0(SALU_CYCLE_1)
	s_xor_b32 s7, exec_lo, s7
; %bb.711:
	v_dual_cndmask_b32 v1, v17, v11, s29 :: v_dual_cndmask_b32 v0, v16, v10, s29
	v_dual_cndmask_b32 v11, v11, v17, s29 :: v_dual_cndmask_b32 v10, v10, v16, s29
	s_delay_alu instid0(VALU_DEP_2)
	v_mov_b64_e32 v[16:17], v[0:1]
; %bb.712:
	s_or_b32 exec_lo, exec_lo, s7
	s_delay_alu instid0(SALU_CYCLE_1)
	s_or_b32 exec_lo, exec_lo, s28
	s_and_saveexec_b32 s28, s26
	s_cbranch_execz .LBB993_656
.LBB993_713:
	v_mad_nc_u64_u32 v[0:1], v6, s12, s[14:15]
	v_mad_nc_u64_u32 v[22:23], v12, s12, s[14:15]
	s_mov_b32 s30, 0
	s_mov_b64 s[8:9], s[12:13]
                                        ; implicit-def: $sgpr29
                                        ; implicit-def: $sgpr31
                                        ; implicit-def: $sgpr34
                                        ; implicit-def: $sgpr33
                                        ; implicit-def: $sgpr35
	s_delay_alu instid0(VALU_DEP_2) | instskip(NEXT) | instid1(VALU_DEP_2)
	v_mad_u32 v1, v7, s12, v1
	v_mad_u32 v23, v13, s12, v23
	s_delay_alu instid0(VALU_DEP_2) | instskip(NEXT) | instid1(VALU_DEP_2)
	v_mad_u32 v1, v6, s13, v1
	v_mad_u32 v23, v12, s13, v23
	s_branch .LBB993_715
.LBB993_714:                            ;   in Loop: Header=BB993_715 Depth=1
	s_or_b32 exec_lo, exec_lo, s36
	s_or_b32 s36, vcc_lo, s7
	s_and_b32 s7, vcc_lo, s7
	s_and_b32 s36, s36, s35
	s_delay_alu instid0(SALU_CYCLE_1) | instskip(SKIP_1) | instid1(SALU_CYCLE_1)
	s_or_b32 s7, s7, s36
	s_and_b32 s36, exec_lo, s34
	s_or_b32 s30, s36, s30
	s_and_not1_b32 s35, s35, exec_lo
	s_and_b32 s7, s7, exec_lo
	s_and_not1_b32 s31, s31, exec_lo
	s_and_b32 s36, s33, exec_lo
	s_and_not1_b32 s29, s29, exec_lo
	s_or_b32 s35, s35, s7
	s_or_b32 s31, s31, s36
	;; [unrolled: 1-line block ×3, first 2 shown]
	s_and_not1_b32 exec_lo, exec_lo, s30
	s_cbranch_execz .LBB993_717
.LBB993_715:                            ; =>This Inner Loop Header: Depth=1
	global_load_u8 v32, v[0:1], off
	global_load_u8 v33, v[22:23], off
	s_or_b32 s33, s33, exec_lo
	s_or_b32 s34, s34, exec_lo
	s_wait_loadcnt 0x1
	v_cmp_eq_u16_e32 vcc_lo, 0, v32
	s_wait_loadcnt 0x0
	v_cmp_ne_u16_e64 s7, 0, v33
	s_xor_b32 s37, vcc_lo, s7
	s_delay_alu instid0(SALU_CYCLE_1)
	s_and_saveexec_b32 s36, s37
	s_cbranch_execz .LBB993_714
; %bb.716:                              ;   in Loop: Header=BB993_715 Depth=1
	s_add_nc_u64 s[8:9], s[8:9], -1
	v_add_nc_u64_e32 v[0:1], 1, v[0:1]
	s_cmp_eq_u64 s[8:9], 0
	v_add_nc_u64_e32 v[22:23], 1, v[22:23]
	s_cselect_b32 s37, -1, 0
	s_and_not1_b32 s34, s34, exec_lo
	s_and_b32 s37, s37, exec_lo
	s_and_not1_b32 s33, s33, exec_lo
	s_or_b32 s34, s34, s37
	s_branch .LBB993_714
.LBB993_717:
	s_or_b32 exec_lo, exec_lo, s30
	s_and_saveexec_b32 s7, s31
	s_delay_alu instid0(SALU_CYCLE_1)
	s_xor_b32 s7, exec_lo, s7
; %bb.718:
	v_dual_cndmask_b32 v1, v13, v7, s29 :: v_dual_cndmask_b32 v0, v12, v6, s29
	v_dual_cndmask_b32 v7, v7, v13, s29 :: v_dual_cndmask_b32 v6, v6, v12, s29
	s_delay_alu instid0(VALU_DEP_2)
	v_mov_b64_e32 v[12:13], v[0:1]
; %bb.719:
	s_or_b32 exec_lo, exec_lo, s7
	s_delay_alu instid0(SALU_CYCLE_1)
	s_or_b32 exec_lo, exec_lo, s28
	s_and_saveexec_b32 s28, s27
	s_cbranch_execz .LBB993_657
.LBB993_720:
	v_mad_nc_u64_u32 v[0:1], v2, s12, s[14:15]
	v_mad_nc_u64_u32 v[22:23], v8, s12, s[14:15]
	s_mov_b32 s30, 0
	s_mov_b64 s[8:9], s[12:13]
                                        ; implicit-def: $sgpr29
                                        ; implicit-def: $sgpr31
                                        ; implicit-def: $sgpr34
                                        ; implicit-def: $sgpr33
                                        ; implicit-def: $sgpr35
	s_delay_alu instid0(VALU_DEP_2) | instskip(NEXT) | instid1(VALU_DEP_2)
	v_mad_u32 v1, v3, s12, v1
	v_mad_u32 v23, v9, s12, v23
	s_delay_alu instid0(VALU_DEP_2) | instskip(NEXT) | instid1(VALU_DEP_2)
	v_mad_u32 v1, v2, s13, v1
	v_mad_u32 v23, v8, s13, v23
	s_branch .LBB993_722
.LBB993_721:                            ;   in Loop: Header=BB993_722 Depth=1
	s_or_b32 exec_lo, exec_lo, s36
	s_or_b32 s36, vcc_lo, s7
	s_and_b32 s7, vcc_lo, s7
	s_and_b32 s36, s36, s35
	s_delay_alu instid0(SALU_CYCLE_1) | instskip(SKIP_1) | instid1(SALU_CYCLE_1)
	s_or_b32 s7, s7, s36
	s_and_b32 s36, exec_lo, s34
	s_or_b32 s30, s36, s30
	s_and_not1_b32 s35, s35, exec_lo
	s_and_b32 s7, s7, exec_lo
	s_and_not1_b32 s31, s31, exec_lo
	s_and_b32 s36, s33, exec_lo
	s_and_not1_b32 s29, s29, exec_lo
	s_or_b32 s35, s35, s7
	s_or_b32 s31, s31, s36
	;; [unrolled: 1-line block ×3, first 2 shown]
	s_and_not1_b32 exec_lo, exec_lo, s30
	s_cbranch_execz .LBB993_724
.LBB993_722:                            ; =>This Inner Loop Header: Depth=1
	global_load_u8 v32, v[0:1], off
	global_load_u8 v33, v[22:23], off
	s_or_b32 s33, s33, exec_lo
	s_or_b32 s34, s34, exec_lo
	s_wait_loadcnt 0x1
	v_cmp_eq_u16_e32 vcc_lo, 0, v32
	s_wait_loadcnt 0x0
	v_cmp_ne_u16_e64 s7, 0, v33
	s_xor_b32 s37, vcc_lo, s7
	s_delay_alu instid0(SALU_CYCLE_1)
	s_and_saveexec_b32 s36, s37
	s_cbranch_execz .LBB993_721
; %bb.723:                              ;   in Loop: Header=BB993_722 Depth=1
	s_add_nc_u64 s[8:9], s[8:9], -1
	v_add_nc_u64_e32 v[0:1], 1, v[0:1]
	s_cmp_eq_u64 s[8:9], 0
	v_add_nc_u64_e32 v[22:23], 1, v[22:23]
	s_cselect_b32 s37, -1, 0
	s_and_not1_b32 s34, s34, exec_lo
	s_and_b32 s37, s37, exec_lo
	s_and_not1_b32 s33, s33, exec_lo
	s_or_b32 s34, s34, s37
	s_branch .LBB993_721
.LBB993_724:
	s_or_b32 exec_lo, exec_lo, s30
	s_and_saveexec_b32 s7, s31
	s_delay_alu instid0(SALU_CYCLE_1)
	s_xor_b32 s7, exec_lo, s7
; %bb.725:
	v_dual_cndmask_b32 v1, v9, v3, s29 :: v_dual_cndmask_b32 v0, v8, v2, s29
	v_dual_cndmask_b32 v3, v3, v9, s29 :: v_dual_cndmask_b32 v2, v2, v8, s29
	s_delay_alu instid0(VALU_DEP_2)
	v_mov_b64_e32 v[8:9], v[0:1]
; %bb.726:
	s_or_b32 exec_lo, exec_lo, s7
	s_delay_alu instid0(SALU_CYCLE_1)
	s_or_b32 exec_lo, exec_lo, s28
	s_and_saveexec_b32 s28, s22
	s_cbranch_execz .LBB993_658
.LBB993_727:
	v_mad_nc_u64_u32 v[0:1], v16, s12, s[14:15]
	v_mad_nc_u64_u32 v[22:23], v14, s12, s[14:15]
	s_mov_b32 s30, 0
	s_mov_b64 s[8:9], s[12:13]
                                        ; implicit-def: $sgpr29
                                        ; implicit-def: $sgpr31
                                        ; implicit-def: $sgpr34
                                        ; implicit-def: $sgpr33
                                        ; implicit-def: $sgpr35
	s_delay_alu instid0(VALU_DEP_2) | instskip(NEXT) | instid1(VALU_DEP_2)
	v_mad_u32 v1, v17, s12, v1
	v_mad_u32 v23, v15, s12, v23
	s_delay_alu instid0(VALU_DEP_2) | instskip(NEXT) | instid1(VALU_DEP_2)
	v_mad_u32 v1, v16, s13, v1
	v_mad_u32 v23, v14, s13, v23
	s_branch .LBB993_729
.LBB993_728:                            ;   in Loop: Header=BB993_729 Depth=1
	s_or_b32 exec_lo, exec_lo, s36
	s_or_b32 s36, vcc_lo, s7
	s_and_b32 s7, vcc_lo, s7
	s_and_b32 s36, s36, s35
	s_delay_alu instid0(SALU_CYCLE_1) | instskip(SKIP_1) | instid1(SALU_CYCLE_1)
	s_or_b32 s7, s7, s36
	s_and_b32 s36, exec_lo, s34
	s_or_b32 s30, s36, s30
	s_and_not1_b32 s35, s35, exec_lo
	s_and_b32 s7, s7, exec_lo
	s_and_not1_b32 s31, s31, exec_lo
	s_and_b32 s36, s33, exec_lo
	s_and_not1_b32 s29, s29, exec_lo
	s_or_b32 s35, s35, s7
	s_or_b32 s31, s31, s36
	;; [unrolled: 1-line block ×3, first 2 shown]
	s_and_not1_b32 exec_lo, exec_lo, s30
	s_cbranch_execz .LBB993_731
.LBB993_729:                            ; =>This Inner Loop Header: Depth=1
	global_load_u8 v32, v[0:1], off
	global_load_u8 v33, v[22:23], off
	s_or_b32 s33, s33, exec_lo
	s_or_b32 s34, s34, exec_lo
	s_wait_loadcnt 0x1
	v_cmp_eq_u16_e32 vcc_lo, 0, v32
	s_wait_loadcnt 0x0
	v_cmp_ne_u16_e64 s7, 0, v33
	s_xor_b32 s37, vcc_lo, s7
	s_delay_alu instid0(SALU_CYCLE_1)
	s_and_saveexec_b32 s36, s37
	s_cbranch_execz .LBB993_728
; %bb.730:                              ;   in Loop: Header=BB993_729 Depth=1
	s_add_nc_u64 s[8:9], s[8:9], -1
	v_add_nc_u64_e32 v[0:1], 1, v[0:1]
	s_cmp_eq_u64 s[8:9], 0
	v_add_nc_u64_e32 v[22:23], 1, v[22:23]
	s_cselect_b32 s37, -1, 0
	s_and_not1_b32 s34, s34, exec_lo
	s_and_b32 s37, s37, exec_lo
	s_and_not1_b32 s33, s33, exec_lo
	s_or_b32 s34, s34, s37
	s_branch .LBB993_728
.LBB993_731:
	s_or_b32 exec_lo, exec_lo, s30
	s_and_saveexec_b32 s7, s31
	s_delay_alu instid0(SALU_CYCLE_1)
	s_xor_b32 s7, exec_lo, s7
; %bb.732:
	v_dual_cndmask_b32 v1, v17, v15, s29 :: v_dual_cndmask_b32 v0, v16, v14, s29
	v_dual_cndmask_b32 v15, v15, v17, s29 :: v_dual_cndmask_b32 v14, v14, v16, s29
	s_delay_alu instid0(VALU_DEP_2)
	v_mov_b64_e32 v[16:17], v[0:1]
; %bb.733:
	s_or_b32 exec_lo, exec_lo, s7
	s_delay_alu instid0(SALU_CYCLE_1)
	s_or_b32 exec_lo, exec_lo, s28
	s_and_saveexec_b32 s28, s17
	s_cbranch_execz .LBB993_659
.LBB993_734:
	v_mad_nc_u64_u32 v[0:1], v12, s12, s[14:15]
	v_mad_nc_u64_u32 v[22:23], v10, s12, s[14:15]
	s_mov_b32 s30, 0
	s_mov_b64 s[8:9], s[12:13]
                                        ; implicit-def: $sgpr29
                                        ; implicit-def: $sgpr31
                                        ; implicit-def: $sgpr34
                                        ; implicit-def: $sgpr33
                                        ; implicit-def: $sgpr35
	s_delay_alu instid0(VALU_DEP_2) | instskip(NEXT) | instid1(VALU_DEP_2)
	v_mad_u32 v1, v13, s12, v1
	v_mad_u32 v23, v11, s12, v23
	s_delay_alu instid0(VALU_DEP_2) | instskip(NEXT) | instid1(VALU_DEP_2)
	v_mad_u32 v1, v12, s13, v1
	v_mad_u32 v23, v10, s13, v23
	s_branch .LBB993_736
.LBB993_735:                            ;   in Loop: Header=BB993_736 Depth=1
	s_or_b32 exec_lo, exec_lo, s36
	s_or_b32 s36, vcc_lo, s7
	s_and_b32 s7, vcc_lo, s7
	s_and_b32 s36, s36, s35
	s_delay_alu instid0(SALU_CYCLE_1) | instskip(SKIP_1) | instid1(SALU_CYCLE_1)
	s_or_b32 s7, s7, s36
	s_and_b32 s36, exec_lo, s34
	s_or_b32 s30, s36, s30
	s_and_not1_b32 s35, s35, exec_lo
	s_and_b32 s7, s7, exec_lo
	s_and_not1_b32 s31, s31, exec_lo
	s_and_b32 s36, s33, exec_lo
	s_and_not1_b32 s29, s29, exec_lo
	s_or_b32 s35, s35, s7
	s_or_b32 s31, s31, s36
	;; [unrolled: 1-line block ×3, first 2 shown]
	s_and_not1_b32 exec_lo, exec_lo, s30
	s_cbranch_execz .LBB993_738
.LBB993_736:                            ; =>This Inner Loop Header: Depth=1
	global_load_u8 v32, v[0:1], off
	global_load_u8 v33, v[22:23], off
	s_or_b32 s33, s33, exec_lo
	s_or_b32 s34, s34, exec_lo
	s_wait_loadcnt 0x1
	v_cmp_eq_u16_e32 vcc_lo, 0, v32
	s_wait_loadcnt 0x0
	v_cmp_ne_u16_e64 s7, 0, v33
	s_xor_b32 s37, vcc_lo, s7
	s_delay_alu instid0(SALU_CYCLE_1)
	s_and_saveexec_b32 s36, s37
	s_cbranch_execz .LBB993_735
; %bb.737:                              ;   in Loop: Header=BB993_736 Depth=1
	s_add_nc_u64 s[8:9], s[8:9], -1
	v_add_nc_u64_e32 v[0:1], 1, v[0:1]
	s_cmp_eq_u64 s[8:9], 0
	v_add_nc_u64_e32 v[22:23], 1, v[22:23]
	s_cselect_b32 s37, -1, 0
	s_and_not1_b32 s34, s34, exec_lo
	s_and_b32 s37, s37, exec_lo
	s_and_not1_b32 s33, s33, exec_lo
	s_or_b32 s34, s34, s37
	s_branch .LBB993_735
.LBB993_738:
	s_or_b32 exec_lo, exec_lo, s30
	s_and_saveexec_b32 s7, s31
	s_delay_alu instid0(SALU_CYCLE_1)
	s_xor_b32 s7, exec_lo, s7
; %bb.739:
	v_dual_cndmask_b32 v1, v11, v13, s29 :: v_dual_cndmask_b32 v0, v10, v12, s29
	v_dual_cndmask_b32 v13, v13, v11, s29 :: v_dual_cndmask_b32 v12, v12, v10, s29
	s_delay_alu instid0(VALU_DEP_2)
	v_mov_b64_e32 v[10:11], v[0:1]
; %bb.740:
	s_or_b32 exec_lo, exec_lo, s7
	s_delay_alu instid0(SALU_CYCLE_1)
	s_or_b32 exec_lo, exec_lo, s28
	s_and_saveexec_b32 s28, s23
	s_cbranch_execz .LBB993_660
.LBB993_741:
	v_mad_nc_u64_u32 v[0:1], v8, s12, s[14:15]
	v_mad_nc_u64_u32 v[22:23], v6, s12, s[14:15]
	s_mov_b32 s30, 0
	s_mov_b64 s[8:9], s[12:13]
                                        ; implicit-def: $sgpr29
                                        ; implicit-def: $sgpr31
                                        ; implicit-def: $sgpr34
                                        ; implicit-def: $sgpr33
                                        ; implicit-def: $sgpr35
	s_delay_alu instid0(VALU_DEP_2) | instskip(NEXT) | instid1(VALU_DEP_2)
	v_mad_u32 v1, v9, s12, v1
	v_mad_u32 v23, v7, s12, v23
	s_delay_alu instid0(VALU_DEP_2) | instskip(NEXT) | instid1(VALU_DEP_2)
	v_mad_u32 v1, v8, s13, v1
	v_mad_u32 v23, v6, s13, v23
	s_branch .LBB993_743
.LBB993_742:                            ;   in Loop: Header=BB993_743 Depth=1
	s_or_b32 exec_lo, exec_lo, s36
	s_or_b32 s36, vcc_lo, s7
	s_and_b32 s7, vcc_lo, s7
	s_and_b32 s36, s36, s35
	s_delay_alu instid0(SALU_CYCLE_1) | instskip(SKIP_1) | instid1(SALU_CYCLE_1)
	s_or_b32 s7, s7, s36
	s_and_b32 s36, exec_lo, s34
	s_or_b32 s30, s36, s30
	s_and_not1_b32 s35, s35, exec_lo
	s_and_b32 s7, s7, exec_lo
	s_and_not1_b32 s31, s31, exec_lo
	s_and_b32 s36, s33, exec_lo
	s_and_not1_b32 s29, s29, exec_lo
	s_or_b32 s35, s35, s7
	s_or_b32 s31, s31, s36
	;; [unrolled: 1-line block ×3, first 2 shown]
	s_and_not1_b32 exec_lo, exec_lo, s30
	s_cbranch_execz .LBB993_745
.LBB993_743:                            ; =>This Inner Loop Header: Depth=1
	global_load_u8 v32, v[0:1], off
	global_load_u8 v33, v[22:23], off
	s_or_b32 s33, s33, exec_lo
	s_or_b32 s34, s34, exec_lo
	s_wait_loadcnt 0x1
	v_cmp_eq_u16_e32 vcc_lo, 0, v32
	s_wait_loadcnt 0x0
	v_cmp_ne_u16_e64 s7, 0, v33
	s_xor_b32 s37, vcc_lo, s7
	s_delay_alu instid0(SALU_CYCLE_1)
	s_and_saveexec_b32 s36, s37
	s_cbranch_execz .LBB993_742
; %bb.744:                              ;   in Loop: Header=BB993_743 Depth=1
	s_add_nc_u64 s[8:9], s[8:9], -1
	v_add_nc_u64_e32 v[0:1], 1, v[0:1]
	s_cmp_eq_u64 s[8:9], 0
	v_add_nc_u64_e32 v[22:23], 1, v[22:23]
	s_cselect_b32 s37, -1, 0
	s_and_not1_b32 s34, s34, exec_lo
	s_and_b32 s37, s37, exec_lo
	s_and_not1_b32 s33, s33, exec_lo
	s_or_b32 s34, s34, s37
	s_branch .LBB993_742
.LBB993_745:
	s_or_b32 exec_lo, exec_lo, s30
	s_and_saveexec_b32 s7, s31
	s_delay_alu instid0(SALU_CYCLE_1)
	s_xor_b32 s7, exec_lo, s7
; %bb.746:
	v_dual_cndmask_b32 v1, v7, v9, s29 :: v_dual_cndmask_b32 v0, v6, v8, s29
	v_dual_cndmask_b32 v9, v9, v7, s29 :: v_dual_cndmask_b32 v8, v8, v6, s29
	s_delay_alu instid0(VALU_DEP_2)
	v_mov_b64_e32 v[6:7], v[0:1]
; %bb.747:
	s_or_b32 exec_lo, exec_lo, s7
	s_delay_alu instid0(SALU_CYCLE_1)
	s_or_b32 exec_lo, exec_lo, s28
	s_and_saveexec_b32 s28, s24
	s_cbranch_execz .LBB993_661
.LBB993_748:
	v_mad_nc_u64_u32 v[0:1], v4, s12, s[14:15]
	v_mad_nc_u64_u32 v[22:23], v2, s12, s[14:15]
	s_mov_b32 s30, 0
	s_mov_b64 s[8:9], s[12:13]
                                        ; implicit-def: $sgpr29
                                        ; implicit-def: $sgpr31
                                        ; implicit-def: $sgpr34
                                        ; implicit-def: $sgpr33
                                        ; implicit-def: $sgpr35
	s_delay_alu instid0(VALU_DEP_2) | instskip(NEXT) | instid1(VALU_DEP_2)
	v_mad_u32 v1, v5, s12, v1
	v_mad_u32 v23, v3, s12, v23
	s_delay_alu instid0(VALU_DEP_2) | instskip(NEXT) | instid1(VALU_DEP_2)
	v_mad_u32 v1, v4, s13, v1
	v_mad_u32 v23, v2, s13, v23
	s_branch .LBB993_750
.LBB993_749:                            ;   in Loop: Header=BB993_750 Depth=1
	s_or_b32 exec_lo, exec_lo, s36
	s_or_b32 s36, vcc_lo, s7
	s_and_b32 s7, vcc_lo, s7
	s_and_b32 s36, s36, s35
	s_delay_alu instid0(SALU_CYCLE_1) | instskip(SKIP_1) | instid1(SALU_CYCLE_1)
	s_or_b32 s7, s7, s36
	s_and_b32 s36, exec_lo, s34
	s_or_b32 s30, s36, s30
	s_and_not1_b32 s35, s35, exec_lo
	s_and_b32 s7, s7, exec_lo
	s_and_not1_b32 s31, s31, exec_lo
	s_and_b32 s36, s33, exec_lo
	s_and_not1_b32 s29, s29, exec_lo
	s_or_b32 s35, s35, s7
	s_or_b32 s31, s31, s36
	;; [unrolled: 1-line block ×3, first 2 shown]
	s_and_not1_b32 exec_lo, exec_lo, s30
	s_cbranch_execz .LBB993_752
.LBB993_750:                            ; =>This Inner Loop Header: Depth=1
	global_load_u8 v32, v[0:1], off
	global_load_u8 v33, v[22:23], off
	s_or_b32 s33, s33, exec_lo
	s_or_b32 s34, s34, exec_lo
	s_wait_loadcnt 0x1
	v_cmp_eq_u16_e32 vcc_lo, 0, v32
	s_wait_loadcnt 0x0
	v_cmp_ne_u16_e64 s7, 0, v33
	s_xor_b32 s37, vcc_lo, s7
	s_delay_alu instid0(SALU_CYCLE_1)
	s_and_saveexec_b32 s36, s37
	s_cbranch_execz .LBB993_749
; %bb.751:                              ;   in Loop: Header=BB993_750 Depth=1
	s_add_nc_u64 s[8:9], s[8:9], -1
	v_add_nc_u64_e32 v[0:1], 1, v[0:1]
	s_cmp_eq_u64 s[8:9], 0
	v_add_nc_u64_e32 v[22:23], 1, v[22:23]
	s_cselect_b32 s37, -1, 0
	s_and_not1_b32 s34, s34, exec_lo
	s_and_b32 s37, s37, exec_lo
	s_and_not1_b32 s33, s33, exec_lo
	s_or_b32 s34, s34, s37
	s_branch .LBB993_749
.LBB993_752:
	s_or_b32 exec_lo, exec_lo, s30
	s_and_saveexec_b32 s7, s31
	s_delay_alu instid0(SALU_CYCLE_1)
	s_xor_b32 s7, exec_lo, s7
; %bb.753:
	v_dual_cndmask_b32 v1, v3, v5, s29 :: v_dual_cndmask_b32 v0, v2, v4, s29
	v_dual_cndmask_b32 v5, v5, v3, s29 :: v_dual_cndmask_b32 v4, v4, v2, s29
	s_delay_alu instid0(VALU_DEP_2)
	v_mov_b64_e32 v[2:3], v[0:1]
; %bb.754:
	s_or_b32 exec_lo, exec_lo, s7
	s_delay_alu instid0(SALU_CYCLE_1)
	s_or_b32 exec_lo, exec_lo, s28
	s_and_saveexec_b32 s28, s25
	s_cbranch_execz .LBB993_662
.LBB993_755:
	v_mad_nc_u64_u32 v[0:1], v10, s12, s[14:15]
	v_mad_nc_u64_u32 v[22:23], v16, s12, s[14:15]
	s_mov_b32 s30, 0
	s_mov_b64 s[8:9], s[12:13]
                                        ; implicit-def: $sgpr29
                                        ; implicit-def: $sgpr31
                                        ; implicit-def: $sgpr34
                                        ; implicit-def: $sgpr33
                                        ; implicit-def: $sgpr35
	s_delay_alu instid0(VALU_DEP_2) | instskip(NEXT) | instid1(VALU_DEP_2)
	v_mad_u32 v1, v11, s12, v1
	v_mad_u32 v23, v17, s12, v23
	s_delay_alu instid0(VALU_DEP_2) | instskip(NEXT) | instid1(VALU_DEP_2)
	v_mad_u32 v1, v10, s13, v1
	v_mad_u32 v23, v16, s13, v23
	s_branch .LBB993_757
.LBB993_756:                            ;   in Loop: Header=BB993_757 Depth=1
	s_or_b32 exec_lo, exec_lo, s36
	s_or_b32 s36, vcc_lo, s7
	s_and_b32 s7, vcc_lo, s7
	s_and_b32 s36, s36, s35
	s_delay_alu instid0(SALU_CYCLE_1) | instskip(SKIP_1) | instid1(SALU_CYCLE_1)
	s_or_b32 s7, s7, s36
	s_and_b32 s36, exec_lo, s34
	s_or_b32 s30, s36, s30
	s_and_not1_b32 s35, s35, exec_lo
	s_and_b32 s7, s7, exec_lo
	s_and_not1_b32 s31, s31, exec_lo
	s_and_b32 s36, s33, exec_lo
	s_and_not1_b32 s29, s29, exec_lo
	s_or_b32 s35, s35, s7
	s_or_b32 s31, s31, s36
	;; [unrolled: 1-line block ×3, first 2 shown]
	s_and_not1_b32 exec_lo, exec_lo, s30
	s_cbranch_execz .LBB993_759
.LBB993_757:                            ; =>This Inner Loop Header: Depth=1
	global_load_u8 v32, v[0:1], off
	global_load_u8 v33, v[22:23], off
	s_or_b32 s33, s33, exec_lo
	s_or_b32 s34, s34, exec_lo
	s_wait_loadcnt 0x1
	v_cmp_eq_u16_e32 vcc_lo, 0, v32
	s_wait_loadcnt 0x0
	v_cmp_ne_u16_e64 s7, 0, v33
	s_xor_b32 s37, vcc_lo, s7
	s_delay_alu instid0(SALU_CYCLE_1)
	s_and_saveexec_b32 s36, s37
	s_cbranch_execz .LBB993_756
; %bb.758:                              ;   in Loop: Header=BB993_757 Depth=1
	s_add_nc_u64 s[8:9], s[8:9], -1
	v_add_nc_u64_e32 v[0:1], 1, v[0:1]
	s_cmp_eq_u64 s[8:9], 0
	v_add_nc_u64_e32 v[22:23], 1, v[22:23]
	s_cselect_b32 s37, -1, 0
	s_and_not1_b32 s34, s34, exec_lo
	s_and_b32 s37, s37, exec_lo
	s_and_not1_b32 s33, s33, exec_lo
	s_or_b32 s34, s34, s37
	s_branch .LBB993_756
.LBB993_759:
	s_or_b32 exec_lo, exec_lo, s30
	s_and_saveexec_b32 s7, s31
	s_delay_alu instid0(SALU_CYCLE_1)
	s_xor_b32 s7, exec_lo, s7
; %bb.760:
	v_dual_cndmask_b32 v1, v17, v11, s29 :: v_dual_cndmask_b32 v0, v16, v10, s29
	v_dual_cndmask_b32 v11, v11, v17, s29 :: v_dual_cndmask_b32 v10, v10, v16, s29
	s_delay_alu instid0(VALU_DEP_2)
	v_mov_b64_e32 v[16:17], v[0:1]
; %bb.761:
	s_or_b32 exec_lo, exec_lo, s7
	s_delay_alu instid0(SALU_CYCLE_1)
	s_or_b32 exec_lo, exec_lo, s28
	s_and_saveexec_b32 s28, s26
	s_cbranch_execz .LBB993_663
.LBB993_762:
	v_mad_nc_u64_u32 v[0:1], v6, s12, s[14:15]
	v_mad_nc_u64_u32 v[22:23], v12, s12, s[14:15]
	s_mov_b32 s30, 0
	s_mov_b64 s[8:9], s[12:13]
                                        ; implicit-def: $sgpr29
                                        ; implicit-def: $sgpr31
                                        ; implicit-def: $sgpr34
                                        ; implicit-def: $sgpr33
                                        ; implicit-def: $sgpr35
	s_delay_alu instid0(VALU_DEP_2) | instskip(NEXT) | instid1(VALU_DEP_2)
	v_mad_u32 v1, v7, s12, v1
	v_mad_u32 v23, v13, s12, v23
	s_delay_alu instid0(VALU_DEP_2) | instskip(NEXT) | instid1(VALU_DEP_2)
	v_mad_u32 v1, v6, s13, v1
	v_mad_u32 v23, v12, s13, v23
	s_branch .LBB993_764
.LBB993_763:                            ;   in Loop: Header=BB993_764 Depth=1
	s_or_b32 exec_lo, exec_lo, s36
	s_or_b32 s36, vcc_lo, s7
	s_and_b32 s7, vcc_lo, s7
	s_and_b32 s36, s36, s35
	s_delay_alu instid0(SALU_CYCLE_1) | instskip(SKIP_1) | instid1(SALU_CYCLE_1)
	s_or_b32 s7, s7, s36
	s_and_b32 s36, exec_lo, s34
	s_or_b32 s30, s36, s30
	s_and_not1_b32 s35, s35, exec_lo
	s_and_b32 s7, s7, exec_lo
	s_and_not1_b32 s31, s31, exec_lo
	s_and_b32 s36, s33, exec_lo
	s_and_not1_b32 s29, s29, exec_lo
	s_or_b32 s35, s35, s7
	s_or_b32 s31, s31, s36
	s_or_b32 s29, s29, s7
	s_and_not1_b32 exec_lo, exec_lo, s30
	s_cbranch_execz .LBB993_766
.LBB993_764:                            ; =>This Inner Loop Header: Depth=1
	global_load_u8 v32, v[0:1], off
	global_load_u8 v33, v[22:23], off
	s_or_b32 s33, s33, exec_lo
	s_or_b32 s34, s34, exec_lo
	s_wait_loadcnt 0x1
	v_cmp_eq_u16_e32 vcc_lo, 0, v32
	s_wait_loadcnt 0x0
	v_cmp_ne_u16_e64 s7, 0, v33
	s_xor_b32 s37, vcc_lo, s7
	s_delay_alu instid0(SALU_CYCLE_1)
	s_and_saveexec_b32 s36, s37
	s_cbranch_execz .LBB993_763
; %bb.765:                              ;   in Loop: Header=BB993_764 Depth=1
	s_add_nc_u64 s[8:9], s[8:9], -1
	v_add_nc_u64_e32 v[0:1], 1, v[0:1]
	s_cmp_eq_u64 s[8:9], 0
	v_add_nc_u64_e32 v[22:23], 1, v[22:23]
	s_cselect_b32 s37, -1, 0
	s_and_not1_b32 s34, s34, exec_lo
	s_and_b32 s37, s37, exec_lo
	s_and_not1_b32 s33, s33, exec_lo
	s_or_b32 s34, s34, s37
	s_branch .LBB993_763
.LBB993_766:
	s_or_b32 exec_lo, exec_lo, s30
	s_and_saveexec_b32 s7, s31
	s_delay_alu instid0(SALU_CYCLE_1)
	s_xor_b32 s7, exec_lo, s7
; %bb.767:
	v_dual_cndmask_b32 v1, v13, v7, s29 :: v_dual_cndmask_b32 v0, v12, v6, s29
	v_dual_cndmask_b32 v7, v7, v13, s29 :: v_dual_cndmask_b32 v6, v6, v12, s29
	s_delay_alu instid0(VALU_DEP_2)
	v_mov_b64_e32 v[12:13], v[0:1]
; %bb.768:
	s_or_b32 exec_lo, exec_lo, s7
	s_delay_alu instid0(SALU_CYCLE_1)
	s_or_b32 exec_lo, exec_lo, s28
	s_and_saveexec_b32 s28, s27
	s_cbranch_execz .LBB993_664
.LBB993_769:
	v_mad_nc_u64_u32 v[0:1], v2, s12, s[14:15]
	v_mad_nc_u64_u32 v[22:23], v8, s12, s[14:15]
	s_mov_b32 s30, 0
	s_mov_b64 s[8:9], s[12:13]
                                        ; implicit-def: $sgpr29
                                        ; implicit-def: $sgpr31
                                        ; implicit-def: $sgpr34
                                        ; implicit-def: $sgpr33
                                        ; implicit-def: $sgpr35
	s_delay_alu instid0(VALU_DEP_2) | instskip(NEXT) | instid1(VALU_DEP_2)
	v_mad_u32 v1, v3, s12, v1
	v_mad_u32 v23, v9, s12, v23
	s_delay_alu instid0(VALU_DEP_2) | instskip(NEXT) | instid1(VALU_DEP_2)
	v_mad_u32 v1, v2, s13, v1
	v_mad_u32 v23, v8, s13, v23
	s_branch .LBB993_771
.LBB993_770:                            ;   in Loop: Header=BB993_771 Depth=1
	s_or_b32 exec_lo, exec_lo, s36
	s_or_b32 s36, vcc_lo, s7
	s_and_b32 s7, vcc_lo, s7
	s_and_b32 s36, s36, s35
	s_delay_alu instid0(SALU_CYCLE_1) | instskip(SKIP_1) | instid1(SALU_CYCLE_1)
	s_or_b32 s7, s7, s36
	s_and_b32 s36, exec_lo, s34
	s_or_b32 s30, s36, s30
	s_and_not1_b32 s35, s35, exec_lo
	s_and_b32 s7, s7, exec_lo
	s_and_not1_b32 s31, s31, exec_lo
	s_and_b32 s36, s33, exec_lo
	s_and_not1_b32 s29, s29, exec_lo
	s_or_b32 s35, s35, s7
	s_or_b32 s31, s31, s36
	;; [unrolled: 1-line block ×3, first 2 shown]
	s_and_not1_b32 exec_lo, exec_lo, s30
	s_cbranch_execz .LBB993_773
.LBB993_771:                            ; =>This Inner Loop Header: Depth=1
	global_load_u8 v32, v[0:1], off
	global_load_u8 v33, v[22:23], off
	s_or_b32 s33, s33, exec_lo
	s_or_b32 s34, s34, exec_lo
	s_wait_loadcnt 0x1
	v_cmp_eq_u16_e32 vcc_lo, 0, v32
	s_wait_loadcnt 0x0
	v_cmp_ne_u16_e64 s7, 0, v33
	s_xor_b32 s37, vcc_lo, s7
	s_delay_alu instid0(SALU_CYCLE_1)
	s_and_saveexec_b32 s36, s37
	s_cbranch_execz .LBB993_770
; %bb.772:                              ;   in Loop: Header=BB993_771 Depth=1
	s_add_nc_u64 s[8:9], s[8:9], -1
	v_add_nc_u64_e32 v[0:1], 1, v[0:1]
	s_cmp_eq_u64 s[8:9], 0
	v_add_nc_u64_e32 v[22:23], 1, v[22:23]
	s_cselect_b32 s37, -1, 0
	s_and_not1_b32 s34, s34, exec_lo
	s_and_b32 s37, s37, exec_lo
	s_and_not1_b32 s33, s33, exec_lo
	s_or_b32 s34, s34, s37
	s_branch .LBB993_770
.LBB993_773:
	s_or_b32 exec_lo, exec_lo, s30
	s_and_saveexec_b32 s7, s31
	s_delay_alu instid0(SALU_CYCLE_1)
	s_xor_b32 s7, exec_lo, s7
; %bb.774:
	v_dual_cndmask_b32 v1, v9, v3, s29 :: v_dual_cndmask_b32 v0, v8, v2, s29
	v_dual_cndmask_b32 v3, v3, v9, s29 :: v_dual_cndmask_b32 v2, v2, v8, s29
	s_delay_alu instid0(VALU_DEP_2)
	v_mov_b64_e32 v[8:9], v[0:1]
; %bb.775:
	s_or_b32 exec_lo, exec_lo, s7
	s_delay_alu instid0(SALU_CYCLE_1)
	s_or_b32 exec_lo, exec_lo, s28
	s_and_saveexec_b32 s28, s22
	s_cbranch_execz .LBB993_665
.LBB993_776:
	v_mad_nc_u64_u32 v[0:1], v16, s12, s[14:15]
	v_mad_nc_u64_u32 v[22:23], v14, s12, s[14:15]
	s_mov_b32 s29, 0
	s_mov_b64 s[8:9], s[12:13]
                                        ; implicit-def: $sgpr22
                                        ; implicit-def: $sgpr30
                                        ; implicit-def: $sgpr33
                                        ; implicit-def: $sgpr31
                                        ; implicit-def: $sgpr34
	s_delay_alu instid0(VALU_DEP_2) | instskip(NEXT) | instid1(VALU_DEP_2)
	v_mad_u32 v1, v17, s12, v1
	v_mad_u32 v23, v15, s12, v23
	s_delay_alu instid0(VALU_DEP_2) | instskip(NEXT) | instid1(VALU_DEP_2)
	v_mad_u32 v1, v16, s13, v1
	v_mad_u32 v23, v14, s13, v23
	s_branch .LBB993_778
.LBB993_777:                            ;   in Loop: Header=BB993_778 Depth=1
	s_or_b32 exec_lo, exec_lo, s35
	s_or_b32 s35, vcc_lo, s7
	s_and_b32 s7, vcc_lo, s7
	s_and_b32 s35, s35, s34
	s_delay_alu instid0(SALU_CYCLE_1) | instskip(SKIP_1) | instid1(SALU_CYCLE_1)
	s_or_b32 s7, s7, s35
	s_and_b32 s35, exec_lo, s33
	s_or_b32 s29, s35, s29
	s_and_not1_b32 s34, s34, exec_lo
	s_and_b32 s7, s7, exec_lo
	s_and_not1_b32 s30, s30, exec_lo
	s_and_b32 s35, s31, exec_lo
	s_and_not1_b32 s22, s22, exec_lo
	s_or_b32 s34, s34, s7
	s_or_b32 s30, s30, s35
	;; [unrolled: 1-line block ×3, first 2 shown]
	s_and_not1_b32 exec_lo, exec_lo, s29
	s_cbranch_execz .LBB993_780
.LBB993_778:                            ; =>This Inner Loop Header: Depth=1
	global_load_u8 v32, v[0:1], off
	global_load_u8 v33, v[22:23], off
	s_or_b32 s31, s31, exec_lo
	s_or_b32 s33, s33, exec_lo
	s_wait_loadcnt 0x1
	v_cmp_eq_u16_e32 vcc_lo, 0, v32
	s_wait_loadcnt 0x0
	v_cmp_ne_u16_e64 s7, 0, v33
	s_xor_b32 s36, vcc_lo, s7
	s_delay_alu instid0(SALU_CYCLE_1)
	s_and_saveexec_b32 s35, s36
	s_cbranch_execz .LBB993_777
; %bb.779:                              ;   in Loop: Header=BB993_778 Depth=1
	s_add_nc_u64 s[8:9], s[8:9], -1
	v_add_nc_u64_e32 v[0:1], 1, v[0:1]
	s_cmp_eq_u64 s[8:9], 0
	v_add_nc_u64_e32 v[22:23], 1, v[22:23]
	s_cselect_b32 s36, -1, 0
	s_and_not1_b32 s33, s33, exec_lo
	s_and_b32 s36, s36, exec_lo
	s_and_not1_b32 s31, s31, exec_lo
	s_or_b32 s33, s33, s36
	s_branch .LBB993_777
.LBB993_780:
	s_or_b32 exec_lo, exec_lo, s29
	s_and_saveexec_b32 s7, s30
	s_delay_alu instid0(SALU_CYCLE_1)
	s_xor_b32 s7, exec_lo, s7
; %bb.781:
	v_dual_cndmask_b32 v1, v17, v15, s22 :: v_dual_cndmask_b32 v0, v16, v14, s22
	v_dual_cndmask_b32 v15, v15, v17, s22 :: v_dual_cndmask_b32 v14, v14, v16, s22
	s_delay_alu instid0(VALU_DEP_2)
	v_mov_b64_e32 v[16:17], v[0:1]
; %bb.782:
	s_or_b32 exec_lo, exec_lo, s7
	s_delay_alu instid0(SALU_CYCLE_1)
	s_or_b32 exec_lo, exec_lo, s28
	s_and_saveexec_b32 s22, s17
	s_cbranch_execz .LBB993_666
.LBB993_783:
	v_mad_nc_u64_u32 v[0:1], v12, s12, s[14:15]
	v_mad_nc_u64_u32 v[22:23], v10, s12, s[14:15]
	s_mov_b32 s28, 0
	s_mov_b64 s[8:9], s[12:13]
                                        ; implicit-def: $sgpr17
                                        ; implicit-def: $sgpr29
                                        ; implicit-def: $sgpr31
                                        ; implicit-def: $sgpr30
                                        ; implicit-def: $sgpr33
	s_delay_alu instid0(VALU_DEP_2) | instskip(NEXT) | instid1(VALU_DEP_2)
	v_mad_u32 v1, v13, s12, v1
	v_mad_u32 v23, v11, s12, v23
	s_delay_alu instid0(VALU_DEP_2) | instskip(NEXT) | instid1(VALU_DEP_2)
	v_mad_u32 v1, v12, s13, v1
	v_mad_u32 v23, v10, s13, v23
	s_branch .LBB993_785
.LBB993_784:                            ;   in Loop: Header=BB993_785 Depth=1
	s_or_b32 exec_lo, exec_lo, s34
	s_or_b32 s34, vcc_lo, s7
	s_and_b32 s7, vcc_lo, s7
	s_and_b32 s34, s34, s33
	s_delay_alu instid0(SALU_CYCLE_1) | instskip(SKIP_1) | instid1(SALU_CYCLE_1)
	s_or_b32 s7, s7, s34
	s_and_b32 s34, exec_lo, s31
	s_or_b32 s28, s34, s28
	s_and_not1_b32 s33, s33, exec_lo
	s_and_b32 s7, s7, exec_lo
	s_and_not1_b32 s29, s29, exec_lo
	s_and_b32 s34, s30, exec_lo
	s_and_not1_b32 s17, s17, exec_lo
	s_or_b32 s33, s33, s7
	s_or_b32 s29, s29, s34
	;; [unrolled: 1-line block ×3, first 2 shown]
	s_and_not1_b32 exec_lo, exec_lo, s28
	s_cbranch_execz .LBB993_787
.LBB993_785:                            ; =>This Inner Loop Header: Depth=1
	global_load_u8 v32, v[0:1], off
	global_load_u8 v33, v[22:23], off
	s_or_b32 s30, s30, exec_lo
	s_or_b32 s31, s31, exec_lo
	s_wait_loadcnt 0x1
	v_cmp_eq_u16_e32 vcc_lo, 0, v32
	s_wait_loadcnt 0x0
	v_cmp_ne_u16_e64 s7, 0, v33
	s_xor_b32 s35, vcc_lo, s7
	s_delay_alu instid0(SALU_CYCLE_1)
	s_and_saveexec_b32 s34, s35
	s_cbranch_execz .LBB993_784
; %bb.786:                              ;   in Loop: Header=BB993_785 Depth=1
	s_add_nc_u64 s[8:9], s[8:9], -1
	v_add_nc_u64_e32 v[0:1], 1, v[0:1]
	s_cmp_eq_u64 s[8:9], 0
	v_add_nc_u64_e32 v[22:23], 1, v[22:23]
	s_cselect_b32 s35, -1, 0
	s_and_not1_b32 s31, s31, exec_lo
	s_and_b32 s35, s35, exec_lo
	s_and_not1_b32 s30, s30, exec_lo
	s_or_b32 s31, s31, s35
	s_branch .LBB993_784
.LBB993_787:
	s_or_b32 exec_lo, exec_lo, s28
	s_and_saveexec_b32 s7, s29
	s_delay_alu instid0(SALU_CYCLE_1)
	s_xor_b32 s7, exec_lo, s7
; %bb.788:
	v_dual_cndmask_b32 v1, v11, v13, s17 :: v_dual_cndmask_b32 v0, v10, v12, s17
	v_dual_cndmask_b32 v13, v13, v11, s17 :: v_dual_cndmask_b32 v12, v12, v10, s17
	s_delay_alu instid0(VALU_DEP_2)
	v_mov_b64_e32 v[10:11], v[0:1]
; %bb.789:
	s_or_b32 exec_lo, exec_lo, s7
	s_delay_alu instid0(SALU_CYCLE_1)
	s_or_b32 exec_lo, exec_lo, s22
	s_and_saveexec_b32 s17, s23
	s_cbranch_execz .LBB993_667
.LBB993_790:
	v_mad_nc_u64_u32 v[0:1], v8, s12, s[14:15]
	v_mad_nc_u64_u32 v[22:23], v6, s12, s[14:15]
	s_mov_b32 s23, 0
	s_mov_b64 s[8:9], s[12:13]
                                        ; implicit-def: $sgpr22
                                        ; implicit-def: $sgpr28
                                        ; implicit-def: $sgpr30
                                        ; implicit-def: $sgpr29
                                        ; implicit-def: $sgpr31
	s_delay_alu instid0(VALU_DEP_2) | instskip(NEXT) | instid1(VALU_DEP_2)
	v_mad_u32 v1, v9, s12, v1
	v_mad_u32 v23, v7, s12, v23
	s_delay_alu instid0(VALU_DEP_2) | instskip(NEXT) | instid1(VALU_DEP_2)
	v_mad_u32 v1, v8, s13, v1
	v_mad_u32 v23, v6, s13, v23
	s_branch .LBB993_792
.LBB993_791:                            ;   in Loop: Header=BB993_792 Depth=1
	s_or_b32 exec_lo, exec_lo, s33
	s_or_b32 s33, vcc_lo, s7
	s_and_b32 s7, vcc_lo, s7
	s_and_b32 s33, s33, s31
	s_delay_alu instid0(SALU_CYCLE_1) | instskip(SKIP_1) | instid1(SALU_CYCLE_1)
	s_or_b32 s7, s7, s33
	s_and_b32 s33, exec_lo, s30
	s_or_b32 s23, s33, s23
	s_and_not1_b32 s31, s31, exec_lo
	s_and_b32 s7, s7, exec_lo
	s_and_not1_b32 s28, s28, exec_lo
	s_and_b32 s33, s29, exec_lo
	s_and_not1_b32 s22, s22, exec_lo
	s_or_b32 s31, s31, s7
	s_or_b32 s28, s28, s33
	;; [unrolled: 1-line block ×3, first 2 shown]
	s_and_not1_b32 exec_lo, exec_lo, s23
	s_cbranch_execz .LBB993_794
.LBB993_792:                            ; =>This Inner Loop Header: Depth=1
	global_load_u8 v32, v[0:1], off
	global_load_u8 v33, v[22:23], off
	s_or_b32 s29, s29, exec_lo
	s_or_b32 s30, s30, exec_lo
	s_wait_loadcnt 0x1
	v_cmp_eq_u16_e32 vcc_lo, 0, v32
	s_wait_loadcnt 0x0
	v_cmp_ne_u16_e64 s7, 0, v33
	s_xor_b32 s34, vcc_lo, s7
	s_delay_alu instid0(SALU_CYCLE_1)
	s_and_saveexec_b32 s33, s34
	s_cbranch_execz .LBB993_791
; %bb.793:                              ;   in Loop: Header=BB993_792 Depth=1
	s_add_nc_u64 s[8:9], s[8:9], -1
	v_add_nc_u64_e32 v[0:1], 1, v[0:1]
	s_cmp_eq_u64 s[8:9], 0
	v_add_nc_u64_e32 v[22:23], 1, v[22:23]
	s_cselect_b32 s34, -1, 0
	s_and_not1_b32 s30, s30, exec_lo
	s_and_b32 s34, s34, exec_lo
	s_and_not1_b32 s29, s29, exec_lo
	s_or_b32 s30, s30, s34
	s_branch .LBB993_791
.LBB993_794:
	s_or_b32 exec_lo, exec_lo, s23
	s_and_saveexec_b32 s7, s28
	s_delay_alu instid0(SALU_CYCLE_1)
	s_xor_b32 s7, exec_lo, s7
; %bb.795:
	v_dual_cndmask_b32 v1, v7, v9, s22 :: v_dual_cndmask_b32 v0, v6, v8, s22
	v_dual_cndmask_b32 v9, v9, v7, s22 :: v_dual_cndmask_b32 v8, v8, v6, s22
	s_delay_alu instid0(VALU_DEP_2)
	v_mov_b64_e32 v[6:7], v[0:1]
; %bb.796:
	s_or_b32 exec_lo, exec_lo, s7
	s_delay_alu instid0(SALU_CYCLE_1)
	s_or_b32 exec_lo, exec_lo, s17
	s_and_saveexec_b32 s17, s24
	s_cbranch_execz .LBB993_668
.LBB993_797:
	v_mad_nc_u64_u32 v[0:1], v4, s12, s[14:15]
	v_mad_nc_u64_u32 v[22:23], v2, s12, s[14:15]
	s_mov_b32 s23, 0
	s_mov_b64 s[8:9], s[12:13]
                                        ; implicit-def: $sgpr22
                                        ; implicit-def: $sgpr24
                                        ; implicit-def: $sgpr29
                                        ; implicit-def: $sgpr28
                                        ; implicit-def: $sgpr30
	s_delay_alu instid0(VALU_DEP_2) | instskip(NEXT) | instid1(VALU_DEP_2)
	v_mad_u32 v1, v5, s12, v1
	v_mad_u32 v23, v3, s12, v23
	s_delay_alu instid0(VALU_DEP_2) | instskip(NEXT) | instid1(VALU_DEP_2)
	v_mad_u32 v1, v4, s13, v1
	v_mad_u32 v23, v2, s13, v23
	s_branch .LBB993_799
.LBB993_798:                            ;   in Loop: Header=BB993_799 Depth=1
	s_or_b32 exec_lo, exec_lo, s31
	s_or_b32 s31, vcc_lo, s7
	s_and_b32 s7, vcc_lo, s7
	s_and_b32 s31, s31, s30
	s_delay_alu instid0(SALU_CYCLE_1) | instskip(SKIP_1) | instid1(SALU_CYCLE_1)
	s_or_b32 s7, s7, s31
	s_and_b32 s31, exec_lo, s29
	s_or_b32 s23, s31, s23
	s_and_not1_b32 s30, s30, exec_lo
	s_and_b32 s7, s7, exec_lo
	s_and_not1_b32 s24, s24, exec_lo
	s_and_b32 s31, s28, exec_lo
	s_and_not1_b32 s22, s22, exec_lo
	s_or_b32 s30, s30, s7
	s_or_b32 s24, s24, s31
	;; [unrolled: 1-line block ×3, first 2 shown]
	s_and_not1_b32 exec_lo, exec_lo, s23
	s_cbranch_execz .LBB993_801
.LBB993_799:                            ; =>This Inner Loop Header: Depth=1
	global_load_u8 v32, v[0:1], off
	global_load_u8 v33, v[22:23], off
	s_or_b32 s28, s28, exec_lo
	s_or_b32 s29, s29, exec_lo
	s_wait_loadcnt 0x1
	v_cmp_eq_u16_e32 vcc_lo, 0, v32
	s_wait_loadcnt 0x0
	v_cmp_ne_u16_e64 s7, 0, v33
	s_xor_b32 s33, vcc_lo, s7
	s_delay_alu instid0(SALU_CYCLE_1)
	s_and_saveexec_b32 s31, s33
	s_cbranch_execz .LBB993_798
; %bb.800:                              ;   in Loop: Header=BB993_799 Depth=1
	s_add_nc_u64 s[8:9], s[8:9], -1
	v_add_nc_u64_e32 v[0:1], 1, v[0:1]
	s_cmp_eq_u64 s[8:9], 0
	v_add_nc_u64_e32 v[22:23], 1, v[22:23]
	s_cselect_b32 s33, -1, 0
	s_and_not1_b32 s29, s29, exec_lo
	s_and_b32 s33, s33, exec_lo
	s_and_not1_b32 s28, s28, exec_lo
	s_or_b32 s29, s29, s33
	s_branch .LBB993_798
.LBB993_801:
	s_or_b32 exec_lo, exec_lo, s23
	s_and_saveexec_b32 s7, s24
	s_delay_alu instid0(SALU_CYCLE_1)
	s_xor_b32 s7, exec_lo, s7
; %bb.802:
	v_dual_cndmask_b32 v1, v3, v5, s22 :: v_dual_cndmask_b32 v0, v2, v4, s22
	v_dual_cndmask_b32 v5, v5, v3, s22 :: v_dual_cndmask_b32 v4, v4, v2, s22
	s_delay_alu instid0(VALU_DEP_2)
	v_mov_b64_e32 v[2:3], v[0:1]
; %bb.803:
	s_or_b32 exec_lo, exec_lo, s7
	s_delay_alu instid0(SALU_CYCLE_1)
	s_or_b32 exec_lo, exec_lo, s17
	s_and_saveexec_b32 s17, s25
	s_cbranch_execz .LBB993_669
.LBB993_804:
	v_mad_nc_u64_u32 v[0:1], v10, s12, s[14:15]
	v_mad_nc_u64_u32 v[22:23], v16, s12, s[14:15]
	s_mov_b32 s23, 0
	s_mov_b64 s[8:9], s[12:13]
                                        ; implicit-def: $sgpr22
                                        ; implicit-def: $sgpr24
                                        ; implicit-def: $sgpr28
                                        ; implicit-def: $sgpr25
                                        ; implicit-def: $sgpr29
	s_delay_alu instid0(VALU_DEP_2) | instskip(NEXT) | instid1(VALU_DEP_2)
	v_mad_u32 v1, v11, s12, v1
	v_mad_u32 v23, v17, s12, v23
	s_delay_alu instid0(VALU_DEP_2) | instskip(NEXT) | instid1(VALU_DEP_2)
	v_mad_u32 v1, v10, s13, v1
	v_mad_u32 v23, v16, s13, v23
	s_branch .LBB993_806
.LBB993_805:                            ;   in Loop: Header=BB993_806 Depth=1
	s_or_b32 exec_lo, exec_lo, s30
	s_or_b32 s30, vcc_lo, s7
	s_and_b32 s7, vcc_lo, s7
	s_and_b32 s30, s30, s29
	s_delay_alu instid0(SALU_CYCLE_1) | instskip(SKIP_1) | instid1(SALU_CYCLE_1)
	s_or_b32 s7, s7, s30
	s_and_b32 s30, exec_lo, s28
	s_or_b32 s23, s30, s23
	s_and_not1_b32 s29, s29, exec_lo
	s_and_b32 s7, s7, exec_lo
	s_and_not1_b32 s24, s24, exec_lo
	s_and_b32 s30, s25, exec_lo
	s_and_not1_b32 s22, s22, exec_lo
	s_or_b32 s29, s29, s7
	s_or_b32 s24, s24, s30
	;; [unrolled: 1-line block ×3, first 2 shown]
	s_and_not1_b32 exec_lo, exec_lo, s23
	s_cbranch_execz .LBB993_808
.LBB993_806:                            ; =>This Inner Loop Header: Depth=1
	global_load_u8 v32, v[0:1], off
	global_load_u8 v33, v[22:23], off
	s_or_b32 s25, s25, exec_lo
	s_or_b32 s28, s28, exec_lo
	s_wait_loadcnt 0x1
	v_cmp_eq_u16_e32 vcc_lo, 0, v32
	s_wait_loadcnt 0x0
	v_cmp_ne_u16_e64 s7, 0, v33
	s_xor_b32 s31, vcc_lo, s7
	s_delay_alu instid0(SALU_CYCLE_1)
	s_and_saveexec_b32 s30, s31
	s_cbranch_execz .LBB993_805
; %bb.807:                              ;   in Loop: Header=BB993_806 Depth=1
	s_add_nc_u64 s[8:9], s[8:9], -1
	v_add_nc_u64_e32 v[0:1], 1, v[0:1]
	s_cmp_eq_u64 s[8:9], 0
	v_add_nc_u64_e32 v[22:23], 1, v[22:23]
	s_cselect_b32 s31, -1, 0
	s_and_not1_b32 s28, s28, exec_lo
	s_and_b32 s31, s31, exec_lo
	s_and_not1_b32 s25, s25, exec_lo
	s_or_b32 s28, s28, s31
	s_branch .LBB993_805
.LBB993_808:
	s_or_b32 exec_lo, exec_lo, s23
	s_and_saveexec_b32 s7, s24
	s_delay_alu instid0(SALU_CYCLE_1)
	s_xor_b32 s7, exec_lo, s7
; %bb.809:
	v_dual_cndmask_b32 v1, v17, v11, s22 :: v_dual_cndmask_b32 v0, v16, v10, s22
	v_dual_cndmask_b32 v11, v11, v17, s22 :: v_dual_cndmask_b32 v10, v10, v16, s22
	s_delay_alu instid0(VALU_DEP_2)
	v_mov_b64_e32 v[16:17], v[0:1]
; %bb.810:
	s_or_b32 exec_lo, exec_lo, s7
	s_delay_alu instid0(SALU_CYCLE_1)
	s_or_b32 exec_lo, exec_lo, s17
	s_and_saveexec_b32 s17, s26
	s_cbranch_execz .LBB993_670
.LBB993_811:
	v_mad_nc_u64_u32 v[0:1], v6, s12, s[14:15]
	v_mad_nc_u64_u32 v[22:23], v12, s12, s[14:15]
	s_mov_b32 s23, 0
	s_mov_b64 s[8:9], s[12:13]
                                        ; implicit-def: $sgpr22
                                        ; implicit-def: $sgpr24
                                        ; implicit-def: $sgpr26
                                        ; implicit-def: $sgpr25
                                        ; implicit-def: $sgpr28
	s_delay_alu instid0(VALU_DEP_2) | instskip(NEXT) | instid1(VALU_DEP_2)
	v_mad_u32 v1, v7, s12, v1
	v_mad_u32 v23, v13, s12, v23
	s_delay_alu instid0(VALU_DEP_2) | instskip(NEXT) | instid1(VALU_DEP_2)
	v_mad_u32 v1, v6, s13, v1
	v_mad_u32 v23, v12, s13, v23
	s_branch .LBB993_813
.LBB993_812:                            ;   in Loop: Header=BB993_813 Depth=1
	s_or_b32 exec_lo, exec_lo, s29
	s_or_b32 s29, vcc_lo, s7
	s_and_b32 s7, vcc_lo, s7
	s_and_b32 s29, s29, s28
	s_delay_alu instid0(SALU_CYCLE_1) | instskip(SKIP_1) | instid1(SALU_CYCLE_1)
	s_or_b32 s7, s7, s29
	s_and_b32 s29, exec_lo, s26
	s_or_b32 s23, s29, s23
	s_and_not1_b32 s28, s28, exec_lo
	s_and_b32 s7, s7, exec_lo
	s_and_not1_b32 s24, s24, exec_lo
	s_and_b32 s29, s25, exec_lo
	s_and_not1_b32 s22, s22, exec_lo
	s_or_b32 s28, s28, s7
	s_or_b32 s24, s24, s29
	;; [unrolled: 1-line block ×3, first 2 shown]
	s_and_not1_b32 exec_lo, exec_lo, s23
	s_cbranch_execz .LBB993_815
.LBB993_813:                            ; =>This Inner Loop Header: Depth=1
	global_load_u8 v32, v[0:1], off
	global_load_u8 v33, v[22:23], off
	s_or_b32 s25, s25, exec_lo
	s_or_b32 s26, s26, exec_lo
	s_wait_loadcnt 0x1
	v_cmp_eq_u16_e32 vcc_lo, 0, v32
	s_wait_loadcnt 0x0
	v_cmp_ne_u16_e64 s7, 0, v33
	s_xor_b32 s30, vcc_lo, s7
	s_delay_alu instid0(SALU_CYCLE_1)
	s_and_saveexec_b32 s29, s30
	s_cbranch_execz .LBB993_812
; %bb.814:                              ;   in Loop: Header=BB993_813 Depth=1
	s_add_nc_u64 s[8:9], s[8:9], -1
	v_add_nc_u64_e32 v[0:1], 1, v[0:1]
	s_cmp_eq_u64 s[8:9], 0
	v_add_nc_u64_e32 v[22:23], 1, v[22:23]
	s_cselect_b32 s30, -1, 0
	s_and_not1_b32 s26, s26, exec_lo
	s_and_b32 s30, s30, exec_lo
	s_and_not1_b32 s25, s25, exec_lo
	s_or_b32 s26, s26, s30
	s_branch .LBB993_812
.LBB993_815:
	s_or_b32 exec_lo, exec_lo, s23
	s_and_saveexec_b32 s7, s24
	s_delay_alu instid0(SALU_CYCLE_1)
	s_xor_b32 s7, exec_lo, s7
; %bb.816:
	v_dual_cndmask_b32 v1, v13, v7, s22 :: v_dual_cndmask_b32 v0, v12, v6, s22
	v_dual_cndmask_b32 v7, v7, v13, s22 :: v_dual_cndmask_b32 v6, v6, v12, s22
	s_delay_alu instid0(VALU_DEP_2)
	v_mov_b64_e32 v[12:13], v[0:1]
; %bb.817:
	s_or_b32 exec_lo, exec_lo, s7
	s_delay_alu instid0(SALU_CYCLE_1)
	s_or_b32 exec_lo, exec_lo, s17
	s_and_saveexec_b32 s17, s27
	s_cbranch_execz .LBB993_825
.LBB993_818:
	v_mad_nc_u64_u32 v[0:1], v2, s12, s[14:15]
	v_mad_nc_u64_u32 v[22:23], v8, s12, s[14:15]
	s_mov_b32 s23, 0
	s_mov_b64 s[8:9], s[12:13]
                                        ; implicit-def: $sgpr22
                                        ; implicit-def: $sgpr24
                                        ; implicit-def: $sgpr26
                                        ; implicit-def: $sgpr25
                                        ; implicit-def: $sgpr27
	s_delay_alu instid0(VALU_DEP_2) | instskip(NEXT) | instid1(VALU_DEP_2)
	v_mad_u32 v1, v3, s12, v1
	v_mad_u32 v23, v9, s12, v23
	s_delay_alu instid0(VALU_DEP_2) | instskip(NEXT) | instid1(VALU_DEP_2)
	v_mad_u32 v1, v2, s13, v1
	v_mad_u32 v23, v8, s13, v23
	s_branch .LBB993_820
.LBB993_819:                            ;   in Loop: Header=BB993_820 Depth=1
	s_or_b32 exec_lo, exec_lo, s28
	s_or_b32 s28, vcc_lo, s7
	s_and_b32 s7, vcc_lo, s7
	s_and_b32 s28, s28, s27
	s_delay_alu instid0(SALU_CYCLE_1) | instskip(SKIP_1) | instid1(SALU_CYCLE_1)
	s_or_b32 s7, s7, s28
	s_and_b32 s28, exec_lo, s26
	s_or_b32 s23, s28, s23
	s_and_not1_b32 s27, s27, exec_lo
	s_and_b32 s7, s7, exec_lo
	s_and_not1_b32 s24, s24, exec_lo
	s_and_b32 s28, s25, exec_lo
	s_and_not1_b32 s22, s22, exec_lo
	s_or_b32 s27, s27, s7
	s_or_b32 s24, s24, s28
	;; [unrolled: 1-line block ×3, first 2 shown]
	s_and_not1_b32 exec_lo, exec_lo, s23
	s_cbranch_execz .LBB993_822
.LBB993_820:                            ; =>This Inner Loop Header: Depth=1
	global_load_u8 v32, v[0:1], off
	global_load_u8 v33, v[22:23], off
	s_or_b32 s25, s25, exec_lo
	s_or_b32 s26, s26, exec_lo
	s_wait_loadcnt 0x1
	v_cmp_eq_u16_e32 vcc_lo, 0, v32
	s_wait_loadcnt 0x0
	v_cmp_ne_u16_e64 s7, 0, v33
	s_xor_b32 s29, vcc_lo, s7
	s_delay_alu instid0(SALU_CYCLE_1)
	s_and_saveexec_b32 s28, s29
	s_cbranch_execz .LBB993_819
; %bb.821:                              ;   in Loop: Header=BB993_820 Depth=1
	s_add_nc_u64 s[8:9], s[8:9], -1
	v_add_nc_u64_e32 v[0:1], 1, v[0:1]
	s_cmp_eq_u64 s[8:9], 0
	v_add_nc_u64_e32 v[22:23], 1, v[22:23]
	s_cselect_b32 s29, -1, 0
	s_and_not1_b32 s26, s26, exec_lo
	s_and_b32 s29, s29, exec_lo
	s_and_not1_b32 s25, s25, exec_lo
	s_or_b32 s26, s26, s29
	s_branch .LBB993_819
.LBB993_822:
	s_or_b32 exec_lo, exec_lo, s23
	s_and_saveexec_b32 s7, s24
	s_delay_alu instid0(SALU_CYCLE_1)
	s_xor_b32 s7, exec_lo, s7
; %bb.823:
	v_dual_cndmask_b32 v1, v9, v3, s22 :: v_dual_cndmask_b32 v0, v8, v2, s22
	v_dual_cndmask_b32 v3, v3, v9, s22 :: v_dual_cndmask_b32 v2, v2, v8, s22
	s_delay_alu instid0(VALU_DEP_2)
	v_mov_b64_e32 v[8:9], v[0:1]
; %bb.824:
	s_or_b32 exec_lo, exec_lo, s7
.LBB993_825:
	s_delay_alu instid0(SALU_CYCLE_1) | instskip(SKIP_4) | instid1(VALU_DEP_1)
	s_or_b32 exec_lo, exec_lo, s17
	v_mbcnt_lo_u32_b32 v0, -1, 0
	v_and_b32_e32 v1, 0xffffff00, v31
	s_mov_b32 s17, 0
	s_mov_b32 s22, exec_lo
	v_dual_lshlrev_b32 v33, 3, v0 :: v_dual_lshlrev_b32 v31, 3, v1
	v_sub_nc_u32_e64 v32, s21, v1 clamp
	s_delay_alu instid0(VALU_DEP_2) | instskip(SKIP_1) | instid1(VALU_DEP_4)
	v_or_b32_e32 v22, 8, v33
	v_and_b32_e32 v39, 0xf0, v33
	v_lshl_or_b32 v34, v0, 6, v31
	ds_store_b128 v34, v[14:17]
	ds_store_b128 v34, v[10:13] offset:16
	v_min_u32_e32 v35, v32, v22
	v_and_b32_e32 v22, 8, v33
	v_lshl_or_b32 v38, v39, 3, v31
	ds_store_b128 v34, v[6:9] offset:32
	ds_store_b128 v34, v[2:5] offset:48
	v_add_min_u32_e64 v36, v35, 8, v32
	v_min_u32_e32 v40, v32, v22
	v_sub_nc_u32_e32 v22, v35, v39
	; wave barrier
	s_delay_alu instid0(VALU_DEP_3) | instskip(NEXT) | instid1(VALU_DEP_2)
	v_sub_nc_u32_e32 v1, v36, v35
	v_min_u32_e32 v41, v40, v22
	s_delay_alu instid0(VALU_DEP_2) | instskip(NEXT) | instid1(VALU_DEP_1)
	v_sub_nc_u32_e64 v37, v40, v1 clamp
	v_cmpx_lt_u32_e64 v37, v41
	s_cbranch_execz .LBB993_835
; %bb.826:
	v_dual_lshlrev_b32 v0, 3, v35 :: v_dual_lshlrev_b32 v1, 3, v40
	s_delay_alu instid0(VALU_DEP_1)
	v_add3_u32 v42, v31, v0, v1
	s_branch .LBB993_829
.LBB993_827:                            ;   in Loop: Header=BB993_829 Depth=1
	s_or_b32 exec_lo, exec_lo, s24
.LBB993_828:                            ;   in Loop: Header=BB993_829 Depth=1
	s_delay_alu instid0(VALU_DEP_1) | instskip(NEXT) | instid1(VALU_DEP_1)
	v_dual_add_nc_u32 v0, 1, v43 :: v_dual_cndmask_b32 v41, v41, v43, s23
	v_cndmask_b32_e64 v37, v0, v37, s23
	s_delay_alu instid0(VALU_DEP_1) | instskip(SKIP_1) | instid1(SALU_CYCLE_1)
	v_cmp_ge_u32_e32 vcc_lo, v37, v41
	s_or_b32 s17, vcc_lo, s17
	s_and_not1_b32 exec_lo, exec_lo, s17
	s_cbranch_execz .LBB993_834
.LBB993_829:                            ; =>This Loop Header: Depth=1
                                        ;     Child Loop BB993_832 Depth 2
	v_add_nc_u32_e32 v0, v41, v37
	s_and_not1_b32 vcc_lo, exec_lo, s18
	s_mov_b32 s23, 0
	s_delay_alu instid0(VALU_DEP_1)
	v_lshrrev_b32_e32 v43, 1, v0
	s_cbranch_vccnz .LBB993_828
; %bb.830:                              ;   in Loop: Header=BB993_829 Depth=1
	s_delay_alu instid0(VALU_DEP_1) | instskip(SKIP_3) | instid1(VALU_DEP_2)
	v_not_b32_e32 v0, v43
	v_lshl_add_u32 v1, v43, 3, v38
	s_mov_b32 s24, 0
	s_mov_b64 s[8:9], s[12:13]
                                        ; implicit-def: $sgpr23
                                        ; implicit-def: $sgpr25
                                        ; implicit-def: $sgpr26
                                        ; implicit-def: $sgpr27
	v_lshl_add_u32 v0, v0, 3, v42
	ds_load_b64 v[44:45], v0
	ds_load_b64 v[46:47], v1
	s_wait_dscnt 0x1
	v_mad_nc_u64_u32 v[0:1], v44, s12, s[14:15]
	s_wait_dscnt 0x0
	v_mad_nc_u64_u32 v[22:23], v46, s12, s[14:15]
	s_delay_alu instid0(VALU_DEP_2) | instskip(NEXT) | instid1(VALU_DEP_2)
	v_mad_u32 v1, v45, s12, v1
	v_mad_u32 v23, v47, s12, v23
	s_delay_alu instid0(VALU_DEP_2) | instskip(NEXT) | instid1(VALU_DEP_2)
	v_mad_u32 v1, v44, s13, v1
	v_mad_u32 v23, v46, s13, v23
	s_branch .LBB993_832
.LBB993_831:                            ;   in Loop: Header=BB993_832 Depth=2
	s_or_b32 exec_lo, exec_lo, s7
	s_delay_alu instid0(SALU_CYCLE_1) | instskip(NEXT) | instid1(SALU_CYCLE_1)
	s_and_b32 s7, exec_lo, s25
	s_or_b32 s24, s7, s24
	s_and_not1_b32 s7, s27, exec_lo
	s_and_b32 s27, s28, exec_lo
	s_and_not1_b32 s23, s23, exec_lo
	s_and_b32 s28, s26, exec_lo
	s_or_b32 s27, s7, s27
	s_or_b32 s23, s23, s28
	s_and_not1_b32 exec_lo, exec_lo, s24
	s_cbranch_execz .LBB993_827
.LBB993_832:                            ;   Parent Loop BB993_829 Depth=1
                                        ; =>  This Inner Loop Header: Depth=2
	global_load_u8 v44, v[0:1], off
	global_load_u8 v45, v[22:23], off
	s_and_not1_b32 s26, s26, exec_lo
	s_or_b32 s25, s25, exec_lo
	s_wait_loadcnt 0x1
	v_cmp_eq_u16_e32 vcc_lo, 0, v44
	s_wait_loadcnt 0x0
	v_cmp_ne_u16_e64 s7, 0, v45
	s_or_b32 s28, vcc_lo, s7
	s_and_b32 s29, vcc_lo, s7
	s_and_b32 s28, s28, s27
	s_xor_b32 s30, vcc_lo, s7
	s_or_b32 s28, s29, s28
	s_delay_alu instid0(SALU_CYCLE_1) | instskip(NEXT) | instid1(SALU_CYCLE_1)
	s_and_b32 s29, s28, exec_lo
	s_or_b32 s26, s26, s29
	s_and_saveexec_b32 s7, s30
	s_cbranch_execz .LBB993_831
; %bb.833:                              ;   in Loop: Header=BB993_832 Depth=2
	s_add_nc_u64 s[8:9], s[8:9], -1
	v_add_nc_u64_e32 v[0:1], 1, v[0:1]
	s_cmp_eq_u64 s[8:9], 0
	v_add_nc_u64_e32 v[22:23], 1, v[22:23]
	s_cselect_b32 s27, -1, 0
	s_and_not1_b32 s25, s25, exec_lo
	s_and_b32 s27, s27, exec_lo
	s_and_not1_b32 s26, s26, exec_lo
	s_or_b32 s25, s25, s27
                                        ; implicit-def: $sgpr27
	s_branch .LBB993_831
.LBB993_834:
	s_or_b32 exec_lo, exec_lo, s17
.LBB993_835:
	s_delay_alu instid0(SALU_CYCLE_1) | instskip(SKIP_1) | instid1(VALU_DEP_1)
	s_or_b32 exec_lo, exec_lo, s22
	v_dual_add_nc_u32 v0, v35, v40 :: v_dual_add_nc_u32 v22, v37, v39
	v_sub_nc_u32_e32 v23, v0, v37
	s_delay_alu instid0(VALU_DEP_2) | instskip(NEXT) | instid1(VALU_DEP_2)
	v_cmp_le_u32_e32 vcc_lo, v22, v35
	v_cmp_le_u32_e64 s7, v23, v36
	s_or_b32 s7, vcc_lo, s7
	s_delay_alu instid0(SALU_CYCLE_1)
	s_and_saveexec_b32 s17, s7
	s_cbranch_execz .LBB993_903
; %bb.836:
	s_mov_b32 s8, exec_lo
	v_cmp_ge_u32_e32 vcc_lo, v22, v35
                                        ; implicit-def: $vgpr0_vgpr1
	v_cmpx_lt_u32_e64 v22, v35
; %bb.837:
	v_lshl_add_u32 v0, v37, 3, v38
	ds_load_b64 v[0:1], v0
; %bb.838:
	s_or_b32 exec_lo, exec_lo, s8
	v_cmp_ge_u32_e64 s7, v23, v36
	s_mov_b32 s9, exec_lo
                                        ; implicit-def: $vgpr2_vgpr3
	v_cmpx_lt_u32_e64 v23, v36
; %bb.839:
	v_lshl_add_u32 v2, v23, 3, v31
	ds_load_b64 v[2:3], v2
; %bb.840:
	s_or_b32 exec_lo, exec_lo, s9
	s_or_b32 s8, vcc_lo, s7
	s_xor_b32 s9, vcc_lo, -1
	s_nor_b32 s8, s8, s19
	s_or_b32 s22, s7, s9
	s_and_saveexec_b32 s23, s8
	s_cbranch_execz .LBB993_846
; %bb.841:
	s_wait_dscnt 0x0
	v_mad_nc_u64_u32 v[4:5], v2, s12, s[14:15]
	v_mad_nc_u64_u32 v[6:7], v0, s12, s[14:15]
	s_mov_b32 s24, 0
	s_mov_b64 s[8:9], s[12:13]
                                        ; implicit-def: $sgpr25
                                        ; implicit-def: $sgpr26
                                        ; implicit-def: $sgpr27
                                        ; implicit-def: $sgpr28
	s_delay_alu instid0(VALU_DEP_2) | instskip(NEXT) | instid1(VALU_DEP_2)
	v_mad_u32 v5, v3, s12, v5
	v_mad_u32 v7, v1, s12, v7
	s_delay_alu instid0(VALU_DEP_2) | instskip(NEXT) | instid1(VALU_DEP_2)
	v_mad_u32 v5, v2, s13, v5
	v_mad_u32 v7, v0, s13, v7
	s_branch .LBB993_843
.LBB993_842:                            ;   in Loop: Header=BB993_843 Depth=1
	s_or_b32 exec_lo, exec_lo, s7
	s_delay_alu instid0(SALU_CYCLE_1) | instskip(NEXT) | instid1(SALU_CYCLE_1)
	s_and_b32 s7, exec_lo, s26
	s_or_b32 s24, s7, s24
	s_and_not1_b32 s7, s28, exec_lo
	s_and_b32 s28, s29, exec_lo
	s_and_not1_b32 s25, s25, exec_lo
	s_and_b32 s29, s27, exec_lo
	s_or_b32 s28, s7, s28
	s_or_b32 s25, s25, s29
	s_and_not1_b32 exec_lo, exec_lo, s24
	s_cbranch_execz .LBB993_845
.LBB993_843:                            ; =>This Inner Loop Header: Depth=1
	global_load_u8 v8, v[4:5], off
	global_load_u8 v9, v[6:7], off
	s_and_not1_b32 s27, s27, exec_lo
	s_or_b32 s26, s26, exec_lo
	s_wait_loadcnt 0x1
	v_cmp_eq_u16_e32 vcc_lo, 0, v8
	s_wait_loadcnt 0x0
	v_cmp_ne_u16_e64 s7, 0, v9
	s_or_b32 s29, vcc_lo, s7
	s_and_b32 s30, vcc_lo, s7
	s_and_b32 s29, s29, s28
	s_xor_b32 s31, vcc_lo, s7
	s_or_b32 s29, s30, s29
	s_delay_alu instid0(SALU_CYCLE_1) | instskip(NEXT) | instid1(SALU_CYCLE_1)
	s_and_b32 s30, s29, exec_lo
	s_or_b32 s27, s27, s30
	s_and_saveexec_b32 s7, s31
	s_cbranch_execz .LBB993_842
; %bb.844:                              ;   in Loop: Header=BB993_843 Depth=1
	s_add_nc_u64 s[8:9], s[8:9], -1
	v_add_nc_u64_e32 v[4:5], 1, v[4:5]
	s_cmp_eq_u64 s[8:9], 0
	v_add_nc_u64_e32 v[6:7], 1, v[6:7]
	s_cselect_b32 s28, -1, 0
	s_and_not1_b32 s26, s26, exec_lo
	s_and_b32 s28, s28, exec_lo
	s_and_not1_b32 s27, s27, exec_lo
	s_or_b32 s26, s26, s28
                                        ; implicit-def: $sgpr28
	s_branch .LBB993_842
.LBB993_845:
	s_or_b32 exec_lo, exec_lo, s24
	s_xor_b32 s7, s25, -1
	s_and_not1_b32 s8, s22, exec_lo
	s_and_b32 s7, s7, exec_lo
	s_delay_alu instid0(SALU_CYCLE_1)
	s_or_b32 s22, s8, s7
.LBB993_846:
	s_or_b32 exec_lo, exec_lo, s23
	v_dual_cndmask_b32 v4, v23, v22, s22 :: v_dual_cndmask_b32 v5, v36, v35, s22
	s_mov_b32 s24, -1
	s_mov_b32 s23, -1
	s_mov_b32 s25, exec_lo
	s_delay_alu instid0(VALU_DEP_1) | instskip(NEXT) | instid1(VALU_DEP_1)
	v_add_nc_u32_e32 v6, 1, v4
	v_add_min_u32_e64 v4, v5, -1, v6
	s_delay_alu instid0(VALU_DEP_1)
	v_lshl_add_u32 v4, v4, 3, v31
	ds_load_b64 v[4:5], v4
	s_wait_dscnt 0x0
	v_cndmask_b32_e64 v14, v5, v3, s22
	v_dual_cndmask_b32 v8, v6, v23, s22 :: v_dual_cndmask_b32 v15, v4, v2, s22
	v_dual_cndmask_b32 v9, v22, v6, s22 :: v_dual_cndmask_b32 v16, v1, v5, s22
	v_cndmask_b32_e64 v37, v0, v4, s22
	s_delay_alu instid0(VALU_DEP_3)
	v_cmpx_lt_u32_e64 v8, v36
	s_cbranch_execz .LBB993_854
; %bb.847:
	s_delay_alu instid0(VALU_DEP_3) | instskip(SKIP_1) | instid1(SALU_CYCLE_1)
	v_cmp_lt_u32_e64 s23, v9, v35
	s_and_b32 s7, s23, s16
	s_and_saveexec_b32 s26, s7
	s_cbranch_execz .LBB993_853
; %bb.848:
	v_mad_nc_u64_u32 v[4:5], v15, s12, s[14:15]
	v_mad_nc_u64_u32 v[6:7], v37, s12, s[14:15]
	s_mov_b32 s27, 0
	s_mov_b64 s[8:9], s[12:13]
                                        ; implicit-def: $sgpr28
                                        ; implicit-def: $sgpr29
                                        ; implicit-def: $sgpr30
                                        ; implicit-def: $sgpr31
	s_delay_alu instid0(VALU_DEP_2) | instskip(NEXT) | instid1(VALU_DEP_2)
	v_mad_u32 v5, v14, s12, v5
	v_mad_u32 v7, v16, s12, v7
	s_delay_alu instid0(VALU_DEP_2) | instskip(NEXT) | instid1(VALU_DEP_2)
	v_mad_u32 v5, v15, s13, v5
	v_mad_u32 v7, v37, s13, v7
	s_branch .LBB993_850
.LBB993_849:                            ;   in Loop: Header=BB993_850 Depth=1
	s_or_b32 exec_lo, exec_lo, s7
	s_delay_alu instid0(SALU_CYCLE_1) | instskip(NEXT) | instid1(SALU_CYCLE_1)
	s_and_b32 s7, exec_lo, s29
	s_or_b32 s27, s7, s27
	s_and_not1_b32 s7, s31, exec_lo
	s_and_b32 s31, s33, exec_lo
	s_and_not1_b32 s28, s28, exec_lo
	s_and_b32 s33, s30, exec_lo
	s_or_b32 s31, s7, s31
	s_or_b32 s28, s28, s33
	s_and_not1_b32 exec_lo, exec_lo, s27
	s_cbranch_execz .LBB993_852
.LBB993_850:                            ; =>This Inner Loop Header: Depth=1
	global_load_u8 v10, v[4:5], off
	global_load_u8 v11, v[6:7], off
	s_and_not1_b32 s30, s30, exec_lo
	s_or_b32 s29, s29, exec_lo
	s_wait_loadcnt 0x1
	v_cmp_eq_u16_e32 vcc_lo, 0, v10
	s_wait_loadcnt 0x0
	v_cmp_ne_u16_e64 s7, 0, v11
	s_or_b32 s33, vcc_lo, s7
	s_and_b32 s34, vcc_lo, s7
	s_and_b32 s33, s33, s31
	s_xor_b32 s35, vcc_lo, s7
	s_or_b32 s33, s34, s33
	s_delay_alu instid0(SALU_CYCLE_1) | instskip(NEXT) | instid1(SALU_CYCLE_1)
	s_and_b32 s34, s33, exec_lo
	s_or_b32 s30, s30, s34
	s_and_saveexec_b32 s7, s35
	s_cbranch_execz .LBB993_849
; %bb.851:                              ;   in Loop: Header=BB993_850 Depth=1
	s_add_nc_u64 s[8:9], s[8:9], -1
	v_add_nc_u64_e32 v[4:5], 1, v[4:5]
	s_cmp_eq_u64 s[8:9], 0
	v_add_nc_u64_e32 v[6:7], 1, v[6:7]
	s_cselect_b32 s31, -1, 0
	s_and_not1_b32 s29, s29, exec_lo
	s_and_b32 s31, s31, exec_lo
	s_and_not1_b32 s30, s30, exec_lo
	s_or_b32 s29, s29, s31
                                        ; implicit-def: $sgpr31
	s_branch .LBB993_849
.LBB993_852:
	s_or_b32 exec_lo, exec_lo, s27
	s_xor_b32 s7, s28, -1
	s_and_not1_b32 s8, s23, exec_lo
	s_and_b32 s7, s7, exec_lo
	s_delay_alu instid0(SALU_CYCLE_1)
	s_or_b32 s23, s8, s7
.LBB993_853:
	s_or_b32 exec_lo, exec_lo, s26
	s_delay_alu instid0(SALU_CYCLE_1)
	s_or_not1_b32 s23, s23, exec_lo
.LBB993_854:
	s_or_b32 exec_lo, exec_lo, s25
	v_cndmask_b32_e64 v4, v8, v9, s23
	v_cndmask_b32_e64 v5, v36, v35, s23
	s_mov_b32 s25, exec_lo
	s_delay_alu instid0(VALU_DEP_2) | instskip(NEXT) | instid1(VALU_DEP_1)
	v_add_nc_u32_e32 v6, 1, v4
	v_add_min_u32_e64 v4, v5, -1, v6
	v_cndmask_b32_e64 v8, v6, v8, s23
	s_delay_alu instid0(VALU_DEP_2)
	v_lshl_add_u32 v4, v4, 3, v31
	ds_load_b64 v[4:5], v4
	s_wait_dscnt 0x0
	v_dual_cndmask_b32 v9, v9, v6, s23 :: v_dual_cndmask_b32 v17, v4, v15, s23
	v_dual_cndmask_b32 v10, v5, v14, s23 :: v_dual_cndmask_b32 v11, v16, v5, s23
	v_cndmask_b32_e64 v38, v37, v4, s23
	v_cmpx_lt_u32_e64 v8, v36
	s_cbranch_execz .LBB993_862
; %bb.855:
	v_cmp_lt_u32_e64 s24, v9, v35
	s_and_b32 s7, s24, s16
	s_delay_alu instid0(SALU_CYCLE_1)
	s_and_saveexec_b32 s26, s7
	s_cbranch_execz .LBB993_861
; %bb.856:
	v_mad_nc_u64_u32 v[4:5], v17, s12, s[14:15]
	v_mad_nc_u64_u32 v[6:7], v38, s12, s[14:15]
	s_mov_b32 s27, 0
	s_mov_b64 s[8:9], s[12:13]
                                        ; implicit-def: $sgpr28
                                        ; implicit-def: $sgpr29
                                        ; implicit-def: $sgpr30
                                        ; implicit-def: $sgpr31
	s_delay_alu instid0(VALU_DEP_2) | instskip(NEXT) | instid1(VALU_DEP_2)
	v_mad_u32 v5, v10, s12, v5
	v_mad_u32 v7, v11, s12, v7
	s_delay_alu instid0(VALU_DEP_2) | instskip(NEXT) | instid1(VALU_DEP_2)
	v_mad_u32 v5, v17, s13, v5
	v_mad_u32 v7, v38, s13, v7
	s_branch .LBB993_858
.LBB993_857:                            ;   in Loop: Header=BB993_858 Depth=1
	s_or_b32 exec_lo, exec_lo, s7
	s_delay_alu instid0(SALU_CYCLE_1) | instskip(NEXT) | instid1(SALU_CYCLE_1)
	s_and_b32 s7, exec_lo, s29
	s_or_b32 s27, s7, s27
	s_and_not1_b32 s7, s31, exec_lo
	s_and_b32 s31, s33, exec_lo
	s_and_not1_b32 s28, s28, exec_lo
	s_and_b32 s33, s30, exec_lo
	s_or_b32 s31, s7, s31
	s_or_b32 s28, s28, s33
	s_and_not1_b32 exec_lo, exec_lo, s27
	s_cbranch_execz .LBB993_860
.LBB993_858:                            ; =>This Inner Loop Header: Depth=1
	global_load_u8 v12, v[4:5], off
	global_load_u8 v13, v[6:7], off
	s_and_not1_b32 s30, s30, exec_lo
	s_or_b32 s29, s29, exec_lo
	s_wait_loadcnt 0x1
	v_cmp_eq_u16_e32 vcc_lo, 0, v12
	s_wait_loadcnt 0x0
	v_cmp_ne_u16_e64 s7, 0, v13
	s_or_b32 s33, vcc_lo, s7
	s_and_b32 s34, vcc_lo, s7
	s_and_b32 s33, s33, s31
	s_xor_b32 s35, vcc_lo, s7
	s_or_b32 s33, s34, s33
	s_delay_alu instid0(SALU_CYCLE_1) | instskip(NEXT) | instid1(SALU_CYCLE_1)
	s_and_b32 s34, s33, exec_lo
	s_or_b32 s30, s30, s34
	s_and_saveexec_b32 s7, s35
	s_cbranch_execz .LBB993_857
; %bb.859:                              ;   in Loop: Header=BB993_858 Depth=1
	s_add_nc_u64 s[8:9], s[8:9], -1
	v_add_nc_u64_e32 v[4:5], 1, v[4:5]
	s_cmp_eq_u64 s[8:9], 0
	v_add_nc_u64_e32 v[6:7], 1, v[6:7]
	s_cselect_b32 s31, -1, 0
	s_and_not1_b32 s29, s29, exec_lo
	s_and_b32 s31, s31, exec_lo
	s_and_not1_b32 s30, s30, exec_lo
	s_or_b32 s29, s29, s31
                                        ; implicit-def: $sgpr31
	s_branch .LBB993_857
.LBB993_860:
	s_or_b32 exec_lo, exec_lo, s27
	s_xor_b32 s7, s28, -1
	s_and_not1_b32 s8, s24, exec_lo
	s_and_b32 s7, s7, exec_lo
	s_delay_alu instid0(SALU_CYCLE_1)
	s_or_b32 s24, s8, s7
.LBB993_861:
	s_or_b32 exec_lo, exec_lo, s26
	s_delay_alu instid0(SALU_CYCLE_1)
	s_or_not1_b32 s24, s24, exec_lo
.LBB993_862:
	s_or_b32 exec_lo, exec_lo, s25
	v_cndmask_b32_e64 v4, v8, v9, s24
	v_cndmask_b32_e64 v5, v36, v35, s24
	s_mov_b32 s26, -1
	s_mov_b32 s25, -1
	s_mov_b32 s27, exec_lo
	v_add_nc_u32_e32 v6, 1, v4
	s_delay_alu instid0(VALU_DEP_1) | instskip(SKIP_1) | instid1(VALU_DEP_2)
	v_add_min_u32_e64 v4, v5, -1, v6
	v_cndmask_b32_e64 v8, v6, v8, s24
	v_lshl_add_u32 v4, v4, 3, v31
	ds_load_b64 v[4:5], v4
	s_wait_dscnt 0x0
	v_dual_cndmask_b32 v9, v9, v6, s24 :: v_dual_cndmask_b32 v39, v4, v17, s24
	v_dual_cndmask_b32 v12, v5, v10, s24 :: v_dual_cndmask_b32 v13, v11, v5, s24
	v_cndmask_b32_e64 v40, v38, v4, s24
	v_cmpx_lt_u32_e64 v8, v36
	s_cbranch_execz .LBB993_870
; %bb.863:
	v_cmp_lt_u32_e64 s25, v9, v35
	s_and_b32 s7, s25, s16
	s_delay_alu instid0(SALU_CYCLE_1)
	s_and_saveexec_b32 s28, s7
	s_cbranch_execz .LBB993_869
; %bb.864:
	v_mad_nc_u64_u32 v[4:5], v39, s12, s[14:15]
	v_mad_nc_u64_u32 v[6:7], v40, s12, s[14:15]
	s_mov_b32 s29, 0
	s_mov_b64 s[8:9], s[12:13]
                                        ; implicit-def: $sgpr30
                                        ; implicit-def: $sgpr31
                                        ; implicit-def: $sgpr33
                                        ; implicit-def: $sgpr34
	s_delay_alu instid0(VALU_DEP_2) | instskip(NEXT) | instid1(VALU_DEP_2)
	v_mad_u32 v5, v12, s12, v5
	v_mad_u32 v7, v13, s12, v7
	s_delay_alu instid0(VALU_DEP_2) | instskip(NEXT) | instid1(VALU_DEP_2)
	v_mad_u32 v5, v39, s13, v5
	v_mad_u32 v7, v40, s13, v7
	s_branch .LBB993_866
.LBB993_865:                            ;   in Loop: Header=BB993_866 Depth=1
	s_or_b32 exec_lo, exec_lo, s7
	s_delay_alu instid0(SALU_CYCLE_1) | instskip(NEXT) | instid1(SALU_CYCLE_1)
	s_and_b32 s7, exec_lo, s31
	s_or_b32 s29, s7, s29
	s_and_not1_b32 s7, s34, exec_lo
	s_and_b32 s34, s35, exec_lo
	s_and_not1_b32 s30, s30, exec_lo
	s_and_b32 s35, s33, exec_lo
	s_or_b32 s34, s7, s34
	s_or_b32 s30, s30, s35
	s_and_not1_b32 exec_lo, exec_lo, s29
	s_cbranch_execz .LBB993_868
.LBB993_866:                            ; =>This Inner Loop Header: Depth=1
	global_load_u8 v22, v[4:5], off
	global_load_u8 v23, v[6:7], off
	s_and_not1_b32 s33, s33, exec_lo
	s_or_b32 s31, s31, exec_lo
	s_wait_loadcnt 0x1
	v_cmp_eq_u16_e32 vcc_lo, 0, v22
	s_wait_loadcnt 0x0
	v_cmp_ne_u16_e64 s7, 0, v23
	s_or_b32 s35, vcc_lo, s7
	s_and_b32 s36, vcc_lo, s7
	s_and_b32 s35, s35, s34
	s_xor_b32 s37, vcc_lo, s7
	s_or_b32 s35, s36, s35
	s_delay_alu instid0(SALU_CYCLE_1) | instskip(NEXT) | instid1(SALU_CYCLE_1)
	s_and_b32 s36, s35, exec_lo
	s_or_b32 s33, s33, s36
	s_and_saveexec_b32 s7, s37
	s_cbranch_execz .LBB993_865
; %bb.867:                              ;   in Loop: Header=BB993_866 Depth=1
	s_add_nc_u64 s[8:9], s[8:9], -1
	v_add_nc_u64_e32 v[4:5], 1, v[4:5]
	s_cmp_eq_u64 s[8:9], 0
	v_add_nc_u64_e32 v[6:7], 1, v[6:7]
	s_cselect_b32 s34, -1, 0
	s_and_not1_b32 s31, s31, exec_lo
	s_and_b32 s34, s34, exec_lo
	s_and_not1_b32 s33, s33, exec_lo
	s_or_b32 s31, s31, s34
                                        ; implicit-def: $sgpr34
	s_branch .LBB993_865
.LBB993_868:
	s_or_b32 exec_lo, exec_lo, s29
	s_xor_b32 s7, s30, -1
	s_and_not1_b32 s8, s25, exec_lo
	s_and_b32 s7, s7, exec_lo
	s_delay_alu instid0(SALU_CYCLE_1)
	s_or_b32 s25, s8, s7
.LBB993_869:
	s_or_b32 exec_lo, exec_lo, s28
	s_delay_alu instid0(SALU_CYCLE_1)
	s_or_not1_b32 s25, s25, exec_lo
.LBB993_870:
	s_or_b32 exec_lo, exec_lo, s27
	v_cndmask_b32_e64 v4, v8, v9, s25
	v_cndmask_b32_e64 v5, v36, v35, s25
	s_mov_b32 s27, exec_lo
	s_delay_alu instid0(VALU_DEP_2) | instskip(NEXT) | instid1(VALU_DEP_1)
	v_add_nc_u32_e32 v6, 1, v4
	v_add_min_u32_e64 v4, v5, -1, v6
	v_cndmask_b32_e64 v8, v6, v8, s25
	s_delay_alu instid0(VALU_DEP_2)
	v_lshl_add_u32 v4, v4, 3, v31
	ds_load_b64 v[4:5], v4
	s_wait_dscnt 0x0
	v_dual_cndmask_b32 v9, v9, v6, s25 :: v_dual_cndmask_b32 v42, v4, v39, s25
	v_cndmask_b32_e64 v41, v5, v12, s25
	v_dual_cndmask_b32 v43, v13, v5, s25 :: v_dual_cndmask_b32 v44, v40, v4, s25
	v_cmpx_lt_u32_e64 v8, v36
	s_cbranch_execz .LBB993_878
; %bb.871:
	v_cmp_lt_u32_e64 s26, v9, v35
	s_and_b32 s7, s26, s16
	s_delay_alu instid0(SALU_CYCLE_1)
	s_and_saveexec_b32 s28, s7
	s_cbranch_execz .LBB993_877
; %bb.872:
	v_mad_nc_u64_u32 v[4:5], v42, s12, s[14:15]
	v_mad_nc_u64_u32 v[6:7], v44, s12, s[14:15]
	s_mov_b32 s29, 0
	s_mov_b64 s[8:9], s[12:13]
                                        ; implicit-def: $sgpr30
                                        ; implicit-def: $sgpr31
                                        ; implicit-def: $sgpr33
                                        ; implicit-def: $sgpr34
	s_delay_alu instid0(VALU_DEP_2) | instskip(NEXT) | instid1(VALU_DEP_2)
	v_mad_u32 v5, v41, s12, v5
	v_mad_u32 v7, v43, s12, v7
	s_delay_alu instid0(VALU_DEP_2) | instskip(NEXT) | instid1(VALU_DEP_2)
	v_mad_u32 v5, v42, s13, v5
	v_mad_u32 v7, v44, s13, v7
	s_branch .LBB993_874
.LBB993_873:                            ;   in Loop: Header=BB993_874 Depth=1
	s_or_b32 exec_lo, exec_lo, s7
	s_delay_alu instid0(SALU_CYCLE_1) | instskip(NEXT) | instid1(SALU_CYCLE_1)
	s_and_b32 s7, exec_lo, s31
	s_or_b32 s29, s7, s29
	s_and_not1_b32 s7, s34, exec_lo
	s_and_b32 s34, s35, exec_lo
	s_and_not1_b32 s30, s30, exec_lo
	s_and_b32 s35, s33, exec_lo
	s_or_b32 s34, s7, s34
	s_or_b32 s30, s30, s35
	s_and_not1_b32 exec_lo, exec_lo, s29
	s_cbranch_execz .LBB993_876
.LBB993_874:                            ; =>This Inner Loop Header: Depth=1
	global_load_u8 v22, v[4:5], off
	global_load_u8 v23, v[6:7], off
	s_and_not1_b32 s33, s33, exec_lo
	s_or_b32 s31, s31, exec_lo
	s_wait_loadcnt 0x1
	v_cmp_eq_u16_e32 vcc_lo, 0, v22
	s_wait_loadcnt 0x0
	v_cmp_ne_u16_e64 s7, 0, v23
	s_or_b32 s35, vcc_lo, s7
	s_and_b32 s36, vcc_lo, s7
	s_and_b32 s35, s35, s34
	s_xor_b32 s37, vcc_lo, s7
	s_or_b32 s35, s36, s35
	s_delay_alu instid0(SALU_CYCLE_1) | instskip(NEXT) | instid1(SALU_CYCLE_1)
	s_and_b32 s36, s35, exec_lo
	s_or_b32 s33, s33, s36
	s_and_saveexec_b32 s7, s37
	s_cbranch_execz .LBB993_873
; %bb.875:                              ;   in Loop: Header=BB993_874 Depth=1
	s_add_nc_u64 s[8:9], s[8:9], -1
	v_add_nc_u64_e32 v[4:5], 1, v[4:5]
	s_cmp_eq_u64 s[8:9], 0
	v_add_nc_u64_e32 v[6:7], 1, v[6:7]
	s_cselect_b32 s34, -1, 0
	s_and_not1_b32 s31, s31, exec_lo
	s_and_b32 s34, s34, exec_lo
	s_and_not1_b32 s33, s33, exec_lo
	s_or_b32 s31, s31, s34
                                        ; implicit-def: $sgpr34
	s_branch .LBB993_873
.LBB993_876:
	s_or_b32 exec_lo, exec_lo, s29
	s_xor_b32 s7, s30, -1
	s_and_not1_b32 s8, s26, exec_lo
	s_and_b32 s7, s7, exec_lo
	s_delay_alu instid0(SALU_CYCLE_1)
	s_or_b32 s26, s8, s7
.LBB993_877:
	s_or_b32 exec_lo, exec_lo, s28
	s_delay_alu instid0(SALU_CYCLE_1)
	s_or_not1_b32 s26, s26, exec_lo
.LBB993_878:
	s_or_b32 exec_lo, exec_lo, s27
	v_cndmask_b32_e64 v4, v8, v9, s26
	v_cndmask_b32_e64 v5, v36, v35, s26
	s_mov_b32 s27, -1
	s_mov_b32 s28, -1
	s_mov_b32 s29, exec_lo
	v_add_nc_u32_e32 v6, 1, v4
	s_delay_alu instid0(VALU_DEP_1) | instskip(SKIP_1) | instid1(VALU_DEP_2)
	v_add_min_u32_e64 v4, v5, -1, v6
	v_cndmask_b32_e64 v22, v6, v8, s26
	v_lshl_add_u32 v4, v4, 3, v31
	ds_load_b64 v[4:5], v4
	s_wait_dscnt 0x0
	v_dual_cndmask_b32 v23, v9, v6, s26 :: v_dual_cndmask_b32 v9, v43, v5, s26
	v_dual_cndmask_b32 v8, v5, v41, s26 :: v_dual_cndmask_b32 v45, v4, v42, s26
	v_cndmask_b32_e64 v46, v44, v4, s26
	v_cmpx_lt_u32_e64 v22, v36
	s_cbranch_execz .LBB993_886
; %bb.879:
	v_cmp_lt_u32_e64 s28, v23, v35
	s_and_b32 s7, s28, s16
	s_delay_alu instid0(SALU_CYCLE_1)
	s_and_saveexec_b32 s30, s7
	s_cbranch_execz .LBB993_885
; %bb.880:
	v_mad_nc_u64_u32 v[4:5], v45, s12, s[14:15]
	v_mad_nc_u64_u32 v[6:7], v46, s12, s[14:15]
	s_mov_b32 s31, 0
	s_mov_b64 s[8:9], s[12:13]
                                        ; implicit-def: $sgpr33
                                        ; implicit-def: $sgpr34
                                        ; implicit-def: $sgpr35
                                        ; implicit-def: $sgpr36
	s_delay_alu instid0(VALU_DEP_2) | instskip(NEXT) | instid1(VALU_DEP_2)
	v_mad_u32 v5, v8, s12, v5
	v_mad_u32 v7, v9, s12, v7
	s_delay_alu instid0(VALU_DEP_2) | instskip(NEXT) | instid1(VALU_DEP_2)
	v_mad_u32 v5, v45, s13, v5
	v_mad_u32 v7, v46, s13, v7
	s_branch .LBB993_882
.LBB993_881:                            ;   in Loop: Header=BB993_882 Depth=1
	s_or_b32 exec_lo, exec_lo, s7
	s_delay_alu instid0(SALU_CYCLE_1) | instskip(NEXT) | instid1(SALU_CYCLE_1)
	s_and_b32 s7, exec_lo, s34
	s_or_b32 s31, s7, s31
	s_and_not1_b32 s7, s36, exec_lo
	s_and_b32 s36, s37, exec_lo
	s_and_not1_b32 s33, s33, exec_lo
	s_and_b32 s37, s35, exec_lo
	s_or_b32 s36, s7, s36
	s_or_b32 s33, s33, s37
	s_and_not1_b32 exec_lo, exec_lo, s31
	s_cbranch_execz .LBB993_884
.LBB993_882:                            ; =>This Inner Loop Header: Depth=1
	global_load_u8 v47, v[4:5], off
	global_load_u8 v48, v[6:7], off
	s_and_not1_b32 s35, s35, exec_lo
	s_or_b32 s34, s34, exec_lo
	s_wait_loadcnt 0x1
	v_cmp_eq_u16_e32 vcc_lo, 0, v47
	s_wait_loadcnt 0x0
	v_cmp_ne_u16_e64 s7, 0, v48
	s_or_b32 s37, vcc_lo, s7
	s_and_b32 s38, vcc_lo, s7
	s_and_b32 s37, s37, s36
	s_xor_b32 s39, vcc_lo, s7
	s_or_b32 s37, s38, s37
	s_delay_alu instid0(SALU_CYCLE_1) | instskip(NEXT) | instid1(SALU_CYCLE_1)
	s_and_b32 s38, s37, exec_lo
	s_or_b32 s35, s35, s38
	s_and_saveexec_b32 s7, s39
	s_cbranch_execz .LBB993_881
; %bb.883:                              ;   in Loop: Header=BB993_882 Depth=1
	s_add_nc_u64 s[8:9], s[8:9], -1
	v_add_nc_u64_e32 v[4:5], 1, v[4:5]
	s_cmp_eq_u64 s[8:9], 0
	v_add_nc_u64_e32 v[6:7], 1, v[6:7]
	s_cselect_b32 s36, -1, 0
	s_and_not1_b32 s34, s34, exec_lo
	s_and_b32 s36, s36, exec_lo
	s_and_not1_b32 s35, s35, exec_lo
	s_or_b32 s34, s34, s36
                                        ; implicit-def: $sgpr36
	s_branch .LBB993_881
.LBB993_884:
	s_or_b32 exec_lo, exec_lo, s31
	s_xor_b32 s7, s33, -1
	s_and_not1_b32 s8, s28, exec_lo
	s_and_b32 s7, s7, exec_lo
	s_delay_alu instid0(SALU_CYCLE_1)
	s_or_b32 s28, s8, s7
.LBB993_885:
	s_or_b32 exec_lo, exec_lo, s30
	s_delay_alu instid0(SALU_CYCLE_1)
	s_or_not1_b32 s28, s28, exec_lo
.LBB993_886:
	s_or_b32 exec_lo, exec_lo, s29
	v_cndmask_b32_e64 v4, v22, v23, s28
	v_cndmask_b32_e64 v5, v36, v35, s28
	s_mov_b32 s29, exec_lo
	s_delay_alu instid0(VALU_DEP_2) | instskip(NEXT) | instid1(VALU_DEP_1)
	v_add_nc_u32_e32 v6, 1, v4
	v_add_min_u32_e64 v4, v5, -1, v6
	v_cndmask_b32_e64 v47, v23, v6, s28
	s_delay_alu instid0(VALU_DEP_2)
	v_lshl_add_u32 v4, v4, 3, v31
	ds_load_b64 v[4:5], v4
	s_wait_dscnt 0x0
	v_dual_cndmask_b32 v50, v6, v22, s28 :: v_dual_cndmask_b32 v48, v5, v8, s28
	v_dual_cndmask_b32 v49, v4, v45, s28 :: v_dual_cndmask_b32 v52, v46, v4, s28
	v_cndmask_b32_e64 v51, v9, v5, s28
	s_delay_alu instid0(VALU_DEP_3)
	v_cmpx_lt_u32_e64 v50, v36
	s_cbranch_execz .LBB993_894
; %bb.887:
	v_cmp_lt_u32_e64 s27, v47, v35
	s_and_b32 s7, s27, s16
	s_delay_alu instid0(SALU_CYCLE_1)
	s_and_saveexec_b32 s30, s7
	s_cbranch_execz .LBB993_893
; %bb.888:
	v_mad_nc_u64_u32 v[4:5], v49, s12, s[14:15]
	v_mad_nc_u64_u32 v[6:7], v52, s12, s[14:15]
	s_mov_b32 s31, 0
	s_mov_b64 s[8:9], s[12:13]
                                        ; implicit-def: $sgpr33
                                        ; implicit-def: $sgpr34
                                        ; implicit-def: $sgpr35
                                        ; implicit-def: $sgpr36
	s_delay_alu instid0(VALU_DEP_2) | instskip(NEXT) | instid1(VALU_DEP_2)
	v_mad_u32 v5, v48, s12, v5
	v_mad_u32 v7, v51, s12, v7
	s_delay_alu instid0(VALU_DEP_2) | instskip(NEXT) | instid1(VALU_DEP_2)
	v_mad_u32 v5, v49, s13, v5
	v_mad_u32 v7, v52, s13, v7
	s_branch .LBB993_890
.LBB993_889:                            ;   in Loop: Header=BB993_890 Depth=1
	s_or_b32 exec_lo, exec_lo, s7
	s_delay_alu instid0(SALU_CYCLE_1) | instskip(NEXT) | instid1(SALU_CYCLE_1)
	s_and_b32 s7, exec_lo, s34
	s_or_b32 s31, s7, s31
	s_and_not1_b32 s7, s36, exec_lo
	s_and_b32 s36, s37, exec_lo
	s_and_not1_b32 s33, s33, exec_lo
	s_and_b32 s37, s35, exec_lo
	s_or_b32 s36, s7, s36
	s_or_b32 s33, s33, s37
	s_and_not1_b32 exec_lo, exec_lo, s31
	s_cbranch_execz .LBB993_892
.LBB993_890:                            ; =>This Inner Loop Header: Depth=1
	global_load_u8 v22, v[4:5], off
	global_load_u8 v23, v[6:7], off
	s_and_not1_b32 s35, s35, exec_lo
	s_or_b32 s34, s34, exec_lo
	s_wait_loadcnt 0x1
	v_cmp_eq_u16_e32 vcc_lo, 0, v22
	s_wait_loadcnt 0x0
	v_cmp_ne_u16_e64 s7, 0, v23
	s_or_b32 s37, vcc_lo, s7
	s_and_b32 s38, vcc_lo, s7
	s_and_b32 s37, s37, s36
	s_xor_b32 s39, vcc_lo, s7
	s_or_b32 s37, s38, s37
	s_delay_alu instid0(SALU_CYCLE_1) | instskip(NEXT) | instid1(SALU_CYCLE_1)
	s_and_b32 s38, s37, exec_lo
	s_or_b32 s35, s35, s38
	s_and_saveexec_b32 s7, s39
	s_cbranch_execz .LBB993_889
; %bb.891:                              ;   in Loop: Header=BB993_890 Depth=1
	s_add_nc_u64 s[8:9], s[8:9], -1
	v_add_nc_u64_e32 v[4:5], 1, v[4:5]
	s_cmp_eq_u64 s[8:9], 0
	v_add_nc_u64_e32 v[6:7], 1, v[6:7]
	s_cselect_b32 s36, -1, 0
	s_and_not1_b32 s34, s34, exec_lo
	s_and_b32 s36, s36, exec_lo
	s_and_not1_b32 s35, s35, exec_lo
	s_or_b32 s34, s34, s36
                                        ; implicit-def: $sgpr36
	s_branch .LBB993_889
.LBB993_892:
	s_or_b32 exec_lo, exec_lo, s31
	s_xor_b32 s7, s33, -1
	s_and_not1_b32 s8, s27, exec_lo
	s_and_b32 s7, s7, exec_lo
	s_delay_alu instid0(SALU_CYCLE_1)
	s_or_b32 s27, s8, s7
.LBB993_893:
	s_or_b32 exec_lo, exec_lo, s30
	s_delay_alu instid0(SALU_CYCLE_1)
	s_or_not1_b32 s27, s27, exec_lo
.LBB993_894:
	s_or_b32 exec_lo, exec_lo, s29
	v_dual_cndmask_b32 v4, v50, v47, s27 :: v_dual_cndmask_b32 v9, v8, v9, s28
	v_dual_cndmask_b32 v5, v36, v35, s27 :: v_dual_cndmask_b32 v8, v45, v46, s28
	v_cndmask_b32_e64 v6, v42, v44, s26
	s_delay_alu instid0(VALU_DEP_3) | instskip(SKIP_2) | instid1(VALU_DEP_3)
	v_dual_add_nc_u32 v53, 1, v4 :: v_dual_cndmask_b32 v7, v41, v43, s26
	v_dual_cndmask_b32 v13, v12, v13, s25 :: v_dual_cndmask_b32 v12, v39, v40, s25
	v_cndmask_b32_e64 v11, v10, v11, s24
	v_add_min_u32_e64 v4, v5, -1, v53
	v_dual_cndmask_b32 v10, v17, v38, s24 :: v_dual_cndmask_b32 v17, v14, v16, s23
	v_dual_cndmask_b32 v16, v15, v37, s23 :: v_dual_cndmask_b32 v14, v2, v0, s22
	s_delay_alu instid0(VALU_DEP_3)
	v_lshl_add_u32 v4, v4, 3, v31
	v_dual_cndmask_b32 v15, v3, v1, s22 :: v_dual_cndmask_b32 v0, v53, v50, s27
	v_dual_cndmask_b32 v3, v48, v51, s27 :: v_dual_cndmask_b32 v2, v49, v52, s27
	ds_load_b64 v[22:23], v4
	s_mov_b32 s22, exec_lo
	s_wait_dscnt 0x0
	v_dual_cndmask_b32 v5, v51, v23, s27 :: v_dual_cndmask_b32 v4, v52, v22, s27
	v_cmpx_lt_u32_e64 v0, v36
	s_cbranch_execz .LBB993_902
; %bb.895:
	v_dual_cndmask_b32 v36, v23, v48, s27 :: v_dual_cndmask_b32 v37, v22, v49, s27
	v_cndmask_b32_e64 v0, v47, v53, s27
	s_delay_alu instid0(VALU_DEP_1) | instskip(NEXT) | instid1(VALU_DEP_3)
	v_cmp_ge_u32_e32 vcc_lo, v0, v35
	v_dual_cndmask_b32 v1, v5, v36 :: v_dual_cndmask_b32 v0, v4, v37
	s_nor_b32 s7, vcc_lo, s19
	s_delay_alu instid0(SALU_CYCLE_1)
	s_and_saveexec_b32 s23, s7
	s_cbranch_execz .LBB993_901
; %bb.896:
	v_mad_nc_u64_u32 v[0:1], v37, s12, s[14:15]
	v_mad_nc_u64_u32 v[22:23], v4, s12, s[14:15]
	s_mov_b32 s24, 0
	s_mov_b64 s[8:9], s[12:13]
                                        ; implicit-def: $sgpr25
                                        ; implicit-def: $sgpr26
                                        ; implicit-def: $sgpr27
                                        ; implicit-def: $sgpr28
	s_delay_alu instid0(VALU_DEP_2) | instskip(NEXT) | instid1(VALU_DEP_2)
	v_mad_u32 v1, v36, s12, v1
	v_mad_u32 v23, v5, s12, v23
	s_delay_alu instid0(VALU_DEP_2) | instskip(NEXT) | instid1(VALU_DEP_2)
	v_mad_u32 v1, v37, s13, v1
	v_mad_u32 v23, v4, s13, v23
	s_branch .LBB993_898
.LBB993_897:                            ;   in Loop: Header=BB993_898 Depth=1
	s_or_b32 exec_lo, exec_lo, s7
	s_delay_alu instid0(SALU_CYCLE_1) | instskip(NEXT) | instid1(SALU_CYCLE_1)
	s_and_b32 s7, exec_lo, s26
	s_or_b32 s24, s7, s24
	s_and_not1_b32 s7, s28, exec_lo
	s_and_b32 s28, s29, exec_lo
	s_and_not1_b32 s25, s25, exec_lo
	s_and_b32 s29, s27, exec_lo
	s_or_b32 s28, s7, s28
	s_or_b32 s25, s25, s29
	s_and_not1_b32 exec_lo, exec_lo, s24
	s_cbranch_execz .LBB993_900
.LBB993_898:                            ; =>This Inner Loop Header: Depth=1
	global_load_u8 v35, v[0:1], off
	global_load_u8 v38, v[22:23], off
	s_and_not1_b32 s27, s27, exec_lo
	s_or_b32 s26, s26, exec_lo
	s_wait_loadcnt 0x1
	v_cmp_eq_u16_e32 vcc_lo, 0, v35
	s_wait_loadcnt 0x0
	v_cmp_ne_u16_e64 s7, 0, v38
	s_or_b32 s29, vcc_lo, s7
	s_and_b32 s30, vcc_lo, s7
	s_and_b32 s29, s29, s28
	s_xor_b32 s31, vcc_lo, s7
	s_or_b32 s29, s30, s29
	s_delay_alu instid0(SALU_CYCLE_1) | instskip(NEXT) | instid1(SALU_CYCLE_1)
	s_and_b32 s30, s29, exec_lo
	s_or_b32 s27, s27, s30
	s_and_saveexec_b32 s7, s31
	s_cbranch_execz .LBB993_897
; %bb.899:                              ;   in Loop: Header=BB993_898 Depth=1
	s_add_nc_u64 s[8:9], s[8:9], -1
	v_add_nc_u64_e32 v[0:1], 1, v[0:1]
	s_cmp_eq_u64 s[8:9], 0
	v_add_nc_u64_e32 v[22:23], 1, v[22:23]
	s_cselect_b32 s28, -1, 0
	s_and_not1_b32 s26, s26, exec_lo
	s_and_b32 s28, s28, exec_lo
	s_and_not1_b32 s27, s27, exec_lo
	s_or_b32 s26, s26, s28
                                        ; implicit-def: $sgpr28
	s_branch .LBB993_897
.LBB993_900:
	s_or_b32 exec_lo, exec_lo, s24
	v_dual_cndmask_b32 v1, v5, v36, s25 :: v_dual_cndmask_b32 v0, v4, v37, s25
.LBB993_901:
	s_or_b32 exec_lo, exec_lo, s23
	s_delay_alu instid0(VALU_DEP_1)
	v_mov_b64_e32 v[4:5], v[0:1]
.LBB993_902:
	s_or_b32 exec_lo, exec_lo, s22
.LBB993_903:
	s_delay_alu instid0(SALU_CYCLE_1)
	s_or_b32 exec_lo, exec_lo, s17
	v_and_b32_e32 v39, 0xe0, v33
	s_mov_b32 s17, exec_lo
	; wave barrier
	ds_store_b128 v34, v[14:17]
	ds_store_b128 v34, v[10:13] offset:16
	v_or_b32_e32 v0, 16, v39
	v_lshl_add_u32 v38, v39, 3, v31
	ds_store_b128 v34, v[6:9] offset:32
	ds_store_b128 v34, v[2:5] offset:48
	; wave barrier
	v_min_u32_e32 v35, v32, v0
	v_and_b32_e32 v0, 24, v33
	s_delay_alu instid0(VALU_DEP_2) | instskip(NEXT) | instid1(VALU_DEP_2)
	v_add_min_u32_e64 v36, v35, 16, v32
	v_min_u32_e32 v40, v32, v0
	v_sub_nc_u32_e32 v1, v35, v39
	s_delay_alu instid0(VALU_DEP_3) | instskip(NEXT) | instid1(VALU_DEP_2)
	v_sub_nc_u32_e32 v0, v36, v35
	v_min_u32_e32 v41, v40, v1
	s_delay_alu instid0(VALU_DEP_2) | instskip(NEXT) | instid1(VALU_DEP_1)
	v_sub_nc_u32_e64 v37, v40, v0 clamp
	v_cmpx_lt_u32_e64 v37, v41
	s_cbranch_execz .LBB993_913
; %bb.904:
	v_dual_lshlrev_b32 v0, 3, v35 :: v_dual_lshlrev_b32 v1, 3, v40
	s_mov_b32 s22, 0
	s_delay_alu instid0(VALU_DEP_1)
	v_add3_u32 v42, v31, v0, v1
	s_branch .LBB993_907
.LBB993_905:                            ;   in Loop: Header=BB993_907 Depth=1
	s_or_b32 exec_lo, exec_lo, s24
.LBB993_906:                            ;   in Loop: Header=BB993_907 Depth=1
	s_delay_alu instid0(VALU_DEP_1) | instskip(NEXT) | instid1(VALU_DEP_1)
	v_dual_add_nc_u32 v0, 1, v43 :: v_dual_cndmask_b32 v41, v41, v43, s23
	v_cndmask_b32_e64 v37, v0, v37, s23
	s_delay_alu instid0(VALU_DEP_1) | instskip(SKIP_1) | instid1(SALU_CYCLE_1)
	v_cmp_ge_u32_e32 vcc_lo, v37, v41
	s_or_b32 s22, vcc_lo, s22
	s_and_not1_b32 exec_lo, exec_lo, s22
	s_cbranch_execz .LBB993_912
.LBB993_907:                            ; =>This Loop Header: Depth=1
                                        ;     Child Loop BB993_910 Depth 2
	v_add_nc_u32_e32 v0, v41, v37
	s_and_not1_b32 vcc_lo, exec_lo, s18
	s_mov_b32 s23, 0
	s_delay_alu instid0(VALU_DEP_1)
	v_lshrrev_b32_e32 v43, 1, v0
	s_cbranch_vccnz .LBB993_906
; %bb.908:                              ;   in Loop: Header=BB993_907 Depth=1
	s_delay_alu instid0(VALU_DEP_1) | instskip(SKIP_3) | instid1(VALU_DEP_2)
	v_not_b32_e32 v0, v43
	v_lshl_add_u32 v1, v43, 3, v38
	s_mov_b32 s24, 0
	s_mov_b64 s[8:9], s[12:13]
                                        ; implicit-def: $sgpr23
                                        ; implicit-def: $sgpr25
                                        ; implicit-def: $sgpr26
                                        ; implicit-def: $sgpr27
	v_lshl_add_u32 v0, v0, 3, v42
	ds_load_b64 v[44:45], v0
	ds_load_b64 v[46:47], v1
	s_wait_dscnt 0x1
	v_mad_nc_u64_u32 v[0:1], v44, s12, s[14:15]
	s_wait_dscnt 0x0
	v_mad_nc_u64_u32 v[22:23], v46, s12, s[14:15]
	s_delay_alu instid0(VALU_DEP_2) | instskip(NEXT) | instid1(VALU_DEP_2)
	v_mad_u32 v1, v45, s12, v1
	v_mad_u32 v23, v47, s12, v23
	s_delay_alu instid0(VALU_DEP_2) | instskip(NEXT) | instid1(VALU_DEP_2)
	v_mad_u32 v1, v44, s13, v1
	v_mad_u32 v23, v46, s13, v23
	s_branch .LBB993_910
.LBB993_909:                            ;   in Loop: Header=BB993_910 Depth=2
	s_or_b32 exec_lo, exec_lo, s7
	s_delay_alu instid0(SALU_CYCLE_1) | instskip(NEXT) | instid1(SALU_CYCLE_1)
	s_and_b32 s7, exec_lo, s25
	s_or_b32 s24, s7, s24
	s_and_not1_b32 s7, s27, exec_lo
	s_and_b32 s27, s28, exec_lo
	s_and_not1_b32 s23, s23, exec_lo
	s_and_b32 s28, s26, exec_lo
	s_or_b32 s27, s7, s27
	s_or_b32 s23, s23, s28
	s_and_not1_b32 exec_lo, exec_lo, s24
	s_cbranch_execz .LBB993_905
.LBB993_910:                            ;   Parent Loop BB993_907 Depth=1
                                        ; =>  This Inner Loop Header: Depth=2
	global_load_u8 v44, v[0:1], off
	global_load_u8 v45, v[22:23], off
	s_and_not1_b32 s26, s26, exec_lo
	s_or_b32 s25, s25, exec_lo
	s_wait_loadcnt 0x1
	v_cmp_eq_u16_e32 vcc_lo, 0, v44
	s_wait_loadcnt 0x0
	v_cmp_ne_u16_e64 s7, 0, v45
	s_or_b32 s28, vcc_lo, s7
	s_and_b32 s29, vcc_lo, s7
	s_and_b32 s28, s28, s27
	s_xor_b32 s30, vcc_lo, s7
	s_or_b32 s28, s29, s28
	s_delay_alu instid0(SALU_CYCLE_1) | instskip(NEXT) | instid1(SALU_CYCLE_1)
	s_and_b32 s29, s28, exec_lo
	s_or_b32 s26, s26, s29
	s_and_saveexec_b32 s7, s30
	s_cbranch_execz .LBB993_909
; %bb.911:                              ;   in Loop: Header=BB993_910 Depth=2
	s_add_nc_u64 s[8:9], s[8:9], -1
	v_add_nc_u64_e32 v[0:1], 1, v[0:1]
	s_cmp_eq_u64 s[8:9], 0
	v_add_nc_u64_e32 v[22:23], 1, v[22:23]
	s_cselect_b32 s27, -1, 0
	s_and_not1_b32 s25, s25, exec_lo
	s_and_b32 s27, s27, exec_lo
	s_and_not1_b32 s26, s26, exec_lo
	s_or_b32 s25, s25, s27
                                        ; implicit-def: $sgpr27
	s_branch .LBB993_909
.LBB993_912:
	s_or_b32 exec_lo, exec_lo, s22
.LBB993_913:
	s_delay_alu instid0(SALU_CYCLE_1) | instskip(SKIP_1) | instid1(VALU_DEP_1)
	s_or_b32 exec_lo, exec_lo, s17
	v_dual_add_nc_u32 v0, v35, v40 :: v_dual_add_nc_u32 v22, v37, v39
	v_sub_nc_u32_e32 v23, v0, v37
	s_delay_alu instid0(VALU_DEP_2) | instskip(NEXT) | instid1(VALU_DEP_2)
	v_cmp_le_u32_e32 vcc_lo, v22, v35
	v_cmp_le_u32_e64 s7, v23, v36
	s_or_b32 s7, vcc_lo, s7
	s_delay_alu instid0(SALU_CYCLE_1)
	s_and_saveexec_b32 s17, s7
	s_cbranch_execz .LBB993_981
; %bb.914:
	s_mov_b32 s8, exec_lo
	v_cmp_ge_u32_e32 vcc_lo, v22, v35
                                        ; implicit-def: $vgpr0_vgpr1
	v_cmpx_lt_u32_e64 v22, v35
; %bb.915:
	v_lshl_add_u32 v0, v37, 3, v38
	ds_load_b64 v[0:1], v0
; %bb.916:
	s_or_b32 exec_lo, exec_lo, s8
	v_cmp_ge_u32_e64 s7, v23, v36
	s_mov_b32 s9, exec_lo
                                        ; implicit-def: $vgpr2_vgpr3
	v_cmpx_lt_u32_e64 v23, v36
; %bb.917:
	v_lshl_add_u32 v2, v23, 3, v31
	ds_load_b64 v[2:3], v2
; %bb.918:
	s_or_b32 exec_lo, exec_lo, s9
	s_or_b32 s8, vcc_lo, s7
	s_xor_b32 s9, vcc_lo, -1
	s_nor_b32 s8, s8, s19
	s_or_b32 s22, s7, s9
	s_and_saveexec_b32 s23, s8
	s_cbranch_execz .LBB993_924
; %bb.919:
	s_wait_dscnt 0x0
	v_mad_nc_u64_u32 v[4:5], v2, s12, s[14:15]
	v_mad_nc_u64_u32 v[6:7], v0, s12, s[14:15]
	s_mov_b32 s24, 0
	s_mov_b64 s[8:9], s[12:13]
                                        ; implicit-def: $sgpr25
                                        ; implicit-def: $sgpr26
                                        ; implicit-def: $sgpr27
                                        ; implicit-def: $sgpr28
	s_delay_alu instid0(VALU_DEP_2) | instskip(NEXT) | instid1(VALU_DEP_2)
	v_mad_u32 v5, v3, s12, v5
	v_mad_u32 v7, v1, s12, v7
	s_delay_alu instid0(VALU_DEP_2) | instskip(NEXT) | instid1(VALU_DEP_2)
	v_mad_u32 v5, v2, s13, v5
	v_mad_u32 v7, v0, s13, v7
	s_branch .LBB993_921
.LBB993_920:                            ;   in Loop: Header=BB993_921 Depth=1
	s_or_b32 exec_lo, exec_lo, s7
	s_delay_alu instid0(SALU_CYCLE_1) | instskip(NEXT) | instid1(SALU_CYCLE_1)
	s_and_b32 s7, exec_lo, s26
	s_or_b32 s24, s7, s24
	s_and_not1_b32 s7, s28, exec_lo
	s_and_b32 s28, s29, exec_lo
	s_and_not1_b32 s25, s25, exec_lo
	s_and_b32 s29, s27, exec_lo
	s_or_b32 s28, s7, s28
	s_or_b32 s25, s25, s29
	s_and_not1_b32 exec_lo, exec_lo, s24
	s_cbranch_execz .LBB993_923
.LBB993_921:                            ; =>This Inner Loop Header: Depth=1
	global_load_u8 v8, v[4:5], off
	global_load_u8 v9, v[6:7], off
	s_and_not1_b32 s27, s27, exec_lo
	s_or_b32 s26, s26, exec_lo
	s_wait_loadcnt 0x1
	v_cmp_eq_u16_e32 vcc_lo, 0, v8
	s_wait_loadcnt 0x0
	v_cmp_ne_u16_e64 s7, 0, v9
	s_or_b32 s29, vcc_lo, s7
	s_and_b32 s30, vcc_lo, s7
	s_and_b32 s29, s29, s28
	s_xor_b32 s31, vcc_lo, s7
	s_or_b32 s29, s30, s29
	s_delay_alu instid0(SALU_CYCLE_1) | instskip(NEXT) | instid1(SALU_CYCLE_1)
	s_and_b32 s30, s29, exec_lo
	s_or_b32 s27, s27, s30
	s_and_saveexec_b32 s7, s31
	s_cbranch_execz .LBB993_920
; %bb.922:                              ;   in Loop: Header=BB993_921 Depth=1
	s_add_nc_u64 s[8:9], s[8:9], -1
	v_add_nc_u64_e32 v[4:5], 1, v[4:5]
	s_cmp_eq_u64 s[8:9], 0
	v_add_nc_u64_e32 v[6:7], 1, v[6:7]
	s_cselect_b32 s28, -1, 0
	s_and_not1_b32 s26, s26, exec_lo
	s_and_b32 s28, s28, exec_lo
	s_and_not1_b32 s27, s27, exec_lo
	s_or_b32 s26, s26, s28
                                        ; implicit-def: $sgpr28
	s_branch .LBB993_920
.LBB993_923:
	s_or_b32 exec_lo, exec_lo, s24
	s_xor_b32 s7, s25, -1
	s_and_not1_b32 s8, s22, exec_lo
	s_and_b32 s7, s7, exec_lo
	s_delay_alu instid0(SALU_CYCLE_1)
	s_or_b32 s22, s8, s7
.LBB993_924:
	s_or_b32 exec_lo, exec_lo, s23
	v_dual_cndmask_b32 v4, v23, v22, s22 :: v_dual_cndmask_b32 v5, v36, v35, s22
	s_mov_b32 s24, -1
	s_mov_b32 s23, -1
	s_mov_b32 s25, exec_lo
	s_delay_alu instid0(VALU_DEP_1) | instskip(NEXT) | instid1(VALU_DEP_1)
	v_add_nc_u32_e32 v6, 1, v4
	v_add_min_u32_e64 v4, v5, -1, v6
	s_delay_alu instid0(VALU_DEP_1)
	v_lshl_add_u32 v4, v4, 3, v31
	ds_load_b64 v[4:5], v4
	s_wait_dscnt 0x0
	v_cndmask_b32_e64 v14, v5, v3, s22
	v_dual_cndmask_b32 v8, v6, v23, s22 :: v_dual_cndmask_b32 v15, v4, v2, s22
	v_dual_cndmask_b32 v9, v22, v6, s22 :: v_dual_cndmask_b32 v16, v1, v5, s22
	v_cndmask_b32_e64 v37, v0, v4, s22
	s_delay_alu instid0(VALU_DEP_3)
	v_cmpx_lt_u32_e64 v8, v36
	s_cbranch_execz .LBB993_932
; %bb.925:
	s_delay_alu instid0(VALU_DEP_3) | instskip(SKIP_1) | instid1(SALU_CYCLE_1)
	v_cmp_lt_u32_e64 s23, v9, v35
	s_and_b32 s7, s23, s16
	s_and_saveexec_b32 s26, s7
	s_cbranch_execz .LBB993_931
; %bb.926:
	v_mad_nc_u64_u32 v[4:5], v15, s12, s[14:15]
	v_mad_nc_u64_u32 v[6:7], v37, s12, s[14:15]
	s_mov_b32 s27, 0
	s_mov_b64 s[8:9], s[12:13]
                                        ; implicit-def: $sgpr28
                                        ; implicit-def: $sgpr29
                                        ; implicit-def: $sgpr30
                                        ; implicit-def: $sgpr31
	s_delay_alu instid0(VALU_DEP_2) | instskip(NEXT) | instid1(VALU_DEP_2)
	v_mad_u32 v5, v14, s12, v5
	v_mad_u32 v7, v16, s12, v7
	s_delay_alu instid0(VALU_DEP_2) | instskip(NEXT) | instid1(VALU_DEP_2)
	v_mad_u32 v5, v15, s13, v5
	v_mad_u32 v7, v37, s13, v7
	s_branch .LBB993_928
.LBB993_927:                            ;   in Loop: Header=BB993_928 Depth=1
	s_or_b32 exec_lo, exec_lo, s7
	s_delay_alu instid0(SALU_CYCLE_1) | instskip(NEXT) | instid1(SALU_CYCLE_1)
	s_and_b32 s7, exec_lo, s29
	s_or_b32 s27, s7, s27
	s_and_not1_b32 s7, s31, exec_lo
	s_and_b32 s31, s33, exec_lo
	s_and_not1_b32 s28, s28, exec_lo
	s_and_b32 s33, s30, exec_lo
	s_or_b32 s31, s7, s31
	s_or_b32 s28, s28, s33
	s_and_not1_b32 exec_lo, exec_lo, s27
	s_cbranch_execz .LBB993_930
.LBB993_928:                            ; =>This Inner Loop Header: Depth=1
	global_load_u8 v10, v[4:5], off
	global_load_u8 v11, v[6:7], off
	s_and_not1_b32 s30, s30, exec_lo
	s_or_b32 s29, s29, exec_lo
	s_wait_loadcnt 0x1
	v_cmp_eq_u16_e32 vcc_lo, 0, v10
	s_wait_loadcnt 0x0
	v_cmp_ne_u16_e64 s7, 0, v11
	s_or_b32 s33, vcc_lo, s7
	s_and_b32 s34, vcc_lo, s7
	s_and_b32 s33, s33, s31
	s_xor_b32 s35, vcc_lo, s7
	s_or_b32 s33, s34, s33
	s_delay_alu instid0(SALU_CYCLE_1) | instskip(NEXT) | instid1(SALU_CYCLE_1)
	s_and_b32 s34, s33, exec_lo
	s_or_b32 s30, s30, s34
	s_and_saveexec_b32 s7, s35
	s_cbranch_execz .LBB993_927
; %bb.929:                              ;   in Loop: Header=BB993_928 Depth=1
	s_add_nc_u64 s[8:9], s[8:9], -1
	v_add_nc_u64_e32 v[4:5], 1, v[4:5]
	s_cmp_eq_u64 s[8:9], 0
	v_add_nc_u64_e32 v[6:7], 1, v[6:7]
	s_cselect_b32 s31, -1, 0
	s_and_not1_b32 s29, s29, exec_lo
	s_and_b32 s31, s31, exec_lo
	s_and_not1_b32 s30, s30, exec_lo
	s_or_b32 s29, s29, s31
                                        ; implicit-def: $sgpr31
	s_branch .LBB993_927
.LBB993_930:
	s_or_b32 exec_lo, exec_lo, s27
	s_xor_b32 s7, s28, -1
	s_and_not1_b32 s8, s23, exec_lo
	s_and_b32 s7, s7, exec_lo
	s_delay_alu instid0(SALU_CYCLE_1)
	s_or_b32 s23, s8, s7
.LBB993_931:
	s_or_b32 exec_lo, exec_lo, s26
	s_delay_alu instid0(SALU_CYCLE_1)
	s_or_not1_b32 s23, s23, exec_lo
.LBB993_932:
	s_or_b32 exec_lo, exec_lo, s25
	v_cndmask_b32_e64 v4, v8, v9, s23
	v_cndmask_b32_e64 v5, v36, v35, s23
	s_mov_b32 s25, exec_lo
	s_delay_alu instid0(VALU_DEP_2) | instskip(NEXT) | instid1(VALU_DEP_1)
	v_add_nc_u32_e32 v6, 1, v4
	v_add_min_u32_e64 v4, v5, -1, v6
	v_cndmask_b32_e64 v8, v6, v8, s23
	s_delay_alu instid0(VALU_DEP_2)
	v_lshl_add_u32 v4, v4, 3, v31
	ds_load_b64 v[4:5], v4
	s_wait_dscnt 0x0
	v_dual_cndmask_b32 v9, v9, v6, s23 :: v_dual_cndmask_b32 v17, v4, v15, s23
	v_dual_cndmask_b32 v10, v5, v14, s23 :: v_dual_cndmask_b32 v11, v16, v5, s23
	v_cndmask_b32_e64 v38, v37, v4, s23
	v_cmpx_lt_u32_e64 v8, v36
	s_cbranch_execz .LBB993_940
; %bb.933:
	v_cmp_lt_u32_e64 s24, v9, v35
	s_and_b32 s7, s24, s16
	s_delay_alu instid0(SALU_CYCLE_1)
	s_and_saveexec_b32 s26, s7
	s_cbranch_execz .LBB993_939
; %bb.934:
	v_mad_nc_u64_u32 v[4:5], v17, s12, s[14:15]
	v_mad_nc_u64_u32 v[6:7], v38, s12, s[14:15]
	s_mov_b32 s27, 0
	s_mov_b64 s[8:9], s[12:13]
                                        ; implicit-def: $sgpr28
                                        ; implicit-def: $sgpr29
                                        ; implicit-def: $sgpr30
                                        ; implicit-def: $sgpr31
	s_delay_alu instid0(VALU_DEP_2) | instskip(NEXT) | instid1(VALU_DEP_2)
	v_mad_u32 v5, v10, s12, v5
	v_mad_u32 v7, v11, s12, v7
	s_delay_alu instid0(VALU_DEP_2) | instskip(NEXT) | instid1(VALU_DEP_2)
	v_mad_u32 v5, v17, s13, v5
	v_mad_u32 v7, v38, s13, v7
	s_branch .LBB993_936
.LBB993_935:                            ;   in Loop: Header=BB993_936 Depth=1
	s_or_b32 exec_lo, exec_lo, s7
	s_delay_alu instid0(SALU_CYCLE_1) | instskip(NEXT) | instid1(SALU_CYCLE_1)
	s_and_b32 s7, exec_lo, s29
	s_or_b32 s27, s7, s27
	s_and_not1_b32 s7, s31, exec_lo
	s_and_b32 s31, s33, exec_lo
	s_and_not1_b32 s28, s28, exec_lo
	s_and_b32 s33, s30, exec_lo
	s_or_b32 s31, s7, s31
	s_or_b32 s28, s28, s33
	s_and_not1_b32 exec_lo, exec_lo, s27
	s_cbranch_execz .LBB993_938
.LBB993_936:                            ; =>This Inner Loop Header: Depth=1
	global_load_u8 v12, v[4:5], off
	global_load_u8 v13, v[6:7], off
	s_and_not1_b32 s30, s30, exec_lo
	s_or_b32 s29, s29, exec_lo
	s_wait_loadcnt 0x1
	v_cmp_eq_u16_e32 vcc_lo, 0, v12
	s_wait_loadcnt 0x0
	v_cmp_ne_u16_e64 s7, 0, v13
	s_or_b32 s33, vcc_lo, s7
	s_and_b32 s34, vcc_lo, s7
	s_and_b32 s33, s33, s31
	s_xor_b32 s35, vcc_lo, s7
	s_or_b32 s33, s34, s33
	s_delay_alu instid0(SALU_CYCLE_1) | instskip(NEXT) | instid1(SALU_CYCLE_1)
	s_and_b32 s34, s33, exec_lo
	s_or_b32 s30, s30, s34
	s_and_saveexec_b32 s7, s35
	s_cbranch_execz .LBB993_935
; %bb.937:                              ;   in Loop: Header=BB993_936 Depth=1
	s_add_nc_u64 s[8:9], s[8:9], -1
	v_add_nc_u64_e32 v[4:5], 1, v[4:5]
	s_cmp_eq_u64 s[8:9], 0
	v_add_nc_u64_e32 v[6:7], 1, v[6:7]
	s_cselect_b32 s31, -1, 0
	s_and_not1_b32 s29, s29, exec_lo
	s_and_b32 s31, s31, exec_lo
	s_and_not1_b32 s30, s30, exec_lo
	s_or_b32 s29, s29, s31
                                        ; implicit-def: $sgpr31
	s_branch .LBB993_935
.LBB993_938:
	s_or_b32 exec_lo, exec_lo, s27
	s_xor_b32 s7, s28, -1
	s_and_not1_b32 s8, s24, exec_lo
	s_and_b32 s7, s7, exec_lo
	s_delay_alu instid0(SALU_CYCLE_1)
	s_or_b32 s24, s8, s7
.LBB993_939:
	s_or_b32 exec_lo, exec_lo, s26
	s_delay_alu instid0(SALU_CYCLE_1)
	s_or_not1_b32 s24, s24, exec_lo
.LBB993_940:
	s_or_b32 exec_lo, exec_lo, s25
	v_cndmask_b32_e64 v4, v8, v9, s24
	v_cndmask_b32_e64 v5, v36, v35, s24
	s_mov_b32 s26, -1
	s_mov_b32 s25, -1
	s_mov_b32 s27, exec_lo
	v_add_nc_u32_e32 v6, 1, v4
	s_delay_alu instid0(VALU_DEP_1) | instskip(SKIP_1) | instid1(VALU_DEP_2)
	v_add_min_u32_e64 v4, v5, -1, v6
	v_cndmask_b32_e64 v8, v6, v8, s24
	v_lshl_add_u32 v4, v4, 3, v31
	ds_load_b64 v[4:5], v4
	s_wait_dscnt 0x0
	v_dual_cndmask_b32 v9, v9, v6, s24 :: v_dual_cndmask_b32 v39, v4, v17, s24
	v_dual_cndmask_b32 v12, v5, v10, s24 :: v_dual_cndmask_b32 v13, v11, v5, s24
	v_cndmask_b32_e64 v40, v38, v4, s24
	v_cmpx_lt_u32_e64 v8, v36
	s_cbranch_execz .LBB993_948
; %bb.941:
	v_cmp_lt_u32_e64 s25, v9, v35
	s_and_b32 s7, s25, s16
	s_delay_alu instid0(SALU_CYCLE_1)
	s_and_saveexec_b32 s28, s7
	s_cbranch_execz .LBB993_947
; %bb.942:
	v_mad_nc_u64_u32 v[4:5], v39, s12, s[14:15]
	v_mad_nc_u64_u32 v[6:7], v40, s12, s[14:15]
	s_mov_b32 s29, 0
	s_mov_b64 s[8:9], s[12:13]
                                        ; implicit-def: $sgpr30
                                        ; implicit-def: $sgpr31
                                        ; implicit-def: $sgpr33
                                        ; implicit-def: $sgpr34
	s_delay_alu instid0(VALU_DEP_2) | instskip(NEXT) | instid1(VALU_DEP_2)
	v_mad_u32 v5, v12, s12, v5
	v_mad_u32 v7, v13, s12, v7
	s_delay_alu instid0(VALU_DEP_2) | instskip(NEXT) | instid1(VALU_DEP_2)
	v_mad_u32 v5, v39, s13, v5
	v_mad_u32 v7, v40, s13, v7
	s_branch .LBB993_944
.LBB993_943:                            ;   in Loop: Header=BB993_944 Depth=1
	s_or_b32 exec_lo, exec_lo, s7
	s_delay_alu instid0(SALU_CYCLE_1) | instskip(NEXT) | instid1(SALU_CYCLE_1)
	s_and_b32 s7, exec_lo, s31
	s_or_b32 s29, s7, s29
	s_and_not1_b32 s7, s34, exec_lo
	s_and_b32 s34, s35, exec_lo
	s_and_not1_b32 s30, s30, exec_lo
	s_and_b32 s35, s33, exec_lo
	s_or_b32 s34, s7, s34
	s_or_b32 s30, s30, s35
	s_and_not1_b32 exec_lo, exec_lo, s29
	s_cbranch_execz .LBB993_946
.LBB993_944:                            ; =>This Inner Loop Header: Depth=1
	global_load_u8 v22, v[4:5], off
	global_load_u8 v23, v[6:7], off
	s_and_not1_b32 s33, s33, exec_lo
	s_or_b32 s31, s31, exec_lo
	s_wait_loadcnt 0x1
	v_cmp_eq_u16_e32 vcc_lo, 0, v22
	s_wait_loadcnt 0x0
	v_cmp_ne_u16_e64 s7, 0, v23
	s_or_b32 s35, vcc_lo, s7
	s_and_b32 s36, vcc_lo, s7
	s_and_b32 s35, s35, s34
	s_xor_b32 s37, vcc_lo, s7
	s_or_b32 s35, s36, s35
	s_delay_alu instid0(SALU_CYCLE_1) | instskip(NEXT) | instid1(SALU_CYCLE_1)
	s_and_b32 s36, s35, exec_lo
	s_or_b32 s33, s33, s36
	s_and_saveexec_b32 s7, s37
	s_cbranch_execz .LBB993_943
; %bb.945:                              ;   in Loop: Header=BB993_944 Depth=1
	s_add_nc_u64 s[8:9], s[8:9], -1
	v_add_nc_u64_e32 v[4:5], 1, v[4:5]
	s_cmp_eq_u64 s[8:9], 0
	v_add_nc_u64_e32 v[6:7], 1, v[6:7]
	s_cselect_b32 s34, -1, 0
	s_and_not1_b32 s31, s31, exec_lo
	s_and_b32 s34, s34, exec_lo
	s_and_not1_b32 s33, s33, exec_lo
	s_or_b32 s31, s31, s34
                                        ; implicit-def: $sgpr34
	s_branch .LBB993_943
.LBB993_946:
	s_or_b32 exec_lo, exec_lo, s29
	s_xor_b32 s7, s30, -1
	s_and_not1_b32 s8, s25, exec_lo
	s_and_b32 s7, s7, exec_lo
	s_delay_alu instid0(SALU_CYCLE_1)
	s_or_b32 s25, s8, s7
.LBB993_947:
	s_or_b32 exec_lo, exec_lo, s28
	s_delay_alu instid0(SALU_CYCLE_1)
	s_or_not1_b32 s25, s25, exec_lo
.LBB993_948:
	s_or_b32 exec_lo, exec_lo, s27
	v_cndmask_b32_e64 v4, v8, v9, s25
	v_cndmask_b32_e64 v5, v36, v35, s25
	s_mov_b32 s27, exec_lo
	s_delay_alu instid0(VALU_DEP_2) | instskip(NEXT) | instid1(VALU_DEP_1)
	v_add_nc_u32_e32 v6, 1, v4
	v_add_min_u32_e64 v4, v5, -1, v6
	v_cndmask_b32_e64 v8, v6, v8, s25
	s_delay_alu instid0(VALU_DEP_2)
	v_lshl_add_u32 v4, v4, 3, v31
	ds_load_b64 v[4:5], v4
	s_wait_dscnt 0x0
	v_dual_cndmask_b32 v9, v9, v6, s25 :: v_dual_cndmask_b32 v42, v4, v39, s25
	v_cndmask_b32_e64 v41, v5, v12, s25
	v_dual_cndmask_b32 v43, v13, v5, s25 :: v_dual_cndmask_b32 v44, v40, v4, s25
	v_cmpx_lt_u32_e64 v8, v36
	s_cbranch_execz .LBB993_956
; %bb.949:
	v_cmp_lt_u32_e64 s26, v9, v35
	s_and_b32 s7, s26, s16
	s_delay_alu instid0(SALU_CYCLE_1)
	s_and_saveexec_b32 s28, s7
	s_cbranch_execz .LBB993_955
; %bb.950:
	v_mad_nc_u64_u32 v[4:5], v42, s12, s[14:15]
	v_mad_nc_u64_u32 v[6:7], v44, s12, s[14:15]
	s_mov_b32 s29, 0
	s_mov_b64 s[8:9], s[12:13]
                                        ; implicit-def: $sgpr30
                                        ; implicit-def: $sgpr31
                                        ; implicit-def: $sgpr33
                                        ; implicit-def: $sgpr34
	s_delay_alu instid0(VALU_DEP_2) | instskip(NEXT) | instid1(VALU_DEP_2)
	v_mad_u32 v5, v41, s12, v5
	v_mad_u32 v7, v43, s12, v7
	s_delay_alu instid0(VALU_DEP_2) | instskip(NEXT) | instid1(VALU_DEP_2)
	v_mad_u32 v5, v42, s13, v5
	v_mad_u32 v7, v44, s13, v7
	s_branch .LBB993_952
.LBB993_951:                            ;   in Loop: Header=BB993_952 Depth=1
	s_or_b32 exec_lo, exec_lo, s7
	s_delay_alu instid0(SALU_CYCLE_1) | instskip(NEXT) | instid1(SALU_CYCLE_1)
	s_and_b32 s7, exec_lo, s31
	s_or_b32 s29, s7, s29
	s_and_not1_b32 s7, s34, exec_lo
	s_and_b32 s34, s35, exec_lo
	s_and_not1_b32 s30, s30, exec_lo
	s_and_b32 s35, s33, exec_lo
	s_or_b32 s34, s7, s34
	s_or_b32 s30, s30, s35
	s_and_not1_b32 exec_lo, exec_lo, s29
	s_cbranch_execz .LBB993_954
.LBB993_952:                            ; =>This Inner Loop Header: Depth=1
	global_load_u8 v22, v[4:5], off
	global_load_u8 v23, v[6:7], off
	s_and_not1_b32 s33, s33, exec_lo
	s_or_b32 s31, s31, exec_lo
	s_wait_loadcnt 0x1
	v_cmp_eq_u16_e32 vcc_lo, 0, v22
	s_wait_loadcnt 0x0
	v_cmp_ne_u16_e64 s7, 0, v23
	s_or_b32 s35, vcc_lo, s7
	s_and_b32 s36, vcc_lo, s7
	s_and_b32 s35, s35, s34
	s_xor_b32 s37, vcc_lo, s7
	s_or_b32 s35, s36, s35
	s_delay_alu instid0(SALU_CYCLE_1) | instskip(NEXT) | instid1(SALU_CYCLE_1)
	s_and_b32 s36, s35, exec_lo
	s_or_b32 s33, s33, s36
	s_and_saveexec_b32 s7, s37
	s_cbranch_execz .LBB993_951
; %bb.953:                              ;   in Loop: Header=BB993_952 Depth=1
	s_add_nc_u64 s[8:9], s[8:9], -1
	v_add_nc_u64_e32 v[4:5], 1, v[4:5]
	s_cmp_eq_u64 s[8:9], 0
	v_add_nc_u64_e32 v[6:7], 1, v[6:7]
	s_cselect_b32 s34, -1, 0
	s_and_not1_b32 s31, s31, exec_lo
	s_and_b32 s34, s34, exec_lo
	s_and_not1_b32 s33, s33, exec_lo
	s_or_b32 s31, s31, s34
                                        ; implicit-def: $sgpr34
	s_branch .LBB993_951
.LBB993_954:
	s_or_b32 exec_lo, exec_lo, s29
	s_xor_b32 s7, s30, -1
	s_and_not1_b32 s8, s26, exec_lo
	s_and_b32 s7, s7, exec_lo
	s_delay_alu instid0(SALU_CYCLE_1)
	s_or_b32 s26, s8, s7
.LBB993_955:
	s_or_b32 exec_lo, exec_lo, s28
	s_delay_alu instid0(SALU_CYCLE_1)
	s_or_not1_b32 s26, s26, exec_lo
.LBB993_956:
	s_or_b32 exec_lo, exec_lo, s27
	v_cndmask_b32_e64 v4, v8, v9, s26
	v_cndmask_b32_e64 v5, v36, v35, s26
	s_mov_b32 s27, -1
	s_mov_b32 s28, -1
	s_mov_b32 s29, exec_lo
	v_add_nc_u32_e32 v6, 1, v4
	s_delay_alu instid0(VALU_DEP_1) | instskip(SKIP_1) | instid1(VALU_DEP_2)
	v_add_min_u32_e64 v4, v5, -1, v6
	v_cndmask_b32_e64 v22, v6, v8, s26
	v_lshl_add_u32 v4, v4, 3, v31
	ds_load_b64 v[4:5], v4
	s_wait_dscnt 0x0
	v_dual_cndmask_b32 v23, v9, v6, s26 :: v_dual_cndmask_b32 v9, v43, v5, s26
	v_dual_cndmask_b32 v8, v5, v41, s26 :: v_dual_cndmask_b32 v45, v4, v42, s26
	v_cndmask_b32_e64 v46, v44, v4, s26
	v_cmpx_lt_u32_e64 v22, v36
	s_cbranch_execz .LBB993_964
; %bb.957:
	v_cmp_lt_u32_e64 s28, v23, v35
	s_and_b32 s7, s28, s16
	s_delay_alu instid0(SALU_CYCLE_1)
	s_and_saveexec_b32 s30, s7
	s_cbranch_execz .LBB993_963
; %bb.958:
	v_mad_nc_u64_u32 v[4:5], v45, s12, s[14:15]
	v_mad_nc_u64_u32 v[6:7], v46, s12, s[14:15]
	s_mov_b32 s31, 0
	s_mov_b64 s[8:9], s[12:13]
                                        ; implicit-def: $sgpr33
                                        ; implicit-def: $sgpr34
                                        ; implicit-def: $sgpr35
                                        ; implicit-def: $sgpr36
	s_delay_alu instid0(VALU_DEP_2) | instskip(NEXT) | instid1(VALU_DEP_2)
	v_mad_u32 v5, v8, s12, v5
	v_mad_u32 v7, v9, s12, v7
	s_delay_alu instid0(VALU_DEP_2) | instskip(NEXT) | instid1(VALU_DEP_2)
	v_mad_u32 v5, v45, s13, v5
	v_mad_u32 v7, v46, s13, v7
	s_branch .LBB993_960
.LBB993_959:                            ;   in Loop: Header=BB993_960 Depth=1
	s_or_b32 exec_lo, exec_lo, s7
	s_delay_alu instid0(SALU_CYCLE_1) | instskip(NEXT) | instid1(SALU_CYCLE_1)
	s_and_b32 s7, exec_lo, s34
	s_or_b32 s31, s7, s31
	s_and_not1_b32 s7, s36, exec_lo
	s_and_b32 s36, s37, exec_lo
	s_and_not1_b32 s33, s33, exec_lo
	s_and_b32 s37, s35, exec_lo
	s_or_b32 s36, s7, s36
	s_or_b32 s33, s33, s37
	s_and_not1_b32 exec_lo, exec_lo, s31
	s_cbranch_execz .LBB993_962
.LBB993_960:                            ; =>This Inner Loop Header: Depth=1
	global_load_u8 v47, v[4:5], off
	global_load_u8 v48, v[6:7], off
	s_and_not1_b32 s35, s35, exec_lo
	s_or_b32 s34, s34, exec_lo
	s_wait_loadcnt 0x1
	v_cmp_eq_u16_e32 vcc_lo, 0, v47
	s_wait_loadcnt 0x0
	v_cmp_ne_u16_e64 s7, 0, v48
	s_or_b32 s37, vcc_lo, s7
	s_and_b32 s38, vcc_lo, s7
	s_and_b32 s37, s37, s36
	s_xor_b32 s39, vcc_lo, s7
	s_or_b32 s37, s38, s37
	s_delay_alu instid0(SALU_CYCLE_1) | instskip(NEXT) | instid1(SALU_CYCLE_1)
	s_and_b32 s38, s37, exec_lo
	s_or_b32 s35, s35, s38
	s_and_saveexec_b32 s7, s39
	s_cbranch_execz .LBB993_959
; %bb.961:                              ;   in Loop: Header=BB993_960 Depth=1
	s_add_nc_u64 s[8:9], s[8:9], -1
	v_add_nc_u64_e32 v[4:5], 1, v[4:5]
	s_cmp_eq_u64 s[8:9], 0
	v_add_nc_u64_e32 v[6:7], 1, v[6:7]
	s_cselect_b32 s36, -1, 0
	s_and_not1_b32 s34, s34, exec_lo
	s_and_b32 s36, s36, exec_lo
	s_and_not1_b32 s35, s35, exec_lo
	s_or_b32 s34, s34, s36
                                        ; implicit-def: $sgpr36
	s_branch .LBB993_959
.LBB993_962:
	s_or_b32 exec_lo, exec_lo, s31
	s_xor_b32 s7, s33, -1
	s_and_not1_b32 s8, s28, exec_lo
	s_and_b32 s7, s7, exec_lo
	s_delay_alu instid0(SALU_CYCLE_1)
	s_or_b32 s28, s8, s7
.LBB993_963:
	s_or_b32 exec_lo, exec_lo, s30
	s_delay_alu instid0(SALU_CYCLE_1)
	s_or_not1_b32 s28, s28, exec_lo
.LBB993_964:
	s_or_b32 exec_lo, exec_lo, s29
	v_cndmask_b32_e64 v4, v22, v23, s28
	v_cndmask_b32_e64 v5, v36, v35, s28
	s_mov_b32 s29, exec_lo
	s_delay_alu instid0(VALU_DEP_2) | instskip(NEXT) | instid1(VALU_DEP_1)
	v_add_nc_u32_e32 v6, 1, v4
	v_add_min_u32_e64 v4, v5, -1, v6
	v_cndmask_b32_e64 v47, v23, v6, s28
	s_delay_alu instid0(VALU_DEP_2)
	v_lshl_add_u32 v4, v4, 3, v31
	ds_load_b64 v[4:5], v4
	s_wait_dscnt 0x0
	v_dual_cndmask_b32 v50, v6, v22, s28 :: v_dual_cndmask_b32 v48, v5, v8, s28
	v_dual_cndmask_b32 v49, v4, v45, s28 :: v_dual_cndmask_b32 v52, v46, v4, s28
	v_cndmask_b32_e64 v51, v9, v5, s28
	s_delay_alu instid0(VALU_DEP_3)
	v_cmpx_lt_u32_e64 v50, v36
	s_cbranch_execz .LBB993_972
; %bb.965:
	v_cmp_lt_u32_e64 s27, v47, v35
	s_and_b32 s7, s27, s16
	s_delay_alu instid0(SALU_CYCLE_1)
	s_and_saveexec_b32 s30, s7
	s_cbranch_execz .LBB993_971
; %bb.966:
	v_mad_nc_u64_u32 v[4:5], v49, s12, s[14:15]
	v_mad_nc_u64_u32 v[6:7], v52, s12, s[14:15]
	s_mov_b32 s31, 0
	s_mov_b64 s[8:9], s[12:13]
                                        ; implicit-def: $sgpr33
                                        ; implicit-def: $sgpr34
                                        ; implicit-def: $sgpr35
                                        ; implicit-def: $sgpr36
	s_delay_alu instid0(VALU_DEP_2) | instskip(NEXT) | instid1(VALU_DEP_2)
	v_mad_u32 v5, v48, s12, v5
	v_mad_u32 v7, v51, s12, v7
	s_delay_alu instid0(VALU_DEP_2) | instskip(NEXT) | instid1(VALU_DEP_2)
	v_mad_u32 v5, v49, s13, v5
	v_mad_u32 v7, v52, s13, v7
	s_branch .LBB993_968
.LBB993_967:                            ;   in Loop: Header=BB993_968 Depth=1
	s_or_b32 exec_lo, exec_lo, s7
	s_delay_alu instid0(SALU_CYCLE_1) | instskip(NEXT) | instid1(SALU_CYCLE_1)
	s_and_b32 s7, exec_lo, s34
	s_or_b32 s31, s7, s31
	s_and_not1_b32 s7, s36, exec_lo
	s_and_b32 s36, s37, exec_lo
	s_and_not1_b32 s33, s33, exec_lo
	s_and_b32 s37, s35, exec_lo
	s_or_b32 s36, s7, s36
	s_or_b32 s33, s33, s37
	s_and_not1_b32 exec_lo, exec_lo, s31
	s_cbranch_execz .LBB993_970
.LBB993_968:                            ; =>This Inner Loop Header: Depth=1
	global_load_u8 v22, v[4:5], off
	global_load_u8 v23, v[6:7], off
	s_and_not1_b32 s35, s35, exec_lo
	s_or_b32 s34, s34, exec_lo
	s_wait_loadcnt 0x1
	v_cmp_eq_u16_e32 vcc_lo, 0, v22
	s_wait_loadcnt 0x0
	v_cmp_ne_u16_e64 s7, 0, v23
	s_or_b32 s37, vcc_lo, s7
	s_and_b32 s38, vcc_lo, s7
	s_and_b32 s37, s37, s36
	s_xor_b32 s39, vcc_lo, s7
	s_or_b32 s37, s38, s37
	s_delay_alu instid0(SALU_CYCLE_1) | instskip(NEXT) | instid1(SALU_CYCLE_1)
	s_and_b32 s38, s37, exec_lo
	s_or_b32 s35, s35, s38
	s_and_saveexec_b32 s7, s39
	s_cbranch_execz .LBB993_967
; %bb.969:                              ;   in Loop: Header=BB993_968 Depth=1
	s_add_nc_u64 s[8:9], s[8:9], -1
	v_add_nc_u64_e32 v[4:5], 1, v[4:5]
	s_cmp_eq_u64 s[8:9], 0
	v_add_nc_u64_e32 v[6:7], 1, v[6:7]
	s_cselect_b32 s36, -1, 0
	s_and_not1_b32 s34, s34, exec_lo
	s_and_b32 s36, s36, exec_lo
	s_and_not1_b32 s35, s35, exec_lo
	s_or_b32 s34, s34, s36
                                        ; implicit-def: $sgpr36
	s_branch .LBB993_967
.LBB993_970:
	s_or_b32 exec_lo, exec_lo, s31
	s_xor_b32 s7, s33, -1
	s_and_not1_b32 s8, s27, exec_lo
	s_and_b32 s7, s7, exec_lo
	s_delay_alu instid0(SALU_CYCLE_1)
	s_or_b32 s27, s8, s7
.LBB993_971:
	s_or_b32 exec_lo, exec_lo, s30
	s_delay_alu instid0(SALU_CYCLE_1)
	s_or_not1_b32 s27, s27, exec_lo
.LBB993_972:
	s_or_b32 exec_lo, exec_lo, s29
	v_dual_cndmask_b32 v4, v50, v47, s27 :: v_dual_cndmask_b32 v9, v8, v9, s28
	v_dual_cndmask_b32 v5, v36, v35, s27 :: v_dual_cndmask_b32 v8, v45, v46, s28
	v_cndmask_b32_e64 v6, v42, v44, s26
	s_delay_alu instid0(VALU_DEP_3) | instskip(SKIP_2) | instid1(VALU_DEP_3)
	v_dual_add_nc_u32 v53, 1, v4 :: v_dual_cndmask_b32 v7, v41, v43, s26
	v_dual_cndmask_b32 v13, v12, v13, s25 :: v_dual_cndmask_b32 v12, v39, v40, s25
	v_cndmask_b32_e64 v11, v10, v11, s24
	v_add_min_u32_e64 v4, v5, -1, v53
	v_dual_cndmask_b32 v10, v17, v38, s24 :: v_dual_cndmask_b32 v17, v14, v16, s23
	v_dual_cndmask_b32 v16, v15, v37, s23 :: v_dual_cndmask_b32 v14, v2, v0, s22
	s_delay_alu instid0(VALU_DEP_3)
	v_lshl_add_u32 v4, v4, 3, v31
	v_dual_cndmask_b32 v15, v3, v1, s22 :: v_dual_cndmask_b32 v0, v53, v50, s27
	v_dual_cndmask_b32 v3, v48, v51, s27 :: v_dual_cndmask_b32 v2, v49, v52, s27
	ds_load_b64 v[22:23], v4
	s_mov_b32 s22, exec_lo
	s_wait_dscnt 0x0
	v_dual_cndmask_b32 v5, v51, v23, s27 :: v_dual_cndmask_b32 v4, v52, v22, s27
	v_cmpx_lt_u32_e64 v0, v36
	s_cbranch_execz .LBB993_980
; %bb.973:
	v_dual_cndmask_b32 v36, v23, v48, s27 :: v_dual_cndmask_b32 v37, v22, v49, s27
	v_cndmask_b32_e64 v0, v47, v53, s27
	s_delay_alu instid0(VALU_DEP_1) | instskip(NEXT) | instid1(VALU_DEP_3)
	v_cmp_ge_u32_e32 vcc_lo, v0, v35
	v_dual_cndmask_b32 v1, v5, v36 :: v_dual_cndmask_b32 v0, v4, v37
	s_nor_b32 s7, vcc_lo, s19
	s_delay_alu instid0(SALU_CYCLE_1)
	s_and_saveexec_b32 s23, s7
	s_cbranch_execz .LBB993_979
; %bb.974:
	v_mad_nc_u64_u32 v[0:1], v37, s12, s[14:15]
	v_mad_nc_u64_u32 v[22:23], v4, s12, s[14:15]
	s_mov_b32 s24, 0
	s_mov_b64 s[8:9], s[12:13]
                                        ; implicit-def: $sgpr25
                                        ; implicit-def: $sgpr26
                                        ; implicit-def: $sgpr27
                                        ; implicit-def: $sgpr28
	s_delay_alu instid0(VALU_DEP_2) | instskip(NEXT) | instid1(VALU_DEP_2)
	v_mad_u32 v1, v36, s12, v1
	v_mad_u32 v23, v5, s12, v23
	s_delay_alu instid0(VALU_DEP_2) | instskip(NEXT) | instid1(VALU_DEP_2)
	v_mad_u32 v1, v37, s13, v1
	v_mad_u32 v23, v4, s13, v23
	s_branch .LBB993_976
.LBB993_975:                            ;   in Loop: Header=BB993_976 Depth=1
	s_or_b32 exec_lo, exec_lo, s7
	s_delay_alu instid0(SALU_CYCLE_1) | instskip(NEXT) | instid1(SALU_CYCLE_1)
	s_and_b32 s7, exec_lo, s26
	s_or_b32 s24, s7, s24
	s_and_not1_b32 s7, s28, exec_lo
	s_and_b32 s28, s29, exec_lo
	s_and_not1_b32 s25, s25, exec_lo
	s_and_b32 s29, s27, exec_lo
	s_or_b32 s28, s7, s28
	s_or_b32 s25, s25, s29
	s_and_not1_b32 exec_lo, exec_lo, s24
	s_cbranch_execz .LBB993_978
.LBB993_976:                            ; =>This Inner Loop Header: Depth=1
	global_load_u8 v35, v[0:1], off
	global_load_u8 v38, v[22:23], off
	s_and_not1_b32 s27, s27, exec_lo
	s_or_b32 s26, s26, exec_lo
	s_wait_loadcnt 0x1
	v_cmp_eq_u16_e32 vcc_lo, 0, v35
	s_wait_loadcnt 0x0
	v_cmp_ne_u16_e64 s7, 0, v38
	s_or_b32 s29, vcc_lo, s7
	s_and_b32 s30, vcc_lo, s7
	s_and_b32 s29, s29, s28
	s_xor_b32 s31, vcc_lo, s7
	s_or_b32 s29, s30, s29
	s_delay_alu instid0(SALU_CYCLE_1) | instskip(NEXT) | instid1(SALU_CYCLE_1)
	s_and_b32 s30, s29, exec_lo
	s_or_b32 s27, s27, s30
	s_and_saveexec_b32 s7, s31
	s_cbranch_execz .LBB993_975
; %bb.977:                              ;   in Loop: Header=BB993_976 Depth=1
	s_add_nc_u64 s[8:9], s[8:9], -1
	v_add_nc_u64_e32 v[0:1], 1, v[0:1]
	s_cmp_eq_u64 s[8:9], 0
	v_add_nc_u64_e32 v[22:23], 1, v[22:23]
	s_cselect_b32 s28, -1, 0
	s_and_not1_b32 s26, s26, exec_lo
	s_and_b32 s28, s28, exec_lo
	s_and_not1_b32 s27, s27, exec_lo
	s_or_b32 s26, s26, s28
                                        ; implicit-def: $sgpr28
	s_branch .LBB993_975
.LBB993_978:
	s_or_b32 exec_lo, exec_lo, s24
	v_dual_cndmask_b32 v1, v5, v36, s25 :: v_dual_cndmask_b32 v0, v4, v37, s25
.LBB993_979:
	s_or_b32 exec_lo, exec_lo, s23
	s_delay_alu instid0(VALU_DEP_1)
	v_mov_b64_e32 v[4:5], v[0:1]
.LBB993_980:
	s_or_b32 exec_lo, exec_lo, s22
.LBB993_981:
	s_delay_alu instid0(SALU_CYCLE_1)
	s_or_b32 exec_lo, exec_lo, s17
	v_and_b32_e32 v39, 0xc0, v33
	s_mov_b32 s17, exec_lo
	; wave barrier
	ds_store_b128 v34, v[14:17]
	ds_store_b128 v34, v[10:13] offset:16
	v_or_b32_e32 v0, 32, v39
	v_lshl_add_u32 v38, v39, 3, v31
	ds_store_b128 v34, v[6:9] offset:32
	ds_store_b128 v34, v[2:5] offset:48
	; wave barrier
	v_min_u32_e32 v35, v32, v0
	v_and_b32_e32 v0, 56, v33
	s_delay_alu instid0(VALU_DEP_2) | instskip(NEXT) | instid1(VALU_DEP_2)
	v_add_min_u32_e64 v36, v35, 32, v32
	v_min_u32_e32 v40, v32, v0
	v_sub_nc_u32_e32 v1, v35, v39
	s_delay_alu instid0(VALU_DEP_3) | instskip(NEXT) | instid1(VALU_DEP_2)
	v_sub_nc_u32_e32 v0, v36, v35
	v_min_u32_e32 v41, v40, v1
	s_delay_alu instid0(VALU_DEP_2) | instskip(NEXT) | instid1(VALU_DEP_1)
	v_sub_nc_u32_e64 v37, v40, v0 clamp
	v_cmpx_lt_u32_e64 v37, v41
	s_cbranch_execz .LBB993_991
; %bb.982:
	v_dual_lshlrev_b32 v0, 3, v35 :: v_dual_lshlrev_b32 v1, 3, v40
	s_mov_b32 s22, 0
	s_delay_alu instid0(VALU_DEP_1)
	v_add3_u32 v42, v31, v0, v1
	s_branch .LBB993_985
.LBB993_983:                            ;   in Loop: Header=BB993_985 Depth=1
	s_or_b32 exec_lo, exec_lo, s24
.LBB993_984:                            ;   in Loop: Header=BB993_985 Depth=1
	s_delay_alu instid0(VALU_DEP_1) | instskip(NEXT) | instid1(VALU_DEP_1)
	v_dual_add_nc_u32 v0, 1, v43 :: v_dual_cndmask_b32 v41, v41, v43, s23
	v_cndmask_b32_e64 v37, v0, v37, s23
	s_delay_alu instid0(VALU_DEP_1) | instskip(SKIP_1) | instid1(SALU_CYCLE_1)
	v_cmp_ge_u32_e32 vcc_lo, v37, v41
	s_or_b32 s22, vcc_lo, s22
	s_and_not1_b32 exec_lo, exec_lo, s22
	s_cbranch_execz .LBB993_990
.LBB993_985:                            ; =>This Loop Header: Depth=1
                                        ;     Child Loop BB993_988 Depth 2
	v_add_nc_u32_e32 v0, v41, v37
	s_and_not1_b32 vcc_lo, exec_lo, s18
	s_mov_b32 s23, 0
	s_delay_alu instid0(VALU_DEP_1)
	v_lshrrev_b32_e32 v43, 1, v0
	s_cbranch_vccnz .LBB993_984
; %bb.986:                              ;   in Loop: Header=BB993_985 Depth=1
	s_delay_alu instid0(VALU_DEP_1) | instskip(SKIP_3) | instid1(VALU_DEP_2)
	v_not_b32_e32 v0, v43
	v_lshl_add_u32 v1, v43, 3, v38
	s_mov_b32 s24, 0
	s_mov_b64 s[8:9], s[12:13]
                                        ; implicit-def: $sgpr23
                                        ; implicit-def: $sgpr25
                                        ; implicit-def: $sgpr26
                                        ; implicit-def: $sgpr27
	v_lshl_add_u32 v0, v0, 3, v42
	ds_load_b64 v[44:45], v0
	ds_load_b64 v[46:47], v1
	s_wait_dscnt 0x1
	v_mad_nc_u64_u32 v[0:1], v44, s12, s[14:15]
	s_wait_dscnt 0x0
	v_mad_nc_u64_u32 v[22:23], v46, s12, s[14:15]
	s_delay_alu instid0(VALU_DEP_2) | instskip(NEXT) | instid1(VALU_DEP_2)
	v_mad_u32 v1, v45, s12, v1
	v_mad_u32 v23, v47, s12, v23
	s_delay_alu instid0(VALU_DEP_2) | instskip(NEXT) | instid1(VALU_DEP_2)
	v_mad_u32 v1, v44, s13, v1
	v_mad_u32 v23, v46, s13, v23
	s_branch .LBB993_988
.LBB993_987:                            ;   in Loop: Header=BB993_988 Depth=2
	s_or_b32 exec_lo, exec_lo, s7
	s_delay_alu instid0(SALU_CYCLE_1) | instskip(NEXT) | instid1(SALU_CYCLE_1)
	s_and_b32 s7, exec_lo, s25
	s_or_b32 s24, s7, s24
	s_and_not1_b32 s7, s27, exec_lo
	s_and_b32 s27, s28, exec_lo
	s_and_not1_b32 s23, s23, exec_lo
	s_and_b32 s28, s26, exec_lo
	s_or_b32 s27, s7, s27
	s_or_b32 s23, s23, s28
	s_and_not1_b32 exec_lo, exec_lo, s24
	s_cbranch_execz .LBB993_983
.LBB993_988:                            ;   Parent Loop BB993_985 Depth=1
                                        ; =>  This Inner Loop Header: Depth=2
	global_load_u8 v44, v[0:1], off
	global_load_u8 v45, v[22:23], off
	s_and_not1_b32 s26, s26, exec_lo
	s_or_b32 s25, s25, exec_lo
	s_wait_loadcnt 0x1
	v_cmp_eq_u16_e32 vcc_lo, 0, v44
	s_wait_loadcnt 0x0
	v_cmp_ne_u16_e64 s7, 0, v45
	s_or_b32 s28, vcc_lo, s7
	s_and_b32 s29, vcc_lo, s7
	s_and_b32 s28, s28, s27
	s_xor_b32 s30, vcc_lo, s7
	s_or_b32 s28, s29, s28
	s_delay_alu instid0(SALU_CYCLE_1) | instskip(NEXT) | instid1(SALU_CYCLE_1)
	s_and_b32 s29, s28, exec_lo
	s_or_b32 s26, s26, s29
	s_and_saveexec_b32 s7, s30
	s_cbranch_execz .LBB993_987
; %bb.989:                              ;   in Loop: Header=BB993_988 Depth=2
	s_add_nc_u64 s[8:9], s[8:9], -1
	v_add_nc_u64_e32 v[0:1], 1, v[0:1]
	s_cmp_eq_u64 s[8:9], 0
	v_add_nc_u64_e32 v[22:23], 1, v[22:23]
	s_cselect_b32 s27, -1, 0
	s_and_not1_b32 s25, s25, exec_lo
	s_and_b32 s27, s27, exec_lo
	s_and_not1_b32 s26, s26, exec_lo
	s_or_b32 s25, s25, s27
                                        ; implicit-def: $sgpr27
	s_branch .LBB993_987
.LBB993_990:
	s_or_b32 exec_lo, exec_lo, s22
.LBB993_991:
	s_delay_alu instid0(SALU_CYCLE_1) | instskip(SKIP_1) | instid1(VALU_DEP_1)
	s_or_b32 exec_lo, exec_lo, s17
	v_dual_add_nc_u32 v0, v35, v40 :: v_dual_add_nc_u32 v22, v37, v39
	v_sub_nc_u32_e32 v23, v0, v37
	s_delay_alu instid0(VALU_DEP_2) | instskip(NEXT) | instid1(VALU_DEP_2)
	v_cmp_le_u32_e32 vcc_lo, v22, v35
	v_cmp_le_u32_e64 s7, v23, v36
	s_or_b32 s7, vcc_lo, s7
	s_delay_alu instid0(SALU_CYCLE_1)
	s_and_saveexec_b32 s17, s7
	s_cbranch_execz .LBB993_1059
; %bb.992:
	s_mov_b32 s8, exec_lo
	v_cmp_ge_u32_e32 vcc_lo, v22, v35
                                        ; implicit-def: $vgpr0_vgpr1
	v_cmpx_lt_u32_e64 v22, v35
; %bb.993:
	v_lshl_add_u32 v0, v37, 3, v38
	ds_load_b64 v[0:1], v0
; %bb.994:
	s_or_b32 exec_lo, exec_lo, s8
	v_cmp_ge_u32_e64 s7, v23, v36
	s_mov_b32 s9, exec_lo
                                        ; implicit-def: $vgpr2_vgpr3
	v_cmpx_lt_u32_e64 v23, v36
; %bb.995:
	v_lshl_add_u32 v2, v23, 3, v31
	ds_load_b64 v[2:3], v2
; %bb.996:
	s_or_b32 exec_lo, exec_lo, s9
	s_or_b32 s8, vcc_lo, s7
	s_xor_b32 s9, vcc_lo, -1
	s_nor_b32 s8, s8, s19
	s_or_b32 s22, s7, s9
	s_and_saveexec_b32 s23, s8
	s_cbranch_execz .LBB993_1002
; %bb.997:
	s_wait_dscnt 0x0
	v_mad_nc_u64_u32 v[4:5], v2, s12, s[14:15]
	v_mad_nc_u64_u32 v[6:7], v0, s12, s[14:15]
	s_mov_b32 s24, 0
	s_mov_b64 s[8:9], s[12:13]
                                        ; implicit-def: $sgpr25
                                        ; implicit-def: $sgpr26
                                        ; implicit-def: $sgpr27
                                        ; implicit-def: $sgpr28
	s_delay_alu instid0(VALU_DEP_2) | instskip(NEXT) | instid1(VALU_DEP_2)
	v_mad_u32 v5, v3, s12, v5
	v_mad_u32 v7, v1, s12, v7
	s_delay_alu instid0(VALU_DEP_2) | instskip(NEXT) | instid1(VALU_DEP_2)
	v_mad_u32 v5, v2, s13, v5
	v_mad_u32 v7, v0, s13, v7
	s_branch .LBB993_999
.LBB993_998:                            ;   in Loop: Header=BB993_999 Depth=1
	s_or_b32 exec_lo, exec_lo, s7
	s_delay_alu instid0(SALU_CYCLE_1) | instskip(NEXT) | instid1(SALU_CYCLE_1)
	s_and_b32 s7, exec_lo, s26
	s_or_b32 s24, s7, s24
	s_and_not1_b32 s7, s28, exec_lo
	s_and_b32 s28, s29, exec_lo
	s_and_not1_b32 s25, s25, exec_lo
	s_and_b32 s29, s27, exec_lo
	s_or_b32 s28, s7, s28
	s_or_b32 s25, s25, s29
	s_and_not1_b32 exec_lo, exec_lo, s24
	s_cbranch_execz .LBB993_1001
.LBB993_999:                            ; =>This Inner Loop Header: Depth=1
	global_load_u8 v8, v[4:5], off
	global_load_u8 v9, v[6:7], off
	s_and_not1_b32 s27, s27, exec_lo
	s_or_b32 s26, s26, exec_lo
	s_wait_loadcnt 0x1
	v_cmp_eq_u16_e32 vcc_lo, 0, v8
	s_wait_loadcnt 0x0
	v_cmp_ne_u16_e64 s7, 0, v9
	s_or_b32 s29, vcc_lo, s7
	s_and_b32 s30, vcc_lo, s7
	s_and_b32 s29, s29, s28
	s_xor_b32 s31, vcc_lo, s7
	s_or_b32 s29, s30, s29
	s_delay_alu instid0(SALU_CYCLE_1) | instskip(NEXT) | instid1(SALU_CYCLE_1)
	s_and_b32 s30, s29, exec_lo
	s_or_b32 s27, s27, s30
	s_and_saveexec_b32 s7, s31
	s_cbranch_execz .LBB993_998
; %bb.1000:                             ;   in Loop: Header=BB993_999 Depth=1
	s_add_nc_u64 s[8:9], s[8:9], -1
	v_add_nc_u64_e32 v[4:5], 1, v[4:5]
	s_cmp_eq_u64 s[8:9], 0
	v_add_nc_u64_e32 v[6:7], 1, v[6:7]
	s_cselect_b32 s28, -1, 0
	s_and_not1_b32 s26, s26, exec_lo
	s_and_b32 s28, s28, exec_lo
	s_and_not1_b32 s27, s27, exec_lo
	s_or_b32 s26, s26, s28
                                        ; implicit-def: $sgpr28
	s_branch .LBB993_998
.LBB993_1001:
	s_or_b32 exec_lo, exec_lo, s24
	s_xor_b32 s7, s25, -1
	s_and_not1_b32 s8, s22, exec_lo
	s_and_b32 s7, s7, exec_lo
	s_delay_alu instid0(SALU_CYCLE_1)
	s_or_b32 s22, s8, s7
.LBB993_1002:
	s_or_b32 exec_lo, exec_lo, s23
	v_dual_cndmask_b32 v4, v23, v22, s22 :: v_dual_cndmask_b32 v5, v36, v35, s22
	s_mov_b32 s24, -1
	s_mov_b32 s23, -1
	s_mov_b32 s25, exec_lo
	s_delay_alu instid0(VALU_DEP_1) | instskip(NEXT) | instid1(VALU_DEP_1)
	v_add_nc_u32_e32 v6, 1, v4
	v_add_min_u32_e64 v4, v5, -1, v6
	s_delay_alu instid0(VALU_DEP_1)
	v_lshl_add_u32 v4, v4, 3, v31
	ds_load_b64 v[4:5], v4
	s_wait_dscnt 0x0
	v_cndmask_b32_e64 v14, v5, v3, s22
	v_dual_cndmask_b32 v8, v6, v23, s22 :: v_dual_cndmask_b32 v15, v4, v2, s22
	v_dual_cndmask_b32 v9, v22, v6, s22 :: v_dual_cndmask_b32 v16, v1, v5, s22
	v_cndmask_b32_e64 v37, v0, v4, s22
	s_delay_alu instid0(VALU_DEP_3)
	v_cmpx_lt_u32_e64 v8, v36
	s_cbranch_execz .LBB993_1010
; %bb.1003:
	s_delay_alu instid0(VALU_DEP_3) | instskip(SKIP_1) | instid1(SALU_CYCLE_1)
	v_cmp_lt_u32_e64 s23, v9, v35
	s_and_b32 s7, s23, s16
	s_and_saveexec_b32 s26, s7
	s_cbranch_execz .LBB993_1009
; %bb.1004:
	v_mad_nc_u64_u32 v[4:5], v15, s12, s[14:15]
	v_mad_nc_u64_u32 v[6:7], v37, s12, s[14:15]
	s_mov_b32 s27, 0
	s_mov_b64 s[8:9], s[12:13]
                                        ; implicit-def: $sgpr28
                                        ; implicit-def: $sgpr29
                                        ; implicit-def: $sgpr30
                                        ; implicit-def: $sgpr31
	s_delay_alu instid0(VALU_DEP_2) | instskip(NEXT) | instid1(VALU_DEP_2)
	v_mad_u32 v5, v14, s12, v5
	v_mad_u32 v7, v16, s12, v7
	s_delay_alu instid0(VALU_DEP_2) | instskip(NEXT) | instid1(VALU_DEP_2)
	v_mad_u32 v5, v15, s13, v5
	v_mad_u32 v7, v37, s13, v7
	s_branch .LBB993_1006
.LBB993_1005:                           ;   in Loop: Header=BB993_1006 Depth=1
	s_or_b32 exec_lo, exec_lo, s7
	s_delay_alu instid0(SALU_CYCLE_1) | instskip(NEXT) | instid1(SALU_CYCLE_1)
	s_and_b32 s7, exec_lo, s29
	s_or_b32 s27, s7, s27
	s_and_not1_b32 s7, s31, exec_lo
	s_and_b32 s31, s33, exec_lo
	s_and_not1_b32 s28, s28, exec_lo
	s_and_b32 s33, s30, exec_lo
	s_or_b32 s31, s7, s31
	s_or_b32 s28, s28, s33
	s_and_not1_b32 exec_lo, exec_lo, s27
	s_cbranch_execz .LBB993_1008
.LBB993_1006:                           ; =>This Inner Loop Header: Depth=1
	global_load_u8 v10, v[4:5], off
	global_load_u8 v11, v[6:7], off
	s_and_not1_b32 s30, s30, exec_lo
	s_or_b32 s29, s29, exec_lo
	s_wait_loadcnt 0x1
	v_cmp_eq_u16_e32 vcc_lo, 0, v10
	s_wait_loadcnt 0x0
	v_cmp_ne_u16_e64 s7, 0, v11
	s_or_b32 s33, vcc_lo, s7
	s_and_b32 s34, vcc_lo, s7
	s_and_b32 s33, s33, s31
	s_xor_b32 s35, vcc_lo, s7
	s_or_b32 s33, s34, s33
	s_delay_alu instid0(SALU_CYCLE_1) | instskip(NEXT) | instid1(SALU_CYCLE_1)
	s_and_b32 s34, s33, exec_lo
	s_or_b32 s30, s30, s34
	s_and_saveexec_b32 s7, s35
	s_cbranch_execz .LBB993_1005
; %bb.1007:                             ;   in Loop: Header=BB993_1006 Depth=1
	s_add_nc_u64 s[8:9], s[8:9], -1
	v_add_nc_u64_e32 v[4:5], 1, v[4:5]
	s_cmp_eq_u64 s[8:9], 0
	v_add_nc_u64_e32 v[6:7], 1, v[6:7]
	s_cselect_b32 s31, -1, 0
	s_and_not1_b32 s29, s29, exec_lo
	s_and_b32 s31, s31, exec_lo
	s_and_not1_b32 s30, s30, exec_lo
	s_or_b32 s29, s29, s31
                                        ; implicit-def: $sgpr31
	s_branch .LBB993_1005
.LBB993_1008:
	s_or_b32 exec_lo, exec_lo, s27
	s_xor_b32 s7, s28, -1
	s_and_not1_b32 s8, s23, exec_lo
	s_and_b32 s7, s7, exec_lo
	s_delay_alu instid0(SALU_CYCLE_1)
	s_or_b32 s23, s8, s7
.LBB993_1009:
	s_or_b32 exec_lo, exec_lo, s26
	s_delay_alu instid0(SALU_CYCLE_1)
	s_or_not1_b32 s23, s23, exec_lo
.LBB993_1010:
	s_or_b32 exec_lo, exec_lo, s25
	v_cndmask_b32_e64 v4, v8, v9, s23
	v_cndmask_b32_e64 v5, v36, v35, s23
	s_mov_b32 s25, exec_lo
	s_delay_alu instid0(VALU_DEP_2) | instskip(NEXT) | instid1(VALU_DEP_1)
	v_add_nc_u32_e32 v6, 1, v4
	v_add_min_u32_e64 v4, v5, -1, v6
	v_cndmask_b32_e64 v8, v6, v8, s23
	s_delay_alu instid0(VALU_DEP_2)
	v_lshl_add_u32 v4, v4, 3, v31
	ds_load_b64 v[4:5], v4
	s_wait_dscnt 0x0
	v_dual_cndmask_b32 v9, v9, v6, s23 :: v_dual_cndmask_b32 v17, v4, v15, s23
	v_dual_cndmask_b32 v10, v5, v14, s23 :: v_dual_cndmask_b32 v11, v16, v5, s23
	v_cndmask_b32_e64 v38, v37, v4, s23
	v_cmpx_lt_u32_e64 v8, v36
	s_cbranch_execz .LBB993_1018
; %bb.1011:
	v_cmp_lt_u32_e64 s24, v9, v35
	s_and_b32 s7, s24, s16
	s_delay_alu instid0(SALU_CYCLE_1)
	s_and_saveexec_b32 s26, s7
	s_cbranch_execz .LBB993_1017
; %bb.1012:
	v_mad_nc_u64_u32 v[4:5], v17, s12, s[14:15]
	v_mad_nc_u64_u32 v[6:7], v38, s12, s[14:15]
	s_mov_b32 s27, 0
	s_mov_b64 s[8:9], s[12:13]
                                        ; implicit-def: $sgpr28
                                        ; implicit-def: $sgpr29
                                        ; implicit-def: $sgpr30
                                        ; implicit-def: $sgpr31
	s_delay_alu instid0(VALU_DEP_2) | instskip(NEXT) | instid1(VALU_DEP_2)
	v_mad_u32 v5, v10, s12, v5
	v_mad_u32 v7, v11, s12, v7
	s_delay_alu instid0(VALU_DEP_2) | instskip(NEXT) | instid1(VALU_DEP_2)
	v_mad_u32 v5, v17, s13, v5
	v_mad_u32 v7, v38, s13, v7
	s_branch .LBB993_1014
.LBB993_1013:                           ;   in Loop: Header=BB993_1014 Depth=1
	s_or_b32 exec_lo, exec_lo, s7
	s_delay_alu instid0(SALU_CYCLE_1) | instskip(NEXT) | instid1(SALU_CYCLE_1)
	s_and_b32 s7, exec_lo, s29
	s_or_b32 s27, s7, s27
	s_and_not1_b32 s7, s31, exec_lo
	s_and_b32 s31, s33, exec_lo
	s_and_not1_b32 s28, s28, exec_lo
	s_and_b32 s33, s30, exec_lo
	s_or_b32 s31, s7, s31
	s_or_b32 s28, s28, s33
	s_and_not1_b32 exec_lo, exec_lo, s27
	s_cbranch_execz .LBB993_1016
.LBB993_1014:                           ; =>This Inner Loop Header: Depth=1
	global_load_u8 v12, v[4:5], off
	global_load_u8 v13, v[6:7], off
	s_and_not1_b32 s30, s30, exec_lo
	s_or_b32 s29, s29, exec_lo
	s_wait_loadcnt 0x1
	v_cmp_eq_u16_e32 vcc_lo, 0, v12
	s_wait_loadcnt 0x0
	v_cmp_ne_u16_e64 s7, 0, v13
	s_or_b32 s33, vcc_lo, s7
	s_and_b32 s34, vcc_lo, s7
	s_and_b32 s33, s33, s31
	s_xor_b32 s35, vcc_lo, s7
	s_or_b32 s33, s34, s33
	s_delay_alu instid0(SALU_CYCLE_1) | instskip(NEXT) | instid1(SALU_CYCLE_1)
	s_and_b32 s34, s33, exec_lo
	s_or_b32 s30, s30, s34
	s_and_saveexec_b32 s7, s35
	s_cbranch_execz .LBB993_1013
; %bb.1015:                             ;   in Loop: Header=BB993_1014 Depth=1
	s_add_nc_u64 s[8:9], s[8:9], -1
	v_add_nc_u64_e32 v[4:5], 1, v[4:5]
	s_cmp_eq_u64 s[8:9], 0
	v_add_nc_u64_e32 v[6:7], 1, v[6:7]
	s_cselect_b32 s31, -1, 0
	s_and_not1_b32 s29, s29, exec_lo
	s_and_b32 s31, s31, exec_lo
	s_and_not1_b32 s30, s30, exec_lo
	s_or_b32 s29, s29, s31
                                        ; implicit-def: $sgpr31
	s_branch .LBB993_1013
.LBB993_1016:
	s_or_b32 exec_lo, exec_lo, s27
	s_xor_b32 s7, s28, -1
	s_and_not1_b32 s8, s24, exec_lo
	s_and_b32 s7, s7, exec_lo
	s_delay_alu instid0(SALU_CYCLE_1)
	s_or_b32 s24, s8, s7
.LBB993_1017:
	s_or_b32 exec_lo, exec_lo, s26
	s_delay_alu instid0(SALU_CYCLE_1)
	s_or_not1_b32 s24, s24, exec_lo
.LBB993_1018:
	s_or_b32 exec_lo, exec_lo, s25
	v_cndmask_b32_e64 v4, v8, v9, s24
	v_cndmask_b32_e64 v5, v36, v35, s24
	s_mov_b32 s26, -1
	s_mov_b32 s25, -1
	s_mov_b32 s27, exec_lo
	v_add_nc_u32_e32 v6, 1, v4
	s_delay_alu instid0(VALU_DEP_1) | instskip(SKIP_1) | instid1(VALU_DEP_2)
	v_add_min_u32_e64 v4, v5, -1, v6
	v_cndmask_b32_e64 v8, v6, v8, s24
	v_lshl_add_u32 v4, v4, 3, v31
	ds_load_b64 v[4:5], v4
	s_wait_dscnt 0x0
	v_dual_cndmask_b32 v9, v9, v6, s24 :: v_dual_cndmask_b32 v39, v4, v17, s24
	v_dual_cndmask_b32 v12, v5, v10, s24 :: v_dual_cndmask_b32 v13, v11, v5, s24
	v_cndmask_b32_e64 v40, v38, v4, s24
	v_cmpx_lt_u32_e64 v8, v36
	s_cbranch_execz .LBB993_1026
; %bb.1019:
	v_cmp_lt_u32_e64 s25, v9, v35
	s_and_b32 s7, s25, s16
	s_delay_alu instid0(SALU_CYCLE_1)
	s_and_saveexec_b32 s28, s7
	s_cbranch_execz .LBB993_1025
; %bb.1020:
	v_mad_nc_u64_u32 v[4:5], v39, s12, s[14:15]
	v_mad_nc_u64_u32 v[6:7], v40, s12, s[14:15]
	s_mov_b32 s29, 0
	s_mov_b64 s[8:9], s[12:13]
                                        ; implicit-def: $sgpr30
                                        ; implicit-def: $sgpr31
                                        ; implicit-def: $sgpr33
                                        ; implicit-def: $sgpr34
	s_delay_alu instid0(VALU_DEP_2) | instskip(NEXT) | instid1(VALU_DEP_2)
	v_mad_u32 v5, v12, s12, v5
	v_mad_u32 v7, v13, s12, v7
	s_delay_alu instid0(VALU_DEP_2) | instskip(NEXT) | instid1(VALU_DEP_2)
	v_mad_u32 v5, v39, s13, v5
	v_mad_u32 v7, v40, s13, v7
	s_branch .LBB993_1022
.LBB993_1021:                           ;   in Loop: Header=BB993_1022 Depth=1
	s_or_b32 exec_lo, exec_lo, s7
	s_delay_alu instid0(SALU_CYCLE_1) | instskip(NEXT) | instid1(SALU_CYCLE_1)
	s_and_b32 s7, exec_lo, s31
	s_or_b32 s29, s7, s29
	s_and_not1_b32 s7, s34, exec_lo
	s_and_b32 s34, s35, exec_lo
	s_and_not1_b32 s30, s30, exec_lo
	s_and_b32 s35, s33, exec_lo
	s_or_b32 s34, s7, s34
	s_or_b32 s30, s30, s35
	s_and_not1_b32 exec_lo, exec_lo, s29
	s_cbranch_execz .LBB993_1024
.LBB993_1022:                           ; =>This Inner Loop Header: Depth=1
	global_load_u8 v22, v[4:5], off
	global_load_u8 v23, v[6:7], off
	s_and_not1_b32 s33, s33, exec_lo
	s_or_b32 s31, s31, exec_lo
	s_wait_loadcnt 0x1
	v_cmp_eq_u16_e32 vcc_lo, 0, v22
	s_wait_loadcnt 0x0
	v_cmp_ne_u16_e64 s7, 0, v23
	s_or_b32 s35, vcc_lo, s7
	s_and_b32 s36, vcc_lo, s7
	s_and_b32 s35, s35, s34
	s_xor_b32 s37, vcc_lo, s7
	s_or_b32 s35, s36, s35
	s_delay_alu instid0(SALU_CYCLE_1) | instskip(NEXT) | instid1(SALU_CYCLE_1)
	s_and_b32 s36, s35, exec_lo
	s_or_b32 s33, s33, s36
	s_and_saveexec_b32 s7, s37
	s_cbranch_execz .LBB993_1021
; %bb.1023:                             ;   in Loop: Header=BB993_1022 Depth=1
	s_add_nc_u64 s[8:9], s[8:9], -1
	v_add_nc_u64_e32 v[4:5], 1, v[4:5]
	s_cmp_eq_u64 s[8:9], 0
	v_add_nc_u64_e32 v[6:7], 1, v[6:7]
	s_cselect_b32 s34, -1, 0
	s_and_not1_b32 s31, s31, exec_lo
	s_and_b32 s34, s34, exec_lo
	s_and_not1_b32 s33, s33, exec_lo
	s_or_b32 s31, s31, s34
                                        ; implicit-def: $sgpr34
	s_branch .LBB993_1021
.LBB993_1024:
	s_or_b32 exec_lo, exec_lo, s29
	s_xor_b32 s7, s30, -1
	s_and_not1_b32 s8, s25, exec_lo
	s_and_b32 s7, s7, exec_lo
	s_delay_alu instid0(SALU_CYCLE_1)
	s_or_b32 s25, s8, s7
.LBB993_1025:
	s_or_b32 exec_lo, exec_lo, s28
	s_delay_alu instid0(SALU_CYCLE_1)
	s_or_not1_b32 s25, s25, exec_lo
.LBB993_1026:
	s_or_b32 exec_lo, exec_lo, s27
	v_cndmask_b32_e64 v4, v8, v9, s25
	v_cndmask_b32_e64 v5, v36, v35, s25
	s_mov_b32 s27, exec_lo
	s_delay_alu instid0(VALU_DEP_2) | instskip(NEXT) | instid1(VALU_DEP_1)
	v_add_nc_u32_e32 v6, 1, v4
	v_add_min_u32_e64 v4, v5, -1, v6
	v_cndmask_b32_e64 v8, v6, v8, s25
	s_delay_alu instid0(VALU_DEP_2)
	v_lshl_add_u32 v4, v4, 3, v31
	ds_load_b64 v[4:5], v4
	s_wait_dscnt 0x0
	v_dual_cndmask_b32 v9, v9, v6, s25 :: v_dual_cndmask_b32 v42, v4, v39, s25
	v_cndmask_b32_e64 v41, v5, v12, s25
	v_dual_cndmask_b32 v43, v13, v5, s25 :: v_dual_cndmask_b32 v44, v40, v4, s25
	v_cmpx_lt_u32_e64 v8, v36
	s_cbranch_execz .LBB993_1034
; %bb.1027:
	v_cmp_lt_u32_e64 s26, v9, v35
	s_and_b32 s7, s26, s16
	s_delay_alu instid0(SALU_CYCLE_1)
	s_and_saveexec_b32 s28, s7
	s_cbranch_execz .LBB993_1033
; %bb.1028:
	v_mad_nc_u64_u32 v[4:5], v42, s12, s[14:15]
	v_mad_nc_u64_u32 v[6:7], v44, s12, s[14:15]
	s_mov_b32 s29, 0
	s_mov_b64 s[8:9], s[12:13]
                                        ; implicit-def: $sgpr30
                                        ; implicit-def: $sgpr31
                                        ; implicit-def: $sgpr33
                                        ; implicit-def: $sgpr34
	s_delay_alu instid0(VALU_DEP_2) | instskip(NEXT) | instid1(VALU_DEP_2)
	v_mad_u32 v5, v41, s12, v5
	v_mad_u32 v7, v43, s12, v7
	s_delay_alu instid0(VALU_DEP_2) | instskip(NEXT) | instid1(VALU_DEP_2)
	v_mad_u32 v5, v42, s13, v5
	v_mad_u32 v7, v44, s13, v7
	s_branch .LBB993_1030
.LBB993_1029:                           ;   in Loop: Header=BB993_1030 Depth=1
	s_or_b32 exec_lo, exec_lo, s7
	s_delay_alu instid0(SALU_CYCLE_1) | instskip(NEXT) | instid1(SALU_CYCLE_1)
	s_and_b32 s7, exec_lo, s31
	s_or_b32 s29, s7, s29
	s_and_not1_b32 s7, s34, exec_lo
	s_and_b32 s34, s35, exec_lo
	s_and_not1_b32 s30, s30, exec_lo
	s_and_b32 s35, s33, exec_lo
	s_or_b32 s34, s7, s34
	s_or_b32 s30, s30, s35
	s_and_not1_b32 exec_lo, exec_lo, s29
	s_cbranch_execz .LBB993_1032
.LBB993_1030:                           ; =>This Inner Loop Header: Depth=1
	global_load_u8 v22, v[4:5], off
	global_load_u8 v23, v[6:7], off
	s_and_not1_b32 s33, s33, exec_lo
	s_or_b32 s31, s31, exec_lo
	s_wait_loadcnt 0x1
	v_cmp_eq_u16_e32 vcc_lo, 0, v22
	s_wait_loadcnt 0x0
	v_cmp_ne_u16_e64 s7, 0, v23
	s_or_b32 s35, vcc_lo, s7
	s_and_b32 s36, vcc_lo, s7
	s_and_b32 s35, s35, s34
	s_xor_b32 s37, vcc_lo, s7
	s_or_b32 s35, s36, s35
	s_delay_alu instid0(SALU_CYCLE_1) | instskip(NEXT) | instid1(SALU_CYCLE_1)
	s_and_b32 s36, s35, exec_lo
	s_or_b32 s33, s33, s36
	s_and_saveexec_b32 s7, s37
	s_cbranch_execz .LBB993_1029
; %bb.1031:                             ;   in Loop: Header=BB993_1030 Depth=1
	s_add_nc_u64 s[8:9], s[8:9], -1
	v_add_nc_u64_e32 v[4:5], 1, v[4:5]
	s_cmp_eq_u64 s[8:9], 0
	v_add_nc_u64_e32 v[6:7], 1, v[6:7]
	s_cselect_b32 s34, -1, 0
	s_and_not1_b32 s31, s31, exec_lo
	s_and_b32 s34, s34, exec_lo
	s_and_not1_b32 s33, s33, exec_lo
	s_or_b32 s31, s31, s34
                                        ; implicit-def: $sgpr34
	s_branch .LBB993_1029
.LBB993_1032:
	s_or_b32 exec_lo, exec_lo, s29
	s_xor_b32 s7, s30, -1
	s_and_not1_b32 s8, s26, exec_lo
	s_and_b32 s7, s7, exec_lo
	s_delay_alu instid0(SALU_CYCLE_1)
	s_or_b32 s26, s8, s7
.LBB993_1033:
	s_or_b32 exec_lo, exec_lo, s28
	s_delay_alu instid0(SALU_CYCLE_1)
	s_or_not1_b32 s26, s26, exec_lo
.LBB993_1034:
	s_or_b32 exec_lo, exec_lo, s27
	v_cndmask_b32_e64 v4, v8, v9, s26
	v_cndmask_b32_e64 v5, v36, v35, s26
	s_mov_b32 s27, -1
	s_mov_b32 s28, -1
	s_mov_b32 s29, exec_lo
	v_add_nc_u32_e32 v6, 1, v4
	s_delay_alu instid0(VALU_DEP_1) | instskip(SKIP_1) | instid1(VALU_DEP_2)
	v_add_min_u32_e64 v4, v5, -1, v6
	v_cndmask_b32_e64 v22, v6, v8, s26
	v_lshl_add_u32 v4, v4, 3, v31
	ds_load_b64 v[4:5], v4
	s_wait_dscnt 0x0
	v_dual_cndmask_b32 v23, v9, v6, s26 :: v_dual_cndmask_b32 v9, v43, v5, s26
	v_dual_cndmask_b32 v8, v5, v41, s26 :: v_dual_cndmask_b32 v45, v4, v42, s26
	v_cndmask_b32_e64 v46, v44, v4, s26
	v_cmpx_lt_u32_e64 v22, v36
	s_cbranch_execz .LBB993_1042
; %bb.1035:
	v_cmp_lt_u32_e64 s28, v23, v35
	s_and_b32 s7, s28, s16
	s_delay_alu instid0(SALU_CYCLE_1)
	s_and_saveexec_b32 s30, s7
	s_cbranch_execz .LBB993_1041
; %bb.1036:
	v_mad_nc_u64_u32 v[4:5], v45, s12, s[14:15]
	v_mad_nc_u64_u32 v[6:7], v46, s12, s[14:15]
	s_mov_b32 s31, 0
	s_mov_b64 s[8:9], s[12:13]
                                        ; implicit-def: $sgpr33
                                        ; implicit-def: $sgpr34
                                        ; implicit-def: $sgpr35
                                        ; implicit-def: $sgpr36
	s_delay_alu instid0(VALU_DEP_2) | instskip(NEXT) | instid1(VALU_DEP_2)
	v_mad_u32 v5, v8, s12, v5
	v_mad_u32 v7, v9, s12, v7
	s_delay_alu instid0(VALU_DEP_2) | instskip(NEXT) | instid1(VALU_DEP_2)
	v_mad_u32 v5, v45, s13, v5
	v_mad_u32 v7, v46, s13, v7
	s_branch .LBB993_1038
.LBB993_1037:                           ;   in Loop: Header=BB993_1038 Depth=1
	s_or_b32 exec_lo, exec_lo, s7
	s_delay_alu instid0(SALU_CYCLE_1) | instskip(NEXT) | instid1(SALU_CYCLE_1)
	s_and_b32 s7, exec_lo, s34
	s_or_b32 s31, s7, s31
	s_and_not1_b32 s7, s36, exec_lo
	s_and_b32 s36, s37, exec_lo
	s_and_not1_b32 s33, s33, exec_lo
	s_and_b32 s37, s35, exec_lo
	s_or_b32 s36, s7, s36
	s_or_b32 s33, s33, s37
	s_and_not1_b32 exec_lo, exec_lo, s31
	s_cbranch_execz .LBB993_1040
.LBB993_1038:                           ; =>This Inner Loop Header: Depth=1
	global_load_u8 v47, v[4:5], off
	global_load_u8 v48, v[6:7], off
	s_and_not1_b32 s35, s35, exec_lo
	s_or_b32 s34, s34, exec_lo
	s_wait_loadcnt 0x1
	v_cmp_eq_u16_e32 vcc_lo, 0, v47
	s_wait_loadcnt 0x0
	v_cmp_ne_u16_e64 s7, 0, v48
	s_or_b32 s37, vcc_lo, s7
	s_and_b32 s38, vcc_lo, s7
	s_and_b32 s37, s37, s36
	s_xor_b32 s39, vcc_lo, s7
	s_or_b32 s37, s38, s37
	s_delay_alu instid0(SALU_CYCLE_1) | instskip(NEXT) | instid1(SALU_CYCLE_1)
	s_and_b32 s38, s37, exec_lo
	s_or_b32 s35, s35, s38
	s_and_saveexec_b32 s7, s39
	s_cbranch_execz .LBB993_1037
; %bb.1039:                             ;   in Loop: Header=BB993_1038 Depth=1
	s_add_nc_u64 s[8:9], s[8:9], -1
	v_add_nc_u64_e32 v[4:5], 1, v[4:5]
	s_cmp_eq_u64 s[8:9], 0
	v_add_nc_u64_e32 v[6:7], 1, v[6:7]
	s_cselect_b32 s36, -1, 0
	s_and_not1_b32 s34, s34, exec_lo
	s_and_b32 s36, s36, exec_lo
	s_and_not1_b32 s35, s35, exec_lo
	s_or_b32 s34, s34, s36
                                        ; implicit-def: $sgpr36
	s_branch .LBB993_1037
.LBB993_1040:
	s_or_b32 exec_lo, exec_lo, s31
	s_xor_b32 s7, s33, -1
	s_and_not1_b32 s8, s28, exec_lo
	s_and_b32 s7, s7, exec_lo
	s_delay_alu instid0(SALU_CYCLE_1)
	s_or_b32 s28, s8, s7
.LBB993_1041:
	s_or_b32 exec_lo, exec_lo, s30
	s_delay_alu instid0(SALU_CYCLE_1)
	s_or_not1_b32 s28, s28, exec_lo
.LBB993_1042:
	s_or_b32 exec_lo, exec_lo, s29
	v_cndmask_b32_e64 v4, v22, v23, s28
	v_cndmask_b32_e64 v5, v36, v35, s28
	s_mov_b32 s29, exec_lo
	s_delay_alu instid0(VALU_DEP_2) | instskip(NEXT) | instid1(VALU_DEP_1)
	v_add_nc_u32_e32 v6, 1, v4
	v_add_min_u32_e64 v4, v5, -1, v6
	v_cndmask_b32_e64 v47, v23, v6, s28
	s_delay_alu instid0(VALU_DEP_2)
	v_lshl_add_u32 v4, v4, 3, v31
	ds_load_b64 v[4:5], v4
	s_wait_dscnt 0x0
	v_dual_cndmask_b32 v50, v6, v22, s28 :: v_dual_cndmask_b32 v48, v5, v8, s28
	v_dual_cndmask_b32 v49, v4, v45, s28 :: v_dual_cndmask_b32 v52, v46, v4, s28
	v_cndmask_b32_e64 v51, v9, v5, s28
	s_delay_alu instid0(VALU_DEP_3)
	v_cmpx_lt_u32_e64 v50, v36
	s_cbranch_execz .LBB993_1050
; %bb.1043:
	v_cmp_lt_u32_e64 s27, v47, v35
	s_and_b32 s7, s27, s16
	s_delay_alu instid0(SALU_CYCLE_1)
	s_and_saveexec_b32 s30, s7
	s_cbranch_execz .LBB993_1049
; %bb.1044:
	v_mad_nc_u64_u32 v[4:5], v49, s12, s[14:15]
	v_mad_nc_u64_u32 v[6:7], v52, s12, s[14:15]
	s_mov_b32 s31, 0
	s_mov_b64 s[8:9], s[12:13]
                                        ; implicit-def: $sgpr33
                                        ; implicit-def: $sgpr34
                                        ; implicit-def: $sgpr35
                                        ; implicit-def: $sgpr36
	s_delay_alu instid0(VALU_DEP_2) | instskip(NEXT) | instid1(VALU_DEP_2)
	v_mad_u32 v5, v48, s12, v5
	v_mad_u32 v7, v51, s12, v7
	s_delay_alu instid0(VALU_DEP_2) | instskip(NEXT) | instid1(VALU_DEP_2)
	v_mad_u32 v5, v49, s13, v5
	v_mad_u32 v7, v52, s13, v7
	s_branch .LBB993_1046
.LBB993_1045:                           ;   in Loop: Header=BB993_1046 Depth=1
	s_or_b32 exec_lo, exec_lo, s7
	s_delay_alu instid0(SALU_CYCLE_1) | instskip(NEXT) | instid1(SALU_CYCLE_1)
	s_and_b32 s7, exec_lo, s34
	s_or_b32 s31, s7, s31
	s_and_not1_b32 s7, s36, exec_lo
	s_and_b32 s36, s37, exec_lo
	s_and_not1_b32 s33, s33, exec_lo
	s_and_b32 s37, s35, exec_lo
	s_or_b32 s36, s7, s36
	s_or_b32 s33, s33, s37
	s_and_not1_b32 exec_lo, exec_lo, s31
	s_cbranch_execz .LBB993_1048
.LBB993_1046:                           ; =>This Inner Loop Header: Depth=1
	global_load_u8 v22, v[4:5], off
	global_load_u8 v23, v[6:7], off
	s_and_not1_b32 s35, s35, exec_lo
	s_or_b32 s34, s34, exec_lo
	s_wait_loadcnt 0x1
	v_cmp_eq_u16_e32 vcc_lo, 0, v22
	s_wait_loadcnt 0x0
	v_cmp_ne_u16_e64 s7, 0, v23
	s_or_b32 s37, vcc_lo, s7
	s_and_b32 s38, vcc_lo, s7
	s_and_b32 s37, s37, s36
	s_xor_b32 s39, vcc_lo, s7
	s_or_b32 s37, s38, s37
	s_delay_alu instid0(SALU_CYCLE_1) | instskip(NEXT) | instid1(SALU_CYCLE_1)
	s_and_b32 s38, s37, exec_lo
	s_or_b32 s35, s35, s38
	s_and_saveexec_b32 s7, s39
	s_cbranch_execz .LBB993_1045
; %bb.1047:                             ;   in Loop: Header=BB993_1046 Depth=1
	s_add_nc_u64 s[8:9], s[8:9], -1
	v_add_nc_u64_e32 v[4:5], 1, v[4:5]
	s_cmp_eq_u64 s[8:9], 0
	v_add_nc_u64_e32 v[6:7], 1, v[6:7]
	s_cselect_b32 s36, -1, 0
	s_and_not1_b32 s34, s34, exec_lo
	s_and_b32 s36, s36, exec_lo
	s_and_not1_b32 s35, s35, exec_lo
	s_or_b32 s34, s34, s36
                                        ; implicit-def: $sgpr36
	s_branch .LBB993_1045
.LBB993_1048:
	s_or_b32 exec_lo, exec_lo, s31
	s_xor_b32 s7, s33, -1
	s_and_not1_b32 s8, s27, exec_lo
	s_and_b32 s7, s7, exec_lo
	s_delay_alu instid0(SALU_CYCLE_1)
	s_or_b32 s27, s8, s7
.LBB993_1049:
	s_or_b32 exec_lo, exec_lo, s30
	s_delay_alu instid0(SALU_CYCLE_1)
	s_or_not1_b32 s27, s27, exec_lo
.LBB993_1050:
	s_or_b32 exec_lo, exec_lo, s29
	v_dual_cndmask_b32 v4, v50, v47, s27 :: v_dual_cndmask_b32 v9, v8, v9, s28
	v_dual_cndmask_b32 v5, v36, v35, s27 :: v_dual_cndmask_b32 v8, v45, v46, s28
	v_cndmask_b32_e64 v6, v42, v44, s26
	s_delay_alu instid0(VALU_DEP_3) | instskip(SKIP_2) | instid1(VALU_DEP_3)
	v_dual_add_nc_u32 v53, 1, v4 :: v_dual_cndmask_b32 v7, v41, v43, s26
	v_dual_cndmask_b32 v13, v12, v13, s25 :: v_dual_cndmask_b32 v12, v39, v40, s25
	v_cndmask_b32_e64 v11, v10, v11, s24
	v_add_min_u32_e64 v4, v5, -1, v53
	v_dual_cndmask_b32 v10, v17, v38, s24 :: v_dual_cndmask_b32 v17, v14, v16, s23
	v_dual_cndmask_b32 v16, v15, v37, s23 :: v_dual_cndmask_b32 v14, v2, v0, s22
	s_delay_alu instid0(VALU_DEP_3)
	v_lshl_add_u32 v4, v4, 3, v31
	v_dual_cndmask_b32 v15, v3, v1, s22 :: v_dual_cndmask_b32 v0, v53, v50, s27
	v_dual_cndmask_b32 v3, v48, v51, s27 :: v_dual_cndmask_b32 v2, v49, v52, s27
	ds_load_b64 v[22:23], v4
	s_mov_b32 s22, exec_lo
	s_wait_dscnt 0x0
	v_dual_cndmask_b32 v5, v51, v23, s27 :: v_dual_cndmask_b32 v4, v52, v22, s27
	v_cmpx_lt_u32_e64 v0, v36
	s_cbranch_execz .LBB993_1058
; %bb.1051:
	v_dual_cndmask_b32 v36, v23, v48, s27 :: v_dual_cndmask_b32 v37, v22, v49, s27
	v_cndmask_b32_e64 v0, v47, v53, s27
	s_delay_alu instid0(VALU_DEP_1) | instskip(NEXT) | instid1(VALU_DEP_3)
	v_cmp_ge_u32_e32 vcc_lo, v0, v35
	v_dual_cndmask_b32 v1, v5, v36 :: v_dual_cndmask_b32 v0, v4, v37
	s_nor_b32 s7, vcc_lo, s19
	s_delay_alu instid0(SALU_CYCLE_1)
	s_and_saveexec_b32 s23, s7
	s_cbranch_execz .LBB993_1057
; %bb.1052:
	v_mad_nc_u64_u32 v[0:1], v37, s12, s[14:15]
	v_mad_nc_u64_u32 v[22:23], v4, s12, s[14:15]
	s_mov_b32 s24, 0
	s_mov_b64 s[8:9], s[12:13]
                                        ; implicit-def: $sgpr25
                                        ; implicit-def: $sgpr26
                                        ; implicit-def: $sgpr27
                                        ; implicit-def: $sgpr28
	s_delay_alu instid0(VALU_DEP_2) | instskip(NEXT) | instid1(VALU_DEP_2)
	v_mad_u32 v1, v36, s12, v1
	v_mad_u32 v23, v5, s12, v23
	s_delay_alu instid0(VALU_DEP_2) | instskip(NEXT) | instid1(VALU_DEP_2)
	v_mad_u32 v1, v37, s13, v1
	v_mad_u32 v23, v4, s13, v23
	s_branch .LBB993_1054
.LBB993_1053:                           ;   in Loop: Header=BB993_1054 Depth=1
	s_or_b32 exec_lo, exec_lo, s7
	s_delay_alu instid0(SALU_CYCLE_1) | instskip(NEXT) | instid1(SALU_CYCLE_1)
	s_and_b32 s7, exec_lo, s26
	s_or_b32 s24, s7, s24
	s_and_not1_b32 s7, s28, exec_lo
	s_and_b32 s28, s29, exec_lo
	s_and_not1_b32 s25, s25, exec_lo
	s_and_b32 s29, s27, exec_lo
	s_or_b32 s28, s7, s28
	s_or_b32 s25, s25, s29
	s_and_not1_b32 exec_lo, exec_lo, s24
	s_cbranch_execz .LBB993_1056
.LBB993_1054:                           ; =>This Inner Loop Header: Depth=1
	global_load_u8 v35, v[0:1], off
	global_load_u8 v38, v[22:23], off
	s_and_not1_b32 s27, s27, exec_lo
	s_or_b32 s26, s26, exec_lo
	s_wait_loadcnt 0x1
	v_cmp_eq_u16_e32 vcc_lo, 0, v35
	s_wait_loadcnt 0x0
	v_cmp_ne_u16_e64 s7, 0, v38
	s_or_b32 s29, vcc_lo, s7
	s_and_b32 s30, vcc_lo, s7
	s_and_b32 s29, s29, s28
	s_xor_b32 s31, vcc_lo, s7
	s_or_b32 s29, s30, s29
	s_delay_alu instid0(SALU_CYCLE_1) | instskip(NEXT) | instid1(SALU_CYCLE_1)
	s_and_b32 s30, s29, exec_lo
	s_or_b32 s27, s27, s30
	s_and_saveexec_b32 s7, s31
	s_cbranch_execz .LBB993_1053
; %bb.1055:                             ;   in Loop: Header=BB993_1054 Depth=1
	s_add_nc_u64 s[8:9], s[8:9], -1
	v_add_nc_u64_e32 v[0:1], 1, v[0:1]
	s_cmp_eq_u64 s[8:9], 0
	v_add_nc_u64_e32 v[22:23], 1, v[22:23]
	s_cselect_b32 s28, -1, 0
	s_and_not1_b32 s26, s26, exec_lo
	s_and_b32 s28, s28, exec_lo
	s_and_not1_b32 s27, s27, exec_lo
	s_or_b32 s26, s26, s28
                                        ; implicit-def: $sgpr28
	s_branch .LBB993_1053
.LBB993_1056:
	s_or_b32 exec_lo, exec_lo, s24
	v_dual_cndmask_b32 v1, v5, v36, s25 :: v_dual_cndmask_b32 v0, v4, v37, s25
.LBB993_1057:
	s_or_b32 exec_lo, exec_lo, s23
	s_delay_alu instid0(VALU_DEP_1)
	v_mov_b64_e32 v[4:5], v[0:1]
.LBB993_1058:
	s_or_b32 exec_lo, exec_lo, s22
.LBB993_1059:
	s_delay_alu instid0(SALU_CYCLE_1)
	s_or_b32 exec_lo, exec_lo, s17
	v_and_b32_e32 v37, 0x80, v33
	s_mov_b32 s17, exec_lo
	; wave barrier
	ds_store_b128 v34, v[14:17]
	ds_store_b128 v34, v[10:13] offset:16
	v_or_b32_e32 v0, 64, v37
	v_lshl_add_u32 v36, v37, 3, v31
	ds_store_b128 v34, v[6:9] offset:32
	ds_store_b128 v34, v[2:5] offset:48
	; wave barrier
	v_min_u32_e32 v35, v32, v0
	v_and_b32_e32 v0, 0x78, v33
	s_delay_alu instid0(VALU_DEP_2) | instskip(NEXT) | instid1(VALU_DEP_2)
	v_add_min_u32_e64 v33, v35, 64, v32
	v_min_u32_e32 v38, v32, v0
	s_delay_alu instid0(VALU_DEP_2) | instskip(NEXT) | instid1(VALU_DEP_1)
	v_dual_sub_nc_u32 v1, v35, v37 :: v_dual_sub_nc_u32 v0, v33, v35
	v_min_u32_e32 v39, v38, v1
	s_delay_alu instid0(VALU_DEP_2) | instskip(NEXT) | instid1(VALU_DEP_1)
	v_sub_nc_u32_e64 v32, v38, v0 clamp
	v_cmpx_lt_u32_e64 v32, v39
	s_cbranch_execz .LBB993_1069
; %bb.1060:
	v_dual_lshlrev_b32 v0, 3, v35 :: v_dual_lshlrev_b32 v1, 3, v38
	s_mov_b32 s22, 0
	s_delay_alu instid0(VALU_DEP_1)
	v_add3_u32 v34, v31, v0, v1
	s_branch .LBB993_1063
.LBB993_1061:                           ;   in Loop: Header=BB993_1063 Depth=1
	s_or_b32 exec_lo, exec_lo, s24
.LBB993_1062:                           ;   in Loop: Header=BB993_1063 Depth=1
	s_delay_alu instid0(VALU_DEP_1) | instskip(NEXT) | instid1(VALU_DEP_1)
	v_dual_add_nc_u32 v0, 1, v40 :: v_dual_cndmask_b32 v39, v39, v40, s23
	v_cndmask_b32_e64 v32, v0, v32, s23
	s_delay_alu instid0(VALU_DEP_1) | instskip(SKIP_1) | instid1(SALU_CYCLE_1)
	v_cmp_ge_u32_e32 vcc_lo, v32, v39
	s_or_b32 s22, vcc_lo, s22
	s_and_not1_b32 exec_lo, exec_lo, s22
	s_cbranch_execz .LBB993_1068
.LBB993_1063:                           ; =>This Loop Header: Depth=1
                                        ;     Child Loop BB993_1066 Depth 2
	v_add_nc_u32_e32 v0, v39, v32
	s_and_not1_b32 vcc_lo, exec_lo, s18
	s_mov_b32 s23, 0
	s_delay_alu instid0(VALU_DEP_1)
	v_lshrrev_b32_e32 v40, 1, v0
	s_cbranch_vccnz .LBB993_1062
; %bb.1064:                             ;   in Loop: Header=BB993_1063 Depth=1
	s_delay_alu instid0(VALU_DEP_1) | instskip(SKIP_3) | instid1(VALU_DEP_2)
	v_not_b32_e32 v0, v40
	v_lshl_add_u32 v1, v40, 3, v36
	s_mov_b32 s24, 0
	s_mov_b64 s[8:9], s[12:13]
                                        ; implicit-def: $sgpr23
                                        ; implicit-def: $sgpr25
                                        ; implicit-def: $sgpr26
                                        ; implicit-def: $sgpr27
	v_lshl_add_u32 v0, v0, 3, v34
	ds_load_b64 v[42:43], v0
	ds_load_b64 v[44:45], v1
	s_wait_dscnt 0x1
	v_mad_nc_u64_u32 v[0:1], v42, s12, s[14:15]
	s_wait_dscnt 0x0
	v_mad_nc_u64_u32 v[22:23], v44, s12, s[14:15]
	s_delay_alu instid0(VALU_DEP_2) | instskip(NEXT) | instid1(VALU_DEP_2)
	v_mad_u32 v1, v43, s12, v1
	v_mad_u32 v23, v45, s12, v23
	s_delay_alu instid0(VALU_DEP_2) | instskip(NEXT) | instid1(VALU_DEP_2)
	v_mad_u32 v1, v42, s13, v1
	v_mad_u32 v23, v44, s13, v23
	s_branch .LBB993_1066
.LBB993_1065:                           ;   in Loop: Header=BB993_1066 Depth=2
	s_or_b32 exec_lo, exec_lo, s7
	s_delay_alu instid0(SALU_CYCLE_1) | instskip(NEXT) | instid1(SALU_CYCLE_1)
	s_and_b32 s7, exec_lo, s25
	s_or_b32 s24, s7, s24
	s_and_not1_b32 s7, s27, exec_lo
	s_and_b32 s27, s28, exec_lo
	s_and_not1_b32 s23, s23, exec_lo
	s_and_b32 s28, s26, exec_lo
	s_or_b32 s27, s7, s27
	s_or_b32 s23, s23, s28
	s_and_not1_b32 exec_lo, exec_lo, s24
	s_cbranch_execz .LBB993_1061
.LBB993_1066:                           ;   Parent Loop BB993_1063 Depth=1
                                        ; =>  This Inner Loop Header: Depth=2
	global_load_u8 v41, v[0:1], off
	global_load_u8 v42, v[22:23], off
	s_and_not1_b32 s26, s26, exec_lo
	s_or_b32 s25, s25, exec_lo
	s_wait_loadcnt 0x1
	v_cmp_eq_u16_e32 vcc_lo, 0, v41
	s_wait_loadcnt 0x0
	v_cmp_ne_u16_e64 s7, 0, v42
	s_or_b32 s28, vcc_lo, s7
	s_and_b32 s29, vcc_lo, s7
	s_and_b32 s28, s28, s27
	s_xor_b32 s30, vcc_lo, s7
	s_or_b32 s28, s29, s28
	s_delay_alu instid0(SALU_CYCLE_1) | instskip(NEXT) | instid1(SALU_CYCLE_1)
	s_and_b32 s29, s28, exec_lo
	s_or_b32 s26, s26, s29
	s_and_saveexec_b32 s7, s30
	s_cbranch_execz .LBB993_1065
; %bb.1067:                             ;   in Loop: Header=BB993_1066 Depth=2
	s_add_nc_u64 s[8:9], s[8:9], -1
	v_add_nc_u64_e32 v[0:1], 1, v[0:1]
	s_cmp_eq_u64 s[8:9], 0
	v_add_nc_u64_e32 v[22:23], 1, v[22:23]
	s_cselect_b32 s27, -1, 0
	s_and_not1_b32 s25, s25, exec_lo
	s_and_b32 s27, s27, exec_lo
	s_and_not1_b32 s26, s26, exec_lo
	s_or_b32 s25, s25, s27
                                        ; implicit-def: $sgpr27
	s_branch .LBB993_1065
.LBB993_1068:
	s_or_b32 exec_lo, exec_lo, s22
.LBB993_1069:
	s_delay_alu instid0(SALU_CYCLE_1) | instskip(SKIP_1) | instid1(VALU_DEP_1)
	s_or_b32 exec_lo, exec_lo, s17
	v_dual_add_nc_u32 v0, v35, v38 :: v_dual_add_nc_u32 v22, v32, v37
	v_sub_nc_u32_e32 v23, v0, v32
	s_delay_alu instid0(VALU_DEP_2) | instskip(NEXT) | instid1(VALU_DEP_2)
	v_cmp_le_u32_e32 vcc_lo, v22, v35
	v_cmp_le_u32_e64 s7, v23, v33
	s_or_b32 s7, vcc_lo, s7
	s_delay_alu instid0(SALU_CYCLE_1)
	s_and_saveexec_b32 s17, s7
	s_cbranch_execz .LBB993_1137
; %bb.1070:
	s_mov_b32 s8, exec_lo
	v_cmp_ge_u32_e32 vcc_lo, v22, v35
                                        ; implicit-def: $vgpr0_vgpr1
	v_cmpx_lt_u32_e64 v22, v35
; %bb.1071:
	v_lshl_add_u32 v0, v32, 3, v36
	ds_load_b64 v[0:1], v0
; %bb.1072:
	s_or_b32 exec_lo, exec_lo, s8
	v_cmp_ge_u32_e64 s7, v23, v33
	s_mov_b32 s9, exec_lo
                                        ; implicit-def: $vgpr2_vgpr3
	v_cmpx_lt_u32_e64 v23, v33
; %bb.1073:
	v_lshl_add_u32 v2, v23, 3, v31
	ds_load_b64 v[2:3], v2
; %bb.1074:
	s_or_b32 exec_lo, exec_lo, s9
	s_or_b32 s8, vcc_lo, s7
	s_xor_b32 s9, vcc_lo, -1
	s_nor_b32 s8, s8, s19
	s_or_b32 s22, s7, s9
	s_and_saveexec_b32 s23, s8
	s_cbranch_execz .LBB993_1080
; %bb.1075:
	s_wait_dscnt 0x0
	v_mad_nc_u64_u32 v[4:5], v2, s12, s[14:15]
	v_mad_nc_u64_u32 v[6:7], v0, s12, s[14:15]
	s_mov_b32 s24, 0
	s_mov_b64 s[8:9], s[12:13]
                                        ; implicit-def: $sgpr25
                                        ; implicit-def: $sgpr26
                                        ; implicit-def: $sgpr27
                                        ; implicit-def: $sgpr28
	s_delay_alu instid0(VALU_DEP_2) | instskip(NEXT) | instid1(VALU_DEP_2)
	v_mad_u32 v5, v3, s12, v5
	v_mad_u32 v7, v1, s12, v7
	s_delay_alu instid0(VALU_DEP_2) | instskip(NEXT) | instid1(VALU_DEP_2)
	v_mad_u32 v5, v2, s13, v5
	v_mad_u32 v7, v0, s13, v7
	s_branch .LBB993_1077
.LBB993_1076:                           ;   in Loop: Header=BB993_1077 Depth=1
	s_or_b32 exec_lo, exec_lo, s7
	s_delay_alu instid0(SALU_CYCLE_1) | instskip(NEXT) | instid1(SALU_CYCLE_1)
	s_and_b32 s7, exec_lo, s26
	s_or_b32 s24, s7, s24
	s_and_not1_b32 s7, s28, exec_lo
	s_and_b32 s28, s29, exec_lo
	s_and_not1_b32 s25, s25, exec_lo
	s_and_b32 s29, s27, exec_lo
	s_or_b32 s28, s7, s28
	s_or_b32 s25, s25, s29
	s_and_not1_b32 exec_lo, exec_lo, s24
	s_cbranch_execz .LBB993_1079
.LBB993_1077:                           ; =>This Inner Loop Header: Depth=1
	global_load_u8 v8, v[4:5], off
	global_load_u8 v9, v[6:7], off
	s_and_not1_b32 s27, s27, exec_lo
	s_or_b32 s26, s26, exec_lo
	s_wait_loadcnt 0x1
	v_cmp_eq_u16_e32 vcc_lo, 0, v8
	s_wait_loadcnt 0x0
	v_cmp_ne_u16_e64 s7, 0, v9
	s_or_b32 s29, vcc_lo, s7
	s_and_b32 s30, vcc_lo, s7
	s_and_b32 s29, s29, s28
	s_xor_b32 s31, vcc_lo, s7
	s_or_b32 s29, s30, s29
	s_delay_alu instid0(SALU_CYCLE_1) | instskip(NEXT) | instid1(SALU_CYCLE_1)
	s_and_b32 s30, s29, exec_lo
	s_or_b32 s27, s27, s30
	s_and_saveexec_b32 s7, s31
	s_cbranch_execz .LBB993_1076
; %bb.1078:                             ;   in Loop: Header=BB993_1077 Depth=1
	s_add_nc_u64 s[8:9], s[8:9], -1
	v_add_nc_u64_e32 v[4:5], 1, v[4:5]
	s_cmp_eq_u64 s[8:9], 0
	v_add_nc_u64_e32 v[6:7], 1, v[6:7]
	s_cselect_b32 s28, -1, 0
	s_and_not1_b32 s26, s26, exec_lo
	s_and_b32 s28, s28, exec_lo
	s_and_not1_b32 s27, s27, exec_lo
	s_or_b32 s26, s26, s28
                                        ; implicit-def: $sgpr28
	s_branch .LBB993_1076
.LBB993_1079:
	s_or_b32 exec_lo, exec_lo, s24
	s_xor_b32 s7, s25, -1
	s_and_not1_b32 s8, s22, exec_lo
	s_and_b32 s7, s7, exec_lo
	s_delay_alu instid0(SALU_CYCLE_1)
	s_or_b32 s22, s8, s7
.LBB993_1080:
	s_or_b32 exec_lo, exec_lo, s23
	v_dual_cndmask_b32 v4, v23, v22, s22 :: v_dual_cndmask_b32 v5, v33, v35, s22
	s_mov_b32 s24, -1
	s_mov_b32 s23, -1
	s_mov_b32 s25, exec_lo
	s_delay_alu instid0(VALU_DEP_1) | instskip(NEXT) | instid1(VALU_DEP_1)
	v_add_nc_u32_e32 v6, 1, v4
	v_add_min_u32_e64 v4, v5, -1, v6
	s_delay_alu instid0(VALU_DEP_1)
	v_lshl_add_u32 v4, v4, 3, v31
	ds_load_b64 v[4:5], v4
	s_wait_dscnt 0x0
	v_cndmask_b32_e64 v14, v5, v3, s22
	v_dual_cndmask_b32 v8, v6, v23, s22 :: v_dual_cndmask_b32 v15, v4, v2, s22
	v_dual_cndmask_b32 v9, v22, v6, s22 :: v_dual_cndmask_b32 v16, v1, v5, s22
	v_cndmask_b32_e64 v32, v0, v4, s22
	s_delay_alu instid0(VALU_DEP_3)
	v_cmpx_lt_u32_e64 v8, v33
	s_cbranch_execz .LBB993_1088
; %bb.1081:
	s_delay_alu instid0(VALU_DEP_3) | instskip(SKIP_1) | instid1(SALU_CYCLE_1)
	v_cmp_lt_u32_e64 s23, v9, v35
	s_and_b32 s7, s23, s16
	s_and_saveexec_b32 s26, s7
	s_cbranch_execz .LBB993_1087
; %bb.1082:
	v_mad_nc_u64_u32 v[4:5], v15, s12, s[14:15]
	v_mad_nc_u64_u32 v[6:7], v32, s12, s[14:15]
	s_mov_b32 s27, 0
	s_mov_b64 s[8:9], s[12:13]
                                        ; implicit-def: $sgpr28
                                        ; implicit-def: $sgpr29
                                        ; implicit-def: $sgpr30
                                        ; implicit-def: $sgpr31
	s_delay_alu instid0(VALU_DEP_2) | instskip(NEXT) | instid1(VALU_DEP_2)
	v_mad_u32 v5, v14, s12, v5
	v_mad_u32 v7, v16, s12, v7
	s_delay_alu instid0(VALU_DEP_2) | instskip(NEXT) | instid1(VALU_DEP_2)
	v_mad_u32 v5, v15, s13, v5
	v_mad_u32 v7, v32, s13, v7
	s_branch .LBB993_1084
.LBB993_1083:                           ;   in Loop: Header=BB993_1084 Depth=1
	s_or_b32 exec_lo, exec_lo, s7
	s_delay_alu instid0(SALU_CYCLE_1) | instskip(NEXT) | instid1(SALU_CYCLE_1)
	s_and_b32 s7, exec_lo, s29
	s_or_b32 s27, s7, s27
	s_and_not1_b32 s7, s31, exec_lo
	s_and_b32 s31, s33, exec_lo
	s_and_not1_b32 s28, s28, exec_lo
	s_and_b32 s33, s30, exec_lo
	s_or_b32 s31, s7, s31
	s_or_b32 s28, s28, s33
	s_and_not1_b32 exec_lo, exec_lo, s27
	s_cbranch_execz .LBB993_1086
.LBB993_1084:                           ; =>This Inner Loop Header: Depth=1
	global_load_u8 v10, v[4:5], off
	global_load_u8 v11, v[6:7], off
	s_and_not1_b32 s30, s30, exec_lo
	s_or_b32 s29, s29, exec_lo
	s_wait_loadcnt 0x1
	v_cmp_eq_u16_e32 vcc_lo, 0, v10
	s_wait_loadcnt 0x0
	v_cmp_ne_u16_e64 s7, 0, v11
	s_or_b32 s33, vcc_lo, s7
	s_and_b32 s34, vcc_lo, s7
	s_and_b32 s33, s33, s31
	s_xor_b32 s35, vcc_lo, s7
	s_or_b32 s33, s34, s33
	s_delay_alu instid0(SALU_CYCLE_1) | instskip(NEXT) | instid1(SALU_CYCLE_1)
	s_and_b32 s34, s33, exec_lo
	s_or_b32 s30, s30, s34
	s_and_saveexec_b32 s7, s35
	s_cbranch_execz .LBB993_1083
; %bb.1085:                             ;   in Loop: Header=BB993_1084 Depth=1
	s_add_nc_u64 s[8:9], s[8:9], -1
	v_add_nc_u64_e32 v[4:5], 1, v[4:5]
	s_cmp_eq_u64 s[8:9], 0
	v_add_nc_u64_e32 v[6:7], 1, v[6:7]
	s_cselect_b32 s31, -1, 0
	s_and_not1_b32 s29, s29, exec_lo
	s_and_b32 s31, s31, exec_lo
	s_and_not1_b32 s30, s30, exec_lo
	s_or_b32 s29, s29, s31
                                        ; implicit-def: $sgpr31
	s_branch .LBB993_1083
.LBB993_1086:
	s_or_b32 exec_lo, exec_lo, s27
	s_xor_b32 s7, s28, -1
	s_and_not1_b32 s8, s23, exec_lo
	s_and_b32 s7, s7, exec_lo
	s_delay_alu instid0(SALU_CYCLE_1)
	s_or_b32 s23, s8, s7
.LBB993_1087:
	s_or_b32 exec_lo, exec_lo, s26
	s_delay_alu instid0(SALU_CYCLE_1)
	s_or_not1_b32 s23, s23, exec_lo
.LBB993_1088:
	s_or_b32 exec_lo, exec_lo, s25
	v_dual_cndmask_b32 v4, v8, v9, s23 :: v_dual_cndmask_b32 v5, v33, v35, s23
	s_mov_b32 s25, exec_lo
	s_delay_alu instid0(VALU_DEP_1) | instskip(NEXT) | instid1(VALU_DEP_1)
	v_add_nc_u32_e32 v6, 1, v4
	v_add_min_u32_e64 v4, v5, -1, v6
	s_delay_alu instid0(VALU_DEP_1)
	v_lshl_add_u32 v4, v4, 3, v31
	ds_load_b64 v[4:5], v4
	s_wait_dscnt 0x0
	v_dual_cndmask_b32 v10, v5, v14, s23 :: v_dual_cndmask_b32 v8, v6, v8, s23
	v_dual_cndmask_b32 v9, v9, v6, s23 :: v_dual_cndmask_b32 v17, v4, v15, s23
	v_cndmask_b32_e64 v11, v16, v5, s23
	v_cndmask_b32_e64 v34, v32, v4, s23
	s_delay_alu instid0(VALU_DEP_4)
	v_cmpx_lt_u32_e64 v8, v33
	s_cbranch_execz .LBB993_1096
; %bb.1089:
	v_cmp_lt_u32_e64 s24, v9, v35
	s_and_b32 s7, s24, s16
	s_delay_alu instid0(SALU_CYCLE_1)
	s_and_saveexec_b32 s26, s7
	s_cbranch_execz .LBB993_1095
; %bb.1090:
	v_mad_nc_u64_u32 v[4:5], v17, s12, s[14:15]
	v_mad_nc_u64_u32 v[6:7], v34, s12, s[14:15]
	s_mov_b32 s27, 0
	s_mov_b64 s[8:9], s[12:13]
                                        ; implicit-def: $sgpr28
                                        ; implicit-def: $sgpr29
                                        ; implicit-def: $sgpr30
                                        ; implicit-def: $sgpr31
	s_delay_alu instid0(VALU_DEP_2) | instskip(NEXT) | instid1(VALU_DEP_2)
	v_mad_u32 v5, v10, s12, v5
	v_mad_u32 v7, v11, s12, v7
	s_delay_alu instid0(VALU_DEP_2) | instskip(NEXT) | instid1(VALU_DEP_2)
	v_mad_u32 v5, v17, s13, v5
	v_mad_u32 v7, v34, s13, v7
	s_branch .LBB993_1092
.LBB993_1091:                           ;   in Loop: Header=BB993_1092 Depth=1
	s_or_b32 exec_lo, exec_lo, s7
	s_delay_alu instid0(SALU_CYCLE_1) | instskip(NEXT) | instid1(SALU_CYCLE_1)
	s_and_b32 s7, exec_lo, s29
	s_or_b32 s27, s7, s27
	s_and_not1_b32 s7, s31, exec_lo
	s_and_b32 s31, s33, exec_lo
	s_and_not1_b32 s28, s28, exec_lo
	s_and_b32 s33, s30, exec_lo
	s_or_b32 s31, s7, s31
	s_or_b32 s28, s28, s33
	s_and_not1_b32 exec_lo, exec_lo, s27
	s_cbranch_execz .LBB993_1094
.LBB993_1092:                           ; =>This Inner Loop Header: Depth=1
	global_load_u8 v12, v[4:5], off
	global_load_u8 v13, v[6:7], off
	s_and_not1_b32 s30, s30, exec_lo
	s_or_b32 s29, s29, exec_lo
	s_wait_loadcnt 0x1
	v_cmp_eq_u16_e32 vcc_lo, 0, v12
	s_wait_loadcnt 0x0
	v_cmp_ne_u16_e64 s7, 0, v13
	s_or_b32 s33, vcc_lo, s7
	s_and_b32 s34, vcc_lo, s7
	s_and_b32 s33, s33, s31
	s_xor_b32 s35, vcc_lo, s7
	s_or_b32 s33, s34, s33
	s_delay_alu instid0(SALU_CYCLE_1) | instskip(NEXT) | instid1(SALU_CYCLE_1)
	s_and_b32 s34, s33, exec_lo
	s_or_b32 s30, s30, s34
	s_and_saveexec_b32 s7, s35
	s_cbranch_execz .LBB993_1091
; %bb.1093:                             ;   in Loop: Header=BB993_1092 Depth=1
	s_add_nc_u64 s[8:9], s[8:9], -1
	v_add_nc_u64_e32 v[4:5], 1, v[4:5]
	s_cmp_eq_u64 s[8:9], 0
	v_add_nc_u64_e32 v[6:7], 1, v[6:7]
	s_cselect_b32 s31, -1, 0
	s_and_not1_b32 s29, s29, exec_lo
	s_and_b32 s31, s31, exec_lo
	s_and_not1_b32 s30, s30, exec_lo
	s_or_b32 s29, s29, s31
                                        ; implicit-def: $sgpr31
	s_branch .LBB993_1091
.LBB993_1094:
	s_or_b32 exec_lo, exec_lo, s27
	s_xor_b32 s7, s28, -1
	s_and_not1_b32 s8, s24, exec_lo
	s_and_b32 s7, s7, exec_lo
	s_delay_alu instid0(SALU_CYCLE_1)
	s_or_b32 s24, s8, s7
.LBB993_1095:
	s_or_b32 exec_lo, exec_lo, s26
	s_delay_alu instid0(SALU_CYCLE_1)
	s_or_not1_b32 s24, s24, exec_lo
.LBB993_1096:
	s_or_b32 exec_lo, exec_lo, s25
	v_dual_cndmask_b32 v4, v8, v9, s24 :: v_dual_cndmask_b32 v5, v33, v35, s24
	s_mov_b32 s26, -1
	s_mov_b32 s25, -1
	s_mov_b32 s27, exec_lo
	s_delay_alu instid0(VALU_DEP_1) | instskip(NEXT) | instid1(VALU_DEP_1)
	v_add_nc_u32_e32 v6, 1, v4
	v_add_min_u32_e64 v4, v5, -1, v6
	s_delay_alu instid0(VALU_DEP_1)
	v_lshl_add_u32 v4, v4, 3, v31
	ds_load_b64 v[4:5], v4
	s_wait_dscnt 0x0
	v_dual_cndmask_b32 v12, v5, v10, s24 :: v_dual_cndmask_b32 v8, v6, v8, s24
	v_dual_cndmask_b32 v9, v9, v6, s24 :: v_dual_cndmask_b32 v36, v4, v17, s24
	;; [unrolled: 1-line block ×3, first 2 shown]
	s_delay_alu instid0(VALU_DEP_3)
	v_cmpx_lt_u32_e64 v8, v33
	s_cbranch_execz .LBB993_1104
; %bb.1097:
	s_delay_alu instid0(VALU_DEP_3) | instskip(SKIP_1) | instid1(SALU_CYCLE_1)
	v_cmp_lt_u32_e64 s25, v9, v35
	s_and_b32 s7, s25, s16
	s_and_saveexec_b32 s28, s7
	s_cbranch_execz .LBB993_1103
; %bb.1098:
	v_mad_nc_u64_u32 v[4:5], v36, s12, s[14:15]
	v_mad_nc_u64_u32 v[6:7], v37, s12, s[14:15]
	s_mov_b32 s29, 0
	s_mov_b64 s[8:9], s[12:13]
                                        ; implicit-def: $sgpr30
                                        ; implicit-def: $sgpr31
                                        ; implicit-def: $sgpr33
                                        ; implicit-def: $sgpr34
	s_delay_alu instid0(VALU_DEP_2) | instskip(NEXT) | instid1(VALU_DEP_2)
	v_mad_u32 v5, v12, s12, v5
	v_mad_u32 v7, v13, s12, v7
	s_delay_alu instid0(VALU_DEP_2) | instskip(NEXT) | instid1(VALU_DEP_2)
	v_mad_u32 v5, v36, s13, v5
	v_mad_u32 v7, v37, s13, v7
	s_branch .LBB993_1100
.LBB993_1099:                           ;   in Loop: Header=BB993_1100 Depth=1
	s_or_b32 exec_lo, exec_lo, s7
	s_delay_alu instid0(SALU_CYCLE_1) | instskip(NEXT) | instid1(SALU_CYCLE_1)
	s_and_b32 s7, exec_lo, s31
	s_or_b32 s29, s7, s29
	s_and_not1_b32 s7, s34, exec_lo
	s_and_b32 s34, s35, exec_lo
	s_and_not1_b32 s30, s30, exec_lo
	s_and_b32 s35, s33, exec_lo
	s_or_b32 s34, s7, s34
	s_or_b32 s30, s30, s35
	s_and_not1_b32 exec_lo, exec_lo, s29
	s_cbranch_execz .LBB993_1102
.LBB993_1100:                           ; =>This Inner Loop Header: Depth=1
	global_load_u8 v22, v[4:5], off
	global_load_u8 v23, v[6:7], off
	s_and_not1_b32 s33, s33, exec_lo
	s_or_b32 s31, s31, exec_lo
	s_wait_loadcnt 0x1
	v_cmp_eq_u16_e32 vcc_lo, 0, v22
	s_wait_loadcnt 0x0
	v_cmp_ne_u16_e64 s7, 0, v23
	s_or_b32 s35, vcc_lo, s7
	s_and_b32 s36, vcc_lo, s7
	s_and_b32 s35, s35, s34
	s_xor_b32 s37, vcc_lo, s7
	s_or_b32 s35, s36, s35
	s_delay_alu instid0(SALU_CYCLE_1) | instskip(NEXT) | instid1(SALU_CYCLE_1)
	s_and_b32 s36, s35, exec_lo
	s_or_b32 s33, s33, s36
	s_and_saveexec_b32 s7, s37
	s_cbranch_execz .LBB993_1099
; %bb.1101:                             ;   in Loop: Header=BB993_1100 Depth=1
	s_add_nc_u64 s[8:9], s[8:9], -1
	v_add_nc_u64_e32 v[4:5], 1, v[4:5]
	s_cmp_eq_u64 s[8:9], 0
	v_add_nc_u64_e32 v[6:7], 1, v[6:7]
	s_cselect_b32 s34, -1, 0
	s_and_not1_b32 s31, s31, exec_lo
	s_and_b32 s34, s34, exec_lo
	s_and_not1_b32 s33, s33, exec_lo
	s_or_b32 s31, s31, s34
                                        ; implicit-def: $sgpr34
	s_branch .LBB993_1099
.LBB993_1102:
	s_or_b32 exec_lo, exec_lo, s29
	s_xor_b32 s7, s30, -1
	s_and_not1_b32 s8, s25, exec_lo
	s_and_b32 s7, s7, exec_lo
	s_delay_alu instid0(SALU_CYCLE_1)
	s_or_b32 s25, s8, s7
.LBB993_1103:
	s_or_b32 exec_lo, exec_lo, s28
	s_delay_alu instid0(SALU_CYCLE_1)
	s_or_not1_b32 s25, s25, exec_lo
.LBB993_1104:
	s_or_b32 exec_lo, exec_lo, s27
	v_dual_cndmask_b32 v4, v8, v9, s25 :: v_dual_cndmask_b32 v5, v33, v35, s25
	s_mov_b32 s27, exec_lo
	s_delay_alu instid0(VALU_DEP_1) | instskip(NEXT) | instid1(VALU_DEP_1)
	v_add_nc_u32_e32 v6, 1, v4
	v_add_min_u32_e64 v4, v5, -1, v6
	s_delay_alu instid0(VALU_DEP_1)
	v_lshl_add_u32 v4, v4, 3, v31
	ds_load_b64 v[4:5], v4
	s_wait_dscnt 0x0
	v_cndmask_b32_e64 v38, v5, v12, s25
	v_dual_cndmask_b32 v39, v4, v36, s25 :: v_dual_cndmask_b32 v40, v13, v5, s25
	v_dual_cndmask_b32 v8, v6, v8, s25 :: v_dual_cndmask_b32 v9, v9, v6, s25
	v_cndmask_b32_e64 v41, v37, v4, s25
	s_delay_alu instid0(VALU_DEP_2)
	v_cmpx_lt_u32_e64 v8, v33
	s_cbranch_execz .LBB993_1112
; %bb.1105:
	s_delay_alu instid0(VALU_DEP_3) | instskip(SKIP_1) | instid1(SALU_CYCLE_1)
	v_cmp_lt_u32_e64 s26, v9, v35
	s_and_b32 s7, s26, s16
	s_and_saveexec_b32 s28, s7
	s_cbranch_execz .LBB993_1111
; %bb.1106:
	v_mad_nc_u64_u32 v[4:5], v39, s12, s[14:15]
	v_mad_nc_u64_u32 v[6:7], v41, s12, s[14:15]
	s_mov_b32 s29, 0
	s_mov_b64 s[8:9], s[12:13]
                                        ; implicit-def: $sgpr30
                                        ; implicit-def: $sgpr31
                                        ; implicit-def: $sgpr33
                                        ; implicit-def: $sgpr34
	s_delay_alu instid0(VALU_DEP_2) | instskip(NEXT) | instid1(VALU_DEP_2)
	v_mad_u32 v5, v38, s12, v5
	v_mad_u32 v7, v40, s12, v7
	s_delay_alu instid0(VALU_DEP_2) | instskip(NEXT) | instid1(VALU_DEP_2)
	v_mad_u32 v5, v39, s13, v5
	v_mad_u32 v7, v41, s13, v7
	s_branch .LBB993_1108
.LBB993_1107:                           ;   in Loop: Header=BB993_1108 Depth=1
	s_or_b32 exec_lo, exec_lo, s7
	s_delay_alu instid0(SALU_CYCLE_1) | instskip(NEXT) | instid1(SALU_CYCLE_1)
	s_and_b32 s7, exec_lo, s31
	s_or_b32 s29, s7, s29
	s_and_not1_b32 s7, s34, exec_lo
	s_and_b32 s34, s35, exec_lo
	s_and_not1_b32 s30, s30, exec_lo
	s_and_b32 s35, s33, exec_lo
	s_or_b32 s34, s7, s34
	s_or_b32 s30, s30, s35
	s_and_not1_b32 exec_lo, exec_lo, s29
	s_cbranch_execz .LBB993_1110
.LBB993_1108:                           ; =>This Inner Loop Header: Depth=1
	global_load_u8 v22, v[4:5], off
	global_load_u8 v23, v[6:7], off
	s_and_not1_b32 s33, s33, exec_lo
	s_or_b32 s31, s31, exec_lo
	s_wait_loadcnt 0x1
	v_cmp_eq_u16_e32 vcc_lo, 0, v22
	s_wait_loadcnt 0x0
	v_cmp_ne_u16_e64 s7, 0, v23
	s_or_b32 s35, vcc_lo, s7
	s_and_b32 s36, vcc_lo, s7
	s_and_b32 s35, s35, s34
	s_xor_b32 s37, vcc_lo, s7
	s_or_b32 s35, s36, s35
	s_delay_alu instid0(SALU_CYCLE_1) | instskip(NEXT) | instid1(SALU_CYCLE_1)
	s_and_b32 s36, s35, exec_lo
	s_or_b32 s33, s33, s36
	s_and_saveexec_b32 s7, s37
	s_cbranch_execz .LBB993_1107
; %bb.1109:                             ;   in Loop: Header=BB993_1108 Depth=1
	s_add_nc_u64 s[8:9], s[8:9], -1
	v_add_nc_u64_e32 v[4:5], 1, v[4:5]
	s_cmp_eq_u64 s[8:9], 0
	v_add_nc_u64_e32 v[6:7], 1, v[6:7]
	s_cselect_b32 s34, -1, 0
	s_and_not1_b32 s31, s31, exec_lo
	s_and_b32 s34, s34, exec_lo
	s_and_not1_b32 s33, s33, exec_lo
	s_or_b32 s31, s31, s34
                                        ; implicit-def: $sgpr34
	s_branch .LBB993_1107
.LBB993_1110:
	s_or_b32 exec_lo, exec_lo, s29
	s_xor_b32 s7, s30, -1
	s_and_not1_b32 s8, s26, exec_lo
	s_and_b32 s7, s7, exec_lo
	s_delay_alu instid0(SALU_CYCLE_1)
	s_or_b32 s26, s8, s7
.LBB993_1111:
	s_or_b32 exec_lo, exec_lo, s28
	s_delay_alu instid0(SALU_CYCLE_1)
	s_or_not1_b32 s26, s26, exec_lo
.LBB993_1112:
	s_or_b32 exec_lo, exec_lo, s27
	v_dual_cndmask_b32 v4, v8, v9, s26 :: v_dual_cndmask_b32 v5, v33, v35, s26
	s_mov_b32 s27, -1
	s_mov_b32 s28, -1
	s_mov_b32 s29, exec_lo
	s_delay_alu instid0(VALU_DEP_1) | instskip(NEXT) | instid1(VALU_DEP_1)
	v_add_nc_u32_e32 v6, 1, v4
	v_add_min_u32_e64 v4, v5, -1, v6
	v_cndmask_b32_e64 v22, v6, v8, s26
	s_delay_alu instid0(VALU_DEP_2)
	v_lshl_add_u32 v4, v4, 3, v31
	ds_load_b64 v[4:5], v4
	s_wait_dscnt 0x0
	v_cndmask_b32_e64 v8, v5, v38, s26
	v_dual_cndmask_b32 v23, v9, v6, s26 :: v_dual_cndmask_b32 v42, v4, v39, s26
	v_dual_cndmask_b32 v43, v41, v4, s26 :: v_dual_cndmask_b32 v9, v40, v5, s26
	v_cmpx_lt_u32_e64 v22, v33
	s_cbranch_execz .LBB993_1120
; %bb.1113:
	s_delay_alu instid0(VALU_DEP_3) | instskip(SKIP_1) | instid1(SALU_CYCLE_1)
	v_cmp_lt_u32_e64 s28, v23, v35
	s_and_b32 s7, s28, s16
	s_and_saveexec_b32 s30, s7
	s_cbranch_execz .LBB993_1119
; %bb.1114:
	v_mad_nc_u64_u32 v[4:5], v42, s12, s[14:15]
	v_mad_nc_u64_u32 v[6:7], v43, s12, s[14:15]
	s_mov_b32 s31, 0
	s_mov_b64 s[8:9], s[12:13]
                                        ; implicit-def: $sgpr33
                                        ; implicit-def: $sgpr34
                                        ; implicit-def: $sgpr35
                                        ; implicit-def: $sgpr36
	s_delay_alu instid0(VALU_DEP_2) | instskip(NEXT) | instid1(VALU_DEP_2)
	v_mad_u32 v5, v8, s12, v5
	v_mad_u32 v7, v9, s12, v7
	s_delay_alu instid0(VALU_DEP_2) | instskip(NEXT) | instid1(VALU_DEP_2)
	v_mad_u32 v5, v42, s13, v5
	v_mad_u32 v7, v43, s13, v7
	s_branch .LBB993_1116
.LBB993_1115:                           ;   in Loop: Header=BB993_1116 Depth=1
	s_or_b32 exec_lo, exec_lo, s7
	s_delay_alu instid0(SALU_CYCLE_1) | instskip(NEXT) | instid1(SALU_CYCLE_1)
	s_and_b32 s7, exec_lo, s34
	s_or_b32 s31, s7, s31
	s_and_not1_b32 s7, s36, exec_lo
	s_and_b32 s36, s37, exec_lo
	s_and_not1_b32 s33, s33, exec_lo
	s_and_b32 s37, s35, exec_lo
	s_or_b32 s36, s7, s36
	s_or_b32 s33, s33, s37
	s_and_not1_b32 exec_lo, exec_lo, s31
	s_cbranch_execz .LBB993_1118
.LBB993_1116:                           ; =>This Inner Loop Header: Depth=1
	global_load_u8 v44, v[4:5], off
	global_load_u8 v45, v[6:7], off
	s_and_not1_b32 s35, s35, exec_lo
	s_or_b32 s34, s34, exec_lo
	s_wait_loadcnt 0x1
	v_cmp_eq_u16_e32 vcc_lo, 0, v44
	s_wait_loadcnt 0x0
	v_cmp_ne_u16_e64 s7, 0, v45
	s_or_b32 s37, vcc_lo, s7
	s_and_b32 s38, vcc_lo, s7
	s_and_b32 s37, s37, s36
	s_xor_b32 s39, vcc_lo, s7
	s_or_b32 s37, s38, s37
	s_delay_alu instid0(SALU_CYCLE_1) | instskip(NEXT) | instid1(SALU_CYCLE_1)
	s_and_b32 s38, s37, exec_lo
	s_or_b32 s35, s35, s38
	s_and_saveexec_b32 s7, s39
	s_cbranch_execz .LBB993_1115
; %bb.1117:                             ;   in Loop: Header=BB993_1116 Depth=1
	s_add_nc_u64 s[8:9], s[8:9], -1
	v_add_nc_u64_e32 v[4:5], 1, v[4:5]
	s_cmp_eq_u64 s[8:9], 0
	v_add_nc_u64_e32 v[6:7], 1, v[6:7]
	s_cselect_b32 s36, -1, 0
	s_and_not1_b32 s34, s34, exec_lo
	s_and_b32 s36, s36, exec_lo
	s_and_not1_b32 s35, s35, exec_lo
	s_or_b32 s34, s34, s36
                                        ; implicit-def: $sgpr36
	s_branch .LBB993_1115
.LBB993_1118:
	s_or_b32 exec_lo, exec_lo, s31
	s_xor_b32 s7, s33, -1
	s_and_not1_b32 s8, s28, exec_lo
	s_and_b32 s7, s7, exec_lo
	s_delay_alu instid0(SALU_CYCLE_1)
	s_or_b32 s28, s8, s7
.LBB993_1119:
	s_or_b32 exec_lo, exec_lo, s30
	s_delay_alu instid0(SALU_CYCLE_1)
	s_or_not1_b32 s28, s28, exec_lo
.LBB993_1120:
	s_or_b32 exec_lo, exec_lo, s29
	v_cndmask_b32_e64 v4, v22, v23, s28
	v_cndmask_b32_e64 v5, v33, v35, s28
	s_mov_b32 s29, exec_lo
	s_delay_alu instid0(VALU_DEP_2) | instskip(NEXT) | instid1(VALU_DEP_1)
	v_add_nc_u32_e32 v6, 1, v4
	v_add_min_u32_e64 v4, v5, -1, v6
	v_cndmask_b32_e64 v44, v23, v6, s28
	s_delay_alu instid0(VALU_DEP_2)
	v_lshl_add_u32 v4, v4, 3, v31
	ds_load_b64 v[4:5], v4
	s_wait_dscnt 0x0
	v_dual_cndmask_b32 v47, v6, v22, s28 :: v_dual_cndmask_b32 v45, v5, v8, s28
	v_dual_cndmask_b32 v46, v4, v42, s28 :: v_dual_cndmask_b32 v48, v9, v5, s28
	v_cndmask_b32_e64 v49, v43, v4, s28
	s_delay_alu instid0(VALU_DEP_3)
	v_cmpx_lt_u32_e64 v47, v33
	s_cbranch_execz .LBB993_1128
; %bb.1121:
	v_cmp_lt_u32_e64 s27, v44, v35
	s_and_b32 s7, s27, s16
	s_delay_alu instid0(SALU_CYCLE_1)
	s_and_saveexec_b32 s30, s7
	s_cbranch_execz .LBB993_1127
; %bb.1122:
	v_mad_nc_u64_u32 v[4:5], v46, s12, s[14:15]
	v_mad_nc_u64_u32 v[6:7], v49, s12, s[14:15]
	s_mov_b32 s31, 0
	s_mov_b64 s[8:9], s[12:13]
                                        ; implicit-def: $sgpr33
                                        ; implicit-def: $sgpr34
                                        ; implicit-def: $sgpr35
                                        ; implicit-def: $sgpr36
	s_delay_alu instid0(VALU_DEP_2) | instskip(NEXT) | instid1(VALU_DEP_2)
	v_mad_u32 v5, v45, s12, v5
	v_mad_u32 v7, v48, s12, v7
	s_delay_alu instid0(VALU_DEP_2) | instskip(NEXT) | instid1(VALU_DEP_2)
	v_mad_u32 v5, v46, s13, v5
	v_mad_u32 v7, v49, s13, v7
	s_branch .LBB993_1124
.LBB993_1123:                           ;   in Loop: Header=BB993_1124 Depth=1
	s_or_b32 exec_lo, exec_lo, s7
	s_delay_alu instid0(SALU_CYCLE_1) | instskip(NEXT) | instid1(SALU_CYCLE_1)
	s_and_b32 s7, exec_lo, s34
	s_or_b32 s31, s7, s31
	s_and_not1_b32 s7, s36, exec_lo
	s_and_b32 s36, s37, exec_lo
	s_and_not1_b32 s33, s33, exec_lo
	s_and_b32 s37, s35, exec_lo
	s_or_b32 s36, s7, s36
	s_or_b32 s33, s33, s37
	s_and_not1_b32 exec_lo, exec_lo, s31
	s_cbranch_execz .LBB993_1126
.LBB993_1124:                           ; =>This Inner Loop Header: Depth=1
	global_load_u8 v22, v[4:5], off
	global_load_u8 v23, v[6:7], off
	s_and_not1_b32 s35, s35, exec_lo
	s_or_b32 s34, s34, exec_lo
	s_wait_loadcnt 0x1
	v_cmp_eq_u16_e32 vcc_lo, 0, v22
	s_wait_loadcnt 0x0
	v_cmp_ne_u16_e64 s7, 0, v23
	s_or_b32 s37, vcc_lo, s7
	s_and_b32 s38, vcc_lo, s7
	s_and_b32 s37, s37, s36
	s_xor_b32 s39, vcc_lo, s7
	s_or_b32 s37, s38, s37
	s_delay_alu instid0(SALU_CYCLE_1) | instskip(NEXT) | instid1(SALU_CYCLE_1)
	s_and_b32 s38, s37, exec_lo
	s_or_b32 s35, s35, s38
	s_and_saveexec_b32 s7, s39
	s_cbranch_execz .LBB993_1123
; %bb.1125:                             ;   in Loop: Header=BB993_1124 Depth=1
	s_add_nc_u64 s[8:9], s[8:9], -1
	v_add_nc_u64_e32 v[4:5], 1, v[4:5]
	s_cmp_eq_u64 s[8:9], 0
	v_add_nc_u64_e32 v[6:7], 1, v[6:7]
	s_cselect_b32 s36, -1, 0
	s_and_not1_b32 s34, s34, exec_lo
	s_and_b32 s36, s36, exec_lo
	s_and_not1_b32 s35, s35, exec_lo
	s_or_b32 s34, s34, s36
                                        ; implicit-def: $sgpr36
	s_branch .LBB993_1123
.LBB993_1126:
	s_or_b32 exec_lo, exec_lo, s31
	s_xor_b32 s7, s33, -1
	s_and_not1_b32 s8, s27, exec_lo
	s_and_b32 s7, s7, exec_lo
	s_delay_alu instid0(SALU_CYCLE_1)
	s_or_b32 s27, s8, s7
.LBB993_1127:
	s_or_b32 exec_lo, exec_lo, s30
	s_delay_alu instid0(SALU_CYCLE_1)
	s_or_not1_b32 s27, s27, exec_lo
.LBB993_1128:
	s_or_b32 exec_lo, exec_lo, s29
	v_dual_cndmask_b32 v4, v47, v44, s27 :: v_dual_cndmask_b32 v5, v33, v35, s27
	v_dual_cndmask_b32 v7, v38, v40, s26 :: v_dual_cndmask_b32 v13, v12, v13, s25
	;; [unrolled: 1-line block ×3, first 2 shown]
	s_delay_alu instid0(VALU_DEP_3) | instskip(SKIP_2) | instid1(VALU_DEP_3)
	v_dual_add_nc_u32 v50, 1, v4 :: v_dual_cndmask_b32 v9, v8, v9, s28
	v_dual_cndmask_b32 v8, v42, v43, s28 :: v_dual_cndmask_b32 v6, v39, v41, s26
	v_dual_cndmask_b32 v10, v17, v34, s24 :: v_dual_cndmask_b32 v17, v14, v16, s23
	v_add_min_u32_e64 v4, v5, -1, v50
	v_cndmask_b32_e64 v16, v15, v32, s23
	v_dual_cndmask_b32 v15, v3, v1, s22 :: v_dual_cndmask_b32 v14, v2, v0, s22
	v_cndmask_b32_e64 v0, v50, v47, s27
	s_delay_alu instid0(VALU_DEP_4)
	v_lshl_add_u32 v4, v4, 3, v31
	v_dual_cndmask_b32 v3, v45, v48, s27 :: v_dual_cndmask_b32 v2, v46, v49, s27
	s_mov_b32 s22, exec_lo
	ds_load_b64 v[22:23], v4
	s_wait_dscnt 0x0
	v_dual_cndmask_b32 v5, v48, v23, s27 :: v_dual_cndmask_b32 v4, v49, v22, s27
	v_cmpx_lt_u32_e64 v0, v33
	s_cbranch_execz .LBB993_1136
; %bb.1129:
	v_dual_cndmask_b32 v0, v44, v50, s27 :: v_dual_cndmask_b32 v31, v23, v45, s27
	s_delay_alu instid0(VALU_DEP_1) | instskip(NEXT) | instid1(VALU_DEP_2)
	v_cmp_ge_u32_e32 vcc_lo, v0, v35
	v_dual_cndmask_b32 v32, v22, v46, s27 :: v_dual_cndmask_b32 v1, v5, v31, vcc_lo
	s_delay_alu instid0(VALU_DEP_1) | instskip(SKIP_1) | instid1(SALU_CYCLE_1)
	v_cndmask_b32_e32 v0, v4, v32, vcc_lo
	s_nor_b32 s7, vcc_lo, s19
	s_and_saveexec_b32 s23, s7
	s_cbranch_execz .LBB993_1135
; %bb.1130:
	v_mad_nc_u64_u32 v[0:1], v32, s12, s[14:15]
	v_mad_nc_u64_u32 v[22:23], v4, s12, s[14:15]
	s_mov_b32 s24, 0
	s_mov_b64 s[8:9], s[12:13]
                                        ; implicit-def: $sgpr25
                                        ; implicit-def: $sgpr26
                                        ; implicit-def: $sgpr27
                                        ; implicit-def: $sgpr28
	s_delay_alu instid0(VALU_DEP_2) | instskip(NEXT) | instid1(VALU_DEP_2)
	v_mad_u32 v1, v31, s12, v1
	v_mad_u32 v23, v5, s12, v23
	s_delay_alu instid0(VALU_DEP_2) | instskip(NEXT) | instid1(VALU_DEP_2)
	v_mad_u32 v1, v32, s13, v1
	v_mad_u32 v23, v4, s13, v23
	s_branch .LBB993_1132
.LBB993_1131:                           ;   in Loop: Header=BB993_1132 Depth=1
	s_or_b32 exec_lo, exec_lo, s7
	s_delay_alu instid0(SALU_CYCLE_1) | instskip(NEXT) | instid1(SALU_CYCLE_1)
	s_and_b32 s7, exec_lo, s26
	s_or_b32 s24, s7, s24
	s_and_not1_b32 s7, s28, exec_lo
	s_and_b32 s28, s29, exec_lo
	s_and_not1_b32 s25, s25, exec_lo
	s_and_b32 s29, s27, exec_lo
	s_or_b32 s28, s7, s28
	s_or_b32 s25, s25, s29
	s_and_not1_b32 exec_lo, exec_lo, s24
	s_cbranch_execz .LBB993_1134
.LBB993_1132:                           ; =>This Inner Loop Header: Depth=1
	global_load_u8 v33, v[0:1], off
	global_load_u8 v34, v[22:23], off
	s_and_not1_b32 s27, s27, exec_lo
	s_or_b32 s26, s26, exec_lo
	s_wait_loadcnt 0x1
	v_cmp_eq_u16_e32 vcc_lo, 0, v33
	s_wait_loadcnt 0x0
	v_cmp_ne_u16_e64 s7, 0, v34
	s_or_b32 s29, vcc_lo, s7
	s_and_b32 s30, vcc_lo, s7
	s_and_b32 s29, s29, s28
	s_xor_b32 s31, vcc_lo, s7
	s_or_b32 s29, s30, s29
	s_delay_alu instid0(SALU_CYCLE_1) | instskip(NEXT) | instid1(SALU_CYCLE_1)
	s_and_b32 s30, s29, exec_lo
	s_or_b32 s27, s27, s30
	s_and_saveexec_b32 s7, s31
	s_cbranch_execz .LBB993_1131
; %bb.1133:                             ;   in Loop: Header=BB993_1132 Depth=1
	s_add_nc_u64 s[8:9], s[8:9], -1
	v_add_nc_u64_e32 v[0:1], 1, v[0:1]
	s_cmp_eq_u64 s[8:9], 0
	v_add_nc_u64_e32 v[22:23], 1, v[22:23]
	s_cselect_b32 s28, -1, 0
	s_and_not1_b32 s26, s26, exec_lo
	s_and_b32 s28, s28, exec_lo
	s_and_not1_b32 s27, s27, exec_lo
	s_or_b32 s26, s26, s28
                                        ; implicit-def: $sgpr28
	s_branch .LBB993_1131
.LBB993_1134:
	s_or_b32 exec_lo, exec_lo, s24
	v_dual_cndmask_b32 v1, v5, v31, s25 :: v_dual_cndmask_b32 v0, v4, v32, s25
.LBB993_1135:
	s_or_b32 exec_lo, exec_lo, s23
	s_delay_alu instid0(VALU_DEP_1)
	v_mov_b64_e32 v[4:5], v[0:1]
.LBB993_1136:
	s_or_b32 exec_lo, exec_lo, s22
.LBB993_1137:
	s_delay_alu instid0(SALU_CYCLE_1)
	s_or_b32 exec_lo, exec_lo, s17
	s_cmp_lt_u32 s21, 0x81
	; wave barrier
	s_wait_dscnt 0x0
	s_barrier_signal -1
	s_barrier_wait -1
	s_cbranch_scc1 .LBB993_1218
; %bb.1138:
	v_lshlrev_b32_e32 v31, 3, v20
	s_movk_i32 s17, 0x80
	s_branch .LBB993_1143
.LBB993_1139:                           ;   in Loop: Header=BB993_1143 Depth=1
	s_or_b32 exec_lo, exec_lo, s33
	v_dual_cndmask_b32 v7, v5, v33, s34 :: v_dual_cndmask_b32 v6, v4, v48, s34
.LBB993_1140:                           ;   in Loop: Header=BB993_1143 Depth=1
	s_or_b32 exec_lo, exec_lo, s31
	s_delay_alu instid0(VALU_DEP_1)
	v_mov_b64_e32 v[4:5], v[6:7]
.LBB993_1141:                           ;   in Loop: Header=BB993_1143 Depth=1
	s_or_b32 exec_lo, exec_lo, s30
	v_dual_cndmask_b32 v9, v40, v42, s29 :: v_dual_cndmask_b32 v8, v41, v43, s29
	v_dual_cndmask_b32 v7, v36, v38, s27 :: v_dual_cndmask_b32 v6, v37, v39, s27
	v_dual_cndmask_b32 v13, v12, v13, s26 :: v_dual_cndmask_b32 v12, v34, v35, s26
	v_cndmask_b32_e64 v11, v10, v11, s25
	v_dual_cndmask_b32 v10, v17, v23, s25 :: v_dual_cndmask_b32 v17, v14, v16, s24
	v_cndmask_b32_e64 v16, v15, v22, s24
	v_dual_cndmask_b32 v15, v3, v1, s23 :: v_dual_cndmask_b32 v14, v2, v0, s23
	v_dual_cndmask_b32 v3, v44, v46, s28 :: v_dual_cndmask_b32 v2, v45, v47, s28
.LBB993_1142:                           ;   in Loop: Header=BB993_1143 Depth=1
	s_or_b32 exec_lo, exec_lo, s22
	s_cmp_lt_u32 s17, s21
	s_barrier_signal -1
	s_barrier_wait -1
	s_cbranch_scc0 .LBB993_1218
.LBB993_1143:                           ; =>This Loop Header: Depth=1
                                        ;     Child Loop BB993_1147 Depth 2
                                        ;       Child Loop BB993_1150 Depth 3
                                        ;     Child Loop BB993_1161 Depth 2
                                        ;     Child Loop BB993_1168 Depth 2
	;; [unrolled: 1-line block ×8, first 2 shown]
	s_mov_b32 s7, s17
	s_lshl_b32 s17, s17, 1
	s_mov_b32 s22, exec_lo
	s_sub_co_i32 s8, 0, s17
	ds_store_b128 v31, v[14:17]
	ds_store_b128 v31, v[10:13] offset:16
	ds_store_b128 v31, v[6:9] offset:32
	;; [unrolled: 1-line block ×3, first 2 shown]
	v_and_b32_e32 v36, s8, v20
	s_add_co_i32 s8, s17, -1
	s_wait_dscnt 0x0
	v_and_b32_e32 v0, s8, v20
	s_barrier_signal -1
	v_add_min_u32_e64 v32, v36, s7, s21
	s_barrier_wait -1
	s_delay_alu instid0(VALU_DEP_2) | instskip(NEXT) | instid1(VALU_DEP_2)
	v_min_u32_e32 v37, s21, v0
	v_dual_lshlrev_b32 v35, 3, v36 :: v_dual_sub_nc_u32 v0, v32, v36
	v_add_min_u32_e64 v33, v32, s7, s21
	s_delay_alu instid0(VALU_DEP_2) | instskip(NEXT) | instid1(VALU_DEP_2)
	v_min_u32_e32 v38, v37, v0
	v_sub_nc_u32_e32 v1, v33, v32
	s_delay_alu instid0(VALU_DEP_1) | instskip(NEXT) | instid1(VALU_DEP_1)
	v_sub_nc_u32_e64 v34, v37, v1 clamp
	v_cmpx_lt_u32_e64 v34, v38
	s_cbranch_execz .LBB993_1153
; %bb.1144:                             ;   in Loop: Header=BB993_1143 Depth=1
	v_lshlrev_b32_e32 v0, 3, v37
	s_mov_b32 s23, 0
	s_delay_alu instid0(VALU_DEP_1)
	v_lshl_add_u32 v39, v32, 3, v0
	s_branch .LBB993_1147
.LBB993_1145:                           ;   in Loop: Header=BB993_1147 Depth=2
	s_or_b32 exec_lo, exec_lo, s25
.LBB993_1146:                           ;   in Loop: Header=BB993_1147 Depth=2
	s_delay_alu instid0(VALU_DEP_1) | instskip(NEXT) | instid1(VALU_DEP_1)
	v_dual_add_nc_u32 v0, 1, v40 :: v_dual_cndmask_b32 v38, v38, v40, s24
	v_cndmask_b32_e64 v34, v0, v34, s24
	s_delay_alu instid0(VALU_DEP_1) | instskip(SKIP_1) | instid1(SALU_CYCLE_1)
	v_cmp_ge_u32_e32 vcc_lo, v34, v38
	s_or_b32 s23, vcc_lo, s23
	s_and_not1_b32 exec_lo, exec_lo, s23
	s_cbranch_execz .LBB993_1152
.LBB993_1147:                           ;   Parent Loop BB993_1143 Depth=1
                                        ; =>  This Loop Header: Depth=2
                                        ;       Child Loop BB993_1150 Depth 3
	v_add_nc_u32_e32 v0, v38, v34
	s_and_not1_b32 vcc_lo, exec_lo, s18
	s_mov_b32 s24, 0
	s_delay_alu instid0(VALU_DEP_1)
	v_lshrrev_b32_e32 v40, 1, v0
	s_cbranch_vccnz .LBB993_1146
; %bb.1148:                             ;   in Loop: Header=BB993_1147 Depth=2
	s_delay_alu instid0(VALU_DEP_1) | instskip(SKIP_3) | instid1(VALU_DEP_2)
	v_not_b32_e32 v0, v40
	v_lshl_add_u32 v1, v40, 3, v35
	s_mov_b32 s25, 0
	s_mov_b64 s[8:9], s[12:13]
                                        ; implicit-def: $sgpr24
                                        ; implicit-def: $sgpr26
                                        ; implicit-def: $sgpr27
                                        ; implicit-def: $sgpr28
	v_lshl_add_u32 v0, v0, 3, v39
	ds_load_b64 v[42:43], v0
	ds_load_b64 v[44:45], v1
	s_wait_dscnt 0x1
	v_mad_nc_u64_u32 v[0:1], v42, s12, s[14:15]
	s_wait_dscnt 0x0
	v_mad_nc_u64_u32 v[22:23], v44, s12, s[14:15]
	s_delay_alu instid0(VALU_DEP_2) | instskip(NEXT) | instid1(VALU_DEP_2)
	v_mad_u32 v1, v43, s12, v1
	v_mad_u32 v23, v45, s12, v23
	s_delay_alu instid0(VALU_DEP_2) | instskip(NEXT) | instid1(VALU_DEP_2)
	v_mad_u32 v1, v42, s13, v1
	v_mad_u32 v23, v44, s13, v23
	s_branch .LBB993_1150
.LBB993_1149:                           ;   in Loop: Header=BB993_1150 Depth=3
	s_or_b32 exec_lo, exec_lo, s7
	s_delay_alu instid0(SALU_CYCLE_1) | instskip(NEXT) | instid1(SALU_CYCLE_1)
	s_and_b32 s7, exec_lo, s26
	s_or_b32 s25, s7, s25
	s_and_not1_b32 s7, s28, exec_lo
	s_and_b32 s28, s29, exec_lo
	s_and_not1_b32 s24, s24, exec_lo
	s_and_b32 s29, s27, exec_lo
	s_or_b32 s28, s7, s28
	s_or_b32 s24, s24, s29
	s_and_not1_b32 exec_lo, exec_lo, s25
	s_cbranch_execz .LBB993_1145
.LBB993_1150:                           ;   Parent Loop BB993_1143 Depth=1
                                        ;     Parent Loop BB993_1147 Depth=2
                                        ; =>    This Inner Loop Header: Depth=3
	global_load_u8 v41, v[0:1], off
	global_load_u8 v42, v[22:23], off
	s_and_not1_b32 s27, s27, exec_lo
	s_or_b32 s26, s26, exec_lo
	s_wait_loadcnt 0x1
	v_cmp_eq_u16_e32 vcc_lo, 0, v41
	s_wait_loadcnt 0x0
	v_cmp_ne_u16_e64 s7, 0, v42
	s_or_b32 s29, vcc_lo, s7
	s_and_b32 s30, vcc_lo, s7
	s_and_b32 s29, s29, s28
	s_xor_b32 s31, vcc_lo, s7
	s_or_b32 s29, s30, s29
	s_delay_alu instid0(SALU_CYCLE_1) | instskip(NEXT) | instid1(SALU_CYCLE_1)
	s_and_b32 s30, s29, exec_lo
	s_or_b32 s27, s27, s30
	s_and_saveexec_b32 s7, s31
	s_cbranch_execz .LBB993_1149
; %bb.1151:                             ;   in Loop: Header=BB993_1150 Depth=3
	s_add_nc_u64 s[8:9], s[8:9], -1
	v_add_nc_u64_e32 v[0:1], 1, v[0:1]
	s_cmp_eq_u64 s[8:9], 0
	v_add_nc_u64_e32 v[22:23], 1, v[22:23]
	s_cselect_b32 s28, -1, 0
	s_and_not1_b32 s26, s26, exec_lo
	s_and_b32 s28, s28, exec_lo
	s_and_not1_b32 s27, s27, exec_lo
	s_or_b32 s26, s26, s28
                                        ; implicit-def: $sgpr28
	s_branch .LBB993_1149
.LBB993_1152:                           ;   in Loop: Header=BB993_1143 Depth=1
	s_or_b32 exec_lo, exec_lo, s23
.LBB993_1153:                           ;   in Loop: Header=BB993_1143 Depth=1
	s_delay_alu instid0(SALU_CYCLE_1) | instskip(SKIP_1) | instid1(VALU_DEP_1)
	s_or_b32 exec_lo, exec_lo, s22
	v_dual_sub_nc_u32 v0, v37, v34 :: v_dual_add_nc_u32 v22, v34, v36
	v_add_nc_u32_e32 v23, v0, v32
	s_delay_alu instid0(VALU_DEP_2) | instskip(NEXT) | instid1(VALU_DEP_2)
	v_cmp_le_u32_e32 vcc_lo, v22, v32
	v_cmp_le_u32_e64 s7, v23, v33
	s_or_b32 s7, vcc_lo, s7
	s_delay_alu instid0(SALU_CYCLE_1)
	s_and_saveexec_b32 s22, s7
	s_cbranch_execz .LBB993_1142
; %bb.1154:                             ;   in Loop: Header=BB993_1143 Depth=1
	s_mov_b32 s8, exec_lo
	v_cmp_ge_u32_e32 vcc_lo, v22, v32
                                        ; implicit-def: $vgpr0_vgpr1
	v_cmpx_lt_u32_e64 v22, v32
; %bb.1155:                             ;   in Loop: Header=BB993_1143 Depth=1
	v_lshl_add_u32 v0, v34, 3, v35
	ds_load_b64 v[0:1], v0
; %bb.1156:                             ;   in Loop: Header=BB993_1143 Depth=1
	s_or_b32 exec_lo, exec_lo, s8
	v_cmp_ge_u32_e64 s7, v23, v33
	s_mov_b32 s9, exec_lo
                                        ; implicit-def: $vgpr2_vgpr3
	v_cmpx_lt_u32_e64 v23, v33
; %bb.1157:                             ;   in Loop: Header=BB993_1143 Depth=1
	v_lshlrev_b32_e32 v2, 3, v23
	ds_load_b64 v[2:3], v2
; %bb.1158:                             ;   in Loop: Header=BB993_1143 Depth=1
	s_or_b32 exec_lo, exec_lo, s9
	s_or_b32 s8, vcc_lo, s7
	s_xor_b32 s9, vcc_lo, -1
	s_nor_b32 s8, s8, s19
	s_or_b32 s23, s7, s9
	s_and_saveexec_b32 s24, s8
	s_cbranch_execz .LBB993_1164
; %bb.1159:                             ;   in Loop: Header=BB993_1143 Depth=1
	s_wait_dscnt 0x0
	v_mad_nc_u64_u32 v[4:5], v2, s12, s[14:15]
	v_mad_nc_u64_u32 v[6:7], v0, s12, s[14:15]
	s_mov_b32 s25, 0
	s_mov_b64 s[8:9], s[12:13]
                                        ; implicit-def: $sgpr26
                                        ; implicit-def: $sgpr27
                                        ; implicit-def: $sgpr28
                                        ; implicit-def: $sgpr29
	s_delay_alu instid0(VALU_DEP_2) | instskip(NEXT) | instid1(VALU_DEP_2)
	v_mad_u32 v5, v3, s12, v5
	v_mad_u32 v7, v1, s12, v7
	s_delay_alu instid0(VALU_DEP_2) | instskip(NEXT) | instid1(VALU_DEP_2)
	v_mad_u32 v5, v2, s13, v5
	v_mad_u32 v7, v0, s13, v7
	s_branch .LBB993_1161
.LBB993_1160:                           ;   in Loop: Header=BB993_1161 Depth=2
	s_or_b32 exec_lo, exec_lo, s7
	s_delay_alu instid0(SALU_CYCLE_1) | instskip(NEXT) | instid1(SALU_CYCLE_1)
	s_and_b32 s7, exec_lo, s27
	s_or_b32 s25, s7, s25
	s_and_not1_b32 s7, s29, exec_lo
	s_and_b32 s29, s30, exec_lo
	s_and_not1_b32 s26, s26, exec_lo
	s_and_b32 s30, s28, exec_lo
	s_or_b32 s29, s7, s29
	s_or_b32 s26, s26, s30
	s_and_not1_b32 exec_lo, exec_lo, s25
	s_cbranch_execz .LBB993_1163
.LBB993_1161:                           ;   Parent Loop BB993_1143 Depth=1
                                        ; =>  This Inner Loop Header: Depth=2
	global_load_u8 v8, v[4:5], off
	global_load_u8 v9, v[6:7], off
	s_and_not1_b32 s28, s28, exec_lo
	s_or_b32 s27, s27, exec_lo
	s_wait_loadcnt 0x1
	v_cmp_eq_u16_e32 vcc_lo, 0, v8
	s_wait_loadcnt 0x0
	v_cmp_ne_u16_e64 s7, 0, v9
	s_or_b32 s30, vcc_lo, s7
	s_and_b32 s31, vcc_lo, s7
	s_and_b32 s30, s30, s29
	s_xor_b32 s33, vcc_lo, s7
	s_or_b32 s30, s31, s30
	s_delay_alu instid0(SALU_CYCLE_1) | instskip(NEXT) | instid1(SALU_CYCLE_1)
	s_and_b32 s31, s30, exec_lo
	s_or_b32 s28, s28, s31
	s_and_saveexec_b32 s7, s33
	s_cbranch_execz .LBB993_1160
; %bb.1162:                             ;   in Loop: Header=BB993_1161 Depth=2
	s_add_nc_u64 s[8:9], s[8:9], -1
	v_add_nc_u64_e32 v[4:5], 1, v[4:5]
	s_cmp_eq_u64 s[8:9], 0
	v_add_nc_u64_e32 v[6:7], 1, v[6:7]
	s_cselect_b32 s29, -1, 0
	s_and_not1_b32 s27, s27, exec_lo
	s_and_b32 s29, s29, exec_lo
	s_and_not1_b32 s28, s28, exec_lo
	s_or_b32 s27, s27, s29
                                        ; implicit-def: $sgpr29
	s_branch .LBB993_1160
.LBB993_1163:                           ;   in Loop: Header=BB993_1143 Depth=1
	s_or_b32 exec_lo, exec_lo, s25
	s_xor_b32 s7, s26, -1
	s_and_not1_b32 s8, s23, exec_lo
	s_and_b32 s7, s7, exec_lo
	s_delay_alu instid0(SALU_CYCLE_1)
	s_or_b32 s23, s8, s7
.LBB993_1164:                           ;   in Loop: Header=BB993_1143 Depth=1
	s_or_b32 exec_lo, exec_lo, s24
	v_dual_cndmask_b32 v4, v23, v22, s23 :: v_dual_cndmask_b32 v5, v33, v32, s23
	s_mov_b32 s25, -1
	s_mov_b32 s24, -1
	s_mov_b32 s26, exec_lo
	s_delay_alu instid0(VALU_DEP_1) | instskip(NEXT) | instid1(VALU_DEP_1)
	v_add_nc_u32_e32 v6, 1, v4
	v_add_min_u32_e64 v4, v5, -1, v6
	s_delay_alu instid0(VALU_DEP_1)
	v_lshlrev_b32_e32 v4, 3, v4
	ds_load_b64 v[4:5], v4
	v_cndmask_b32_e64 v8, v6, v23, s23
	s_wait_dscnt 0x0
	v_dual_cndmask_b32 v9, v22, v6, s23 :: v_dual_cndmask_b32 v14, v5, v3, s23
	v_dual_cndmask_b32 v15, v4, v2, s23 :: v_dual_cndmask_b32 v16, v1, v5, s23
	v_cndmask_b32_e64 v22, v0, v4, s23
	v_cmpx_lt_u32_e64 v8, v33
	s_cbranch_execz .LBB993_1172
; %bb.1165:                             ;   in Loop: Header=BB993_1143 Depth=1
	v_cmp_lt_u32_e64 s24, v9, v32
	s_and_b32 s7, s24, s16
	s_delay_alu instid0(SALU_CYCLE_1)
	s_and_saveexec_b32 s27, s7
	s_cbranch_execz .LBB993_1171
; %bb.1166:                             ;   in Loop: Header=BB993_1143 Depth=1
	v_mad_nc_u64_u32 v[4:5], v15, s12, s[14:15]
	v_mad_nc_u64_u32 v[6:7], v22, s12, s[14:15]
	s_mov_b32 s28, 0
	s_mov_b64 s[8:9], s[12:13]
                                        ; implicit-def: $sgpr29
                                        ; implicit-def: $sgpr30
                                        ; implicit-def: $sgpr31
                                        ; implicit-def: $sgpr33
	s_delay_alu instid0(VALU_DEP_2) | instskip(NEXT) | instid1(VALU_DEP_2)
	v_mad_u32 v5, v14, s12, v5
	v_mad_u32 v7, v16, s12, v7
	s_delay_alu instid0(VALU_DEP_2) | instskip(NEXT) | instid1(VALU_DEP_2)
	v_mad_u32 v5, v15, s13, v5
	v_mad_u32 v7, v22, s13, v7
	s_branch .LBB993_1168
.LBB993_1167:                           ;   in Loop: Header=BB993_1168 Depth=2
	s_or_b32 exec_lo, exec_lo, s7
	s_delay_alu instid0(SALU_CYCLE_1) | instskip(NEXT) | instid1(SALU_CYCLE_1)
	s_and_b32 s7, exec_lo, s30
	s_or_b32 s28, s7, s28
	s_and_not1_b32 s7, s33, exec_lo
	s_and_b32 s33, s34, exec_lo
	s_and_not1_b32 s29, s29, exec_lo
	s_and_b32 s34, s31, exec_lo
	s_or_b32 s33, s7, s33
	s_or_b32 s29, s29, s34
	s_and_not1_b32 exec_lo, exec_lo, s28
	s_cbranch_execz .LBB993_1170
.LBB993_1168:                           ;   Parent Loop BB993_1143 Depth=1
                                        ; =>  This Inner Loop Header: Depth=2
	global_load_u8 v10, v[4:5], off
	global_load_u8 v11, v[6:7], off
	s_and_not1_b32 s31, s31, exec_lo
	s_or_b32 s30, s30, exec_lo
	s_wait_loadcnt 0x1
	v_cmp_eq_u16_e32 vcc_lo, 0, v10
	s_wait_loadcnt 0x0
	v_cmp_ne_u16_e64 s7, 0, v11
	s_or_b32 s34, vcc_lo, s7
	s_and_b32 s35, vcc_lo, s7
	s_and_b32 s34, s34, s33
	s_xor_b32 s36, vcc_lo, s7
	s_or_b32 s34, s35, s34
	s_delay_alu instid0(SALU_CYCLE_1) | instskip(NEXT) | instid1(SALU_CYCLE_1)
	s_and_b32 s35, s34, exec_lo
	s_or_b32 s31, s31, s35
	s_and_saveexec_b32 s7, s36
	s_cbranch_execz .LBB993_1167
; %bb.1169:                             ;   in Loop: Header=BB993_1168 Depth=2
	s_add_nc_u64 s[8:9], s[8:9], -1
	v_add_nc_u64_e32 v[4:5], 1, v[4:5]
	s_cmp_eq_u64 s[8:9], 0
	v_add_nc_u64_e32 v[6:7], 1, v[6:7]
	s_cselect_b32 s33, -1, 0
	s_and_not1_b32 s30, s30, exec_lo
	s_and_b32 s33, s33, exec_lo
	s_and_not1_b32 s31, s31, exec_lo
	s_or_b32 s30, s30, s33
                                        ; implicit-def: $sgpr33
	s_branch .LBB993_1167
.LBB993_1170:                           ;   in Loop: Header=BB993_1143 Depth=1
	s_or_b32 exec_lo, exec_lo, s28
	s_xor_b32 s7, s29, -1
	s_and_not1_b32 s8, s24, exec_lo
	s_and_b32 s7, s7, exec_lo
	s_delay_alu instid0(SALU_CYCLE_1)
	s_or_b32 s24, s8, s7
.LBB993_1171:                           ;   in Loop: Header=BB993_1143 Depth=1
	s_or_b32 exec_lo, exec_lo, s27
	s_delay_alu instid0(SALU_CYCLE_1)
	s_or_not1_b32 s24, s24, exec_lo
.LBB993_1172:                           ;   in Loop: Header=BB993_1143 Depth=1
	s_or_b32 exec_lo, exec_lo, s26
	v_dual_cndmask_b32 v4, v8, v9, s24 :: v_dual_cndmask_b32 v5, v33, v32, s24
	s_mov_b32 s26, exec_lo
	s_delay_alu instid0(VALU_DEP_1) | instskip(NEXT) | instid1(VALU_DEP_1)
	v_add_nc_u32_e32 v6, 1, v4
	v_add_min_u32_e64 v4, v5, -1, v6
	s_delay_alu instid0(VALU_DEP_1)
	v_lshlrev_b32_e32 v4, 3, v4
	v_dual_cndmask_b32 v8, v6, v8, s24 :: v_dual_cndmask_b32 v9, v9, v6, s24
	ds_load_b64 v[4:5], v4
	s_wait_dscnt 0x0
	v_dual_cndmask_b32 v10, v5, v14, s24 :: v_dual_cndmask_b32 v17, v4, v15, s24
	v_dual_cndmask_b32 v11, v16, v5, s24 :: v_dual_cndmask_b32 v23, v22, v4, s24
	v_cmpx_lt_u32_e64 v8, v33
	s_cbranch_execz .LBB993_1180
; %bb.1173:                             ;   in Loop: Header=BB993_1143 Depth=1
	v_cmp_lt_u32_e64 s25, v9, v32
	s_and_b32 s7, s25, s16
	s_delay_alu instid0(SALU_CYCLE_1)
	s_and_saveexec_b32 s27, s7
	s_cbranch_execz .LBB993_1179
; %bb.1174:                             ;   in Loop: Header=BB993_1143 Depth=1
	v_mad_nc_u64_u32 v[4:5], v17, s12, s[14:15]
	v_mad_nc_u64_u32 v[6:7], v23, s12, s[14:15]
	s_mov_b32 s28, 0
	s_mov_b64 s[8:9], s[12:13]
                                        ; implicit-def: $sgpr29
                                        ; implicit-def: $sgpr30
                                        ; implicit-def: $sgpr31
                                        ; implicit-def: $sgpr33
	s_delay_alu instid0(VALU_DEP_2) | instskip(NEXT) | instid1(VALU_DEP_2)
	v_mad_u32 v5, v10, s12, v5
	v_mad_u32 v7, v11, s12, v7
	s_delay_alu instid0(VALU_DEP_2) | instskip(NEXT) | instid1(VALU_DEP_2)
	v_mad_u32 v5, v17, s13, v5
	v_mad_u32 v7, v23, s13, v7
	s_branch .LBB993_1176
.LBB993_1175:                           ;   in Loop: Header=BB993_1176 Depth=2
	s_or_b32 exec_lo, exec_lo, s7
	s_delay_alu instid0(SALU_CYCLE_1) | instskip(NEXT) | instid1(SALU_CYCLE_1)
	s_and_b32 s7, exec_lo, s30
	s_or_b32 s28, s7, s28
	s_and_not1_b32 s7, s33, exec_lo
	s_and_b32 s33, s34, exec_lo
	s_and_not1_b32 s29, s29, exec_lo
	s_and_b32 s34, s31, exec_lo
	s_or_b32 s33, s7, s33
	s_or_b32 s29, s29, s34
	s_and_not1_b32 exec_lo, exec_lo, s28
	s_cbranch_execz .LBB993_1178
.LBB993_1176:                           ;   Parent Loop BB993_1143 Depth=1
                                        ; =>  This Inner Loop Header: Depth=2
	global_load_u8 v12, v[4:5], off
	global_load_u8 v13, v[6:7], off
	s_and_not1_b32 s31, s31, exec_lo
	s_or_b32 s30, s30, exec_lo
	s_wait_loadcnt 0x1
	v_cmp_eq_u16_e32 vcc_lo, 0, v12
	s_wait_loadcnt 0x0
	v_cmp_ne_u16_e64 s7, 0, v13
	s_or_b32 s34, vcc_lo, s7
	s_and_b32 s35, vcc_lo, s7
	s_and_b32 s34, s34, s33
	s_xor_b32 s36, vcc_lo, s7
	s_or_b32 s34, s35, s34
	s_delay_alu instid0(SALU_CYCLE_1) | instskip(NEXT) | instid1(SALU_CYCLE_1)
	s_and_b32 s35, s34, exec_lo
	s_or_b32 s31, s31, s35
	s_and_saveexec_b32 s7, s36
	s_cbranch_execz .LBB993_1175
; %bb.1177:                             ;   in Loop: Header=BB993_1176 Depth=2
	s_add_nc_u64 s[8:9], s[8:9], -1
	v_add_nc_u64_e32 v[4:5], 1, v[4:5]
	s_cmp_eq_u64 s[8:9], 0
	v_add_nc_u64_e32 v[6:7], 1, v[6:7]
	s_cselect_b32 s33, -1, 0
	s_and_not1_b32 s30, s30, exec_lo
	s_and_b32 s33, s33, exec_lo
	s_and_not1_b32 s31, s31, exec_lo
	s_or_b32 s30, s30, s33
                                        ; implicit-def: $sgpr33
	s_branch .LBB993_1175
.LBB993_1178:                           ;   in Loop: Header=BB993_1143 Depth=1
	s_or_b32 exec_lo, exec_lo, s28
	s_xor_b32 s7, s29, -1
	s_and_not1_b32 s8, s25, exec_lo
	s_and_b32 s7, s7, exec_lo
	s_delay_alu instid0(SALU_CYCLE_1)
	s_or_b32 s25, s8, s7
.LBB993_1179:                           ;   in Loop: Header=BB993_1143 Depth=1
	s_or_b32 exec_lo, exec_lo, s27
	s_delay_alu instid0(SALU_CYCLE_1)
	s_or_not1_b32 s25, s25, exec_lo
.LBB993_1180:                           ;   in Loop: Header=BB993_1143 Depth=1
	s_or_b32 exec_lo, exec_lo, s26
	v_dual_cndmask_b32 v4, v8, v9, s25 :: v_dual_cndmask_b32 v5, v33, v32, s25
	s_mov_b32 s27, -1
	s_mov_b32 s26, -1
	s_mov_b32 s28, exec_lo
	s_delay_alu instid0(VALU_DEP_1) | instskip(NEXT) | instid1(VALU_DEP_1)
	v_add_nc_u32_e32 v6, 1, v4
	v_add_min_u32_e64 v4, v5, -1, v6
	s_delay_alu instid0(VALU_DEP_1)
	v_lshlrev_b32_e32 v4, 3, v4
	v_dual_cndmask_b32 v8, v6, v8, s25 :: v_dual_cndmask_b32 v9, v9, v6, s25
	ds_load_b64 v[4:5], v4
	s_wait_dscnt 0x0
	v_dual_cndmask_b32 v12, v5, v10, s25 :: v_dual_cndmask_b32 v34, v4, v17, s25
	v_cndmask_b32_e64 v13, v11, v5, s25
	v_cndmask_b32_e64 v35, v23, v4, s25
	v_cmpx_lt_u32_e64 v8, v33
	s_cbranch_execz .LBB993_1188
; %bb.1181:                             ;   in Loop: Header=BB993_1143 Depth=1
	v_cmp_lt_u32_e64 s26, v9, v32
	s_and_b32 s7, s26, s16
	s_delay_alu instid0(SALU_CYCLE_1)
	s_and_saveexec_b32 s29, s7
	s_cbranch_execz .LBB993_1187
; %bb.1182:                             ;   in Loop: Header=BB993_1143 Depth=1
	v_mad_nc_u64_u32 v[4:5], v34, s12, s[14:15]
	v_mad_nc_u64_u32 v[6:7], v35, s12, s[14:15]
	s_mov_b32 s30, 0
	s_mov_b64 s[8:9], s[12:13]
                                        ; implicit-def: $sgpr31
                                        ; implicit-def: $sgpr33
                                        ; implicit-def: $sgpr34
                                        ; implicit-def: $sgpr35
	s_delay_alu instid0(VALU_DEP_2) | instskip(NEXT) | instid1(VALU_DEP_2)
	v_mad_u32 v5, v12, s12, v5
	v_mad_u32 v7, v13, s12, v7
	s_delay_alu instid0(VALU_DEP_2) | instskip(NEXT) | instid1(VALU_DEP_2)
	v_mad_u32 v5, v34, s13, v5
	v_mad_u32 v7, v35, s13, v7
	s_branch .LBB993_1184
.LBB993_1183:                           ;   in Loop: Header=BB993_1184 Depth=2
	s_or_b32 exec_lo, exec_lo, s7
	s_delay_alu instid0(SALU_CYCLE_1) | instskip(NEXT) | instid1(SALU_CYCLE_1)
	s_and_b32 s7, exec_lo, s33
	s_or_b32 s30, s7, s30
	s_and_not1_b32 s7, s35, exec_lo
	s_and_b32 s35, s36, exec_lo
	s_and_not1_b32 s31, s31, exec_lo
	s_and_b32 s36, s34, exec_lo
	s_or_b32 s35, s7, s35
	s_or_b32 s31, s31, s36
	s_and_not1_b32 exec_lo, exec_lo, s30
	s_cbranch_execz .LBB993_1186
.LBB993_1184:                           ;   Parent Loop BB993_1143 Depth=1
                                        ; =>  This Inner Loop Header: Depth=2
	global_load_u8 v36, v[4:5], off
	global_load_u8 v37, v[6:7], off
	s_and_not1_b32 s34, s34, exec_lo
	s_or_b32 s33, s33, exec_lo
	s_wait_loadcnt 0x1
	v_cmp_eq_u16_e32 vcc_lo, 0, v36
	s_wait_loadcnt 0x0
	v_cmp_ne_u16_e64 s7, 0, v37
	s_or_b32 s36, vcc_lo, s7
	s_and_b32 s37, vcc_lo, s7
	s_and_b32 s36, s36, s35
	s_xor_b32 s38, vcc_lo, s7
	s_or_b32 s36, s37, s36
	s_delay_alu instid0(SALU_CYCLE_1) | instskip(NEXT) | instid1(SALU_CYCLE_1)
	s_and_b32 s37, s36, exec_lo
	s_or_b32 s34, s34, s37
	s_and_saveexec_b32 s7, s38
	s_cbranch_execz .LBB993_1183
; %bb.1185:                             ;   in Loop: Header=BB993_1184 Depth=2
	s_add_nc_u64 s[8:9], s[8:9], -1
	v_add_nc_u64_e32 v[4:5], 1, v[4:5]
	s_cmp_eq_u64 s[8:9], 0
	v_add_nc_u64_e32 v[6:7], 1, v[6:7]
	s_cselect_b32 s35, -1, 0
	s_and_not1_b32 s33, s33, exec_lo
	s_and_b32 s35, s35, exec_lo
	s_and_not1_b32 s34, s34, exec_lo
	s_or_b32 s33, s33, s35
                                        ; implicit-def: $sgpr35
	s_branch .LBB993_1183
.LBB993_1186:                           ;   in Loop: Header=BB993_1143 Depth=1
	s_or_b32 exec_lo, exec_lo, s30
	s_xor_b32 s7, s31, -1
	s_and_not1_b32 s8, s26, exec_lo
	s_and_b32 s7, s7, exec_lo
	s_delay_alu instid0(SALU_CYCLE_1)
	s_or_b32 s26, s8, s7
.LBB993_1187:                           ;   in Loop: Header=BB993_1143 Depth=1
	s_or_b32 exec_lo, exec_lo, s29
	s_delay_alu instid0(SALU_CYCLE_1)
	s_or_not1_b32 s26, s26, exec_lo
.LBB993_1188:                           ;   in Loop: Header=BB993_1143 Depth=1
	s_or_b32 exec_lo, exec_lo, s28
	v_dual_cndmask_b32 v4, v8, v9, s26 :: v_dual_cndmask_b32 v5, v33, v32, s26
	s_mov_b32 s28, exec_lo
	s_delay_alu instid0(VALU_DEP_1) | instskip(NEXT) | instid1(VALU_DEP_1)
	v_add_nc_u32_e32 v6, 1, v4
	v_add_min_u32_e64 v4, v5, -1, v6
	s_delay_alu instid0(VALU_DEP_1)
	v_lshlrev_b32_e32 v4, 3, v4
	v_dual_cndmask_b32 v8, v6, v8, s26 :: v_dual_cndmask_b32 v9, v9, v6, s26
	ds_load_b64 v[4:5], v4
	s_wait_dscnt 0x0
	v_dual_cndmask_b32 v36, v5, v12, s26 :: v_dual_cndmask_b32 v37, v4, v34, s26
	v_dual_cndmask_b32 v38, v13, v5, s26 :: v_dual_cndmask_b32 v39, v35, v4, s26
	v_cmpx_lt_u32_e64 v8, v33
	s_cbranch_execz .LBB993_1196
; %bb.1189:                             ;   in Loop: Header=BB993_1143 Depth=1
	v_cmp_lt_u32_e64 s27, v9, v32
	s_and_b32 s7, s27, s16
	s_delay_alu instid0(SALU_CYCLE_1)
	s_and_saveexec_b32 s29, s7
	s_cbranch_execz .LBB993_1195
; %bb.1190:                             ;   in Loop: Header=BB993_1143 Depth=1
	v_mad_nc_u64_u32 v[4:5], v37, s12, s[14:15]
	v_mad_nc_u64_u32 v[6:7], v39, s12, s[14:15]
	s_mov_b32 s30, 0
	s_mov_b64 s[8:9], s[12:13]
                                        ; implicit-def: $sgpr31
                                        ; implicit-def: $sgpr33
                                        ; implicit-def: $sgpr34
                                        ; implicit-def: $sgpr35
	s_delay_alu instid0(VALU_DEP_2) | instskip(NEXT) | instid1(VALU_DEP_2)
	v_mad_u32 v5, v36, s12, v5
	v_mad_u32 v7, v38, s12, v7
	s_delay_alu instid0(VALU_DEP_2) | instskip(NEXT) | instid1(VALU_DEP_2)
	v_mad_u32 v5, v37, s13, v5
	v_mad_u32 v7, v39, s13, v7
	s_branch .LBB993_1192
.LBB993_1191:                           ;   in Loop: Header=BB993_1192 Depth=2
	s_or_b32 exec_lo, exec_lo, s7
	s_delay_alu instid0(SALU_CYCLE_1) | instskip(NEXT) | instid1(SALU_CYCLE_1)
	s_and_b32 s7, exec_lo, s33
	s_or_b32 s30, s7, s30
	s_and_not1_b32 s7, s35, exec_lo
	s_and_b32 s35, s36, exec_lo
	s_and_not1_b32 s31, s31, exec_lo
	s_and_b32 s36, s34, exec_lo
	s_or_b32 s35, s7, s35
	s_or_b32 s31, s31, s36
	s_and_not1_b32 exec_lo, exec_lo, s30
	s_cbranch_execz .LBB993_1194
.LBB993_1192:                           ;   Parent Loop BB993_1143 Depth=1
                                        ; =>  This Inner Loop Header: Depth=2
	global_load_u8 v40, v[4:5], off
	global_load_u8 v41, v[6:7], off
	s_and_not1_b32 s34, s34, exec_lo
	s_or_b32 s33, s33, exec_lo
	s_wait_loadcnt 0x1
	v_cmp_eq_u16_e32 vcc_lo, 0, v40
	s_wait_loadcnt 0x0
	v_cmp_ne_u16_e64 s7, 0, v41
	s_or_b32 s36, vcc_lo, s7
	s_and_b32 s37, vcc_lo, s7
	s_and_b32 s36, s36, s35
	s_xor_b32 s38, vcc_lo, s7
	s_or_b32 s36, s37, s36
	s_delay_alu instid0(SALU_CYCLE_1) | instskip(NEXT) | instid1(SALU_CYCLE_1)
	s_and_b32 s37, s36, exec_lo
	s_or_b32 s34, s34, s37
	s_and_saveexec_b32 s7, s38
	s_cbranch_execz .LBB993_1191
; %bb.1193:                             ;   in Loop: Header=BB993_1192 Depth=2
	s_add_nc_u64 s[8:9], s[8:9], -1
	v_add_nc_u64_e32 v[4:5], 1, v[4:5]
	s_cmp_eq_u64 s[8:9], 0
	v_add_nc_u64_e32 v[6:7], 1, v[6:7]
	s_cselect_b32 s35, -1, 0
	s_and_not1_b32 s33, s33, exec_lo
	s_and_b32 s35, s35, exec_lo
	s_and_not1_b32 s34, s34, exec_lo
	s_or_b32 s33, s33, s35
                                        ; implicit-def: $sgpr35
	s_branch .LBB993_1191
.LBB993_1194:                           ;   in Loop: Header=BB993_1143 Depth=1
	s_or_b32 exec_lo, exec_lo, s30
	s_xor_b32 s7, s31, -1
	s_and_not1_b32 s8, s27, exec_lo
	s_and_b32 s7, s7, exec_lo
	s_delay_alu instid0(SALU_CYCLE_1)
	s_or_b32 s27, s8, s7
.LBB993_1195:                           ;   in Loop: Header=BB993_1143 Depth=1
	s_or_b32 exec_lo, exec_lo, s29
	s_delay_alu instid0(SALU_CYCLE_1)
	s_or_not1_b32 s27, s27, exec_lo
.LBB993_1196:                           ;   in Loop: Header=BB993_1143 Depth=1
	s_or_b32 exec_lo, exec_lo, s28
	v_dual_cndmask_b32 v4, v8, v9, s27 :: v_dual_cndmask_b32 v5, v33, v32, s27
	s_mov_b32 s28, -1
	s_mov_b32 s29, -1
	s_mov_b32 s30, exec_lo
	s_delay_alu instid0(VALU_DEP_1) | instskip(NEXT) | instid1(VALU_DEP_1)
	v_add_nc_u32_e32 v6, 1, v4
	v_add_min_u32_e64 v4, v5, -1, v6
	s_delay_alu instid0(VALU_DEP_1)
	v_lshlrev_b32_e32 v4, 3, v4
	v_dual_cndmask_b32 v8, v6, v8, s27 :: v_dual_cndmask_b32 v9, v9, v6, s27
	ds_load_b64 v[4:5], v4
	s_wait_dscnt 0x0
	v_dual_cndmask_b32 v40, v5, v36, s27 :: v_dual_cndmask_b32 v41, v4, v37, s27
	v_dual_cndmask_b32 v42, v38, v5, s27 :: v_dual_cndmask_b32 v43, v39, v4, s27
	v_cmpx_lt_u32_e64 v8, v33
	s_cbranch_execz .LBB993_1204
; %bb.1197:                             ;   in Loop: Header=BB993_1143 Depth=1
	v_cmp_lt_u32_e64 s29, v9, v32
	s_and_b32 s7, s29, s16
	s_delay_alu instid0(SALU_CYCLE_1)
	s_and_saveexec_b32 s31, s7
	s_cbranch_execz .LBB993_1203
; %bb.1198:                             ;   in Loop: Header=BB993_1143 Depth=1
	v_mad_nc_u64_u32 v[4:5], v41, s12, s[14:15]
	v_mad_nc_u64_u32 v[6:7], v43, s12, s[14:15]
	s_mov_b32 s33, 0
	s_mov_b64 s[8:9], s[12:13]
                                        ; implicit-def: $sgpr34
                                        ; implicit-def: $sgpr35
                                        ; implicit-def: $sgpr36
                                        ; implicit-def: $sgpr37
	s_delay_alu instid0(VALU_DEP_2) | instskip(NEXT) | instid1(VALU_DEP_2)
	v_mad_u32 v5, v40, s12, v5
	v_mad_u32 v7, v42, s12, v7
	s_delay_alu instid0(VALU_DEP_2) | instskip(NEXT) | instid1(VALU_DEP_2)
	v_mad_u32 v5, v41, s13, v5
	v_mad_u32 v7, v43, s13, v7
	s_branch .LBB993_1200
.LBB993_1199:                           ;   in Loop: Header=BB993_1200 Depth=2
	s_or_b32 exec_lo, exec_lo, s7
	s_delay_alu instid0(SALU_CYCLE_1) | instskip(NEXT) | instid1(SALU_CYCLE_1)
	s_and_b32 s7, exec_lo, s35
	s_or_b32 s33, s7, s33
	s_and_not1_b32 s7, s37, exec_lo
	s_and_b32 s37, s38, exec_lo
	s_and_not1_b32 s34, s34, exec_lo
	s_and_b32 s38, s36, exec_lo
	s_or_b32 s37, s7, s37
	s_or_b32 s34, s34, s38
	s_and_not1_b32 exec_lo, exec_lo, s33
	s_cbranch_execz .LBB993_1202
.LBB993_1200:                           ;   Parent Loop BB993_1143 Depth=1
                                        ; =>  This Inner Loop Header: Depth=2
	global_load_u8 v44, v[4:5], off
	global_load_u8 v45, v[6:7], off
	s_and_not1_b32 s36, s36, exec_lo
	s_or_b32 s35, s35, exec_lo
	s_wait_loadcnt 0x1
	v_cmp_eq_u16_e32 vcc_lo, 0, v44
	s_wait_loadcnt 0x0
	v_cmp_ne_u16_e64 s7, 0, v45
	s_or_b32 s38, vcc_lo, s7
	s_and_b32 s39, vcc_lo, s7
	s_and_b32 s38, s38, s37
	s_xor_b32 s40, vcc_lo, s7
	s_or_b32 s38, s39, s38
	s_delay_alu instid0(SALU_CYCLE_1) | instskip(NEXT) | instid1(SALU_CYCLE_1)
	s_and_b32 s39, s38, exec_lo
	s_or_b32 s36, s36, s39
	s_and_saveexec_b32 s7, s40
	s_cbranch_execz .LBB993_1199
; %bb.1201:                             ;   in Loop: Header=BB993_1200 Depth=2
	s_add_nc_u64 s[8:9], s[8:9], -1
	v_add_nc_u64_e32 v[4:5], 1, v[4:5]
	s_cmp_eq_u64 s[8:9], 0
	v_add_nc_u64_e32 v[6:7], 1, v[6:7]
	s_cselect_b32 s37, -1, 0
	s_and_not1_b32 s35, s35, exec_lo
	s_and_b32 s37, s37, exec_lo
	s_and_not1_b32 s36, s36, exec_lo
	s_or_b32 s35, s35, s37
                                        ; implicit-def: $sgpr37
	s_branch .LBB993_1199
.LBB993_1202:                           ;   in Loop: Header=BB993_1143 Depth=1
	s_or_b32 exec_lo, exec_lo, s33
	s_xor_b32 s7, s34, -1
	s_and_not1_b32 s8, s29, exec_lo
	s_and_b32 s7, s7, exec_lo
	s_delay_alu instid0(SALU_CYCLE_1)
	s_or_b32 s29, s8, s7
.LBB993_1203:                           ;   in Loop: Header=BB993_1143 Depth=1
	s_or_b32 exec_lo, exec_lo, s31
	s_delay_alu instid0(SALU_CYCLE_1)
	s_or_not1_b32 s29, s29, exec_lo
.LBB993_1204:                           ;   in Loop: Header=BB993_1143 Depth=1
	s_or_b32 exec_lo, exec_lo, s30
	v_dual_cndmask_b32 v4, v8, v9, s29 :: v_dual_cndmask_b32 v5, v33, v32, s29
	s_mov_b32 s30, exec_lo
	s_delay_alu instid0(VALU_DEP_1) | instskip(NEXT) | instid1(VALU_DEP_1)
	v_add_nc_u32_e32 v6, 1, v4
	v_add_min_u32_e64 v4, v5, -1, v6
	s_delay_alu instid0(VALU_DEP_1)
	v_lshlrev_b32_e32 v4, 3, v4
	v_dual_cndmask_b32 v48, v6, v8, s29 :: v_dual_cndmask_b32 v8, v9, v6, s29
	ds_load_b64 v[4:5], v4
	s_wait_dscnt 0x0
	v_dual_cndmask_b32 v44, v5, v40, s29 :: v_dual_cndmask_b32 v45, v4, v41, s29
	v_dual_cndmask_b32 v46, v42, v5, s29 :: v_dual_cndmask_b32 v47, v43, v4, s29
	v_cmpx_lt_u32_e64 v48, v33
	s_cbranch_execz .LBB993_1212
; %bb.1205:                             ;   in Loop: Header=BB993_1143 Depth=1
	v_cmp_lt_u32_e64 s28, v8, v32
	s_and_b32 s7, s28, s16
	s_delay_alu instid0(SALU_CYCLE_1)
	s_and_saveexec_b32 s31, s7
	s_cbranch_execz .LBB993_1211
; %bb.1206:                             ;   in Loop: Header=BB993_1143 Depth=1
	v_mad_nc_u64_u32 v[4:5], v45, s12, s[14:15]
	v_mad_nc_u64_u32 v[6:7], v47, s12, s[14:15]
	s_mov_b32 s33, 0
	s_mov_b64 s[8:9], s[12:13]
                                        ; implicit-def: $sgpr34
                                        ; implicit-def: $sgpr35
                                        ; implicit-def: $sgpr36
                                        ; implicit-def: $sgpr37
	s_delay_alu instid0(VALU_DEP_2) | instskip(NEXT) | instid1(VALU_DEP_2)
	v_mad_u32 v5, v44, s12, v5
	v_mad_u32 v7, v46, s12, v7
	s_delay_alu instid0(VALU_DEP_2) | instskip(NEXT) | instid1(VALU_DEP_2)
	v_mad_u32 v5, v45, s13, v5
	v_mad_u32 v7, v47, s13, v7
	s_branch .LBB993_1208
.LBB993_1207:                           ;   in Loop: Header=BB993_1208 Depth=2
	s_or_b32 exec_lo, exec_lo, s7
	s_delay_alu instid0(SALU_CYCLE_1) | instskip(NEXT) | instid1(SALU_CYCLE_1)
	s_and_b32 s7, exec_lo, s35
	s_or_b32 s33, s7, s33
	s_and_not1_b32 s7, s37, exec_lo
	s_and_b32 s37, s38, exec_lo
	s_and_not1_b32 s34, s34, exec_lo
	s_and_b32 s38, s36, exec_lo
	s_or_b32 s37, s7, s37
	s_or_b32 s34, s34, s38
	s_and_not1_b32 exec_lo, exec_lo, s33
	s_cbranch_execz .LBB993_1210
.LBB993_1208:                           ;   Parent Loop BB993_1143 Depth=1
                                        ; =>  This Inner Loop Header: Depth=2
	global_load_u8 v9, v[4:5], off
	global_load_u8 v49, v[6:7], off
	s_and_not1_b32 s36, s36, exec_lo
	s_or_b32 s35, s35, exec_lo
	s_wait_loadcnt 0x1
	v_cmp_eq_u16_e32 vcc_lo, 0, v9
	s_wait_loadcnt 0x0
	v_cmp_ne_u16_e64 s7, 0, v49
	s_or_b32 s38, vcc_lo, s7
	s_and_b32 s39, vcc_lo, s7
	s_and_b32 s38, s38, s37
	s_xor_b32 s40, vcc_lo, s7
	s_or_b32 s38, s39, s38
	s_delay_alu instid0(SALU_CYCLE_1) | instskip(NEXT) | instid1(SALU_CYCLE_1)
	s_and_b32 s39, s38, exec_lo
	s_or_b32 s36, s36, s39
	s_and_saveexec_b32 s7, s40
	s_cbranch_execz .LBB993_1207
; %bb.1209:                             ;   in Loop: Header=BB993_1208 Depth=2
	s_add_nc_u64 s[8:9], s[8:9], -1
	v_add_nc_u64_e32 v[4:5], 1, v[4:5]
	s_cmp_eq_u64 s[8:9], 0
	v_add_nc_u64_e32 v[6:7], 1, v[6:7]
	s_cselect_b32 s37, -1, 0
	s_and_not1_b32 s35, s35, exec_lo
	s_and_b32 s37, s37, exec_lo
	s_and_not1_b32 s36, s36, exec_lo
	s_or_b32 s35, s35, s37
                                        ; implicit-def: $sgpr37
	s_branch .LBB993_1207
.LBB993_1210:                           ;   in Loop: Header=BB993_1143 Depth=1
	s_or_b32 exec_lo, exec_lo, s33
	s_xor_b32 s7, s34, -1
	s_and_not1_b32 s8, s28, exec_lo
	s_and_b32 s7, s7, exec_lo
	s_delay_alu instid0(SALU_CYCLE_1)
	s_or_b32 s28, s8, s7
.LBB993_1211:                           ;   in Loop: Header=BB993_1143 Depth=1
	s_or_b32 exec_lo, exec_lo, s31
	s_delay_alu instid0(SALU_CYCLE_1)
	s_or_not1_b32 s28, s28, exec_lo
.LBB993_1212:                           ;   in Loop: Header=BB993_1143 Depth=1
	s_or_b32 exec_lo, exec_lo, s30
	v_cndmask_b32_e64 v4, v48, v8, s28
	v_cndmask_b32_e64 v5, v33, v32, s28
	s_mov_b32 s30, exec_lo
	s_delay_alu instid0(VALU_DEP_2) | instskip(NEXT) | instid1(VALU_DEP_1)
	v_add_nc_u32_e32 v9, 1, v4
	v_add_min_u32_e64 v4, v5, -1, v9
	s_delay_alu instid0(VALU_DEP_1)
	v_lshlrev_b32_e32 v4, 3, v4
	v_cndmask_b32_e64 v48, v9, v48, s28
	ds_load_b64 v[6:7], v4
	s_wait_dscnt 0x0
	v_dual_cndmask_b32 v5, v46, v7, s28 :: v_dual_cndmask_b32 v4, v47, v6, s28
	v_cmpx_lt_u32_e64 v48, v33
	s_cbranch_execz .LBB993_1141
; %bb.1213:                             ;   in Loop: Header=BB993_1143 Depth=1
	v_dual_cndmask_b32 v8, v8, v9, s28 :: v_dual_cndmask_b32 v33, v7, v44, s28
	v_cndmask_b32_e64 v48, v6, v45, s28
	s_delay_alu instid0(VALU_DEP_2) | instskip(NEXT) | instid1(VALU_DEP_2)
	v_cmp_ge_u32_e32 vcc_lo, v8, v32
	v_dual_cndmask_b32 v7, v5, v33 :: v_dual_cndmask_b32 v6, v4, v48
	s_nor_b32 s7, vcc_lo, s19
	s_delay_alu instid0(SALU_CYCLE_1)
	s_and_saveexec_b32 s31, s7
	s_cbranch_execz .LBB993_1140
; %bb.1214:                             ;   in Loop: Header=BB993_1143 Depth=1
	v_mad_nc_u64_u32 v[6:7], v48, s12, s[14:15]
	v_mad_nc_u64_u32 v[8:9], v4, s12, s[14:15]
	s_mov_b32 s33, 0
	s_mov_b64 s[8:9], s[12:13]
                                        ; implicit-def: $sgpr34
                                        ; implicit-def: $sgpr35
                                        ; implicit-def: $sgpr36
                                        ; implicit-def: $sgpr37
	s_delay_alu instid0(VALU_DEP_2) | instskip(NEXT) | instid1(VALU_DEP_2)
	v_mad_u32 v7, v33, s12, v7
	v_mad_u32 v9, v5, s12, v9
	s_delay_alu instid0(VALU_DEP_2) | instskip(NEXT) | instid1(VALU_DEP_2)
	v_mad_u32 v7, v48, s13, v7
	v_mad_u32 v9, v4, s13, v9
	s_branch .LBB993_1216
.LBB993_1215:                           ;   in Loop: Header=BB993_1216 Depth=2
	s_or_b32 exec_lo, exec_lo, s7
	s_delay_alu instid0(SALU_CYCLE_1) | instskip(NEXT) | instid1(SALU_CYCLE_1)
	s_and_b32 s7, exec_lo, s35
	s_or_b32 s33, s7, s33
	s_and_not1_b32 s7, s37, exec_lo
	s_and_b32 s37, s38, exec_lo
	s_and_not1_b32 s34, s34, exec_lo
	s_and_b32 s38, s36, exec_lo
	s_or_b32 s37, s7, s37
	s_or_b32 s34, s34, s38
	s_and_not1_b32 exec_lo, exec_lo, s33
	s_cbranch_execz .LBB993_1139
.LBB993_1216:                           ;   Parent Loop BB993_1143 Depth=1
                                        ; =>  This Inner Loop Header: Depth=2
	global_load_u8 v32, v[6:7], off
	global_load_u8 v49, v[8:9], off
	s_and_not1_b32 s36, s36, exec_lo
	s_or_b32 s35, s35, exec_lo
	s_wait_loadcnt 0x1
	v_cmp_eq_u16_e32 vcc_lo, 0, v32
	s_wait_loadcnt 0x0
	v_cmp_ne_u16_e64 s7, 0, v49
	s_or_b32 s38, vcc_lo, s7
	s_and_b32 s39, vcc_lo, s7
	s_and_b32 s38, s38, s37
	s_xor_b32 s40, vcc_lo, s7
	s_or_b32 s38, s39, s38
	s_delay_alu instid0(SALU_CYCLE_1) | instskip(NEXT) | instid1(SALU_CYCLE_1)
	s_and_b32 s39, s38, exec_lo
	s_or_b32 s36, s36, s39
	s_and_saveexec_b32 s7, s40
	s_cbranch_execz .LBB993_1215
; %bb.1217:                             ;   in Loop: Header=BB993_1216 Depth=2
	s_add_nc_u64 s[8:9], s[8:9], -1
	v_add_nc_u64_e32 v[6:7], 1, v[6:7]
	s_cmp_eq_u64 s[8:9], 0
	v_add_nc_u64_e32 v[8:9], 1, v[8:9]
	s_cselect_b32 s37, -1, 0
	s_and_not1_b32 s35, s35, exec_lo
	s_and_b32 s37, s37, exec_lo
	s_and_not1_b32 s36, s36, exec_lo
	s_or_b32 s35, s35, s37
                                        ; implicit-def: $sgpr37
	s_branch .LBB993_1215
.LBB993_1218:
	s_barrier_signal -1
	s_barrier_wait -1
	ds_store_2addr_b64 v30, v[14:15], v[16:17] offset1:1
	ds_store_2addr_b64 v30, v[10:11], v[12:13] offset0:2 offset1:3
	ds_store_2addr_b64 v30, v[6:7], v[8:9] offset0:4 offset1:5
	;; [unrolled: 1-line block ×3, first 2 shown]
	s_wait_dscnt 0x0
	s_barrier_signal -1
	s_barrier_wait -1
	ds_load_b64 v[14:15], v21 offset:2048
	ds_load_b64 v[12:13], v24 offset:4096
	;; [unrolled: 1-line block ×7, first 2 shown]
	v_mov_b32_e32 v21, 0
	s_delay_alu instid0(VALU_DEP_1)
	v_add_nc_u64_e32 v[4:5], s[10:11], v[20:21]
	s_and_saveexec_b32 s7, s0
	s_cbranch_execnz .LBB993_1230
; %bb.1219:
	s_or_b32 exec_lo, exec_lo, s7
	s_and_saveexec_b32 s0, s1
	s_cbranch_execnz .LBB993_1231
.LBB993_1220:
	s_or_b32 exec_lo, exec_lo, s0
	s_and_saveexec_b32 s0, s2
	s_cbranch_execnz .LBB993_1232
.LBB993_1221:
	s_or_b32 exec_lo, exec_lo, s0
	s_and_saveexec_b32 s0, s3
	s_cbranch_execnz .LBB993_1233
.LBB993_1222:
	s_or_b32 exec_lo, exec_lo, s0
	s_and_saveexec_b32 s0, s4
	s_cbranch_execnz .LBB993_1234
.LBB993_1223:
	s_or_b32 exec_lo, exec_lo, s0
	s_and_saveexec_b32 s0, s5
	s_cbranch_execnz .LBB993_1235
.LBB993_1224:
	s_or_b32 exec_lo, exec_lo, s0
	s_and_saveexec_b32 s0, s6
	s_cbranch_execz .LBB993_1226
.LBB993_1225:
	s_wait_dscnt 0x1
	global_store_b64 v[4:5], v[0:1], off offset:12288
.LBB993_1226:
	s_wait_xcnt 0x0
	s_or_b32 exec_lo, exec_lo, s0
	v_mov_b32_e32 v19, v21
.LBB993_1227:
	s_wait_xcnt 0x0
	s_and_saveexec_b32 s0, s20
	s_cbranch_execz .LBB993_1229
; %bb.1228:
	s_wait_dscnt 0x1
	v_lshl_add_u64 v[0:1], v[18:19], 3, s[10:11]
	s_wait_dscnt 0x0
	global_store_b64 v[0:1], v[2:3], off offset:14336
.LBB993_1229:
	s_endpgm
.LBB993_1230:
	ds_load_b64 v[16:17], v19
	s_wait_dscnt 0x0
	global_store_b64 v[4:5], v[16:17], off
	s_wait_xcnt 0x0
	s_or_b32 exec_lo, exec_lo, s7
	s_and_saveexec_b32 s0, s1
	s_cbranch_execz .LBB993_1220
.LBB993_1231:
	s_wait_dscnt 0x6
	global_store_b64 v[4:5], v[14:15], off offset:2048
	s_wait_xcnt 0x0
	s_or_b32 exec_lo, exec_lo, s0
	s_and_saveexec_b32 s0, s2
	s_cbranch_execz .LBB993_1221
.LBB993_1232:
	s_wait_dscnt 0x5
	global_store_b64 v[4:5], v[12:13], off offset:4096
	s_wait_xcnt 0x0
	s_or_b32 exec_lo, exec_lo, s0
	s_and_saveexec_b32 s0, s3
	s_cbranch_execz .LBB993_1222
.LBB993_1233:
	s_wait_dscnt 0x4
	global_store_b64 v[4:5], v[10:11], off offset:6144
	s_wait_xcnt 0x0
	s_or_b32 exec_lo, exec_lo, s0
	s_and_saveexec_b32 s0, s4
	s_cbranch_execz .LBB993_1223
.LBB993_1234:
	s_wait_dscnt 0x3
	global_store_b64 v[4:5], v[8:9], off offset:8192
	s_wait_xcnt 0x0
	s_or_b32 exec_lo, exec_lo, s0
	s_and_saveexec_b32 s0, s5
	s_cbranch_execz .LBB993_1224
.LBB993_1235:
	s_wait_dscnt 0x2
	global_store_b64 v[4:5], v[6:7], off offset:10240
	s_wait_xcnt 0x0
	s_or_b32 exec_lo, exec_lo, s0
	s_and_saveexec_b32 s0, s6
	s_cbranch_execnz .LBB993_1225
	s_branch .LBB993_1226
	.section	.rodata,"a",@progbits
	.p2align	6, 0x0
	.amdhsa_kernel _ZN7rocprim17ROCPRIM_400000_NS6detail17trampoline_kernelINS0_14default_configENS1_37merge_sort_block_sort_config_selectorIlNS0_10empty_typeEEEZNS1_21merge_sort_block_sortIS3_PlS8_PS5_S9_ZN2at6native12_GLOBAL__N_124unique_dim_cuda_templateIbEESt5tupleIJNSA_6TensorESF_SF_EERKSF_lbbbEUlllE_EE10hipError_tT0_T1_T2_T3_mRjT4_P12ihipStream_tbNS1_7vsmem_tEEUlT_E_NS1_11comp_targetILNS1_3genE0ELNS1_11target_archE4294967295ELNS1_3gpuE0ELNS1_3repE0EEENS1_30default_config_static_selectorELNS0_4arch9wavefront6targetE0EEEvSM_
		.amdhsa_group_segment_fixed_size 16896
		.amdhsa_private_segment_fixed_size 0
		.amdhsa_kernarg_size 328
		.amdhsa_user_sgpr_count 2
		.amdhsa_user_sgpr_dispatch_ptr 0
		.amdhsa_user_sgpr_queue_ptr 0
		.amdhsa_user_sgpr_kernarg_segment_ptr 1
		.amdhsa_user_sgpr_dispatch_id 0
		.amdhsa_user_sgpr_kernarg_preload_length 0
		.amdhsa_user_sgpr_kernarg_preload_offset 0
		.amdhsa_user_sgpr_private_segment_size 0
		.amdhsa_wavefront_size32 1
		.amdhsa_uses_dynamic_stack 0
		.amdhsa_enable_private_segment 0
		.amdhsa_system_sgpr_workgroup_id_x 1
		.amdhsa_system_sgpr_workgroup_id_y 1
		.amdhsa_system_sgpr_workgroup_id_z 1
		.amdhsa_system_sgpr_workgroup_info 0
		.amdhsa_system_vgpr_workitem_id 2
		.amdhsa_next_free_vgpr 57
		.amdhsa_next_free_sgpr 41
		.amdhsa_named_barrier_count 0
		.amdhsa_reserve_vcc 1
		.amdhsa_float_round_mode_32 0
		.amdhsa_float_round_mode_16_64 0
		.amdhsa_float_denorm_mode_32 3
		.amdhsa_float_denorm_mode_16_64 3
		.amdhsa_fp16_overflow 0
		.amdhsa_memory_ordered 1
		.amdhsa_forward_progress 1
		.amdhsa_inst_pref_size 255
		.amdhsa_round_robin_scheduling 0
		.amdhsa_exception_fp_ieee_invalid_op 0
		.amdhsa_exception_fp_denorm_src 0
		.amdhsa_exception_fp_ieee_div_zero 0
		.amdhsa_exception_fp_ieee_overflow 0
		.amdhsa_exception_fp_ieee_underflow 0
		.amdhsa_exception_fp_ieee_inexact 0
		.amdhsa_exception_int_div_zero 0
	.end_amdhsa_kernel
	.section	.text._ZN7rocprim17ROCPRIM_400000_NS6detail17trampoline_kernelINS0_14default_configENS1_37merge_sort_block_sort_config_selectorIlNS0_10empty_typeEEEZNS1_21merge_sort_block_sortIS3_PlS8_PS5_S9_ZN2at6native12_GLOBAL__N_124unique_dim_cuda_templateIbEESt5tupleIJNSA_6TensorESF_SF_EERKSF_lbbbEUlllE_EE10hipError_tT0_T1_T2_T3_mRjT4_P12ihipStream_tbNS1_7vsmem_tEEUlT_E_NS1_11comp_targetILNS1_3genE0ELNS1_11target_archE4294967295ELNS1_3gpuE0ELNS1_3repE0EEENS1_30default_config_static_selectorELNS0_4arch9wavefront6targetE0EEEvSM_,"axG",@progbits,_ZN7rocprim17ROCPRIM_400000_NS6detail17trampoline_kernelINS0_14default_configENS1_37merge_sort_block_sort_config_selectorIlNS0_10empty_typeEEEZNS1_21merge_sort_block_sortIS3_PlS8_PS5_S9_ZN2at6native12_GLOBAL__N_124unique_dim_cuda_templateIbEESt5tupleIJNSA_6TensorESF_SF_EERKSF_lbbbEUlllE_EE10hipError_tT0_T1_T2_T3_mRjT4_P12ihipStream_tbNS1_7vsmem_tEEUlT_E_NS1_11comp_targetILNS1_3genE0ELNS1_11target_archE4294967295ELNS1_3gpuE0ELNS1_3repE0EEENS1_30default_config_static_selectorELNS0_4arch9wavefront6targetE0EEEvSM_,comdat
.Lfunc_end993:
	.size	_ZN7rocprim17ROCPRIM_400000_NS6detail17trampoline_kernelINS0_14default_configENS1_37merge_sort_block_sort_config_selectorIlNS0_10empty_typeEEEZNS1_21merge_sort_block_sortIS3_PlS8_PS5_S9_ZN2at6native12_GLOBAL__N_124unique_dim_cuda_templateIbEESt5tupleIJNSA_6TensorESF_SF_EERKSF_lbbbEUlllE_EE10hipError_tT0_T1_T2_T3_mRjT4_P12ihipStream_tbNS1_7vsmem_tEEUlT_E_NS1_11comp_targetILNS1_3genE0ELNS1_11target_archE4294967295ELNS1_3gpuE0ELNS1_3repE0EEENS1_30default_config_static_selectorELNS0_4arch9wavefront6targetE0EEEvSM_, .Lfunc_end993-_ZN7rocprim17ROCPRIM_400000_NS6detail17trampoline_kernelINS0_14default_configENS1_37merge_sort_block_sort_config_selectorIlNS0_10empty_typeEEEZNS1_21merge_sort_block_sortIS3_PlS8_PS5_S9_ZN2at6native12_GLOBAL__N_124unique_dim_cuda_templateIbEESt5tupleIJNSA_6TensorESF_SF_EERKSF_lbbbEUlllE_EE10hipError_tT0_T1_T2_T3_mRjT4_P12ihipStream_tbNS1_7vsmem_tEEUlT_E_NS1_11comp_targetILNS1_3genE0ELNS1_11target_archE4294967295ELNS1_3gpuE0ELNS1_3repE0EEENS1_30default_config_static_selectorELNS0_4arch9wavefront6targetE0EEEvSM_
                                        ; -- End function
	.set _ZN7rocprim17ROCPRIM_400000_NS6detail17trampoline_kernelINS0_14default_configENS1_37merge_sort_block_sort_config_selectorIlNS0_10empty_typeEEEZNS1_21merge_sort_block_sortIS3_PlS8_PS5_S9_ZN2at6native12_GLOBAL__N_124unique_dim_cuda_templateIbEESt5tupleIJNSA_6TensorESF_SF_EERKSF_lbbbEUlllE_EE10hipError_tT0_T1_T2_T3_mRjT4_P12ihipStream_tbNS1_7vsmem_tEEUlT_E_NS1_11comp_targetILNS1_3genE0ELNS1_11target_archE4294967295ELNS1_3gpuE0ELNS1_3repE0EEENS1_30default_config_static_selectorELNS0_4arch9wavefront6targetE0EEEvSM_.num_vgpr, 57
	.set _ZN7rocprim17ROCPRIM_400000_NS6detail17trampoline_kernelINS0_14default_configENS1_37merge_sort_block_sort_config_selectorIlNS0_10empty_typeEEEZNS1_21merge_sort_block_sortIS3_PlS8_PS5_S9_ZN2at6native12_GLOBAL__N_124unique_dim_cuda_templateIbEESt5tupleIJNSA_6TensorESF_SF_EERKSF_lbbbEUlllE_EE10hipError_tT0_T1_T2_T3_mRjT4_P12ihipStream_tbNS1_7vsmem_tEEUlT_E_NS1_11comp_targetILNS1_3genE0ELNS1_11target_archE4294967295ELNS1_3gpuE0ELNS1_3repE0EEENS1_30default_config_static_selectorELNS0_4arch9wavefront6targetE0EEEvSM_.num_agpr, 0
	.set _ZN7rocprim17ROCPRIM_400000_NS6detail17trampoline_kernelINS0_14default_configENS1_37merge_sort_block_sort_config_selectorIlNS0_10empty_typeEEEZNS1_21merge_sort_block_sortIS3_PlS8_PS5_S9_ZN2at6native12_GLOBAL__N_124unique_dim_cuda_templateIbEESt5tupleIJNSA_6TensorESF_SF_EERKSF_lbbbEUlllE_EE10hipError_tT0_T1_T2_T3_mRjT4_P12ihipStream_tbNS1_7vsmem_tEEUlT_E_NS1_11comp_targetILNS1_3genE0ELNS1_11target_archE4294967295ELNS1_3gpuE0ELNS1_3repE0EEENS1_30default_config_static_selectorELNS0_4arch9wavefront6targetE0EEEvSM_.numbered_sgpr, 41
	.set _ZN7rocprim17ROCPRIM_400000_NS6detail17trampoline_kernelINS0_14default_configENS1_37merge_sort_block_sort_config_selectorIlNS0_10empty_typeEEEZNS1_21merge_sort_block_sortIS3_PlS8_PS5_S9_ZN2at6native12_GLOBAL__N_124unique_dim_cuda_templateIbEESt5tupleIJNSA_6TensorESF_SF_EERKSF_lbbbEUlllE_EE10hipError_tT0_T1_T2_T3_mRjT4_P12ihipStream_tbNS1_7vsmem_tEEUlT_E_NS1_11comp_targetILNS1_3genE0ELNS1_11target_archE4294967295ELNS1_3gpuE0ELNS1_3repE0EEENS1_30default_config_static_selectorELNS0_4arch9wavefront6targetE0EEEvSM_.num_named_barrier, 0
	.set _ZN7rocprim17ROCPRIM_400000_NS6detail17trampoline_kernelINS0_14default_configENS1_37merge_sort_block_sort_config_selectorIlNS0_10empty_typeEEEZNS1_21merge_sort_block_sortIS3_PlS8_PS5_S9_ZN2at6native12_GLOBAL__N_124unique_dim_cuda_templateIbEESt5tupleIJNSA_6TensorESF_SF_EERKSF_lbbbEUlllE_EE10hipError_tT0_T1_T2_T3_mRjT4_P12ihipStream_tbNS1_7vsmem_tEEUlT_E_NS1_11comp_targetILNS1_3genE0ELNS1_11target_archE4294967295ELNS1_3gpuE0ELNS1_3repE0EEENS1_30default_config_static_selectorELNS0_4arch9wavefront6targetE0EEEvSM_.private_seg_size, 0
	.set _ZN7rocprim17ROCPRIM_400000_NS6detail17trampoline_kernelINS0_14default_configENS1_37merge_sort_block_sort_config_selectorIlNS0_10empty_typeEEEZNS1_21merge_sort_block_sortIS3_PlS8_PS5_S9_ZN2at6native12_GLOBAL__N_124unique_dim_cuda_templateIbEESt5tupleIJNSA_6TensorESF_SF_EERKSF_lbbbEUlllE_EE10hipError_tT0_T1_T2_T3_mRjT4_P12ihipStream_tbNS1_7vsmem_tEEUlT_E_NS1_11comp_targetILNS1_3genE0ELNS1_11target_archE4294967295ELNS1_3gpuE0ELNS1_3repE0EEENS1_30default_config_static_selectorELNS0_4arch9wavefront6targetE0EEEvSM_.uses_vcc, 1
	.set _ZN7rocprim17ROCPRIM_400000_NS6detail17trampoline_kernelINS0_14default_configENS1_37merge_sort_block_sort_config_selectorIlNS0_10empty_typeEEEZNS1_21merge_sort_block_sortIS3_PlS8_PS5_S9_ZN2at6native12_GLOBAL__N_124unique_dim_cuda_templateIbEESt5tupleIJNSA_6TensorESF_SF_EERKSF_lbbbEUlllE_EE10hipError_tT0_T1_T2_T3_mRjT4_P12ihipStream_tbNS1_7vsmem_tEEUlT_E_NS1_11comp_targetILNS1_3genE0ELNS1_11target_archE4294967295ELNS1_3gpuE0ELNS1_3repE0EEENS1_30default_config_static_selectorELNS0_4arch9wavefront6targetE0EEEvSM_.uses_flat_scratch, 0
	.set _ZN7rocprim17ROCPRIM_400000_NS6detail17trampoline_kernelINS0_14default_configENS1_37merge_sort_block_sort_config_selectorIlNS0_10empty_typeEEEZNS1_21merge_sort_block_sortIS3_PlS8_PS5_S9_ZN2at6native12_GLOBAL__N_124unique_dim_cuda_templateIbEESt5tupleIJNSA_6TensorESF_SF_EERKSF_lbbbEUlllE_EE10hipError_tT0_T1_T2_T3_mRjT4_P12ihipStream_tbNS1_7vsmem_tEEUlT_E_NS1_11comp_targetILNS1_3genE0ELNS1_11target_archE4294967295ELNS1_3gpuE0ELNS1_3repE0EEENS1_30default_config_static_selectorELNS0_4arch9wavefront6targetE0EEEvSM_.has_dyn_sized_stack, 0
	.set _ZN7rocprim17ROCPRIM_400000_NS6detail17trampoline_kernelINS0_14default_configENS1_37merge_sort_block_sort_config_selectorIlNS0_10empty_typeEEEZNS1_21merge_sort_block_sortIS3_PlS8_PS5_S9_ZN2at6native12_GLOBAL__N_124unique_dim_cuda_templateIbEESt5tupleIJNSA_6TensorESF_SF_EERKSF_lbbbEUlllE_EE10hipError_tT0_T1_T2_T3_mRjT4_P12ihipStream_tbNS1_7vsmem_tEEUlT_E_NS1_11comp_targetILNS1_3genE0ELNS1_11target_archE4294967295ELNS1_3gpuE0ELNS1_3repE0EEENS1_30default_config_static_selectorELNS0_4arch9wavefront6targetE0EEEvSM_.has_recursion, 0
	.set _ZN7rocprim17ROCPRIM_400000_NS6detail17trampoline_kernelINS0_14default_configENS1_37merge_sort_block_sort_config_selectorIlNS0_10empty_typeEEEZNS1_21merge_sort_block_sortIS3_PlS8_PS5_S9_ZN2at6native12_GLOBAL__N_124unique_dim_cuda_templateIbEESt5tupleIJNSA_6TensorESF_SF_EERKSF_lbbbEUlllE_EE10hipError_tT0_T1_T2_T3_mRjT4_P12ihipStream_tbNS1_7vsmem_tEEUlT_E_NS1_11comp_targetILNS1_3genE0ELNS1_11target_archE4294967295ELNS1_3gpuE0ELNS1_3repE0EEENS1_30default_config_static_selectorELNS0_4arch9wavefront6targetE0EEEvSM_.has_indirect_call, 0
	.section	.AMDGPU.csdata,"",@progbits
; Kernel info:
; codeLenInByte = 60808
; TotalNumSgprs: 43
; NumVgprs: 57
; ScratchSize: 0
; MemoryBound: 0
; FloatMode: 240
; IeeeMode: 1
; LDSByteSize: 16896 bytes/workgroup (compile time only)
; SGPRBlocks: 0
; VGPRBlocks: 3
; NumSGPRsForWavesPerEU: 43
; NumVGPRsForWavesPerEU: 57
; NamedBarCnt: 0
; Occupancy: 16
; WaveLimiterHint : 1
; COMPUTE_PGM_RSRC2:SCRATCH_EN: 0
; COMPUTE_PGM_RSRC2:USER_SGPR: 2
; COMPUTE_PGM_RSRC2:TRAP_HANDLER: 0
; COMPUTE_PGM_RSRC2:TGID_X_EN: 1
; COMPUTE_PGM_RSRC2:TGID_Y_EN: 1
; COMPUTE_PGM_RSRC2:TGID_Z_EN: 1
; COMPUTE_PGM_RSRC2:TIDIG_COMP_CNT: 2
	.section	.text._ZN7rocprim17ROCPRIM_400000_NS6detail17trampoline_kernelINS0_14default_configENS1_37merge_sort_block_sort_config_selectorIlNS0_10empty_typeEEEZNS1_21merge_sort_block_sortIS3_PlS8_PS5_S9_ZN2at6native12_GLOBAL__N_124unique_dim_cuda_templateIbEESt5tupleIJNSA_6TensorESF_SF_EERKSF_lbbbEUlllE_EE10hipError_tT0_T1_T2_T3_mRjT4_P12ihipStream_tbNS1_7vsmem_tEEUlT_E_NS1_11comp_targetILNS1_3genE5ELNS1_11target_archE942ELNS1_3gpuE9ELNS1_3repE0EEENS1_30default_config_static_selectorELNS0_4arch9wavefront6targetE0EEEvSM_,"axG",@progbits,_ZN7rocprim17ROCPRIM_400000_NS6detail17trampoline_kernelINS0_14default_configENS1_37merge_sort_block_sort_config_selectorIlNS0_10empty_typeEEEZNS1_21merge_sort_block_sortIS3_PlS8_PS5_S9_ZN2at6native12_GLOBAL__N_124unique_dim_cuda_templateIbEESt5tupleIJNSA_6TensorESF_SF_EERKSF_lbbbEUlllE_EE10hipError_tT0_T1_T2_T3_mRjT4_P12ihipStream_tbNS1_7vsmem_tEEUlT_E_NS1_11comp_targetILNS1_3genE5ELNS1_11target_archE942ELNS1_3gpuE9ELNS1_3repE0EEENS1_30default_config_static_selectorELNS0_4arch9wavefront6targetE0EEEvSM_,comdat
	.globl	_ZN7rocprim17ROCPRIM_400000_NS6detail17trampoline_kernelINS0_14default_configENS1_37merge_sort_block_sort_config_selectorIlNS0_10empty_typeEEEZNS1_21merge_sort_block_sortIS3_PlS8_PS5_S9_ZN2at6native12_GLOBAL__N_124unique_dim_cuda_templateIbEESt5tupleIJNSA_6TensorESF_SF_EERKSF_lbbbEUlllE_EE10hipError_tT0_T1_T2_T3_mRjT4_P12ihipStream_tbNS1_7vsmem_tEEUlT_E_NS1_11comp_targetILNS1_3genE5ELNS1_11target_archE942ELNS1_3gpuE9ELNS1_3repE0EEENS1_30default_config_static_selectorELNS0_4arch9wavefront6targetE0EEEvSM_ ; -- Begin function _ZN7rocprim17ROCPRIM_400000_NS6detail17trampoline_kernelINS0_14default_configENS1_37merge_sort_block_sort_config_selectorIlNS0_10empty_typeEEEZNS1_21merge_sort_block_sortIS3_PlS8_PS5_S9_ZN2at6native12_GLOBAL__N_124unique_dim_cuda_templateIbEESt5tupleIJNSA_6TensorESF_SF_EERKSF_lbbbEUlllE_EE10hipError_tT0_T1_T2_T3_mRjT4_P12ihipStream_tbNS1_7vsmem_tEEUlT_E_NS1_11comp_targetILNS1_3genE5ELNS1_11target_archE942ELNS1_3gpuE9ELNS1_3repE0EEENS1_30default_config_static_selectorELNS0_4arch9wavefront6targetE0EEEvSM_
	.p2align	8
	.type	_ZN7rocprim17ROCPRIM_400000_NS6detail17trampoline_kernelINS0_14default_configENS1_37merge_sort_block_sort_config_selectorIlNS0_10empty_typeEEEZNS1_21merge_sort_block_sortIS3_PlS8_PS5_S9_ZN2at6native12_GLOBAL__N_124unique_dim_cuda_templateIbEESt5tupleIJNSA_6TensorESF_SF_EERKSF_lbbbEUlllE_EE10hipError_tT0_T1_T2_T3_mRjT4_P12ihipStream_tbNS1_7vsmem_tEEUlT_E_NS1_11comp_targetILNS1_3genE5ELNS1_11target_archE942ELNS1_3gpuE9ELNS1_3repE0EEENS1_30default_config_static_selectorELNS0_4arch9wavefront6targetE0EEEvSM_,@function
_ZN7rocprim17ROCPRIM_400000_NS6detail17trampoline_kernelINS0_14default_configENS1_37merge_sort_block_sort_config_selectorIlNS0_10empty_typeEEEZNS1_21merge_sort_block_sortIS3_PlS8_PS5_S9_ZN2at6native12_GLOBAL__N_124unique_dim_cuda_templateIbEESt5tupleIJNSA_6TensorESF_SF_EERKSF_lbbbEUlllE_EE10hipError_tT0_T1_T2_T3_mRjT4_P12ihipStream_tbNS1_7vsmem_tEEUlT_E_NS1_11comp_targetILNS1_3genE5ELNS1_11target_archE942ELNS1_3gpuE9ELNS1_3repE0EEENS1_30default_config_static_selectorELNS0_4arch9wavefront6targetE0EEEvSM_: ; @_ZN7rocprim17ROCPRIM_400000_NS6detail17trampoline_kernelINS0_14default_configENS1_37merge_sort_block_sort_config_selectorIlNS0_10empty_typeEEEZNS1_21merge_sort_block_sortIS3_PlS8_PS5_S9_ZN2at6native12_GLOBAL__N_124unique_dim_cuda_templateIbEESt5tupleIJNSA_6TensorESF_SF_EERKSF_lbbbEUlllE_EE10hipError_tT0_T1_T2_T3_mRjT4_P12ihipStream_tbNS1_7vsmem_tEEUlT_E_NS1_11comp_targetILNS1_3genE5ELNS1_11target_archE942ELNS1_3gpuE9ELNS1_3repE0EEENS1_30default_config_static_selectorELNS0_4arch9wavefront6targetE0EEEvSM_
; %bb.0:
	.section	.rodata,"a",@progbits
	.p2align	6, 0x0
	.amdhsa_kernel _ZN7rocprim17ROCPRIM_400000_NS6detail17trampoline_kernelINS0_14default_configENS1_37merge_sort_block_sort_config_selectorIlNS0_10empty_typeEEEZNS1_21merge_sort_block_sortIS3_PlS8_PS5_S9_ZN2at6native12_GLOBAL__N_124unique_dim_cuda_templateIbEESt5tupleIJNSA_6TensorESF_SF_EERKSF_lbbbEUlllE_EE10hipError_tT0_T1_T2_T3_mRjT4_P12ihipStream_tbNS1_7vsmem_tEEUlT_E_NS1_11comp_targetILNS1_3genE5ELNS1_11target_archE942ELNS1_3gpuE9ELNS1_3repE0EEENS1_30default_config_static_selectorELNS0_4arch9wavefront6targetE0EEEvSM_
		.amdhsa_group_segment_fixed_size 0
		.amdhsa_private_segment_fixed_size 0
		.amdhsa_kernarg_size 72
		.amdhsa_user_sgpr_count 2
		.amdhsa_user_sgpr_dispatch_ptr 0
		.amdhsa_user_sgpr_queue_ptr 0
		.amdhsa_user_sgpr_kernarg_segment_ptr 1
		.amdhsa_user_sgpr_dispatch_id 0
		.amdhsa_user_sgpr_kernarg_preload_length 0
		.amdhsa_user_sgpr_kernarg_preload_offset 0
		.amdhsa_user_sgpr_private_segment_size 0
		.amdhsa_wavefront_size32 1
		.amdhsa_uses_dynamic_stack 0
		.amdhsa_enable_private_segment 0
		.amdhsa_system_sgpr_workgroup_id_x 1
		.amdhsa_system_sgpr_workgroup_id_y 0
		.amdhsa_system_sgpr_workgroup_id_z 0
		.amdhsa_system_sgpr_workgroup_info 0
		.amdhsa_system_vgpr_workitem_id 0
		.amdhsa_next_free_vgpr 1
		.amdhsa_next_free_sgpr 1
		.amdhsa_named_barrier_count 0
		.amdhsa_reserve_vcc 0
		.amdhsa_float_round_mode_32 0
		.amdhsa_float_round_mode_16_64 0
		.amdhsa_float_denorm_mode_32 3
		.amdhsa_float_denorm_mode_16_64 3
		.amdhsa_fp16_overflow 0
		.amdhsa_memory_ordered 1
		.amdhsa_forward_progress 1
		.amdhsa_inst_pref_size 0
		.amdhsa_round_robin_scheduling 0
		.amdhsa_exception_fp_ieee_invalid_op 0
		.amdhsa_exception_fp_denorm_src 0
		.amdhsa_exception_fp_ieee_div_zero 0
		.amdhsa_exception_fp_ieee_overflow 0
		.amdhsa_exception_fp_ieee_underflow 0
		.amdhsa_exception_fp_ieee_inexact 0
		.amdhsa_exception_int_div_zero 0
	.end_amdhsa_kernel
	.section	.text._ZN7rocprim17ROCPRIM_400000_NS6detail17trampoline_kernelINS0_14default_configENS1_37merge_sort_block_sort_config_selectorIlNS0_10empty_typeEEEZNS1_21merge_sort_block_sortIS3_PlS8_PS5_S9_ZN2at6native12_GLOBAL__N_124unique_dim_cuda_templateIbEESt5tupleIJNSA_6TensorESF_SF_EERKSF_lbbbEUlllE_EE10hipError_tT0_T1_T2_T3_mRjT4_P12ihipStream_tbNS1_7vsmem_tEEUlT_E_NS1_11comp_targetILNS1_3genE5ELNS1_11target_archE942ELNS1_3gpuE9ELNS1_3repE0EEENS1_30default_config_static_selectorELNS0_4arch9wavefront6targetE0EEEvSM_,"axG",@progbits,_ZN7rocprim17ROCPRIM_400000_NS6detail17trampoline_kernelINS0_14default_configENS1_37merge_sort_block_sort_config_selectorIlNS0_10empty_typeEEEZNS1_21merge_sort_block_sortIS3_PlS8_PS5_S9_ZN2at6native12_GLOBAL__N_124unique_dim_cuda_templateIbEESt5tupleIJNSA_6TensorESF_SF_EERKSF_lbbbEUlllE_EE10hipError_tT0_T1_T2_T3_mRjT4_P12ihipStream_tbNS1_7vsmem_tEEUlT_E_NS1_11comp_targetILNS1_3genE5ELNS1_11target_archE942ELNS1_3gpuE9ELNS1_3repE0EEENS1_30default_config_static_selectorELNS0_4arch9wavefront6targetE0EEEvSM_,comdat
.Lfunc_end994:
	.size	_ZN7rocprim17ROCPRIM_400000_NS6detail17trampoline_kernelINS0_14default_configENS1_37merge_sort_block_sort_config_selectorIlNS0_10empty_typeEEEZNS1_21merge_sort_block_sortIS3_PlS8_PS5_S9_ZN2at6native12_GLOBAL__N_124unique_dim_cuda_templateIbEESt5tupleIJNSA_6TensorESF_SF_EERKSF_lbbbEUlllE_EE10hipError_tT0_T1_T2_T3_mRjT4_P12ihipStream_tbNS1_7vsmem_tEEUlT_E_NS1_11comp_targetILNS1_3genE5ELNS1_11target_archE942ELNS1_3gpuE9ELNS1_3repE0EEENS1_30default_config_static_selectorELNS0_4arch9wavefront6targetE0EEEvSM_, .Lfunc_end994-_ZN7rocprim17ROCPRIM_400000_NS6detail17trampoline_kernelINS0_14default_configENS1_37merge_sort_block_sort_config_selectorIlNS0_10empty_typeEEEZNS1_21merge_sort_block_sortIS3_PlS8_PS5_S9_ZN2at6native12_GLOBAL__N_124unique_dim_cuda_templateIbEESt5tupleIJNSA_6TensorESF_SF_EERKSF_lbbbEUlllE_EE10hipError_tT0_T1_T2_T3_mRjT4_P12ihipStream_tbNS1_7vsmem_tEEUlT_E_NS1_11comp_targetILNS1_3genE5ELNS1_11target_archE942ELNS1_3gpuE9ELNS1_3repE0EEENS1_30default_config_static_selectorELNS0_4arch9wavefront6targetE0EEEvSM_
                                        ; -- End function
	.set _ZN7rocprim17ROCPRIM_400000_NS6detail17trampoline_kernelINS0_14default_configENS1_37merge_sort_block_sort_config_selectorIlNS0_10empty_typeEEEZNS1_21merge_sort_block_sortIS3_PlS8_PS5_S9_ZN2at6native12_GLOBAL__N_124unique_dim_cuda_templateIbEESt5tupleIJNSA_6TensorESF_SF_EERKSF_lbbbEUlllE_EE10hipError_tT0_T1_T2_T3_mRjT4_P12ihipStream_tbNS1_7vsmem_tEEUlT_E_NS1_11comp_targetILNS1_3genE5ELNS1_11target_archE942ELNS1_3gpuE9ELNS1_3repE0EEENS1_30default_config_static_selectorELNS0_4arch9wavefront6targetE0EEEvSM_.num_vgpr, 0
	.set _ZN7rocprim17ROCPRIM_400000_NS6detail17trampoline_kernelINS0_14default_configENS1_37merge_sort_block_sort_config_selectorIlNS0_10empty_typeEEEZNS1_21merge_sort_block_sortIS3_PlS8_PS5_S9_ZN2at6native12_GLOBAL__N_124unique_dim_cuda_templateIbEESt5tupleIJNSA_6TensorESF_SF_EERKSF_lbbbEUlllE_EE10hipError_tT0_T1_T2_T3_mRjT4_P12ihipStream_tbNS1_7vsmem_tEEUlT_E_NS1_11comp_targetILNS1_3genE5ELNS1_11target_archE942ELNS1_3gpuE9ELNS1_3repE0EEENS1_30default_config_static_selectorELNS0_4arch9wavefront6targetE0EEEvSM_.num_agpr, 0
	.set _ZN7rocprim17ROCPRIM_400000_NS6detail17trampoline_kernelINS0_14default_configENS1_37merge_sort_block_sort_config_selectorIlNS0_10empty_typeEEEZNS1_21merge_sort_block_sortIS3_PlS8_PS5_S9_ZN2at6native12_GLOBAL__N_124unique_dim_cuda_templateIbEESt5tupleIJNSA_6TensorESF_SF_EERKSF_lbbbEUlllE_EE10hipError_tT0_T1_T2_T3_mRjT4_P12ihipStream_tbNS1_7vsmem_tEEUlT_E_NS1_11comp_targetILNS1_3genE5ELNS1_11target_archE942ELNS1_3gpuE9ELNS1_3repE0EEENS1_30default_config_static_selectorELNS0_4arch9wavefront6targetE0EEEvSM_.numbered_sgpr, 0
	.set _ZN7rocprim17ROCPRIM_400000_NS6detail17trampoline_kernelINS0_14default_configENS1_37merge_sort_block_sort_config_selectorIlNS0_10empty_typeEEEZNS1_21merge_sort_block_sortIS3_PlS8_PS5_S9_ZN2at6native12_GLOBAL__N_124unique_dim_cuda_templateIbEESt5tupleIJNSA_6TensorESF_SF_EERKSF_lbbbEUlllE_EE10hipError_tT0_T1_T2_T3_mRjT4_P12ihipStream_tbNS1_7vsmem_tEEUlT_E_NS1_11comp_targetILNS1_3genE5ELNS1_11target_archE942ELNS1_3gpuE9ELNS1_3repE0EEENS1_30default_config_static_selectorELNS0_4arch9wavefront6targetE0EEEvSM_.num_named_barrier, 0
	.set _ZN7rocprim17ROCPRIM_400000_NS6detail17trampoline_kernelINS0_14default_configENS1_37merge_sort_block_sort_config_selectorIlNS0_10empty_typeEEEZNS1_21merge_sort_block_sortIS3_PlS8_PS5_S9_ZN2at6native12_GLOBAL__N_124unique_dim_cuda_templateIbEESt5tupleIJNSA_6TensorESF_SF_EERKSF_lbbbEUlllE_EE10hipError_tT0_T1_T2_T3_mRjT4_P12ihipStream_tbNS1_7vsmem_tEEUlT_E_NS1_11comp_targetILNS1_3genE5ELNS1_11target_archE942ELNS1_3gpuE9ELNS1_3repE0EEENS1_30default_config_static_selectorELNS0_4arch9wavefront6targetE0EEEvSM_.private_seg_size, 0
	.set _ZN7rocprim17ROCPRIM_400000_NS6detail17trampoline_kernelINS0_14default_configENS1_37merge_sort_block_sort_config_selectorIlNS0_10empty_typeEEEZNS1_21merge_sort_block_sortIS3_PlS8_PS5_S9_ZN2at6native12_GLOBAL__N_124unique_dim_cuda_templateIbEESt5tupleIJNSA_6TensorESF_SF_EERKSF_lbbbEUlllE_EE10hipError_tT0_T1_T2_T3_mRjT4_P12ihipStream_tbNS1_7vsmem_tEEUlT_E_NS1_11comp_targetILNS1_3genE5ELNS1_11target_archE942ELNS1_3gpuE9ELNS1_3repE0EEENS1_30default_config_static_selectorELNS0_4arch9wavefront6targetE0EEEvSM_.uses_vcc, 0
	.set _ZN7rocprim17ROCPRIM_400000_NS6detail17trampoline_kernelINS0_14default_configENS1_37merge_sort_block_sort_config_selectorIlNS0_10empty_typeEEEZNS1_21merge_sort_block_sortIS3_PlS8_PS5_S9_ZN2at6native12_GLOBAL__N_124unique_dim_cuda_templateIbEESt5tupleIJNSA_6TensorESF_SF_EERKSF_lbbbEUlllE_EE10hipError_tT0_T1_T2_T3_mRjT4_P12ihipStream_tbNS1_7vsmem_tEEUlT_E_NS1_11comp_targetILNS1_3genE5ELNS1_11target_archE942ELNS1_3gpuE9ELNS1_3repE0EEENS1_30default_config_static_selectorELNS0_4arch9wavefront6targetE0EEEvSM_.uses_flat_scratch, 0
	.set _ZN7rocprim17ROCPRIM_400000_NS6detail17trampoline_kernelINS0_14default_configENS1_37merge_sort_block_sort_config_selectorIlNS0_10empty_typeEEEZNS1_21merge_sort_block_sortIS3_PlS8_PS5_S9_ZN2at6native12_GLOBAL__N_124unique_dim_cuda_templateIbEESt5tupleIJNSA_6TensorESF_SF_EERKSF_lbbbEUlllE_EE10hipError_tT0_T1_T2_T3_mRjT4_P12ihipStream_tbNS1_7vsmem_tEEUlT_E_NS1_11comp_targetILNS1_3genE5ELNS1_11target_archE942ELNS1_3gpuE9ELNS1_3repE0EEENS1_30default_config_static_selectorELNS0_4arch9wavefront6targetE0EEEvSM_.has_dyn_sized_stack, 0
	.set _ZN7rocprim17ROCPRIM_400000_NS6detail17trampoline_kernelINS0_14default_configENS1_37merge_sort_block_sort_config_selectorIlNS0_10empty_typeEEEZNS1_21merge_sort_block_sortIS3_PlS8_PS5_S9_ZN2at6native12_GLOBAL__N_124unique_dim_cuda_templateIbEESt5tupleIJNSA_6TensorESF_SF_EERKSF_lbbbEUlllE_EE10hipError_tT0_T1_T2_T3_mRjT4_P12ihipStream_tbNS1_7vsmem_tEEUlT_E_NS1_11comp_targetILNS1_3genE5ELNS1_11target_archE942ELNS1_3gpuE9ELNS1_3repE0EEENS1_30default_config_static_selectorELNS0_4arch9wavefront6targetE0EEEvSM_.has_recursion, 0
	.set _ZN7rocprim17ROCPRIM_400000_NS6detail17trampoline_kernelINS0_14default_configENS1_37merge_sort_block_sort_config_selectorIlNS0_10empty_typeEEEZNS1_21merge_sort_block_sortIS3_PlS8_PS5_S9_ZN2at6native12_GLOBAL__N_124unique_dim_cuda_templateIbEESt5tupleIJNSA_6TensorESF_SF_EERKSF_lbbbEUlllE_EE10hipError_tT0_T1_T2_T3_mRjT4_P12ihipStream_tbNS1_7vsmem_tEEUlT_E_NS1_11comp_targetILNS1_3genE5ELNS1_11target_archE942ELNS1_3gpuE9ELNS1_3repE0EEENS1_30default_config_static_selectorELNS0_4arch9wavefront6targetE0EEEvSM_.has_indirect_call, 0
	.section	.AMDGPU.csdata,"",@progbits
; Kernel info:
; codeLenInByte = 0
; TotalNumSgprs: 0
; NumVgprs: 0
; ScratchSize: 0
; MemoryBound: 0
; FloatMode: 240
; IeeeMode: 1
; LDSByteSize: 0 bytes/workgroup (compile time only)
; SGPRBlocks: 0
; VGPRBlocks: 0
; NumSGPRsForWavesPerEU: 1
; NumVGPRsForWavesPerEU: 1
; NamedBarCnt: 0
; Occupancy: 16
; WaveLimiterHint : 0
; COMPUTE_PGM_RSRC2:SCRATCH_EN: 0
; COMPUTE_PGM_RSRC2:USER_SGPR: 2
; COMPUTE_PGM_RSRC2:TRAP_HANDLER: 0
; COMPUTE_PGM_RSRC2:TGID_X_EN: 1
; COMPUTE_PGM_RSRC2:TGID_Y_EN: 0
; COMPUTE_PGM_RSRC2:TGID_Z_EN: 0
; COMPUTE_PGM_RSRC2:TIDIG_COMP_CNT: 0
	.section	.text._ZN7rocprim17ROCPRIM_400000_NS6detail17trampoline_kernelINS0_14default_configENS1_37merge_sort_block_sort_config_selectorIlNS0_10empty_typeEEEZNS1_21merge_sort_block_sortIS3_PlS8_PS5_S9_ZN2at6native12_GLOBAL__N_124unique_dim_cuda_templateIbEESt5tupleIJNSA_6TensorESF_SF_EERKSF_lbbbEUlllE_EE10hipError_tT0_T1_T2_T3_mRjT4_P12ihipStream_tbNS1_7vsmem_tEEUlT_E_NS1_11comp_targetILNS1_3genE4ELNS1_11target_archE910ELNS1_3gpuE8ELNS1_3repE0EEENS1_30default_config_static_selectorELNS0_4arch9wavefront6targetE0EEEvSM_,"axG",@progbits,_ZN7rocprim17ROCPRIM_400000_NS6detail17trampoline_kernelINS0_14default_configENS1_37merge_sort_block_sort_config_selectorIlNS0_10empty_typeEEEZNS1_21merge_sort_block_sortIS3_PlS8_PS5_S9_ZN2at6native12_GLOBAL__N_124unique_dim_cuda_templateIbEESt5tupleIJNSA_6TensorESF_SF_EERKSF_lbbbEUlllE_EE10hipError_tT0_T1_T2_T3_mRjT4_P12ihipStream_tbNS1_7vsmem_tEEUlT_E_NS1_11comp_targetILNS1_3genE4ELNS1_11target_archE910ELNS1_3gpuE8ELNS1_3repE0EEENS1_30default_config_static_selectorELNS0_4arch9wavefront6targetE0EEEvSM_,comdat
	.globl	_ZN7rocprim17ROCPRIM_400000_NS6detail17trampoline_kernelINS0_14default_configENS1_37merge_sort_block_sort_config_selectorIlNS0_10empty_typeEEEZNS1_21merge_sort_block_sortIS3_PlS8_PS5_S9_ZN2at6native12_GLOBAL__N_124unique_dim_cuda_templateIbEESt5tupleIJNSA_6TensorESF_SF_EERKSF_lbbbEUlllE_EE10hipError_tT0_T1_T2_T3_mRjT4_P12ihipStream_tbNS1_7vsmem_tEEUlT_E_NS1_11comp_targetILNS1_3genE4ELNS1_11target_archE910ELNS1_3gpuE8ELNS1_3repE0EEENS1_30default_config_static_selectorELNS0_4arch9wavefront6targetE0EEEvSM_ ; -- Begin function _ZN7rocprim17ROCPRIM_400000_NS6detail17trampoline_kernelINS0_14default_configENS1_37merge_sort_block_sort_config_selectorIlNS0_10empty_typeEEEZNS1_21merge_sort_block_sortIS3_PlS8_PS5_S9_ZN2at6native12_GLOBAL__N_124unique_dim_cuda_templateIbEESt5tupleIJNSA_6TensorESF_SF_EERKSF_lbbbEUlllE_EE10hipError_tT0_T1_T2_T3_mRjT4_P12ihipStream_tbNS1_7vsmem_tEEUlT_E_NS1_11comp_targetILNS1_3genE4ELNS1_11target_archE910ELNS1_3gpuE8ELNS1_3repE0EEENS1_30default_config_static_selectorELNS0_4arch9wavefront6targetE0EEEvSM_
	.p2align	8
	.type	_ZN7rocprim17ROCPRIM_400000_NS6detail17trampoline_kernelINS0_14default_configENS1_37merge_sort_block_sort_config_selectorIlNS0_10empty_typeEEEZNS1_21merge_sort_block_sortIS3_PlS8_PS5_S9_ZN2at6native12_GLOBAL__N_124unique_dim_cuda_templateIbEESt5tupleIJNSA_6TensorESF_SF_EERKSF_lbbbEUlllE_EE10hipError_tT0_T1_T2_T3_mRjT4_P12ihipStream_tbNS1_7vsmem_tEEUlT_E_NS1_11comp_targetILNS1_3genE4ELNS1_11target_archE910ELNS1_3gpuE8ELNS1_3repE0EEENS1_30default_config_static_selectorELNS0_4arch9wavefront6targetE0EEEvSM_,@function
_ZN7rocprim17ROCPRIM_400000_NS6detail17trampoline_kernelINS0_14default_configENS1_37merge_sort_block_sort_config_selectorIlNS0_10empty_typeEEEZNS1_21merge_sort_block_sortIS3_PlS8_PS5_S9_ZN2at6native12_GLOBAL__N_124unique_dim_cuda_templateIbEESt5tupleIJNSA_6TensorESF_SF_EERKSF_lbbbEUlllE_EE10hipError_tT0_T1_T2_T3_mRjT4_P12ihipStream_tbNS1_7vsmem_tEEUlT_E_NS1_11comp_targetILNS1_3genE4ELNS1_11target_archE910ELNS1_3gpuE8ELNS1_3repE0EEENS1_30default_config_static_selectorELNS0_4arch9wavefront6targetE0EEEvSM_: ; @_ZN7rocprim17ROCPRIM_400000_NS6detail17trampoline_kernelINS0_14default_configENS1_37merge_sort_block_sort_config_selectorIlNS0_10empty_typeEEEZNS1_21merge_sort_block_sortIS3_PlS8_PS5_S9_ZN2at6native12_GLOBAL__N_124unique_dim_cuda_templateIbEESt5tupleIJNSA_6TensorESF_SF_EERKSF_lbbbEUlllE_EE10hipError_tT0_T1_T2_T3_mRjT4_P12ihipStream_tbNS1_7vsmem_tEEUlT_E_NS1_11comp_targetILNS1_3genE4ELNS1_11target_archE910ELNS1_3gpuE8ELNS1_3repE0EEENS1_30default_config_static_selectorELNS0_4arch9wavefront6targetE0EEEvSM_
; %bb.0:
	.section	.rodata,"a",@progbits
	.p2align	6, 0x0
	.amdhsa_kernel _ZN7rocprim17ROCPRIM_400000_NS6detail17trampoline_kernelINS0_14default_configENS1_37merge_sort_block_sort_config_selectorIlNS0_10empty_typeEEEZNS1_21merge_sort_block_sortIS3_PlS8_PS5_S9_ZN2at6native12_GLOBAL__N_124unique_dim_cuda_templateIbEESt5tupleIJNSA_6TensorESF_SF_EERKSF_lbbbEUlllE_EE10hipError_tT0_T1_T2_T3_mRjT4_P12ihipStream_tbNS1_7vsmem_tEEUlT_E_NS1_11comp_targetILNS1_3genE4ELNS1_11target_archE910ELNS1_3gpuE8ELNS1_3repE0EEENS1_30default_config_static_selectorELNS0_4arch9wavefront6targetE0EEEvSM_
		.amdhsa_group_segment_fixed_size 0
		.amdhsa_private_segment_fixed_size 0
		.amdhsa_kernarg_size 72
		.amdhsa_user_sgpr_count 2
		.amdhsa_user_sgpr_dispatch_ptr 0
		.amdhsa_user_sgpr_queue_ptr 0
		.amdhsa_user_sgpr_kernarg_segment_ptr 1
		.amdhsa_user_sgpr_dispatch_id 0
		.amdhsa_user_sgpr_kernarg_preload_length 0
		.amdhsa_user_sgpr_kernarg_preload_offset 0
		.amdhsa_user_sgpr_private_segment_size 0
		.amdhsa_wavefront_size32 1
		.amdhsa_uses_dynamic_stack 0
		.amdhsa_enable_private_segment 0
		.amdhsa_system_sgpr_workgroup_id_x 1
		.amdhsa_system_sgpr_workgroup_id_y 0
		.amdhsa_system_sgpr_workgroup_id_z 0
		.amdhsa_system_sgpr_workgroup_info 0
		.amdhsa_system_vgpr_workitem_id 0
		.amdhsa_next_free_vgpr 1
		.amdhsa_next_free_sgpr 1
		.amdhsa_named_barrier_count 0
		.amdhsa_reserve_vcc 0
		.amdhsa_float_round_mode_32 0
		.amdhsa_float_round_mode_16_64 0
		.amdhsa_float_denorm_mode_32 3
		.amdhsa_float_denorm_mode_16_64 3
		.amdhsa_fp16_overflow 0
		.amdhsa_memory_ordered 1
		.amdhsa_forward_progress 1
		.amdhsa_inst_pref_size 0
		.amdhsa_round_robin_scheduling 0
		.amdhsa_exception_fp_ieee_invalid_op 0
		.amdhsa_exception_fp_denorm_src 0
		.amdhsa_exception_fp_ieee_div_zero 0
		.amdhsa_exception_fp_ieee_overflow 0
		.amdhsa_exception_fp_ieee_underflow 0
		.amdhsa_exception_fp_ieee_inexact 0
		.amdhsa_exception_int_div_zero 0
	.end_amdhsa_kernel
	.section	.text._ZN7rocprim17ROCPRIM_400000_NS6detail17trampoline_kernelINS0_14default_configENS1_37merge_sort_block_sort_config_selectorIlNS0_10empty_typeEEEZNS1_21merge_sort_block_sortIS3_PlS8_PS5_S9_ZN2at6native12_GLOBAL__N_124unique_dim_cuda_templateIbEESt5tupleIJNSA_6TensorESF_SF_EERKSF_lbbbEUlllE_EE10hipError_tT0_T1_T2_T3_mRjT4_P12ihipStream_tbNS1_7vsmem_tEEUlT_E_NS1_11comp_targetILNS1_3genE4ELNS1_11target_archE910ELNS1_3gpuE8ELNS1_3repE0EEENS1_30default_config_static_selectorELNS0_4arch9wavefront6targetE0EEEvSM_,"axG",@progbits,_ZN7rocprim17ROCPRIM_400000_NS6detail17trampoline_kernelINS0_14default_configENS1_37merge_sort_block_sort_config_selectorIlNS0_10empty_typeEEEZNS1_21merge_sort_block_sortIS3_PlS8_PS5_S9_ZN2at6native12_GLOBAL__N_124unique_dim_cuda_templateIbEESt5tupleIJNSA_6TensorESF_SF_EERKSF_lbbbEUlllE_EE10hipError_tT0_T1_T2_T3_mRjT4_P12ihipStream_tbNS1_7vsmem_tEEUlT_E_NS1_11comp_targetILNS1_3genE4ELNS1_11target_archE910ELNS1_3gpuE8ELNS1_3repE0EEENS1_30default_config_static_selectorELNS0_4arch9wavefront6targetE0EEEvSM_,comdat
.Lfunc_end995:
	.size	_ZN7rocprim17ROCPRIM_400000_NS6detail17trampoline_kernelINS0_14default_configENS1_37merge_sort_block_sort_config_selectorIlNS0_10empty_typeEEEZNS1_21merge_sort_block_sortIS3_PlS8_PS5_S9_ZN2at6native12_GLOBAL__N_124unique_dim_cuda_templateIbEESt5tupleIJNSA_6TensorESF_SF_EERKSF_lbbbEUlllE_EE10hipError_tT0_T1_T2_T3_mRjT4_P12ihipStream_tbNS1_7vsmem_tEEUlT_E_NS1_11comp_targetILNS1_3genE4ELNS1_11target_archE910ELNS1_3gpuE8ELNS1_3repE0EEENS1_30default_config_static_selectorELNS0_4arch9wavefront6targetE0EEEvSM_, .Lfunc_end995-_ZN7rocprim17ROCPRIM_400000_NS6detail17trampoline_kernelINS0_14default_configENS1_37merge_sort_block_sort_config_selectorIlNS0_10empty_typeEEEZNS1_21merge_sort_block_sortIS3_PlS8_PS5_S9_ZN2at6native12_GLOBAL__N_124unique_dim_cuda_templateIbEESt5tupleIJNSA_6TensorESF_SF_EERKSF_lbbbEUlllE_EE10hipError_tT0_T1_T2_T3_mRjT4_P12ihipStream_tbNS1_7vsmem_tEEUlT_E_NS1_11comp_targetILNS1_3genE4ELNS1_11target_archE910ELNS1_3gpuE8ELNS1_3repE0EEENS1_30default_config_static_selectorELNS0_4arch9wavefront6targetE0EEEvSM_
                                        ; -- End function
	.set _ZN7rocprim17ROCPRIM_400000_NS6detail17trampoline_kernelINS0_14default_configENS1_37merge_sort_block_sort_config_selectorIlNS0_10empty_typeEEEZNS1_21merge_sort_block_sortIS3_PlS8_PS5_S9_ZN2at6native12_GLOBAL__N_124unique_dim_cuda_templateIbEESt5tupleIJNSA_6TensorESF_SF_EERKSF_lbbbEUlllE_EE10hipError_tT0_T1_T2_T3_mRjT4_P12ihipStream_tbNS1_7vsmem_tEEUlT_E_NS1_11comp_targetILNS1_3genE4ELNS1_11target_archE910ELNS1_3gpuE8ELNS1_3repE0EEENS1_30default_config_static_selectorELNS0_4arch9wavefront6targetE0EEEvSM_.num_vgpr, 0
	.set _ZN7rocprim17ROCPRIM_400000_NS6detail17trampoline_kernelINS0_14default_configENS1_37merge_sort_block_sort_config_selectorIlNS0_10empty_typeEEEZNS1_21merge_sort_block_sortIS3_PlS8_PS5_S9_ZN2at6native12_GLOBAL__N_124unique_dim_cuda_templateIbEESt5tupleIJNSA_6TensorESF_SF_EERKSF_lbbbEUlllE_EE10hipError_tT0_T1_T2_T3_mRjT4_P12ihipStream_tbNS1_7vsmem_tEEUlT_E_NS1_11comp_targetILNS1_3genE4ELNS1_11target_archE910ELNS1_3gpuE8ELNS1_3repE0EEENS1_30default_config_static_selectorELNS0_4arch9wavefront6targetE0EEEvSM_.num_agpr, 0
	.set _ZN7rocprim17ROCPRIM_400000_NS6detail17trampoline_kernelINS0_14default_configENS1_37merge_sort_block_sort_config_selectorIlNS0_10empty_typeEEEZNS1_21merge_sort_block_sortIS3_PlS8_PS5_S9_ZN2at6native12_GLOBAL__N_124unique_dim_cuda_templateIbEESt5tupleIJNSA_6TensorESF_SF_EERKSF_lbbbEUlllE_EE10hipError_tT0_T1_T2_T3_mRjT4_P12ihipStream_tbNS1_7vsmem_tEEUlT_E_NS1_11comp_targetILNS1_3genE4ELNS1_11target_archE910ELNS1_3gpuE8ELNS1_3repE0EEENS1_30default_config_static_selectorELNS0_4arch9wavefront6targetE0EEEvSM_.numbered_sgpr, 0
	.set _ZN7rocprim17ROCPRIM_400000_NS6detail17trampoline_kernelINS0_14default_configENS1_37merge_sort_block_sort_config_selectorIlNS0_10empty_typeEEEZNS1_21merge_sort_block_sortIS3_PlS8_PS5_S9_ZN2at6native12_GLOBAL__N_124unique_dim_cuda_templateIbEESt5tupleIJNSA_6TensorESF_SF_EERKSF_lbbbEUlllE_EE10hipError_tT0_T1_T2_T3_mRjT4_P12ihipStream_tbNS1_7vsmem_tEEUlT_E_NS1_11comp_targetILNS1_3genE4ELNS1_11target_archE910ELNS1_3gpuE8ELNS1_3repE0EEENS1_30default_config_static_selectorELNS0_4arch9wavefront6targetE0EEEvSM_.num_named_barrier, 0
	.set _ZN7rocprim17ROCPRIM_400000_NS6detail17trampoline_kernelINS0_14default_configENS1_37merge_sort_block_sort_config_selectorIlNS0_10empty_typeEEEZNS1_21merge_sort_block_sortIS3_PlS8_PS5_S9_ZN2at6native12_GLOBAL__N_124unique_dim_cuda_templateIbEESt5tupleIJNSA_6TensorESF_SF_EERKSF_lbbbEUlllE_EE10hipError_tT0_T1_T2_T3_mRjT4_P12ihipStream_tbNS1_7vsmem_tEEUlT_E_NS1_11comp_targetILNS1_3genE4ELNS1_11target_archE910ELNS1_3gpuE8ELNS1_3repE0EEENS1_30default_config_static_selectorELNS0_4arch9wavefront6targetE0EEEvSM_.private_seg_size, 0
	.set _ZN7rocprim17ROCPRIM_400000_NS6detail17trampoline_kernelINS0_14default_configENS1_37merge_sort_block_sort_config_selectorIlNS0_10empty_typeEEEZNS1_21merge_sort_block_sortIS3_PlS8_PS5_S9_ZN2at6native12_GLOBAL__N_124unique_dim_cuda_templateIbEESt5tupleIJNSA_6TensorESF_SF_EERKSF_lbbbEUlllE_EE10hipError_tT0_T1_T2_T3_mRjT4_P12ihipStream_tbNS1_7vsmem_tEEUlT_E_NS1_11comp_targetILNS1_3genE4ELNS1_11target_archE910ELNS1_3gpuE8ELNS1_3repE0EEENS1_30default_config_static_selectorELNS0_4arch9wavefront6targetE0EEEvSM_.uses_vcc, 0
	.set _ZN7rocprim17ROCPRIM_400000_NS6detail17trampoline_kernelINS0_14default_configENS1_37merge_sort_block_sort_config_selectorIlNS0_10empty_typeEEEZNS1_21merge_sort_block_sortIS3_PlS8_PS5_S9_ZN2at6native12_GLOBAL__N_124unique_dim_cuda_templateIbEESt5tupleIJNSA_6TensorESF_SF_EERKSF_lbbbEUlllE_EE10hipError_tT0_T1_T2_T3_mRjT4_P12ihipStream_tbNS1_7vsmem_tEEUlT_E_NS1_11comp_targetILNS1_3genE4ELNS1_11target_archE910ELNS1_3gpuE8ELNS1_3repE0EEENS1_30default_config_static_selectorELNS0_4arch9wavefront6targetE0EEEvSM_.uses_flat_scratch, 0
	.set _ZN7rocprim17ROCPRIM_400000_NS6detail17trampoline_kernelINS0_14default_configENS1_37merge_sort_block_sort_config_selectorIlNS0_10empty_typeEEEZNS1_21merge_sort_block_sortIS3_PlS8_PS5_S9_ZN2at6native12_GLOBAL__N_124unique_dim_cuda_templateIbEESt5tupleIJNSA_6TensorESF_SF_EERKSF_lbbbEUlllE_EE10hipError_tT0_T1_T2_T3_mRjT4_P12ihipStream_tbNS1_7vsmem_tEEUlT_E_NS1_11comp_targetILNS1_3genE4ELNS1_11target_archE910ELNS1_3gpuE8ELNS1_3repE0EEENS1_30default_config_static_selectorELNS0_4arch9wavefront6targetE0EEEvSM_.has_dyn_sized_stack, 0
	.set _ZN7rocprim17ROCPRIM_400000_NS6detail17trampoline_kernelINS0_14default_configENS1_37merge_sort_block_sort_config_selectorIlNS0_10empty_typeEEEZNS1_21merge_sort_block_sortIS3_PlS8_PS5_S9_ZN2at6native12_GLOBAL__N_124unique_dim_cuda_templateIbEESt5tupleIJNSA_6TensorESF_SF_EERKSF_lbbbEUlllE_EE10hipError_tT0_T1_T2_T3_mRjT4_P12ihipStream_tbNS1_7vsmem_tEEUlT_E_NS1_11comp_targetILNS1_3genE4ELNS1_11target_archE910ELNS1_3gpuE8ELNS1_3repE0EEENS1_30default_config_static_selectorELNS0_4arch9wavefront6targetE0EEEvSM_.has_recursion, 0
	.set _ZN7rocprim17ROCPRIM_400000_NS6detail17trampoline_kernelINS0_14default_configENS1_37merge_sort_block_sort_config_selectorIlNS0_10empty_typeEEEZNS1_21merge_sort_block_sortIS3_PlS8_PS5_S9_ZN2at6native12_GLOBAL__N_124unique_dim_cuda_templateIbEESt5tupleIJNSA_6TensorESF_SF_EERKSF_lbbbEUlllE_EE10hipError_tT0_T1_T2_T3_mRjT4_P12ihipStream_tbNS1_7vsmem_tEEUlT_E_NS1_11comp_targetILNS1_3genE4ELNS1_11target_archE910ELNS1_3gpuE8ELNS1_3repE0EEENS1_30default_config_static_selectorELNS0_4arch9wavefront6targetE0EEEvSM_.has_indirect_call, 0
	.section	.AMDGPU.csdata,"",@progbits
; Kernel info:
; codeLenInByte = 0
; TotalNumSgprs: 0
; NumVgprs: 0
; ScratchSize: 0
; MemoryBound: 0
; FloatMode: 240
; IeeeMode: 1
; LDSByteSize: 0 bytes/workgroup (compile time only)
; SGPRBlocks: 0
; VGPRBlocks: 0
; NumSGPRsForWavesPerEU: 1
; NumVGPRsForWavesPerEU: 1
; NamedBarCnt: 0
; Occupancy: 16
; WaveLimiterHint : 0
; COMPUTE_PGM_RSRC2:SCRATCH_EN: 0
; COMPUTE_PGM_RSRC2:USER_SGPR: 2
; COMPUTE_PGM_RSRC2:TRAP_HANDLER: 0
; COMPUTE_PGM_RSRC2:TGID_X_EN: 1
; COMPUTE_PGM_RSRC2:TGID_Y_EN: 0
; COMPUTE_PGM_RSRC2:TGID_Z_EN: 0
; COMPUTE_PGM_RSRC2:TIDIG_COMP_CNT: 0
	.section	.text._ZN7rocprim17ROCPRIM_400000_NS6detail17trampoline_kernelINS0_14default_configENS1_37merge_sort_block_sort_config_selectorIlNS0_10empty_typeEEEZNS1_21merge_sort_block_sortIS3_PlS8_PS5_S9_ZN2at6native12_GLOBAL__N_124unique_dim_cuda_templateIbEESt5tupleIJNSA_6TensorESF_SF_EERKSF_lbbbEUlllE_EE10hipError_tT0_T1_T2_T3_mRjT4_P12ihipStream_tbNS1_7vsmem_tEEUlT_E_NS1_11comp_targetILNS1_3genE3ELNS1_11target_archE908ELNS1_3gpuE7ELNS1_3repE0EEENS1_30default_config_static_selectorELNS0_4arch9wavefront6targetE0EEEvSM_,"axG",@progbits,_ZN7rocprim17ROCPRIM_400000_NS6detail17trampoline_kernelINS0_14default_configENS1_37merge_sort_block_sort_config_selectorIlNS0_10empty_typeEEEZNS1_21merge_sort_block_sortIS3_PlS8_PS5_S9_ZN2at6native12_GLOBAL__N_124unique_dim_cuda_templateIbEESt5tupleIJNSA_6TensorESF_SF_EERKSF_lbbbEUlllE_EE10hipError_tT0_T1_T2_T3_mRjT4_P12ihipStream_tbNS1_7vsmem_tEEUlT_E_NS1_11comp_targetILNS1_3genE3ELNS1_11target_archE908ELNS1_3gpuE7ELNS1_3repE0EEENS1_30default_config_static_selectorELNS0_4arch9wavefront6targetE0EEEvSM_,comdat
	.globl	_ZN7rocprim17ROCPRIM_400000_NS6detail17trampoline_kernelINS0_14default_configENS1_37merge_sort_block_sort_config_selectorIlNS0_10empty_typeEEEZNS1_21merge_sort_block_sortIS3_PlS8_PS5_S9_ZN2at6native12_GLOBAL__N_124unique_dim_cuda_templateIbEESt5tupleIJNSA_6TensorESF_SF_EERKSF_lbbbEUlllE_EE10hipError_tT0_T1_T2_T3_mRjT4_P12ihipStream_tbNS1_7vsmem_tEEUlT_E_NS1_11comp_targetILNS1_3genE3ELNS1_11target_archE908ELNS1_3gpuE7ELNS1_3repE0EEENS1_30default_config_static_selectorELNS0_4arch9wavefront6targetE0EEEvSM_ ; -- Begin function _ZN7rocprim17ROCPRIM_400000_NS6detail17trampoline_kernelINS0_14default_configENS1_37merge_sort_block_sort_config_selectorIlNS0_10empty_typeEEEZNS1_21merge_sort_block_sortIS3_PlS8_PS5_S9_ZN2at6native12_GLOBAL__N_124unique_dim_cuda_templateIbEESt5tupleIJNSA_6TensorESF_SF_EERKSF_lbbbEUlllE_EE10hipError_tT0_T1_T2_T3_mRjT4_P12ihipStream_tbNS1_7vsmem_tEEUlT_E_NS1_11comp_targetILNS1_3genE3ELNS1_11target_archE908ELNS1_3gpuE7ELNS1_3repE0EEENS1_30default_config_static_selectorELNS0_4arch9wavefront6targetE0EEEvSM_
	.p2align	8
	.type	_ZN7rocprim17ROCPRIM_400000_NS6detail17trampoline_kernelINS0_14default_configENS1_37merge_sort_block_sort_config_selectorIlNS0_10empty_typeEEEZNS1_21merge_sort_block_sortIS3_PlS8_PS5_S9_ZN2at6native12_GLOBAL__N_124unique_dim_cuda_templateIbEESt5tupleIJNSA_6TensorESF_SF_EERKSF_lbbbEUlllE_EE10hipError_tT0_T1_T2_T3_mRjT4_P12ihipStream_tbNS1_7vsmem_tEEUlT_E_NS1_11comp_targetILNS1_3genE3ELNS1_11target_archE908ELNS1_3gpuE7ELNS1_3repE0EEENS1_30default_config_static_selectorELNS0_4arch9wavefront6targetE0EEEvSM_,@function
_ZN7rocprim17ROCPRIM_400000_NS6detail17trampoline_kernelINS0_14default_configENS1_37merge_sort_block_sort_config_selectorIlNS0_10empty_typeEEEZNS1_21merge_sort_block_sortIS3_PlS8_PS5_S9_ZN2at6native12_GLOBAL__N_124unique_dim_cuda_templateIbEESt5tupleIJNSA_6TensorESF_SF_EERKSF_lbbbEUlllE_EE10hipError_tT0_T1_T2_T3_mRjT4_P12ihipStream_tbNS1_7vsmem_tEEUlT_E_NS1_11comp_targetILNS1_3genE3ELNS1_11target_archE908ELNS1_3gpuE7ELNS1_3repE0EEENS1_30default_config_static_selectorELNS0_4arch9wavefront6targetE0EEEvSM_: ; @_ZN7rocprim17ROCPRIM_400000_NS6detail17trampoline_kernelINS0_14default_configENS1_37merge_sort_block_sort_config_selectorIlNS0_10empty_typeEEEZNS1_21merge_sort_block_sortIS3_PlS8_PS5_S9_ZN2at6native12_GLOBAL__N_124unique_dim_cuda_templateIbEESt5tupleIJNSA_6TensorESF_SF_EERKSF_lbbbEUlllE_EE10hipError_tT0_T1_T2_T3_mRjT4_P12ihipStream_tbNS1_7vsmem_tEEUlT_E_NS1_11comp_targetILNS1_3genE3ELNS1_11target_archE908ELNS1_3gpuE7ELNS1_3repE0EEENS1_30default_config_static_selectorELNS0_4arch9wavefront6targetE0EEEvSM_
; %bb.0:
	.section	.rodata,"a",@progbits
	.p2align	6, 0x0
	.amdhsa_kernel _ZN7rocprim17ROCPRIM_400000_NS6detail17trampoline_kernelINS0_14default_configENS1_37merge_sort_block_sort_config_selectorIlNS0_10empty_typeEEEZNS1_21merge_sort_block_sortIS3_PlS8_PS5_S9_ZN2at6native12_GLOBAL__N_124unique_dim_cuda_templateIbEESt5tupleIJNSA_6TensorESF_SF_EERKSF_lbbbEUlllE_EE10hipError_tT0_T1_T2_T3_mRjT4_P12ihipStream_tbNS1_7vsmem_tEEUlT_E_NS1_11comp_targetILNS1_3genE3ELNS1_11target_archE908ELNS1_3gpuE7ELNS1_3repE0EEENS1_30default_config_static_selectorELNS0_4arch9wavefront6targetE0EEEvSM_
		.amdhsa_group_segment_fixed_size 0
		.amdhsa_private_segment_fixed_size 0
		.amdhsa_kernarg_size 72
		.amdhsa_user_sgpr_count 2
		.amdhsa_user_sgpr_dispatch_ptr 0
		.amdhsa_user_sgpr_queue_ptr 0
		.amdhsa_user_sgpr_kernarg_segment_ptr 1
		.amdhsa_user_sgpr_dispatch_id 0
		.amdhsa_user_sgpr_kernarg_preload_length 0
		.amdhsa_user_sgpr_kernarg_preload_offset 0
		.amdhsa_user_sgpr_private_segment_size 0
		.amdhsa_wavefront_size32 1
		.amdhsa_uses_dynamic_stack 0
		.amdhsa_enable_private_segment 0
		.amdhsa_system_sgpr_workgroup_id_x 1
		.amdhsa_system_sgpr_workgroup_id_y 0
		.amdhsa_system_sgpr_workgroup_id_z 0
		.amdhsa_system_sgpr_workgroup_info 0
		.amdhsa_system_vgpr_workitem_id 0
		.amdhsa_next_free_vgpr 1
		.amdhsa_next_free_sgpr 1
		.amdhsa_named_barrier_count 0
		.amdhsa_reserve_vcc 0
		.amdhsa_float_round_mode_32 0
		.amdhsa_float_round_mode_16_64 0
		.amdhsa_float_denorm_mode_32 3
		.amdhsa_float_denorm_mode_16_64 3
		.amdhsa_fp16_overflow 0
		.amdhsa_memory_ordered 1
		.amdhsa_forward_progress 1
		.amdhsa_inst_pref_size 0
		.amdhsa_round_robin_scheduling 0
		.amdhsa_exception_fp_ieee_invalid_op 0
		.amdhsa_exception_fp_denorm_src 0
		.amdhsa_exception_fp_ieee_div_zero 0
		.amdhsa_exception_fp_ieee_overflow 0
		.amdhsa_exception_fp_ieee_underflow 0
		.amdhsa_exception_fp_ieee_inexact 0
		.amdhsa_exception_int_div_zero 0
	.end_amdhsa_kernel
	.section	.text._ZN7rocprim17ROCPRIM_400000_NS6detail17trampoline_kernelINS0_14default_configENS1_37merge_sort_block_sort_config_selectorIlNS0_10empty_typeEEEZNS1_21merge_sort_block_sortIS3_PlS8_PS5_S9_ZN2at6native12_GLOBAL__N_124unique_dim_cuda_templateIbEESt5tupleIJNSA_6TensorESF_SF_EERKSF_lbbbEUlllE_EE10hipError_tT0_T1_T2_T3_mRjT4_P12ihipStream_tbNS1_7vsmem_tEEUlT_E_NS1_11comp_targetILNS1_3genE3ELNS1_11target_archE908ELNS1_3gpuE7ELNS1_3repE0EEENS1_30default_config_static_selectorELNS0_4arch9wavefront6targetE0EEEvSM_,"axG",@progbits,_ZN7rocprim17ROCPRIM_400000_NS6detail17trampoline_kernelINS0_14default_configENS1_37merge_sort_block_sort_config_selectorIlNS0_10empty_typeEEEZNS1_21merge_sort_block_sortIS3_PlS8_PS5_S9_ZN2at6native12_GLOBAL__N_124unique_dim_cuda_templateIbEESt5tupleIJNSA_6TensorESF_SF_EERKSF_lbbbEUlllE_EE10hipError_tT0_T1_T2_T3_mRjT4_P12ihipStream_tbNS1_7vsmem_tEEUlT_E_NS1_11comp_targetILNS1_3genE3ELNS1_11target_archE908ELNS1_3gpuE7ELNS1_3repE0EEENS1_30default_config_static_selectorELNS0_4arch9wavefront6targetE0EEEvSM_,comdat
.Lfunc_end996:
	.size	_ZN7rocprim17ROCPRIM_400000_NS6detail17trampoline_kernelINS0_14default_configENS1_37merge_sort_block_sort_config_selectorIlNS0_10empty_typeEEEZNS1_21merge_sort_block_sortIS3_PlS8_PS5_S9_ZN2at6native12_GLOBAL__N_124unique_dim_cuda_templateIbEESt5tupleIJNSA_6TensorESF_SF_EERKSF_lbbbEUlllE_EE10hipError_tT0_T1_T2_T3_mRjT4_P12ihipStream_tbNS1_7vsmem_tEEUlT_E_NS1_11comp_targetILNS1_3genE3ELNS1_11target_archE908ELNS1_3gpuE7ELNS1_3repE0EEENS1_30default_config_static_selectorELNS0_4arch9wavefront6targetE0EEEvSM_, .Lfunc_end996-_ZN7rocprim17ROCPRIM_400000_NS6detail17trampoline_kernelINS0_14default_configENS1_37merge_sort_block_sort_config_selectorIlNS0_10empty_typeEEEZNS1_21merge_sort_block_sortIS3_PlS8_PS5_S9_ZN2at6native12_GLOBAL__N_124unique_dim_cuda_templateIbEESt5tupleIJNSA_6TensorESF_SF_EERKSF_lbbbEUlllE_EE10hipError_tT0_T1_T2_T3_mRjT4_P12ihipStream_tbNS1_7vsmem_tEEUlT_E_NS1_11comp_targetILNS1_3genE3ELNS1_11target_archE908ELNS1_3gpuE7ELNS1_3repE0EEENS1_30default_config_static_selectorELNS0_4arch9wavefront6targetE0EEEvSM_
                                        ; -- End function
	.set _ZN7rocprim17ROCPRIM_400000_NS6detail17trampoline_kernelINS0_14default_configENS1_37merge_sort_block_sort_config_selectorIlNS0_10empty_typeEEEZNS1_21merge_sort_block_sortIS3_PlS8_PS5_S9_ZN2at6native12_GLOBAL__N_124unique_dim_cuda_templateIbEESt5tupleIJNSA_6TensorESF_SF_EERKSF_lbbbEUlllE_EE10hipError_tT0_T1_T2_T3_mRjT4_P12ihipStream_tbNS1_7vsmem_tEEUlT_E_NS1_11comp_targetILNS1_3genE3ELNS1_11target_archE908ELNS1_3gpuE7ELNS1_3repE0EEENS1_30default_config_static_selectorELNS0_4arch9wavefront6targetE0EEEvSM_.num_vgpr, 0
	.set _ZN7rocprim17ROCPRIM_400000_NS6detail17trampoline_kernelINS0_14default_configENS1_37merge_sort_block_sort_config_selectorIlNS0_10empty_typeEEEZNS1_21merge_sort_block_sortIS3_PlS8_PS5_S9_ZN2at6native12_GLOBAL__N_124unique_dim_cuda_templateIbEESt5tupleIJNSA_6TensorESF_SF_EERKSF_lbbbEUlllE_EE10hipError_tT0_T1_T2_T3_mRjT4_P12ihipStream_tbNS1_7vsmem_tEEUlT_E_NS1_11comp_targetILNS1_3genE3ELNS1_11target_archE908ELNS1_3gpuE7ELNS1_3repE0EEENS1_30default_config_static_selectorELNS0_4arch9wavefront6targetE0EEEvSM_.num_agpr, 0
	.set _ZN7rocprim17ROCPRIM_400000_NS6detail17trampoline_kernelINS0_14default_configENS1_37merge_sort_block_sort_config_selectorIlNS0_10empty_typeEEEZNS1_21merge_sort_block_sortIS3_PlS8_PS5_S9_ZN2at6native12_GLOBAL__N_124unique_dim_cuda_templateIbEESt5tupleIJNSA_6TensorESF_SF_EERKSF_lbbbEUlllE_EE10hipError_tT0_T1_T2_T3_mRjT4_P12ihipStream_tbNS1_7vsmem_tEEUlT_E_NS1_11comp_targetILNS1_3genE3ELNS1_11target_archE908ELNS1_3gpuE7ELNS1_3repE0EEENS1_30default_config_static_selectorELNS0_4arch9wavefront6targetE0EEEvSM_.numbered_sgpr, 0
	.set _ZN7rocprim17ROCPRIM_400000_NS6detail17trampoline_kernelINS0_14default_configENS1_37merge_sort_block_sort_config_selectorIlNS0_10empty_typeEEEZNS1_21merge_sort_block_sortIS3_PlS8_PS5_S9_ZN2at6native12_GLOBAL__N_124unique_dim_cuda_templateIbEESt5tupleIJNSA_6TensorESF_SF_EERKSF_lbbbEUlllE_EE10hipError_tT0_T1_T2_T3_mRjT4_P12ihipStream_tbNS1_7vsmem_tEEUlT_E_NS1_11comp_targetILNS1_3genE3ELNS1_11target_archE908ELNS1_3gpuE7ELNS1_3repE0EEENS1_30default_config_static_selectorELNS0_4arch9wavefront6targetE0EEEvSM_.num_named_barrier, 0
	.set _ZN7rocprim17ROCPRIM_400000_NS6detail17trampoline_kernelINS0_14default_configENS1_37merge_sort_block_sort_config_selectorIlNS0_10empty_typeEEEZNS1_21merge_sort_block_sortIS3_PlS8_PS5_S9_ZN2at6native12_GLOBAL__N_124unique_dim_cuda_templateIbEESt5tupleIJNSA_6TensorESF_SF_EERKSF_lbbbEUlllE_EE10hipError_tT0_T1_T2_T3_mRjT4_P12ihipStream_tbNS1_7vsmem_tEEUlT_E_NS1_11comp_targetILNS1_3genE3ELNS1_11target_archE908ELNS1_3gpuE7ELNS1_3repE0EEENS1_30default_config_static_selectorELNS0_4arch9wavefront6targetE0EEEvSM_.private_seg_size, 0
	.set _ZN7rocprim17ROCPRIM_400000_NS6detail17trampoline_kernelINS0_14default_configENS1_37merge_sort_block_sort_config_selectorIlNS0_10empty_typeEEEZNS1_21merge_sort_block_sortIS3_PlS8_PS5_S9_ZN2at6native12_GLOBAL__N_124unique_dim_cuda_templateIbEESt5tupleIJNSA_6TensorESF_SF_EERKSF_lbbbEUlllE_EE10hipError_tT0_T1_T2_T3_mRjT4_P12ihipStream_tbNS1_7vsmem_tEEUlT_E_NS1_11comp_targetILNS1_3genE3ELNS1_11target_archE908ELNS1_3gpuE7ELNS1_3repE0EEENS1_30default_config_static_selectorELNS0_4arch9wavefront6targetE0EEEvSM_.uses_vcc, 0
	.set _ZN7rocprim17ROCPRIM_400000_NS6detail17trampoline_kernelINS0_14default_configENS1_37merge_sort_block_sort_config_selectorIlNS0_10empty_typeEEEZNS1_21merge_sort_block_sortIS3_PlS8_PS5_S9_ZN2at6native12_GLOBAL__N_124unique_dim_cuda_templateIbEESt5tupleIJNSA_6TensorESF_SF_EERKSF_lbbbEUlllE_EE10hipError_tT0_T1_T2_T3_mRjT4_P12ihipStream_tbNS1_7vsmem_tEEUlT_E_NS1_11comp_targetILNS1_3genE3ELNS1_11target_archE908ELNS1_3gpuE7ELNS1_3repE0EEENS1_30default_config_static_selectorELNS0_4arch9wavefront6targetE0EEEvSM_.uses_flat_scratch, 0
	.set _ZN7rocprim17ROCPRIM_400000_NS6detail17trampoline_kernelINS0_14default_configENS1_37merge_sort_block_sort_config_selectorIlNS0_10empty_typeEEEZNS1_21merge_sort_block_sortIS3_PlS8_PS5_S9_ZN2at6native12_GLOBAL__N_124unique_dim_cuda_templateIbEESt5tupleIJNSA_6TensorESF_SF_EERKSF_lbbbEUlllE_EE10hipError_tT0_T1_T2_T3_mRjT4_P12ihipStream_tbNS1_7vsmem_tEEUlT_E_NS1_11comp_targetILNS1_3genE3ELNS1_11target_archE908ELNS1_3gpuE7ELNS1_3repE0EEENS1_30default_config_static_selectorELNS0_4arch9wavefront6targetE0EEEvSM_.has_dyn_sized_stack, 0
	.set _ZN7rocprim17ROCPRIM_400000_NS6detail17trampoline_kernelINS0_14default_configENS1_37merge_sort_block_sort_config_selectorIlNS0_10empty_typeEEEZNS1_21merge_sort_block_sortIS3_PlS8_PS5_S9_ZN2at6native12_GLOBAL__N_124unique_dim_cuda_templateIbEESt5tupleIJNSA_6TensorESF_SF_EERKSF_lbbbEUlllE_EE10hipError_tT0_T1_T2_T3_mRjT4_P12ihipStream_tbNS1_7vsmem_tEEUlT_E_NS1_11comp_targetILNS1_3genE3ELNS1_11target_archE908ELNS1_3gpuE7ELNS1_3repE0EEENS1_30default_config_static_selectorELNS0_4arch9wavefront6targetE0EEEvSM_.has_recursion, 0
	.set _ZN7rocprim17ROCPRIM_400000_NS6detail17trampoline_kernelINS0_14default_configENS1_37merge_sort_block_sort_config_selectorIlNS0_10empty_typeEEEZNS1_21merge_sort_block_sortIS3_PlS8_PS5_S9_ZN2at6native12_GLOBAL__N_124unique_dim_cuda_templateIbEESt5tupleIJNSA_6TensorESF_SF_EERKSF_lbbbEUlllE_EE10hipError_tT0_T1_T2_T3_mRjT4_P12ihipStream_tbNS1_7vsmem_tEEUlT_E_NS1_11comp_targetILNS1_3genE3ELNS1_11target_archE908ELNS1_3gpuE7ELNS1_3repE0EEENS1_30default_config_static_selectorELNS0_4arch9wavefront6targetE0EEEvSM_.has_indirect_call, 0
	.section	.AMDGPU.csdata,"",@progbits
; Kernel info:
; codeLenInByte = 0
; TotalNumSgprs: 0
; NumVgprs: 0
; ScratchSize: 0
; MemoryBound: 0
; FloatMode: 240
; IeeeMode: 1
; LDSByteSize: 0 bytes/workgroup (compile time only)
; SGPRBlocks: 0
; VGPRBlocks: 0
; NumSGPRsForWavesPerEU: 1
; NumVGPRsForWavesPerEU: 1
; NamedBarCnt: 0
; Occupancy: 16
; WaveLimiterHint : 0
; COMPUTE_PGM_RSRC2:SCRATCH_EN: 0
; COMPUTE_PGM_RSRC2:USER_SGPR: 2
; COMPUTE_PGM_RSRC2:TRAP_HANDLER: 0
; COMPUTE_PGM_RSRC2:TGID_X_EN: 1
; COMPUTE_PGM_RSRC2:TGID_Y_EN: 0
; COMPUTE_PGM_RSRC2:TGID_Z_EN: 0
; COMPUTE_PGM_RSRC2:TIDIG_COMP_CNT: 0
	.section	.text._ZN7rocprim17ROCPRIM_400000_NS6detail17trampoline_kernelINS0_14default_configENS1_37merge_sort_block_sort_config_selectorIlNS0_10empty_typeEEEZNS1_21merge_sort_block_sortIS3_PlS8_PS5_S9_ZN2at6native12_GLOBAL__N_124unique_dim_cuda_templateIbEESt5tupleIJNSA_6TensorESF_SF_EERKSF_lbbbEUlllE_EE10hipError_tT0_T1_T2_T3_mRjT4_P12ihipStream_tbNS1_7vsmem_tEEUlT_E_NS1_11comp_targetILNS1_3genE2ELNS1_11target_archE906ELNS1_3gpuE6ELNS1_3repE0EEENS1_30default_config_static_selectorELNS0_4arch9wavefront6targetE0EEEvSM_,"axG",@progbits,_ZN7rocprim17ROCPRIM_400000_NS6detail17trampoline_kernelINS0_14default_configENS1_37merge_sort_block_sort_config_selectorIlNS0_10empty_typeEEEZNS1_21merge_sort_block_sortIS3_PlS8_PS5_S9_ZN2at6native12_GLOBAL__N_124unique_dim_cuda_templateIbEESt5tupleIJNSA_6TensorESF_SF_EERKSF_lbbbEUlllE_EE10hipError_tT0_T1_T2_T3_mRjT4_P12ihipStream_tbNS1_7vsmem_tEEUlT_E_NS1_11comp_targetILNS1_3genE2ELNS1_11target_archE906ELNS1_3gpuE6ELNS1_3repE0EEENS1_30default_config_static_selectorELNS0_4arch9wavefront6targetE0EEEvSM_,comdat
	.globl	_ZN7rocprim17ROCPRIM_400000_NS6detail17trampoline_kernelINS0_14default_configENS1_37merge_sort_block_sort_config_selectorIlNS0_10empty_typeEEEZNS1_21merge_sort_block_sortIS3_PlS8_PS5_S9_ZN2at6native12_GLOBAL__N_124unique_dim_cuda_templateIbEESt5tupleIJNSA_6TensorESF_SF_EERKSF_lbbbEUlllE_EE10hipError_tT0_T1_T2_T3_mRjT4_P12ihipStream_tbNS1_7vsmem_tEEUlT_E_NS1_11comp_targetILNS1_3genE2ELNS1_11target_archE906ELNS1_3gpuE6ELNS1_3repE0EEENS1_30default_config_static_selectorELNS0_4arch9wavefront6targetE0EEEvSM_ ; -- Begin function _ZN7rocprim17ROCPRIM_400000_NS6detail17trampoline_kernelINS0_14default_configENS1_37merge_sort_block_sort_config_selectorIlNS0_10empty_typeEEEZNS1_21merge_sort_block_sortIS3_PlS8_PS5_S9_ZN2at6native12_GLOBAL__N_124unique_dim_cuda_templateIbEESt5tupleIJNSA_6TensorESF_SF_EERKSF_lbbbEUlllE_EE10hipError_tT0_T1_T2_T3_mRjT4_P12ihipStream_tbNS1_7vsmem_tEEUlT_E_NS1_11comp_targetILNS1_3genE2ELNS1_11target_archE906ELNS1_3gpuE6ELNS1_3repE0EEENS1_30default_config_static_selectorELNS0_4arch9wavefront6targetE0EEEvSM_
	.p2align	8
	.type	_ZN7rocprim17ROCPRIM_400000_NS6detail17trampoline_kernelINS0_14default_configENS1_37merge_sort_block_sort_config_selectorIlNS0_10empty_typeEEEZNS1_21merge_sort_block_sortIS3_PlS8_PS5_S9_ZN2at6native12_GLOBAL__N_124unique_dim_cuda_templateIbEESt5tupleIJNSA_6TensorESF_SF_EERKSF_lbbbEUlllE_EE10hipError_tT0_T1_T2_T3_mRjT4_P12ihipStream_tbNS1_7vsmem_tEEUlT_E_NS1_11comp_targetILNS1_3genE2ELNS1_11target_archE906ELNS1_3gpuE6ELNS1_3repE0EEENS1_30default_config_static_selectorELNS0_4arch9wavefront6targetE0EEEvSM_,@function
_ZN7rocprim17ROCPRIM_400000_NS6detail17trampoline_kernelINS0_14default_configENS1_37merge_sort_block_sort_config_selectorIlNS0_10empty_typeEEEZNS1_21merge_sort_block_sortIS3_PlS8_PS5_S9_ZN2at6native12_GLOBAL__N_124unique_dim_cuda_templateIbEESt5tupleIJNSA_6TensorESF_SF_EERKSF_lbbbEUlllE_EE10hipError_tT0_T1_T2_T3_mRjT4_P12ihipStream_tbNS1_7vsmem_tEEUlT_E_NS1_11comp_targetILNS1_3genE2ELNS1_11target_archE906ELNS1_3gpuE6ELNS1_3repE0EEENS1_30default_config_static_selectorELNS0_4arch9wavefront6targetE0EEEvSM_: ; @_ZN7rocprim17ROCPRIM_400000_NS6detail17trampoline_kernelINS0_14default_configENS1_37merge_sort_block_sort_config_selectorIlNS0_10empty_typeEEEZNS1_21merge_sort_block_sortIS3_PlS8_PS5_S9_ZN2at6native12_GLOBAL__N_124unique_dim_cuda_templateIbEESt5tupleIJNSA_6TensorESF_SF_EERKSF_lbbbEUlllE_EE10hipError_tT0_T1_T2_T3_mRjT4_P12ihipStream_tbNS1_7vsmem_tEEUlT_E_NS1_11comp_targetILNS1_3genE2ELNS1_11target_archE906ELNS1_3gpuE6ELNS1_3repE0EEENS1_30default_config_static_selectorELNS0_4arch9wavefront6targetE0EEEvSM_
; %bb.0:
	.section	.rodata,"a",@progbits
	.p2align	6, 0x0
	.amdhsa_kernel _ZN7rocprim17ROCPRIM_400000_NS6detail17trampoline_kernelINS0_14default_configENS1_37merge_sort_block_sort_config_selectorIlNS0_10empty_typeEEEZNS1_21merge_sort_block_sortIS3_PlS8_PS5_S9_ZN2at6native12_GLOBAL__N_124unique_dim_cuda_templateIbEESt5tupleIJNSA_6TensorESF_SF_EERKSF_lbbbEUlllE_EE10hipError_tT0_T1_T2_T3_mRjT4_P12ihipStream_tbNS1_7vsmem_tEEUlT_E_NS1_11comp_targetILNS1_3genE2ELNS1_11target_archE906ELNS1_3gpuE6ELNS1_3repE0EEENS1_30default_config_static_selectorELNS0_4arch9wavefront6targetE0EEEvSM_
		.amdhsa_group_segment_fixed_size 0
		.amdhsa_private_segment_fixed_size 0
		.amdhsa_kernarg_size 72
		.amdhsa_user_sgpr_count 2
		.amdhsa_user_sgpr_dispatch_ptr 0
		.amdhsa_user_sgpr_queue_ptr 0
		.amdhsa_user_sgpr_kernarg_segment_ptr 1
		.amdhsa_user_sgpr_dispatch_id 0
		.amdhsa_user_sgpr_kernarg_preload_length 0
		.amdhsa_user_sgpr_kernarg_preload_offset 0
		.amdhsa_user_sgpr_private_segment_size 0
		.amdhsa_wavefront_size32 1
		.amdhsa_uses_dynamic_stack 0
		.amdhsa_enable_private_segment 0
		.amdhsa_system_sgpr_workgroup_id_x 1
		.amdhsa_system_sgpr_workgroup_id_y 0
		.amdhsa_system_sgpr_workgroup_id_z 0
		.amdhsa_system_sgpr_workgroup_info 0
		.amdhsa_system_vgpr_workitem_id 0
		.amdhsa_next_free_vgpr 1
		.amdhsa_next_free_sgpr 1
		.amdhsa_named_barrier_count 0
		.amdhsa_reserve_vcc 0
		.amdhsa_float_round_mode_32 0
		.amdhsa_float_round_mode_16_64 0
		.amdhsa_float_denorm_mode_32 3
		.amdhsa_float_denorm_mode_16_64 3
		.amdhsa_fp16_overflow 0
		.amdhsa_memory_ordered 1
		.amdhsa_forward_progress 1
		.amdhsa_inst_pref_size 0
		.amdhsa_round_robin_scheduling 0
		.amdhsa_exception_fp_ieee_invalid_op 0
		.amdhsa_exception_fp_denorm_src 0
		.amdhsa_exception_fp_ieee_div_zero 0
		.amdhsa_exception_fp_ieee_overflow 0
		.amdhsa_exception_fp_ieee_underflow 0
		.amdhsa_exception_fp_ieee_inexact 0
		.amdhsa_exception_int_div_zero 0
	.end_amdhsa_kernel
	.section	.text._ZN7rocprim17ROCPRIM_400000_NS6detail17trampoline_kernelINS0_14default_configENS1_37merge_sort_block_sort_config_selectorIlNS0_10empty_typeEEEZNS1_21merge_sort_block_sortIS3_PlS8_PS5_S9_ZN2at6native12_GLOBAL__N_124unique_dim_cuda_templateIbEESt5tupleIJNSA_6TensorESF_SF_EERKSF_lbbbEUlllE_EE10hipError_tT0_T1_T2_T3_mRjT4_P12ihipStream_tbNS1_7vsmem_tEEUlT_E_NS1_11comp_targetILNS1_3genE2ELNS1_11target_archE906ELNS1_3gpuE6ELNS1_3repE0EEENS1_30default_config_static_selectorELNS0_4arch9wavefront6targetE0EEEvSM_,"axG",@progbits,_ZN7rocprim17ROCPRIM_400000_NS6detail17trampoline_kernelINS0_14default_configENS1_37merge_sort_block_sort_config_selectorIlNS0_10empty_typeEEEZNS1_21merge_sort_block_sortIS3_PlS8_PS5_S9_ZN2at6native12_GLOBAL__N_124unique_dim_cuda_templateIbEESt5tupleIJNSA_6TensorESF_SF_EERKSF_lbbbEUlllE_EE10hipError_tT0_T1_T2_T3_mRjT4_P12ihipStream_tbNS1_7vsmem_tEEUlT_E_NS1_11comp_targetILNS1_3genE2ELNS1_11target_archE906ELNS1_3gpuE6ELNS1_3repE0EEENS1_30default_config_static_selectorELNS0_4arch9wavefront6targetE0EEEvSM_,comdat
.Lfunc_end997:
	.size	_ZN7rocprim17ROCPRIM_400000_NS6detail17trampoline_kernelINS0_14default_configENS1_37merge_sort_block_sort_config_selectorIlNS0_10empty_typeEEEZNS1_21merge_sort_block_sortIS3_PlS8_PS5_S9_ZN2at6native12_GLOBAL__N_124unique_dim_cuda_templateIbEESt5tupleIJNSA_6TensorESF_SF_EERKSF_lbbbEUlllE_EE10hipError_tT0_T1_T2_T3_mRjT4_P12ihipStream_tbNS1_7vsmem_tEEUlT_E_NS1_11comp_targetILNS1_3genE2ELNS1_11target_archE906ELNS1_3gpuE6ELNS1_3repE0EEENS1_30default_config_static_selectorELNS0_4arch9wavefront6targetE0EEEvSM_, .Lfunc_end997-_ZN7rocprim17ROCPRIM_400000_NS6detail17trampoline_kernelINS0_14default_configENS1_37merge_sort_block_sort_config_selectorIlNS0_10empty_typeEEEZNS1_21merge_sort_block_sortIS3_PlS8_PS5_S9_ZN2at6native12_GLOBAL__N_124unique_dim_cuda_templateIbEESt5tupleIJNSA_6TensorESF_SF_EERKSF_lbbbEUlllE_EE10hipError_tT0_T1_T2_T3_mRjT4_P12ihipStream_tbNS1_7vsmem_tEEUlT_E_NS1_11comp_targetILNS1_3genE2ELNS1_11target_archE906ELNS1_3gpuE6ELNS1_3repE0EEENS1_30default_config_static_selectorELNS0_4arch9wavefront6targetE0EEEvSM_
                                        ; -- End function
	.set _ZN7rocprim17ROCPRIM_400000_NS6detail17trampoline_kernelINS0_14default_configENS1_37merge_sort_block_sort_config_selectorIlNS0_10empty_typeEEEZNS1_21merge_sort_block_sortIS3_PlS8_PS5_S9_ZN2at6native12_GLOBAL__N_124unique_dim_cuda_templateIbEESt5tupleIJNSA_6TensorESF_SF_EERKSF_lbbbEUlllE_EE10hipError_tT0_T1_T2_T3_mRjT4_P12ihipStream_tbNS1_7vsmem_tEEUlT_E_NS1_11comp_targetILNS1_3genE2ELNS1_11target_archE906ELNS1_3gpuE6ELNS1_3repE0EEENS1_30default_config_static_selectorELNS0_4arch9wavefront6targetE0EEEvSM_.num_vgpr, 0
	.set _ZN7rocprim17ROCPRIM_400000_NS6detail17trampoline_kernelINS0_14default_configENS1_37merge_sort_block_sort_config_selectorIlNS0_10empty_typeEEEZNS1_21merge_sort_block_sortIS3_PlS8_PS5_S9_ZN2at6native12_GLOBAL__N_124unique_dim_cuda_templateIbEESt5tupleIJNSA_6TensorESF_SF_EERKSF_lbbbEUlllE_EE10hipError_tT0_T1_T2_T3_mRjT4_P12ihipStream_tbNS1_7vsmem_tEEUlT_E_NS1_11comp_targetILNS1_3genE2ELNS1_11target_archE906ELNS1_3gpuE6ELNS1_3repE0EEENS1_30default_config_static_selectorELNS0_4arch9wavefront6targetE0EEEvSM_.num_agpr, 0
	.set _ZN7rocprim17ROCPRIM_400000_NS6detail17trampoline_kernelINS0_14default_configENS1_37merge_sort_block_sort_config_selectorIlNS0_10empty_typeEEEZNS1_21merge_sort_block_sortIS3_PlS8_PS5_S9_ZN2at6native12_GLOBAL__N_124unique_dim_cuda_templateIbEESt5tupleIJNSA_6TensorESF_SF_EERKSF_lbbbEUlllE_EE10hipError_tT0_T1_T2_T3_mRjT4_P12ihipStream_tbNS1_7vsmem_tEEUlT_E_NS1_11comp_targetILNS1_3genE2ELNS1_11target_archE906ELNS1_3gpuE6ELNS1_3repE0EEENS1_30default_config_static_selectorELNS0_4arch9wavefront6targetE0EEEvSM_.numbered_sgpr, 0
	.set _ZN7rocprim17ROCPRIM_400000_NS6detail17trampoline_kernelINS0_14default_configENS1_37merge_sort_block_sort_config_selectorIlNS0_10empty_typeEEEZNS1_21merge_sort_block_sortIS3_PlS8_PS5_S9_ZN2at6native12_GLOBAL__N_124unique_dim_cuda_templateIbEESt5tupleIJNSA_6TensorESF_SF_EERKSF_lbbbEUlllE_EE10hipError_tT0_T1_T2_T3_mRjT4_P12ihipStream_tbNS1_7vsmem_tEEUlT_E_NS1_11comp_targetILNS1_3genE2ELNS1_11target_archE906ELNS1_3gpuE6ELNS1_3repE0EEENS1_30default_config_static_selectorELNS0_4arch9wavefront6targetE0EEEvSM_.num_named_barrier, 0
	.set _ZN7rocprim17ROCPRIM_400000_NS6detail17trampoline_kernelINS0_14default_configENS1_37merge_sort_block_sort_config_selectorIlNS0_10empty_typeEEEZNS1_21merge_sort_block_sortIS3_PlS8_PS5_S9_ZN2at6native12_GLOBAL__N_124unique_dim_cuda_templateIbEESt5tupleIJNSA_6TensorESF_SF_EERKSF_lbbbEUlllE_EE10hipError_tT0_T1_T2_T3_mRjT4_P12ihipStream_tbNS1_7vsmem_tEEUlT_E_NS1_11comp_targetILNS1_3genE2ELNS1_11target_archE906ELNS1_3gpuE6ELNS1_3repE0EEENS1_30default_config_static_selectorELNS0_4arch9wavefront6targetE0EEEvSM_.private_seg_size, 0
	.set _ZN7rocprim17ROCPRIM_400000_NS6detail17trampoline_kernelINS0_14default_configENS1_37merge_sort_block_sort_config_selectorIlNS0_10empty_typeEEEZNS1_21merge_sort_block_sortIS3_PlS8_PS5_S9_ZN2at6native12_GLOBAL__N_124unique_dim_cuda_templateIbEESt5tupleIJNSA_6TensorESF_SF_EERKSF_lbbbEUlllE_EE10hipError_tT0_T1_T2_T3_mRjT4_P12ihipStream_tbNS1_7vsmem_tEEUlT_E_NS1_11comp_targetILNS1_3genE2ELNS1_11target_archE906ELNS1_3gpuE6ELNS1_3repE0EEENS1_30default_config_static_selectorELNS0_4arch9wavefront6targetE0EEEvSM_.uses_vcc, 0
	.set _ZN7rocprim17ROCPRIM_400000_NS6detail17trampoline_kernelINS0_14default_configENS1_37merge_sort_block_sort_config_selectorIlNS0_10empty_typeEEEZNS1_21merge_sort_block_sortIS3_PlS8_PS5_S9_ZN2at6native12_GLOBAL__N_124unique_dim_cuda_templateIbEESt5tupleIJNSA_6TensorESF_SF_EERKSF_lbbbEUlllE_EE10hipError_tT0_T1_T2_T3_mRjT4_P12ihipStream_tbNS1_7vsmem_tEEUlT_E_NS1_11comp_targetILNS1_3genE2ELNS1_11target_archE906ELNS1_3gpuE6ELNS1_3repE0EEENS1_30default_config_static_selectorELNS0_4arch9wavefront6targetE0EEEvSM_.uses_flat_scratch, 0
	.set _ZN7rocprim17ROCPRIM_400000_NS6detail17trampoline_kernelINS0_14default_configENS1_37merge_sort_block_sort_config_selectorIlNS0_10empty_typeEEEZNS1_21merge_sort_block_sortIS3_PlS8_PS5_S9_ZN2at6native12_GLOBAL__N_124unique_dim_cuda_templateIbEESt5tupleIJNSA_6TensorESF_SF_EERKSF_lbbbEUlllE_EE10hipError_tT0_T1_T2_T3_mRjT4_P12ihipStream_tbNS1_7vsmem_tEEUlT_E_NS1_11comp_targetILNS1_3genE2ELNS1_11target_archE906ELNS1_3gpuE6ELNS1_3repE0EEENS1_30default_config_static_selectorELNS0_4arch9wavefront6targetE0EEEvSM_.has_dyn_sized_stack, 0
	.set _ZN7rocprim17ROCPRIM_400000_NS6detail17trampoline_kernelINS0_14default_configENS1_37merge_sort_block_sort_config_selectorIlNS0_10empty_typeEEEZNS1_21merge_sort_block_sortIS3_PlS8_PS5_S9_ZN2at6native12_GLOBAL__N_124unique_dim_cuda_templateIbEESt5tupleIJNSA_6TensorESF_SF_EERKSF_lbbbEUlllE_EE10hipError_tT0_T1_T2_T3_mRjT4_P12ihipStream_tbNS1_7vsmem_tEEUlT_E_NS1_11comp_targetILNS1_3genE2ELNS1_11target_archE906ELNS1_3gpuE6ELNS1_3repE0EEENS1_30default_config_static_selectorELNS0_4arch9wavefront6targetE0EEEvSM_.has_recursion, 0
	.set _ZN7rocprim17ROCPRIM_400000_NS6detail17trampoline_kernelINS0_14default_configENS1_37merge_sort_block_sort_config_selectorIlNS0_10empty_typeEEEZNS1_21merge_sort_block_sortIS3_PlS8_PS5_S9_ZN2at6native12_GLOBAL__N_124unique_dim_cuda_templateIbEESt5tupleIJNSA_6TensorESF_SF_EERKSF_lbbbEUlllE_EE10hipError_tT0_T1_T2_T3_mRjT4_P12ihipStream_tbNS1_7vsmem_tEEUlT_E_NS1_11comp_targetILNS1_3genE2ELNS1_11target_archE906ELNS1_3gpuE6ELNS1_3repE0EEENS1_30default_config_static_selectorELNS0_4arch9wavefront6targetE0EEEvSM_.has_indirect_call, 0
	.section	.AMDGPU.csdata,"",@progbits
; Kernel info:
; codeLenInByte = 0
; TotalNumSgprs: 0
; NumVgprs: 0
; ScratchSize: 0
; MemoryBound: 0
; FloatMode: 240
; IeeeMode: 1
; LDSByteSize: 0 bytes/workgroup (compile time only)
; SGPRBlocks: 0
; VGPRBlocks: 0
; NumSGPRsForWavesPerEU: 1
; NumVGPRsForWavesPerEU: 1
; NamedBarCnt: 0
; Occupancy: 16
; WaveLimiterHint : 0
; COMPUTE_PGM_RSRC2:SCRATCH_EN: 0
; COMPUTE_PGM_RSRC2:USER_SGPR: 2
; COMPUTE_PGM_RSRC2:TRAP_HANDLER: 0
; COMPUTE_PGM_RSRC2:TGID_X_EN: 1
; COMPUTE_PGM_RSRC2:TGID_Y_EN: 0
; COMPUTE_PGM_RSRC2:TGID_Z_EN: 0
; COMPUTE_PGM_RSRC2:TIDIG_COMP_CNT: 0
	.section	.text._ZN7rocprim17ROCPRIM_400000_NS6detail17trampoline_kernelINS0_14default_configENS1_37merge_sort_block_sort_config_selectorIlNS0_10empty_typeEEEZNS1_21merge_sort_block_sortIS3_PlS8_PS5_S9_ZN2at6native12_GLOBAL__N_124unique_dim_cuda_templateIbEESt5tupleIJNSA_6TensorESF_SF_EERKSF_lbbbEUlllE_EE10hipError_tT0_T1_T2_T3_mRjT4_P12ihipStream_tbNS1_7vsmem_tEEUlT_E_NS1_11comp_targetILNS1_3genE10ELNS1_11target_archE1201ELNS1_3gpuE5ELNS1_3repE0EEENS1_30default_config_static_selectorELNS0_4arch9wavefront6targetE0EEEvSM_,"axG",@progbits,_ZN7rocprim17ROCPRIM_400000_NS6detail17trampoline_kernelINS0_14default_configENS1_37merge_sort_block_sort_config_selectorIlNS0_10empty_typeEEEZNS1_21merge_sort_block_sortIS3_PlS8_PS5_S9_ZN2at6native12_GLOBAL__N_124unique_dim_cuda_templateIbEESt5tupleIJNSA_6TensorESF_SF_EERKSF_lbbbEUlllE_EE10hipError_tT0_T1_T2_T3_mRjT4_P12ihipStream_tbNS1_7vsmem_tEEUlT_E_NS1_11comp_targetILNS1_3genE10ELNS1_11target_archE1201ELNS1_3gpuE5ELNS1_3repE0EEENS1_30default_config_static_selectorELNS0_4arch9wavefront6targetE0EEEvSM_,comdat
	.globl	_ZN7rocprim17ROCPRIM_400000_NS6detail17trampoline_kernelINS0_14default_configENS1_37merge_sort_block_sort_config_selectorIlNS0_10empty_typeEEEZNS1_21merge_sort_block_sortIS3_PlS8_PS5_S9_ZN2at6native12_GLOBAL__N_124unique_dim_cuda_templateIbEESt5tupleIJNSA_6TensorESF_SF_EERKSF_lbbbEUlllE_EE10hipError_tT0_T1_T2_T3_mRjT4_P12ihipStream_tbNS1_7vsmem_tEEUlT_E_NS1_11comp_targetILNS1_3genE10ELNS1_11target_archE1201ELNS1_3gpuE5ELNS1_3repE0EEENS1_30default_config_static_selectorELNS0_4arch9wavefront6targetE0EEEvSM_ ; -- Begin function _ZN7rocprim17ROCPRIM_400000_NS6detail17trampoline_kernelINS0_14default_configENS1_37merge_sort_block_sort_config_selectorIlNS0_10empty_typeEEEZNS1_21merge_sort_block_sortIS3_PlS8_PS5_S9_ZN2at6native12_GLOBAL__N_124unique_dim_cuda_templateIbEESt5tupleIJNSA_6TensorESF_SF_EERKSF_lbbbEUlllE_EE10hipError_tT0_T1_T2_T3_mRjT4_P12ihipStream_tbNS1_7vsmem_tEEUlT_E_NS1_11comp_targetILNS1_3genE10ELNS1_11target_archE1201ELNS1_3gpuE5ELNS1_3repE0EEENS1_30default_config_static_selectorELNS0_4arch9wavefront6targetE0EEEvSM_
	.p2align	8
	.type	_ZN7rocprim17ROCPRIM_400000_NS6detail17trampoline_kernelINS0_14default_configENS1_37merge_sort_block_sort_config_selectorIlNS0_10empty_typeEEEZNS1_21merge_sort_block_sortIS3_PlS8_PS5_S9_ZN2at6native12_GLOBAL__N_124unique_dim_cuda_templateIbEESt5tupleIJNSA_6TensorESF_SF_EERKSF_lbbbEUlllE_EE10hipError_tT0_T1_T2_T3_mRjT4_P12ihipStream_tbNS1_7vsmem_tEEUlT_E_NS1_11comp_targetILNS1_3genE10ELNS1_11target_archE1201ELNS1_3gpuE5ELNS1_3repE0EEENS1_30default_config_static_selectorELNS0_4arch9wavefront6targetE0EEEvSM_,@function
_ZN7rocprim17ROCPRIM_400000_NS6detail17trampoline_kernelINS0_14default_configENS1_37merge_sort_block_sort_config_selectorIlNS0_10empty_typeEEEZNS1_21merge_sort_block_sortIS3_PlS8_PS5_S9_ZN2at6native12_GLOBAL__N_124unique_dim_cuda_templateIbEESt5tupleIJNSA_6TensorESF_SF_EERKSF_lbbbEUlllE_EE10hipError_tT0_T1_T2_T3_mRjT4_P12ihipStream_tbNS1_7vsmem_tEEUlT_E_NS1_11comp_targetILNS1_3genE10ELNS1_11target_archE1201ELNS1_3gpuE5ELNS1_3repE0EEENS1_30default_config_static_selectorELNS0_4arch9wavefront6targetE0EEEvSM_: ; @_ZN7rocprim17ROCPRIM_400000_NS6detail17trampoline_kernelINS0_14default_configENS1_37merge_sort_block_sort_config_selectorIlNS0_10empty_typeEEEZNS1_21merge_sort_block_sortIS3_PlS8_PS5_S9_ZN2at6native12_GLOBAL__N_124unique_dim_cuda_templateIbEESt5tupleIJNSA_6TensorESF_SF_EERKSF_lbbbEUlllE_EE10hipError_tT0_T1_T2_T3_mRjT4_P12ihipStream_tbNS1_7vsmem_tEEUlT_E_NS1_11comp_targetILNS1_3genE10ELNS1_11target_archE1201ELNS1_3gpuE5ELNS1_3repE0EEENS1_30default_config_static_selectorELNS0_4arch9wavefront6targetE0EEEvSM_
; %bb.0:
	.section	.rodata,"a",@progbits
	.p2align	6, 0x0
	.amdhsa_kernel _ZN7rocprim17ROCPRIM_400000_NS6detail17trampoline_kernelINS0_14default_configENS1_37merge_sort_block_sort_config_selectorIlNS0_10empty_typeEEEZNS1_21merge_sort_block_sortIS3_PlS8_PS5_S9_ZN2at6native12_GLOBAL__N_124unique_dim_cuda_templateIbEESt5tupleIJNSA_6TensorESF_SF_EERKSF_lbbbEUlllE_EE10hipError_tT0_T1_T2_T3_mRjT4_P12ihipStream_tbNS1_7vsmem_tEEUlT_E_NS1_11comp_targetILNS1_3genE10ELNS1_11target_archE1201ELNS1_3gpuE5ELNS1_3repE0EEENS1_30default_config_static_selectorELNS0_4arch9wavefront6targetE0EEEvSM_
		.amdhsa_group_segment_fixed_size 0
		.amdhsa_private_segment_fixed_size 0
		.amdhsa_kernarg_size 72
		.amdhsa_user_sgpr_count 2
		.amdhsa_user_sgpr_dispatch_ptr 0
		.amdhsa_user_sgpr_queue_ptr 0
		.amdhsa_user_sgpr_kernarg_segment_ptr 1
		.amdhsa_user_sgpr_dispatch_id 0
		.amdhsa_user_sgpr_kernarg_preload_length 0
		.amdhsa_user_sgpr_kernarg_preload_offset 0
		.amdhsa_user_sgpr_private_segment_size 0
		.amdhsa_wavefront_size32 1
		.amdhsa_uses_dynamic_stack 0
		.amdhsa_enable_private_segment 0
		.amdhsa_system_sgpr_workgroup_id_x 1
		.amdhsa_system_sgpr_workgroup_id_y 0
		.amdhsa_system_sgpr_workgroup_id_z 0
		.amdhsa_system_sgpr_workgroup_info 0
		.amdhsa_system_vgpr_workitem_id 0
		.amdhsa_next_free_vgpr 1
		.amdhsa_next_free_sgpr 1
		.amdhsa_named_barrier_count 0
		.amdhsa_reserve_vcc 0
		.amdhsa_float_round_mode_32 0
		.amdhsa_float_round_mode_16_64 0
		.amdhsa_float_denorm_mode_32 3
		.amdhsa_float_denorm_mode_16_64 3
		.amdhsa_fp16_overflow 0
		.amdhsa_memory_ordered 1
		.amdhsa_forward_progress 1
		.amdhsa_inst_pref_size 0
		.amdhsa_round_robin_scheduling 0
		.amdhsa_exception_fp_ieee_invalid_op 0
		.amdhsa_exception_fp_denorm_src 0
		.amdhsa_exception_fp_ieee_div_zero 0
		.amdhsa_exception_fp_ieee_overflow 0
		.amdhsa_exception_fp_ieee_underflow 0
		.amdhsa_exception_fp_ieee_inexact 0
		.amdhsa_exception_int_div_zero 0
	.end_amdhsa_kernel
	.section	.text._ZN7rocprim17ROCPRIM_400000_NS6detail17trampoline_kernelINS0_14default_configENS1_37merge_sort_block_sort_config_selectorIlNS0_10empty_typeEEEZNS1_21merge_sort_block_sortIS3_PlS8_PS5_S9_ZN2at6native12_GLOBAL__N_124unique_dim_cuda_templateIbEESt5tupleIJNSA_6TensorESF_SF_EERKSF_lbbbEUlllE_EE10hipError_tT0_T1_T2_T3_mRjT4_P12ihipStream_tbNS1_7vsmem_tEEUlT_E_NS1_11comp_targetILNS1_3genE10ELNS1_11target_archE1201ELNS1_3gpuE5ELNS1_3repE0EEENS1_30default_config_static_selectorELNS0_4arch9wavefront6targetE0EEEvSM_,"axG",@progbits,_ZN7rocprim17ROCPRIM_400000_NS6detail17trampoline_kernelINS0_14default_configENS1_37merge_sort_block_sort_config_selectorIlNS0_10empty_typeEEEZNS1_21merge_sort_block_sortIS3_PlS8_PS5_S9_ZN2at6native12_GLOBAL__N_124unique_dim_cuda_templateIbEESt5tupleIJNSA_6TensorESF_SF_EERKSF_lbbbEUlllE_EE10hipError_tT0_T1_T2_T3_mRjT4_P12ihipStream_tbNS1_7vsmem_tEEUlT_E_NS1_11comp_targetILNS1_3genE10ELNS1_11target_archE1201ELNS1_3gpuE5ELNS1_3repE0EEENS1_30default_config_static_selectorELNS0_4arch9wavefront6targetE0EEEvSM_,comdat
.Lfunc_end998:
	.size	_ZN7rocprim17ROCPRIM_400000_NS6detail17trampoline_kernelINS0_14default_configENS1_37merge_sort_block_sort_config_selectorIlNS0_10empty_typeEEEZNS1_21merge_sort_block_sortIS3_PlS8_PS5_S9_ZN2at6native12_GLOBAL__N_124unique_dim_cuda_templateIbEESt5tupleIJNSA_6TensorESF_SF_EERKSF_lbbbEUlllE_EE10hipError_tT0_T1_T2_T3_mRjT4_P12ihipStream_tbNS1_7vsmem_tEEUlT_E_NS1_11comp_targetILNS1_3genE10ELNS1_11target_archE1201ELNS1_3gpuE5ELNS1_3repE0EEENS1_30default_config_static_selectorELNS0_4arch9wavefront6targetE0EEEvSM_, .Lfunc_end998-_ZN7rocprim17ROCPRIM_400000_NS6detail17trampoline_kernelINS0_14default_configENS1_37merge_sort_block_sort_config_selectorIlNS0_10empty_typeEEEZNS1_21merge_sort_block_sortIS3_PlS8_PS5_S9_ZN2at6native12_GLOBAL__N_124unique_dim_cuda_templateIbEESt5tupleIJNSA_6TensorESF_SF_EERKSF_lbbbEUlllE_EE10hipError_tT0_T1_T2_T3_mRjT4_P12ihipStream_tbNS1_7vsmem_tEEUlT_E_NS1_11comp_targetILNS1_3genE10ELNS1_11target_archE1201ELNS1_3gpuE5ELNS1_3repE0EEENS1_30default_config_static_selectorELNS0_4arch9wavefront6targetE0EEEvSM_
                                        ; -- End function
	.set _ZN7rocprim17ROCPRIM_400000_NS6detail17trampoline_kernelINS0_14default_configENS1_37merge_sort_block_sort_config_selectorIlNS0_10empty_typeEEEZNS1_21merge_sort_block_sortIS3_PlS8_PS5_S9_ZN2at6native12_GLOBAL__N_124unique_dim_cuda_templateIbEESt5tupleIJNSA_6TensorESF_SF_EERKSF_lbbbEUlllE_EE10hipError_tT0_T1_T2_T3_mRjT4_P12ihipStream_tbNS1_7vsmem_tEEUlT_E_NS1_11comp_targetILNS1_3genE10ELNS1_11target_archE1201ELNS1_3gpuE5ELNS1_3repE0EEENS1_30default_config_static_selectorELNS0_4arch9wavefront6targetE0EEEvSM_.num_vgpr, 0
	.set _ZN7rocprim17ROCPRIM_400000_NS6detail17trampoline_kernelINS0_14default_configENS1_37merge_sort_block_sort_config_selectorIlNS0_10empty_typeEEEZNS1_21merge_sort_block_sortIS3_PlS8_PS5_S9_ZN2at6native12_GLOBAL__N_124unique_dim_cuda_templateIbEESt5tupleIJNSA_6TensorESF_SF_EERKSF_lbbbEUlllE_EE10hipError_tT0_T1_T2_T3_mRjT4_P12ihipStream_tbNS1_7vsmem_tEEUlT_E_NS1_11comp_targetILNS1_3genE10ELNS1_11target_archE1201ELNS1_3gpuE5ELNS1_3repE0EEENS1_30default_config_static_selectorELNS0_4arch9wavefront6targetE0EEEvSM_.num_agpr, 0
	.set _ZN7rocprim17ROCPRIM_400000_NS6detail17trampoline_kernelINS0_14default_configENS1_37merge_sort_block_sort_config_selectorIlNS0_10empty_typeEEEZNS1_21merge_sort_block_sortIS3_PlS8_PS5_S9_ZN2at6native12_GLOBAL__N_124unique_dim_cuda_templateIbEESt5tupleIJNSA_6TensorESF_SF_EERKSF_lbbbEUlllE_EE10hipError_tT0_T1_T2_T3_mRjT4_P12ihipStream_tbNS1_7vsmem_tEEUlT_E_NS1_11comp_targetILNS1_3genE10ELNS1_11target_archE1201ELNS1_3gpuE5ELNS1_3repE0EEENS1_30default_config_static_selectorELNS0_4arch9wavefront6targetE0EEEvSM_.numbered_sgpr, 0
	.set _ZN7rocprim17ROCPRIM_400000_NS6detail17trampoline_kernelINS0_14default_configENS1_37merge_sort_block_sort_config_selectorIlNS0_10empty_typeEEEZNS1_21merge_sort_block_sortIS3_PlS8_PS5_S9_ZN2at6native12_GLOBAL__N_124unique_dim_cuda_templateIbEESt5tupleIJNSA_6TensorESF_SF_EERKSF_lbbbEUlllE_EE10hipError_tT0_T1_T2_T3_mRjT4_P12ihipStream_tbNS1_7vsmem_tEEUlT_E_NS1_11comp_targetILNS1_3genE10ELNS1_11target_archE1201ELNS1_3gpuE5ELNS1_3repE0EEENS1_30default_config_static_selectorELNS0_4arch9wavefront6targetE0EEEvSM_.num_named_barrier, 0
	.set _ZN7rocprim17ROCPRIM_400000_NS6detail17trampoline_kernelINS0_14default_configENS1_37merge_sort_block_sort_config_selectorIlNS0_10empty_typeEEEZNS1_21merge_sort_block_sortIS3_PlS8_PS5_S9_ZN2at6native12_GLOBAL__N_124unique_dim_cuda_templateIbEESt5tupleIJNSA_6TensorESF_SF_EERKSF_lbbbEUlllE_EE10hipError_tT0_T1_T2_T3_mRjT4_P12ihipStream_tbNS1_7vsmem_tEEUlT_E_NS1_11comp_targetILNS1_3genE10ELNS1_11target_archE1201ELNS1_3gpuE5ELNS1_3repE0EEENS1_30default_config_static_selectorELNS0_4arch9wavefront6targetE0EEEvSM_.private_seg_size, 0
	.set _ZN7rocprim17ROCPRIM_400000_NS6detail17trampoline_kernelINS0_14default_configENS1_37merge_sort_block_sort_config_selectorIlNS0_10empty_typeEEEZNS1_21merge_sort_block_sortIS3_PlS8_PS5_S9_ZN2at6native12_GLOBAL__N_124unique_dim_cuda_templateIbEESt5tupleIJNSA_6TensorESF_SF_EERKSF_lbbbEUlllE_EE10hipError_tT0_T1_T2_T3_mRjT4_P12ihipStream_tbNS1_7vsmem_tEEUlT_E_NS1_11comp_targetILNS1_3genE10ELNS1_11target_archE1201ELNS1_3gpuE5ELNS1_3repE0EEENS1_30default_config_static_selectorELNS0_4arch9wavefront6targetE0EEEvSM_.uses_vcc, 0
	.set _ZN7rocprim17ROCPRIM_400000_NS6detail17trampoline_kernelINS0_14default_configENS1_37merge_sort_block_sort_config_selectorIlNS0_10empty_typeEEEZNS1_21merge_sort_block_sortIS3_PlS8_PS5_S9_ZN2at6native12_GLOBAL__N_124unique_dim_cuda_templateIbEESt5tupleIJNSA_6TensorESF_SF_EERKSF_lbbbEUlllE_EE10hipError_tT0_T1_T2_T3_mRjT4_P12ihipStream_tbNS1_7vsmem_tEEUlT_E_NS1_11comp_targetILNS1_3genE10ELNS1_11target_archE1201ELNS1_3gpuE5ELNS1_3repE0EEENS1_30default_config_static_selectorELNS0_4arch9wavefront6targetE0EEEvSM_.uses_flat_scratch, 0
	.set _ZN7rocprim17ROCPRIM_400000_NS6detail17trampoline_kernelINS0_14default_configENS1_37merge_sort_block_sort_config_selectorIlNS0_10empty_typeEEEZNS1_21merge_sort_block_sortIS3_PlS8_PS5_S9_ZN2at6native12_GLOBAL__N_124unique_dim_cuda_templateIbEESt5tupleIJNSA_6TensorESF_SF_EERKSF_lbbbEUlllE_EE10hipError_tT0_T1_T2_T3_mRjT4_P12ihipStream_tbNS1_7vsmem_tEEUlT_E_NS1_11comp_targetILNS1_3genE10ELNS1_11target_archE1201ELNS1_3gpuE5ELNS1_3repE0EEENS1_30default_config_static_selectorELNS0_4arch9wavefront6targetE0EEEvSM_.has_dyn_sized_stack, 0
	.set _ZN7rocprim17ROCPRIM_400000_NS6detail17trampoline_kernelINS0_14default_configENS1_37merge_sort_block_sort_config_selectorIlNS0_10empty_typeEEEZNS1_21merge_sort_block_sortIS3_PlS8_PS5_S9_ZN2at6native12_GLOBAL__N_124unique_dim_cuda_templateIbEESt5tupleIJNSA_6TensorESF_SF_EERKSF_lbbbEUlllE_EE10hipError_tT0_T1_T2_T3_mRjT4_P12ihipStream_tbNS1_7vsmem_tEEUlT_E_NS1_11comp_targetILNS1_3genE10ELNS1_11target_archE1201ELNS1_3gpuE5ELNS1_3repE0EEENS1_30default_config_static_selectorELNS0_4arch9wavefront6targetE0EEEvSM_.has_recursion, 0
	.set _ZN7rocprim17ROCPRIM_400000_NS6detail17trampoline_kernelINS0_14default_configENS1_37merge_sort_block_sort_config_selectorIlNS0_10empty_typeEEEZNS1_21merge_sort_block_sortIS3_PlS8_PS5_S9_ZN2at6native12_GLOBAL__N_124unique_dim_cuda_templateIbEESt5tupleIJNSA_6TensorESF_SF_EERKSF_lbbbEUlllE_EE10hipError_tT0_T1_T2_T3_mRjT4_P12ihipStream_tbNS1_7vsmem_tEEUlT_E_NS1_11comp_targetILNS1_3genE10ELNS1_11target_archE1201ELNS1_3gpuE5ELNS1_3repE0EEENS1_30default_config_static_selectorELNS0_4arch9wavefront6targetE0EEEvSM_.has_indirect_call, 0
	.section	.AMDGPU.csdata,"",@progbits
; Kernel info:
; codeLenInByte = 0
; TotalNumSgprs: 0
; NumVgprs: 0
; ScratchSize: 0
; MemoryBound: 0
; FloatMode: 240
; IeeeMode: 1
; LDSByteSize: 0 bytes/workgroup (compile time only)
; SGPRBlocks: 0
; VGPRBlocks: 0
; NumSGPRsForWavesPerEU: 1
; NumVGPRsForWavesPerEU: 1
; NamedBarCnt: 0
; Occupancy: 16
; WaveLimiterHint : 0
; COMPUTE_PGM_RSRC2:SCRATCH_EN: 0
; COMPUTE_PGM_RSRC2:USER_SGPR: 2
; COMPUTE_PGM_RSRC2:TRAP_HANDLER: 0
; COMPUTE_PGM_RSRC2:TGID_X_EN: 1
; COMPUTE_PGM_RSRC2:TGID_Y_EN: 0
; COMPUTE_PGM_RSRC2:TGID_Z_EN: 0
; COMPUTE_PGM_RSRC2:TIDIG_COMP_CNT: 0
	.section	.text._ZN7rocprim17ROCPRIM_400000_NS6detail17trampoline_kernelINS0_14default_configENS1_37merge_sort_block_sort_config_selectorIlNS0_10empty_typeEEEZNS1_21merge_sort_block_sortIS3_PlS8_PS5_S9_ZN2at6native12_GLOBAL__N_124unique_dim_cuda_templateIbEESt5tupleIJNSA_6TensorESF_SF_EERKSF_lbbbEUlllE_EE10hipError_tT0_T1_T2_T3_mRjT4_P12ihipStream_tbNS1_7vsmem_tEEUlT_E_NS1_11comp_targetILNS1_3genE10ELNS1_11target_archE1200ELNS1_3gpuE4ELNS1_3repE0EEENS1_30default_config_static_selectorELNS0_4arch9wavefront6targetE0EEEvSM_,"axG",@progbits,_ZN7rocprim17ROCPRIM_400000_NS6detail17trampoline_kernelINS0_14default_configENS1_37merge_sort_block_sort_config_selectorIlNS0_10empty_typeEEEZNS1_21merge_sort_block_sortIS3_PlS8_PS5_S9_ZN2at6native12_GLOBAL__N_124unique_dim_cuda_templateIbEESt5tupleIJNSA_6TensorESF_SF_EERKSF_lbbbEUlllE_EE10hipError_tT0_T1_T2_T3_mRjT4_P12ihipStream_tbNS1_7vsmem_tEEUlT_E_NS1_11comp_targetILNS1_3genE10ELNS1_11target_archE1200ELNS1_3gpuE4ELNS1_3repE0EEENS1_30default_config_static_selectorELNS0_4arch9wavefront6targetE0EEEvSM_,comdat
	.globl	_ZN7rocprim17ROCPRIM_400000_NS6detail17trampoline_kernelINS0_14default_configENS1_37merge_sort_block_sort_config_selectorIlNS0_10empty_typeEEEZNS1_21merge_sort_block_sortIS3_PlS8_PS5_S9_ZN2at6native12_GLOBAL__N_124unique_dim_cuda_templateIbEESt5tupleIJNSA_6TensorESF_SF_EERKSF_lbbbEUlllE_EE10hipError_tT0_T1_T2_T3_mRjT4_P12ihipStream_tbNS1_7vsmem_tEEUlT_E_NS1_11comp_targetILNS1_3genE10ELNS1_11target_archE1200ELNS1_3gpuE4ELNS1_3repE0EEENS1_30default_config_static_selectorELNS0_4arch9wavefront6targetE0EEEvSM_ ; -- Begin function _ZN7rocprim17ROCPRIM_400000_NS6detail17trampoline_kernelINS0_14default_configENS1_37merge_sort_block_sort_config_selectorIlNS0_10empty_typeEEEZNS1_21merge_sort_block_sortIS3_PlS8_PS5_S9_ZN2at6native12_GLOBAL__N_124unique_dim_cuda_templateIbEESt5tupleIJNSA_6TensorESF_SF_EERKSF_lbbbEUlllE_EE10hipError_tT0_T1_T2_T3_mRjT4_P12ihipStream_tbNS1_7vsmem_tEEUlT_E_NS1_11comp_targetILNS1_3genE10ELNS1_11target_archE1200ELNS1_3gpuE4ELNS1_3repE0EEENS1_30default_config_static_selectorELNS0_4arch9wavefront6targetE0EEEvSM_
	.p2align	8
	.type	_ZN7rocprim17ROCPRIM_400000_NS6detail17trampoline_kernelINS0_14default_configENS1_37merge_sort_block_sort_config_selectorIlNS0_10empty_typeEEEZNS1_21merge_sort_block_sortIS3_PlS8_PS5_S9_ZN2at6native12_GLOBAL__N_124unique_dim_cuda_templateIbEESt5tupleIJNSA_6TensorESF_SF_EERKSF_lbbbEUlllE_EE10hipError_tT0_T1_T2_T3_mRjT4_P12ihipStream_tbNS1_7vsmem_tEEUlT_E_NS1_11comp_targetILNS1_3genE10ELNS1_11target_archE1200ELNS1_3gpuE4ELNS1_3repE0EEENS1_30default_config_static_selectorELNS0_4arch9wavefront6targetE0EEEvSM_,@function
_ZN7rocprim17ROCPRIM_400000_NS6detail17trampoline_kernelINS0_14default_configENS1_37merge_sort_block_sort_config_selectorIlNS0_10empty_typeEEEZNS1_21merge_sort_block_sortIS3_PlS8_PS5_S9_ZN2at6native12_GLOBAL__N_124unique_dim_cuda_templateIbEESt5tupleIJNSA_6TensorESF_SF_EERKSF_lbbbEUlllE_EE10hipError_tT0_T1_T2_T3_mRjT4_P12ihipStream_tbNS1_7vsmem_tEEUlT_E_NS1_11comp_targetILNS1_3genE10ELNS1_11target_archE1200ELNS1_3gpuE4ELNS1_3repE0EEENS1_30default_config_static_selectorELNS0_4arch9wavefront6targetE0EEEvSM_: ; @_ZN7rocprim17ROCPRIM_400000_NS6detail17trampoline_kernelINS0_14default_configENS1_37merge_sort_block_sort_config_selectorIlNS0_10empty_typeEEEZNS1_21merge_sort_block_sortIS3_PlS8_PS5_S9_ZN2at6native12_GLOBAL__N_124unique_dim_cuda_templateIbEESt5tupleIJNSA_6TensorESF_SF_EERKSF_lbbbEUlllE_EE10hipError_tT0_T1_T2_T3_mRjT4_P12ihipStream_tbNS1_7vsmem_tEEUlT_E_NS1_11comp_targetILNS1_3genE10ELNS1_11target_archE1200ELNS1_3gpuE4ELNS1_3repE0EEENS1_30default_config_static_selectorELNS0_4arch9wavefront6targetE0EEEvSM_
; %bb.0:
	.section	.rodata,"a",@progbits
	.p2align	6, 0x0
	.amdhsa_kernel _ZN7rocprim17ROCPRIM_400000_NS6detail17trampoline_kernelINS0_14default_configENS1_37merge_sort_block_sort_config_selectorIlNS0_10empty_typeEEEZNS1_21merge_sort_block_sortIS3_PlS8_PS5_S9_ZN2at6native12_GLOBAL__N_124unique_dim_cuda_templateIbEESt5tupleIJNSA_6TensorESF_SF_EERKSF_lbbbEUlllE_EE10hipError_tT0_T1_T2_T3_mRjT4_P12ihipStream_tbNS1_7vsmem_tEEUlT_E_NS1_11comp_targetILNS1_3genE10ELNS1_11target_archE1200ELNS1_3gpuE4ELNS1_3repE0EEENS1_30default_config_static_selectorELNS0_4arch9wavefront6targetE0EEEvSM_
		.amdhsa_group_segment_fixed_size 0
		.amdhsa_private_segment_fixed_size 0
		.amdhsa_kernarg_size 72
		.amdhsa_user_sgpr_count 2
		.amdhsa_user_sgpr_dispatch_ptr 0
		.amdhsa_user_sgpr_queue_ptr 0
		.amdhsa_user_sgpr_kernarg_segment_ptr 1
		.amdhsa_user_sgpr_dispatch_id 0
		.amdhsa_user_sgpr_kernarg_preload_length 0
		.amdhsa_user_sgpr_kernarg_preload_offset 0
		.amdhsa_user_sgpr_private_segment_size 0
		.amdhsa_wavefront_size32 1
		.amdhsa_uses_dynamic_stack 0
		.amdhsa_enable_private_segment 0
		.amdhsa_system_sgpr_workgroup_id_x 1
		.amdhsa_system_sgpr_workgroup_id_y 0
		.amdhsa_system_sgpr_workgroup_id_z 0
		.amdhsa_system_sgpr_workgroup_info 0
		.amdhsa_system_vgpr_workitem_id 0
		.amdhsa_next_free_vgpr 1
		.amdhsa_next_free_sgpr 1
		.amdhsa_named_barrier_count 0
		.amdhsa_reserve_vcc 0
		.amdhsa_float_round_mode_32 0
		.amdhsa_float_round_mode_16_64 0
		.amdhsa_float_denorm_mode_32 3
		.amdhsa_float_denorm_mode_16_64 3
		.amdhsa_fp16_overflow 0
		.amdhsa_memory_ordered 1
		.amdhsa_forward_progress 1
		.amdhsa_inst_pref_size 0
		.amdhsa_round_robin_scheduling 0
		.amdhsa_exception_fp_ieee_invalid_op 0
		.amdhsa_exception_fp_denorm_src 0
		.amdhsa_exception_fp_ieee_div_zero 0
		.amdhsa_exception_fp_ieee_overflow 0
		.amdhsa_exception_fp_ieee_underflow 0
		.amdhsa_exception_fp_ieee_inexact 0
		.amdhsa_exception_int_div_zero 0
	.end_amdhsa_kernel
	.section	.text._ZN7rocprim17ROCPRIM_400000_NS6detail17trampoline_kernelINS0_14default_configENS1_37merge_sort_block_sort_config_selectorIlNS0_10empty_typeEEEZNS1_21merge_sort_block_sortIS3_PlS8_PS5_S9_ZN2at6native12_GLOBAL__N_124unique_dim_cuda_templateIbEESt5tupleIJNSA_6TensorESF_SF_EERKSF_lbbbEUlllE_EE10hipError_tT0_T1_T2_T3_mRjT4_P12ihipStream_tbNS1_7vsmem_tEEUlT_E_NS1_11comp_targetILNS1_3genE10ELNS1_11target_archE1200ELNS1_3gpuE4ELNS1_3repE0EEENS1_30default_config_static_selectorELNS0_4arch9wavefront6targetE0EEEvSM_,"axG",@progbits,_ZN7rocprim17ROCPRIM_400000_NS6detail17trampoline_kernelINS0_14default_configENS1_37merge_sort_block_sort_config_selectorIlNS0_10empty_typeEEEZNS1_21merge_sort_block_sortIS3_PlS8_PS5_S9_ZN2at6native12_GLOBAL__N_124unique_dim_cuda_templateIbEESt5tupleIJNSA_6TensorESF_SF_EERKSF_lbbbEUlllE_EE10hipError_tT0_T1_T2_T3_mRjT4_P12ihipStream_tbNS1_7vsmem_tEEUlT_E_NS1_11comp_targetILNS1_3genE10ELNS1_11target_archE1200ELNS1_3gpuE4ELNS1_3repE0EEENS1_30default_config_static_selectorELNS0_4arch9wavefront6targetE0EEEvSM_,comdat
.Lfunc_end999:
	.size	_ZN7rocprim17ROCPRIM_400000_NS6detail17trampoline_kernelINS0_14default_configENS1_37merge_sort_block_sort_config_selectorIlNS0_10empty_typeEEEZNS1_21merge_sort_block_sortIS3_PlS8_PS5_S9_ZN2at6native12_GLOBAL__N_124unique_dim_cuda_templateIbEESt5tupleIJNSA_6TensorESF_SF_EERKSF_lbbbEUlllE_EE10hipError_tT0_T1_T2_T3_mRjT4_P12ihipStream_tbNS1_7vsmem_tEEUlT_E_NS1_11comp_targetILNS1_3genE10ELNS1_11target_archE1200ELNS1_3gpuE4ELNS1_3repE0EEENS1_30default_config_static_selectorELNS0_4arch9wavefront6targetE0EEEvSM_, .Lfunc_end999-_ZN7rocprim17ROCPRIM_400000_NS6detail17trampoline_kernelINS0_14default_configENS1_37merge_sort_block_sort_config_selectorIlNS0_10empty_typeEEEZNS1_21merge_sort_block_sortIS3_PlS8_PS5_S9_ZN2at6native12_GLOBAL__N_124unique_dim_cuda_templateIbEESt5tupleIJNSA_6TensorESF_SF_EERKSF_lbbbEUlllE_EE10hipError_tT0_T1_T2_T3_mRjT4_P12ihipStream_tbNS1_7vsmem_tEEUlT_E_NS1_11comp_targetILNS1_3genE10ELNS1_11target_archE1200ELNS1_3gpuE4ELNS1_3repE0EEENS1_30default_config_static_selectorELNS0_4arch9wavefront6targetE0EEEvSM_
                                        ; -- End function
	.set _ZN7rocprim17ROCPRIM_400000_NS6detail17trampoline_kernelINS0_14default_configENS1_37merge_sort_block_sort_config_selectorIlNS0_10empty_typeEEEZNS1_21merge_sort_block_sortIS3_PlS8_PS5_S9_ZN2at6native12_GLOBAL__N_124unique_dim_cuda_templateIbEESt5tupleIJNSA_6TensorESF_SF_EERKSF_lbbbEUlllE_EE10hipError_tT0_T1_T2_T3_mRjT4_P12ihipStream_tbNS1_7vsmem_tEEUlT_E_NS1_11comp_targetILNS1_3genE10ELNS1_11target_archE1200ELNS1_3gpuE4ELNS1_3repE0EEENS1_30default_config_static_selectorELNS0_4arch9wavefront6targetE0EEEvSM_.num_vgpr, 0
	.set _ZN7rocprim17ROCPRIM_400000_NS6detail17trampoline_kernelINS0_14default_configENS1_37merge_sort_block_sort_config_selectorIlNS0_10empty_typeEEEZNS1_21merge_sort_block_sortIS3_PlS8_PS5_S9_ZN2at6native12_GLOBAL__N_124unique_dim_cuda_templateIbEESt5tupleIJNSA_6TensorESF_SF_EERKSF_lbbbEUlllE_EE10hipError_tT0_T1_T2_T3_mRjT4_P12ihipStream_tbNS1_7vsmem_tEEUlT_E_NS1_11comp_targetILNS1_3genE10ELNS1_11target_archE1200ELNS1_3gpuE4ELNS1_3repE0EEENS1_30default_config_static_selectorELNS0_4arch9wavefront6targetE0EEEvSM_.num_agpr, 0
	.set _ZN7rocprim17ROCPRIM_400000_NS6detail17trampoline_kernelINS0_14default_configENS1_37merge_sort_block_sort_config_selectorIlNS0_10empty_typeEEEZNS1_21merge_sort_block_sortIS3_PlS8_PS5_S9_ZN2at6native12_GLOBAL__N_124unique_dim_cuda_templateIbEESt5tupleIJNSA_6TensorESF_SF_EERKSF_lbbbEUlllE_EE10hipError_tT0_T1_T2_T3_mRjT4_P12ihipStream_tbNS1_7vsmem_tEEUlT_E_NS1_11comp_targetILNS1_3genE10ELNS1_11target_archE1200ELNS1_3gpuE4ELNS1_3repE0EEENS1_30default_config_static_selectorELNS0_4arch9wavefront6targetE0EEEvSM_.numbered_sgpr, 0
	.set _ZN7rocprim17ROCPRIM_400000_NS6detail17trampoline_kernelINS0_14default_configENS1_37merge_sort_block_sort_config_selectorIlNS0_10empty_typeEEEZNS1_21merge_sort_block_sortIS3_PlS8_PS5_S9_ZN2at6native12_GLOBAL__N_124unique_dim_cuda_templateIbEESt5tupleIJNSA_6TensorESF_SF_EERKSF_lbbbEUlllE_EE10hipError_tT0_T1_T2_T3_mRjT4_P12ihipStream_tbNS1_7vsmem_tEEUlT_E_NS1_11comp_targetILNS1_3genE10ELNS1_11target_archE1200ELNS1_3gpuE4ELNS1_3repE0EEENS1_30default_config_static_selectorELNS0_4arch9wavefront6targetE0EEEvSM_.num_named_barrier, 0
	.set _ZN7rocprim17ROCPRIM_400000_NS6detail17trampoline_kernelINS0_14default_configENS1_37merge_sort_block_sort_config_selectorIlNS0_10empty_typeEEEZNS1_21merge_sort_block_sortIS3_PlS8_PS5_S9_ZN2at6native12_GLOBAL__N_124unique_dim_cuda_templateIbEESt5tupleIJNSA_6TensorESF_SF_EERKSF_lbbbEUlllE_EE10hipError_tT0_T1_T2_T3_mRjT4_P12ihipStream_tbNS1_7vsmem_tEEUlT_E_NS1_11comp_targetILNS1_3genE10ELNS1_11target_archE1200ELNS1_3gpuE4ELNS1_3repE0EEENS1_30default_config_static_selectorELNS0_4arch9wavefront6targetE0EEEvSM_.private_seg_size, 0
	.set _ZN7rocprim17ROCPRIM_400000_NS6detail17trampoline_kernelINS0_14default_configENS1_37merge_sort_block_sort_config_selectorIlNS0_10empty_typeEEEZNS1_21merge_sort_block_sortIS3_PlS8_PS5_S9_ZN2at6native12_GLOBAL__N_124unique_dim_cuda_templateIbEESt5tupleIJNSA_6TensorESF_SF_EERKSF_lbbbEUlllE_EE10hipError_tT0_T1_T2_T3_mRjT4_P12ihipStream_tbNS1_7vsmem_tEEUlT_E_NS1_11comp_targetILNS1_3genE10ELNS1_11target_archE1200ELNS1_3gpuE4ELNS1_3repE0EEENS1_30default_config_static_selectorELNS0_4arch9wavefront6targetE0EEEvSM_.uses_vcc, 0
	.set _ZN7rocprim17ROCPRIM_400000_NS6detail17trampoline_kernelINS0_14default_configENS1_37merge_sort_block_sort_config_selectorIlNS0_10empty_typeEEEZNS1_21merge_sort_block_sortIS3_PlS8_PS5_S9_ZN2at6native12_GLOBAL__N_124unique_dim_cuda_templateIbEESt5tupleIJNSA_6TensorESF_SF_EERKSF_lbbbEUlllE_EE10hipError_tT0_T1_T2_T3_mRjT4_P12ihipStream_tbNS1_7vsmem_tEEUlT_E_NS1_11comp_targetILNS1_3genE10ELNS1_11target_archE1200ELNS1_3gpuE4ELNS1_3repE0EEENS1_30default_config_static_selectorELNS0_4arch9wavefront6targetE0EEEvSM_.uses_flat_scratch, 0
	.set _ZN7rocprim17ROCPRIM_400000_NS6detail17trampoline_kernelINS0_14default_configENS1_37merge_sort_block_sort_config_selectorIlNS0_10empty_typeEEEZNS1_21merge_sort_block_sortIS3_PlS8_PS5_S9_ZN2at6native12_GLOBAL__N_124unique_dim_cuda_templateIbEESt5tupleIJNSA_6TensorESF_SF_EERKSF_lbbbEUlllE_EE10hipError_tT0_T1_T2_T3_mRjT4_P12ihipStream_tbNS1_7vsmem_tEEUlT_E_NS1_11comp_targetILNS1_3genE10ELNS1_11target_archE1200ELNS1_3gpuE4ELNS1_3repE0EEENS1_30default_config_static_selectorELNS0_4arch9wavefront6targetE0EEEvSM_.has_dyn_sized_stack, 0
	.set _ZN7rocprim17ROCPRIM_400000_NS6detail17trampoline_kernelINS0_14default_configENS1_37merge_sort_block_sort_config_selectorIlNS0_10empty_typeEEEZNS1_21merge_sort_block_sortIS3_PlS8_PS5_S9_ZN2at6native12_GLOBAL__N_124unique_dim_cuda_templateIbEESt5tupleIJNSA_6TensorESF_SF_EERKSF_lbbbEUlllE_EE10hipError_tT0_T1_T2_T3_mRjT4_P12ihipStream_tbNS1_7vsmem_tEEUlT_E_NS1_11comp_targetILNS1_3genE10ELNS1_11target_archE1200ELNS1_3gpuE4ELNS1_3repE0EEENS1_30default_config_static_selectorELNS0_4arch9wavefront6targetE0EEEvSM_.has_recursion, 0
	.set _ZN7rocprim17ROCPRIM_400000_NS6detail17trampoline_kernelINS0_14default_configENS1_37merge_sort_block_sort_config_selectorIlNS0_10empty_typeEEEZNS1_21merge_sort_block_sortIS3_PlS8_PS5_S9_ZN2at6native12_GLOBAL__N_124unique_dim_cuda_templateIbEESt5tupleIJNSA_6TensorESF_SF_EERKSF_lbbbEUlllE_EE10hipError_tT0_T1_T2_T3_mRjT4_P12ihipStream_tbNS1_7vsmem_tEEUlT_E_NS1_11comp_targetILNS1_3genE10ELNS1_11target_archE1200ELNS1_3gpuE4ELNS1_3repE0EEENS1_30default_config_static_selectorELNS0_4arch9wavefront6targetE0EEEvSM_.has_indirect_call, 0
	.section	.AMDGPU.csdata,"",@progbits
; Kernel info:
; codeLenInByte = 0
; TotalNumSgprs: 0
; NumVgprs: 0
; ScratchSize: 0
; MemoryBound: 0
; FloatMode: 240
; IeeeMode: 1
; LDSByteSize: 0 bytes/workgroup (compile time only)
; SGPRBlocks: 0
; VGPRBlocks: 0
; NumSGPRsForWavesPerEU: 1
; NumVGPRsForWavesPerEU: 1
; NamedBarCnt: 0
; Occupancy: 16
; WaveLimiterHint : 0
; COMPUTE_PGM_RSRC2:SCRATCH_EN: 0
; COMPUTE_PGM_RSRC2:USER_SGPR: 2
; COMPUTE_PGM_RSRC2:TRAP_HANDLER: 0
; COMPUTE_PGM_RSRC2:TGID_X_EN: 1
; COMPUTE_PGM_RSRC2:TGID_Y_EN: 0
; COMPUTE_PGM_RSRC2:TGID_Z_EN: 0
; COMPUTE_PGM_RSRC2:TIDIG_COMP_CNT: 0
	.section	.text._ZN7rocprim17ROCPRIM_400000_NS6detail17trampoline_kernelINS0_14default_configENS1_37merge_sort_block_sort_config_selectorIlNS0_10empty_typeEEEZNS1_21merge_sort_block_sortIS3_PlS8_PS5_S9_ZN2at6native12_GLOBAL__N_124unique_dim_cuda_templateIbEESt5tupleIJNSA_6TensorESF_SF_EERKSF_lbbbEUlllE_EE10hipError_tT0_T1_T2_T3_mRjT4_P12ihipStream_tbNS1_7vsmem_tEEUlT_E_NS1_11comp_targetILNS1_3genE9ELNS1_11target_archE1100ELNS1_3gpuE3ELNS1_3repE0EEENS1_30default_config_static_selectorELNS0_4arch9wavefront6targetE0EEEvSM_,"axG",@progbits,_ZN7rocprim17ROCPRIM_400000_NS6detail17trampoline_kernelINS0_14default_configENS1_37merge_sort_block_sort_config_selectorIlNS0_10empty_typeEEEZNS1_21merge_sort_block_sortIS3_PlS8_PS5_S9_ZN2at6native12_GLOBAL__N_124unique_dim_cuda_templateIbEESt5tupleIJNSA_6TensorESF_SF_EERKSF_lbbbEUlllE_EE10hipError_tT0_T1_T2_T3_mRjT4_P12ihipStream_tbNS1_7vsmem_tEEUlT_E_NS1_11comp_targetILNS1_3genE9ELNS1_11target_archE1100ELNS1_3gpuE3ELNS1_3repE0EEENS1_30default_config_static_selectorELNS0_4arch9wavefront6targetE0EEEvSM_,comdat
	.globl	_ZN7rocprim17ROCPRIM_400000_NS6detail17trampoline_kernelINS0_14default_configENS1_37merge_sort_block_sort_config_selectorIlNS0_10empty_typeEEEZNS1_21merge_sort_block_sortIS3_PlS8_PS5_S9_ZN2at6native12_GLOBAL__N_124unique_dim_cuda_templateIbEESt5tupleIJNSA_6TensorESF_SF_EERKSF_lbbbEUlllE_EE10hipError_tT0_T1_T2_T3_mRjT4_P12ihipStream_tbNS1_7vsmem_tEEUlT_E_NS1_11comp_targetILNS1_3genE9ELNS1_11target_archE1100ELNS1_3gpuE3ELNS1_3repE0EEENS1_30default_config_static_selectorELNS0_4arch9wavefront6targetE0EEEvSM_ ; -- Begin function _ZN7rocprim17ROCPRIM_400000_NS6detail17trampoline_kernelINS0_14default_configENS1_37merge_sort_block_sort_config_selectorIlNS0_10empty_typeEEEZNS1_21merge_sort_block_sortIS3_PlS8_PS5_S9_ZN2at6native12_GLOBAL__N_124unique_dim_cuda_templateIbEESt5tupleIJNSA_6TensorESF_SF_EERKSF_lbbbEUlllE_EE10hipError_tT0_T1_T2_T3_mRjT4_P12ihipStream_tbNS1_7vsmem_tEEUlT_E_NS1_11comp_targetILNS1_3genE9ELNS1_11target_archE1100ELNS1_3gpuE3ELNS1_3repE0EEENS1_30default_config_static_selectorELNS0_4arch9wavefront6targetE0EEEvSM_
	.p2align	8
	.type	_ZN7rocprim17ROCPRIM_400000_NS6detail17trampoline_kernelINS0_14default_configENS1_37merge_sort_block_sort_config_selectorIlNS0_10empty_typeEEEZNS1_21merge_sort_block_sortIS3_PlS8_PS5_S9_ZN2at6native12_GLOBAL__N_124unique_dim_cuda_templateIbEESt5tupleIJNSA_6TensorESF_SF_EERKSF_lbbbEUlllE_EE10hipError_tT0_T1_T2_T3_mRjT4_P12ihipStream_tbNS1_7vsmem_tEEUlT_E_NS1_11comp_targetILNS1_3genE9ELNS1_11target_archE1100ELNS1_3gpuE3ELNS1_3repE0EEENS1_30default_config_static_selectorELNS0_4arch9wavefront6targetE0EEEvSM_,@function
_ZN7rocprim17ROCPRIM_400000_NS6detail17trampoline_kernelINS0_14default_configENS1_37merge_sort_block_sort_config_selectorIlNS0_10empty_typeEEEZNS1_21merge_sort_block_sortIS3_PlS8_PS5_S9_ZN2at6native12_GLOBAL__N_124unique_dim_cuda_templateIbEESt5tupleIJNSA_6TensorESF_SF_EERKSF_lbbbEUlllE_EE10hipError_tT0_T1_T2_T3_mRjT4_P12ihipStream_tbNS1_7vsmem_tEEUlT_E_NS1_11comp_targetILNS1_3genE9ELNS1_11target_archE1100ELNS1_3gpuE3ELNS1_3repE0EEENS1_30default_config_static_selectorELNS0_4arch9wavefront6targetE0EEEvSM_: ; @_ZN7rocprim17ROCPRIM_400000_NS6detail17trampoline_kernelINS0_14default_configENS1_37merge_sort_block_sort_config_selectorIlNS0_10empty_typeEEEZNS1_21merge_sort_block_sortIS3_PlS8_PS5_S9_ZN2at6native12_GLOBAL__N_124unique_dim_cuda_templateIbEESt5tupleIJNSA_6TensorESF_SF_EERKSF_lbbbEUlllE_EE10hipError_tT0_T1_T2_T3_mRjT4_P12ihipStream_tbNS1_7vsmem_tEEUlT_E_NS1_11comp_targetILNS1_3genE9ELNS1_11target_archE1100ELNS1_3gpuE3ELNS1_3repE0EEENS1_30default_config_static_selectorELNS0_4arch9wavefront6targetE0EEEvSM_
; %bb.0:
	.section	.rodata,"a",@progbits
	.p2align	6, 0x0
	.amdhsa_kernel _ZN7rocprim17ROCPRIM_400000_NS6detail17trampoline_kernelINS0_14default_configENS1_37merge_sort_block_sort_config_selectorIlNS0_10empty_typeEEEZNS1_21merge_sort_block_sortIS3_PlS8_PS5_S9_ZN2at6native12_GLOBAL__N_124unique_dim_cuda_templateIbEESt5tupleIJNSA_6TensorESF_SF_EERKSF_lbbbEUlllE_EE10hipError_tT0_T1_T2_T3_mRjT4_P12ihipStream_tbNS1_7vsmem_tEEUlT_E_NS1_11comp_targetILNS1_3genE9ELNS1_11target_archE1100ELNS1_3gpuE3ELNS1_3repE0EEENS1_30default_config_static_selectorELNS0_4arch9wavefront6targetE0EEEvSM_
		.amdhsa_group_segment_fixed_size 0
		.amdhsa_private_segment_fixed_size 0
		.amdhsa_kernarg_size 72
		.amdhsa_user_sgpr_count 2
		.amdhsa_user_sgpr_dispatch_ptr 0
		.amdhsa_user_sgpr_queue_ptr 0
		.amdhsa_user_sgpr_kernarg_segment_ptr 1
		.amdhsa_user_sgpr_dispatch_id 0
		.amdhsa_user_sgpr_kernarg_preload_length 0
		.amdhsa_user_sgpr_kernarg_preload_offset 0
		.amdhsa_user_sgpr_private_segment_size 0
		.amdhsa_wavefront_size32 1
		.amdhsa_uses_dynamic_stack 0
		.amdhsa_enable_private_segment 0
		.amdhsa_system_sgpr_workgroup_id_x 1
		.amdhsa_system_sgpr_workgroup_id_y 0
		.amdhsa_system_sgpr_workgroup_id_z 0
		.amdhsa_system_sgpr_workgroup_info 0
		.amdhsa_system_vgpr_workitem_id 0
		.amdhsa_next_free_vgpr 1
		.amdhsa_next_free_sgpr 1
		.amdhsa_named_barrier_count 0
		.amdhsa_reserve_vcc 0
		.amdhsa_float_round_mode_32 0
		.amdhsa_float_round_mode_16_64 0
		.amdhsa_float_denorm_mode_32 3
		.amdhsa_float_denorm_mode_16_64 3
		.amdhsa_fp16_overflow 0
		.amdhsa_memory_ordered 1
		.amdhsa_forward_progress 1
		.amdhsa_inst_pref_size 0
		.amdhsa_round_robin_scheduling 0
		.amdhsa_exception_fp_ieee_invalid_op 0
		.amdhsa_exception_fp_denorm_src 0
		.amdhsa_exception_fp_ieee_div_zero 0
		.amdhsa_exception_fp_ieee_overflow 0
		.amdhsa_exception_fp_ieee_underflow 0
		.amdhsa_exception_fp_ieee_inexact 0
		.amdhsa_exception_int_div_zero 0
	.end_amdhsa_kernel
	.section	.text._ZN7rocprim17ROCPRIM_400000_NS6detail17trampoline_kernelINS0_14default_configENS1_37merge_sort_block_sort_config_selectorIlNS0_10empty_typeEEEZNS1_21merge_sort_block_sortIS3_PlS8_PS5_S9_ZN2at6native12_GLOBAL__N_124unique_dim_cuda_templateIbEESt5tupleIJNSA_6TensorESF_SF_EERKSF_lbbbEUlllE_EE10hipError_tT0_T1_T2_T3_mRjT4_P12ihipStream_tbNS1_7vsmem_tEEUlT_E_NS1_11comp_targetILNS1_3genE9ELNS1_11target_archE1100ELNS1_3gpuE3ELNS1_3repE0EEENS1_30default_config_static_selectorELNS0_4arch9wavefront6targetE0EEEvSM_,"axG",@progbits,_ZN7rocprim17ROCPRIM_400000_NS6detail17trampoline_kernelINS0_14default_configENS1_37merge_sort_block_sort_config_selectorIlNS0_10empty_typeEEEZNS1_21merge_sort_block_sortIS3_PlS8_PS5_S9_ZN2at6native12_GLOBAL__N_124unique_dim_cuda_templateIbEESt5tupleIJNSA_6TensorESF_SF_EERKSF_lbbbEUlllE_EE10hipError_tT0_T1_T2_T3_mRjT4_P12ihipStream_tbNS1_7vsmem_tEEUlT_E_NS1_11comp_targetILNS1_3genE9ELNS1_11target_archE1100ELNS1_3gpuE3ELNS1_3repE0EEENS1_30default_config_static_selectorELNS0_4arch9wavefront6targetE0EEEvSM_,comdat
.Lfunc_end1000:
	.size	_ZN7rocprim17ROCPRIM_400000_NS6detail17trampoline_kernelINS0_14default_configENS1_37merge_sort_block_sort_config_selectorIlNS0_10empty_typeEEEZNS1_21merge_sort_block_sortIS3_PlS8_PS5_S9_ZN2at6native12_GLOBAL__N_124unique_dim_cuda_templateIbEESt5tupleIJNSA_6TensorESF_SF_EERKSF_lbbbEUlllE_EE10hipError_tT0_T1_T2_T3_mRjT4_P12ihipStream_tbNS1_7vsmem_tEEUlT_E_NS1_11comp_targetILNS1_3genE9ELNS1_11target_archE1100ELNS1_3gpuE3ELNS1_3repE0EEENS1_30default_config_static_selectorELNS0_4arch9wavefront6targetE0EEEvSM_, .Lfunc_end1000-_ZN7rocprim17ROCPRIM_400000_NS6detail17trampoline_kernelINS0_14default_configENS1_37merge_sort_block_sort_config_selectorIlNS0_10empty_typeEEEZNS1_21merge_sort_block_sortIS3_PlS8_PS5_S9_ZN2at6native12_GLOBAL__N_124unique_dim_cuda_templateIbEESt5tupleIJNSA_6TensorESF_SF_EERKSF_lbbbEUlllE_EE10hipError_tT0_T1_T2_T3_mRjT4_P12ihipStream_tbNS1_7vsmem_tEEUlT_E_NS1_11comp_targetILNS1_3genE9ELNS1_11target_archE1100ELNS1_3gpuE3ELNS1_3repE0EEENS1_30default_config_static_selectorELNS0_4arch9wavefront6targetE0EEEvSM_
                                        ; -- End function
	.set _ZN7rocprim17ROCPRIM_400000_NS6detail17trampoline_kernelINS0_14default_configENS1_37merge_sort_block_sort_config_selectorIlNS0_10empty_typeEEEZNS1_21merge_sort_block_sortIS3_PlS8_PS5_S9_ZN2at6native12_GLOBAL__N_124unique_dim_cuda_templateIbEESt5tupleIJNSA_6TensorESF_SF_EERKSF_lbbbEUlllE_EE10hipError_tT0_T1_T2_T3_mRjT4_P12ihipStream_tbNS1_7vsmem_tEEUlT_E_NS1_11comp_targetILNS1_3genE9ELNS1_11target_archE1100ELNS1_3gpuE3ELNS1_3repE0EEENS1_30default_config_static_selectorELNS0_4arch9wavefront6targetE0EEEvSM_.num_vgpr, 0
	.set _ZN7rocprim17ROCPRIM_400000_NS6detail17trampoline_kernelINS0_14default_configENS1_37merge_sort_block_sort_config_selectorIlNS0_10empty_typeEEEZNS1_21merge_sort_block_sortIS3_PlS8_PS5_S9_ZN2at6native12_GLOBAL__N_124unique_dim_cuda_templateIbEESt5tupleIJNSA_6TensorESF_SF_EERKSF_lbbbEUlllE_EE10hipError_tT0_T1_T2_T3_mRjT4_P12ihipStream_tbNS1_7vsmem_tEEUlT_E_NS1_11comp_targetILNS1_3genE9ELNS1_11target_archE1100ELNS1_3gpuE3ELNS1_3repE0EEENS1_30default_config_static_selectorELNS0_4arch9wavefront6targetE0EEEvSM_.num_agpr, 0
	.set _ZN7rocprim17ROCPRIM_400000_NS6detail17trampoline_kernelINS0_14default_configENS1_37merge_sort_block_sort_config_selectorIlNS0_10empty_typeEEEZNS1_21merge_sort_block_sortIS3_PlS8_PS5_S9_ZN2at6native12_GLOBAL__N_124unique_dim_cuda_templateIbEESt5tupleIJNSA_6TensorESF_SF_EERKSF_lbbbEUlllE_EE10hipError_tT0_T1_T2_T3_mRjT4_P12ihipStream_tbNS1_7vsmem_tEEUlT_E_NS1_11comp_targetILNS1_3genE9ELNS1_11target_archE1100ELNS1_3gpuE3ELNS1_3repE0EEENS1_30default_config_static_selectorELNS0_4arch9wavefront6targetE0EEEvSM_.numbered_sgpr, 0
	.set _ZN7rocprim17ROCPRIM_400000_NS6detail17trampoline_kernelINS0_14default_configENS1_37merge_sort_block_sort_config_selectorIlNS0_10empty_typeEEEZNS1_21merge_sort_block_sortIS3_PlS8_PS5_S9_ZN2at6native12_GLOBAL__N_124unique_dim_cuda_templateIbEESt5tupleIJNSA_6TensorESF_SF_EERKSF_lbbbEUlllE_EE10hipError_tT0_T1_T2_T3_mRjT4_P12ihipStream_tbNS1_7vsmem_tEEUlT_E_NS1_11comp_targetILNS1_3genE9ELNS1_11target_archE1100ELNS1_3gpuE3ELNS1_3repE0EEENS1_30default_config_static_selectorELNS0_4arch9wavefront6targetE0EEEvSM_.num_named_barrier, 0
	.set _ZN7rocprim17ROCPRIM_400000_NS6detail17trampoline_kernelINS0_14default_configENS1_37merge_sort_block_sort_config_selectorIlNS0_10empty_typeEEEZNS1_21merge_sort_block_sortIS3_PlS8_PS5_S9_ZN2at6native12_GLOBAL__N_124unique_dim_cuda_templateIbEESt5tupleIJNSA_6TensorESF_SF_EERKSF_lbbbEUlllE_EE10hipError_tT0_T1_T2_T3_mRjT4_P12ihipStream_tbNS1_7vsmem_tEEUlT_E_NS1_11comp_targetILNS1_3genE9ELNS1_11target_archE1100ELNS1_3gpuE3ELNS1_3repE0EEENS1_30default_config_static_selectorELNS0_4arch9wavefront6targetE0EEEvSM_.private_seg_size, 0
	.set _ZN7rocprim17ROCPRIM_400000_NS6detail17trampoline_kernelINS0_14default_configENS1_37merge_sort_block_sort_config_selectorIlNS0_10empty_typeEEEZNS1_21merge_sort_block_sortIS3_PlS8_PS5_S9_ZN2at6native12_GLOBAL__N_124unique_dim_cuda_templateIbEESt5tupleIJNSA_6TensorESF_SF_EERKSF_lbbbEUlllE_EE10hipError_tT0_T1_T2_T3_mRjT4_P12ihipStream_tbNS1_7vsmem_tEEUlT_E_NS1_11comp_targetILNS1_3genE9ELNS1_11target_archE1100ELNS1_3gpuE3ELNS1_3repE0EEENS1_30default_config_static_selectorELNS0_4arch9wavefront6targetE0EEEvSM_.uses_vcc, 0
	.set _ZN7rocprim17ROCPRIM_400000_NS6detail17trampoline_kernelINS0_14default_configENS1_37merge_sort_block_sort_config_selectorIlNS0_10empty_typeEEEZNS1_21merge_sort_block_sortIS3_PlS8_PS5_S9_ZN2at6native12_GLOBAL__N_124unique_dim_cuda_templateIbEESt5tupleIJNSA_6TensorESF_SF_EERKSF_lbbbEUlllE_EE10hipError_tT0_T1_T2_T3_mRjT4_P12ihipStream_tbNS1_7vsmem_tEEUlT_E_NS1_11comp_targetILNS1_3genE9ELNS1_11target_archE1100ELNS1_3gpuE3ELNS1_3repE0EEENS1_30default_config_static_selectorELNS0_4arch9wavefront6targetE0EEEvSM_.uses_flat_scratch, 0
	.set _ZN7rocprim17ROCPRIM_400000_NS6detail17trampoline_kernelINS0_14default_configENS1_37merge_sort_block_sort_config_selectorIlNS0_10empty_typeEEEZNS1_21merge_sort_block_sortIS3_PlS8_PS5_S9_ZN2at6native12_GLOBAL__N_124unique_dim_cuda_templateIbEESt5tupleIJNSA_6TensorESF_SF_EERKSF_lbbbEUlllE_EE10hipError_tT0_T1_T2_T3_mRjT4_P12ihipStream_tbNS1_7vsmem_tEEUlT_E_NS1_11comp_targetILNS1_3genE9ELNS1_11target_archE1100ELNS1_3gpuE3ELNS1_3repE0EEENS1_30default_config_static_selectorELNS0_4arch9wavefront6targetE0EEEvSM_.has_dyn_sized_stack, 0
	.set _ZN7rocprim17ROCPRIM_400000_NS6detail17trampoline_kernelINS0_14default_configENS1_37merge_sort_block_sort_config_selectorIlNS0_10empty_typeEEEZNS1_21merge_sort_block_sortIS3_PlS8_PS5_S9_ZN2at6native12_GLOBAL__N_124unique_dim_cuda_templateIbEESt5tupleIJNSA_6TensorESF_SF_EERKSF_lbbbEUlllE_EE10hipError_tT0_T1_T2_T3_mRjT4_P12ihipStream_tbNS1_7vsmem_tEEUlT_E_NS1_11comp_targetILNS1_3genE9ELNS1_11target_archE1100ELNS1_3gpuE3ELNS1_3repE0EEENS1_30default_config_static_selectorELNS0_4arch9wavefront6targetE0EEEvSM_.has_recursion, 0
	.set _ZN7rocprim17ROCPRIM_400000_NS6detail17trampoline_kernelINS0_14default_configENS1_37merge_sort_block_sort_config_selectorIlNS0_10empty_typeEEEZNS1_21merge_sort_block_sortIS3_PlS8_PS5_S9_ZN2at6native12_GLOBAL__N_124unique_dim_cuda_templateIbEESt5tupleIJNSA_6TensorESF_SF_EERKSF_lbbbEUlllE_EE10hipError_tT0_T1_T2_T3_mRjT4_P12ihipStream_tbNS1_7vsmem_tEEUlT_E_NS1_11comp_targetILNS1_3genE9ELNS1_11target_archE1100ELNS1_3gpuE3ELNS1_3repE0EEENS1_30default_config_static_selectorELNS0_4arch9wavefront6targetE0EEEvSM_.has_indirect_call, 0
	.section	.AMDGPU.csdata,"",@progbits
; Kernel info:
; codeLenInByte = 0
; TotalNumSgprs: 0
; NumVgprs: 0
; ScratchSize: 0
; MemoryBound: 0
; FloatMode: 240
; IeeeMode: 1
; LDSByteSize: 0 bytes/workgroup (compile time only)
; SGPRBlocks: 0
; VGPRBlocks: 0
; NumSGPRsForWavesPerEU: 1
; NumVGPRsForWavesPerEU: 1
; NamedBarCnt: 0
; Occupancy: 16
; WaveLimiterHint : 0
; COMPUTE_PGM_RSRC2:SCRATCH_EN: 0
; COMPUTE_PGM_RSRC2:USER_SGPR: 2
; COMPUTE_PGM_RSRC2:TRAP_HANDLER: 0
; COMPUTE_PGM_RSRC2:TGID_X_EN: 1
; COMPUTE_PGM_RSRC2:TGID_Y_EN: 0
; COMPUTE_PGM_RSRC2:TGID_Z_EN: 0
; COMPUTE_PGM_RSRC2:TIDIG_COMP_CNT: 0
	.section	.text._ZN7rocprim17ROCPRIM_400000_NS6detail17trampoline_kernelINS0_14default_configENS1_37merge_sort_block_sort_config_selectorIlNS0_10empty_typeEEEZNS1_21merge_sort_block_sortIS3_PlS8_PS5_S9_ZN2at6native12_GLOBAL__N_124unique_dim_cuda_templateIbEESt5tupleIJNSA_6TensorESF_SF_EERKSF_lbbbEUlllE_EE10hipError_tT0_T1_T2_T3_mRjT4_P12ihipStream_tbNS1_7vsmem_tEEUlT_E_NS1_11comp_targetILNS1_3genE8ELNS1_11target_archE1030ELNS1_3gpuE2ELNS1_3repE0EEENS1_30default_config_static_selectorELNS0_4arch9wavefront6targetE0EEEvSM_,"axG",@progbits,_ZN7rocprim17ROCPRIM_400000_NS6detail17trampoline_kernelINS0_14default_configENS1_37merge_sort_block_sort_config_selectorIlNS0_10empty_typeEEEZNS1_21merge_sort_block_sortIS3_PlS8_PS5_S9_ZN2at6native12_GLOBAL__N_124unique_dim_cuda_templateIbEESt5tupleIJNSA_6TensorESF_SF_EERKSF_lbbbEUlllE_EE10hipError_tT0_T1_T2_T3_mRjT4_P12ihipStream_tbNS1_7vsmem_tEEUlT_E_NS1_11comp_targetILNS1_3genE8ELNS1_11target_archE1030ELNS1_3gpuE2ELNS1_3repE0EEENS1_30default_config_static_selectorELNS0_4arch9wavefront6targetE0EEEvSM_,comdat
	.globl	_ZN7rocprim17ROCPRIM_400000_NS6detail17trampoline_kernelINS0_14default_configENS1_37merge_sort_block_sort_config_selectorIlNS0_10empty_typeEEEZNS1_21merge_sort_block_sortIS3_PlS8_PS5_S9_ZN2at6native12_GLOBAL__N_124unique_dim_cuda_templateIbEESt5tupleIJNSA_6TensorESF_SF_EERKSF_lbbbEUlllE_EE10hipError_tT0_T1_T2_T3_mRjT4_P12ihipStream_tbNS1_7vsmem_tEEUlT_E_NS1_11comp_targetILNS1_3genE8ELNS1_11target_archE1030ELNS1_3gpuE2ELNS1_3repE0EEENS1_30default_config_static_selectorELNS0_4arch9wavefront6targetE0EEEvSM_ ; -- Begin function _ZN7rocprim17ROCPRIM_400000_NS6detail17trampoline_kernelINS0_14default_configENS1_37merge_sort_block_sort_config_selectorIlNS0_10empty_typeEEEZNS1_21merge_sort_block_sortIS3_PlS8_PS5_S9_ZN2at6native12_GLOBAL__N_124unique_dim_cuda_templateIbEESt5tupleIJNSA_6TensorESF_SF_EERKSF_lbbbEUlllE_EE10hipError_tT0_T1_T2_T3_mRjT4_P12ihipStream_tbNS1_7vsmem_tEEUlT_E_NS1_11comp_targetILNS1_3genE8ELNS1_11target_archE1030ELNS1_3gpuE2ELNS1_3repE0EEENS1_30default_config_static_selectorELNS0_4arch9wavefront6targetE0EEEvSM_
	.p2align	8
	.type	_ZN7rocprim17ROCPRIM_400000_NS6detail17trampoline_kernelINS0_14default_configENS1_37merge_sort_block_sort_config_selectorIlNS0_10empty_typeEEEZNS1_21merge_sort_block_sortIS3_PlS8_PS5_S9_ZN2at6native12_GLOBAL__N_124unique_dim_cuda_templateIbEESt5tupleIJNSA_6TensorESF_SF_EERKSF_lbbbEUlllE_EE10hipError_tT0_T1_T2_T3_mRjT4_P12ihipStream_tbNS1_7vsmem_tEEUlT_E_NS1_11comp_targetILNS1_3genE8ELNS1_11target_archE1030ELNS1_3gpuE2ELNS1_3repE0EEENS1_30default_config_static_selectorELNS0_4arch9wavefront6targetE0EEEvSM_,@function
_ZN7rocprim17ROCPRIM_400000_NS6detail17trampoline_kernelINS0_14default_configENS1_37merge_sort_block_sort_config_selectorIlNS0_10empty_typeEEEZNS1_21merge_sort_block_sortIS3_PlS8_PS5_S9_ZN2at6native12_GLOBAL__N_124unique_dim_cuda_templateIbEESt5tupleIJNSA_6TensorESF_SF_EERKSF_lbbbEUlllE_EE10hipError_tT0_T1_T2_T3_mRjT4_P12ihipStream_tbNS1_7vsmem_tEEUlT_E_NS1_11comp_targetILNS1_3genE8ELNS1_11target_archE1030ELNS1_3gpuE2ELNS1_3repE0EEENS1_30default_config_static_selectorELNS0_4arch9wavefront6targetE0EEEvSM_: ; @_ZN7rocprim17ROCPRIM_400000_NS6detail17trampoline_kernelINS0_14default_configENS1_37merge_sort_block_sort_config_selectorIlNS0_10empty_typeEEEZNS1_21merge_sort_block_sortIS3_PlS8_PS5_S9_ZN2at6native12_GLOBAL__N_124unique_dim_cuda_templateIbEESt5tupleIJNSA_6TensorESF_SF_EERKSF_lbbbEUlllE_EE10hipError_tT0_T1_T2_T3_mRjT4_P12ihipStream_tbNS1_7vsmem_tEEUlT_E_NS1_11comp_targetILNS1_3genE8ELNS1_11target_archE1030ELNS1_3gpuE2ELNS1_3repE0EEENS1_30default_config_static_selectorELNS0_4arch9wavefront6targetE0EEEvSM_
; %bb.0:
	.section	.rodata,"a",@progbits
	.p2align	6, 0x0
	.amdhsa_kernel _ZN7rocprim17ROCPRIM_400000_NS6detail17trampoline_kernelINS0_14default_configENS1_37merge_sort_block_sort_config_selectorIlNS0_10empty_typeEEEZNS1_21merge_sort_block_sortIS3_PlS8_PS5_S9_ZN2at6native12_GLOBAL__N_124unique_dim_cuda_templateIbEESt5tupleIJNSA_6TensorESF_SF_EERKSF_lbbbEUlllE_EE10hipError_tT0_T1_T2_T3_mRjT4_P12ihipStream_tbNS1_7vsmem_tEEUlT_E_NS1_11comp_targetILNS1_3genE8ELNS1_11target_archE1030ELNS1_3gpuE2ELNS1_3repE0EEENS1_30default_config_static_selectorELNS0_4arch9wavefront6targetE0EEEvSM_
		.amdhsa_group_segment_fixed_size 0
		.amdhsa_private_segment_fixed_size 0
		.amdhsa_kernarg_size 72
		.amdhsa_user_sgpr_count 2
		.amdhsa_user_sgpr_dispatch_ptr 0
		.amdhsa_user_sgpr_queue_ptr 0
		.amdhsa_user_sgpr_kernarg_segment_ptr 1
		.amdhsa_user_sgpr_dispatch_id 0
		.amdhsa_user_sgpr_kernarg_preload_length 0
		.amdhsa_user_sgpr_kernarg_preload_offset 0
		.amdhsa_user_sgpr_private_segment_size 0
		.amdhsa_wavefront_size32 1
		.amdhsa_uses_dynamic_stack 0
		.amdhsa_enable_private_segment 0
		.amdhsa_system_sgpr_workgroup_id_x 1
		.amdhsa_system_sgpr_workgroup_id_y 0
		.amdhsa_system_sgpr_workgroup_id_z 0
		.amdhsa_system_sgpr_workgroup_info 0
		.amdhsa_system_vgpr_workitem_id 0
		.amdhsa_next_free_vgpr 1
		.amdhsa_next_free_sgpr 1
		.amdhsa_named_barrier_count 0
		.amdhsa_reserve_vcc 0
		.amdhsa_float_round_mode_32 0
		.amdhsa_float_round_mode_16_64 0
		.amdhsa_float_denorm_mode_32 3
		.amdhsa_float_denorm_mode_16_64 3
		.amdhsa_fp16_overflow 0
		.amdhsa_memory_ordered 1
		.amdhsa_forward_progress 1
		.amdhsa_inst_pref_size 0
		.amdhsa_round_robin_scheduling 0
		.amdhsa_exception_fp_ieee_invalid_op 0
		.amdhsa_exception_fp_denorm_src 0
		.amdhsa_exception_fp_ieee_div_zero 0
		.amdhsa_exception_fp_ieee_overflow 0
		.amdhsa_exception_fp_ieee_underflow 0
		.amdhsa_exception_fp_ieee_inexact 0
		.amdhsa_exception_int_div_zero 0
	.end_amdhsa_kernel
	.section	.text._ZN7rocprim17ROCPRIM_400000_NS6detail17trampoline_kernelINS0_14default_configENS1_37merge_sort_block_sort_config_selectorIlNS0_10empty_typeEEEZNS1_21merge_sort_block_sortIS3_PlS8_PS5_S9_ZN2at6native12_GLOBAL__N_124unique_dim_cuda_templateIbEESt5tupleIJNSA_6TensorESF_SF_EERKSF_lbbbEUlllE_EE10hipError_tT0_T1_T2_T3_mRjT4_P12ihipStream_tbNS1_7vsmem_tEEUlT_E_NS1_11comp_targetILNS1_3genE8ELNS1_11target_archE1030ELNS1_3gpuE2ELNS1_3repE0EEENS1_30default_config_static_selectorELNS0_4arch9wavefront6targetE0EEEvSM_,"axG",@progbits,_ZN7rocprim17ROCPRIM_400000_NS6detail17trampoline_kernelINS0_14default_configENS1_37merge_sort_block_sort_config_selectorIlNS0_10empty_typeEEEZNS1_21merge_sort_block_sortIS3_PlS8_PS5_S9_ZN2at6native12_GLOBAL__N_124unique_dim_cuda_templateIbEESt5tupleIJNSA_6TensorESF_SF_EERKSF_lbbbEUlllE_EE10hipError_tT0_T1_T2_T3_mRjT4_P12ihipStream_tbNS1_7vsmem_tEEUlT_E_NS1_11comp_targetILNS1_3genE8ELNS1_11target_archE1030ELNS1_3gpuE2ELNS1_3repE0EEENS1_30default_config_static_selectorELNS0_4arch9wavefront6targetE0EEEvSM_,comdat
.Lfunc_end1001:
	.size	_ZN7rocprim17ROCPRIM_400000_NS6detail17trampoline_kernelINS0_14default_configENS1_37merge_sort_block_sort_config_selectorIlNS0_10empty_typeEEEZNS1_21merge_sort_block_sortIS3_PlS8_PS5_S9_ZN2at6native12_GLOBAL__N_124unique_dim_cuda_templateIbEESt5tupleIJNSA_6TensorESF_SF_EERKSF_lbbbEUlllE_EE10hipError_tT0_T1_T2_T3_mRjT4_P12ihipStream_tbNS1_7vsmem_tEEUlT_E_NS1_11comp_targetILNS1_3genE8ELNS1_11target_archE1030ELNS1_3gpuE2ELNS1_3repE0EEENS1_30default_config_static_selectorELNS0_4arch9wavefront6targetE0EEEvSM_, .Lfunc_end1001-_ZN7rocprim17ROCPRIM_400000_NS6detail17trampoline_kernelINS0_14default_configENS1_37merge_sort_block_sort_config_selectorIlNS0_10empty_typeEEEZNS1_21merge_sort_block_sortIS3_PlS8_PS5_S9_ZN2at6native12_GLOBAL__N_124unique_dim_cuda_templateIbEESt5tupleIJNSA_6TensorESF_SF_EERKSF_lbbbEUlllE_EE10hipError_tT0_T1_T2_T3_mRjT4_P12ihipStream_tbNS1_7vsmem_tEEUlT_E_NS1_11comp_targetILNS1_3genE8ELNS1_11target_archE1030ELNS1_3gpuE2ELNS1_3repE0EEENS1_30default_config_static_selectorELNS0_4arch9wavefront6targetE0EEEvSM_
                                        ; -- End function
	.set _ZN7rocprim17ROCPRIM_400000_NS6detail17trampoline_kernelINS0_14default_configENS1_37merge_sort_block_sort_config_selectorIlNS0_10empty_typeEEEZNS1_21merge_sort_block_sortIS3_PlS8_PS5_S9_ZN2at6native12_GLOBAL__N_124unique_dim_cuda_templateIbEESt5tupleIJNSA_6TensorESF_SF_EERKSF_lbbbEUlllE_EE10hipError_tT0_T1_T2_T3_mRjT4_P12ihipStream_tbNS1_7vsmem_tEEUlT_E_NS1_11comp_targetILNS1_3genE8ELNS1_11target_archE1030ELNS1_3gpuE2ELNS1_3repE0EEENS1_30default_config_static_selectorELNS0_4arch9wavefront6targetE0EEEvSM_.num_vgpr, 0
	.set _ZN7rocprim17ROCPRIM_400000_NS6detail17trampoline_kernelINS0_14default_configENS1_37merge_sort_block_sort_config_selectorIlNS0_10empty_typeEEEZNS1_21merge_sort_block_sortIS3_PlS8_PS5_S9_ZN2at6native12_GLOBAL__N_124unique_dim_cuda_templateIbEESt5tupleIJNSA_6TensorESF_SF_EERKSF_lbbbEUlllE_EE10hipError_tT0_T1_T2_T3_mRjT4_P12ihipStream_tbNS1_7vsmem_tEEUlT_E_NS1_11comp_targetILNS1_3genE8ELNS1_11target_archE1030ELNS1_3gpuE2ELNS1_3repE0EEENS1_30default_config_static_selectorELNS0_4arch9wavefront6targetE0EEEvSM_.num_agpr, 0
	.set _ZN7rocprim17ROCPRIM_400000_NS6detail17trampoline_kernelINS0_14default_configENS1_37merge_sort_block_sort_config_selectorIlNS0_10empty_typeEEEZNS1_21merge_sort_block_sortIS3_PlS8_PS5_S9_ZN2at6native12_GLOBAL__N_124unique_dim_cuda_templateIbEESt5tupleIJNSA_6TensorESF_SF_EERKSF_lbbbEUlllE_EE10hipError_tT0_T1_T2_T3_mRjT4_P12ihipStream_tbNS1_7vsmem_tEEUlT_E_NS1_11comp_targetILNS1_3genE8ELNS1_11target_archE1030ELNS1_3gpuE2ELNS1_3repE0EEENS1_30default_config_static_selectorELNS0_4arch9wavefront6targetE0EEEvSM_.numbered_sgpr, 0
	.set _ZN7rocprim17ROCPRIM_400000_NS6detail17trampoline_kernelINS0_14default_configENS1_37merge_sort_block_sort_config_selectorIlNS0_10empty_typeEEEZNS1_21merge_sort_block_sortIS3_PlS8_PS5_S9_ZN2at6native12_GLOBAL__N_124unique_dim_cuda_templateIbEESt5tupleIJNSA_6TensorESF_SF_EERKSF_lbbbEUlllE_EE10hipError_tT0_T1_T2_T3_mRjT4_P12ihipStream_tbNS1_7vsmem_tEEUlT_E_NS1_11comp_targetILNS1_3genE8ELNS1_11target_archE1030ELNS1_3gpuE2ELNS1_3repE0EEENS1_30default_config_static_selectorELNS0_4arch9wavefront6targetE0EEEvSM_.num_named_barrier, 0
	.set _ZN7rocprim17ROCPRIM_400000_NS6detail17trampoline_kernelINS0_14default_configENS1_37merge_sort_block_sort_config_selectorIlNS0_10empty_typeEEEZNS1_21merge_sort_block_sortIS3_PlS8_PS5_S9_ZN2at6native12_GLOBAL__N_124unique_dim_cuda_templateIbEESt5tupleIJNSA_6TensorESF_SF_EERKSF_lbbbEUlllE_EE10hipError_tT0_T1_T2_T3_mRjT4_P12ihipStream_tbNS1_7vsmem_tEEUlT_E_NS1_11comp_targetILNS1_3genE8ELNS1_11target_archE1030ELNS1_3gpuE2ELNS1_3repE0EEENS1_30default_config_static_selectorELNS0_4arch9wavefront6targetE0EEEvSM_.private_seg_size, 0
	.set _ZN7rocprim17ROCPRIM_400000_NS6detail17trampoline_kernelINS0_14default_configENS1_37merge_sort_block_sort_config_selectorIlNS0_10empty_typeEEEZNS1_21merge_sort_block_sortIS3_PlS8_PS5_S9_ZN2at6native12_GLOBAL__N_124unique_dim_cuda_templateIbEESt5tupleIJNSA_6TensorESF_SF_EERKSF_lbbbEUlllE_EE10hipError_tT0_T1_T2_T3_mRjT4_P12ihipStream_tbNS1_7vsmem_tEEUlT_E_NS1_11comp_targetILNS1_3genE8ELNS1_11target_archE1030ELNS1_3gpuE2ELNS1_3repE0EEENS1_30default_config_static_selectorELNS0_4arch9wavefront6targetE0EEEvSM_.uses_vcc, 0
	.set _ZN7rocprim17ROCPRIM_400000_NS6detail17trampoline_kernelINS0_14default_configENS1_37merge_sort_block_sort_config_selectorIlNS0_10empty_typeEEEZNS1_21merge_sort_block_sortIS3_PlS8_PS5_S9_ZN2at6native12_GLOBAL__N_124unique_dim_cuda_templateIbEESt5tupleIJNSA_6TensorESF_SF_EERKSF_lbbbEUlllE_EE10hipError_tT0_T1_T2_T3_mRjT4_P12ihipStream_tbNS1_7vsmem_tEEUlT_E_NS1_11comp_targetILNS1_3genE8ELNS1_11target_archE1030ELNS1_3gpuE2ELNS1_3repE0EEENS1_30default_config_static_selectorELNS0_4arch9wavefront6targetE0EEEvSM_.uses_flat_scratch, 0
	.set _ZN7rocprim17ROCPRIM_400000_NS6detail17trampoline_kernelINS0_14default_configENS1_37merge_sort_block_sort_config_selectorIlNS0_10empty_typeEEEZNS1_21merge_sort_block_sortIS3_PlS8_PS5_S9_ZN2at6native12_GLOBAL__N_124unique_dim_cuda_templateIbEESt5tupleIJNSA_6TensorESF_SF_EERKSF_lbbbEUlllE_EE10hipError_tT0_T1_T2_T3_mRjT4_P12ihipStream_tbNS1_7vsmem_tEEUlT_E_NS1_11comp_targetILNS1_3genE8ELNS1_11target_archE1030ELNS1_3gpuE2ELNS1_3repE0EEENS1_30default_config_static_selectorELNS0_4arch9wavefront6targetE0EEEvSM_.has_dyn_sized_stack, 0
	.set _ZN7rocprim17ROCPRIM_400000_NS6detail17trampoline_kernelINS0_14default_configENS1_37merge_sort_block_sort_config_selectorIlNS0_10empty_typeEEEZNS1_21merge_sort_block_sortIS3_PlS8_PS5_S9_ZN2at6native12_GLOBAL__N_124unique_dim_cuda_templateIbEESt5tupleIJNSA_6TensorESF_SF_EERKSF_lbbbEUlllE_EE10hipError_tT0_T1_T2_T3_mRjT4_P12ihipStream_tbNS1_7vsmem_tEEUlT_E_NS1_11comp_targetILNS1_3genE8ELNS1_11target_archE1030ELNS1_3gpuE2ELNS1_3repE0EEENS1_30default_config_static_selectorELNS0_4arch9wavefront6targetE0EEEvSM_.has_recursion, 0
	.set _ZN7rocprim17ROCPRIM_400000_NS6detail17trampoline_kernelINS0_14default_configENS1_37merge_sort_block_sort_config_selectorIlNS0_10empty_typeEEEZNS1_21merge_sort_block_sortIS3_PlS8_PS5_S9_ZN2at6native12_GLOBAL__N_124unique_dim_cuda_templateIbEESt5tupleIJNSA_6TensorESF_SF_EERKSF_lbbbEUlllE_EE10hipError_tT0_T1_T2_T3_mRjT4_P12ihipStream_tbNS1_7vsmem_tEEUlT_E_NS1_11comp_targetILNS1_3genE8ELNS1_11target_archE1030ELNS1_3gpuE2ELNS1_3repE0EEENS1_30default_config_static_selectorELNS0_4arch9wavefront6targetE0EEEvSM_.has_indirect_call, 0
	.section	.AMDGPU.csdata,"",@progbits
; Kernel info:
; codeLenInByte = 0
; TotalNumSgprs: 0
; NumVgprs: 0
; ScratchSize: 0
; MemoryBound: 0
; FloatMode: 240
; IeeeMode: 1
; LDSByteSize: 0 bytes/workgroup (compile time only)
; SGPRBlocks: 0
; VGPRBlocks: 0
; NumSGPRsForWavesPerEU: 1
; NumVGPRsForWavesPerEU: 1
; NamedBarCnt: 0
; Occupancy: 16
; WaveLimiterHint : 0
; COMPUTE_PGM_RSRC2:SCRATCH_EN: 0
; COMPUTE_PGM_RSRC2:USER_SGPR: 2
; COMPUTE_PGM_RSRC2:TRAP_HANDLER: 0
; COMPUTE_PGM_RSRC2:TGID_X_EN: 1
; COMPUTE_PGM_RSRC2:TGID_Y_EN: 0
; COMPUTE_PGM_RSRC2:TGID_Z_EN: 0
; COMPUTE_PGM_RSRC2:TIDIG_COMP_CNT: 0
	.section	.text._ZN7rocprim17ROCPRIM_400000_NS6detail17trampoline_kernelINS0_14default_configENS1_38merge_sort_block_merge_config_selectorIlNS0_10empty_typeEEEZZNS1_27merge_sort_block_merge_implIS3_PlPS5_mZN2at6native12_GLOBAL__N_124unique_dim_cuda_templateIbEESt5tupleIJNSA_6TensorESF_SF_EERKSF_lbbbEUlllE_EE10hipError_tT0_T1_T2_jT3_P12ihipStream_tbPNSt15iterator_traitsISL_E10value_typeEPNSR_ISM_E10value_typeEPSN_NS1_7vsmem_tEENKUlT_SL_SM_SN_E_clIS8_S8_S9_S9_EESK_S10_SL_SM_SN_EUlS10_E_NS1_11comp_targetILNS1_3genE0ELNS1_11target_archE4294967295ELNS1_3gpuE0ELNS1_3repE0EEENS1_48merge_mergepath_partition_config_static_selectorELNS0_4arch9wavefront6targetE0EEEvSM_,"axG",@progbits,_ZN7rocprim17ROCPRIM_400000_NS6detail17trampoline_kernelINS0_14default_configENS1_38merge_sort_block_merge_config_selectorIlNS0_10empty_typeEEEZZNS1_27merge_sort_block_merge_implIS3_PlPS5_mZN2at6native12_GLOBAL__N_124unique_dim_cuda_templateIbEESt5tupleIJNSA_6TensorESF_SF_EERKSF_lbbbEUlllE_EE10hipError_tT0_T1_T2_jT3_P12ihipStream_tbPNSt15iterator_traitsISL_E10value_typeEPNSR_ISM_E10value_typeEPSN_NS1_7vsmem_tEENKUlT_SL_SM_SN_E_clIS8_S8_S9_S9_EESK_S10_SL_SM_SN_EUlS10_E_NS1_11comp_targetILNS1_3genE0ELNS1_11target_archE4294967295ELNS1_3gpuE0ELNS1_3repE0EEENS1_48merge_mergepath_partition_config_static_selectorELNS0_4arch9wavefront6targetE0EEEvSM_,comdat
	.globl	_ZN7rocprim17ROCPRIM_400000_NS6detail17trampoline_kernelINS0_14default_configENS1_38merge_sort_block_merge_config_selectorIlNS0_10empty_typeEEEZZNS1_27merge_sort_block_merge_implIS3_PlPS5_mZN2at6native12_GLOBAL__N_124unique_dim_cuda_templateIbEESt5tupleIJNSA_6TensorESF_SF_EERKSF_lbbbEUlllE_EE10hipError_tT0_T1_T2_jT3_P12ihipStream_tbPNSt15iterator_traitsISL_E10value_typeEPNSR_ISM_E10value_typeEPSN_NS1_7vsmem_tEENKUlT_SL_SM_SN_E_clIS8_S8_S9_S9_EESK_S10_SL_SM_SN_EUlS10_E_NS1_11comp_targetILNS1_3genE0ELNS1_11target_archE4294967295ELNS1_3gpuE0ELNS1_3repE0EEENS1_48merge_mergepath_partition_config_static_selectorELNS0_4arch9wavefront6targetE0EEEvSM_ ; -- Begin function _ZN7rocprim17ROCPRIM_400000_NS6detail17trampoline_kernelINS0_14default_configENS1_38merge_sort_block_merge_config_selectorIlNS0_10empty_typeEEEZZNS1_27merge_sort_block_merge_implIS3_PlPS5_mZN2at6native12_GLOBAL__N_124unique_dim_cuda_templateIbEESt5tupleIJNSA_6TensorESF_SF_EERKSF_lbbbEUlllE_EE10hipError_tT0_T1_T2_jT3_P12ihipStream_tbPNSt15iterator_traitsISL_E10value_typeEPNSR_ISM_E10value_typeEPSN_NS1_7vsmem_tEENKUlT_SL_SM_SN_E_clIS8_S8_S9_S9_EESK_S10_SL_SM_SN_EUlS10_E_NS1_11comp_targetILNS1_3genE0ELNS1_11target_archE4294967295ELNS1_3gpuE0ELNS1_3repE0EEENS1_48merge_mergepath_partition_config_static_selectorELNS0_4arch9wavefront6targetE0EEEvSM_
	.p2align	8
	.type	_ZN7rocprim17ROCPRIM_400000_NS6detail17trampoline_kernelINS0_14default_configENS1_38merge_sort_block_merge_config_selectorIlNS0_10empty_typeEEEZZNS1_27merge_sort_block_merge_implIS3_PlPS5_mZN2at6native12_GLOBAL__N_124unique_dim_cuda_templateIbEESt5tupleIJNSA_6TensorESF_SF_EERKSF_lbbbEUlllE_EE10hipError_tT0_T1_T2_jT3_P12ihipStream_tbPNSt15iterator_traitsISL_E10value_typeEPNSR_ISM_E10value_typeEPSN_NS1_7vsmem_tEENKUlT_SL_SM_SN_E_clIS8_S8_S9_S9_EESK_S10_SL_SM_SN_EUlS10_E_NS1_11comp_targetILNS1_3genE0ELNS1_11target_archE4294967295ELNS1_3gpuE0ELNS1_3repE0EEENS1_48merge_mergepath_partition_config_static_selectorELNS0_4arch9wavefront6targetE0EEEvSM_,@function
_ZN7rocprim17ROCPRIM_400000_NS6detail17trampoline_kernelINS0_14default_configENS1_38merge_sort_block_merge_config_selectorIlNS0_10empty_typeEEEZZNS1_27merge_sort_block_merge_implIS3_PlPS5_mZN2at6native12_GLOBAL__N_124unique_dim_cuda_templateIbEESt5tupleIJNSA_6TensorESF_SF_EERKSF_lbbbEUlllE_EE10hipError_tT0_T1_T2_jT3_P12ihipStream_tbPNSt15iterator_traitsISL_E10value_typeEPNSR_ISM_E10value_typeEPSN_NS1_7vsmem_tEENKUlT_SL_SM_SN_E_clIS8_S8_S9_S9_EESK_S10_SL_SM_SN_EUlS10_E_NS1_11comp_targetILNS1_3genE0ELNS1_11target_archE4294967295ELNS1_3gpuE0ELNS1_3repE0EEENS1_48merge_mergepath_partition_config_static_selectorELNS0_4arch9wavefront6targetE0EEEvSM_: ; @_ZN7rocprim17ROCPRIM_400000_NS6detail17trampoline_kernelINS0_14default_configENS1_38merge_sort_block_merge_config_selectorIlNS0_10empty_typeEEEZZNS1_27merge_sort_block_merge_implIS3_PlPS5_mZN2at6native12_GLOBAL__N_124unique_dim_cuda_templateIbEESt5tupleIJNSA_6TensorESF_SF_EERKSF_lbbbEUlllE_EE10hipError_tT0_T1_T2_jT3_P12ihipStream_tbPNSt15iterator_traitsISL_E10value_typeEPNSR_ISM_E10value_typeEPSN_NS1_7vsmem_tEENKUlT_SL_SM_SN_E_clIS8_S8_S9_S9_EESK_S10_SL_SM_SN_EUlS10_E_NS1_11comp_targetILNS1_3genE0ELNS1_11target_archE4294967295ELNS1_3gpuE0ELNS1_3repE0EEENS1_48merge_mergepath_partition_config_static_selectorELNS0_4arch9wavefront6targetE0EEEvSM_
; %bb.0:
	s_load_b32 s2, s[0:1], 0x0
	s_bfe_u32 s3, ttmp6, 0x4000c
	s_and_b32 s4, ttmp6, 15
	s_add_co_i32 s3, s3, 1
	s_getreg_b32 s5, hwreg(HW_REG_IB_STS2, 6, 4)
	s_mul_i32 s3, ttmp9, s3
	s_delay_alu instid0(SALU_CYCLE_1) | instskip(SKIP_2) | instid1(SALU_CYCLE_1)
	s_add_co_i32 s4, s4, s3
	s_cmp_eq_u32 s5, 0
	s_cselect_b32 s3, ttmp9, s4
	v_lshl_or_b32 v16, s3, 7, v0
	s_wait_kmcnt 0x0
	s_delay_alu instid0(VALU_DEP_1)
	v_cmp_gt_u32_e32 vcc_lo, s2, v16
	s_and_saveexec_b32 s2, vcc_lo
	s_cbranch_execz .LBB1002_12
; %bb.1:
	s_load_b128 s[4:7], s[0:1], 0x8
	s_wait_kmcnt 0x0
	s_lshr_b64 s[2:3], s[4:5], 9
	s_delay_alu instid0(SALU_CYCLE_1) | instskip(NEXT) | instid1(SALU_CYCLE_1)
	s_and_b32 s2, s2, -2
	s_sub_co_i32 s3, 0, s2
	s_delay_alu instid0(SALU_CYCLE_1) | instskip(SKIP_1) | instid1(VALU_DEP_1)
	v_dual_mov_b32 v3, 0 :: v_dual_bitop2_b32 v2, s3, v16 bitop3:0x40
	s_add_co_i32 s2, s2, -1
	v_lshlrev_b64_e32 v[0:1], 10, v[2:3]
	v_and_b32_e32 v2, s2, v16
	s_delay_alu instid0(VALU_DEP_1) | instskip(NEXT) | instid1(VALU_DEP_3)
	v_lshlrev_b64_e32 v[2:3], 10, v[2:3]
	v_add_nc_u64_e32 v[4:5], s[4:5], v[0:1]
	v_min_u64 v[0:1], s[6:7], v[0:1]
	s_delay_alu instid0(VALU_DEP_2) | instskip(NEXT) | instid1(VALU_DEP_1)
	v_min_u64 v[6:7], s[6:7], v[4:5]
	v_add_nc_u64_e32 v[4:5], s[4:5], v[6:7]
	s_delay_alu instid0(VALU_DEP_1) | instskip(SKIP_3) | instid1(VALU_DEP_1)
	v_min_u64 v[4:5], s[6:7], v[4:5]
	s_load_b256 s[4:11], s[0:1], 0x18
	s_wait_xcnt 0x0
	s_mov_b32 s1, exec_lo
	v_sub_nc_u64_e32 v[8:9], v[4:5], v[0:1]
	s_delay_alu instid0(VALU_DEP_1) | instskip(SKIP_2) | instid1(VALU_DEP_2)
	v_min_u64 v[8:9], v[8:9], v[2:3]
	v_sub_nc_u64_e32 v[2:3], v[4:5], v[6:7]
	v_sub_nc_u64_e32 v[4:5], v[6:7], v[0:1]
	v_max_u64 v[10:11], v[8:9], v[2:3]
	s_delay_alu instid0(VALU_DEP_2) | instskip(NEXT) | instid1(VALU_DEP_2)
	v_min_u64 v[4:5], v[8:9], v[4:5]
	v_sub_nc_u64_e32 v[2:3], v[10:11], v[2:3]
	s_delay_alu instid0(VALU_DEP_1)
	v_cmpx_lt_u64_e64 v[2:3], v[4:5]
	s_cbranch_execz .LBB1002_11
; %bb.2:
	s_wait_kmcnt 0x0
	v_lshl_add_u64 v[10:11], v[6:7], 3, s[4:5]
	v_lshl_add_u64 v[6:7], v[0:1], 3, s[4:5]
	v_cmp_gt_i64_e64 s4, s[6:7], 0
	s_mov_b32 s5, 0
	v_lshl_add_u64 v[8:9], v[8:9], 3, v[10:11]
	s_branch .LBB1002_5
.LBB1002_3:                             ;   in Loop: Header=BB1002_5 Depth=1
	s_or_b32 exec_lo, exec_lo, s13
.LBB1002_4:                             ;   in Loop: Header=BB1002_5 Depth=1
	s_delay_alu instid0(VALU_DEP_1) | instskip(SKIP_1) | instid1(VALU_DEP_2)
	v_add_nc_u64_e32 v[12:13], 1, v[10:11]
	v_dual_cndmask_b32 v5, v5, v11, s12 :: v_dual_cndmask_b32 v4, v4, v10, s12
	v_dual_cndmask_b32 v3, v13, v3, s12 :: v_dual_cndmask_b32 v2, v12, v2, s12
	s_delay_alu instid0(VALU_DEP_1) | instskip(SKIP_1) | instid1(SALU_CYCLE_1)
	v_cmp_ge_u64_e32 vcc_lo, v[2:3], v[4:5]
	s_or_b32 s5, vcc_lo, s5
	s_and_not1_b32 exec_lo, exec_lo, s5
	s_cbranch_execz .LBB1002_10
.LBB1002_5:                             ; =>This Loop Header: Depth=1
                                        ;     Child Loop BB1002_8 Depth 2
	v_add_nc_u64_e32 v[10:11], v[4:5], v[2:3]
	s_and_not1_b32 vcc_lo, exec_lo, s4
	s_mov_b32 s12, 0
	s_delay_alu instid0(VALU_DEP_1)
	v_lshrrev_b64 v[10:11], 1, v[10:11]
	s_cbranch_vccnz .LBB1002_4
; %bb.6:                                ;   in Loop: Header=BB1002_5 Depth=1
	s_delay_alu instid0(VALU_DEP_1) | instskip(NEXT) | instid1(VALU_DEP_2)
	v_not_b32_e32 v13, v11
	v_not_b32_e32 v12, v10
	v_lshl_add_u64 v[14:15], v[10:11], 3, v[6:7]
	s_mov_b32 s13, 0
	s_mov_b64 s[2:3], s[6:7]
                                        ; implicit-def: $sgpr12
                                        ; implicit-def: $sgpr14
                                        ; implicit-def: $sgpr15
                                        ; implicit-def: $sgpr16
	s_delay_alu instid0(VALU_DEP_2)
	v_lshl_add_u64 v[12:13], v[12:13], 3, v[8:9]
	s_clause 0x1
	global_load_b64 v[18:19], v[12:13], off
	global_load_b64 v[20:21], v[14:15], off
	s_wait_loadcnt 0x1
	s_wait_xcnt 0x1
	v_mad_nc_u64_u32 v[12:13], v18, s6, s[8:9]
	s_wait_loadcnt 0x0
	v_mad_nc_u64_u32 v[14:15], v20, s6, s[8:9]
	s_delay_alu instid0(VALU_DEP_2) | instskip(NEXT) | instid1(VALU_DEP_2)
	v_mad_u32 v13, v19, s6, v13
	v_mad_u32 v15, v21, s6, v15
	s_delay_alu instid0(VALU_DEP_2) | instskip(NEXT) | instid1(VALU_DEP_2)
	v_mad_u32 v13, v18, s7, v13
	v_mad_u32 v15, v20, s7, v15
	s_branch .LBB1002_8
.LBB1002_7:                             ;   in Loop: Header=BB1002_8 Depth=2
	s_or_b32 exec_lo, exec_lo, s0
	s_delay_alu instid0(SALU_CYCLE_1) | instskip(NEXT) | instid1(SALU_CYCLE_1)
	s_and_b32 s0, exec_lo, s14
	s_or_b32 s13, s0, s13
	s_and_not1_b32 s0, s16, exec_lo
	s_and_b32 s16, s17, exec_lo
	s_and_not1_b32 s12, s12, exec_lo
	s_and_b32 s17, s15, exec_lo
	s_or_b32 s16, s0, s16
	s_or_b32 s12, s12, s17
	s_and_not1_b32 exec_lo, exec_lo, s13
	s_cbranch_execz .LBB1002_3
.LBB1002_8:                             ;   Parent Loop BB1002_5 Depth=1
                                        ; =>  This Inner Loop Header: Depth=2
	global_load_u8 v17, v[12:13], off
	global_load_u8 v18, v[14:15], off
	s_and_not1_b32 s15, s15, exec_lo
	s_or_b32 s14, s14, exec_lo
	s_wait_loadcnt 0x1
	v_cmp_eq_u16_e32 vcc_lo, 0, v17
	s_wait_loadcnt 0x0
	v_cmp_ne_u16_e64 s0, 0, v18
	s_or_b32 s17, vcc_lo, s0
	s_and_b32 s18, vcc_lo, s0
	s_and_b32 s17, s17, s16
	s_xor_b32 s19, vcc_lo, s0
	s_or_b32 s17, s18, s17
	s_delay_alu instid0(SALU_CYCLE_1) | instskip(NEXT) | instid1(SALU_CYCLE_1)
	s_and_b32 s18, s17, exec_lo
	s_or_b32 s15, s15, s18
	s_and_saveexec_b32 s0, s19
	s_cbranch_execz .LBB1002_7
; %bb.9:                                ;   in Loop: Header=BB1002_8 Depth=2
	s_add_nc_u64 s[2:3], s[2:3], -1
	v_add_nc_u64_e32 v[12:13], 1, v[12:13]
	s_cmp_eq_u64 s[2:3], 0
	v_add_nc_u64_e32 v[14:15], 1, v[14:15]
	s_cselect_b32 s16, -1, 0
	s_and_not1_b32 s14, s14, exec_lo
	s_and_b32 s16, s16, exec_lo
	s_and_not1_b32 s15, s15, exec_lo
	s_or_b32 s14, s14, s16
                                        ; implicit-def: $sgpr16
	s_branch .LBB1002_7
.LBB1002_10:
	s_or_b32 exec_lo, exec_lo, s5
.LBB1002_11:
	s_delay_alu instid0(SALU_CYCLE_1)
	s_or_b32 exec_lo, exec_lo, s1
	v_add_nc_u64_e32 v[0:1], v[2:3], v[0:1]
	s_wait_kmcnt 0x0
	global_store_b64 v16, v[0:1], s[10:11] scale_offset
.LBB1002_12:
	s_endpgm
	.section	.rodata,"a",@progbits
	.p2align	6, 0x0
	.amdhsa_kernel _ZN7rocprim17ROCPRIM_400000_NS6detail17trampoline_kernelINS0_14default_configENS1_38merge_sort_block_merge_config_selectorIlNS0_10empty_typeEEEZZNS1_27merge_sort_block_merge_implIS3_PlPS5_mZN2at6native12_GLOBAL__N_124unique_dim_cuda_templateIbEESt5tupleIJNSA_6TensorESF_SF_EERKSF_lbbbEUlllE_EE10hipError_tT0_T1_T2_jT3_P12ihipStream_tbPNSt15iterator_traitsISL_E10value_typeEPNSR_ISM_E10value_typeEPSN_NS1_7vsmem_tEENKUlT_SL_SM_SN_E_clIS8_S8_S9_S9_EESK_S10_SL_SM_SN_EUlS10_E_NS1_11comp_targetILNS1_3genE0ELNS1_11target_archE4294967295ELNS1_3gpuE0ELNS1_3repE0EEENS1_48merge_mergepath_partition_config_static_selectorELNS0_4arch9wavefront6targetE0EEEvSM_
		.amdhsa_group_segment_fixed_size 0
		.amdhsa_private_segment_fixed_size 0
		.amdhsa_kernarg_size 56
		.amdhsa_user_sgpr_count 2
		.amdhsa_user_sgpr_dispatch_ptr 0
		.amdhsa_user_sgpr_queue_ptr 0
		.amdhsa_user_sgpr_kernarg_segment_ptr 1
		.amdhsa_user_sgpr_dispatch_id 0
		.amdhsa_user_sgpr_kernarg_preload_length 0
		.amdhsa_user_sgpr_kernarg_preload_offset 0
		.amdhsa_user_sgpr_private_segment_size 0
		.amdhsa_wavefront_size32 1
		.amdhsa_uses_dynamic_stack 0
		.amdhsa_enable_private_segment 0
		.amdhsa_system_sgpr_workgroup_id_x 1
		.amdhsa_system_sgpr_workgroup_id_y 0
		.amdhsa_system_sgpr_workgroup_id_z 0
		.amdhsa_system_sgpr_workgroup_info 0
		.amdhsa_system_vgpr_workitem_id 0
		.amdhsa_next_free_vgpr 22
		.amdhsa_next_free_sgpr 20
		.amdhsa_named_barrier_count 0
		.amdhsa_reserve_vcc 1
		.amdhsa_float_round_mode_32 0
		.amdhsa_float_round_mode_16_64 0
		.amdhsa_float_denorm_mode_32 3
		.amdhsa_float_denorm_mode_16_64 3
		.amdhsa_fp16_overflow 0
		.amdhsa_memory_ordered 1
		.amdhsa_forward_progress 1
		.amdhsa_inst_pref_size 6
		.amdhsa_round_robin_scheduling 0
		.amdhsa_exception_fp_ieee_invalid_op 0
		.amdhsa_exception_fp_denorm_src 0
		.amdhsa_exception_fp_ieee_div_zero 0
		.amdhsa_exception_fp_ieee_overflow 0
		.amdhsa_exception_fp_ieee_underflow 0
		.amdhsa_exception_fp_ieee_inexact 0
		.amdhsa_exception_int_div_zero 0
	.end_amdhsa_kernel
	.section	.text._ZN7rocprim17ROCPRIM_400000_NS6detail17trampoline_kernelINS0_14default_configENS1_38merge_sort_block_merge_config_selectorIlNS0_10empty_typeEEEZZNS1_27merge_sort_block_merge_implIS3_PlPS5_mZN2at6native12_GLOBAL__N_124unique_dim_cuda_templateIbEESt5tupleIJNSA_6TensorESF_SF_EERKSF_lbbbEUlllE_EE10hipError_tT0_T1_T2_jT3_P12ihipStream_tbPNSt15iterator_traitsISL_E10value_typeEPNSR_ISM_E10value_typeEPSN_NS1_7vsmem_tEENKUlT_SL_SM_SN_E_clIS8_S8_S9_S9_EESK_S10_SL_SM_SN_EUlS10_E_NS1_11comp_targetILNS1_3genE0ELNS1_11target_archE4294967295ELNS1_3gpuE0ELNS1_3repE0EEENS1_48merge_mergepath_partition_config_static_selectorELNS0_4arch9wavefront6targetE0EEEvSM_,"axG",@progbits,_ZN7rocprim17ROCPRIM_400000_NS6detail17trampoline_kernelINS0_14default_configENS1_38merge_sort_block_merge_config_selectorIlNS0_10empty_typeEEEZZNS1_27merge_sort_block_merge_implIS3_PlPS5_mZN2at6native12_GLOBAL__N_124unique_dim_cuda_templateIbEESt5tupleIJNSA_6TensorESF_SF_EERKSF_lbbbEUlllE_EE10hipError_tT0_T1_T2_jT3_P12ihipStream_tbPNSt15iterator_traitsISL_E10value_typeEPNSR_ISM_E10value_typeEPSN_NS1_7vsmem_tEENKUlT_SL_SM_SN_E_clIS8_S8_S9_S9_EESK_S10_SL_SM_SN_EUlS10_E_NS1_11comp_targetILNS1_3genE0ELNS1_11target_archE4294967295ELNS1_3gpuE0ELNS1_3repE0EEENS1_48merge_mergepath_partition_config_static_selectorELNS0_4arch9wavefront6targetE0EEEvSM_,comdat
.Lfunc_end1002:
	.size	_ZN7rocprim17ROCPRIM_400000_NS6detail17trampoline_kernelINS0_14default_configENS1_38merge_sort_block_merge_config_selectorIlNS0_10empty_typeEEEZZNS1_27merge_sort_block_merge_implIS3_PlPS5_mZN2at6native12_GLOBAL__N_124unique_dim_cuda_templateIbEESt5tupleIJNSA_6TensorESF_SF_EERKSF_lbbbEUlllE_EE10hipError_tT0_T1_T2_jT3_P12ihipStream_tbPNSt15iterator_traitsISL_E10value_typeEPNSR_ISM_E10value_typeEPSN_NS1_7vsmem_tEENKUlT_SL_SM_SN_E_clIS8_S8_S9_S9_EESK_S10_SL_SM_SN_EUlS10_E_NS1_11comp_targetILNS1_3genE0ELNS1_11target_archE4294967295ELNS1_3gpuE0ELNS1_3repE0EEENS1_48merge_mergepath_partition_config_static_selectorELNS0_4arch9wavefront6targetE0EEEvSM_, .Lfunc_end1002-_ZN7rocprim17ROCPRIM_400000_NS6detail17trampoline_kernelINS0_14default_configENS1_38merge_sort_block_merge_config_selectorIlNS0_10empty_typeEEEZZNS1_27merge_sort_block_merge_implIS3_PlPS5_mZN2at6native12_GLOBAL__N_124unique_dim_cuda_templateIbEESt5tupleIJNSA_6TensorESF_SF_EERKSF_lbbbEUlllE_EE10hipError_tT0_T1_T2_jT3_P12ihipStream_tbPNSt15iterator_traitsISL_E10value_typeEPNSR_ISM_E10value_typeEPSN_NS1_7vsmem_tEENKUlT_SL_SM_SN_E_clIS8_S8_S9_S9_EESK_S10_SL_SM_SN_EUlS10_E_NS1_11comp_targetILNS1_3genE0ELNS1_11target_archE4294967295ELNS1_3gpuE0ELNS1_3repE0EEENS1_48merge_mergepath_partition_config_static_selectorELNS0_4arch9wavefront6targetE0EEEvSM_
                                        ; -- End function
	.set _ZN7rocprim17ROCPRIM_400000_NS6detail17trampoline_kernelINS0_14default_configENS1_38merge_sort_block_merge_config_selectorIlNS0_10empty_typeEEEZZNS1_27merge_sort_block_merge_implIS3_PlPS5_mZN2at6native12_GLOBAL__N_124unique_dim_cuda_templateIbEESt5tupleIJNSA_6TensorESF_SF_EERKSF_lbbbEUlllE_EE10hipError_tT0_T1_T2_jT3_P12ihipStream_tbPNSt15iterator_traitsISL_E10value_typeEPNSR_ISM_E10value_typeEPSN_NS1_7vsmem_tEENKUlT_SL_SM_SN_E_clIS8_S8_S9_S9_EESK_S10_SL_SM_SN_EUlS10_E_NS1_11comp_targetILNS1_3genE0ELNS1_11target_archE4294967295ELNS1_3gpuE0ELNS1_3repE0EEENS1_48merge_mergepath_partition_config_static_selectorELNS0_4arch9wavefront6targetE0EEEvSM_.num_vgpr, 22
	.set _ZN7rocprim17ROCPRIM_400000_NS6detail17trampoline_kernelINS0_14default_configENS1_38merge_sort_block_merge_config_selectorIlNS0_10empty_typeEEEZZNS1_27merge_sort_block_merge_implIS3_PlPS5_mZN2at6native12_GLOBAL__N_124unique_dim_cuda_templateIbEESt5tupleIJNSA_6TensorESF_SF_EERKSF_lbbbEUlllE_EE10hipError_tT0_T1_T2_jT3_P12ihipStream_tbPNSt15iterator_traitsISL_E10value_typeEPNSR_ISM_E10value_typeEPSN_NS1_7vsmem_tEENKUlT_SL_SM_SN_E_clIS8_S8_S9_S9_EESK_S10_SL_SM_SN_EUlS10_E_NS1_11comp_targetILNS1_3genE0ELNS1_11target_archE4294967295ELNS1_3gpuE0ELNS1_3repE0EEENS1_48merge_mergepath_partition_config_static_selectorELNS0_4arch9wavefront6targetE0EEEvSM_.num_agpr, 0
	.set _ZN7rocprim17ROCPRIM_400000_NS6detail17trampoline_kernelINS0_14default_configENS1_38merge_sort_block_merge_config_selectorIlNS0_10empty_typeEEEZZNS1_27merge_sort_block_merge_implIS3_PlPS5_mZN2at6native12_GLOBAL__N_124unique_dim_cuda_templateIbEESt5tupleIJNSA_6TensorESF_SF_EERKSF_lbbbEUlllE_EE10hipError_tT0_T1_T2_jT3_P12ihipStream_tbPNSt15iterator_traitsISL_E10value_typeEPNSR_ISM_E10value_typeEPSN_NS1_7vsmem_tEENKUlT_SL_SM_SN_E_clIS8_S8_S9_S9_EESK_S10_SL_SM_SN_EUlS10_E_NS1_11comp_targetILNS1_3genE0ELNS1_11target_archE4294967295ELNS1_3gpuE0ELNS1_3repE0EEENS1_48merge_mergepath_partition_config_static_selectorELNS0_4arch9wavefront6targetE0EEEvSM_.numbered_sgpr, 20
	.set _ZN7rocprim17ROCPRIM_400000_NS6detail17trampoline_kernelINS0_14default_configENS1_38merge_sort_block_merge_config_selectorIlNS0_10empty_typeEEEZZNS1_27merge_sort_block_merge_implIS3_PlPS5_mZN2at6native12_GLOBAL__N_124unique_dim_cuda_templateIbEESt5tupleIJNSA_6TensorESF_SF_EERKSF_lbbbEUlllE_EE10hipError_tT0_T1_T2_jT3_P12ihipStream_tbPNSt15iterator_traitsISL_E10value_typeEPNSR_ISM_E10value_typeEPSN_NS1_7vsmem_tEENKUlT_SL_SM_SN_E_clIS8_S8_S9_S9_EESK_S10_SL_SM_SN_EUlS10_E_NS1_11comp_targetILNS1_3genE0ELNS1_11target_archE4294967295ELNS1_3gpuE0ELNS1_3repE0EEENS1_48merge_mergepath_partition_config_static_selectorELNS0_4arch9wavefront6targetE0EEEvSM_.num_named_barrier, 0
	.set _ZN7rocprim17ROCPRIM_400000_NS6detail17trampoline_kernelINS0_14default_configENS1_38merge_sort_block_merge_config_selectorIlNS0_10empty_typeEEEZZNS1_27merge_sort_block_merge_implIS3_PlPS5_mZN2at6native12_GLOBAL__N_124unique_dim_cuda_templateIbEESt5tupleIJNSA_6TensorESF_SF_EERKSF_lbbbEUlllE_EE10hipError_tT0_T1_T2_jT3_P12ihipStream_tbPNSt15iterator_traitsISL_E10value_typeEPNSR_ISM_E10value_typeEPSN_NS1_7vsmem_tEENKUlT_SL_SM_SN_E_clIS8_S8_S9_S9_EESK_S10_SL_SM_SN_EUlS10_E_NS1_11comp_targetILNS1_3genE0ELNS1_11target_archE4294967295ELNS1_3gpuE0ELNS1_3repE0EEENS1_48merge_mergepath_partition_config_static_selectorELNS0_4arch9wavefront6targetE0EEEvSM_.private_seg_size, 0
	.set _ZN7rocprim17ROCPRIM_400000_NS6detail17trampoline_kernelINS0_14default_configENS1_38merge_sort_block_merge_config_selectorIlNS0_10empty_typeEEEZZNS1_27merge_sort_block_merge_implIS3_PlPS5_mZN2at6native12_GLOBAL__N_124unique_dim_cuda_templateIbEESt5tupleIJNSA_6TensorESF_SF_EERKSF_lbbbEUlllE_EE10hipError_tT0_T1_T2_jT3_P12ihipStream_tbPNSt15iterator_traitsISL_E10value_typeEPNSR_ISM_E10value_typeEPSN_NS1_7vsmem_tEENKUlT_SL_SM_SN_E_clIS8_S8_S9_S9_EESK_S10_SL_SM_SN_EUlS10_E_NS1_11comp_targetILNS1_3genE0ELNS1_11target_archE4294967295ELNS1_3gpuE0ELNS1_3repE0EEENS1_48merge_mergepath_partition_config_static_selectorELNS0_4arch9wavefront6targetE0EEEvSM_.uses_vcc, 1
	.set _ZN7rocprim17ROCPRIM_400000_NS6detail17trampoline_kernelINS0_14default_configENS1_38merge_sort_block_merge_config_selectorIlNS0_10empty_typeEEEZZNS1_27merge_sort_block_merge_implIS3_PlPS5_mZN2at6native12_GLOBAL__N_124unique_dim_cuda_templateIbEESt5tupleIJNSA_6TensorESF_SF_EERKSF_lbbbEUlllE_EE10hipError_tT0_T1_T2_jT3_P12ihipStream_tbPNSt15iterator_traitsISL_E10value_typeEPNSR_ISM_E10value_typeEPSN_NS1_7vsmem_tEENKUlT_SL_SM_SN_E_clIS8_S8_S9_S9_EESK_S10_SL_SM_SN_EUlS10_E_NS1_11comp_targetILNS1_3genE0ELNS1_11target_archE4294967295ELNS1_3gpuE0ELNS1_3repE0EEENS1_48merge_mergepath_partition_config_static_selectorELNS0_4arch9wavefront6targetE0EEEvSM_.uses_flat_scratch, 0
	.set _ZN7rocprim17ROCPRIM_400000_NS6detail17trampoline_kernelINS0_14default_configENS1_38merge_sort_block_merge_config_selectorIlNS0_10empty_typeEEEZZNS1_27merge_sort_block_merge_implIS3_PlPS5_mZN2at6native12_GLOBAL__N_124unique_dim_cuda_templateIbEESt5tupleIJNSA_6TensorESF_SF_EERKSF_lbbbEUlllE_EE10hipError_tT0_T1_T2_jT3_P12ihipStream_tbPNSt15iterator_traitsISL_E10value_typeEPNSR_ISM_E10value_typeEPSN_NS1_7vsmem_tEENKUlT_SL_SM_SN_E_clIS8_S8_S9_S9_EESK_S10_SL_SM_SN_EUlS10_E_NS1_11comp_targetILNS1_3genE0ELNS1_11target_archE4294967295ELNS1_3gpuE0ELNS1_3repE0EEENS1_48merge_mergepath_partition_config_static_selectorELNS0_4arch9wavefront6targetE0EEEvSM_.has_dyn_sized_stack, 0
	.set _ZN7rocprim17ROCPRIM_400000_NS6detail17trampoline_kernelINS0_14default_configENS1_38merge_sort_block_merge_config_selectorIlNS0_10empty_typeEEEZZNS1_27merge_sort_block_merge_implIS3_PlPS5_mZN2at6native12_GLOBAL__N_124unique_dim_cuda_templateIbEESt5tupleIJNSA_6TensorESF_SF_EERKSF_lbbbEUlllE_EE10hipError_tT0_T1_T2_jT3_P12ihipStream_tbPNSt15iterator_traitsISL_E10value_typeEPNSR_ISM_E10value_typeEPSN_NS1_7vsmem_tEENKUlT_SL_SM_SN_E_clIS8_S8_S9_S9_EESK_S10_SL_SM_SN_EUlS10_E_NS1_11comp_targetILNS1_3genE0ELNS1_11target_archE4294967295ELNS1_3gpuE0ELNS1_3repE0EEENS1_48merge_mergepath_partition_config_static_selectorELNS0_4arch9wavefront6targetE0EEEvSM_.has_recursion, 0
	.set _ZN7rocprim17ROCPRIM_400000_NS6detail17trampoline_kernelINS0_14default_configENS1_38merge_sort_block_merge_config_selectorIlNS0_10empty_typeEEEZZNS1_27merge_sort_block_merge_implIS3_PlPS5_mZN2at6native12_GLOBAL__N_124unique_dim_cuda_templateIbEESt5tupleIJNSA_6TensorESF_SF_EERKSF_lbbbEUlllE_EE10hipError_tT0_T1_T2_jT3_P12ihipStream_tbPNSt15iterator_traitsISL_E10value_typeEPNSR_ISM_E10value_typeEPSN_NS1_7vsmem_tEENKUlT_SL_SM_SN_E_clIS8_S8_S9_S9_EESK_S10_SL_SM_SN_EUlS10_E_NS1_11comp_targetILNS1_3genE0ELNS1_11target_archE4294967295ELNS1_3gpuE0ELNS1_3repE0EEENS1_48merge_mergepath_partition_config_static_selectorELNS0_4arch9wavefront6targetE0EEEvSM_.has_indirect_call, 0
	.section	.AMDGPU.csdata,"",@progbits
; Kernel info:
; codeLenInByte = 744
; TotalNumSgprs: 22
; NumVgprs: 22
; ScratchSize: 0
; MemoryBound: 0
; FloatMode: 240
; IeeeMode: 1
; LDSByteSize: 0 bytes/workgroup (compile time only)
; SGPRBlocks: 0
; VGPRBlocks: 1
; NumSGPRsForWavesPerEU: 22
; NumVGPRsForWavesPerEU: 22
; NamedBarCnt: 0
; Occupancy: 16
; WaveLimiterHint : 0
; COMPUTE_PGM_RSRC2:SCRATCH_EN: 0
; COMPUTE_PGM_RSRC2:USER_SGPR: 2
; COMPUTE_PGM_RSRC2:TRAP_HANDLER: 0
; COMPUTE_PGM_RSRC2:TGID_X_EN: 1
; COMPUTE_PGM_RSRC2:TGID_Y_EN: 0
; COMPUTE_PGM_RSRC2:TGID_Z_EN: 0
; COMPUTE_PGM_RSRC2:TIDIG_COMP_CNT: 0
	.section	.text._ZN7rocprim17ROCPRIM_400000_NS6detail17trampoline_kernelINS0_14default_configENS1_38merge_sort_block_merge_config_selectorIlNS0_10empty_typeEEEZZNS1_27merge_sort_block_merge_implIS3_PlPS5_mZN2at6native12_GLOBAL__N_124unique_dim_cuda_templateIbEESt5tupleIJNSA_6TensorESF_SF_EERKSF_lbbbEUlllE_EE10hipError_tT0_T1_T2_jT3_P12ihipStream_tbPNSt15iterator_traitsISL_E10value_typeEPNSR_ISM_E10value_typeEPSN_NS1_7vsmem_tEENKUlT_SL_SM_SN_E_clIS8_S8_S9_S9_EESK_S10_SL_SM_SN_EUlS10_E_NS1_11comp_targetILNS1_3genE10ELNS1_11target_archE1201ELNS1_3gpuE5ELNS1_3repE0EEENS1_48merge_mergepath_partition_config_static_selectorELNS0_4arch9wavefront6targetE0EEEvSM_,"axG",@progbits,_ZN7rocprim17ROCPRIM_400000_NS6detail17trampoline_kernelINS0_14default_configENS1_38merge_sort_block_merge_config_selectorIlNS0_10empty_typeEEEZZNS1_27merge_sort_block_merge_implIS3_PlPS5_mZN2at6native12_GLOBAL__N_124unique_dim_cuda_templateIbEESt5tupleIJNSA_6TensorESF_SF_EERKSF_lbbbEUlllE_EE10hipError_tT0_T1_T2_jT3_P12ihipStream_tbPNSt15iterator_traitsISL_E10value_typeEPNSR_ISM_E10value_typeEPSN_NS1_7vsmem_tEENKUlT_SL_SM_SN_E_clIS8_S8_S9_S9_EESK_S10_SL_SM_SN_EUlS10_E_NS1_11comp_targetILNS1_3genE10ELNS1_11target_archE1201ELNS1_3gpuE5ELNS1_3repE0EEENS1_48merge_mergepath_partition_config_static_selectorELNS0_4arch9wavefront6targetE0EEEvSM_,comdat
	.globl	_ZN7rocprim17ROCPRIM_400000_NS6detail17trampoline_kernelINS0_14default_configENS1_38merge_sort_block_merge_config_selectorIlNS0_10empty_typeEEEZZNS1_27merge_sort_block_merge_implIS3_PlPS5_mZN2at6native12_GLOBAL__N_124unique_dim_cuda_templateIbEESt5tupleIJNSA_6TensorESF_SF_EERKSF_lbbbEUlllE_EE10hipError_tT0_T1_T2_jT3_P12ihipStream_tbPNSt15iterator_traitsISL_E10value_typeEPNSR_ISM_E10value_typeEPSN_NS1_7vsmem_tEENKUlT_SL_SM_SN_E_clIS8_S8_S9_S9_EESK_S10_SL_SM_SN_EUlS10_E_NS1_11comp_targetILNS1_3genE10ELNS1_11target_archE1201ELNS1_3gpuE5ELNS1_3repE0EEENS1_48merge_mergepath_partition_config_static_selectorELNS0_4arch9wavefront6targetE0EEEvSM_ ; -- Begin function _ZN7rocprim17ROCPRIM_400000_NS6detail17trampoline_kernelINS0_14default_configENS1_38merge_sort_block_merge_config_selectorIlNS0_10empty_typeEEEZZNS1_27merge_sort_block_merge_implIS3_PlPS5_mZN2at6native12_GLOBAL__N_124unique_dim_cuda_templateIbEESt5tupleIJNSA_6TensorESF_SF_EERKSF_lbbbEUlllE_EE10hipError_tT0_T1_T2_jT3_P12ihipStream_tbPNSt15iterator_traitsISL_E10value_typeEPNSR_ISM_E10value_typeEPSN_NS1_7vsmem_tEENKUlT_SL_SM_SN_E_clIS8_S8_S9_S9_EESK_S10_SL_SM_SN_EUlS10_E_NS1_11comp_targetILNS1_3genE10ELNS1_11target_archE1201ELNS1_3gpuE5ELNS1_3repE0EEENS1_48merge_mergepath_partition_config_static_selectorELNS0_4arch9wavefront6targetE0EEEvSM_
	.p2align	8
	.type	_ZN7rocprim17ROCPRIM_400000_NS6detail17trampoline_kernelINS0_14default_configENS1_38merge_sort_block_merge_config_selectorIlNS0_10empty_typeEEEZZNS1_27merge_sort_block_merge_implIS3_PlPS5_mZN2at6native12_GLOBAL__N_124unique_dim_cuda_templateIbEESt5tupleIJNSA_6TensorESF_SF_EERKSF_lbbbEUlllE_EE10hipError_tT0_T1_T2_jT3_P12ihipStream_tbPNSt15iterator_traitsISL_E10value_typeEPNSR_ISM_E10value_typeEPSN_NS1_7vsmem_tEENKUlT_SL_SM_SN_E_clIS8_S8_S9_S9_EESK_S10_SL_SM_SN_EUlS10_E_NS1_11comp_targetILNS1_3genE10ELNS1_11target_archE1201ELNS1_3gpuE5ELNS1_3repE0EEENS1_48merge_mergepath_partition_config_static_selectorELNS0_4arch9wavefront6targetE0EEEvSM_,@function
_ZN7rocprim17ROCPRIM_400000_NS6detail17trampoline_kernelINS0_14default_configENS1_38merge_sort_block_merge_config_selectorIlNS0_10empty_typeEEEZZNS1_27merge_sort_block_merge_implIS3_PlPS5_mZN2at6native12_GLOBAL__N_124unique_dim_cuda_templateIbEESt5tupleIJNSA_6TensorESF_SF_EERKSF_lbbbEUlllE_EE10hipError_tT0_T1_T2_jT3_P12ihipStream_tbPNSt15iterator_traitsISL_E10value_typeEPNSR_ISM_E10value_typeEPSN_NS1_7vsmem_tEENKUlT_SL_SM_SN_E_clIS8_S8_S9_S9_EESK_S10_SL_SM_SN_EUlS10_E_NS1_11comp_targetILNS1_3genE10ELNS1_11target_archE1201ELNS1_3gpuE5ELNS1_3repE0EEENS1_48merge_mergepath_partition_config_static_selectorELNS0_4arch9wavefront6targetE0EEEvSM_: ; @_ZN7rocprim17ROCPRIM_400000_NS6detail17trampoline_kernelINS0_14default_configENS1_38merge_sort_block_merge_config_selectorIlNS0_10empty_typeEEEZZNS1_27merge_sort_block_merge_implIS3_PlPS5_mZN2at6native12_GLOBAL__N_124unique_dim_cuda_templateIbEESt5tupleIJNSA_6TensorESF_SF_EERKSF_lbbbEUlllE_EE10hipError_tT0_T1_T2_jT3_P12ihipStream_tbPNSt15iterator_traitsISL_E10value_typeEPNSR_ISM_E10value_typeEPSN_NS1_7vsmem_tEENKUlT_SL_SM_SN_E_clIS8_S8_S9_S9_EESK_S10_SL_SM_SN_EUlS10_E_NS1_11comp_targetILNS1_3genE10ELNS1_11target_archE1201ELNS1_3gpuE5ELNS1_3repE0EEENS1_48merge_mergepath_partition_config_static_selectorELNS0_4arch9wavefront6targetE0EEEvSM_
; %bb.0:
	.section	.rodata,"a",@progbits
	.p2align	6, 0x0
	.amdhsa_kernel _ZN7rocprim17ROCPRIM_400000_NS6detail17trampoline_kernelINS0_14default_configENS1_38merge_sort_block_merge_config_selectorIlNS0_10empty_typeEEEZZNS1_27merge_sort_block_merge_implIS3_PlPS5_mZN2at6native12_GLOBAL__N_124unique_dim_cuda_templateIbEESt5tupleIJNSA_6TensorESF_SF_EERKSF_lbbbEUlllE_EE10hipError_tT0_T1_T2_jT3_P12ihipStream_tbPNSt15iterator_traitsISL_E10value_typeEPNSR_ISM_E10value_typeEPSN_NS1_7vsmem_tEENKUlT_SL_SM_SN_E_clIS8_S8_S9_S9_EESK_S10_SL_SM_SN_EUlS10_E_NS1_11comp_targetILNS1_3genE10ELNS1_11target_archE1201ELNS1_3gpuE5ELNS1_3repE0EEENS1_48merge_mergepath_partition_config_static_selectorELNS0_4arch9wavefront6targetE0EEEvSM_
		.amdhsa_group_segment_fixed_size 0
		.amdhsa_private_segment_fixed_size 0
		.amdhsa_kernarg_size 56
		.amdhsa_user_sgpr_count 2
		.amdhsa_user_sgpr_dispatch_ptr 0
		.amdhsa_user_sgpr_queue_ptr 0
		.amdhsa_user_sgpr_kernarg_segment_ptr 1
		.amdhsa_user_sgpr_dispatch_id 0
		.amdhsa_user_sgpr_kernarg_preload_length 0
		.amdhsa_user_sgpr_kernarg_preload_offset 0
		.amdhsa_user_sgpr_private_segment_size 0
		.amdhsa_wavefront_size32 1
		.amdhsa_uses_dynamic_stack 0
		.amdhsa_enable_private_segment 0
		.amdhsa_system_sgpr_workgroup_id_x 1
		.amdhsa_system_sgpr_workgroup_id_y 0
		.amdhsa_system_sgpr_workgroup_id_z 0
		.amdhsa_system_sgpr_workgroup_info 0
		.amdhsa_system_vgpr_workitem_id 0
		.amdhsa_next_free_vgpr 1
		.amdhsa_next_free_sgpr 1
		.amdhsa_named_barrier_count 0
		.amdhsa_reserve_vcc 0
		.amdhsa_float_round_mode_32 0
		.amdhsa_float_round_mode_16_64 0
		.amdhsa_float_denorm_mode_32 3
		.amdhsa_float_denorm_mode_16_64 3
		.amdhsa_fp16_overflow 0
		.amdhsa_memory_ordered 1
		.amdhsa_forward_progress 1
		.amdhsa_inst_pref_size 0
		.amdhsa_round_robin_scheduling 0
		.amdhsa_exception_fp_ieee_invalid_op 0
		.amdhsa_exception_fp_denorm_src 0
		.amdhsa_exception_fp_ieee_div_zero 0
		.amdhsa_exception_fp_ieee_overflow 0
		.amdhsa_exception_fp_ieee_underflow 0
		.amdhsa_exception_fp_ieee_inexact 0
		.amdhsa_exception_int_div_zero 0
	.end_amdhsa_kernel
	.section	.text._ZN7rocprim17ROCPRIM_400000_NS6detail17trampoline_kernelINS0_14default_configENS1_38merge_sort_block_merge_config_selectorIlNS0_10empty_typeEEEZZNS1_27merge_sort_block_merge_implIS3_PlPS5_mZN2at6native12_GLOBAL__N_124unique_dim_cuda_templateIbEESt5tupleIJNSA_6TensorESF_SF_EERKSF_lbbbEUlllE_EE10hipError_tT0_T1_T2_jT3_P12ihipStream_tbPNSt15iterator_traitsISL_E10value_typeEPNSR_ISM_E10value_typeEPSN_NS1_7vsmem_tEENKUlT_SL_SM_SN_E_clIS8_S8_S9_S9_EESK_S10_SL_SM_SN_EUlS10_E_NS1_11comp_targetILNS1_3genE10ELNS1_11target_archE1201ELNS1_3gpuE5ELNS1_3repE0EEENS1_48merge_mergepath_partition_config_static_selectorELNS0_4arch9wavefront6targetE0EEEvSM_,"axG",@progbits,_ZN7rocprim17ROCPRIM_400000_NS6detail17trampoline_kernelINS0_14default_configENS1_38merge_sort_block_merge_config_selectorIlNS0_10empty_typeEEEZZNS1_27merge_sort_block_merge_implIS3_PlPS5_mZN2at6native12_GLOBAL__N_124unique_dim_cuda_templateIbEESt5tupleIJNSA_6TensorESF_SF_EERKSF_lbbbEUlllE_EE10hipError_tT0_T1_T2_jT3_P12ihipStream_tbPNSt15iterator_traitsISL_E10value_typeEPNSR_ISM_E10value_typeEPSN_NS1_7vsmem_tEENKUlT_SL_SM_SN_E_clIS8_S8_S9_S9_EESK_S10_SL_SM_SN_EUlS10_E_NS1_11comp_targetILNS1_3genE10ELNS1_11target_archE1201ELNS1_3gpuE5ELNS1_3repE0EEENS1_48merge_mergepath_partition_config_static_selectorELNS0_4arch9wavefront6targetE0EEEvSM_,comdat
.Lfunc_end1003:
	.size	_ZN7rocprim17ROCPRIM_400000_NS6detail17trampoline_kernelINS0_14default_configENS1_38merge_sort_block_merge_config_selectorIlNS0_10empty_typeEEEZZNS1_27merge_sort_block_merge_implIS3_PlPS5_mZN2at6native12_GLOBAL__N_124unique_dim_cuda_templateIbEESt5tupleIJNSA_6TensorESF_SF_EERKSF_lbbbEUlllE_EE10hipError_tT0_T1_T2_jT3_P12ihipStream_tbPNSt15iterator_traitsISL_E10value_typeEPNSR_ISM_E10value_typeEPSN_NS1_7vsmem_tEENKUlT_SL_SM_SN_E_clIS8_S8_S9_S9_EESK_S10_SL_SM_SN_EUlS10_E_NS1_11comp_targetILNS1_3genE10ELNS1_11target_archE1201ELNS1_3gpuE5ELNS1_3repE0EEENS1_48merge_mergepath_partition_config_static_selectorELNS0_4arch9wavefront6targetE0EEEvSM_, .Lfunc_end1003-_ZN7rocprim17ROCPRIM_400000_NS6detail17trampoline_kernelINS0_14default_configENS1_38merge_sort_block_merge_config_selectorIlNS0_10empty_typeEEEZZNS1_27merge_sort_block_merge_implIS3_PlPS5_mZN2at6native12_GLOBAL__N_124unique_dim_cuda_templateIbEESt5tupleIJNSA_6TensorESF_SF_EERKSF_lbbbEUlllE_EE10hipError_tT0_T1_T2_jT3_P12ihipStream_tbPNSt15iterator_traitsISL_E10value_typeEPNSR_ISM_E10value_typeEPSN_NS1_7vsmem_tEENKUlT_SL_SM_SN_E_clIS8_S8_S9_S9_EESK_S10_SL_SM_SN_EUlS10_E_NS1_11comp_targetILNS1_3genE10ELNS1_11target_archE1201ELNS1_3gpuE5ELNS1_3repE0EEENS1_48merge_mergepath_partition_config_static_selectorELNS0_4arch9wavefront6targetE0EEEvSM_
                                        ; -- End function
	.set _ZN7rocprim17ROCPRIM_400000_NS6detail17trampoline_kernelINS0_14default_configENS1_38merge_sort_block_merge_config_selectorIlNS0_10empty_typeEEEZZNS1_27merge_sort_block_merge_implIS3_PlPS5_mZN2at6native12_GLOBAL__N_124unique_dim_cuda_templateIbEESt5tupleIJNSA_6TensorESF_SF_EERKSF_lbbbEUlllE_EE10hipError_tT0_T1_T2_jT3_P12ihipStream_tbPNSt15iterator_traitsISL_E10value_typeEPNSR_ISM_E10value_typeEPSN_NS1_7vsmem_tEENKUlT_SL_SM_SN_E_clIS8_S8_S9_S9_EESK_S10_SL_SM_SN_EUlS10_E_NS1_11comp_targetILNS1_3genE10ELNS1_11target_archE1201ELNS1_3gpuE5ELNS1_3repE0EEENS1_48merge_mergepath_partition_config_static_selectorELNS0_4arch9wavefront6targetE0EEEvSM_.num_vgpr, 0
	.set _ZN7rocprim17ROCPRIM_400000_NS6detail17trampoline_kernelINS0_14default_configENS1_38merge_sort_block_merge_config_selectorIlNS0_10empty_typeEEEZZNS1_27merge_sort_block_merge_implIS3_PlPS5_mZN2at6native12_GLOBAL__N_124unique_dim_cuda_templateIbEESt5tupleIJNSA_6TensorESF_SF_EERKSF_lbbbEUlllE_EE10hipError_tT0_T1_T2_jT3_P12ihipStream_tbPNSt15iterator_traitsISL_E10value_typeEPNSR_ISM_E10value_typeEPSN_NS1_7vsmem_tEENKUlT_SL_SM_SN_E_clIS8_S8_S9_S9_EESK_S10_SL_SM_SN_EUlS10_E_NS1_11comp_targetILNS1_3genE10ELNS1_11target_archE1201ELNS1_3gpuE5ELNS1_3repE0EEENS1_48merge_mergepath_partition_config_static_selectorELNS0_4arch9wavefront6targetE0EEEvSM_.num_agpr, 0
	.set _ZN7rocprim17ROCPRIM_400000_NS6detail17trampoline_kernelINS0_14default_configENS1_38merge_sort_block_merge_config_selectorIlNS0_10empty_typeEEEZZNS1_27merge_sort_block_merge_implIS3_PlPS5_mZN2at6native12_GLOBAL__N_124unique_dim_cuda_templateIbEESt5tupleIJNSA_6TensorESF_SF_EERKSF_lbbbEUlllE_EE10hipError_tT0_T1_T2_jT3_P12ihipStream_tbPNSt15iterator_traitsISL_E10value_typeEPNSR_ISM_E10value_typeEPSN_NS1_7vsmem_tEENKUlT_SL_SM_SN_E_clIS8_S8_S9_S9_EESK_S10_SL_SM_SN_EUlS10_E_NS1_11comp_targetILNS1_3genE10ELNS1_11target_archE1201ELNS1_3gpuE5ELNS1_3repE0EEENS1_48merge_mergepath_partition_config_static_selectorELNS0_4arch9wavefront6targetE0EEEvSM_.numbered_sgpr, 0
	.set _ZN7rocprim17ROCPRIM_400000_NS6detail17trampoline_kernelINS0_14default_configENS1_38merge_sort_block_merge_config_selectorIlNS0_10empty_typeEEEZZNS1_27merge_sort_block_merge_implIS3_PlPS5_mZN2at6native12_GLOBAL__N_124unique_dim_cuda_templateIbEESt5tupleIJNSA_6TensorESF_SF_EERKSF_lbbbEUlllE_EE10hipError_tT0_T1_T2_jT3_P12ihipStream_tbPNSt15iterator_traitsISL_E10value_typeEPNSR_ISM_E10value_typeEPSN_NS1_7vsmem_tEENKUlT_SL_SM_SN_E_clIS8_S8_S9_S9_EESK_S10_SL_SM_SN_EUlS10_E_NS1_11comp_targetILNS1_3genE10ELNS1_11target_archE1201ELNS1_3gpuE5ELNS1_3repE0EEENS1_48merge_mergepath_partition_config_static_selectorELNS0_4arch9wavefront6targetE0EEEvSM_.num_named_barrier, 0
	.set _ZN7rocprim17ROCPRIM_400000_NS6detail17trampoline_kernelINS0_14default_configENS1_38merge_sort_block_merge_config_selectorIlNS0_10empty_typeEEEZZNS1_27merge_sort_block_merge_implIS3_PlPS5_mZN2at6native12_GLOBAL__N_124unique_dim_cuda_templateIbEESt5tupleIJNSA_6TensorESF_SF_EERKSF_lbbbEUlllE_EE10hipError_tT0_T1_T2_jT3_P12ihipStream_tbPNSt15iterator_traitsISL_E10value_typeEPNSR_ISM_E10value_typeEPSN_NS1_7vsmem_tEENKUlT_SL_SM_SN_E_clIS8_S8_S9_S9_EESK_S10_SL_SM_SN_EUlS10_E_NS1_11comp_targetILNS1_3genE10ELNS1_11target_archE1201ELNS1_3gpuE5ELNS1_3repE0EEENS1_48merge_mergepath_partition_config_static_selectorELNS0_4arch9wavefront6targetE0EEEvSM_.private_seg_size, 0
	.set _ZN7rocprim17ROCPRIM_400000_NS6detail17trampoline_kernelINS0_14default_configENS1_38merge_sort_block_merge_config_selectorIlNS0_10empty_typeEEEZZNS1_27merge_sort_block_merge_implIS3_PlPS5_mZN2at6native12_GLOBAL__N_124unique_dim_cuda_templateIbEESt5tupleIJNSA_6TensorESF_SF_EERKSF_lbbbEUlllE_EE10hipError_tT0_T1_T2_jT3_P12ihipStream_tbPNSt15iterator_traitsISL_E10value_typeEPNSR_ISM_E10value_typeEPSN_NS1_7vsmem_tEENKUlT_SL_SM_SN_E_clIS8_S8_S9_S9_EESK_S10_SL_SM_SN_EUlS10_E_NS1_11comp_targetILNS1_3genE10ELNS1_11target_archE1201ELNS1_3gpuE5ELNS1_3repE0EEENS1_48merge_mergepath_partition_config_static_selectorELNS0_4arch9wavefront6targetE0EEEvSM_.uses_vcc, 0
	.set _ZN7rocprim17ROCPRIM_400000_NS6detail17trampoline_kernelINS0_14default_configENS1_38merge_sort_block_merge_config_selectorIlNS0_10empty_typeEEEZZNS1_27merge_sort_block_merge_implIS3_PlPS5_mZN2at6native12_GLOBAL__N_124unique_dim_cuda_templateIbEESt5tupleIJNSA_6TensorESF_SF_EERKSF_lbbbEUlllE_EE10hipError_tT0_T1_T2_jT3_P12ihipStream_tbPNSt15iterator_traitsISL_E10value_typeEPNSR_ISM_E10value_typeEPSN_NS1_7vsmem_tEENKUlT_SL_SM_SN_E_clIS8_S8_S9_S9_EESK_S10_SL_SM_SN_EUlS10_E_NS1_11comp_targetILNS1_3genE10ELNS1_11target_archE1201ELNS1_3gpuE5ELNS1_3repE0EEENS1_48merge_mergepath_partition_config_static_selectorELNS0_4arch9wavefront6targetE0EEEvSM_.uses_flat_scratch, 0
	.set _ZN7rocprim17ROCPRIM_400000_NS6detail17trampoline_kernelINS0_14default_configENS1_38merge_sort_block_merge_config_selectorIlNS0_10empty_typeEEEZZNS1_27merge_sort_block_merge_implIS3_PlPS5_mZN2at6native12_GLOBAL__N_124unique_dim_cuda_templateIbEESt5tupleIJNSA_6TensorESF_SF_EERKSF_lbbbEUlllE_EE10hipError_tT0_T1_T2_jT3_P12ihipStream_tbPNSt15iterator_traitsISL_E10value_typeEPNSR_ISM_E10value_typeEPSN_NS1_7vsmem_tEENKUlT_SL_SM_SN_E_clIS8_S8_S9_S9_EESK_S10_SL_SM_SN_EUlS10_E_NS1_11comp_targetILNS1_3genE10ELNS1_11target_archE1201ELNS1_3gpuE5ELNS1_3repE0EEENS1_48merge_mergepath_partition_config_static_selectorELNS0_4arch9wavefront6targetE0EEEvSM_.has_dyn_sized_stack, 0
	.set _ZN7rocprim17ROCPRIM_400000_NS6detail17trampoline_kernelINS0_14default_configENS1_38merge_sort_block_merge_config_selectorIlNS0_10empty_typeEEEZZNS1_27merge_sort_block_merge_implIS3_PlPS5_mZN2at6native12_GLOBAL__N_124unique_dim_cuda_templateIbEESt5tupleIJNSA_6TensorESF_SF_EERKSF_lbbbEUlllE_EE10hipError_tT0_T1_T2_jT3_P12ihipStream_tbPNSt15iterator_traitsISL_E10value_typeEPNSR_ISM_E10value_typeEPSN_NS1_7vsmem_tEENKUlT_SL_SM_SN_E_clIS8_S8_S9_S9_EESK_S10_SL_SM_SN_EUlS10_E_NS1_11comp_targetILNS1_3genE10ELNS1_11target_archE1201ELNS1_3gpuE5ELNS1_3repE0EEENS1_48merge_mergepath_partition_config_static_selectorELNS0_4arch9wavefront6targetE0EEEvSM_.has_recursion, 0
	.set _ZN7rocprim17ROCPRIM_400000_NS6detail17trampoline_kernelINS0_14default_configENS1_38merge_sort_block_merge_config_selectorIlNS0_10empty_typeEEEZZNS1_27merge_sort_block_merge_implIS3_PlPS5_mZN2at6native12_GLOBAL__N_124unique_dim_cuda_templateIbEESt5tupleIJNSA_6TensorESF_SF_EERKSF_lbbbEUlllE_EE10hipError_tT0_T1_T2_jT3_P12ihipStream_tbPNSt15iterator_traitsISL_E10value_typeEPNSR_ISM_E10value_typeEPSN_NS1_7vsmem_tEENKUlT_SL_SM_SN_E_clIS8_S8_S9_S9_EESK_S10_SL_SM_SN_EUlS10_E_NS1_11comp_targetILNS1_3genE10ELNS1_11target_archE1201ELNS1_3gpuE5ELNS1_3repE0EEENS1_48merge_mergepath_partition_config_static_selectorELNS0_4arch9wavefront6targetE0EEEvSM_.has_indirect_call, 0
	.section	.AMDGPU.csdata,"",@progbits
; Kernel info:
; codeLenInByte = 0
; TotalNumSgprs: 0
; NumVgprs: 0
; ScratchSize: 0
; MemoryBound: 0
; FloatMode: 240
; IeeeMode: 1
; LDSByteSize: 0 bytes/workgroup (compile time only)
; SGPRBlocks: 0
; VGPRBlocks: 0
; NumSGPRsForWavesPerEU: 1
; NumVGPRsForWavesPerEU: 1
; NamedBarCnt: 0
; Occupancy: 16
; WaveLimiterHint : 0
; COMPUTE_PGM_RSRC2:SCRATCH_EN: 0
; COMPUTE_PGM_RSRC2:USER_SGPR: 2
; COMPUTE_PGM_RSRC2:TRAP_HANDLER: 0
; COMPUTE_PGM_RSRC2:TGID_X_EN: 1
; COMPUTE_PGM_RSRC2:TGID_Y_EN: 0
; COMPUTE_PGM_RSRC2:TGID_Z_EN: 0
; COMPUTE_PGM_RSRC2:TIDIG_COMP_CNT: 0
	.section	.text._ZN7rocprim17ROCPRIM_400000_NS6detail17trampoline_kernelINS0_14default_configENS1_38merge_sort_block_merge_config_selectorIlNS0_10empty_typeEEEZZNS1_27merge_sort_block_merge_implIS3_PlPS5_mZN2at6native12_GLOBAL__N_124unique_dim_cuda_templateIbEESt5tupleIJNSA_6TensorESF_SF_EERKSF_lbbbEUlllE_EE10hipError_tT0_T1_T2_jT3_P12ihipStream_tbPNSt15iterator_traitsISL_E10value_typeEPNSR_ISM_E10value_typeEPSN_NS1_7vsmem_tEENKUlT_SL_SM_SN_E_clIS8_S8_S9_S9_EESK_S10_SL_SM_SN_EUlS10_E_NS1_11comp_targetILNS1_3genE5ELNS1_11target_archE942ELNS1_3gpuE9ELNS1_3repE0EEENS1_48merge_mergepath_partition_config_static_selectorELNS0_4arch9wavefront6targetE0EEEvSM_,"axG",@progbits,_ZN7rocprim17ROCPRIM_400000_NS6detail17trampoline_kernelINS0_14default_configENS1_38merge_sort_block_merge_config_selectorIlNS0_10empty_typeEEEZZNS1_27merge_sort_block_merge_implIS3_PlPS5_mZN2at6native12_GLOBAL__N_124unique_dim_cuda_templateIbEESt5tupleIJNSA_6TensorESF_SF_EERKSF_lbbbEUlllE_EE10hipError_tT0_T1_T2_jT3_P12ihipStream_tbPNSt15iterator_traitsISL_E10value_typeEPNSR_ISM_E10value_typeEPSN_NS1_7vsmem_tEENKUlT_SL_SM_SN_E_clIS8_S8_S9_S9_EESK_S10_SL_SM_SN_EUlS10_E_NS1_11comp_targetILNS1_3genE5ELNS1_11target_archE942ELNS1_3gpuE9ELNS1_3repE0EEENS1_48merge_mergepath_partition_config_static_selectorELNS0_4arch9wavefront6targetE0EEEvSM_,comdat
	.globl	_ZN7rocprim17ROCPRIM_400000_NS6detail17trampoline_kernelINS0_14default_configENS1_38merge_sort_block_merge_config_selectorIlNS0_10empty_typeEEEZZNS1_27merge_sort_block_merge_implIS3_PlPS5_mZN2at6native12_GLOBAL__N_124unique_dim_cuda_templateIbEESt5tupleIJNSA_6TensorESF_SF_EERKSF_lbbbEUlllE_EE10hipError_tT0_T1_T2_jT3_P12ihipStream_tbPNSt15iterator_traitsISL_E10value_typeEPNSR_ISM_E10value_typeEPSN_NS1_7vsmem_tEENKUlT_SL_SM_SN_E_clIS8_S8_S9_S9_EESK_S10_SL_SM_SN_EUlS10_E_NS1_11comp_targetILNS1_3genE5ELNS1_11target_archE942ELNS1_3gpuE9ELNS1_3repE0EEENS1_48merge_mergepath_partition_config_static_selectorELNS0_4arch9wavefront6targetE0EEEvSM_ ; -- Begin function _ZN7rocprim17ROCPRIM_400000_NS6detail17trampoline_kernelINS0_14default_configENS1_38merge_sort_block_merge_config_selectorIlNS0_10empty_typeEEEZZNS1_27merge_sort_block_merge_implIS3_PlPS5_mZN2at6native12_GLOBAL__N_124unique_dim_cuda_templateIbEESt5tupleIJNSA_6TensorESF_SF_EERKSF_lbbbEUlllE_EE10hipError_tT0_T1_T2_jT3_P12ihipStream_tbPNSt15iterator_traitsISL_E10value_typeEPNSR_ISM_E10value_typeEPSN_NS1_7vsmem_tEENKUlT_SL_SM_SN_E_clIS8_S8_S9_S9_EESK_S10_SL_SM_SN_EUlS10_E_NS1_11comp_targetILNS1_3genE5ELNS1_11target_archE942ELNS1_3gpuE9ELNS1_3repE0EEENS1_48merge_mergepath_partition_config_static_selectorELNS0_4arch9wavefront6targetE0EEEvSM_
	.p2align	8
	.type	_ZN7rocprim17ROCPRIM_400000_NS6detail17trampoline_kernelINS0_14default_configENS1_38merge_sort_block_merge_config_selectorIlNS0_10empty_typeEEEZZNS1_27merge_sort_block_merge_implIS3_PlPS5_mZN2at6native12_GLOBAL__N_124unique_dim_cuda_templateIbEESt5tupleIJNSA_6TensorESF_SF_EERKSF_lbbbEUlllE_EE10hipError_tT0_T1_T2_jT3_P12ihipStream_tbPNSt15iterator_traitsISL_E10value_typeEPNSR_ISM_E10value_typeEPSN_NS1_7vsmem_tEENKUlT_SL_SM_SN_E_clIS8_S8_S9_S9_EESK_S10_SL_SM_SN_EUlS10_E_NS1_11comp_targetILNS1_3genE5ELNS1_11target_archE942ELNS1_3gpuE9ELNS1_3repE0EEENS1_48merge_mergepath_partition_config_static_selectorELNS0_4arch9wavefront6targetE0EEEvSM_,@function
_ZN7rocprim17ROCPRIM_400000_NS6detail17trampoline_kernelINS0_14default_configENS1_38merge_sort_block_merge_config_selectorIlNS0_10empty_typeEEEZZNS1_27merge_sort_block_merge_implIS3_PlPS5_mZN2at6native12_GLOBAL__N_124unique_dim_cuda_templateIbEESt5tupleIJNSA_6TensorESF_SF_EERKSF_lbbbEUlllE_EE10hipError_tT0_T1_T2_jT3_P12ihipStream_tbPNSt15iterator_traitsISL_E10value_typeEPNSR_ISM_E10value_typeEPSN_NS1_7vsmem_tEENKUlT_SL_SM_SN_E_clIS8_S8_S9_S9_EESK_S10_SL_SM_SN_EUlS10_E_NS1_11comp_targetILNS1_3genE5ELNS1_11target_archE942ELNS1_3gpuE9ELNS1_3repE0EEENS1_48merge_mergepath_partition_config_static_selectorELNS0_4arch9wavefront6targetE0EEEvSM_: ; @_ZN7rocprim17ROCPRIM_400000_NS6detail17trampoline_kernelINS0_14default_configENS1_38merge_sort_block_merge_config_selectorIlNS0_10empty_typeEEEZZNS1_27merge_sort_block_merge_implIS3_PlPS5_mZN2at6native12_GLOBAL__N_124unique_dim_cuda_templateIbEESt5tupleIJNSA_6TensorESF_SF_EERKSF_lbbbEUlllE_EE10hipError_tT0_T1_T2_jT3_P12ihipStream_tbPNSt15iterator_traitsISL_E10value_typeEPNSR_ISM_E10value_typeEPSN_NS1_7vsmem_tEENKUlT_SL_SM_SN_E_clIS8_S8_S9_S9_EESK_S10_SL_SM_SN_EUlS10_E_NS1_11comp_targetILNS1_3genE5ELNS1_11target_archE942ELNS1_3gpuE9ELNS1_3repE0EEENS1_48merge_mergepath_partition_config_static_selectorELNS0_4arch9wavefront6targetE0EEEvSM_
; %bb.0:
	.section	.rodata,"a",@progbits
	.p2align	6, 0x0
	.amdhsa_kernel _ZN7rocprim17ROCPRIM_400000_NS6detail17trampoline_kernelINS0_14default_configENS1_38merge_sort_block_merge_config_selectorIlNS0_10empty_typeEEEZZNS1_27merge_sort_block_merge_implIS3_PlPS5_mZN2at6native12_GLOBAL__N_124unique_dim_cuda_templateIbEESt5tupleIJNSA_6TensorESF_SF_EERKSF_lbbbEUlllE_EE10hipError_tT0_T1_T2_jT3_P12ihipStream_tbPNSt15iterator_traitsISL_E10value_typeEPNSR_ISM_E10value_typeEPSN_NS1_7vsmem_tEENKUlT_SL_SM_SN_E_clIS8_S8_S9_S9_EESK_S10_SL_SM_SN_EUlS10_E_NS1_11comp_targetILNS1_3genE5ELNS1_11target_archE942ELNS1_3gpuE9ELNS1_3repE0EEENS1_48merge_mergepath_partition_config_static_selectorELNS0_4arch9wavefront6targetE0EEEvSM_
		.amdhsa_group_segment_fixed_size 0
		.amdhsa_private_segment_fixed_size 0
		.amdhsa_kernarg_size 56
		.amdhsa_user_sgpr_count 2
		.amdhsa_user_sgpr_dispatch_ptr 0
		.amdhsa_user_sgpr_queue_ptr 0
		.amdhsa_user_sgpr_kernarg_segment_ptr 1
		.amdhsa_user_sgpr_dispatch_id 0
		.amdhsa_user_sgpr_kernarg_preload_length 0
		.amdhsa_user_sgpr_kernarg_preload_offset 0
		.amdhsa_user_sgpr_private_segment_size 0
		.amdhsa_wavefront_size32 1
		.amdhsa_uses_dynamic_stack 0
		.amdhsa_enable_private_segment 0
		.amdhsa_system_sgpr_workgroup_id_x 1
		.amdhsa_system_sgpr_workgroup_id_y 0
		.amdhsa_system_sgpr_workgroup_id_z 0
		.amdhsa_system_sgpr_workgroup_info 0
		.amdhsa_system_vgpr_workitem_id 0
		.amdhsa_next_free_vgpr 1
		.amdhsa_next_free_sgpr 1
		.amdhsa_named_barrier_count 0
		.amdhsa_reserve_vcc 0
		.amdhsa_float_round_mode_32 0
		.amdhsa_float_round_mode_16_64 0
		.amdhsa_float_denorm_mode_32 3
		.amdhsa_float_denorm_mode_16_64 3
		.amdhsa_fp16_overflow 0
		.amdhsa_memory_ordered 1
		.amdhsa_forward_progress 1
		.amdhsa_inst_pref_size 0
		.amdhsa_round_robin_scheduling 0
		.amdhsa_exception_fp_ieee_invalid_op 0
		.amdhsa_exception_fp_denorm_src 0
		.amdhsa_exception_fp_ieee_div_zero 0
		.amdhsa_exception_fp_ieee_overflow 0
		.amdhsa_exception_fp_ieee_underflow 0
		.amdhsa_exception_fp_ieee_inexact 0
		.amdhsa_exception_int_div_zero 0
	.end_amdhsa_kernel
	.section	.text._ZN7rocprim17ROCPRIM_400000_NS6detail17trampoline_kernelINS0_14default_configENS1_38merge_sort_block_merge_config_selectorIlNS0_10empty_typeEEEZZNS1_27merge_sort_block_merge_implIS3_PlPS5_mZN2at6native12_GLOBAL__N_124unique_dim_cuda_templateIbEESt5tupleIJNSA_6TensorESF_SF_EERKSF_lbbbEUlllE_EE10hipError_tT0_T1_T2_jT3_P12ihipStream_tbPNSt15iterator_traitsISL_E10value_typeEPNSR_ISM_E10value_typeEPSN_NS1_7vsmem_tEENKUlT_SL_SM_SN_E_clIS8_S8_S9_S9_EESK_S10_SL_SM_SN_EUlS10_E_NS1_11comp_targetILNS1_3genE5ELNS1_11target_archE942ELNS1_3gpuE9ELNS1_3repE0EEENS1_48merge_mergepath_partition_config_static_selectorELNS0_4arch9wavefront6targetE0EEEvSM_,"axG",@progbits,_ZN7rocprim17ROCPRIM_400000_NS6detail17trampoline_kernelINS0_14default_configENS1_38merge_sort_block_merge_config_selectorIlNS0_10empty_typeEEEZZNS1_27merge_sort_block_merge_implIS3_PlPS5_mZN2at6native12_GLOBAL__N_124unique_dim_cuda_templateIbEESt5tupleIJNSA_6TensorESF_SF_EERKSF_lbbbEUlllE_EE10hipError_tT0_T1_T2_jT3_P12ihipStream_tbPNSt15iterator_traitsISL_E10value_typeEPNSR_ISM_E10value_typeEPSN_NS1_7vsmem_tEENKUlT_SL_SM_SN_E_clIS8_S8_S9_S9_EESK_S10_SL_SM_SN_EUlS10_E_NS1_11comp_targetILNS1_3genE5ELNS1_11target_archE942ELNS1_3gpuE9ELNS1_3repE0EEENS1_48merge_mergepath_partition_config_static_selectorELNS0_4arch9wavefront6targetE0EEEvSM_,comdat
.Lfunc_end1004:
	.size	_ZN7rocprim17ROCPRIM_400000_NS6detail17trampoline_kernelINS0_14default_configENS1_38merge_sort_block_merge_config_selectorIlNS0_10empty_typeEEEZZNS1_27merge_sort_block_merge_implIS3_PlPS5_mZN2at6native12_GLOBAL__N_124unique_dim_cuda_templateIbEESt5tupleIJNSA_6TensorESF_SF_EERKSF_lbbbEUlllE_EE10hipError_tT0_T1_T2_jT3_P12ihipStream_tbPNSt15iterator_traitsISL_E10value_typeEPNSR_ISM_E10value_typeEPSN_NS1_7vsmem_tEENKUlT_SL_SM_SN_E_clIS8_S8_S9_S9_EESK_S10_SL_SM_SN_EUlS10_E_NS1_11comp_targetILNS1_3genE5ELNS1_11target_archE942ELNS1_3gpuE9ELNS1_3repE0EEENS1_48merge_mergepath_partition_config_static_selectorELNS0_4arch9wavefront6targetE0EEEvSM_, .Lfunc_end1004-_ZN7rocprim17ROCPRIM_400000_NS6detail17trampoline_kernelINS0_14default_configENS1_38merge_sort_block_merge_config_selectorIlNS0_10empty_typeEEEZZNS1_27merge_sort_block_merge_implIS3_PlPS5_mZN2at6native12_GLOBAL__N_124unique_dim_cuda_templateIbEESt5tupleIJNSA_6TensorESF_SF_EERKSF_lbbbEUlllE_EE10hipError_tT0_T1_T2_jT3_P12ihipStream_tbPNSt15iterator_traitsISL_E10value_typeEPNSR_ISM_E10value_typeEPSN_NS1_7vsmem_tEENKUlT_SL_SM_SN_E_clIS8_S8_S9_S9_EESK_S10_SL_SM_SN_EUlS10_E_NS1_11comp_targetILNS1_3genE5ELNS1_11target_archE942ELNS1_3gpuE9ELNS1_3repE0EEENS1_48merge_mergepath_partition_config_static_selectorELNS0_4arch9wavefront6targetE0EEEvSM_
                                        ; -- End function
	.set _ZN7rocprim17ROCPRIM_400000_NS6detail17trampoline_kernelINS0_14default_configENS1_38merge_sort_block_merge_config_selectorIlNS0_10empty_typeEEEZZNS1_27merge_sort_block_merge_implIS3_PlPS5_mZN2at6native12_GLOBAL__N_124unique_dim_cuda_templateIbEESt5tupleIJNSA_6TensorESF_SF_EERKSF_lbbbEUlllE_EE10hipError_tT0_T1_T2_jT3_P12ihipStream_tbPNSt15iterator_traitsISL_E10value_typeEPNSR_ISM_E10value_typeEPSN_NS1_7vsmem_tEENKUlT_SL_SM_SN_E_clIS8_S8_S9_S9_EESK_S10_SL_SM_SN_EUlS10_E_NS1_11comp_targetILNS1_3genE5ELNS1_11target_archE942ELNS1_3gpuE9ELNS1_3repE0EEENS1_48merge_mergepath_partition_config_static_selectorELNS0_4arch9wavefront6targetE0EEEvSM_.num_vgpr, 0
	.set _ZN7rocprim17ROCPRIM_400000_NS6detail17trampoline_kernelINS0_14default_configENS1_38merge_sort_block_merge_config_selectorIlNS0_10empty_typeEEEZZNS1_27merge_sort_block_merge_implIS3_PlPS5_mZN2at6native12_GLOBAL__N_124unique_dim_cuda_templateIbEESt5tupleIJNSA_6TensorESF_SF_EERKSF_lbbbEUlllE_EE10hipError_tT0_T1_T2_jT3_P12ihipStream_tbPNSt15iterator_traitsISL_E10value_typeEPNSR_ISM_E10value_typeEPSN_NS1_7vsmem_tEENKUlT_SL_SM_SN_E_clIS8_S8_S9_S9_EESK_S10_SL_SM_SN_EUlS10_E_NS1_11comp_targetILNS1_3genE5ELNS1_11target_archE942ELNS1_3gpuE9ELNS1_3repE0EEENS1_48merge_mergepath_partition_config_static_selectorELNS0_4arch9wavefront6targetE0EEEvSM_.num_agpr, 0
	.set _ZN7rocprim17ROCPRIM_400000_NS6detail17trampoline_kernelINS0_14default_configENS1_38merge_sort_block_merge_config_selectorIlNS0_10empty_typeEEEZZNS1_27merge_sort_block_merge_implIS3_PlPS5_mZN2at6native12_GLOBAL__N_124unique_dim_cuda_templateIbEESt5tupleIJNSA_6TensorESF_SF_EERKSF_lbbbEUlllE_EE10hipError_tT0_T1_T2_jT3_P12ihipStream_tbPNSt15iterator_traitsISL_E10value_typeEPNSR_ISM_E10value_typeEPSN_NS1_7vsmem_tEENKUlT_SL_SM_SN_E_clIS8_S8_S9_S9_EESK_S10_SL_SM_SN_EUlS10_E_NS1_11comp_targetILNS1_3genE5ELNS1_11target_archE942ELNS1_3gpuE9ELNS1_3repE0EEENS1_48merge_mergepath_partition_config_static_selectorELNS0_4arch9wavefront6targetE0EEEvSM_.numbered_sgpr, 0
	.set _ZN7rocprim17ROCPRIM_400000_NS6detail17trampoline_kernelINS0_14default_configENS1_38merge_sort_block_merge_config_selectorIlNS0_10empty_typeEEEZZNS1_27merge_sort_block_merge_implIS3_PlPS5_mZN2at6native12_GLOBAL__N_124unique_dim_cuda_templateIbEESt5tupleIJNSA_6TensorESF_SF_EERKSF_lbbbEUlllE_EE10hipError_tT0_T1_T2_jT3_P12ihipStream_tbPNSt15iterator_traitsISL_E10value_typeEPNSR_ISM_E10value_typeEPSN_NS1_7vsmem_tEENKUlT_SL_SM_SN_E_clIS8_S8_S9_S9_EESK_S10_SL_SM_SN_EUlS10_E_NS1_11comp_targetILNS1_3genE5ELNS1_11target_archE942ELNS1_3gpuE9ELNS1_3repE0EEENS1_48merge_mergepath_partition_config_static_selectorELNS0_4arch9wavefront6targetE0EEEvSM_.num_named_barrier, 0
	.set _ZN7rocprim17ROCPRIM_400000_NS6detail17trampoline_kernelINS0_14default_configENS1_38merge_sort_block_merge_config_selectorIlNS0_10empty_typeEEEZZNS1_27merge_sort_block_merge_implIS3_PlPS5_mZN2at6native12_GLOBAL__N_124unique_dim_cuda_templateIbEESt5tupleIJNSA_6TensorESF_SF_EERKSF_lbbbEUlllE_EE10hipError_tT0_T1_T2_jT3_P12ihipStream_tbPNSt15iterator_traitsISL_E10value_typeEPNSR_ISM_E10value_typeEPSN_NS1_7vsmem_tEENKUlT_SL_SM_SN_E_clIS8_S8_S9_S9_EESK_S10_SL_SM_SN_EUlS10_E_NS1_11comp_targetILNS1_3genE5ELNS1_11target_archE942ELNS1_3gpuE9ELNS1_3repE0EEENS1_48merge_mergepath_partition_config_static_selectorELNS0_4arch9wavefront6targetE0EEEvSM_.private_seg_size, 0
	.set _ZN7rocprim17ROCPRIM_400000_NS6detail17trampoline_kernelINS0_14default_configENS1_38merge_sort_block_merge_config_selectorIlNS0_10empty_typeEEEZZNS1_27merge_sort_block_merge_implIS3_PlPS5_mZN2at6native12_GLOBAL__N_124unique_dim_cuda_templateIbEESt5tupleIJNSA_6TensorESF_SF_EERKSF_lbbbEUlllE_EE10hipError_tT0_T1_T2_jT3_P12ihipStream_tbPNSt15iterator_traitsISL_E10value_typeEPNSR_ISM_E10value_typeEPSN_NS1_7vsmem_tEENKUlT_SL_SM_SN_E_clIS8_S8_S9_S9_EESK_S10_SL_SM_SN_EUlS10_E_NS1_11comp_targetILNS1_3genE5ELNS1_11target_archE942ELNS1_3gpuE9ELNS1_3repE0EEENS1_48merge_mergepath_partition_config_static_selectorELNS0_4arch9wavefront6targetE0EEEvSM_.uses_vcc, 0
	.set _ZN7rocprim17ROCPRIM_400000_NS6detail17trampoline_kernelINS0_14default_configENS1_38merge_sort_block_merge_config_selectorIlNS0_10empty_typeEEEZZNS1_27merge_sort_block_merge_implIS3_PlPS5_mZN2at6native12_GLOBAL__N_124unique_dim_cuda_templateIbEESt5tupleIJNSA_6TensorESF_SF_EERKSF_lbbbEUlllE_EE10hipError_tT0_T1_T2_jT3_P12ihipStream_tbPNSt15iterator_traitsISL_E10value_typeEPNSR_ISM_E10value_typeEPSN_NS1_7vsmem_tEENKUlT_SL_SM_SN_E_clIS8_S8_S9_S9_EESK_S10_SL_SM_SN_EUlS10_E_NS1_11comp_targetILNS1_3genE5ELNS1_11target_archE942ELNS1_3gpuE9ELNS1_3repE0EEENS1_48merge_mergepath_partition_config_static_selectorELNS0_4arch9wavefront6targetE0EEEvSM_.uses_flat_scratch, 0
	.set _ZN7rocprim17ROCPRIM_400000_NS6detail17trampoline_kernelINS0_14default_configENS1_38merge_sort_block_merge_config_selectorIlNS0_10empty_typeEEEZZNS1_27merge_sort_block_merge_implIS3_PlPS5_mZN2at6native12_GLOBAL__N_124unique_dim_cuda_templateIbEESt5tupleIJNSA_6TensorESF_SF_EERKSF_lbbbEUlllE_EE10hipError_tT0_T1_T2_jT3_P12ihipStream_tbPNSt15iterator_traitsISL_E10value_typeEPNSR_ISM_E10value_typeEPSN_NS1_7vsmem_tEENKUlT_SL_SM_SN_E_clIS8_S8_S9_S9_EESK_S10_SL_SM_SN_EUlS10_E_NS1_11comp_targetILNS1_3genE5ELNS1_11target_archE942ELNS1_3gpuE9ELNS1_3repE0EEENS1_48merge_mergepath_partition_config_static_selectorELNS0_4arch9wavefront6targetE0EEEvSM_.has_dyn_sized_stack, 0
	.set _ZN7rocprim17ROCPRIM_400000_NS6detail17trampoline_kernelINS0_14default_configENS1_38merge_sort_block_merge_config_selectorIlNS0_10empty_typeEEEZZNS1_27merge_sort_block_merge_implIS3_PlPS5_mZN2at6native12_GLOBAL__N_124unique_dim_cuda_templateIbEESt5tupleIJNSA_6TensorESF_SF_EERKSF_lbbbEUlllE_EE10hipError_tT0_T1_T2_jT3_P12ihipStream_tbPNSt15iterator_traitsISL_E10value_typeEPNSR_ISM_E10value_typeEPSN_NS1_7vsmem_tEENKUlT_SL_SM_SN_E_clIS8_S8_S9_S9_EESK_S10_SL_SM_SN_EUlS10_E_NS1_11comp_targetILNS1_3genE5ELNS1_11target_archE942ELNS1_3gpuE9ELNS1_3repE0EEENS1_48merge_mergepath_partition_config_static_selectorELNS0_4arch9wavefront6targetE0EEEvSM_.has_recursion, 0
	.set _ZN7rocprim17ROCPRIM_400000_NS6detail17trampoline_kernelINS0_14default_configENS1_38merge_sort_block_merge_config_selectorIlNS0_10empty_typeEEEZZNS1_27merge_sort_block_merge_implIS3_PlPS5_mZN2at6native12_GLOBAL__N_124unique_dim_cuda_templateIbEESt5tupleIJNSA_6TensorESF_SF_EERKSF_lbbbEUlllE_EE10hipError_tT0_T1_T2_jT3_P12ihipStream_tbPNSt15iterator_traitsISL_E10value_typeEPNSR_ISM_E10value_typeEPSN_NS1_7vsmem_tEENKUlT_SL_SM_SN_E_clIS8_S8_S9_S9_EESK_S10_SL_SM_SN_EUlS10_E_NS1_11comp_targetILNS1_3genE5ELNS1_11target_archE942ELNS1_3gpuE9ELNS1_3repE0EEENS1_48merge_mergepath_partition_config_static_selectorELNS0_4arch9wavefront6targetE0EEEvSM_.has_indirect_call, 0
	.section	.AMDGPU.csdata,"",@progbits
; Kernel info:
; codeLenInByte = 0
; TotalNumSgprs: 0
; NumVgprs: 0
; ScratchSize: 0
; MemoryBound: 0
; FloatMode: 240
; IeeeMode: 1
; LDSByteSize: 0 bytes/workgroup (compile time only)
; SGPRBlocks: 0
; VGPRBlocks: 0
; NumSGPRsForWavesPerEU: 1
; NumVGPRsForWavesPerEU: 1
; NamedBarCnt: 0
; Occupancy: 16
; WaveLimiterHint : 0
; COMPUTE_PGM_RSRC2:SCRATCH_EN: 0
; COMPUTE_PGM_RSRC2:USER_SGPR: 2
; COMPUTE_PGM_RSRC2:TRAP_HANDLER: 0
; COMPUTE_PGM_RSRC2:TGID_X_EN: 1
; COMPUTE_PGM_RSRC2:TGID_Y_EN: 0
; COMPUTE_PGM_RSRC2:TGID_Z_EN: 0
; COMPUTE_PGM_RSRC2:TIDIG_COMP_CNT: 0
	.section	.text._ZN7rocprim17ROCPRIM_400000_NS6detail17trampoline_kernelINS0_14default_configENS1_38merge_sort_block_merge_config_selectorIlNS0_10empty_typeEEEZZNS1_27merge_sort_block_merge_implIS3_PlPS5_mZN2at6native12_GLOBAL__N_124unique_dim_cuda_templateIbEESt5tupleIJNSA_6TensorESF_SF_EERKSF_lbbbEUlllE_EE10hipError_tT0_T1_T2_jT3_P12ihipStream_tbPNSt15iterator_traitsISL_E10value_typeEPNSR_ISM_E10value_typeEPSN_NS1_7vsmem_tEENKUlT_SL_SM_SN_E_clIS8_S8_S9_S9_EESK_S10_SL_SM_SN_EUlS10_E_NS1_11comp_targetILNS1_3genE4ELNS1_11target_archE910ELNS1_3gpuE8ELNS1_3repE0EEENS1_48merge_mergepath_partition_config_static_selectorELNS0_4arch9wavefront6targetE0EEEvSM_,"axG",@progbits,_ZN7rocprim17ROCPRIM_400000_NS6detail17trampoline_kernelINS0_14default_configENS1_38merge_sort_block_merge_config_selectorIlNS0_10empty_typeEEEZZNS1_27merge_sort_block_merge_implIS3_PlPS5_mZN2at6native12_GLOBAL__N_124unique_dim_cuda_templateIbEESt5tupleIJNSA_6TensorESF_SF_EERKSF_lbbbEUlllE_EE10hipError_tT0_T1_T2_jT3_P12ihipStream_tbPNSt15iterator_traitsISL_E10value_typeEPNSR_ISM_E10value_typeEPSN_NS1_7vsmem_tEENKUlT_SL_SM_SN_E_clIS8_S8_S9_S9_EESK_S10_SL_SM_SN_EUlS10_E_NS1_11comp_targetILNS1_3genE4ELNS1_11target_archE910ELNS1_3gpuE8ELNS1_3repE0EEENS1_48merge_mergepath_partition_config_static_selectorELNS0_4arch9wavefront6targetE0EEEvSM_,comdat
	.globl	_ZN7rocprim17ROCPRIM_400000_NS6detail17trampoline_kernelINS0_14default_configENS1_38merge_sort_block_merge_config_selectorIlNS0_10empty_typeEEEZZNS1_27merge_sort_block_merge_implIS3_PlPS5_mZN2at6native12_GLOBAL__N_124unique_dim_cuda_templateIbEESt5tupleIJNSA_6TensorESF_SF_EERKSF_lbbbEUlllE_EE10hipError_tT0_T1_T2_jT3_P12ihipStream_tbPNSt15iterator_traitsISL_E10value_typeEPNSR_ISM_E10value_typeEPSN_NS1_7vsmem_tEENKUlT_SL_SM_SN_E_clIS8_S8_S9_S9_EESK_S10_SL_SM_SN_EUlS10_E_NS1_11comp_targetILNS1_3genE4ELNS1_11target_archE910ELNS1_3gpuE8ELNS1_3repE0EEENS1_48merge_mergepath_partition_config_static_selectorELNS0_4arch9wavefront6targetE0EEEvSM_ ; -- Begin function _ZN7rocprim17ROCPRIM_400000_NS6detail17trampoline_kernelINS0_14default_configENS1_38merge_sort_block_merge_config_selectorIlNS0_10empty_typeEEEZZNS1_27merge_sort_block_merge_implIS3_PlPS5_mZN2at6native12_GLOBAL__N_124unique_dim_cuda_templateIbEESt5tupleIJNSA_6TensorESF_SF_EERKSF_lbbbEUlllE_EE10hipError_tT0_T1_T2_jT3_P12ihipStream_tbPNSt15iterator_traitsISL_E10value_typeEPNSR_ISM_E10value_typeEPSN_NS1_7vsmem_tEENKUlT_SL_SM_SN_E_clIS8_S8_S9_S9_EESK_S10_SL_SM_SN_EUlS10_E_NS1_11comp_targetILNS1_3genE4ELNS1_11target_archE910ELNS1_3gpuE8ELNS1_3repE0EEENS1_48merge_mergepath_partition_config_static_selectorELNS0_4arch9wavefront6targetE0EEEvSM_
	.p2align	8
	.type	_ZN7rocprim17ROCPRIM_400000_NS6detail17trampoline_kernelINS0_14default_configENS1_38merge_sort_block_merge_config_selectorIlNS0_10empty_typeEEEZZNS1_27merge_sort_block_merge_implIS3_PlPS5_mZN2at6native12_GLOBAL__N_124unique_dim_cuda_templateIbEESt5tupleIJNSA_6TensorESF_SF_EERKSF_lbbbEUlllE_EE10hipError_tT0_T1_T2_jT3_P12ihipStream_tbPNSt15iterator_traitsISL_E10value_typeEPNSR_ISM_E10value_typeEPSN_NS1_7vsmem_tEENKUlT_SL_SM_SN_E_clIS8_S8_S9_S9_EESK_S10_SL_SM_SN_EUlS10_E_NS1_11comp_targetILNS1_3genE4ELNS1_11target_archE910ELNS1_3gpuE8ELNS1_3repE0EEENS1_48merge_mergepath_partition_config_static_selectorELNS0_4arch9wavefront6targetE0EEEvSM_,@function
_ZN7rocprim17ROCPRIM_400000_NS6detail17trampoline_kernelINS0_14default_configENS1_38merge_sort_block_merge_config_selectorIlNS0_10empty_typeEEEZZNS1_27merge_sort_block_merge_implIS3_PlPS5_mZN2at6native12_GLOBAL__N_124unique_dim_cuda_templateIbEESt5tupleIJNSA_6TensorESF_SF_EERKSF_lbbbEUlllE_EE10hipError_tT0_T1_T2_jT3_P12ihipStream_tbPNSt15iterator_traitsISL_E10value_typeEPNSR_ISM_E10value_typeEPSN_NS1_7vsmem_tEENKUlT_SL_SM_SN_E_clIS8_S8_S9_S9_EESK_S10_SL_SM_SN_EUlS10_E_NS1_11comp_targetILNS1_3genE4ELNS1_11target_archE910ELNS1_3gpuE8ELNS1_3repE0EEENS1_48merge_mergepath_partition_config_static_selectorELNS0_4arch9wavefront6targetE0EEEvSM_: ; @_ZN7rocprim17ROCPRIM_400000_NS6detail17trampoline_kernelINS0_14default_configENS1_38merge_sort_block_merge_config_selectorIlNS0_10empty_typeEEEZZNS1_27merge_sort_block_merge_implIS3_PlPS5_mZN2at6native12_GLOBAL__N_124unique_dim_cuda_templateIbEESt5tupleIJNSA_6TensorESF_SF_EERKSF_lbbbEUlllE_EE10hipError_tT0_T1_T2_jT3_P12ihipStream_tbPNSt15iterator_traitsISL_E10value_typeEPNSR_ISM_E10value_typeEPSN_NS1_7vsmem_tEENKUlT_SL_SM_SN_E_clIS8_S8_S9_S9_EESK_S10_SL_SM_SN_EUlS10_E_NS1_11comp_targetILNS1_3genE4ELNS1_11target_archE910ELNS1_3gpuE8ELNS1_3repE0EEENS1_48merge_mergepath_partition_config_static_selectorELNS0_4arch9wavefront6targetE0EEEvSM_
; %bb.0:
	.section	.rodata,"a",@progbits
	.p2align	6, 0x0
	.amdhsa_kernel _ZN7rocprim17ROCPRIM_400000_NS6detail17trampoline_kernelINS0_14default_configENS1_38merge_sort_block_merge_config_selectorIlNS0_10empty_typeEEEZZNS1_27merge_sort_block_merge_implIS3_PlPS5_mZN2at6native12_GLOBAL__N_124unique_dim_cuda_templateIbEESt5tupleIJNSA_6TensorESF_SF_EERKSF_lbbbEUlllE_EE10hipError_tT0_T1_T2_jT3_P12ihipStream_tbPNSt15iterator_traitsISL_E10value_typeEPNSR_ISM_E10value_typeEPSN_NS1_7vsmem_tEENKUlT_SL_SM_SN_E_clIS8_S8_S9_S9_EESK_S10_SL_SM_SN_EUlS10_E_NS1_11comp_targetILNS1_3genE4ELNS1_11target_archE910ELNS1_3gpuE8ELNS1_3repE0EEENS1_48merge_mergepath_partition_config_static_selectorELNS0_4arch9wavefront6targetE0EEEvSM_
		.amdhsa_group_segment_fixed_size 0
		.amdhsa_private_segment_fixed_size 0
		.amdhsa_kernarg_size 56
		.amdhsa_user_sgpr_count 2
		.amdhsa_user_sgpr_dispatch_ptr 0
		.amdhsa_user_sgpr_queue_ptr 0
		.amdhsa_user_sgpr_kernarg_segment_ptr 1
		.amdhsa_user_sgpr_dispatch_id 0
		.amdhsa_user_sgpr_kernarg_preload_length 0
		.amdhsa_user_sgpr_kernarg_preload_offset 0
		.amdhsa_user_sgpr_private_segment_size 0
		.amdhsa_wavefront_size32 1
		.amdhsa_uses_dynamic_stack 0
		.amdhsa_enable_private_segment 0
		.amdhsa_system_sgpr_workgroup_id_x 1
		.amdhsa_system_sgpr_workgroup_id_y 0
		.amdhsa_system_sgpr_workgroup_id_z 0
		.amdhsa_system_sgpr_workgroup_info 0
		.amdhsa_system_vgpr_workitem_id 0
		.amdhsa_next_free_vgpr 1
		.amdhsa_next_free_sgpr 1
		.amdhsa_named_barrier_count 0
		.amdhsa_reserve_vcc 0
		.amdhsa_float_round_mode_32 0
		.amdhsa_float_round_mode_16_64 0
		.amdhsa_float_denorm_mode_32 3
		.amdhsa_float_denorm_mode_16_64 3
		.amdhsa_fp16_overflow 0
		.amdhsa_memory_ordered 1
		.amdhsa_forward_progress 1
		.amdhsa_inst_pref_size 0
		.amdhsa_round_robin_scheduling 0
		.amdhsa_exception_fp_ieee_invalid_op 0
		.amdhsa_exception_fp_denorm_src 0
		.amdhsa_exception_fp_ieee_div_zero 0
		.amdhsa_exception_fp_ieee_overflow 0
		.amdhsa_exception_fp_ieee_underflow 0
		.amdhsa_exception_fp_ieee_inexact 0
		.amdhsa_exception_int_div_zero 0
	.end_amdhsa_kernel
	.section	.text._ZN7rocprim17ROCPRIM_400000_NS6detail17trampoline_kernelINS0_14default_configENS1_38merge_sort_block_merge_config_selectorIlNS0_10empty_typeEEEZZNS1_27merge_sort_block_merge_implIS3_PlPS5_mZN2at6native12_GLOBAL__N_124unique_dim_cuda_templateIbEESt5tupleIJNSA_6TensorESF_SF_EERKSF_lbbbEUlllE_EE10hipError_tT0_T1_T2_jT3_P12ihipStream_tbPNSt15iterator_traitsISL_E10value_typeEPNSR_ISM_E10value_typeEPSN_NS1_7vsmem_tEENKUlT_SL_SM_SN_E_clIS8_S8_S9_S9_EESK_S10_SL_SM_SN_EUlS10_E_NS1_11comp_targetILNS1_3genE4ELNS1_11target_archE910ELNS1_3gpuE8ELNS1_3repE0EEENS1_48merge_mergepath_partition_config_static_selectorELNS0_4arch9wavefront6targetE0EEEvSM_,"axG",@progbits,_ZN7rocprim17ROCPRIM_400000_NS6detail17trampoline_kernelINS0_14default_configENS1_38merge_sort_block_merge_config_selectorIlNS0_10empty_typeEEEZZNS1_27merge_sort_block_merge_implIS3_PlPS5_mZN2at6native12_GLOBAL__N_124unique_dim_cuda_templateIbEESt5tupleIJNSA_6TensorESF_SF_EERKSF_lbbbEUlllE_EE10hipError_tT0_T1_T2_jT3_P12ihipStream_tbPNSt15iterator_traitsISL_E10value_typeEPNSR_ISM_E10value_typeEPSN_NS1_7vsmem_tEENKUlT_SL_SM_SN_E_clIS8_S8_S9_S9_EESK_S10_SL_SM_SN_EUlS10_E_NS1_11comp_targetILNS1_3genE4ELNS1_11target_archE910ELNS1_3gpuE8ELNS1_3repE0EEENS1_48merge_mergepath_partition_config_static_selectorELNS0_4arch9wavefront6targetE0EEEvSM_,comdat
.Lfunc_end1005:
	.size	_ZN7rocprim17ROCPRIM_400000_NS6detail17trampoline_kernelINS0_14default_configENS1_38merge_sort_block_merge_config_selectorIlNS0_10empty_typeEEEZZNS1_27merge_sort_block_merge_implIS3_PlPS5_mZN2at6native12_GLOBAL__N_124unique_dim_cuda_templateIbEESt5tupleIJNSA_6TensorESF_SF_EERKSF_lbbbEUlllE_EE10hipError_tT0_T1_T2_jT3_P12ihipStream_tbPNSt15iterator_traitsISL_E10value_typeEPNSR_ISM_E10value_typeEPSN_NS1_7vsmem_tEENKUlT_SL_SM_SN_E_clIS8_S8_S9_S9_EESK_S10_SL_SM_SN_EUlS10_E_NS1_11comp_targetILNS1_3genE4ELNS1_11target_archE910ELNS1_3gpuE8ELNS1_3repE0EEENS1_48merge_mergepath_partition_config_static_selectorELNS0_4arch9wavefront6targetE0EEEvSM_, .Lfunc_end1005-_ZN7rocprim17ROCPRIM_400000_NS6detail17trampoline_kernelINS0_14default_configENS1_38merge_sort_block_merge_config_selectorIlNS0_10empty_typeEEEZZNS1_27merge_sort_block_merge_implIS3_PlPS5_mZN2at6native12_GLOBAL__N_124unique_dim_cuda_templateIbEESt5tupleIJNSA_6TensorESF_SF_EERKSF_lbbbEUlllE_EE10hipError_tT0_T1_T2_jT3_P12ihipStream_tbPNSt15iterator_traitsISL_E10value_typeEPNSR_ISM_E10value_typeEPSN_NS1_7vsmem_tEENKUlT_SL_SM_SN_E_clIS8_S8_S9_S9_EESK_S10_SL_SM_SN_EUlS10_E_NS1_11comp_targetILNS1_3genE4ELNS1_11target_archE910ELNS1_3gpuE8ELNS1_3repE0EEENS1_48merge_mergepath_partition_config_static_selectorELNS0_4arch9wavefront6targetE0EEEvSM_
                                        ; -- End function
	.set _ZN7rocprim17ROCPRIM_400000_NS6detail17trampoline_kernelINS0_14default_configENS1_38merge_sort_block_merge_config_selectorIlNS0_10empty_typeEEEZZNS1_27merge_sort_block_merge_implIS3_PlPS5_mZN2at6native12_GLOBAL__N_124unique_dim_cuda_templateIbEESt5tupleIJNSA_6TensorESF_SF_EERKSF_lbbbEUlllE_EE10hipError_tT0_T1_T2_jT3_P12ihipStream_tbPNSt15iterator_traitsISL_E10value_typeEPNSR_ISM_E10value_typeEPSN_NS1_7vsmem_tEENKUlT_SL_SM_SN_E_clIS8_S8_S9_S9_EESK_S10_SL_SM_SN_EUlS10_E_NS1_11comp_targetILNS1_3genE4ELNS1_11target_archE910ELNS1_3gpuE8ELNS1_3repE0EEENS1_48merge_mergepath_partition_config_static_selectorELNS0_4arch9wavefront6targetE0EEEvSM_.num_vgpr, 0
	.set _ZN7rocprim17ROCPRIM_400000_NS6detail17trampoline_kernelINS0_14default_configENS1_38merge_sort_block_merge_config_selectorIlNS0_10empty_typeEEEZZNS1_27merge_sort_block_merge_implIS3_PlPS5_mZN2at6native12_GLOBAL__N_124unique_dim_cuda_templateIbEESt5tupleIJNSA_6TensorESF_SF_EERKSF_lbbbEUlllE_EE10hipError_tT0_T1_T2_jT3_P12ihipStream_tbPNSt15iterator_traitsISL_E10value_typeEPNSR_ISM_E10value_typeEPSN_NS1_7vsmem_tEENKUlT_SL_SM_SN_E_clIS8_S8_S9_S9_EESK_S10_SL_SM_SN_EUlS10_E_NS1_11comp_targetILNS1_3genE4ELNS1_11target_archE910ELNS1_3gpuE8ELNS1_3repE0EEENS1_48merge_mergepath_partition_config_static_selectorELNS0_4arch9wavefront6targetE0EEEvSM_.num_agpr, 0
	.set _ZN7rocprim17ROCPRIM_400000_NS6detail17trampoline_kernelINS0_14default_configENS1_38merge_sort_block_merge_config_selectorIlNS0_10empty_typeEEEZZNS1_27merge_sort_block_merge_implIS3_PlPS5_mZN2at6native12_GLOBAL__N_124unique_dim_cuda_templateIbEESt5tupleIJNSA_6TensorESF_SF_EERKSF_lbbbEUlllE_EE10hipError_tT0_T1_T2_jT3_P12ihipStream_tbPNSt15iterator_traitsISL_E10value_typeEPNSR_ISM_E10value_typeEPSN_NS1_7vsmem_tEENKUlT_SL_SM_SN_E_clIS8_S8_S9_S9_EESK_S10_SL_SM_SN_EUlS10_E_NS1_11comp_targetILNS1_3genE4ELNS1_11target_archE910ELNS1_3gpuE8ELNS1_3repE0EEENS1_48merge_mergepath_partition_config_static_selectorELNS0_4arch9wavefront6targetE0EEEvSM_.numbered_sgpr, 0
	.set _ZN7rocprim17ROCPRIM_400000_NS6detail17trampoline_kernelINS0_14default_configENS1_38merge_sort_block_merge_config_selectorIlNS0_10empty_typeEEEZZNS1_27merge_sort_block_merge_implIS3_PlPS5_mZN2at6native12_GLOBAL__N_124unique_dim_cuda_templateIbEESt5tupleIJNSA_6TensorESF_SF_EERKSF_lbbbEUlllE_EE10hipError_tT0_T1_T2_jT3_P12ihipStream_tbPNSt15iterator_traitsISL_E10value_typeEPNSR_ISM_E10value_typeEPSN_NS1_7vsmem_tEENKUlT_SL_SM_SN_E_clIS8_S8_S9_S9_EESK_S10_SL_SM_SN_EUlS10_E_NS1_11comp_targetILNS1_3genE4ELNS1_11target_archE910ELNS1_3gpuE8ELNS1_3repE0EEENS1_48merge_mergepath_partition_config_static_selectorELNS0_4arch9wavefront6targetE0EEEvSM_.num_named_barrier, 0
	.set _ZN7rocprim17ROCPRIM_400000_NS6detail17trampoline_kernelINS0_14default_configENS1_38merge_sort_block_merge_config_selectorIlNS0_10empty_typeEEEZZNS1_27merge_sort_block_merge_implIS3_PlPS5_mZN2at6native12_GLOBAL__N_124unique_dim_cuda_templateIbEESt5tupleIJNSA_6TensorESF_SF_EERKSF_lbbbEUlllE_EE10hipError_tT0_T1_T2_jT3_P12ihipStream_tbPNSt15iterator_traitsISL_E10value_typeEPNSR_ISM_E10value_typeEPSN_NS1_7vsmem_tEENKUlT_SL_SM_SN_E_clIS8_S8_S9_S9_EESK_S10_SL_SM_SN_EUlS10_E_NS1_11comp_targetILNS1_3genE4ELNS1_11target_archE910ELNS1_3gpuE8ELNS1_3repE0EEENS1_48merge_mergepath_partition_config_static_selectorELNS0_4arch9wavefront6targetE0EEEvSM_.private_seg_size, 0
	.set _ZN7rocprim17ROCPRIM_400000_NS6detail17trampoline_kernelINS0_14default_configENS1_38merge_sort_block_merge_config_selectorIlNS0_10empty_typeEEEZZNS1_27merge_sort_block_merge_implIS3_PlPS5_mZN2at6native12_GLOBAL__N_124unique_dim_cuda_templateIbEESt5tupleIJNSA_6TensorESF_SF_EERKSF_lbbbEUlllE_EE10hipError_tT0_T1_T2_jT3_P12ihipStream_tbPNSt15iterator_traitsISL_E10value_typeEPNSR_ISM_E10value_typeEPSN_NS1_7vsmem_tEENKUlT_SL_SM_SN_E_clIS8_S8_S9_S9_EESK_S10_SL_SM_SN_EUlS10_E_NS1_11comp_targetILNS1_3genE4ELNS1_11target_archE910ELNS1_3gpuE8ELNS1_3repE0EEENS1_48merge_mergepath_partition_config_static_selectorELNS0_4arch9wavefront6targetE0EEEvSM_.uses_vcc, 0
	.set _ZN7rocprim17ROCPRIM_400000_NS6detail17trampoline_kernelINS0_14default_configENS1_38merge_sort_block_merge_config_selectorIlNS0_10empty_typeEEEZZNS1_27merge_sort_block_merge_implIS3_PlPS5_mZN2at6native12_GLOBAL__N_124unique_dim_cuda_templateIbEESt5tupleIJNSA_6TensorESF_SF_EERKSF_lbbbEUlllE_EE10hipError_tT0_T1_T2_jT3_P12ihipStream_tbPNSt15iterator_traitsISL_E10value_typeEPNSR_ISM_E10value_typeEPSN_NS1_7vsmem_tEENKUlT_SL_SM_SN_E_clIS8_S8_S9_S9_EESK_S10_SL_SM_SN_EUlS10_E_NS1_11comp_targetILNS1_3genE4ELNS1_11target_archE910ELNS1_3gpuE8ELNS1_3repE0EEENS1_48merge_mergepath_partition_config_static_selectorELNS0_4arch9wavefront6targetE0EEEvSM_.uses_flat_scratch, 0
	.set _ZN7rocprim17ROCPRIM_400000_NS6detail17trampoline_kernelINS0_14default_configENS1_38merge_sort_block_merge_config_selectorIlNS0_10empty_typeEEEZZNS1_27merge_sort_block_merge_implIS3_PlPS5_mZN2at6native12_GLOBAL__N_124unique_dim_cuda_templateIbEESt5tupleIJNSA_6TensorESF_SF_EERKSF_lbbbEUlllE_EE10hipError_tT0_T1_T2_jT3_P12ihipStream_tbPNSt15iterator_traitsISL_E10value_typeEPNSR_ISM_E10value_typeEPSN_NS1_7vsmem_tEENKUlT_SL_SM_SN_E_clIS8_S8_S9_S9_EESK_S10_SL_SM_SN_EUlS10_E_NS1_11comp_targetILNS1_3genE4ELNS1_11target_archE910ELNS1_3gpuE8ELNS1_3repE0EEENS1_48merge_mergepath_partition_config_static_selectorELNS0_4arch9wavefront6targetE0EEEvSM_.has_dyn_sized_stack, 0
	.set _ZN7rocprim17ROCPRIM_400000_NS6detail17trampoline_kernelINS0_14default_configENS1_38merge_sort_block_merge_config_selectorIlNS0_10empty_typeEEEZZNS1_27merge_sort_block_merge_implIS3_PlPS5_mZN2at6native12_GLOBAL__N_124unique_dim_cuda_templateIbEESt5tupleIJNSA_6TensorESF_SF_EERKSF_lbbbEUlllE_EE10hipError_tT0_T1_T2_jT3_P12ihipStream_tbPNSt15iterator_traitsISL_E10value_typeEPNSR_ISM_E10value_typeEPSN_NS1_7vsmem_tEENKUlT_SL_SM_SN_E_clIS8_S8_S9_S9_EESK_S10_SL_SM_SN_EUlS10_E_NS1_11comp_targetILNS1_3genE4ELNS1_11target_archE910ELNS1_3gpuE8ELNS1_3repE0EEENS1_48merge_mergepath_partition_config_static_selectorELNS0_4arch9wavefront6targetE0EEEvSM_.has_recursion, 0
	.set _ZN7rocprim17ROCPRIM_400000_NS6detail17trampoline_kernelINS0_14default_configENS1_38merge_sort_block_merge_config_selectorIlNS0_10empty_typeEEEZZNS1_27merge_sort_block_merge_implIS3_PlPS5_mZN2at6native12_GLOBAL__N_124unique_dim_cuda_templateIbEESt5tupleIJNSA_6TensorESF_SF_EERKSF_lbbbEUlllE_EE10hipError_tT0_T1_T2_jT3_P12ihipStream_tbPNSt15iterator_traitsISL_E10value_typeEPNSR_ISM_E10value_typeEPSN_NS1_7vsmem_tEENKUlT_SL_SM_SN_E_clIS8_S8_S9_S9_EESK_S10_SL_SM_SN_EUlS10_E_NS1_11comp_targetILNS1_3genE4ELNS1_11target_archE910ELNS1_3gpuE8ELNS1_3repE0EEENS1_48merge_mergepath_partition_config_static_selectorELNS0_4arch9wavefront6targetE0EEEvSM_.has_indirect_call, 0
	.section	.AMDGPU.csdata,"",@progbits
; Kernel info:
; codeLenInByte = 0
; TotalNumSgprs: 0
; NumVgprs: 0
; ScratchSize: 0
; MemoryBound: 0
; FloatMode: 240
; IeeeMode: 1
; LDSByteSize: 0 bytes/workgroup (compile time only)
; SGPRBlocks: 0
; VGPRBlocks: 0
; NumSGPRsForWavesPerEU: 1
; NumVGPRsForWavesPerEU: 1
; NamedBarCnt: 0
; Occupancy: 16
; WaveLimiterHint : 0
; COMPUTE_PGM_RSRC2:SCRATCH_EN: 0
; COMPUTE_PGM_RSRC2:USER_SGPR: 2
; COMPUTE_PGM_RSRC2:TRAP_HANDLER: 0
; COMPUTE_PGM_RSRC2:TGID_X_EN: 1
; COMPUTE_PGM_RSRC2:TGID_Y_EN: 0
; COMPUTE_PGM_RSRC2:TGID_Z_EN: 0
; COMPUTE_PGM_RSRC2:TIDIG_COMP_CNT: 0
	.section	.text._ZN7rocprim17ROCPRIM_400000_NS6detail17trampoline_kernelINS0_14default_configENS1_38merge_sort_block_merge_config_selectorIlNS0_10empty_typeEEEZZNS1_27merge_sort_block_merge_implIS3_PlPS5_mZN2at6native12_GLOBAL__N_124unique_dim_cuda_templateIbEESt5tupleIJNSA_6TensorESF_SF_EERKSF_lbbbEUlllE_EE10hipError_tT0_T1_T2_jT3_P12ihipStream_tbPNSt15iterator_traitsISL_E10value_typeEPNSR_ISM_E10value_typeEPSN_NS1_7vsmem_tEENKUlT_SL_SM_SN_E_clIS8_S8_S9_S9_EESK_S10_SL_SM_SN_EUlS10_E_NS1_11comp_targetILNS1_3genE3ELNS1_11target_archE908ELNS1_3gpuE7ELNS1_3repE0EEENS1_48merge_mergepath_partition_config_static_selectorELNS0_4arch9wavefront6targetE0EEEvSM_,"axG",@progbits,_ZN7rocprim17ROCPRIM_400000_NS6detail17trampoline_kernelINS0_14default_configENS1_38merge_sort_block_merge_config_selectorIlNS0_10empty_typeEEEZZNS1_27merge_sort_block_merge_implIS3_PlPS5_mZN2at6native12_GLOBAL__N_124unique_dim_cuda_templateIbEESt5tupleIJNSA_6TensorESF_SF_EERKSF_lbbbEUlllE_EE10hipError_tT0_T1_T2_jT3_P12ihipStream_tbPNSt15iterator_traitsISL_E10value_typeEPNSR_ISM_E10value_typeEPSN_NS1_7vsmem_tEENKUlT_SL_SM_SN_E_clIS8_S8_S9_S9_EESK_S10_SL_SM_SN_EUlS10_E_NS1_11comp_targetILNS1_3genE3ELNS1_11target_archE908ELNS1_3gpuE7ELNS1_3repE0EEENS1_48merge_mergepath_partition_config_static_selectorELNS0_4arch9wavefront6targetE0EEEvSM_,comdat
	.globl	_ZN7rocprim17ROCPRIM_400000_NS6detail17trampoline_kernelINS0_14default_configENS1_38merge_sort_block_merge_config_selectorIlNS0_10empty_typeEEEZZNS1_27merge_sort_block_merge_implIS3_PlPS5_mZN2at6native12_GLOBAL__N_124unique_dim_cuda_templateIbEESt5tupleIJNSA_6TensorESF_SF_EERKSF_lbbbEUlllE_EE10hipError_tT0_T1_T2_jT3_P12ihipStream_tbPNSt15iterator_traitsISL_E10value_typeEPNSR_ISM_E10value_typeEPSN_NS1_7vsmem_tEENKUlT_SL_SM_SN_E_clIS8_S8_S9_S9_EESK_S10_SL_SM_SN_EUlS10_E_NS1_11comp_targetILNS1_3genE3ELNS1_11target_archE908ELNS1_3gpuE7ELNS1_3repE0EEENS1_48merge_mergepath_partition_config_static_selectorELNS0_4arch9wavefront6targetE0EEEvSM_ ; -- Begin function _ZN7rocprim17ROCPRIM_400000_NS6detail17trampoline_kernelINS0_14default_configENS1_38merge_sort_block_merge_config_selectorIlNS0_10empty_typeEEEZZNS1_27merge_sort_block_merge_implIS3_PlPS5_mZN2at6native12_GLOBAL__N_124unique_dim_cuda_templateIbEESt5tupleIJNSA_6TensorESF_SF_EERKSF_lbbbEUlllE_EE10hipError_tT0_T1_T2_jT3_P12ihipStream_tbPNSt15iterator_traitsISL_E10value_typeEPNSR_ISM_E10value_typeEPSN_NS1_7vsmem_tEENKUlT_SL_SM_SN_E_clIS8_S8_S9_S9_EESK_S10_SL_SM_SN_EUlS10_E_NS1_11comp_targetILNS1_3genE3ELNS1_11target_archE908ELNS1_3gpuE7ELNS1_3repE0EEENS1_48merge_mergepath_partition_config_static_selectorELNS0_4arch9wavefront6targetE0EEEvSM_
	.p2align	8
	.type	_ZN7rocprim17ROCPRIM_400000_NS6detail17trampoline_kernelINS0_14default_configENS1_38merge_sort_block_merge_config_selectorIlNS0_10empty_typeEEEZZNS1_27merge_sort_block_merge_implIS3_PlPS5_mZN2at6native12_GLOBAL__N_124unique_dim_cuda_templateIbEESt5tupleIJNSA_6TensorESF_SF_EERKSF_lbbbEUlllE_EE10hipError_tT0_T1_T2_jT3_P12ihipStream_tbPNSt15iterator_traitsISL_E10value_typeEPNSR_ISM_E10value_typeEPSN_NS1_7vsmem_tEENKUlT_SL_SM_SN_E_clIS8_S8_S9_S9_EESK_S10_SL_SM_SN_EUlS10_E_NS1_11comp_targetILNS1_3genE3ELNS1_11target_archE908ELNS1_3gpuE7ELNS1_3repE0EEENS1_48merge_mergepath_partition_config_static_selectorELNS0_4arch9wavefront6targetE0EEEvSM_,@function
_ZN7rocprim17ROCPRIM_400000_NS6detail17trampoline_kernelINS0_14default_configENS1_38merge_sort_block_merge_config_selectorIlNS0_10empty_typeEEEZZNS1_27merge_sort_block_merge_implIS3_PlPS5_mZN2at6native12_GLOBAL__N_124unique_dim_cuda_templateIbEESt5tupleIJNSA_6TensorESF_SF_EERKSF_lbbbEUlllE_EE10hipError_tT0_T1_T2_jT3_P12ihipStream_tbPNSt15iterator_traitsISL_E10value_typeEPNSR_ISM_E10value_typeEPSN_NS1_7vsmem_tEENKUlT_SL_SM_SN_E_clIS8_S8_S9_S9_EESK_S10_SL_SM_SN_EUlS10_E_NS1_11comp_targetILNS1_3genE3ELNS1_11target_archE908ELNS1_3gpuE7ELNS1_3repE0EEENS1_48merge_mergepath_partition_config_static_selectorELNS0_4arch9wavefront6targetE0EEEvSM_: ; @_ZN7rocprim17ROCPRIM_400000_NS6detail17trampoline_kernelINS0_14default_configENS1_38merge_sort_block_merge_config_selectorIlNS0_10empty_typeEEEZZNS1_27merge_sort_block_merge_implIS3_PlPS5_mZN2at6native12_GLOBAL__N_124unique_dim_cuda_templateIbEESt5tupleIJNSA_6TensorESF_SF_EERKSF_lbbbEUlllE_EE10hipError_tT0_T1_T2_jT3_P12ihipStream_tbPNSt15iterator_traitsISL_E10value_typeEPNSR_ISM_E10value_typeEPSN_NS1_7vsmem_tEENKUlT_SL_SM_SN_E_clIS8_S8_S9_S9_EESK_S10_SL_SM_SN_EUlS10_E_NS1_11comp_targetILNS1_3genE3ELNS1_11target_archE908ELNS1_3gpuE7ELNS1_3repE0EEENS1_48merge_mergepath_partition_config_static_selectorELNS0_4arch9wavefront6targetE0EEEvSM_
; %bb.0:
	.section	.rodata,"a",@progbits
	.p2align	6, 0x0
	.amdhsa_kernel _ZN7rocprim17ROCPRIM_400000_NS6detail17trampoline_kernelINS0_14default_configENS1_38merge_sort_block_merge_config_selectorIlNS0_10empty_typeEEEZZNS1_27merge_sort_block_merge_implIS3_PlPS5_mZN2at6native12_GLOBAL__N_124unique_dim_cuda_templateIbEESt5tupleIJNSA_6TensorESF_SF_EERKSF_lbbbEUlllE_EE10hipError_tT0_T1_T2_jT3_P12ihipStream_tbPNSt15iterator_traitsISL_E10value_typeEPNSR_ISM_E10value_typeEPSN_NS1_7vsmem_tEENKUlT_SL_SM_SN_E_clIS8_S8_S9_S9_EESK_S10_SL_SM_SN_EUlS10_E_NS1_11comp_targetILNS1_3genE3ELNS1_11target_archE908ELNS1_3gpuE7ELNS1_3repE0EEENS1_48merge_mergepath_partition_config_static_selectorELNS0_4arch9wavefront6targetE0EEEvSM_
		.amdhsa_group_segment_fixed_size 0
		.amdhsa_private_segment_fixed_size 0
		.amdhsa_kernarg_size 56
		.amdhsa_user_sgpr_count 2
		.amdhsa_user_sgpr_dispatch_ptr 0
		.amdhsa_user_sgpr_queue_ptr 0
		.amdhsa_user_sgpr_kernarg_segment_ptr 1
		.amdhsa_user_sgpr_dispatch_id 0
		.amdhsa_user_sgpr_kernarg_preload_length 0
		.amdhsa_user_sgpr_kernarg_preload_offset 0
		.amdhsa_user_sgpr_private_segment_size 0
		.amdhsa_wavefront_size32 1
		.amdhsa_uses_dynamic_stack 0
		.amdhsa_enable_private_segment 0
		.amdhsa_system_sgpr_workgroup_id_x 1
		.amdhsa_system_sgpr_workgroup_id_y 0
		.amdhsa_system_sgpr_workgroup_id_z 0
		.amdhsa_system_sgpr_workgroup_info 0
		.amdhsa_system_vgpr_workitem_id 0
		.amdhsa_next_free_vgpr 1
		.amdhsa_next_free_sgpr 1
		.amdhsa_named_barrier_count 0
		.amdhsa_reserve_vcc 0
		.amdhsa_float_round_mode_32 0
		.amdhsa_float_round_mode_16_64 0
		.amdhsa_float_denorm_mode_32 3
		.amdhsa_float_denorm_mode_16_64 3
		.amdhsa_fp16_overflow 0
		.amdhsa_memory_ordered 1
		.amdhsa_forward_progress 1
		.amdhsa_inst_pref_size 0
		.amdhsa_round_robin_scheduling 0
		.amdhsa_exception_fp_ieee_invalid_op 0
		.amdhsa_exception_fp_denorm_src 0
		.amdhsa_exception_fp_ieee_div_zero 0
		.amdhsa_exception_fp_ieee_overflow 0
		.amdhsa_exception_fp_ieee_underflow 0
		.amdhsa_exception_fp_ieee_inexact 0
		.amdhsa_exception_int_div_zero 0
	.end_amdhsa_kernel
	.section	.text._ZN7rocprim17ROCPRIM_400000_NS6detail17trampoline_kernelINS0_14default_configENS1_38merge_sort_block_merge_config_selectorIlNS0_10empty_typeEEEZZNS1_27merge_sort_block_merge_implIS3_PlPS5_mZN2at6native12_GLOBAL__N_124unique_dim_cuda_templateIbEESt5tupleIJNSA_6TensorESF_SF_EERKSF_lbbbEUlllE_EE10hipError_tT0_T1_T2_jT3_P12ihipStream_tbPNSt15iterator_traitsISL_E10value_typeEPNSR_ISM_E10value_typeEPSN_NS1_7vsmem_tEENKUlT_SL_SM_SN_E_clIS8_S8_S9_S9_EESK_S10_SL_SM_SN_EUlS10_E_NS1_11comp_targetILNS1_3genE3ELNS1_11target_archE908ELNS1_3gpuE7ELNS1_3repE0EEENS1_48merge_mergepath_partition_config_static_selectorELNS0_4arch9wavefront6targetE0EEEvSM_,"axG",@progbits,_ZN7rocprim17ROCPRIM_400000_NS6detail17trampoline_kernelINS0_14default_configENS1_38merge_sort_block_merge_config_selectorIlNS0_10empty_typeEEEZZNS1_27merge_sort_block_merge_implIS3_PlPS5_mZN2at6native12_GLOBAL__N_124unique_dim_cuda_templateIbEESt5tupleIJNSA_6TensorESF_SF_EERKSF_lbbbEUlllE_EE10hipError_tT0_T1_T2_jT3_P12ihipStream_tbPNSt15iterator_traitsISL_E10value_typeEPNSR_ISM_E10value_typeEPSN_NS1_7vsmem_tEENKUlT_SL_SM_SN_E_clIS8_S8_S9_S9_EESK_S10_SL_SM_SN_EUlS10_E_NS1_11comp_targetILNS1_3genE3ELNS1_11target_archE908ELNS1_3gpuE7ELNS1_3repE0EEENS1_48merge_mergepath_partition_config_static_selectorELNS0_4arch9wavefront6targetE0EEEvSM_,comdat
.Lfunc_end1006:
	.size	_ZN7rocprim17ROCPRIM_400000_NS6detail17trampoline_kernelINS0_14default_configENS1_38merge_sort_block_merge_config_selectorIlNS0_10empty_typeEEEZZNS1_27merge_sort_block_merge_implIS3_PlPS5_mZN2at6native12_GLOBAL__N_124unique_dim_cuda_templateIbEESt5tupleIJNSA_6TensorESF_SF_EERKSF_lbbbEUlllE_EE10hipError_tT0_T1_T2_jT3_P12ihipStream_tbPNSt15iterator_traitsISL_E10value_typeEPNSR_ISM_E10value_typeEPSN_NS1_7vsmem_tEENKUlT_SL_SM_SN_E_clIS8_S8_S9_S9_EESK_S10_SL_SM_SN_EUlS10_E_NS1_11comp_targetILNS1_3genE3ELNS1_11target_archE908ELNS1_3gpuE7ELNS1_3repE0EEENS1_48merge_mergepath_partition_config_static_selectorELNS0_4arch9wavefront6targetE0EEEvSM_, .Lfunc_end1006-_ZN7rocprim17ROCPRIM_400000_NS6detail17trampoline_kernelINS0_14default_configENS1_38merge_sort_block_merge_config_selectorIlNS0_10empty_typeEEEZZNS1_27merge_sort_block_merge_implIS3_PlPS5_mZN2at6native12_GLOBAL__N_124unique_dim_cuda_templateIbEESt5tupleIJNSA_6TensorESF_SF_EERKSF_lbbbEUlllE_EE10hipError_tT0_T1_T2_jT3_P12ihipStream_tbPNSt15iterator_traitsISL_E10value_typeEPNSR_ISM_E10value_typeEPSN_NS1_7vsmem_tEENKUlT_SL_SM_SN_E_clIS8_S8_S9_S9_EESK_S10_SL_SM_SN_EUlS10_E_NS1_11comp_targetILNS1_3genE3ELNS1_11target_archE908ELNS1_3gpuE7ELNS1_3repE0EEENS1_48merge_mergepath_partition_config_static_selectorELNS0_4arch9wavefront6targetE0EEEvSM_
                                        ; -- End function
	.set _ZN7rocprim17ROCPRIM_400000_NS6detail17trampoline_kernelINS0_14default_configENS1_38merge_sort_block_merge_config_selectorIlNS0_10empty_typeEEEZZNS1_27merge_sort_block_merge_implIS3_PlPS5_mZN2at6native12_GLOBAL__N_124unique_dim_cuda_templateIbEESt5tupleIJNSA_6TensorESF_SF_EERKSF_lbbbEUlllE_EE10hipError_tT0_T1_T2_jT3_P12ihipStream_tbPNSt15iterator_traitsISL_E10value_typeEPNSR_ISM_E10value_typeEPSN_NS1_7vsmem_tEENKUlT_SL_SM_SN_E_clIS8_S8_S9_S9_EESK_S10_SL_SM_SN_EUlS10_E_NS1_11comp_targetILNS1_3genE3ELNS1_11target_archE908ELNS1_3gpuE7ELNS1_3repE0EEENS1_48merge_mergepath_partition_config_static_selectorELNS0_4arch9wavefront6targetE0EEEvSM_.num_vgpr, 0
	.set _ZN7rocprim17ROCPRIM_400000_NS6detail17trampoline_kernelINS0_14default_configENS1_38merge_sort_block_merge_config_selectorIlNS0_10empty_typeEEEZZNS1_27merge_sort_block_merge_implIS3_PlPS5_mZN2at6native12_GLOBAL__N_124unique_dim_cuda_templateIbEESt5tupleIJNSA_6TensorESF_SF_EERKSF_lbbbEUlllE_EE10hipError_tT0_T1_T2_jT3_P12ihipStream_tbPNSt15iterator_traitsISL_E10value_typeEPNSR_ISM_E10value_typeEPSN_NS1_7vsmem_tEENKUlT_SL_SM_SN_E_clIS8_S8_S9_S9_EESK_S10_SL_SM_SN_EUlS10_E_NS1_11comp_targetILNS1_3genE3ELNS1_11target_archE908ELNS1_3gpuE7ELNS1_3repE0EEENS1_48merge_mergepath_partition_config_static_selectorELNS0_4arch9wavefront6targetE0EEEvSM_.num_agpr, 0
	.set _ZN7rocprim17ROCPRIM_400000_NS6detail17trampoline_kernelINS0_14default_configENS1_38merge_sort_block_merge_config_selectorIlNS0_10empty_typeEEEZZNS1_27merge_sort_block_merge_implIS3_PlPS5_mZN2at6native12_GLOBAL__N_124unique_dim_cuda_templateIbEESt5tupleIJNSA_6TensorESF_SF_EERKSF_lbbbEUlllE_EE10hipError_tT0_T1_T2_jT3_P12ihipStream_tbPNSt15iterator_traitsISL_E10value_typeEPNSR_ISM_E10value_typeEPSN_NS1_7vsmem_tEENKUlT_SL_SM_SN_E_clIS8_S8_S9_S9_EESK_S10_SL_SM_SN_EUlS10_E_NS1_11comp_targetILNS1_3genE3ELNS1_11target_archE908ELNS1_3gpuE7ELNS1_3repE0EEENS1_48merge_mergepath_partition_config_static_selectorELNS0_4arch9wavefront6targetE0EEEvSM_.numbered_sgpr, 0
	.set _ZN7rocprim17ROCPRIM_400000_NS6detail17trampoline_kernelINS0_14default_configENS1_38merge_sort_block_merge_config_selectorIlNS0_10empty_typeEEEZZNS1_27merge_sort_block_merge_implIS3_PlPS5_mZN2at6native12_GLOBAL__N_124unique_dim_cuda_templateIbEESt5tupleIJNSA_6TensorESF_SF_EERKSF_lbbbEUlllE_EE10hipError_tT0_T1_T2_jT3_P12ihipStream_tbPNSt15iterator_traitsISL_E10value_typeEPNSR_ISM_E10value_typeEPSN_NS1_7vsmem_tEENKUlT_SL_SM_SN_E_clIS8_S8_S9_S9_EESK_S10_SL_SM_SN_EUlS10_E_NS1_11comp_targetILNS1_3genE3ELNS1_11target_archE908ELNS1_3gpuE7ELNS1_3repE0EEENS1_48merge_mergepath_partition_config_static_selectorELNS0_4arch9wavefront6targetE0EEEvSM_.num_named_barrier, 0
	.set _ZN7rocprim17ROCPRIM_400000_NS6detail17trampoline_kernelINS0_14default_configENS1_38merge_sort_block_merge_config_selectorIlNS0_10empty_typeEEEZZNS1_27merge_sort_block_merge_implIS3_PlPS5_mZN2at6native12_GLOBAL__N_124unique_dim_cuda_templateIbEESt5tupleIJNSA_6TensorESF_SF_EERKSF_lbbbEUlllE_EE10hipError_tT0_T1_T2_jT3_P12ihipStream_tbPNSt15iterator_traitsISL_E10value_typeEPNSR_ISM_E10value_typeEPSN_NS1_7vsmem_tEENKUlT_SL_SM_SN_E_clIS8_S8_S9_S9_EESK_S10_SL_SM_SN_EUlS10_E_NS1_11comp_targetILNS1_3genE3ELNS1_11target_archE908ELNS1_3gpuE7ELNS1_3repE0EEENS1_48merge_mergepath_partition_config_static_selectorELNS0_4arch9wavefront6targetE0EEEvSM_.private_seg_size, 0
	.set _ZN7rocprim17ROCPRIM_400000_NS6detail17trampoline_kernelINS0_14default_configENS1_38merge_sort_block_merge_config_selectorIlNS0_10empty_typeEEEZZNS1_27merge_sort_block_merge_implIS3_PlPS5_mZN2at6native12_GLOBAL__N_124unique_dim_cuda_templateIbEESt5tupleIJNSA_6TensorESF_SF_EERKSF_lbbbEUlllE_EE10hipError_tT0_T1_T2_jT3_P12ihipStream_tbPNSt15iterator_traitsISL_E10value_typeEPNSR_ISM_E10value_typeEPSN_NS1_7vsmem_tEENKUlT_SL_SM_SN_E_clIS8_S8_S9_S9_EESK_S10_SL_SM_SN_EUlS10_E_NS1_11comp_targetILNS1_3genE3ELNS1_11target_archE908ELNS1_3gpuE7ELNS1_3repE0EEENS1_48merge_mergepath_partition_config_static_selectorELNS0_4arch9wavefront6targetE0EEEvSM_.uses_vcc, 0
	.set _ZN7rocprim17ROCPRIM_400000_NS6detail17trampoline_kernelINS0_14default_configENS1_38merge_sort_block_merge_config_selectorIlNS0_10empty_typeEEEZZNS1_27merge_sort_block_merge_implIS3_PlPS5_mZN2at6native12_GLOBAL__N_124unique_dim_cuda_templateIbEESt5tupleIJNSA_6TensorESF_SF_EERKSF_lbbbEUlllE_EE10hipError_tT0_T1_T2_jT3_P12ihipStream_tbPNSt15iterator_traitsISL_E10value_typeEPNSR_ISM_E10value_typeEPSN_NS1_7vsmem_tEENKUlT_SL_SM_SN_E_clIS8_S8_S9_S9_EESK_S10_SL_SM_SN_EUlS10_E_NS1_11comp_targetILNS1_3genE3ELNS1_11target_archE908ELNS1_3gpuE7ELNS1_3repE0EEENS1_48merge_mergepath_partition_config_static_selectorELNS0_4arch9wavefront6targetE0EEEvSM_.uses_flat_scratch, 0
	.set _ZN7rocprim17ROCPRIM_400000_NS6detail17trampoline_kernelINS0_14default_configENS1_38merge_sort_block_merge_config_selectorIlNS0_10empty_typeEEEZZNS1_27merge_sort_block_merge_implIS3_PlPS5_mZN2at6native12_GLOBAL__N_124unique_dim_cuda_templateIbEESt5tupleIJNSA_6TensorESF_SF_EERKSF_lbbbEUlllE_EE10hipError_tT0_T1_T2_jT3_P12ihipStream_tbPNSt15iterator_traitsISL_E10value_typeEPNSR_ISM_E10value_typeEPSN_NS1_7vsmem_tEENKUlT_SL_SM_SN_E_clIS8_S8_S9_S9_EESK_S10_SL_SM_SN_EUlS10_E_NS1_11comp_targetILNS1_3genE3ELNS1_11target_archE908ELNS1_3gpuE7ELNS1_3repE0EEENS1_48merge_mergepath_partition_config_static_selectorELNS0_4arch9wavefront6targetE0EEEvSM_.has_dyn_sized_stack, 0
	.set _ZN7rocprim17ROCPRIM_400000_NS6detail17trampoline_kernelINS0_14default_configENS1_38merge_sort_block_merge_config_selectorIlNS0_10empty_typeEEEZZNS1_27merge_sort_block_merge_implIS3_PlPS5_mZN2at6native12_GLOBAL__N_124unique_dim_cuda_templateIbEESt5tupleIJNSA_6TensorESF_SF_EERKSF_lbbbEUlllE_EE10hipError_tT0_T1_T2_jT3_P12ihipStream_tbPNSt15iterator_traitsISL_E10value_typeEPNSR_ISM_E10value_typeEPSN_NS1_7vsmem_tEENKUlT_SL_SM_SN_E_clIS8_S8_S9_S9_EESK_S10_SL_SM_SN_EUlS10_E_NS1_11comp_targetILNS1_3genE3ELNS1_11target_archE908ELNS1_3gpuE7ELNS1_3repE0EEENS1_48merge_mergepath_partition_config_static_selectorELNS0_4arch9wavefront6targetE0EEEvSM_.has_recursion, 0
	.set _ZN7rocprim17ROCPRIM_400000_NS6detail17trampoline_kernelINS0_14default_configENS1_38merge_sort_block_merge_config_selectorIlNS0_10empty_typeEEEZZNS1_27merge_sort_block_merge_implIS3_PlPS5_mZN2at6native12_GLOBAL__N_124unique_dim_cuda_templateIbEESt5tupleIJNSA_6TensorESF_SF_EERKSF_lbbbEUlllE_EE10hipError_tT0_T1_T2_jT3_P12ihipStream_tbPNSt15iterator_traitsISL_E10value_typeEPNSR_ISM_E10value_typeEPSN_NS1_7vsmem_tEENKUlT_SL_SM_SN_E_clIS8_S8_S9_S9_EESK_S10_SL_SM_SN_EUlS10_E_NS1_11comp_targetILNS1_3genE3ELNS1_11target_archE908ELNS1_3gpuE7ELNS1_3repE0EEENS1_48merge_mergepath_partition_config_static_selectorELNS0_4arch9wavefront6targetE0EEEvSM_.has_indirect_call, 0
	.section	.AMDGPU.csdata,"",@progbits
; Kernel info:
; codeLenInByte = 0
; TotalNumSgprs: 0
; NumVgprs: 0
; ScratchSize: 0
; MemoryBound: 0
; FloatMode: 240
; IeeeMode: 1
; LDSByteSize: 0 bytes/workgroup (compile time only)
; SGPRBlocks: 0
; VGPRBlocks: 0
; NumSGPRsForWavesPerEU: 1
; NumVGPRsForWavesPerEU: 1
; NamedBarCnt: 0
; Occupancy: 16
; WaveLimiterHint : 0
; COMPUTE_PGM_RSRC2:SCRATCH_EN: 0
; COMPUTE_PGM_RSRC2:USER_SGPR: 2
; COMPUTE_PGM_RSRC2:TRAP_HANDLER: 0
; COMPUTE_PGM_RSRC2:TGID_X_EN: 1
; COMPUTE_PGM_RSRC2:TGID_Y_EN: 0
; COMPUTE_PGM_RSRC2:TGID_Z_EN: 0
; COMPUTE_PGM_RSRC2:TIDIG_COMP_CNT: 0
	.section	.text._ZN7rocprim17ROCPRIM_400000_NS6detail17trampoline_kernelINS0_14default_configENS1_38merge_sort_block_merge_config_selectorIlNS0_10empty_typeEEEZZNS1_27merge_sort_block_merge_implIS3_PlPS5_mZN2at6native12_GLOBAL__N_124unique_dim_cuda_templateIbEESt5tupleIJNSA_6TensorESF_SF_EERKSF_lbbbEUlllE_EE10hipError_tT0_T1_T2_jT3_P12ihipStream_tbPNSt15iterator_traitsISL_E10value_typeEPNSR_ISM_E10value_typeEPSN_NS1_7vsmem_tEENKUlT_SL_SM_SN_E_clIS8_S8_S9_S9_EESK_S10_SL_SM_SN_EUlS10_E_NS1_11comp_targetILNS1_3genE2ELNS1_11target_archE906ELNS1_3gpuE6ELNS1_3repE0EEENS1_48merge_mergepath_partition_config_static_selectorELNS0_4arch9wavefront6targetE0EEEvSM_,"axG",@progbits,_ZN7rocprim17ROCPRIM_400000_NS6detail17trampoline_kernelINS0_14default_configENS1_38merge_sort_block_merge_config_selectorIlNS0_10empty_typeEEEZZNS1_27merge_sort_block_merge_implIS3_PlPS5_mZN2at6native12_GLOBAL__N_124unique_dim_cuda_templateIbEESt5tupleIJNSA_6TensorESF_SF_EERKSF_lbbbEUlllE_EE10hipError_tT0_T1_T2_jT3_P12ihipStream_tbPNSt15iterator_traitsISL_E10value_typeEPNSR_ISM_E10value_typeEPSN_NS1_7vsmem_tEENKUlT_SL_SM_SN_E_clIS8_S8_S9_S9_EESK_S10_SL_SM_SN_EUlS10_E_NS1_11comp_targetILNS1_3genE2ELNS1_11target_archE906ELNS1_3gpuE6ELNS1_3repE0EEENS1_48merge_mergepath_partition_config_static_selectorELNS0_4arch9wavefront6targetE0EEEvSM_,comdat
	.globl	_ZN7rocprim17ROCPRIM_400000_NS6detail17trampoline_kernelINS0_14default_configENS1_38merge_sort_block_merge_config_selectorIlNS0_10empty_typeEEEZZNS1_27merge_sort_block_merge_implIS3_PlPS5_mZN2at6native12_GLOBAL__N_124unique_dim_cuda_templateIbEESt5tupleIJNSA_6TensorESF_SF_EERKSF_lbbbEUlllE_EE10hipError_tT0_T1_T2_jT3_P12ihipStream_tbPNSt15iterator_traitsISL_E10value_typeEPNSR_ISM_E10value_typeEPSN_NS1_7vsmem_tEENKUlT_SL_SM_SN_E_clIS8_S8_S9_S9_EESK_S10_SL_SM_SN_EUlS10_E_NS1_11comp_targetILNS1_3genE2ELNS1_11target_archE906ELNS1_3gpuE6ELNS1_3repE0EEENS1_48merge_mergepath_partition_config_static_selectorELNS0_4arch9wavefront6targetE0EEEvSM_ ; -- Begin function _ZN7rocprim17ROCPRIM_400000_NS6detail17trampoline_kernelINS0_14default_configENS1_38merge_sort_block_merge_config_selectorIlNS0_10empty_typeEEEZZNS1_27merge_sort_block_merge_implIS3_PlPS5_mZN2at6native12_GLOBAL__N_124unique_dim_cuda_templateIbEESt5tupleIJNSA_6TensorESF_SF_EERKSF_lbbbEUlllE_EE10hipError_tT0_T1_T2_jT3_P12ihipStream_tbPNSt15iterator_traitsISL_E10value_typeEPNSR_ISM_E10value_typeEPSN_NS1_7vsmem_tEENKUlT_SL_SM_SN_E_clIS8_S8_S9_S9_EESK_S10_SL_SM_SN_EUlS10_E_NS1_11comp_targetILNS1_3genE2ELNS1_11target_archE906ELNS1_3gpuE6ELNS1_3repE0EEENS1_48merge_mergepath_partition_config_static_selectorELNS0_4arch9wavefront6targetE0EEEvSM_
	.p2align	8
	.type	_ZN7rocprim17ROCPRIM_400000_NS6detail17trampoline_kernelINS0_14default_configENS1_38merge_sort_block_merge_config_selectorIlNS0_10empty_typeEEEZZNS1_27merge_sort_block_merge_implIS3_PlPS5_mZN2at6native12_GLOBAL__N_124unique_dim_cuda_templateIbEESt5tupleIJNSA_6TensorESF_SF_EERKSF_lbbbEUlllE_EE10hipError_tT0_T1_T2_jT3_P12ihipStream_tbPNSt15iterator_traitsISL_E10value_typeEPNSR_ISM_E10value_typeEPSN_NS1_7vsmem_tEENKUlT_SL_SM_SN_E_clIS8_S8_S9_S9_EESK_S10_SL_SM_SN_EUlS10_E_NS1_11comp_targetILNS1_3genE2ELNS1_11target_archE906ELNS1_3gpuE6ELNS1_3repE0EEENS1_48merge_mergepath_partition_config_static_selectorELNS0_4arch9wavefront6targetE0EEEvSM_,@function
_ZN7rocprim17ROCPRIM_400000_NS6detail17trampoline_kernelINS0_14default_configENS1_38merge_sort_block_merge_config_selectorIlNS0_10empty_typeEEEZZNS1_27merge_sort_block_merge_implIS3_PlPS5_mZN2at6native12_GLOBAL__N_124unique_dim_cuda_templateIbEESt5tupleIJNSA_6TensorESF_SF_EERKSF_lbbbEUlllE_EE10hipError_tT0_T1_T2_jT3_P12ihipStream_tbPNSt15iterator_traitsISL_E10value_typeEPNSR_ISM_E10value_typeEPSN_NS1_7vsmem_tEENKUlT_SL_SM_SN_E_clIS8_S8_S9_S9_EESK_S10_SL_SM_SN_EUlS10_E_NS1_11comp_targetILNS1_3genE2ELNS1_11target_archE906ELNS1_3gpuE6ELNS1_3repE0EEENS1_48merge_mergepath_partition_config_static_selectorELNS0_4arch9wavefront6targetE0EEEvSM_: ; @_ZN7rocprim17ROCPRIM_400000_NS6detail17trampoline_kernelINS0_14default_configENS1_38merge_sort_block_merge_config_selectorIlNS0_10empty_typeEEEZZNS1_27merge_sort_block_merge_implIS3_PlPS5_mZN2at6native12_GLOBAL__N_124unique_dim_cuda_templateIbEESt5tupleIJNSA_6TensorESF_SF_EERKSF_lbbbEUlllE_EE10hipError_tT0_T1_T2_jT3_P12ihipStream_tbPNSt15iterator_traitsISL_E10value_typeEPNSR_ISM_E10value_typeEPSN_NS1_7vsmem_tEENKUlT_SL_SM_SN_E_clIS8_S8_S9_S9_EESK_S10_SL_SM_SN_EUlS10_E_NS1_11comp_targetILNS1_3genE2ELNS1_11target_archE906ELNS1_3gpuE6ELNS1_3repE0EEENS1_48merge_mergepath_partition_config_static_selectorELNS0_4arch9wavefront6targetE0EEEvSM_
; %bb.0:
	.section	.rodata,"a",@progbits
	.p2align	6, 0x0
	.amdhsa_kernel _ZN7rocprim17ROCPRIM_400000_NS6detail17trampoline_kernelINS0_14default_configENS1_38merge_sort_block_merge_config_selectorIlNS0_10empty_typeEEEZZNS1_27merge_sort_block_merge_implIS3_PlPS5_mZN2at6native12_GLOBAL__N_124unique_dim_cuda_templateIbEESt5tupleIJNSA_6TensorESF_SF_EERKSF_lbbbEUlllE_EE10hipError_tT0_T1_T2_jT3_P12ihipStream_tbPNSt15iterator_traitsISL_E10value_typeEPNSR_ISM_E10value_typeEPSN_NS1_7vsmem_tEENKUlT_SL_SM_SN_E_clIS8_S8_S9_S9_EESK_S10_SL_SM_SN_EUlS10_E_NS1_11comp_targetILNS1_3genE2ELNS1_11target_archE906ELNS1_3gpuE6ELNS1_3repE0EEENS1_48merge_mergepath_partition_config_static_selectorELNS0_4arch9wavefront6targetE0EEEvSM_
		.amdhsa_group_segment_fixed_size 0
		.amdhsa_private_segment_fixed_size 0
		.amdhsa_kernarg_size 56
		.amdhsa_user_sgpr_count 2
		.amdhsa_user_sgpr_dispatch_ptr 0
		.amdhsa_user_sgpr_queue_ptr 0
		.amdhsa_user_sgpr_kernarg_segment_ptr 1
		.amdhsa_user_sgpr_dispatch_id 0
		.amdhsa_user_sgpr_kernarg_preload_length 0
		.amdhsa_user_sgpr_kernarg_preload_offset 0
		.amdhsa_user_sgpr_private_segment_size 0
		.amdhsa_wavefront_size32 1
		.amdhsa_uses_dynamic_stack 0
		.amdhsa_enable_private_segment 0
		.amdhsa_system_sgpr_workgroup_id_x 1
		.amdhsa_system_sgpr_workgroup_id_y 0
		.amdhsa_system_sgpr_workgroup_id_z 0
		.amdhsa_system_sgpr_workgroup_info 0
		.amdhsa_system_vgpr_workitem_id 0
		.amdhsa_next_free_vgpr 1
		.amdhsa_next_free_sgpr 1
		.amdhsa_named_barrier_count 0
		.amdhsa_reserve_vcc 0
		.amdhsa_float_round_mode_32 0
		.amdhsa_float_round_mode_16_64 0
		.amdhsa_float_denorm_mode_32 3
		.amdhsa_float_denorm_mode_16_64 3
		.amdhsa_fp16_overflow 0
		.amdhsa_memory_ordered 1
		.amdhsa_forward_progress 1
		.amdhsa_inst_pref_size 0
		.amdhsa_round_robin_scheduling 0
		.amdhsa_exception_fp_ieee_invalid_op 0
		.amdhsa_exception_fp_denorm_src 0
		.amdhsa_exception_fp_ieee_div_zero 0
		.amdhsa_exception_fp_ieee_overflow 0
		.amdhsa_exception_fp_ieee_underflow 0
		.amdhsa_exception_fp_ieee_inexact 0
		.amdhsa_exception_int_div_zero 0
	.end_amdhsa_kernel
	.section	.text._ZN7rocprim17ROCPRIM_400000_NS6detail17trampoline_kernelINS0_14default_configENS1_38merge_sort_block_merge_config_selectorIlNS0_10empty_typeEEEZZNS1_27merge_sort_block_merge_implIS3_PlPS5_mZN2at6native12_GLOBAL__N_124unique_dim_cuda_templateIbEESt5tupleIJNSA_6TensorESF_SF_EERKSF_lbbbEUlllE_EE10hipError_tT0_T1_T2_jT3_P12ihipStream_tbPNSt15iterator_traitsISL_E10value_typeEPNSR_ISM_E10value_typeEPSN_NS1_7vsmem_tEENKUlT_SL_SM_SN_E_clIS8_S8_S9_S9_EESK_S10_SL_SM_SN_EUlS10_E_NS1_11comp_targetILNS1_3genE2ELNS1_11target_archE906ELNS1_3gpuE6ELNS1_3repE0EEENS1_48merge_mergepath_partition_config_static_selectorELNS0_4arch9wavefront6targetE0EEEvSM_,"axG",@progbits,_ZN7rocprim17ROCPRIM_400000_NS6detail17trampoline_kernelINS0_14default_configENS1_38merge_sort_block_merge_config_selectorIlNS0_10empty_typeEEEZZNS1_27merge_sort_block_merge_implIS3_PlPS5_mZN2at6native12_GLOBAL__N_124unique_dim_cuda_templateIbEESt5tupleIJNSA_6TensorESF_SF_EERKSF_lbbbEUlllE_EE10hipError_tT0_T1_T2_jT3_P12ihipStream_tbPNSt15iterator_traitsISL_E10value_typeEPNSR_ISM_E10value_typeEPSN_NS1_7vsmem_tEENKUlT_SL_SM_SN_E_clIS8_S8_S9_S9_EESK_S10_SL_SM_SN_EUlS10_E_NS1_11comp_targetILNS1_3genE2ELNS1_11target_archE906ELNS1_3gpuE6ELNS1_3repE0EEENS1_48merge_mergepath_partition_config_static_selectorELNS0_4arch9wavefront6targetE0EEEvSM_,comdat
.Lfunc_end1007:
	.size	_ZN7rocprim17ROCPRIM_400000_NS6detail17trampoline_kernelINS0_14default_configENS1_38merge_sort_block_merge_config_selectorIlNS0_10empty_typeEEEZZNS1_27merge_sort_block_merge_implIS3_PlPS5_mZN2at6native12_GLOBAL__N_124unique_dim_cuda_templateIbEESt5tupleIJNSA_6TensorESF_SF_EERKSF_lbbbEUlllE_EE10hipError_tT0_T1_T2_jT3_P12ihipStream_tbPNSt15iterator_traitsISL_E10value_typeEPNSR_ISM_E10value_typeEPSN_NS1_7vsmem_tEENKUlT_SL_SM_SN_E_clIS8_S8_S9_S9_EESK_S10_SL_SM_SN_EUlS10_E_NS1_11comp_targetILNS1_3genE2ELNS1_11target_archE906ELNS1_3gpuE6ELNS1_3repE0EEENS1_48merge_mergepath_partition_config_static_selectorELNS0_4arch9wavefront6targetE0EEEvSM_, .Lfunc_end1007-_ZN7rocprim17ROCPRIM_400000_NS6detail17trampoline_kernelINS0_14default_configENS1_38merge_sort_block_merge_config_selectorIlNS0_10empty_typeEEEZZNS1_27merge_sort_block_merge_implIS3_PlPS5_mZN2at6native12_GLOBAL__N_124unique_dim_cuda_templateIbEESt5tupleIJNSA_6TensorESF_SF_EERKSF_lbbbEUlllE_EE10hipError_tT0_T1_T2_jT3_P12ihipStream_tbPNSt15iterator_traitsISL_E10value_typeEPNSR_ISM_E10value_typeEPSN_NS1_7vsmem_tEENKUlT_SL_SM_SN_E_clIS8_S8_S9_S9_EESK_S10_SL_SM_SN_EUlS10_E_NS1_11comp_targetILNS1_3genE2ELNS1_11target_archE906ELNS1_3gpuE6ELNS1_3repE0EEENS1_48merge_mergepath_partition_config_static_selectorELNS0_4arch9wavefront6targetE0EEEvSM_
                                        ; -- End function
	.set _ZN7rocprim17ROCPRIM_400000_NS6detail17trampoline_kernelINS0_14default_configENS1_38merge_sort_block_merge_config_selectorIlNS0_10empty_typeEEEZZNS1_27merge_sort_block_merge_implIS3_PlPS5_mZN2at6native12_GLOBAL__N_124unique_dim_cuda_templateIbEESt5tupleIJNSA_6TensorESF_SF_EERKSF_lbbbEUlllE_EE10hipError_tT0_T1_T2_jT3_P12ihipStream_tbPNSt15iterator_traitsISL_E10value_typeEPNSR_ISM_E10value_typeEPSN_NS1_7vsmem_tEENKUlT_SL_SM_SN_E_clIS8_S8_S9_S9_EESK_S10_SL_SM_SN_EUlS10_E_NS1_11comp_targetILNS1_3genE2ELNS1_11target_archE906ELNS1_3gpuE6ELNS1_3repE0EEENS1_48merge_mergepath_partition_config_static_selectorELNS0_4arch9wavefront6targetE0EEEvSM_.num_vgpr, 0
	.set _ZN7rocprim17ROCPRIM_400000_NS6detail17trampoline_kernelINS0_14default_configENS1_38merge_sort_block_merge_config_selectorIlNS0_10empty_typeEEEZZNS1_27merge_sort_block_merge_implIS3_PlPS5_mZN2at6native12_GLOBAL__N_124unique_dim_cuda_templateIbEESt5tupleIJNSA_6TensorESF_SF_EERKSF_lbbbEUlllE_EE10hipError_tT0_T1_T2_jT3_P12ihipStream_tbPNSt15iterator_traitsISL_E10value_typeEPNSR_ISM_E10value_typeEPSN_NS1_7vsmem_tEENKUlT_SL_SM_SN_E_clIS8_S8_S9_S9_EESK_S10_SL_SM_SN_EUlS10_E_NS1_11comp_targetILNS1_3genE2ELNS1_11target_archE906ELNS1_3gpuE6ELNS1_3repE0EEENS1_48merge_mergepath_partition_config_static_selectorELNS0_4arch9wavefront6targetE0EEEvSM_.num_agpr, 0
	.set _ZN7rocprim17ROCPRIM_400000_NS6detail17trampoline_kernelINS0_14default_configENS1_38merge_sort_block_merge_config_selectorIlNS0_10empty_typeEEEZZNS1_27merge_sort_block_merge_implIS3_PlPS5_mZN2at6native12_GLOBAL__N_124unique_dim_cuda_templateIbEESt5tupleIJNSA_6TensorESF_SF_EERKSF_lbbbEUlllE_EE10hipError_tT0_T1_T2_jT3_P12ihipStream_tbPNSt15iterator_traitsISL_E10value_typeEPNSR_ISM_E10value_typeEPSN_NS1_7vsmem_tEENKUlT_SL_SM_SN_E_clIS8_S8_S9_S9_EESK_S10_SL_SM_SN_EUlS10_E_NS1_11comp_targetILNS1_3genE2ELNS1_11target_archE906ELNS1_3gpuE6ELNS1_3repE0EEENS1_48merge_mergepath_partition_config_static_selectorELNS0_4arch9wavefront6targetE0EEEvSM_.numbered_sgpr, 0
	.set _ZN7rocprim17ROCPRIM_400000_NS6detail17trampoline_kernelINS0_14default_configENS1_38merge_sort_block_merge_config_selectorIlNS0_10empty_typeEEEZZNS1_27merge_sort_block_merge_implIS3_PlPS5_mZN2at6native12_GLOBAL__N_124unique_dim_cuda_templateIbEESt5tupleIJNSA_6TensorESF_SF_EERKSF_lbbbEUlllE_EE10hipError_tT0_T1_T2_jT3_P12ihipStream_tbPNSt15iterator_traitsISL_E10value_typeEPNSR_ISM_E10value_typeEPSN_NS1_7vsmem_tEENKUlT_SL_SM_SN_E_clIS8_S8_S9_S9_EESK_S10_SL_SM_SN_EUlS10_E_NS1_11comp_targetILNS1_3genE2ELNS1_11target_archE906ELNS1_3gpuE6ELNS1_3repE0EEENS1_48merge_mergepath_partition_config_static_selectorELNS0_4arch9wavefront6targetE0EEEvSM_.num_named_barrier, 0
	.set _ZN7rocprim17ROCPRIM_400000_NS6detail17trampoline_kernelINS0_14default_configENS1_38merge_sort_block_merge_config_selectorIlNS0_10empty_typeEEEZZNS1_27merge_sort_block_merge_implIS3_PlPS5_mZN2at6native12_GLOBAL__N_124unique_dim_cuda_templateIbEESt5tupleIJNSA_6TensorESF_SF_EERKSF_lbbbEUlllE_EE10hipError_tT0_T1_T2_jT3_P12ihipStream_tbPNSt15iterator_traitsISL_E10value_typeEPNSR_ISM_E10value_typeEPSN_NS1_7vsmem_tEENKUlT_SL_SM_SN_E_clIS8_S8_S9_S9_EESK_S10_SL_SM_SN_EUlS10_E_NS1_11comp_targetILNS1_3genE2ELNS1_11target_archE906ELNS1_3gpuE6ELNS1_3repE0EEENS1_48merge_mergepath_partition_config_static_selectorELNS0_4arch9wavefront6targetE0EEEvSM_.private_seg_size, 0
	.set _ZN7rocprim17ROCPRIM_400000_NS6detail17trampoline_kernelINS0_14default_configENS1_38merge_sort_block_merge_config_selectorIlNS0_10empty_typeEEEZZNS1_27merge_sort_block_merge_implIS3_PlPS5_mZN2at6native12_GLOBAL__N_124unique_dim_cuda_templateIbEESt5tupleIJNSA_6TensorESF_SF_EERKSF_lbbbEUlllE_EE10hipError_tT0_T1_T2_jT3_P12ihipStream_tbPNSt15iterator_traitsISL_E10value_typeEPNSR_ISM_E10value_typeEPSN_NS1_7vsmem_tEENKUlT_SL_SM_SN_E_clIS8_S8_S9_S9_EESK_S10_SL_SM_SN_EUlS10_E_NS1_11comp_targetILNS1_3genE2ELNS1_11target_archE906ELNS1_3gpuE6ELNS1_3repE0EEENS1_48merge_mergepath_partition_config_static_selectorELNS0_4arch9wavefront6targetE0EEEvSM_.uses_vcc, 0
	.set _ZN7rocprim17ROCPRIM_400000_NS6detail17trampoline_kernelINS0_14default_configENS1_38merge_sort_block_merge_config_selectorIlNS0_10empty_typeEEEZZNS1_27merge_sort_block_merge_implIS3_PlPS5_mZN2at6native12_GLOBAL__N_124unique_dim_cuda_templateIbEESt5tupleIJNSA_6TensorESF_SF_EERKSF_lbbbEUlllE_EE10hipError_tT0_T1_T2_jT3_P12ihipStream_tbPNSt15iterator_traitsISL_E10value_typeEPNSR_ISM_E10value_typeEPSN_NS1_7vsmem_tEENKUlT_SL_SM_SN_E_clIS8_S8_S9_S9_EESK_S10_SL_SM_SN_EUlS10_E_NS1_11comp_targetILNS1_3genE2ELNS1_11target_archE906ELNS1_3gpuE6ELNS1_3repE0EEENS1_48merge_mergepath_partition_config_static_selectorELNS0_4arch9wavefront6targetE0EEEvSM_.uses_flat_scratch, 0
	.set _ZN7rocprim17ROCPRIM_400000_NS6detail17trampoline_kernelINS0_14default_configENS1_38merge_sort_block_merge_config_selectorIlNS0_10empty_typeEEEZZNS1_27merge_sort_block_merge_implIS3_PlPS5_mZN2at6native12_GLOBAL__N_124unique_dim_cuda_templateIbEESt5tupleIJNSA_6TensorESF_SF_EERKSF_lbbbEUlllE_EE10hipError_tT0_T1_T2_jT3_P12ihipStream_tbPNSt15iterator_traitsISL_E10value_typeEPNSR_ISM_E10value_typeEPSN_NS1_7vsmem_tEENKUlT_SL_SM_SN_E_clIS8_S8_S9_S9_EESK_S10_SL_SM_SN_EUlS10_E_NS1_11comp_targetILNS1_3genE2ELNS1_11target_archE906ELNS1_3gpuE6ELNS1_3repE0EEENS1_48merge_mergepath_partition_config_static_selectorELNS0_4arch9wavefront6targetE0EEEvSM_.has_dyn_sized_stack, 0
	.set _ZN7rocprim17ROCPRIM_400000_NS6detail17trampoline_kernelINS0_14default_configENS1_38merge_sort_block_merge_config_selectorIlNS0_10empty_typeEEEZZNS1_27merge_sort_block_merge_implIS3_PlPS5_mZN2at6native12_GLOBAL__N_124unique_dim_cuda_templateIbEESt5tupleIJNSA_6TensorESF_SF_EERKSF_lbbbEUlllE_EE10hipError_tT0_T1_T2_jT3_P12ihipStream_tbPNSt15iterator_traitsISL_E10value_typeEPNSR_ISM_E10value_typeEPSN_NS1_7vsmem_tEENKUlT_SL_SM_SN_E_clIS8_S8_S9_S9_EESK_S10_SL_SM_SN_EUlS10_E_NS1_11comp_targetILNS1_3genE2ELNS1_11target_archE906ELNS1_3gpuE6ELNS1_3repE0EEENS1_48merge_mergepath_partition_config_static_selectorELNS0_4arch9wavefront6targetE0EEEvSM_.has_recursion, 0
	.set _ZN7rocprim17ROCPRIM_400000_NS6detail17trampoline_kernelINS0_14default_configENS1_38merge_sort_block_merge_config_selectorIlNS0_10empty_typeEEEZZNS1_27merge_sort_block_merge_implIS3_PlPS5_mZN2at6native12_GLOBAL__N_124unique_dim_cuda_templateIbEESt5tupleIJNSA_6TensorESF_SF_EERKSF_lbbbEUlllE_EE10hipError_tT0_T1_T2_jT3_P12ihipStream_tbPNSt15iterator_traitsISL_E10value_typeEPNSR_ISM_E10value_typeEPSN_NS1_7vsmem_tEENKUlT_SL_SM_SN_E_clIS8_S8_S9_S9_EESK_S10_SL_SM_SN_EUlS10_E_NS1_11comp_targetILNS1_3genE2ELNS1_11target_archE906ELNS1_3gpuE6ELNS1_3repE0EEENS1_48merge_mergepath_partition_config_static_selectorELNS0_4arch9wavefront6targetE0EEEvSM_.has_indirect_call, 0
	.section	.AMDGPU.csdata,"",@progbits
; Kernel info:
; codeLenInByte = 0
; TotalNumSgprs: 0
; NumVgprs: 0
; ScratchSize: 0
; MemoryBound: 0
; FloatMode: 240
; IeeeMode: 1
; LDSByteSize: 0 bytes/workgroup (compile time only)
; SGPRBlocks: 0
; VGPRBlocks: 0
; NumSGPRsForWavesPerEU: 1
; NumVGPRsForWavesPerEU: 1
; NamedBarCnt: 0
; Occupancy: 16
; WaveLimiterHint : 0
; COMPUTE_PGM_RSRC2:SCRATCH_EN: 0
; COMPUTE_PGM_RSRC2:USER_SGPR: 2
; COMPUTE_PGM_RSRC2:TRAP_HANDLER: 0
; COMPUTE_PGM_RSRC2:TGID_X_EN: 1
; COMPUTE_PGM_RSRC2:TGID_Y_EN: 0
; COMPUTE_PGM_RSRC2:TGID_Z_EN: 0
; COMPUTE_PGM_RSRC2:TIDIG_COMP_CNT: 0
	.section	.text._ZN7rocprim17ROCPRIM_400000_NS6detail17trampoline_kernelINS0_14default_configENS1_38merge_sort_block_merge_config_selectorIlNS0_10empty_typeEEEZZNS1_27merge_sort_block_merge_implIS3_PlPS5_mZN2at6native12_GLOBAL__N_124unique_dim_cuda_templateIbEESt5tupleIJNSA_6TensorESF_SF_EERKSF_lbbbEUlllE_EE10hipError_tT0_T1_T2_jT3_P12ihipStream_tbPNSt15iterator_traitsISL_E10value_typeEPNSR_ISM_E10value_typeEPSN_NS1_7vsmem_tEENKUlT_SL_SM_SN_E_clIS8_S8_S9_S9_EESK_S10_SL_SM_SN_EUlS10_E_NS1_11comp_targetILNS1_3genE9ELNS1_11target_archE1100ELNS1_3gpuE3ELNS1_3repE0EEENS1_48merge_mergepath_partition_config_static_selectorELNS0_4arch9wavefront6targetE0EEEvSM_,"axG",@progbits,_ZN7rocprim17ROCPRIM_400000_NS6detail17trampoline_kernelINS0_14default_configENS1_38merge_sort_block_merge_config_selectorIlNS0_10empty_typeEEEZZNS1_27merge_sort_block_merge_implIS3_PlPS5_mZN2at6native12_GLOBAL__N_124unique_dim_cuda_templateIbEESt5tupleIJNSA_6TensorESF_SF_EERKSF_lbbbEUlllE_EE10hipError_tT0_T1_T2_jT3_P12ihipStream_tbPNSt15iterator_traitsISL_E10value_typeEPNSR_ISM_E10value_typeEPSN_NS1_7vsmem_tEENKUlT_SL_SM_SN_E_clIS8_S8_S9_S9_EESK_S10_SL_SM_SN_EUlS10_E_NS1_11comp_targetILNS1_3genE9ELNS1_11target_archE1100ELNS1_3gpuE3ELNS1_3repE0EEENS1_48merge_mergepath_partition_config_static_selectorELNS0_4arch9wavefront6targetE0EEEvSM_,comdat
	.globl	_ZN7rocprim17ROCPRIM_400000_NS6detail17trampoline_kernelINS0_14default_configENS1_38merge_sort_block_merge_config_selectorIlNS0_10empty_typeEEEZZNS1_27merge_sort_block_merge_implIS3_PlPS5_mZN2at6native12_GLOBAL__N_124unique_dim_cuda_templateIbEESt5tupleIJNSA_6TensorESF_SF_EERKSF_lbbbEUlllE_EE10hipError_tT0_T1_T2_jT3_P12ihipStream_tbPNSt15iterator_traitsISL_E10value_typeEPNSR_ISM_E10value_typeEPSN_NS1_7vsmem_tEENKUlT_SL_SM_SN_E_clIS8_S8_S9_S9_EESK_S10_SL_SM_SN_EUlS10_E_NS1_11comp_targetILNS1_3genE9ELNS1_11target_archE1100ELNS1_3gpuE3ELNS1_3repE0EEENS1_48merge_mergepath_partition_config_static_selectorELNS0_4arch9wavefront6targetE0EEEvSM_ ; -- Begin function _ZN7rocprim17ROCPRIM_400000_NS6detail17trampoline_kernelINS0_14default_configENS1_38merge_sort_block_merge_config_selectorIlNS0_10empty_typeEEEZZNS1_27merge_sort_block_merge_implIS3_PlPS5_mZN2at6native12_GLOBAL__N_124unique_dim_cuda_templateIbEESt5tupleIJNSA_6TensorESF_SF_EERKSF_lbbbEUlllE_EE10hipError_tT0_T1_T2_jT3_P12ihipStream_tbPNSt15iterator_traitsISL_E10value_typeEPNSR_ISM_E10value_typeEPSN_NS1_7vsmem_tEENKUlT_SL_SM_SN_E_clIS8_S8_S9_S9_EESK_S10_SL_SM_SN_EUlS10_E_NS1_11comp_targetILNS1_3genE9ELNS1_11target_archE1100ELNS1_3gpuE3ELNS1_3repE0EEENS1_48merge_mergepath_partition_config_static_selectorELNS0_4arch9wavefront6targetE0EEEvSM_
	.p2align	8
	.type	_ZN7rocprim17ROCPRIM_400000_NS6detail17trampoline_kernelINS0_14default_configENS1_38merge_sort_block_merge_config_selectorIlNS0_10empty_typeEEEZZNS1_27merge_sort_block_merge_implIS3_PlPS5_mZN2at6native12_GLOBAL__N_124unique_dim_cuda_templateIbEESt5tupleIJNSA_6TensorESF_SF_EERKSF_lbbbEUlllE_EE10hipError_tT0_T1_T2_jT3_P12ihipStream_tbPNSt15iterator_traitsISL_E10value_typeEPNSR_ISM_E10value_typeEPSN_NS1_7vsmem_tEENKUlT_SL_SM_SN_E_clIS8_S8_S9_S9_EESK_S10_SL_SM_SN_EUlS10_E_NS1_11comp_targetILNS1_3genE9ELNS1_11target_archE1100ELNS1_3gpuE3ELNS1_3repE0EEENS1_48merge_mergepath_partition_config_static_selectorELNS0_4arch9wavefront6targetE0EEEvSM_,@function
_ZN7rocprim17ROCPRIM_400000_NS6detail17trampoline_kernelINS0_14default_configENS1_38merge_sort_block_merge_config_selectorIlNS0_10empty_typeEEEZZNS1_27merge_sort_block_merge_implIS3_PlPS5_mZN2at6native12_GLOBAL__N_124unique_dim_cuda_templateIbEESt5tupleIJNSA_6TensorESF_SF_EERKSF_lbbbEUlllE_EE10hipError_tT0_T1_T2_jT3_P12ihipStream_tbPNSt15iterator_traitsISL_E10value_typeEPNSR_ISM_E10value_typeEPSN_NS1_7vsmem_tEENKUlT_SL_SM_SN_E_clIS8_S8_S9_S9_EESK_S10_SL_SM_SN_EUlS10_E_NS1_11comp_targetILNS1_3genE9ELNS1_11target_archE1100ELNS1_3gpuE3ELNS1_3repE0EEENS1_48merge_mergepath_partition_config_static_selectorELNS0_4arch9wavefront6targetE0EEEvSM_: ; @_ZN7rocprim17ROCPRIM_400000_NS6detail17trampoline_kernelINS0_14default_configENS1_38merge_sort_block_merge_config_selectorIlNS0_10empty_typeEEEZZNS1_27merge_sort_block_merge_implIS3_PlPS5_mZN2at6native12_GLOBAL__N_124unique_dim_cuda_templateIbEESt5tupleIJNSA_6TensorESF_SF_EERKSF_lbbbEUlllE_EE10hipError_tT0_T1_T2_jT3_P12ihipStream_tbPNSt15iterator_traitsISL_E10value_typeEPNSR_ISM_E10value_typeEPSN_NS1_7vsmem_tEENKUlT_SL_SM_SN_E_clIS8_S8_S9_S9_EESK_S10_SL_SM_SN_EUlS10_E_NS1_11comp_targetILNS1_3genE9ELNS1_11target_archE1100ELNS1_3gpuE3ELNS1_3repE0EEENS1_48merge_mergepath_partition_config_static_selectorELNS0_4arch9wavefront6targetE0EEEvSM_
; %bb.0:
	.section	.rodata,"a",@progbits
	.p2align	6, 0x0
	.amdhsa_kernel _ZN7rocprim17ROCPRIM_400000_NS6detail17trampoline_kernelINS0_14default_configENS1_38merge_sort_block_merge_config_selectorIlNS0_10empty_typeEEEZZNS1_27merge_sort_block_merge_implIS3_PlPS5_mZN2at6native12_GLOBAL__N_124unique_dim_cuda_templateIbEESt5tupleIJNSA_6TensorESF_SF_EERKSF_lbbbEUlllE_EE10hipError_tT0_T1_T2_jT3_P12ihipStream_tbPNSt15iterator_traitsISL_E10value_typeEPNSR_ISM_E10value_typeEPSN_NS1_7vsmem_tEENKUlT_SL_SM_SN_E_clIS8_S8_S9_S9_EESK_S10_SL_SM_SN_EUlS10_E_NS1_11comp_targetILNS1_3genE9ELNS1_11target_archE1100ELNS1_3gpuE3ELNS1_3repE0EEENS1_48merge_mergepath_partition_config_static_selectorELNS0_4arch9wavefront6targetE0EEEvSM_
		.amdhsa_group_segment_fixed_size 0
		.amdhsa_private_segment_fixed_size 0
		.amdhsa_kernarg_size 56
		.amdhsa_user_sgpr_count 2
		.amdhsa_user_sgpr_dispatch_ptr 0
		.amdhsa_user_sgpr_queue_ptr 0
		.amdhsa_user_sgpr_kernarg_segment_ptr 1
		.amdhsa_user_sgpr_dispatch_id 0
		.amdhsa_user_sgpr_kernarg_preload_length 0
		.amdhsa_user_sgpr_kernarg_preload_offset 0
		.amdhsa_user_sgpr_private_segment_size 0
		.amdhsa_wavefront_size32 1
		.amdhsa_uses_dynamic_stack 0
		.amdhsa_enable_private_segment 0
		.amdhsa_system_sgpr_workgroup_id_x 1
		.amdhsa_system_sgpr_workgroup_id_y 0
		.amdhsa_system_sgpr_workgroup_id_z 0
		.amdhsa_system_sgpr_workgroup_info 0
		.amdhsa_system_vgpr_workitem_id 0
		.amdhsa_next_free_vgpr 1
		.amdhsa_next_free_sgpr 1
		.amdhsa_named_barrier_count 0
		.amdhsa_reserve_vcc 0
		.amdhsa_float_round_mode_32 0
		.amdhsa_float_round_mode_16_64 0
		.amdhsa_float_denorm_mode_32 3
		.amdhsa_float_denorm_mode_16_64 3
		.amdhsa_fp16_overflow 0
		.amdhsa_memory_ordered 1
		.amdhsa_forward_progress 1
		.amdhsa_inst_pref_size 0
		.amdhsa_round_robin_scheduling 0
		.amdhsa_exception_fp_ieee_invalid_op 0
		.amdhsa_exception_fp_denorm_src 0
		.amdhsa_exception_fp_ieee_div_zero 0
		.amdhsa_exception_fp_ieee_overflow 0
		.amdhsa_exception_fp_ieee_underflow 0
		.amdhsa_exception_fp_ieee_inexact 0
		.amdhsa_exception_int_div_zero 0
	.end_amdhsa_kernel
	.section	.text._ZN7rocprim17ROCPRIM_400000_NS6detail17trampoline_kernelINS0_14default_configENS1_38merge_sort_block_merge_config_selectorIlNS0_10empty_typeEEEZZNS1_27merge_sort_block_merge_implIS3_PlPS5_mZN2at6native12_GLOBAL__N_124unique_dim_cuda_templateIbEESt5tupleIJNSA_6TensorESF_SF_EERKSF_lbbbEUlllE_EE10hipError_tT0_T1_T2_jT3_P12ihipStream_tbPNSt15iterator_traitsISL_E10value_typeEPNSR_ISM_E10value_typeEPSN_NS1_7vsmem_tEENKUlT_SL_SM_SN_E_clIS8_S8_S9_S9_EESK_S10_SL_SM_SN_EUlS10_E_NS1_11comp_targetILNS1_3genE9ELNS1_11target_archE1100ELNS1_3gpuE3ELNS1_3repE0EEENS1_48merge_mergepath_partition_config_static_selectorELNS0_4arch9wavefront6targetE0EEEvSM_,"axG",@progbits,_ZN7rocprim17ROCPRIM_400000_NS6detail17trampoline_kernelINS0_14default_configENS1_38merge_sort_block_merge_config_selectorIlNS0_10empty_typeEEEZZNS1_27merge_sort_block_merge_implIS3_PlPS5_mZN2at6native12_GLOBAL__N_124unique_dim_cuda_templateIbEESt5tupleIJNSA_6TensorESF_SF_EERKSF_lbbbEUlllE_EE10hipError_tT0_T1_T2_jT3_P12ihipStream_tbPNSt15iterator_traitsISL_E10value_typeEPNSR_ISM_E10value_typeEPSN_NS1_7vsmem_tEENKUlT_SL_SM_SN_E_clIS8_S8_S9_S9_EESK_S10_SL_SM_SN_EUlS10_E_NS1_11comp_targetILNS1_3genE9ELNS1_11target_archE1100ELNS1_3gpuE3ELNS1_3repE0EEENS1_48merge_mergepath_partition_config_static_selectorELNS0_4arch9wavefront6targetE0EEEvSM_,comdat
.Lfunc_end1008:
	.size	_ZN7rocprim17ROCPRIM_400000_NS6detail17trampoline_kernelINS0_14default_configENS1_38merge_sort_block_merge_config_selectorIlNS0_10empty_typeEEEZZNS1_27merge_sort_block_merge_implIS3_PlPS5_mZN2at6native12_GLOBAL__N_124unique_dim_cuda_templateIbEESt5tupleIJNSA_6TensorESF_SF_EERKSF_lbbbEUlllE_EE10hipError_tT0_T1_T2_jT3_P12ihipStream_tbPNSt15iterator_traitsISL_E10value_typeEPNSR_ISM_E10value_typeEPSN_NS1_7vsmem_tEENKUlT_SL_SM_SN_E_clIS8_S8_S9_S9_EESK_S10_SL_SM_SN_EUlS10_E_NS1_11comp_targetILNS1_3genE9ELNS1_11target_archE1100ELNS1_3gpuE3ELNS1_3repE0EEENS1_48merge_mergepath_partition_config_static_selectorELNS0_4arch9wavefront6targetE0EEEvSM_, .Lfunc_end1008-_ZN7rocprim17ROCPRIM_400000_NS6detail17trampoline_kernelINS0_14default_configENS1_38merge_sort_block_merge_config_selectorIlNS0_10empty_typeEEEZZNS1_27merge_sort_block_merge_implIS3_PlPS5_mZN2at6native12_GLOBAL__N_124unique_dim_cuda_templateIbEESt5tupleIJNSA_6TensorESF_SF_EERKSF_lbbbEUlllE_EE10hipError_tT0_T1_T2_jT3_P12ihipStream_tbPNSt15iterator_traitsISL_E10value_typeEPNSR_ISM_E10value_typeEPSN_NS1_7vsmem_tEENKUlT_SL_SM_SN_E_clIS8_S8_S9_S9_EESK_S10_SL_SM_SN_EUlS10_E_NS1_11comp_targetILNS1_3genE9ELNS1_11target_archE1100ELNS1_3gpuE3ELNS1_3repE0EEENS1_48merge_mergepath_partition_config_static_selectorELNS0_4arch9wavefront6targetE0EEEvSM_
                                        ; -- End function
	.set _ZN7rocprim17ROCPRIM_400000_NS6detail17trampoline_kernelINS0_14default_configENS1_38merge_sort_block_merge_config_selectorIlNS0_10empty_typeEEEZZNS1_27merge_sort_block_merge_implIS3_PlPS5_mZN2at6native12_GLOBAL__N_124unique_dim_cuda_templateIbEESt5tupleIJNSA_6TensorESF_SF_EERKSF_lbbbEUlllE_EE10hipError_tT0_T1_T2_jT3_P12ihipStream_tbPNSt15iterator_traitsISL_E10value_typeEPNSR_ISM_E10value_typeEPSN_NS1_7vsmem_tEENKUlT_SL_SM_SN_E_clIS8_S8_S9_S9_EESK_S10_SL_SM_SN_EUlS10_E_NS1_11comp_targetILNS1_3genE9ELNS1_11target_archE1100ELNS1_3gpuE3ELNS1_3repE0EEENS1_48merge_mergepath_partition_config_static_selectorELNS0_4arch9wavefront6targetE0EEEvSM_.num_vgpr, 0
	.set _ZN7rocprim17ROCPRIM_400000_NS6detail17trampoline_kernelINS0_14default_configENS1_38merge_sort_block_merge_config_selectorIlNS0_10empty_typeEEEZZNS1_27merge_sort_block_merge_implIS3_PlPS5_mZN2at6native12_GLOBAL__N_124unique_dim_cuda_templateIbEESt5tupleIJNSA_6TensorESF_SF_EERKSF_lbbbEUlllE_EE10hipError_tT0_T1_T2_jT3_P12ihipStream_tbPNSt15iterator_traitsISL_E10value_typeEPNSR_ISM_E10value_typeEPSN_NS1_7vsmem_tEENKUlT_SL_SM_SN_E_clIS8_S8_S9_S9_EESK_S10_SL_SM_SN_EUlS10_E_NS1_11comp_targetILNS1_3genE9ELNS1_11target_archE1100ELNS1_3gpuE3ELNS1_3repE0EEENS1_48merge_mergepath_partition_config_static_selectorELNS0_4arch9wavefront6targetE0EEEvSM_.num_agpr, 0
	.set _ZN7rocprim17ROCPRIM_400000_NS6detail17trampoline_kernelINS0_14default_configENS1_38merge_sort_block_merge_config_selectorIlNS0_10empty_typeEEEZZNS1_27merge_sort_block_merge_implIS3_PlPS5_mZN2at6native12_GLOBAL__N_124unique_dim_cuda_templateIbEESt5tupleIJNSA_6TensorESF_SF_EERKSF_lbbbEUlllE_EE10hipError_tT0_T1_T2_jT3_P12ihipStream_tbPNSt15iterator_traitsISL_E10value_typeEPNSR_ISM_E10value_typeEPSN_NS1_7vsmem_tEENKUlT_SL_SM_SN_E_clIS8_S8_S9_S9_EESK_S10_SL_SM_SN_EUlS10_E_NS1_11comp_targetILNS1_3genE9ELNS1_11target_archE1100ELNS1_3gpuE3ELNS1_3repE0EEENS1_48merge_mergepath_partition_config_static_selectorELNS0_4arch9wavefront6targetE0EEEvSM_.numbered_sgpr, 0
	.set _ZN7rocprim17ROCPRIM_400000_NS6detail17trampoline_kernelINS0_14default_configENS1_38merge_sort_block_merge_config_selectorIlNS0_10empty_typeEEEZZNS1_27merge_sort_block_merge_implIS3_PlPS5_mZN2at6native12_GLOBAL__N_124unique_dim_cuda_templateIbEESt5tupleIJNSA_6TensorESF_SF_EERKSF_lbbbEUlllE_EE10hipError_tT0_T1_T2_jT3_P12ihipStream_tbPNSt15iterator_traitsISL_E10value_typeEPNSR_ISM_E10value_typeEPSN_NS1_7vsmem_tEENKUlT_SL_SM_SN_E_clIS8_S8_S9_S9_EESK_S10_SL_SM_SN_EUlS10_E_NS1_11comp_targetILNS1_3genE9ELNS1_11target_archE1100ELNS1_3gpuE3ELNS1_3repE0EEENS1_48merge_mergepath_partition_config_static_selectorELNS0_4arch9wavefront6targetE0EEEvSM_.num_named_barrier, 0
	.set _ZN7rocprim17ROCPRIM_400000_NS6detail17trampoline_kernelINS0_14default_configENS1_38merge_sort_block_merge_config_selectorIlNS0_10empty_typeEEEZZNS1_27merge_sort_block_merge_implIS3_PlPS5_mZN2at6native12_GLOBAL__N_124unique_dim_cuda_templateIbEESt5tupleIJNSA_6TensorESF_SF_EERKSF_lbbbEUlllE_EE10hipError_tT0_T1_T2_jT3_P12ihipStream_tbPNSt15iterator_traitsISL_E10value_typeEPNSR_ISM_E10value_typeEPSN_NS1_7vsmem_tEENKUlT_SL_SM_SN_E_clIS8_S8_S9_S9_EESK_S10_SL_SM_SN_EUlS10_E_NS1_11comp_targetILNS1_3genE9ELNS1_11target_archE1100ELNS1_3gpuE3ELNS1_3repE0EEENS1_48merge_mergepath_partition_config_static_selectorELNS0_4arch9wavefront6targetE0EEEvSM_.private_seg_size, 0
	.set _ZN7rocprim17ROCPRIM_400000_NS6detail17trampoline_kernelINS0_14default_configENS1_38merge_sort_block_merge_config_selectorIlNS0_10empty_typeEEEZZNS1_27merge_sort_block_merge_implIS3_PlPS5_mZN2at6native12_GLOBAL__N_124unique_dim_cuda_templateIbEESt5tupleIJNSA_6TensorESF_SF_EERKSF_lbbbEUlllE_EE10hipError_tT0_T1_T2_jT3_P12ihipStream_tbPNSt15iterator_traitsISL_E10value_typeEPNSR_ISM_E10value_typeEPSN_NS1_7vsmem_tEENKUlT_SL_SM_SN_E_clIS8_S8_S9_S9_EESK_S10_SL_SM_SN_EUlS10_E_NS1_11comp_targetILNS1_3genE9ELNS1_11target_archE1100ELNS1_3gpuE3ELNS1_3repE0EEENS1_48merge_mergepath_partition_config_static_selectorELNS0_4arch9wavefront6targetE0EEEvSM_.uses_vcc, 0
	.set _ZN7rocprim17ROCPRIM_400000_NS6detail17trampoline_kernelINS0_14default_configENS1_38merge_sort_block_merge_config_selectorIlNS0_10empty_typeEEEZZNS1_27merge_sort_block_merge_implIS3_PlPS5_mZN2at6native12_GLOBAL__N_124unique_dim_cuda_templateIbEESt5tupleIJNSA_6TensorESF_SF_EERKSF_lbbbEUlllE_EE10hipError_tT0_T1_T2_jT3_P12ihipStream_tbPNSt15iterator_traitsISL_E10value_typeEPNSR_ISM_E10value_typeEPSN_NS1_7vsmem_tEENKUlT_SL_SM_SN_E_clIS8_S8_S9_S9_EESK_S10_SL_SM_SN_EUlS10_E_NS1_11comp_targetILNS1_3genE9ELNS1_11target_archE1100ELNS1_3gpuE3ELNS1_3repE0EEENS1_48merge_mergepath_partition_config_static_selectorELNS0_4arch9wavefront6targetE0EEEvSM_.uses_flat_scratch, 0
	.set _ZN7rocprim17ROCPRIM_400000_NS6detail17trampoline_kernelINS0_14default_configENS1_38merge_sort_block_merge_config_selectorIlNS0_10empty_typeEEEZZNS1_27merge_sort_block_merge_implIS3_PlPS5_mZN2at6native12_GLOBAL__N_124unique_dim_cuda_templateIbEESt5tupleIJNSA_6TensorESF_SF_EERKSF_lbbbEUlllE_EE10hipError_tT0_T1_T2_jT3_P12ihipStream_tbPNSt15iterator_traitsISL_E10value_typeEPNSR_ISM_E10value_typeEPSN_NS1_7vsmem_tEENKUlT_SL_SM_SN_E_clIS8_S8_S9_S9_EESK_S10_SL_SM_SN_EUlS10_E_NS1_11comp_targetILNS1_3genE9ELNS1_11target_archE1100ELNS1_3gpuE3ELNS1_3repE0EEENS1_48merge_mergepath_partition_config_static_selectorELNS0_4arch9wavefront6targetE0EEEvSM_.has_dyn_sized_stack, 0
	.set _ZN7rocprim17ROCPRIM_400000_NS6detail17trampoline_kernelINS0_14default_configENS1_38merge_sort_block_merge_config_selectorIlNS0_10empty_typeEEEZZNS1_27merge_sort_block_merge_implIS3_PlPS5_mZN2at6native12_GLOBAL__N_124unique_dim_cuda_templateIbEESt5tupleIJNSA_6TensorESF_SF_EERKSF_lbbbEUlllE_EE10hipError_tT0_T1_T2_jT3_P12ihipStream_tbPNSt15iterator_traitsISL_E10value_typeEPNSR_ISM_E10value_typeEPSN_NS1_7vsmem_tEENKUlT_SL_SM_SN_E_clIS8_S8_S9_S9_EESK_S10_SL_SM_SN_EUlS10_E_NS1_11comp_targetILNS1_3genE9ELNS1_11target_archE1100ELNS1_3gpuE3ELNS1_3repE0EEENS1_48merge_mergepath_partition_config_static_selectorELNS0_4arch9wavefront6targetE0EEEvSM_.has_recursion, 0
	.set _ZN7rocprim17ROCPRIM_400000_NS6detail17trampoline_kernelINS0_14default_configENS1_38merge_sort_block_merge_config_selectorIlNS0_10empty_typeEEEZZNS1_27merge_sort_block_merge_implIS3_PlPS5_mZN2at6native12_GLOBAL__N_124unique_dim_cuda_templateIbEESt5tupleIJNSA_6TensorESF_SF_EERKSF_lbbbEUlllE_EE10hipError_tT0_T1_T2_jT3_P12ihipStream_tbPNSt15iterator_traitsISL_E10value_typeEPNSR_ISM_E10value_typeEPSN_NS1_7vsmem_tEENKUlT_SL_SM_SN_E_clIS8_S8_S9_S9_EESK_S10_SL_SM_SN_EUlS10_E_NS1_11comp_targetILNS1_3genE9ELNS1_11target_archE1100ELNS1_3gpuE3ELNS1_3repE0EEENS1_48merge_mergepath_partition_config_static_selectorELNS0_4arch9wavefront6targetE0EEEvSM_.has_indirect_call, 0
	.section	.AMDGPU.csdata,"",@progbits
; Kernel info:
; codeLenInByte = 0
; TotalNumSgprs: 0
; NumVgprs: 0
; ScratchSize: 0
; MemoryBound: 0
; FloatMode: 240
; IeeeMode: 1
; LDSByteSize: 0 bytes/workgroup (compile time only)
; SGPRBlocks: 0
; VGPRBlocks: 0
; NumSGPRsForWavesPerEU: 1
; NumVGPRsForWavesPerEU: 1
; NamedBarCnt: 0
; Occupancy: 16
; WaveLimiterHint : 0
; COMPUTE_PGM_RSRC2:SCRATCH_EN: 0
; COMPUTE_PGM_RSRC2:USER_SGPR: 2
; COMPUTE_PGM_RSRC2:TRAP_HANDLER: 0
; COMPUTE_PGM_RSRC2:TGID_X_EN: 1
; COMPUTE_PGM_RSRC2:TGID_Y_EN: 0
; COMPUTE_PGM_RSRC2:TGID_Z_EN: 0
; COMPUTE_PGM_RSRC2:TIDIG_COMP_CNT: 0
	.section	.text._ZN7rocprim17ROCPRIM_400000_NS6detail17trampoline_kernelINS0_14default_configENS1_38merge_sort_block_merge_config_selectorIlNS0_10empty_typeEEEZZNS1_27merge_sort_block_merge_implIS3_PlPS5_mZN2at6native12_GLOBAL__N_124unique_dim_cuda_templateIbEESt5tupleIJNSA_6TensorESF_SF_EERKSF_lbbbEUlllE_EE10hipError_tT0_T1_T2_jT3_P12ihipStream_tbPNSt15iterator_traitsISL_E10value_typeEPNSR_ISM_E10value_typeEPSN_NS1_7vsmem_tEENKUlT_SL_SM_SN_E_clIS8_S8_S9_S9_EESK_S10_SL_SM_SN_EUlS10_E_NS1_11comp_targetILNS1_3genE8ELNS1_11target_archE1030ELNS1_3gpuE2ELNS1_3repE0EEENS1_48merge_mergepath_partition_config_static_selectorELNS0_4arch9wavefront6targetE0EEEvSM_,"axG",@progbits,_ZN7rocprim17ROCPRIM_400000_NS6detail17trampoline_kernelINS0_14default_configENS1_38merge_sort_block_merge_config_selectorIlNS0_10empty_typeEEEZZNS1_27merge_sort_block_merge_implIS3_PlPS5_mZN2at6native12_GLOBAL__N_124unique_dim_cuda_templateIbEESt5tupleIJNSA_6TensorESF_SF_EERKSF_lbbbEUlllE_EE10hipError_tT0_T1_T2_jT3_P12ihipStream_tbPNSt15iterator_traitsISL_E10value_typeEPNSR_ISM_E10value_typeEPSN_NS1_7vsmem_tEENKUlT_SL_SM_SN_E_clIS8_S8_S9_S9_EESK_S10_SL_SM_SN_EUlS10_E_NS1_11comp_targetILNS1_3genE8ELNS1_11target_archE1030ELNS1_3gpuE2ELNS1_3repE0EEENS1_48merge_mergepath_partition_config_static_selectorELNS0_4arch9wavefront6targetE0EEEvSM_,comdat
	.globl	_ZN7rocprim17ROCPRIM_400000_NS6detail17trampoline_kernelINS0_14default_configENS1_38merge_sort_block_merge_config_selectorIlNS0_10empty_typeEEEZZNS1_27merge_sort_block_merge_implIS3_PlPS5_mZN2at6native12_GLOBAL__N_124unique_dim_cuda_templateIbEESt5tupleIJNSA_6TensorESF_SF_EERKSF_lbbbEUlllE_EE10hipError_tT0_T1_T2_jT3_P12ihipStream_tbPNSt15iterator_traitsISL_E10value_typeEPNSR_ISM_E10value_typeEPSN_NS1_7vsmem_tEENKUlT_SL_SM_SN_E_clIS8_S8_S9_S9_EESK_S10_SL_SM_SN_EUlS10_E_NS1_11comp_targetILNS1_3genE8ELNS1_11target_archE1030ELNS1_3gpuE2ELNS1_3repE0EEENS1_48merge_mergepath_partition_config_static_selectorELNS0_4arch9wavefront6targetE0EEEvSM_ ; -- Begin function _ZN7rocprim17ROCPRIM_400000_NS6detail17trampoline_kernelINS0_14default_configENS1_38merge_sort_block_merge_config_selectorIlNS0_10empty_typeEEEZZNS1_27merge_sort_block_merge_implIS3_PlPS5_mZN2at6native12_GLOBAL__N_124unique_dim_cuda_templateIbEESt5tupleIJNSA_6TensorESF_SF_EERKSF_lbbbEUlllE_EE10hipError_tT0_T1_T2_jT3_P12ihipStream_tbPNSt15iterator_traitsISL_E10value_typeEPNSR_ISM_E10value_typeEPSN_NS1_7vsmem_tEENKUlT_SL_SM_SN_E_clIS8_S8_S9_S9_EESK_S10_SL_SM_SN_EUlS10_E_NS1_11comp_targetILNS1_3genE8ELNS1_11target_archE1030ELNS1_3gpuE2ELNS1_3repE0EEENS1_48merge_mergepath_partition_config_static_selectorELNS0_4arch9wavefront6targetE0EEEvSM_
	.p2align	8
	.type	_ZN7rocprim17ROCPRIM_400000_NS6detail17trampoline_kernelINS0_14default_configENS1_38merge_sort_block_merge_config_selectorIlNS0_10empty_typeEEEZZNS1_27merge_sort_block_merge_implIS3_PlPS5_mZN2at6native12_GLOBAL__N_124unique_dim_cuda_templateIbEESt5tupleIJNSA_6TensorESF_SF_EERKSF_lbbbEUlllE_EE10hipError_tT0_T1_T2_jT3_P12ihipStream_tbPNSt15iterator_traitsISL_E10value_typeEPNSR_ISM_E10value_typeEPSN_NS1_7vsmem_tEENKUlT_SL_SM_SN_E_clIS8_S8_S9_S9_EESK_S10_SL_SM_SN_EUlS10_E_NS1_11comp_targetILNS1_3genE8ELNS1_11target_archE1030ELNS1_3gpuE2ELNS1_3repE0EEENS1_48merge_mergepath_partition_config_static_selectorELNS0_4arch9wavefront6targetE0EEEvSM_,@function
_ZN7rocprim17ROCPRIM_400000_NS6detail17trampoline_kernelINS0_14default_configENS1_38merge_sort_block_merge_config_selectorIlNS0_10empty_typeEEEZZNS1_27merge_sort_block_merge_implIS3_PlPS5_mZN2at6native12_GLOBAL__N_124unique_dim_cuda_templateIbEESt5tupleIJNSA_6TensorESF_SF_EERKSF_lbbbEUlllE_EE10hipError_tT0_T1_T2_jT3_P12ihipStream_tbPNSt15iterator_traitsISL_E10value_typeEPNSR_ISM_E10value_typeEPSN_NS1_7vsmem_tEENKUlT_SL_SM_SN_E_clIS8_S8_S9_S9_EESK_S10_SL_SM_SN_EUlS10_E_NS1_11comp_targetILNS1_3genE8ELNS1_11target_archE1030ELNS1_3gpuE2ELNS1_3repE0EEENS1_48merge_mergepath_partition_config_static_selectorELNS0_4arch9wavefront6targetE0EEEvSM_: ; @_ZN7rocprim17ROCPRIM_400000_NS6detail17trampoline_kernelINS0_14default_configENS1_38merge_sort_block_merge_config_selectorIlNS0_10empty_typeEEEZZNS1_27merge_sort_block_merge_implIS3_PlPS5_mZN2at6native12_GLOBAL__N_124unique_dim_cuda_templateIbEESt5tupleIJNSA_6TensorESF_SF_EERKSF_lbbbEUlllE_EE10hipError_tT0_T1_T2_jT3_P12ihipStream_tbPNSt15iterator_traitsISL_E10value_typeEPNSR_ISM_E10value_typeEPSN_NS1_7vsmem_tEENKUlT_SL_SM_SN_E_clIS8_S8_S9_S9_EESK_S10_SL_SM_SN_EUlS10_E_NS1_11comp_targetILNS1_3genE8ELNS1_11target_archE1030ELNS1_3gpuE2ELNS1_3repE0EEENS1_48merge_mergepath_partition_config_static_selectorELNS0_4arch9wavefront6targetE0EEEvSM_
; %bb.0:
	.section	.rodata,"a",@progbits
	.p2align	6, 0x0
	.amdhsa_kernel _ZN7rocprim17ROCPRIM_400000_NS6detail17trampoline_kernelINS0_14default_configENS1_38merge_sort_block_merge_config_selectorIlNS0_10empty_typeEEEZZNS1_27merge_sort_block_merge_implIS3_PlPS5_mZN2at6native12_GLOBAL__N_124unique_dim_cuda_templateIbEESt5tupleIJNSA_6TensorESF_SF_EERKSF_lbbbEUlllE_EE10hipError_tT0_T1_T2_jT3_P12ihipStream_tbPNSt15iterator_traitsISL_E10value_typeEPNSR_ISM_E10value_typeEPSN_NS1_7vsmem_tEENKUlT_SL_SM_SN_E_clIS8_S8_S9_S9_EESK_S10_SL_SM_SN_EUlS10_E_NS1_11comp_targetILNS1_3genE8ELNS1_11target_archE1030ELNS1_3gpuE2ELNS1_3repE0EEENS1_48merge_mergepath_partition_config_static_selectorELNS0_4arch9wavefront6targetE0EEEvSM_
		.amdhsa_group_segment_fixed_size 0
		.amdhsa_private_segment_fixed_size 0
		.amdhsa_kernarg_size 56
		.amdhsa_user_sgpr_count 2
		.amdhsa_user_sgpr_dispatch_ptr 0
		.amdhsa_user_sgpr_queue_ptr 0
		.amdhsa_user_sgpr_kernarg_segment_ptr 1
		.amdhsa_user_sgpr_dispatch_id 0
		.amdhsa_user_sgpr_kernarg_preload_length 0
		.amdhsa_user_sgpr_kernarg_preload_offset 0
		.amdhsa_user_sgpr_private_segment_size 0
		.amdhsa_wavefront_size32 1
		.amdhsa_uses_dynamic_stack 0
		.amdhsa_enable_private_segment 0
		.amdhsa_system_sgpr_workgroup_id_x 1
		.amdhsa_system_sgpr_workgroup_id_y 0
		.amdhsa_system_sgpr_workgroup_id_z 0
		.amdhsa_system_sgpr_workgroup_info 0
		.amdhsa_system_vgpr_workitem_id 0
		.amdhsa_next_free_vgpr 1
		.amdhsa_next_free_sgpr 1
		.amdhsa_named_barrier_count 0
		.amdhsa_reserve_vcc 0
		.amdhsa_float_round_mode_32 0
		.amdhsa_float_round_mode_16_64 0
		.amdhsa_float_denorm_mode_32 3
		.amdhsa_float_denorm_mode_16_64 3
		.amdhsa_fp16_overflow 0
		.amdhsa_memory_ordered 1
		.amdhsa_forward_progress 1
		.amdhsa_inst_pref_size 0
		.amdhsa_round_robin_scheduling 0
		.amdhsa_exception_fp_ieee_invalid_op 0
		.amdhsa_exception_fp_denorm_src 0
		.amdhsa_exception_fp_ieee_div_zero 0
		.amdhsa_exception_fp_ieee_overflow 0
		.amdhsa_exception_fp_ieee_underflow 0
		.amdhsa_exception_fp_ieee_inexact 0
		.amdhsa_exception_int_div_zero 0
	.end_amdhsa_kernel
	.section	.text._ZN7rocprim17ROCPRIM_400000_NS6detail17trampoline_kernelINS0_14default_configENS1_38merge_sort_block_merge_config_selectorIlNS0_10empty_typeEEEZZNS1_27merge_sort_block_merge_implIS3_PlPS5_mZN2at6native12_GLOBAL__N_124unique_dim_cuda_templateIbEESt5tupleIJNSA_6TensorESF_SF_EERKSF_lbbbEUlllE_EE10hipError_tT0_T1_T2_jT3_P12ihipStream_tbPNSt15iterator_traitsISL_E10value_typeEPNSR_ISM_E10value_typeEPSN_NS1_7vsmem_tEENKUlT_SL_SM_SN_E_clIS8_S8_S9_S9_EESK_S10_SL_SM_SN_EUlS10_E_NS1_11comp_targetILNS1_3genE8ELNS1_11target_archE1030ELNS1_3gpuE2ELNS1_3repE0EEENS1_48merge_mergepath_partition_config_static_selectorELNS0_4arch9wavefront6targetE0EEEvSM_,"axG",@progbits,_ZN7rocprim17ROCPRIM_400000_NS6detail17trampoline_kernelINS0_14default_configENS1_38merge_sort_block_merge_config_selectorIlNS0_10empty_typeEEEZZNS1_27merge_sort_block_merge_implIS3_PlPS5_mZN2at6native12_GLOBAL__N_124unique_dim_cuda_templateIbEESt5tupleIJNSA_6TensorESF_SF_EERKSF_lbbbEUlllE_EE10hipError_tT0_T1_T2_jT3_P12ihipStream_tbPNSt15iterator_traitsISL_E10value_typeEPNSR_ISM_E10value_typeEPSN_NS1_7vsmem_tEENKUlT_SL_SM_SN_E_clIS8_S8_S9_S9_EESK_S10_SL_SM_SN_EUlS10_E_NS1_11comp_targetILNS1_3genE8ELNS1_11target_archE1030ELNS1_3gpuE2ELNS1_3repE0EEENS1_48merge_mergepath_partition_config_static_selectorELNS0_4arch9wavefront6targetE0EEEvSM_,comdat
.Lfunc_end1009:
	.size	_ZN7rocprim17ROCPRIM_400000_NS6detail17trampoline_kernelINS0_14default_configENS1_38merge_sort_block_merge_config_selectorIlNS0_10empty_typeEEEZZNS1_27merge_sort_block_merge_implIS3_PlPS5_mZN2at6native12_GLOBAL__N_124unique_dim_cuda_templateIbEESt5tupleIJNSA_6TensorESF_SF_EERKSF_lbbbEUlllE_EE10hipError_tT0_T1_T2_jT3_P12ihipStream_tbPNSt15iterator_traitsISL_E10value_typeEPNSR_ISM_E10value_typeEPSN_NS1_7vsmem_tEENKUlT_SL_SM_SN_E_clIS8_S8_S9_S9_EESK_S10_SL_SM_SN_EUlS10_E_NS1_11comp_targetILNS1_3genE8ELNS1_11target_archE1030ELNS1_3gpuE2ELNS1_3repE0EEENS1_48merge_mergepath_partition_config_static_selectorELNS0_4arch9wavefront6targetE0EEEvSM_, .Lfunc_end1009-_ZN7rocprim17ROCPRIM_400000_NS6detail17trampoline_kernelINS0_14default_configENS1_38merge_sort_block_merge_config_selectorIlNS0_10empty_typeEEEZZNS1_27merge_sort_block_merge_implIS3_PlPS5_mZN2at6native12_GLOBAL__N_124unique_dim_cuda_templateIbEESt5tupleIJNSA_6TensorESF_SF_EERKSF_lbbbEUlllE_EE10hipError_tT0_T1_T2_jT3_P12ihipStream_tbPNSt15iterator_traitsISL_E10value_typeEPNSR_ISM_E10value_typeEPSN_NS1_7vsmem_tEENKUlT_SL_SM_SN_E_clIS8_S8_S9_S9_EESK_S10_SL_SM_SN_EUlS10_E_NS1_11comp_targetILNS1_3genE8ELNS1_11target_archE1030ELNS1_3gpuE2ELNS1_3repE0EEENS1_48merge_mergepath_partition_config_static_selectorELNS0_4arch9wavefront6targetE0EEEvSM_
                                        ; -- End function
	.set _ZN7rocprim17ROCPRIM_400000_NS6detail17trampoline_kernelINS0_14default_configENS1_38merge_sort_block_merge_config_selectorIlNS0_10empty_typeEEEZZNS1_27merge_sort_block_merge_implIS3_PlPS5_mZN2at6native12_GLOBAL__N_124unique_dim_cuda_templateIbEESt5tupleIJNSA_6TensorESF_SF_EERKSF_lbbbEUlllE_EE10hipError_tT0_T1_T2_jT3_P12ihipStream_tbPNSt15iterator_traitsISL_E10value_typeEPNSR_ISM_E10value_typeEPSN_NS1_7vsmem_tEENKUlT_SL_SM_SN_E_clIS8_S8_S9_S9_EESK_S10_SL_SM_SN_EUlS10_E_NS1_11comp_targetILNS1_3genE8ELNS1_11target_archE1030ELNS1_3gpuE2ELNS1_3repE0EEENS1_48merge_mergepath_partition_config_static_selectorELNS0_4arch9wavefront6targetE0EEEvSM_.num_vgpr, 0
	.set _ZN7rocprim17ROCPRIM_400000_NS6detail17trampoline_kernelINS0_14default_configENS1_38merge_sort_block_merge_config_selectorIlNS0_10empty_typeEEEZZNS1_27merge_sort_block_merge_implIS3_PlPS5_mZN2at6native12_GLOBAL__N_124unique_dim_cuda_templateIbEESt5tupleIJNSA_6TensorESF_SF_EERKSF_lbbbEUlllE_EE10hipError_tT0_T1_T2_jT3_P12ihipStream_tbPNSt15iterator_traitsISL_E10value_typeEPNSR_ISM_E10value_typeEPSN_NS1_7vsmem_tEENKUlT_SL_SM_SN_E_clIS8_S8_S9_S9_EESK_S10_SL_SM_SN_EUlS10_E_NS1_11comp_targetILNS1_3genE8ELNS1_11target_archE1030ELNS1_3gpuE2ELNS1_3repE0EEENS1_48merge_mergepath_partition_config_static_selectorELNS0_4arch9wavefront6targetE0EEEvSM_.num_agpr, 0
	.set _ZN7rocprim17ROCPRIM_400000_NS6detail17trampoline_kernelINS0_14default_configENS1_38merge_sort_block_merge_config_selectorIlNS0_10empty_typeEEEZZNS1_27merge_sort_block_merge_implIS3_PlPS5_mZN2at6native12_GLOBAL__N_124unique_dim_cuda_templateIbEESt5tupleIJNSA_6TensorESF_SF_EERKSF_lbbbEUlllE_EE10hipError_tT0_T1_T2_jT3_P12ihipStream_tbPNSt15iterator_traitsISL_E10value_typeEPNSR_ISM_E10value_typeEPSN_NS1_7vsmem_tEENKUlT_SL_SM_SN_E_clIS8_S8_S9_S9_EESK_S10_SL_SM_SN_EUlS10_E_NS1_11comp_targetILNS1_3genE8ELNS1_11target_archE1030ELNS1_3gpuE2ELNS1_3repE0EEENS1_48merge_mergepath_partition_config_static_selectorELNS0_4arch9wavefront6targetE0EEEvSM_.numbered_sgpr, 0
	.set _ZN7rocprim17ROCPRIM_400000_NS6detail17trampoline_kernelINS0_14default_configENS1_38merge_sort_block_merge_config_selectorIlNS0_10empty_typeEEEZZNS1_27merge_sort_block_merge_implIS3_PlPS5_mZN2at6native12_GLOBAL__N_124unique_dim_cuda_templateIbEESt5tupleIJNSA_6TensorESF_SF_EERKSF_lbbbEUlllE_EE10hipError_tT0_T1_T2_jT3_P12ihipStream_tbPNSt15iterator_traitsISL_E10value_typeEPNSR_ISM_E10value_typeEPSN_NS1_7vsmem_tEENKUlT_SL_SM_SN_E_clIS8_S8_S9_S9_EESK_S10_SL_SM_SN_EUlS10_E_NS1_11comp_targetILNS1_3genE8ELNS1_11target_archE1030ELNS1_3gpuE2ELNS1_3repE0EEENS1_48merge_mergepath_partition_config_static_selectorELNS0_4arch9wavefront6targetE0EEEvSM_.num_named_barrier, 0
	.set _ZN7rocprim17ROCPRIM_400000_NS6detail17trampoline_kernelINS0_14default_configENS1_38merge_sort_block_merge_config_selectorIlNS0_10empty_typeEEEZZNS1_27merge_sort_block_merge_implIS3_PlPS5_mZN2at6native12_GLOBAL__N_124unique_dim_cuda_templateIbEESt5tupleIJNSA_6TensorESF_SF_EERKSF_lbbbEUlllE_EE10hipError_tT0_T1_T2_jT3_P12ihipStream_tbPNSt15iterator_traitsISL_E10value_typeEPNSR_ISM_E10value_typeEPSN_NS1_7vsmem_tEENKUlT_SL_SM_SN_E_clIS8_S8_S9_S9_EESK_S10_SL_SM_SN_EUlS10_E_NS1_11comp_targetILNS1_3genE8ELNS1_11target_archE1030ELNS1_3gpuE2ELNS1_3repE0EEENS1_48merge_mergepath_partition_config_static_selectorELNS0_4arch9wavefront6targetE0EEEvSM_.private_seg_size, 0
	.set _ZN7rocprim17ROCPRIM_400000_NS6detail17trampoline_kernelINS0_14default_configENS1_38merge_sort_block_merge_config_selectorIlNS0_10empty_typeEEEZZNS1_27merge_sort_block_merge_implIS3_PlPS5_mZN2at6native12_GLOBAL__N_124unique_dim_cuda_templateIbEESt5tupleIJNSA_6TensorESF_SF_EERKSF_lbbbEUlllE_EE10hipError_tT0_T1_T2_jT3_P12ihipStream_tbPNSt15iterator_traitsISL_E10value_typeEPNSR_ISM_E10value_typeEPSN_NS1_7vsmem_tEENKUlT_SL_SM_SN_E_clIS8_S8_S9_S9_EESK_S10_SL_SM_SN_EUlS10_E_NS1_11comp_targetILNS1_3genE8ELNS1_11target_archE1030ELNS1_3gpuE2ELNS1_3repE0EEENS1_48merge_mergepath_partition_config_static_selectorELNS0_4arch9wavefront6targetE0EEEvSM_.uses_vcc, 0
	.set _ZN7rocprim17ROCPRIM_400000_NS6detail17trampoline_kernelINS0_14default_configENS1_38merge_sort_block_merge_config_selectorIlNS0_10empty_typeEEEZZNS1_27merge_sort_block_merge_implIS3_PlPS5_mZN2at6native12_GLOBAL__N_124unique_dim_cuda_templateIbEESt5tupleIJNSA_6TensorESF_SF_EERKSF_lbbbEUlllE_EE10hipError_tT0_T1_T2_jT3_P12ihipStream_tbPNSt15iterator_traitsISL_E10value_typeEPNSR_ISM_E10value_typeEPSN_NS1_7vsmem_tEENKUlT_SL_SM_SN_E_clIS8_S8_S9_S9_EESK_S10_SL_SM_SN_EUlS10_E_NS1_11comp_targetILNS1_3genE8ELNS1_11target_archE1030ELNS1_3gpuE2ELNS1_3repE0EEENS1_48merge_mergepath_partition_config_static_selectorELNS0_4arch9wavefront6targetE0EEEvSM_.uses_flat_scratch, 0
	.set _ZN7rocprim17ROCPRIM_400000_NS6detail17trampoline_kernelINS0_14default_configENS1_38merge_sort_block_merge_config_selectorIlNS0_10empty_typeEEEZZNS1_27merge_sort_block_merge_implIS3_PlPS5_mZN2at6native12_GLOBAL__N_124unique_dim_cuda_templateIbEESt5tupleIJNSA_6TensorESF_SF_EERKSF_lbbbEUlllE_EE10hipError_tT0_T1_T2_jT3_P12ihipStream_tbPNSt15iterator_traitsISL_E10value_typeEPNSR_ISM_E10value_typeEPSN_NS1_7vsmem_tEENKUlT_SL_SM_SN_E_clIS8_S8_S9_S9_EESK_S10_SL_SM_SN_EUlS10_E_NS1_11comp_targetILNS1_3genE8ELNS1_11target_archE1030ELNS1_3gpuE2ELNS1_3repE0EEENS1_48merge_mergepath_partition_config_static_selectorELNS0_4arch9wavefront6targetE0EEEvSM_.has_dyn_sized_stack, 0
	.set _ZN7rocprim17ROCPRIM_400000_NS6detail17trampoline_kernelINS0_14default_configENS1_38merge_sort_block_merge_config_selectorIlNS0_10empty_typeEEEZZNS1_27merge_sort_block_merge_implIS3_PlPS5_mZN2at6native12_GLOBAL__N_124unique_dim_cuda_templateIbEESt5tupleIJNSA_6TensorESF_SF_EERKSF_lbbbEUlllE_EE10hipError_tT0_T1_T2_jT3_P12ihipStream_tbPNSt15iterator_traitsISL_E10value_typeEPNSR_ISM_E10value_typeEPSN_NS1_7vsmem_tEENKUlT_SL_SM_SN_E_clIS8_S8_S9_S9_EESK_S10_SL_SM_SN_EUlS10_E_NS1_11comp_targetILNS1_3genE8ELNS1_11target_archE1030ELNS1_3gpuE2ELNS1_3repE0EEENS1_48merge_mergepath_partition_config_static_selectorELNS0_4arch9wavefront6targetE0EEEvSM_.has_recursion, 0
	.set _ZN7rocprim17ROCPRIM_400000_NS6detail17trampoline_kernelINS0_14default_configENS1_38merge_sort_block_merge_config_selectorIlNS0_10empty_typeEEEZZNS1_27merge_sort_block_merge_implIS3_PlPS5_mZN2at6native12_GLOBAL__N_124unique_dim_cuda_templateIbEESt5tupleIJNSA_6TensorESF_SF_EERKSF_lbbbEUlllE_EE10hipError_tT0_T1_T2_jT3_P12ihipStream_tbPNSt15iterator_traitsISL_E10value_typeEPNSR_ISM_E10value_typeEPSN_NS1_7vsmem_tEENKUlT_SL_SM_SN_E_clIS8_S8_S9_S9_EESK_S10_SL_SM_SN_EUlS10_E_NS1_11comp_targetILNS1_3genE8ELNS1_11target_archE1030ELNS1_3gpuE2ELNS1_3repE0EEENS1_48merge_mergepath_partition_config_static_selectorELNS0_4arch9wavefront6targetE0EEEvSM_.has_indirect_call, 0
	.section	.AMDGPU.csdata,"",@progbits
; Kernel info:
; codeLenInByte = 0
; TotalNumSgprs: 0
; NumVgprs: 0
; ScratchSize: 0
; MemoryBound: 0
; FloatMode: 240
; IeeeMode: 1
; LDSByteSize: 0 bytes/workgroup (compile time only)
; SGPRBlocks: 0
; VGPRBlocks: 0
; NumSGPRsForWavesPerEU: 1
; NumVGPRsForWavesPerEU: 1
; NamedBarCnt: 0
; Occupancy: 16
; WaveLimiterHint : 0
; COMPUTE_PGM_RSRC2:SCRATCH_EN: 0
; COMPUTE_PGM_RSRC2:USER_SGPR: 2
; COMPUTE_PGM_RSRC2:TRAP_HANDLER: 0
; COMPUTE_PGM_RSRC2:TGID_X_EN: 1
; COMPUTE_PGM_RSRC2:TGID_Y_EN: 0
; COMPUTE_PGM_RSRC2:TGID_Z_EN: 0
; COMPUTE_PGM_RSRC2:TIDIG_COMP_CNT: 0
	.section	.text._ZN7rocprim17ROCPRIM_400000_NS6detail17trampoline_kernelINS0_14default_configENS1_38merge_sort_block_merge_config_selectorIlNS0_10empty_typeEEEZZNS1_27merge_sort_block_merge_implIS3_PlPS5_mZN2at6native12_GLOBAL__N_124unique_dim_cuda_templateIbEESt5tupleIJNSA_6TensorESF_SF_EERKSF_lbbbEUlllE_EE10hipError_tT0_T1_T2_jT3_P12ihipStream_tbPNSt15iterator_traitsISL_E10value_typeEPNSR_ISM_E10value_typeEPSN_NS1_7vsmem_tEENKUlT_SL_SM_SN_E_clIS8_S8_S9_S9_EESK_S10_SL_SM_SN_EUlS10_E0_NS1_11comp_targetILNS1_3genE0ELNS1_11target_archE4294967295ELNS1_3gpuE0ELNS1_3repE0EEENS1_38merge_mergepath_config_static_selectorELNS0_4arch9wavefront6targetE0EEEvSM_,"axG",@progbits,_ZN7rocprim17ROCPRIM_400000_NS6detail17trampoline_kernelINS0_14default_configENS1_38merge_sort_block_merge_config_selectorIlNS0_10empty_typeEEEZZNS1_27merge_sort_block_merge_implIS3_PlPS5_mZN2at6native12_GLOBAL__N_124unique_dim_cuda_templateIbEESt5tupleIJNSA_6TensorESF_SF_EERKSF_lbbbEUlllE_EE10hipError_tT0_T1_T2_jT3_P12ihipStream_tbPNSt15iterator_traitsISL_E10value_typeEPNSR_ISM_E10value_typeEPSN_NS1_7vsmem_tEENKUlT_SL_SM_SN_E_clIS8_S8_S9_S9_EESK_S10_SL_SM_SN_EUlS10_E0_NS1_11comp_targetILNS1_3genE0ELNS1_11target_archE4294967295ELNS1_3gpuE0ELNS1_3repE0EEENS1_38merge_mergepath_config_static_selectorELNS0_4arch9wavefront6targetE0EEEvSM_,comdat
	.globl	_ZN7rocprim17ROCPRIM_400000_NS6detail17trampoline_kernelINS0_14default_configENS1_38merge_sort_block_merge_config_selectorIlNS0_10empty_typeEEEZZNS1_27merge_sort_block_merge_implIS3_PlPS5_mZN2at6native12_GLOBAL__N_124unique_dim_cuda_templateIbEESt5tupleIJNSA_6TensorESF_SF_EERKSF_lbbbEUlllE_EE10hipError_tT0_T1_T2_jT3_P12ihipStream_tbPNSt15iterator_traitsISL_E10value_typeEPNSR_ISM_E10value_typeEPSN_NS1_7vsmem_tEENKUlT_SL_SM_SN_E_clIS8_S8_S9_S9_EESK_S10_SL_SM_SN_EUlS10_E0_NS1_11comp_targetILNS1_3genE0ELNS1_11target_archE4294967295ELNS1_3gpuE0ELNS1_3repE0EEENS1_38merge_mergepath_config_static_selectorELNS0_4arch9wavefront6targetE0EEEvSM_ ; -- Begin function _ZN7rocprim17ROCPRIM_400000_NS6detail17trampoline_kernelINS0_14default_configENS1_38merge_sort_block_merge_config_selectorIlNS0_10empty_typeEEEZZNS1_27merge_sort_block_merge_implIS3_PlPS5_mZN2at6native12_GLOBAL__N_124unique_dim_cuda_templateIbEESt5tupleIJNSA_6TensorESF_SF_EERKSF_lbbbEUlllE_EE10hipError_tT0_T1_T2_jT3_P12ihipStream_tbPNSt15iterator_traitsISL_E10value_typeEPNSR_ISM_E10value_typeEPSN_NS1_7vsmem_tEENKUlT_SL_SM_SN_E_clIS8_S8_S9_S9_EESK_S10_SL_SM_SN_EUlS10_E0_NS1_11comp_targetILNS1_3genE0ELNS1_11target_archE4294967295ELNS1_3gpuE0ELNS1_3repE0EEENS1_38merge_mergepath_config_static_selectorELNS0_4arch9wavefront6targetE0EEEvSM_
	.p2align	8
	.type	_ZN7rocprim17ROCPRIM_400000_NS6detail17trampoline_kernelINS0_14default_configENS1_38merge_sort_block_merge_config_selectorIlNS0_10empty_typeEEEZZNS1_27merge_sort_block_merge_implIS3_PlPS5_mZN2at6native12_GLOBAL__N_124unique_dim_cuda_templateIbEESt5tupleIJNSA_6TensorESF_SF_EERKSF_lbbbEUlllE_EE10hipError_tT0_T1_T2_jT3_P12ihipStream_tbPNSt15iterator_traitsISL_E10value_typeEPNSR_ISM_E10value_typeEPSN_NS1_7vsmem_tEENKUlT_SL_SM_SN_E_clIS8_S8_S9_S9_EESK_S10_SL_SM_SN_EUlS10_E0_NS1_11comp_targetILNS1_3genE0ELNS1_11target_archE4294967295ELNS1_3gpuE0ELNS1_3repE0EEENS1_38merge_mergepath_config_static_selectorELNS0_4arch9wavefront6targetE0EEEvSM_,@function
_ZN7rocprim17ROCPRIM_400000_NS6detail17trampoline_kernelINS0_14default_configENS1_38merge_sort_block_merge_config_selectorIlNS0_10empty_typeEEEZZNS1_27merge_sort_block_merge_implIS3_PlPS5_mZN2at6native12_GLOBAL__N_124unique_dim_cuda_templateIbEESt5tupleIJNSA_6TensorESF_SF_EERKSF_lbbbEUlllE_EE10hipError_tT0_T1_T2_jT3_P12ihipStream_tbPNSt15iterator_traitsISL_E10value_typeEPNSR_ISM_E10value_typeEPSN_NS1_7vsmem_tEENKUlT_SL_SM_SN_E_clIS8_S8_S9_S9_EESK_S10_SL_SM_SN_EUlS10_E0_NS1_11comp_targetILNS1_3genE0ELNS1_11target_archE4294967295ELNS1_3gpuE0ELNS1_3repE0EEENS1_38merge_mergepath_config_static_selectorELNS0_4arch9wavefront6targetE0EEEvSM_: ; @_ZN7rocprim17ROCPRIM_400000_NS6detail17trampoline_kernelINS0_14default_configENS1_38merge_sort_block_merge_config_selectorIlNS0_10empty_typeEEEZZNS1_27merge_sort_block_merge_implIS3_PlPS5_mZN2at6native12_GLOBAL__N_124unique_dim_cuda_templateIbEESt5tupleIJNSA_6TensorESF_SF_EERKSF_lbbbEUlllE_EE10hipError_tT0_T1_T2_jT3_P12ihipStream_tbPNSt15iterator_traitsISL_E10value_typeEPNSR_ISM_E10value_typeEPSN_NS1_7vsmem_tEENKUlT_SL_SM_SN_E_clIS8_S8_S9_S9_EESK_S10_SL_SM_SN_EUlS10_E0_NS1_11comp_targetILNS1_3genE0ELNS1_11target_archE4294967295ELNS1_3gpuE0ELNS1_3repE0EEENS1_38merge_mergepath_config_static_selectorELNS0_4arch9wavefront6targetE0EEEvSM_
; %bb.0:
	s_bfe_u32 s2, ttmp6, 0x40010
	s_and_b32 s4, ttmp7, 0xffff
	s_add_co_i32 s5, s2, 1
	s_clause 0x1
	s_load_b32 s6, s[0:1], 0x38
	s_load_b64 s[2:3], s[0:1], 0x58
	s_bfe_u32 s8, ttmp6, 0x4000c
	s_mul_i32 s5, s4, s5
	s_bfe_u32 s7, ttmp6, 0x40004
	s_add_co_i32 s8, s8, 1
	s_bfe_u32 s9, ttmp6, 0x40014
	s_add_co_i32 s7, s7, s5
	s_and_b32 s5, ttmp6, 15
	s_mul_i32 s8, ttmp9, s8
	s_lshr_b32 s10, ttmp7, 16
	s_add_co_i32 s9, s9, 1
	s_add_co_i32 s5, s5, s8
	s_mul_i32 s8, s10, s9
	s_bfe_u32 s9, ttmp6, 0x40008
	s_getreg_b32 s11, hwreg(HW_REG_IB_STS2, 6, 4)
	s_add_co_i32 s9, s9, s8
	s_cmp_eq_u32 s11, 0
	s_mov_b32 s19, 0
	s_cselect_b32 s8, s10, s9
	s_cselect_b32 s4, s4, s7
	s_wait_kmcnt 0x0
	s_mul_i32 s8, s3, s8
	s_cselect_b32 s3, ttmp9, s5
	s_add_co_i32 s4, s8, s4
	s_delay_alu instid0(SALU_CYCLE_1) | instskip(NEXT) | instid1(SALU_CYCLE_1)
	s_mul_i32 s4, s4, s2
	s_add_co_i32 s18, s4, s3
	s_delay_alu instid0(SALU_CYCLE_1)
	s_cmp_ge_u32 s18, s6
	s_cbranch_scc1 .LBB1010_116
; %bb.1:
	s_clause 0x1
	s_load_b64 s[4:5], s[0:1], 0x50
	s_load_b128 s[8:11], s[0:1], 0x28
	s_lshl_b64 s[6:7], s[18:19], 3
	s_mov_b32 s23, s19
	s_add_nc_u64 s[20:21], s[0:1], 0x58
	s_wait_kmcnt 0x0
	s_add_nc_u64 s[16:17], s[4:5], s[6:7]
	s_load_b128 s[12:15], s[16:17], 0x0
	s_load_b128 s[4:7], s[0:1], 0x8
	s_wait_xcnt 0x0
	s_lshr_b64 s[16:17], s[10:11], 9
	s_delay_alu instid0(SALU_CYCLE_1) | instskip(NEXT) | instid1(SALU_CYCLE_1)
	s_and_b32 s16, s16, -2
	s_sub_co_i32 s30, 0, s16
	s_lshl_b64 s[16:17], s[18:19], 10
	s_and_b32 s22, s18, s30
	s_or_b32 s30, s18, s30
	s_lshl_b64 s[24:25], s[22:23], 10
	s_lshl_b64 s[22:23], s[22:23], 11
	s_sub_nc_u64 s[28:29], s[16:17], s[24:25]
	s_add_nc_u64 s[26:27], s[22:23], s[10:11]
	s_cmp_lg_u32 s30, -1
	s_add_nc_u64 s[22:23], s[26:27], s[28:29]
	s_mov_b32 s28, -1
	s_cbranch_scc0 .LBB1010_3
; %bb.2:
	s_wait_kmcnt 0x0
	s_sub_nc_u64 s[10:11], s[22:23], s[14:15]
	v_mov_b64_e32 v[2:3], s[14:15]
	s_add_nc_u64 s[10:11], s[10:11], 0x400
	s_branch .LBB1010_4
.LBB1010_3:
	s_wait_kmcnt 0x0
	s_sub_nc_u64 s[14:15], s[26:27], s[24:25]
	s_delay_alu instid0(SALU_CYCLE_1)
	v_min_u64 v[2:3], s[8:9], s[14:15]
	s_add_nc_u64 s[10:11], s[14:15], s[10:11]
.LBB1010_4:
	v_mov_b32_e32 v21, 0
	v_min_u64 v[4:5], s[8:9], s[10:11]
	s_sub_nc_u64 s[10:11], s[22:23], s[12:13]
	v_lshlrev_b32_e32 v20, 3, v0
	v_min_u64 v[6:7], s[8:9], s[10:11]
	global_load_b32 v1, v21, s[20:21] offset:14
	s_lshr_b64 s[10:11], s[8:9], 10
	s_delay_alu instid0(SALU_CYCLE_1)
	s_cmp_lg_u64 s[10:11], s[18:19]
	s_cselect_b32 s9, -1, 0
	s_lshl_b64 s[14:15], s[12:13], 3
	s_cmp_lt_u32 s3, s2
	s_mov_b32 s3, 0
	s_cselect_b32 s2, 12, 18
	s_cmp_eq_u64 s[10:11], s[18:19]
	s_add_nc_u64 s[2:3], s[20:21], s[2:3]
	s_add_nc_u64 s[10:11], s[4:5], s[14:15]
	s_load_u16 s2, s[2:3], 0x0
	v_lshlrev_b64_e32 v[8:9], 3, v[6:7]
	v_sub_nc_u32_e32 v25, v4, v6
	s_delay_alu instid0(VALU_DEP_2) | instskip(SKIP_3) | instid1(VALU_DEP_1)
	v_add_nc_u64_e32 v[22:23], s[4:5], v[8:9]
	s_wait_loadcnt 0x0
	v_lshrrev_b32_e32 v3, 16, v1
	v_and_b32_e32 v1, 0xffff, v1
	v_mul_lo_u32 v1, v1, v3
	s_wait_kmcnt 0x0
	s_delay_alu instid0(VALU_DEP_1)
	v_mul_lo_u32 v26, v1, s2
	v_subrev_nc_u32_e32 v1, s12, v2
	s_cbranch_scc1 .LBB1010_6
; %bb.5:
	s_delay_alu instid0(VALU_DEP_1) | instskip(NEXT) | instid1(VALU_DEP_3)
	v_sub_co_u32 v4, vcc_lo, v0, v1
	v_dual_mov_b32 v5, v21 :: v_dual_add_nc_u32 v6, v26, v0
	v_dual_mov_b32 v7, v21 :: v_dual_mov_b32 v11, v21
	v_add_nc_u64_e32 v[2:3], s[10:11], v[20:21]
	s_delay_alu instid0(VALU_DEP_3) | instskip(NEXT) | instid1(VALU_DEP_4)
	v_lshl_add_u64 v[4:5], v[4:5], 3, v[22:23]
	v_sub_co_u32 v10, s2, v6, v1
	s_delay_alu instid0(VALU_DEP_4) | instskip(SKIP_1) | instid1(VALU_DEP_4)
	v_lshl_add_u64 v[8:9], v[6:7], 3, s[10:11]
	v_dual_mov_b32 v13, v21 :: v_dual_add_nc_u32 v6, v6, v26
	v_dual_cndmask_b32 v2, v4, v2 :: v_dual_cndmask_b32 v3, v5, v3
	s_delay_alu instid0(VALU_DEP_4) | instskip(NEXT) | instid1(VALU_DEP_3)
	v_lshl_add_u64 v[4:5], v[10:11], 3, v[22:23]
	v_lshl_add_u64 v[10:11], v[6:7], 3, s[10:11]
	v_sub_co_u32 v12, vcc_lo, v6, v1
	s_delay_alu instid0(VALU_DEP_3) | instskip(NEXT) | instid1(VALU_DEP_4)
	v_dual_add_nc_u32 v6, v6, v26 :: v_dual_cndmask_b32 v5, v5, v9, s2
	v_dual_cndmask_b32 v4, v4, v8, s2 :: v_dual_mov_b32 v15, v21
	s_delay_alu instid0(VALU_DEP_3) | instskip(NEXT) | instid1(VALU_DEP_3)
	v_lshl_add_u64 v[8:9], v[12:13], 3, v[22:23]
	v_lshl_add_u64 v[12:13], v[6:7], 3, s[10:11]
	v_sub_co_u32 v14, s2, v6, v1
	s_delay_alu instid0(VALU_DEP_3) | instskip(NEXT) | instid1(VALU_DEP_4)
	v_dual_cndmask_b32 v9, v9, v11 :: v_dual_add_nc_u32 v6, v6, v26
	v_dual_cndmask_b32 v8, v8, v10 :: v_dual_mov_b32 v17, v21
	s_delay_alu instid0(VALU_DEP_3) | instskip(NEXT) | instid1(VALU_DEP_3)
	v_lshl_add_u64 v[10:11], v[14:15], 3, v[22:23]
	v_dual_mov_b32 v19, v21 :: v_dual_add_nc_u32 v18, v6, v26
	v_sub_co_u32 v16, vcc_lo, v6, v1
	s_delay_alu instid0(VALU_DEP_3) | instskip(NEXT) | instid1(VALU_DEP_3)
	v_dual_cndmask_b32 v29, v11, v13, s2 :: v_dual_cndmask_b32 v28, v10, v12, s2
	v_dual_mov_b32 v13, v21 :: v_dual_add_nc_u32 v12, v18, v26
	v_lshl_add_u64 v[14:15], v[6:7], 3, s[10:11]
	global_load_b64 v[6:7], v[8:9], off
	s_wait_xcnt 0x0
	v_lshl_add_u64 v[8:9], v[16:17], 3, v[22:23]
	v_lshl_add_u64 v[10:11], v[18:19], 3, s[10:11]
	v_sub_co_u32 v16, s2, v18, v1
	s_delay_alu instid0(VALU_DEP_3) | instskip(SKIP_2) | instid1(VALU_DEP_3)
	v_dual_cndmask_b32 v35, v9, v15 :: v_dual_add_nc_u32 v18, v12, v26
	v_lshl_add_u64 v[30:31], v[12:13], 3, s[10:11]
	v_sub_co_u32 v12, s3, v12, v1
	v_lshl_add_u64 v[32:33], v[18:19], 3, s[10:11]
	v_sub_co_u32 v18, s4, v18, v1
	v_lshl_add_u64 v[16:17], v[16:17], 3, v[22:23]
	s_delay_alu instid0(VALU_DEP_4) | instskip(SKIP_1) | instid1(VALU_DEP_4)
	v_lshl_add_u64 v[12:13], v[12:13], 3, v[22:23]
	v_cndmask_b32_e32 v34, v8, v14, vcc_lo
	v_lshl_add_u64 v[8:9], v[18:19], 3, v[22:23]
	global_load_b64 v[2:3], v[2:3], off
	v_dual_cndmask_b32 v19, v17, v11, s2 :: v_dual_cndmask_b32 v18, v16, v10, s2
	v_dual_cndmask_b32 v31, v13, v31, s3 :: v_dual_cndmask_b32 v30, v12, v30, s3
	v_dual_cndmask_b32 v33, v9, v33, s4 :: v_dual_cndmask_b32 v32, v8, v32, s4
	v_add_nc_u32_e32 v24, v1, v25
	global_load_b64 v[4:5], v[4:5], off
	global_load_b64 v[8:9], v[28:29], off
	;; [unrolled: 1-line block ×6, first 2 shown]
	s_cbranch_execz .LBB1010_7
	s_branch .LBB1010_24
.LBB1010_6:
                                        ; implicit-def: $vgpr2_vgpr3_vgpr4_vgpr5_vgpr6_vgpr7_vgpr8_vgpr9_vgpr10_vgpr11_vgpr12_vgpr13_vgpr14_vgpr15_vgpr16_vgpr17
                                        ; implicit-def: $vgpr24
	s_and_not1_b32 vcc_lo, exec_lo, s28
	s_cbranch_vccnz .LBB1010_24
.LBB1010_7:
	s_wait_loadcnt 0x6
	s_wait_xcnt 0x6
	v_dual_add_nc_u32 v24, v1, v25 :: v_dual_mov_b32 v2, 0
	s_mov_b32 s2, exec_lo
	s_wait_loadcnt 0x5
	s_wait_xcnt 0x5
	s_delay_alu instid0(VALU_DEP_1)
	v_dual_mov_b32 v3, v2 :: v_dual_mov_b32 v4, v2
	v_dual_mov_b32 v5, v2 :: v_dual_mov_b32 v6, v2
	s_wait_loadcnt 0x4
	v_dual_mov_b32 v7, v2 :: v_dual_mov_b32 v8, v2
	s_wait_loadcnt 0x3
	;; [unrolled: 2-line block ×5, first 2 shown]
	v_dual_mov_b32 v15, v2 :: v_dual_mov_b32 v16, v2
	v_mov_b32_e32 v17, v2
	v_cmpx_lt_u32_e64 v0, v24
	s_cbranch_execz .LBB1010_9
; %bb.8:
	v_dual_mov_b32 v21, v2 :: v_dual_mov_b32 v5, v2
	v_sub_co_u32 v4, vcc_lo, v0, v1
	v_dual_mov_b32 v18, v2 :: v_dual_mov_b32 v19, v2
	s_delay_alu instid0(VALU_DEP_3) | instskip(NEXT) | instid1(VALU_DEP_3)
	v_add_nc_u64_e32 v[6:7], s[10:11], v[20:21]
	v_lshl_add_u64 v[4:5], v[4:5], 3, v[22:23]
	v_dual_mov_b32 v8, v2 :: v_dual_mov_b32 v9, v2
	v_dual_mov_b32 v10, v2 :: v_dual_mov_b32 v11, v2
	;; [unrolled: 1-line block ×3, first 2 shown]
	s_delay_alu instid0(VALU_DEP_4)
	v_dual_cndmask_b32 v5, v5, v7 :: v_dual_cndmask_b32 v4, v4, v6
	v_dual_mov_b32 v6, v2 :: v_dual_mov_b32 v7, v2
	v_dual_mov_b32 v14, v2 :: v_dual_mov_b32 v15, v2
	global_load_b64 v[4:5], v[4:5], off
	v_dual_mov_b32 v16, v2 :: v_dual_mov_b32 v17, v2
	s_wait_loadcnt 0x0
	v_mov_b64_e32 v[2:3], v[4:5]
	v_mov_b64_e32 v[4:5], v[6:7]
	;; [unrolled: 1-line block ×8, first 2 shown]
.LBB1010_9:
	s_or_b32 exec_lo, exec_lo, s2
	v_add_nc_u32_e32 v18, v26, v0
	s_mov_b32 s2, exec_lo
	s_delay_alu instid0(VALU_DEP_1)
	v_cmpx_lt_u32_e64 v18, v24
	s_cbranch_execz .LBB1010_11
; %bb.10:
	v_sub_co_u32 v28, vcc_lo, v18, v1
	v_mov_b32_e32 v19, 0
	s_delay_alu instid0(VALU_DEP_1) | instskip(SKIP_1) | instid1(VALU_DEP_1)
	v_lshl_add_u64 v[4:5], v[18:19], 3, s[10:11]
	v_mov_b32_e32 v29, v19
	v_lshl_add_u64 v[28:29], v[28:29], 3, v[22:23]
	s_delay_alu instid0(VALU_DEP_1)
	v_dual_cndmask_b32 v5, v29, v5 :: v_dual_cndmask_b32 v4, v28, v4
	global_load_b64 v[4:5], v[4:5], off
.LBB1010_11:
	s_wait_xcnt 0x0
	s_or_b32 exec_lo, exec_lo, s2
	v_add_nc_u32_e32 v18, v18, v26
	s_mov_b32 s2, exec_lo
	s_delay_alu instid0(VALU_DEP_1)
	v_cmpx_lt_u32_e64 v18, v24
	s_cbranch_execz .LBB1010_13
; %bb.12:
	v_sub_co_u32 v28, vcc_lo, v18, v1
	v_mov_b32_e32 v19, 0
	s_delay_alu instid0(VALU_DEP_1) | instskip(SKIP_1) | instid1(VALU_DEP_1)
	v_lshl_add_u64 v[6:7], v[18:19], 3, s[10:11]
	v_mov_b32_e32 v29, v19
	v_lshl_add_u64 v[28:29], v[28:29], 3, v[22:23]
	s_delay_alu instid0(VALU_DEP_1)
	v_dual_cndmask_b32 v7, v29, v7 :: v_dual_cndmask_b32 v6, v28, v6
	global_load_b64 v[6:7], v[6:7], off
.LBB1010_13:
	s_wait_xcnt 0x0
	;; [unrolled: 18-line block ×6, first 2 shown]
	s_or_b32 exec_lo, exec_lo, s2
	v_add_nc_u32_e32 v18, v18, v26
	s_mov_b32 s2, exec_lo
	s_delay_alu instid0(VALU_DEP_1)
	v_cmpx_lt_u32_e64 v18, v24
	s_cbranch_execz .LBB1010_23
; %bb.22:
	v_mov_b32_e32 v19, 0
	s_delay_alu instid0(VALU_DEP_1) | instskip(SKIP_1) | instid1(VALU_DEP_1)
	v_lshl_add_u64 v[16:17], v[18:19], 3, s[10:11]
	v_sub_co_u32 v18, vcc_lo, v18, v1
	v_lshl_add_u64 v[18:19], v[18:19], 3, v[22:23]
	s_delay_alu instid0(VALU_DEP_1)
	v_dual_cndmask_b32 v17, v19, v17 :: v_dual_cndmask_b32 v16, v18, v16
	global_load_b64 v[16:17], v[16:17], off
.LBB1010_23:
	s_wait_xcnt 0x0
	s_or_b32 exec_lo, exec_lo, s2
.LBB1010_24:
	s_load_b128 s[12:15], s[0:1], 0x40
	v_min_u32_e32 v26, v24, v20
	s_wait_xcnt 0x0
	s_mov_b32 s1, exec_lo
	s_wait_loadcnt 0x0
	ds_store_2addr_stride64_b64 v20, v[2:3], v[4:5] offset1:2
	ds_store_2addr_stride64_b64 v20, v[6:7], v[8:9] offset0:4 offset1:6
	ds_store_2addr_stride64_b64 v20, v[10:11], v[12:13] offset0:8 offset1:10
	;; [unrolled: 1-line block ×3, first 2 shown]
	s_wait_dscnt 0x0
	s_barrier_signal -1
	v_sub_nc_u32_e64 v21, v26, v25 clamp
	v_min_u32_e32 v25, v26, v1
	s_barrier_wait -1
	s_delay_alu instid0(VALU_DEP_1)
	v_cmpx_lt_u32_e64 v21, v25
	s_cbranch_execz .LBB1010_34
; %bb.25:
	v_lshlrev_b32_e32 v18, 3, v26
	s_wait_kmcnt 0x0
	v_cmp_gt_i64_e64 s4, s[12:13], 0
	s_mov_b32 s5, 0
	v_lshl_add_u32 v27, v1, 3, v18
	s_branch .LBB1010_28
.LBB1010_26:                            ;   in Loop: Header=BB1010_28 Depth=1
	s_or_b32 exec_lo, exec_lo, s11
.LBB1010_27:                            ;   in Loop: Header=BB1010_28 Depth=1
	s_delay_alu instid0(VALU_DEP_1) | instskip(NEXT) | instid1(VALU_DEP_1)
	v_dual_add_nc_u32 v18, 1, v28 :: v_dual_cndmask_b32 v25, v25, v28, s10
	v_cndmask_b32_e64 v21, v18, v21, s10
	s_delay_alu instid0(VALU_DEP_1) | instskip(SKIP_1) | instid1(SALU_CYCLE_1)
	v_cmp_ge_u32_e32 vcc_lo, v21, v25
	s_or_b32 s5, vcc_lo, s5
	s_and_not1_b32 exec_lo, exec_lo, s5
	s_cbranch_execz .LBB1010_33
.LBB1010_28:                            ; =>This Loop Header: Depth=1
                                        ;     Child Loop BB1010_31 Depth 2
	v_add_nc_u32_e32 v18, v25, v21
	s_and_not1_b32 vcc_lo, exec_lo, s4
	s_mov_b32 s10, 0
	s_delay_alu instid0(VALU_DEP_1)
	v_lshrrev_b32_e32 v28, 1, v18
	s_cbranch_vccnz .LBB1010_27
; %bb.29:                               ;   in Loop: Header=BB1010_28 Depth=1
	s_delay_alu instid0(VALU_DEP_1) | instskip(SKIP_3) | instid1(VALU_DEP_2)
	v_not_b32_e32 v18, v28
	v_lshlrev_b32_e32 v19, 3, v28
	s_mov_b32 s11, 0
	s_mov_b64 s[2:3], s[12:13]
                                        ; implicit-def: $sgpr10
                                        ; implicit-def: $sgpr18
                                        ; implicit-def: $sgpr19
                                        ; implicit-def: $sgpr20
	v_lshl_add_u32 v18, v18, 3, v27
	ds_load_b64 v[30:31], v18
	ds_load_b64 v[32:33], v19
	s_wait_dscnt 0x1
	v_mad_nc_u64_u32 v[18:19], v30, s12, s[14:15]
	s_wait_dscnt 0x0
	v_mad_nc_u64_u32 v[22:23], v32, s12, s[14:15]
	s_delay_alu instid0(VALU_DEP_2) | instskip(NEXT) | instid1(VALU_DEP_2)
	v_mad_u32 v19, v31, s12, v19
	v_mad_u32 v23, v33, s12, v23
	s_delay_alu instid0(VALU_DEP_2) | instskip(NEXT) | instid1(VALU_DEP_2)
	v_mad_u32 v19, v30, s13, v19
	v_mad_u32 v23, v32, s13, v23
	s_branch .LBB1010_31
.LBB1010_30:                            ;   in Loop: Header=BB1010_31 Depth=2
	s_or_b32 exec_lo, exec_lo, s0
	s_delay_alu instid0(SALU_CYCLE_1) | instskip(NEXT) | instid1(SALU_CYCLE_1)
	s_and_b32 s0, exec_lo, s18
	s_or_b32 s11, s0, s11
	s_and_not1_b32 s0, s20, exec_lo
	s_and_b32 s20, s21, exec_lo
	s_and_not1_b32 s10, s10, exec_lo
	s_and_b32 s21, s19, exec_lo
	s_or_b32 s20, s0, s20
	s_or_b32 s10, s10, s21
	s_and_not1_b32 exec_lo, exec_lo, s11
	s_cbranch_execz .LBB1010_26
.LBB1010_31:                            ;   Parent Loop BB1010_28 Depth=1
                                        ; =>  This Inner Loop Header: Depth=2
	global_load_u8 v29, v[18:19], off
	global_load_u8 v30, v[22:23], off
	s_and_not1_b32 s19, s19, exec_lo
	s_or_b32 s18, s18, exec_lo
	s_wait_loadcnt 0x1
	v_cmp_eq_u16_e32 vcc_lo, 0, v29
	s_wait_loadcnt 0x0
	v_cmp_ne_u16_e64 s0, 0, v30
	s_or_b32 s21, vcc_lo, s0
	s_and_b32 s22, vcc_lo, s0
	s_and_b32 s21, s21, s20
	s_xor_b32 s23, vcc_lo, s0
	s_or_b32 s21, s22, s21
	s_delay_alu instid0(SALU_CYCLE_1) | instskip(NEXT) | instid1(SALU_CYCLE_1)
	s_and_b32 s22, s21, exec_lo
	s_or_b32 s19, s19, s22
	s_and_saveexec_b32 s0, s23
	s_cbranch_execz .LBB1010_30
; %bb.32:                               ;   in Loop: Header=BB1010_31 Depth=2
	s_add_nc_u64 s[2:3], s[2:3], -1
	v_add_nc_u64_e32 v[18:19], 1, v[18:19]
	s_cmp_eq_u64 s[2:3], 0
	v_add_nc_u64_e32 v[22:23], 1, v[22:23]
	s_cselect_b32 s20, -1, 0
	s_and_not1_b32 s18, s18, exec_lo
	s_and_b32 s20, s20, exec_lo
	s_and_not1_b32 s19, s19, exec_lo
	s_or_b32 s18, s18, s20
                                        ; implicit-def: $sgpr20
	s_branch .LBB1010_30
.LBB1010_33:
	s_or_b32 exec_lo, exec_lo, s5
.LBB1010_34:
	s_delay_alu instid0(SALU_CYCLE_1) | instskip(SKIP_2) | instid1(VALU_DEP_2)
	s_or_b32 exec_lo, exec_lo, s1
	v_sub_nc_u32_e32 v18, v26, v21
	v_cmp_le_u32_e32 vcc_lo, v21, v1
	v_add_nc_u32_e32 v18, v18, v1
	s_delay_alu instid0(VALU_DEP_1) | instskip(SKIP_1) | instid1(SALU_CYCLE_1)
	v_cmp_le_u32_e64 s0, v18, v24
	s_or_b32 s0, vcc_lo, s0
	s_and_saveexec_b32 s4, s0
	s_cbranch_execz .LBB1010_102
; %bb.35:
	s_mov_b32 s1, exec_lo
	v_cmp_ge_u32_e32 vcc_lo, v21, v1
                                        ; implicit-def: $vgpr2_vgpr3
	v_cmpx_lt_u32_e64 v21, v1
; %bb.36:
	v_lshlrev_b32_e32 v2, 3, v21
	ds_load_b64 v[2:3], v2
; %bb.37:
	s_or_b32 exec_lo, exec_lo, s1
	v_cmp_ge_u32_e64 s0, v18, v24
	s_mov_b32 s2, exec_lo
                                        ; implicit-def: $vgpr16_vgpr17
	v_cmpx_lt_u32_e64 v18, v24
; %bb.38:
	v_lshlrev_b32_e32 v4, 3, v18
	ds_load_b64 v[16:17], v4
; %bb.39:
	s_or_b32 exec_lo, exec_lo, s2
	s_wait_kmcnt 0x0
	v_cmp_lt_i64_e64 s5, s[12:13], 1
	s_or_b32 s1, vcc_lo, s0
	s_xor_b32 s2, vcc_lo, -1
	s_nor_b32 s3, s1, s5
	s_or_b32 s1, s0, s2
	s_and_saveexec_b32 s10, s3
	s_cbranch_execz .LBB1010_45
; %bb.40:
	s_wait_dscnt 0x0
	v_mad_nc_u64_u32 v[4:5], v16, s12, s[14:15]
	v_mad_nc_u64_u32 v[6:7], v2, s12, s[14:15]
	s_mov_b32 s11, 0
	s_mov_b64 s[2:3], s[12:13]
                                        ; implicit-def: $sgpr18
                                        ; implicit-def: $sgpr19
                                        ; implicit-def: $sgpr20
                                        ; implicit-def: $sgpr21
	s_delay_alu instid0(VALU_DEP_2) | instskip(NEXT) | instid1(VALU_DEP_2)
	v_mad_u32 v5, v17, s12, v5
	v_mad_u32 v7, v3, s12, v7
	s_delay_alu instid0(VALU_DEP_2) | instskip(NEXT) | instid1(VALU_DEP_2)
	v_mad_u32 v5, v16, s13, v5
	v_mad_u32 v7, v2, s13, v7
	s_branch .LBB1010_42
.LBB1010_41:                            ;   in Loop: Header=BB1010_42 Depth=1
	s_or_b32 exec_lo, exec_lo, s0
	s_delay_alu instid0(SALU_CYCLE_1) | instskip(NEXT) | instid1(SALU_CYCLE_1)
	s_and_b32 s0, exec_lo, s19
	s_or_b32 s11, s0, s11
	s_and_not1_b32 s0, s21, exec_lo
	s_and_b32 s21, s22, exec_lo
	s_and_not1_b32 s18, s18, exec_lo
	s_and_b32 s22, s20, exec_lo
	s_or_b32 s21, s0, s21
	s_or_b32 s18, s18, s22
	s_and_not1_b32 exec_lo, exec_lo, s11
	s_cbranch_execz .LBB1010_44
.LBB1010_42:                            ; =>This Inner Loop Header: Depth=1
	global_load_u8 v8, v[4:5], off
	global_load_u8 v9, v[6:7], off
	s_and_not1_b32 s20, s20, exec_lo
	s_or_b32 s19, s19, exec_lo
	s_wait_loadcnt 0x1
	v_cmp_eq_u16_e32 vcc_lo, 0, v8
	s_wait_loadcnt 0x0
	v_cmp_ne_u16_e64 s0, 0, v9
	s_or_b32 s22, vcc_lo, s0
	s_and_b32 s23, vcc_lo, s0
	s_and_b32 s22, s22, s21
	s_xor_b32 s24, vcc_lo, s0
	s_or_b32 s22, s23, s22
	s_delay_alu instid0(SALU_CYCLE_1) | instskip(NEXT) | instid1(SALU_CYCLE_1)
	s_and_b32 s23, s22, exec_lo
	s_or_b32 s20, s20, s23
	s_and_saveexec_b32 s0, s24
	s_cbranch_execz .LBB1010_41
; %bb.43:                               ;   in Loop: Header=BB1010_42 Depth=1
	s_add_nc_u64 s[2:3], s[2:3], -1
	v_add_nc_u64_e32 v[4:5], 1, v[4:5]
	s_cmp_eq_u64 s[2:3], 0
	v_add_nc_u64_e32 v[6:7], 1, v[6:7]
	s_cselect_b32 s21, -1, 0
	s_and_not1_b32 s19, s19, exec_lo
	s_and_b32 s21, s21, exec_lo
	s_and_not1_b32 s20, s20, exec_lo
	s_or_b32 s19, s19, s21
                                        ; implicit-def: $sgpr21
	s_branch .LBB1010_41
.LBB1010_44:
	s_or_b32 exec_lo, exec_lo, s11
	s_xor_b32 s0, s18, -1
	s_and_not1_b32 s1, s1, exec_lo
	s_and_b32 s0, s0, exec_lo
	s_delay_alu instid0(SALU_CYCLE_1)
	s_or_b32 s1, s1, s0
.LBB1010_45:
	s_or_b32 exec_lo, exec_lo, s10
	v_cndmask_b32_e64 v4, v18, v21, s1
	v_cndmask_b32_e64 v5, v24, v1, s1
	s_mov_b32 s11, -1
	s_mov_b32 s10, -1
	s_mov_b32 s18, exec_lo
	v_add_nc_u32_e32 v6, 1, v4
	s_delay_alu instid0(VALU_DEP_1) | instskip(SKIP_1) | instid1(VALU_DEP_2)
	v_add_min_u32_e64 v4, v5, -1, v6
	v_cndmask_b32_e64 v9, v21, v6, s1
	v_dual_cndmask_b32 v8, v6, v18, s1 :: v_dual_lshlrev_b32 v4, 3, v4
	ds_load_b64 v[4:5], v4
	s_wait_dscnt 0x0
	v_dual_cndmask_b32 v18, v5, v17, s1 :: v_dual_cndmask_b32 v19, v4, v16, s1
	v_dual_cndmask_b32 v21, v3, v5, s1 :: v_dual_cndmask_b32 v22, v2, v4, s1
	v_cmpx_lt_u32_e64 v8, v24
	s_cbranch_execz .LBB1010_53
; %bb.46:
	v_cmp_lt_u32_e64 s10, v9, v1
	s_xor_b32 s0, s5, -1
	s_delay_alu instid0(SALU_CYCLE_1) | instskip(NEXT) | instid1(SALU_CYCLE_1)
	s_and_b32 s0, s10, s0
	s_and_saveexec_b32 s19, s0
	s_cbranch_execz .LBB1010_52
; %bb.47:
	v_mad_nc_u64_u32 v[4:5], v19, s12, s[14:15]
	v_mad_nc_u64_u32 v[6:7], v22, s12, s[14:15]
	s_mov_b32 s20, 0
	s_mov_b64 s[2:3], s[12:13]
                                        ; implicit-def: $sgpr21
                                        ; implicit-def: $sgpr22
                                        ; implicit-def: $sgpr23
                                        ; implicit-def: $sgpr24
	s_delay_alu instid0(VALU_DEP_2) | instskip(NEXT) | instid1(VALU_DEP_2)
	v_mad_u32 v5, v18, s12, v5
	v_mad_u32 v7, v21, s12, v7
	s_delay_alu instid0(VALU_DEP_2) | instskip(NEXT) | instid1(VALU_DEP_2)
	v_mad_u32 v5, v19, s13, v5
	v_mad_u32 v7, v22, s13, v7
	s_branch .LBB1010_49
.LBB1010_48:                            ;   in Loop: Header=BB1010_49 Depth=1
	s_or_b32 exec_lo, exec_lo, s0
	s_delay_alu instid0(SALU_CYCLE_1) | instskip(NEXT) | instid1(SALU_CYCLE_1)
	s_and_b32 s0, exec_lo, s22
	s_or_b32 s20, s0, s20
	s_and_not1_b32 s0, s24, exec_lo
	s_and_b32 s24, s25, exec_lo
	s_and_not1_b32 s21, s21, exec_lo
	s_and_b32 s25, s23, exec_lo
	s_or_b32 s24, s0, s24
	s_or_b32 s21, s21, s25
	s_and_not1_b32 exec_lo, exec_lo, s20
	s_cbranch_execz .LBB1010_51
.LBB1010_49:                            ; =>This Inner Loop Header: Depth=1
	global_load_u8 v10, v[4:5], off
	global_load_u8 v11, v[6:7], off
	s_and_not1_b32 s23, s23, exec_lo
	s_or_b32 s22, s22, exec_lo
	s_wait_loadcnt 0x1
	v_cmp_eq_u16_e32 vcc_lo, 0, v10
	s_wait_loadcnt 0x0
	v_cmp_ne_u16_e64 s0, 0, v11
	s_or_b32 s25, vcc_lo, s0
	s_and_b32 s26, vcc_lo, s0
	s_and_b32 s25, s25, s24
	s_xor_b32 s27, vcc_lo, s0
	s_or_b32 s25, s26, s25
	s_delay_alu instid0(SALU_CYCLE_1) | instskip(NEXT) | instid1(SALU_CYCLE_1)
	s_and_b32 s26, s25, exec_lo
	s_or_b32 s23, s23, s26
	s_and_saveexec_b32 s0, s27
	s_cbranch_execz .LBB1010_48
; %bb.50:                               ;   in Loop: Header=BB1010_49 Depth=1
	s_add_nc_u64 s[2:3], s[2:3], -1
	v_add_nc_u64_e32 v[4:5], 1, v[4:5]
	s_cmp_eq_u64 s[2:3], 0
	v_add_nc_u64_e32 v[6:7], 1, v[6:7]
	s_cselect_b32 s24, -1, 0
	s_and_not1_b32 s22, s22, exec_lo
	s_and_b32 s24, s24, exec_lo
	s_and_not1_b32 s23, s23, exec_lo
	s_or_b32 s22, s22, s24
                                        ; implicit-def: $sgpr24
	s_branch .LBB1010_48
.LBB1010_51:
	s_or_b32 exec_lo, exec_lo, s20
	s_xor_b32 s0, s21, -1
	s_and_not1_b32 s2, s10, exec_lo
	s_and_b32 s0, s0, exec_lo
	s_delay_alu instid0(SALU_CYCLE_1)
	s_or_b32 s10, s2, s0
.LBB1010_52:
	s_or_b32 exec_lo, exec_lo, s19
	s_delay_alu instid0(SALU_CYCLE_1)
	s_or_not1_b32 s10, s10, exec_lo
.LBB1010_53:
	s_or_b32 exec_lo, exec_lo, s18
	v_cndmask_b32_e64 v4, v8, v9, s10
	v_cndmask_b32_e64 v5, v24, v1, s10
	s_mov_b32 s18, exec_lo
	s_delay_alu instid0(VALU_DEP_2) | instskip(NEXT) | instid1(VALU_DEP_1)
	v_add_nc_u32_e32 v6, 1, v4
	v_add_min_u32_e64 v4, v5, -1, v6
	v_dual_cndmask_b32 v8, v6, v8, s10 :: v_dual_cndmask_b32 v9, v9, v6, s10
	s_delay_alu instid0(VALU_DEP_2)
	v_lshlrev_b32_e32 v4, 3, v4
	ds_load_b64 v[4:5], v4
	s_wait_dscnt 0x0
	v_dual_cndmask_b32 v23, v5, v18, s10 :: v_dual_cndmask_b32 v25, v4, v19, s10
	v_dual_cndmask_b32 v26, v21, v5, s10 :: v_dual_cndmask_b32 v27, v22, v4, s10
	v_cmpx_lt_u32_e64 v8, v24
	s_cbranch_execz .LBB1010_61
; %bb.54:
	v_cmp_lt_u32_e64 s11, v9, v1
	s_xor_b32 s0, s5, -1
	s_delay_alu instid0(SALU_CYCLE_1) | instskip(NEXT) | instid1(SALU_CYCLE_1)
	s_and_b32 s0, s11, s0
	s_and_saveexec_b32 s19, s0
	s_cbranch_execz .LBB1010_60
; %bb.55:
	v_mad_nc_u64_u32 v[4:5], v25, s12, s[14:15]
	v_mad_nc_u64_u32 v[6:7], v27, s12, s[14:15]
	s_mov_b32 s20, 0
	s_mov_b64 s[2:3], s[12:13]
                                        ; implicit-def: $sgpr21
                                        ; implicit-def: $sgpr22
                                        ; implicit-def: $sgpr23
                                        ; implicit-def: $sgpr24
	s_delay_alu instid0(VALU_DEP_2) | instskip(NEXT) | instid1(VALU_DEP_2)
	v_mad_u32 v5, v23, s12, v5
	v_mad_u32 v7, v26, s12, v7
	s_delay_alu instid0(VALU_DEP_2) | instskip(NEXT) | instid1(VALU_DEP_2)
	v_mad_u32 v5, v25, s13, v5
	v_mad_u32 v7, v27, s13, v7
	s_branch .LBB1010_57
.LBB1010_56:                            ;   in Loop: Header=BB1010_57 Depth=1
	s_or_b32 exec_lo, exec_lo, s0
	s_delay_alu instid0(SALU_CYCLE_1) | instskip(NEXT) | instid1(SALU_CYCLE_1)
	s_and_b32 s0, exec_lo, s22
	s_or_b32 s20, s0, s20
	s_and_not1_b32 s0, s24, exec_lo
	s_and_b32 s24, s25, exec_lo
	s_and_not1_b32 s21, s21, exec_lo
	s_and_b32 s25, s23, exec_lo
	s_or_b32 s24, s0, s24
	s_or_b32 s21, s21, s25
	s_and_not1_b32 exec_lo, exec_lo, s20
	s_cbranch_execz .LBB1010_59
.LBB1010_57:                            ; =>This Inner Loop Header: Depth=1
	global_load_u8 v10, v[4:5], off
	global_load_u8 v11, v[6:7], off
	s_and_not1_b32 s23, s23, exec_lo
	s_or_b32 s22, s22, exec_lo
	s_wait_loadcnt 0x1
	v_cmp_eq_u16_e32 vcc_lo, 0, v10
	s_wait_loadcnt 0x0
	v_cmp_ne_u16_e64 s0, 0, v11
	s_or_b32 s25, vcc_lo, s0
	s_and_b32 s26, vcc_lo, s0
	s_and_b32 s25, s25, s24
	s_xor_b32 s27, vcc_lo, s0
	s_or_b32 s25, s26, s25
	s_delay_alu instid0(SALU_CYCLE_1) | instskip(NEXT) | instid1(SALU_CYCLE_1)
	s_and_b32 s26, s25, exec_lo
	s_or_b32 s23, s23, s26
	s_and_saveexec_b32 s0, s27
	s_cbranch_execz .LBB1010_56
; %bb.58:                               ;   in Loop: Header=BB1010_57 Depth=1
	s_add_nc_u64 s[2:3], s[2:3], -1
	v_add_nc_u64_e32 v[4:5], 1, v[4:5]
	s_cmp_eq_u64 s[2:3], 0
	v_add_nc_u64_e32 v[6:7], 1, v[6:7]
	s_cselect_b32 s24, -1, 0
	s_and_not1_b32 s22, s22, exec_lo
	s_and_b32 s24, s24, exec_lo
	s_and_not1_b32 s23, s23, exec_lo
	s_or_b32 s22, s22, s24
                                        ; implicit-def: $sgpr24
	s_branch .LBB1010_56
.LBB1010_59:
	s_or_b32 exec_lo, exec_lo, s20
	s_xor_b32 s0, s21, -1
	s_and_not1_b32 s2, s11, exec_lo
	s_and_b32 s0, s0, exec_lo
	s_delay_alu instid0(SALU_CYCLE_1)
	s_or_b32 s11, s2, s0
.LBB1010_60:
	s_or_b32 exec_lo, exec_lo, s19
	s_delay_alu instid0(SALU_CYCLE_1)
	s_or_not1_b32 s11, s11, exec_lo
.LBB1010_61:
	s_or_b32 exec_lo, exec_lo, s18
	v_cndmask_b32_e64 v4, v8, v9, s11
	v_cndmask_b32_e64 v5, v24, v1, s11
	s_mov_b32 s19, -1
	s_mov_b32 s18, -1
	s_mov_b32 s20, exec_lo
	v_add_nc_u32_e32 v6, 1, v4
	s_delay_alu instid0(VALU_DEP_1) | instskip(SKIP_1) | instid1(VALU_DEP_2)
	v_add_min_u32_e64 v4, v5, -1, v6
	v_dual_cndmask_b32 v10, v6, v8, s11 :: v_dual_cndmask_b32 v11, v9, v6, s11
	v_lshlrev_b32_e32 v4, 3, v4
	ds_load_b64 v[4:5], v4
	s_wait_dscnt 0x0
	v_dual_cndmask_b32 v8, v5, v23, s11 :: v_dual_cndmask_b32 v28, v4, v25, s11
	v_dual_cndmask_b32 v9, v26, v5, s11 :: v_dual_cndmask_b32 v29, v27, v4, s11
	v_cmpx_lt_u32_e64 v10, v24
	s_cbranch_execz .LBB1010_69
; %bb.62:
	v_cmp_lt_u32_e64 s18, v11, v1
	s_xor_b32 s0, s5, -1
	s_delay_alu instid0(SALU_CYCLE_1) | instskip(NEXT) | instid1(SALU_CYCLE_1)
	s_and_b32 s0, s18, s0
	s_and_saveexec_b32 s21, s0
	s_cbranch_execz .LBB1010_68
; %bb.63:
	v_mad_nc_u64_u32 v[4:5], v28, s12, s[14:15]
	v_mad_nc_u64_u32 v[6:7], v29, s12, s[14:15]
	s_mov_b32 s22, 0
	s_mov_b64 s[2:3], s[12:13]
                                        ; implicit-def: $sgpr23
                                        ; implicit-def: $sgpr24
                                        ; implicit-def: $sgpr25
                                        ; implicit-def: $sgpr26
	s_delay_alu instid0(VALU_DEP_2) | instskip(NEXT) | instid1(VALU_DEP_2)
	v_mad_u32 v5, v8, s12, v5
	v_mad_u32 v7, v9, s12, v7
	s_delay_alu instid0(VALU_DEP_2) | instskip(NEXT) | instid1(VALU_DEP_2)
	v_mad_u32 v5, v28, s13, v5
	v_mad_u32 v7, v29, s13, v7
	s_branch .LBB1010_65
.LBB1010_64:                            ;   in Loop: Header=BB1010_65 Depth=1
	s_or_b32 exec_lo, exec_lo, s0
	s_delay_alu instid0(SALU_CYCLE_1) | instskip(NEXT) | instid1(SALU_CYCLE_1)
	s_and_b32 s0, exec_lo, s24
	s_or_b32 s22, s0, s22
	s_and_not1_b32 s0, s26, exec_lo
	s_and_b32 s26, s27, exec_lo
	s_and_not1_b32 s23, s23, exec_lo
	s_and_b32 s27, s25, exec_lo
	s_or_b32 s26, s0, s26
	s_or_b32 s23, s23, s27
	s_and_not1_b32 exec_lo, exec_lo, s22
	s_cbranch_execz .LBB1010_67
.LBB1010_65:                            ; =>This Inner Loop Header: Depth=1
	global_load_u8 v12, v[4:5], off
	global_load_u8 v13, v[6:7], off
	s_and_not1_b32 s25, s25, exec_lo
	s_or_b32 s24, s24, exec_lo
	s_wait_loadcnt 0x1
	v_cmp_eq_u16_e32 vcc_lo, 0, v12
	s_wait_loadcnt 0x0
	v_cmp_ne_u16_e64 s0, 0, v13
	s_or_b32 s27, vcc_lo, s0
	s_and_b32 s28, vcc_lo, s0
	s_and_b32 s27, s27, s26
	s_xor_b32 s29, vcc_lo, s0
	s_or_b32 s27, s28, s27
	s_delay_alu instid0(SALU_CYCLE_1) | instskip(NEXT) | instid1(SALU_CYCLE_1)
	s_and_b32 s28, s27, exec_lo
	s_or_b32 s25, s25, s28
	s_and_saveexec_b32 s0, s29
	s_cbranch_execz .LBB1010_64
; %bb.66:                               ;   in Loop: Header=BB1010_65 Depth=1
	s_add_nc_u64 s[2:3], s[2:3], -1
	v_add_nc_u64_e32 v[4:5], 1, v[4:5]
	s_cmp_eq_u64 s[2:3], 0
	v_add_nc_u64_e32 v[6:7], 1, v[6:7]
	s_cselect_b32 s26, -1, 0
	s_and_not1_b32 s24, s24, exec_lo
	s_and_b32 s26, s26, exec_lo
	s_and_not1_b32 s25, s25, exec_lo
	s_or_b32 s24, s24, s26
                                        ; implicit-def: $sgpr26
	s_branch .LBB1010_64
.LBB1010_67:
	s_or_b32 exec_lo, exec_lo, s22
	s_xor_b32 s0, s23, -1
	s_and_not1_b32 s2, s18, exec_lo
	s_and_b32 s0, s0, exec_lo
	s_delay_alu instid0(SALU_CYCLE_1)
	s_or_b32 s18, s2, s0
.LBB1010_68:
	s_or_b32 exec_lo, exec_lo, s21
	s_delay_alu instid0(SALU_CYCLE_1)
	s_or_not1_b32 s18, s18, exec_lo
.LBB1010_69:
	s_or_b32 exec_lo, exec_lo, s20
	v_dual_cndmask_b32 v4, v10, v11, s18 :: v_dual_cndmask_b32 v5, v24, v1, s18
	s_mov_b32 s20, exec_lo
	s_delay_alu instid0(VALU_DEP_1) | instskip(NEXT) | instid1(VALU_DEP_1)
	v_add_nc_u32_e32 v6, 1, v4
	v_add_min_u32_e64 v4, v5, -1, v6
	s_delay_alu instid0(VALU_DEP_1)
	v_lshlrev_b32_e32 v4, 3, v4
	ds_load_b64 v[4:5], v4
	v_cndmask_b32_e64 v12, v6, v10, s18
	s_wait_dscnt 0x0
	v_dual_cndmask_b32 v13, v11, v6, s18 :: v_dual_cndmask_b32 v30, v4, v28, s18
	v_cndmask_b32_e64 v10, v5, v8, s18
	v_cndmask_b32_e64 v11, v9, v5, s18
	;; [unrolled: 1-line block ×3, first 2 shown]
	v_cmpx_lt_u32_e64 v12, v24
	s_cbranch_execz .LBB1010_77
; %bb.70:
	v_cmp_lt_u32_e64 s19, v13, v1
	s_xor_b32 s0, s5, -1
	s_delay_alu instid0(SALU_CYCLE_1) | instskip(NEXT) | instid1(SALU_CYCLE_1)
	s_and_b32 s0, s19, s0
	s_and_saveexec_b32 s21, s0
	s_cbranch_execz .LBB1010_76
; %bb.71:
	v_mad_nc_u64_u32 v[4:5], v30, s12, s[14:15]
	v_mad_nc_u64_u32 v[6:7], v31, s12, s[14:15]
	s_mov_b32 s22, 0
	s_mov_b64 s[2:3], s[12:13]
                                        ; implicit-def: $sgpr23
                                        ; implicit-def: $sgpr24
                                        ; implicit-def: $sgpr25
                                        ; implicit-def: $sgpr26
	s_delay_alu instid0(VALU_DEP_2) | instskip(NEXT) | instid1(VALU_DEP_2)
	v_mad_u32 v5, v10, s12, v5
	v_mad_u32 v7, v11, s12, v7
	s_delay_alu instid0(VALU_DEP_2) | instskip(NEXT) | instid1(VALU_DEP_2)
	v_mad_u32 v5, v30, s13, v5
	v_mad_u32 v7, v31, s13, v7
	s_branch .LBB1010_73
.LBB1010_72:                            ;   in Loop: Header=BB1010_73 Depth=1
	s_or_b32 exec_lo, exec_lo, s0
	s_delay_alu instid0(SALU_CYCLE_1) | instskip(NEXT) | instid1(SALU_CYCLE_1)
	s_and_b32 s0, exec_lo, s24
	s_or_b32 s22, s0, s22
	s_and_not1_b32 s0, s26, exec_lo
	s_and_b32 s26, s27, exec_lo
	s_and_not1_b32 s23, s23, exec_lo
	s_and_b32 s27, s25, exec_lo
	s_or_b32 s26, s0, s26
	s_or_b32 s23, s23, s27
	s_and_not1_b32 exec_lo, exec_lo, s22
	s_cbranch_execz .LBB1010_75
.LBB1010_73:                            ; =>This Inner Loop Header: Depth=1
	global_load_u8 v14, v[4:5], off
	global_load_u8 v15, v[6:7], off
	s_and_not1_b32 s25, s25, exec_lo
	s_or_b32 s24, s24, exec_lo
	s_wait_loadcnt 0x1
	v_cmp_eq_u16_e32 vcc_lo, 0, v14
	s_wait_loadcnt 0x0
	v_cmp_ne_u16_e64 s0, 0, v15
	s_or_b32 s27, vcc_lo, s0
	s_and_b32 s28, vcc_lo, s0
	s_and_b32 s27, s27, s26
	s_xor_b32 s29, vcc_lo, s0
	s_or_b32 s27, s28, s27
	s_delay_alu instid0(SALU_CYCLE_1) | instskip(NEXT) | instid1(SALU_CYCLE_1)
	s_and_b32 s28, s27, exec_lo
	s_or_b32 s25, s25, s28
	s_and_saveexec_b32 s0, s29
	s_cbranch_execz .LBB1010_72
; %bb.74:                               ;   in Loop: Header=BB1010_73 Depth=1
	s_add_nc_u64 s[2:3], s[2:3], -1
	v_add_nc_u64_e32 v[4:5], 1, v[4:5]
	s_cmp_eq_u64 s[2:3], 0
	v_add_nc_u64_e32 v[6:7], 1, v[6:7]
	s_cselect_b32 s26, -1, 0
	s_and_not1_b32 s24, s24, exec_lo
	s_and_b32 s26, s26, exec_lo
	s_and_not1_b32 s25, s25, exec_lo
	s_or_b32 s24, s24, s26
                                        ; implicit-def: $sgpr26
	s_branch .LBB1010_72
.LBB1010_75:
	s_or_b32 exec_lo, exec_lo, s22
	s_xor_b32 s0, s23, -1
	s_and_not1_b32 s2, s19, exec_lo
	s_and_b32 s0, s0, exec_lo
	s_delay_alu instid0(SALU_CYCLE_1)
	s_or_b32 s19, s2, s0
.LBB1010_76:
	s_or_b32 exec_lo, exec_lo, s21
	s_delay_alu instid0(SALU_CYCLE_1)
	s_or_not1_b32 s19, s19, exec_lo
.LBB1010_77:
	s_or_b32 exec_lo, exec_lo, s20
	v_cndmask_b32_e64 v4, v12, v13, s19
	v_cndmask_b32_e64 v5, v24, v1, s19
	s_mov_b32 s21, -1
	s_mov_b32 s20, -1
	s_mov_b32 s22, exec_lo
	v_add_nc_u32_e32 v6, 1, v4
	s_delay_alu instid0(VALU_DEP_1) | instskip(SKIP_1) | instid1(VALU_DEP_2)
	v_add_min_u32_e64 v4, v5, -1, v6
	v_dual_cndmask_b32 v14, v6, v12, s19 :: v_dual_cndmask_b32 v15, v13, v6, s19
	v_lshlrev_b32_e32 v4, 3, v4
	ds_load_b64 v[4:5], v4
	s_wait_dscnt 0x0
	v_dual_cndmask_b32 v12, v5, v10, s19 :: v_dual_cndmask_b32 v13, v11, v5, s19
	v_dual_cndmask_b32 v32, v4, v30, s19 :: v_dual_cndmask_b32 v33, v31, v4, s19
	v_cmpx_lt_u32_e64 v14, v24
	s_cbranch_execz .LBB1010_85
; %bb.78:
	v_cmp_lt_u32_e64 s20, v15, v1
	s_xor_b32 s0, s5, -1
	s_delay_alu instid0(SALU_CYCLE_1) | instskip(NEXT) | instid1(SALU_CYCLE_1)
	s_and_b32 s0, s20, s0
	s_and_saveexec_b32 s23, s0
	s_cbranch_execz .LBB1010_84
; %bb.79:
	v_mad_nc_u64_u32 v[4:5], v32, s12, s[14:15]
	v_mad_nc_u64_u32 v[6:7], v33, s12, s[14:15]
	s_mov_b32 s24, 0
	s_mov_b64 s[2:3], s[12:13]
                                        ; implicit-def: $sgpr25
                                        ; implicit-def: $sgpr26
                                        ; implicit-def: $sgpr27
                                        ; implicit-def: $sgpr28
	s_delay_alu instid0(VALU_DEP_2) | instskip(NEXT) | instid1(VALU_DEP_2)
	v_mad_u32 v5, v12, s12, v5
	v_mad_u32 v7, v13, s12, v7
	s_delay_alu instid0(VALU_DEP_2) | instskip(NEXT) | instid1(VALU_DEP_2)
	v_mad_u32 v5, v32, s13, v5
	v_mad_u32 v7, v33, s13, v7
	s_branch .LBB1010_81
.LBB1010_80:                            ;   in Loop: Header=BB1010_81 Depth=1
	s_or_b32 exec_lo, exec_lo, s0
	s_delay_alu instid0(SALU_CYCLE_1) | instskip(NEXT) | instid1(SALU_CYCLE_1)
	s_and_b32 s0, exec_lo, s26
	s_or_b32 s24, s0, s24
	s_and_not1_b32 s0, s28, exec_lo
	s_and_b32 s28, s29, exec_lo
	s_and_not1_b32 s25, s25, exec_lo
	s_and_b32 s29, s27, exec_lo
	s_or_b32 s28, s0, s28
	s_or_b32 s25, s25, s29
	s_and_not1_b32 exec_lo, exec_lo, s24
	s_cbranch_execz .LBB1010_83
.LBB1010_81:                            ; =>This Inner Loop Header: Depth=1
	global_load_u8 v34, v[4:5], off
	global_load_u8 v35, v[6:7], off
	s_and_not1_b32 s27, s27, exec_lo
	s_or_b32 s26, s26, exec_lo
	s_wait_loadcnt 0x1
	v_cmp_eq_u16_e32 vcc_lo, 0, v34
	s_wait_loadcnt 0x0
	v_cmp_ne_u16_e64 s0, 0, v35
	s_or_b32 s29, vcc_lo, s0
	s_and_b32 s30, vcc_lo, s0
	s_and_b32 s29, s29, s28
	s_xor_b32 s31, vcc_lo, s0
	s_or_b32 s29, s30, s29
	s_delay_alu instid0(SALU_CYCLE_1) | instskip(NEXT) | instid1(SALU_CYCLE_1)
	s_and_b32 s30, s29, exec_lo
	s_or_b32 s27, s27, s30
	s_and_saveexec_b32 s0, s31
	s_cbranch_execz .LBB1010_80
; %bb.82:                               ;   in Loop: Header=BB1010_81 Depth=1
	s_add_nc_u64 s[2:3], s[2:3], -1
	v_add_nc_u64_e32 v[4:5], 1, v[4:5]
	s_cmp_eq_u64 s[2:3], 0
	v_add_nc_u64_e32 v[6:7], 1, v[6:7]
	s_cselect_b32 s28, -1, 0
	s_and_not1_b32 s26, s26, exec_lo
	s_and_b32 s28, s28, exec_lo
	s_and_not1_b32 s27, s27, exec_lo
	s_or_b32 s26, s26, s28
                                        ; implicit-def: $sgpr28
	s_branch .LBB1010_80
.LBB1010_83:
	s_or_b32 exec_lo, exec_lo, s24
	s_xor_b32 s0, s25, -1
	s_and_not1_b32 s2, s20, exec_lo
	s_and_b32 s0, s0, exec_lo
	s_delay_alu instid0(SALU_CYCLE_1)
	s_or_b32 s20, s2, s0
.LBB1010_84:
	s_or_b32 exec_lo, exec_lo, s23
	s_delay_alu instid0(SALU_CYCLE_1)
	s_or_not1_b32 s20, s20, exec_lo
.LBB1010_85:
	s_or_b32 exec_lo, exec_lo, s22
	v_dual_cndmask_b32 v4, v14, v15, s20 :: v_dual_cndmask_b32 v5, v24, v1, s20
	s_mov_b32 s22, exec_lo
	s_delay_alu instid0(VALU_DEP_1) | instskip(NEXT) | instid1(VALU_DEP_1)
	v_add_nc_u32_e32 v6, 1, v4
	v_add_min_u32_e64 v4, v5, -1, v6
	s_delay_alu instid0(VALU_DEP_1)
	v_lshlrev_b32_e32 v4, 3, v4
	ds_load_b64 v[4:5], v4
	v_cndmask_b32_e64 v36, v6, v14, s20
	s_wait_dscnt 0x0
	v_dual_cndmask_b32 v40, v15, v6, s20 :: v_dual_cndmask_b32 v34, v4, v32, s20
	v_cndmask_b32_e64 v14, v5, v12, s20
	v_cndmask_b32_e64 v15, v13, v5, s20
	;; [unrolled: 1-line block ×3, first 2 shown]
	v_cmpx_lt_u32_e64 v36, v24
	s_cbranch_execz .LBB1010_93
; %bb.86:
	v_cmp_lt_u32_e64 s21, v40, v1
	s_xor_b32 s0, s5, -1
	s_delay_alu instid0(SALU_CYCLE_1) | instskip(NEXT) | instid1(SALU_CYCLE_1)
	s_and_b32 s0, s21, s0
	s_and_saveexec_b32 s23, s0
	s_cbranch_execz .LBB1010_92
; %bb.87:
	v_mad_nc_u64_u32 v[4:5], v34, s12, s[14:15]
	v_mad_nc_u64_u32 v[6:7], v35, s12, s[14:15]
	s_mov_b32 s24, 0
	s_mov_b64 s[2:3], s[12:13]
                                        ; implicit-def: $sgpr25
                                        ; implicit-def: $sgpr26
                                        ; implicit-def: $sgpr27
                                        ; implicit-def: $sgpr28
	s_delay_alu instid0(VALU_DEP_2) | instskip(NEXT) | instid1(VALU_DEP_2)
	v_mad_u32 v5, v14, s12, v5
	v_mad_u32 v7, v15, s12, v7
	s_delay_alu instid0(VALU_DEP_2) | instskip(NEXT) | instid1(VALU_DEP_2)
	v_mad_u32 v5, v34, s13, v5
	v_mad_u32 v7, v35, s13, v7
	s_branch .LBB1010_89
.LBB1010_88:                            ;   in Loop: Header=BB1010_89 Depth=1
	s_or_b32 exec_lo, exec_lo, s0
	s_delay_alu instid0(SALU_CYCLE_1) | instskip(NEXT) | instid1(SALU_CYCLE_1)
	s_and_b32 s0, exec_lo, s26
	s_or_b32 s24, s0, s24
	s_and_not1_b32 s0, s28, exec_lo
	s_and_b32 s28, s29, exec_lo
	s_and_not1_b32 s25, s25, exec_lo
	s_and_b32 s29, s27, exec_lo
	s_or_b32 s28, s0, s28
	s_or_b32 s25, s25, s29
	s_and_not1_b32 exec_lo, exec_lo, s24
	s_cbranch_execz .LBB1010_91
.LBB1010_89:                            ; =>This Inner Loop Header: Depth=1
	global_load_u8 v37, v[4:5], off
	global_load_u8 v38, v[6:7], off
	s_and_not1_b32 s27, s27, exec_lo
	s_or_b32 s26, s26, exec_lo
	s_wait_loadcnt 0x1
	v_cmp_eq_u16_e32 vcc_lo, 0, v37
	s_wait_loadcnt 0x0
	v_cmp_ne_u16_e64 s0, 0, v38
	s_or_b32 s29, vcc_lo, s0
	s_and_b32 s30, vcc_lo, s0
	s_and_b32 s29, s29, s28
	s_xor_b32 s31, vcc_lo, s0
	s_or_b32 s29, s30, s29
	s_delay_alu instid0(SALU_CYCLE_1) | instskip(NEXT) | instid1(SALU_CYCLE_1)
	s_and_b32 s30, s29, exec_lo
	s_or_b32 s27, s27, s30
	s_and_saveexec_b32 s0, s31
	s_cbranch_execz .LBB1010_88
; %bb.90:                               ;   in Loop: Header=BB1010_89 Depth=1
	s_add_nc_u64 s[2:3], s[2:3], -1
	v_add_nc_u64_e32 v[4:5], 1, v[4:5]
	s_cmp_eq_u64 s[2:3], 0
	v_add_nc_u64_e32 v[6:7], 1, v[6:7]
	s_cselect_b32 s28, -1, 0
	s_and_not1_b32 s26, s26, exec_lo
	s_and_b32 s28, s28, exec_lo
	s_and_not1_b32 s27, s27, exec_lo
	s_or_b32 s26, s26, s28
                                        ; implicit-def: $sgpr28
	s_branch .LBB1010_88
.LBB1010_91:
	s_or_b32 exec_lo, exec_lo, s24
	s_xor_b32 s0, s25, -1
	s_and_not1_b32 s2, s21, exec_lo
	s_and_b32 s0, s0, exec_lo
	s_delay_alu instid0(SALU_CYCLE_1)
	s_or_b32 s21, s2, s0
.LBB1010_92:
	s_or_b32 exec_lo, exec_lo, s23
	s_delay_alu instid0(SALU_CYCLE_1)
	s_or_not1_b32 s21, s21, exec_lo
.LBB1010_93:
	s_or_b32 exec_lo, exec_lo, s22
	v_cndmask_b32_e64 v4, v36, v40, s21
	v_cndmask_b32_e64 v5, v24, v1, s21
	s_mov_b32 s0, -1
	s_mov_b32 s2, exec_lo
	s_delay_alu instid0(VALU_DEP_2) | instskip(NEXT) | instid1(VALU_DEP_1)
	v_add_nc_u32_e32 v4, 1, v4
	v_add_min_u32_e64 v5, v5, -1, v4
	s_delay_alu instid0(VALU_DEP_1)
	v_lshlrev_b32_e32 v5, 3, v5
	ds_load_b64 v[6:7], v5
	s_wait_dscnt 0x0
	v_dual_cndmask_b32 v5, v4, v36, s21 :: v_dual_cndmask_b32 v36, v7, v14, s21
	v_dual_cndmask_b32 v37, v6, v34, s21 :: v_dual_cndmask_b32 v38, v15, v7, s21
	v_cndmask_b32_e64 v39, v35, v6, s21
	s_delay_alu instid0(VALU_DEP_3)
	v_cmpx_lt_u32_e64 v5, v24
	s_cbranch_execz .LBB1010_101
; %bb.94:
	v_cndmask_b32_e64 v4, v40, v4, s21
	s_xor_b32 s0, s5, -1
	s_delay_alu instid0(VALU_DEP_1) | instskip(SKIP_1) | instid1(SALU_CYCLE_1)
	v_cmp_lt_u32_e64 s3, v4, v1
	s_and_b32 s0, s3, s0
	s_and_saveexec_b32 s5, s0
	s_cbranch_execz .LBB1010_100
; %bb.95:
	v_mad_nc_u64_u32 v[4:5], v37, s12, s[14:15]
	v_mad_nc_u64_u32 v[6:7], v39, s12, s[14:15]
	s_mov_b32 s14, 0
                                        ; implicit-def: $sgpr15
                                        ; implicit-def: $sgpr22
                                        ; implicit-def: $sgpr23
                                        ; implicit-def: $sgpr24
	s_delay_alu instid0(VALU_DEP_2) | instskip(NEXT) | instid1(VALU_DEP_2)
	v_mad_u32 v1, v36, s12, v5
	v_mad_u32 v7, v38, s12, v7
	s_delay_alu instid0(VALU_DEP_2) | instskip(NEXT) | instid1(VALU_DEP_2)
	v_mad_u32 v5, v37, s13, v1
	v_mad_u32 v7, v39, s13, v7
	s_branch .LBB1010_97
.LBB1010_96:                            ;   in Loop: Header=BB1010_97 Depth=1
	s_or_b32 exec_lo, exec_lo, s0
	s_delay_alu instid0(SALU_CYCLE_1) | instskip(NEXT) | instid1(SALU_CYCLE_1)
	s_and_b32 s0, exec_lo, s22
	s_or_b32 s14, s0, s14
	s_and_not1_b32 s0, s24, exec_lo
	s_and_b32 s24, s25, exec_lo
	s_and_not1_b32 s15, s15, exec_lo
	s_and_b32 s25, s23, exec_lo
	s_or_b32 s24, s0, s24
	s_or_b32 s15, s15, s25
	s_and_not1_b32 exec_lo, exec_lo, s14
	s_cbranch_execz .LBB1010_99
.LBB1010_97:                            ; =>This Inner Loop Header: Depth=1
	global_load_u8 v1, v[4:5], off
	global_load_u8 v24, v[6:7], off
	s_and_not1_b32 s23, s23, exec_lo
	s_or_b32 s22, s22, exec_lo
	s_wait_loadcnt 0x1
	v_cmp_eq_u16_e32 vcc_lo, 0, v1
	s_wait_loadcnt 0x0
	v_cmp_ne_u16_e64 s0, 0, v24
	s_or_b32 s25, vcc_lo, s0
	s_and_b32 s26, vcc_lo, s0
	s_and_b32 s25, s25, s24
	s_xor_b32 s27, vcc_lo, s0
	s_or_b32 s25, s26, s25
	s_delay_alu instid0(SALU_CYCLE_1) | instskip(NEXT) | instid1(SALU_CYCLE_1)
	s_and_b32 s26, s25, exec_lo
	s_or_b32 s23, s23, s26
	s_and_saveexec_b32 s0, s27
	s_cbranch_execz .LBB1010_96
; %bb.98:                               ;   in Loop: Header=BB1010_97 Depth=1
	s_add_nc_u64 s[12:13], s[12:13], -1
	v_add_nc_u64_e32 v[4:5], 1, v[4:5]
	s_cmp_eq_u64 s[12:13], 0
	v_add_nc_u64_e32 v[6:7], 1, v[6:7]
	s_cselect_b32 s24, -1, 0
	s_and_not1_b32 s22, s22, exec_lo
	s_and_b32 s24, s24, exec_lo
	s_and_not1_b32 s23, s23, exec_lo
	s_or_b32 s22, s22, s24
                                        ; implicit-def: $sgpr24
	s_branch .LBB1010_96
.LBB1010_99:
	s_or_b32 exec_lo, exec_lo, s14
	s_xor_b32 s0, s15, -1
	s_and_not1_b32 s3, s3, exec_lo
	s_and_b32 s0, s0, exec_lo
	s_delay_alu instid0(SALU_CYCLE_1)
	s_or_b32 s3, s3, s0
.LBB1010_100:
	s_or_b32 exec_lo, exec_lo, s5
	s_delay_alu instid0(SALU_CYCLE_1)
	s_or_not1_b32 s0, s3, exec_lo
.LBB1010_101:
	s_or_b32 exec_lo, exec_lo, s2
	v_dual_cndmask_b32 v15, v14, v15, s21 :: v_dual_cndmask_b32 v13, v12, v13, s20
	v_dual_cndmask_b32 v14, v34, v35, s21 :: v_dual_cndmask_b32 v12, v32, v33, s20
	;; [unrolled: 1-line block ×8, first 2 shown]
.LBB1010_102:
	s_or_b32 exec_lo, exec_lo, s4
	v_or_b32_e32 v25, 0x80, v0
	v_lshrrev_b32_e32 v1, 2, v0
	v_or_b32_e32 v22, 0x100, v0
	v_lshlrev_b32_e32 v18, 3, v20
	s_delay_alu instid0(VALU_DEP_4) | instskip(SKIP_1) | instid1(VALU_DEP_3)
	v_lshrrev_b32_e32 v19, 2, v25
	s_barrier_signal -1
	v_lshrrev_b32_e32 v21, 2, v22
	s_delay_alu instid0(VALU_DEP_3)
	v_lshl_add_u32 v18, v1, 3, v18
	s_barrier_wait -1
	s_barrier_signal -1
	s_barrier_wait -1
	ds_store_2addr_b64 v18, v[2:3], v[4:5] offset1:1
	ds_store_2addr_b64 v18, v[6:7], v[8:9] offset0:2 offset1:3
	v_and_b32_e32 v2, 56, v19
	v_and_b32_e32 v1, 24, v1
	v_or_b32_e32 v24, 0x180, v0
	v_and_b32_e32 v3, 0x58, v21
	v_or_b32_e32 v23, 0x200, v0
	s_delay_alu instid0(VALU_DEP_4) | instskip(NEXT) | instid1(VALU_DEP_4)
	v_dual_add_nc_u32 v6, v2, v20 :: v_dual_add_nc_u32 v26, v1, v20
	v_lshrrev_b32_e32 v1, 2, v24
	ds_store_2addr_b64 v18, v[10:11], v[12:13] offset0:4 offset1:5
	ds_store_2addr_b64 v18, v[14:15], v[16:17] offset0:6 offset1:7
	v_or_b32_e32 v19, 0x280, v0
	v_add_nc_u32_e32 v7, v3, v20
	v_or_b32_e32 v18, 0x300, v0
	v_lshrrev_b32_e32 v3, 2, v23
	v_and_b32_e32 v2, 0x78, v1
	v_or_b32_e32 v1, 0x380, v0
	s_delay_alu instid0(VALU_DEP_4) | instskip(NEXT) | instid1(VALU_DEP_4)
	v_dual_lshrrev_b32 v4, 2, v19 :: v_dual_lshrrev_b32 v5, 2, v18
	v_and_b32_e32 v3, 0x98, v3
	s_delay_alu instid0(VALU_DEP_3)
	v_dual_add_nc_u32 v8, v2, v20 :: v_dual_lshrrev_b32 v2, 2, v1
	v_mov_b32_e32 v21, 0
	s_lshl_b64 s[0:1], s[16:17], 3
	v_and_b32_e32 v4, 0xb8, v4
	v_and_b32_e32 v5, 0xd8, v5
	;; [unrolled: 1-line block ×3, first 2 shown]
	s_add_nc_u64 s[0:1], s[6:7], s[0:1]
	s_delay_alu instid0(VALU_DEP_3) | instskip(SKIP_1) | instid1(VALU_DEP_3)
	v_dual_add_nc_u32 v9, v3, v20 :: v_dual_add_nc_u32 v27, v4, v20
	v_add_nc_u64_e32 v[2:3], s[0:1], v[20:21]
	v_dual_add_nc_u32 v28, v5, v20 :: v_dual_add_nc_u32 v20, v10, v20
	s_and_b32 vcc_lo, exec_lo, s9
	s_wait_dscnt 0x0
	s_cbranch_vccz .LBB1010_104
; %bb.103:
	s_barrier_signal -1
	s_barrier_wait -1
	ds_load_b64 v[10:11], v26
	ds_load_b64 v[12:13], v6 offset:1024
	ds_load_b64 v[14:15], v7 offset:2048
	;; [unrolled: 1-line block ×7, first 2 shown]
	s_mov_b32 s0, -1
	s_wait_dscnt 0x7
	global_store_b64 v[2:3], v[10:11], off
	s_wait_dscnt 0x6
	global_store_b64 v[2:3], v[12:13], off offset:1024
	s_wait_dscnt 0x5
	global_store_b64 v[2:3], v[14:15], off offset:2048
	;; [unrolled: 2-line block ×6, first 2 shown]
	s_cbranch_execz .LBB1010_105
	s_branch .LBB1010_114
.LBB1010_104:
	s_mov_b32 s0, 0
                                        ; implicit-def: $vgpr4_vgpr5
.LBB1010_105:
	s_barrier_signal -1
	s_barrier_wait -1
	s_wait_storecnt_dscnt 0x0
	s_wait_xcnt 0x3
	ds_load_b64 v[16:17], v6 offset:1024
	ds_load_b64 v[14:15], v7 offset:2048
	;; [unrolled: 1-line block ×7, first 2 shown]
	s_sub_co_i32 s0, s8, s16
	s_mov_b32 s1, exec_lo
	s_wait_xcnt 0x0
	v_cmpx_gt_u32_e64 s0, v0
	s_cbranch_execnz .LBB1010_117
; %bb.106:
	s_or_b32 exec_lo, exec_lo, s1
	s_delay_alu instid0(SALU_CYCLE_1)
	s_mov_b32 s1, exec_lo
	v_cmpx_gt_u32_e64 s0, v25
	s_cbranch_execnz .LBB1010_118
.LBB1010_107:
	s_or_b32 exec_lo, exec_lo, s1
	s_delay_alu instid0(SALU_CYCLE_1)
	s_mov_b32 s1, exec_lo
	v_cmpx_gt_u32_e64 s0, v22
	s_cbranch_execnz .LBB1010_119
.LBB1010_108:
	s_or_b32 exec_lo, exec_lo, s1
	s_delay_alu instid0(SALU_CYCLE_1)
	s_mov_b32 s1, exec_lo
	v_cmpx_gt_u32_e64 s0, v24
	s_cbranch_execnz .LBB1010_120
.LBB1010_109:
	s_or_b32 exec_lo, exec_lo, s1
	s_delay_alu instid0(SALU_CYCLE_1)
	s_mov_b32 s1, exec_lo
	v_cmpx_gt_u32_e64 s0, v23
	s_cbranch_execnz .LBB1010_121
.LBB1010_110:
	s_or_b32 exec_lo, exec_lo, s1
	s_delay_alu instid0(SALU_CYCLE_1)
	s_mov_b32 s1, exec_lo
	v_cmpx_gt_u32_e64 s0, v19
	s_cbranch_execnz .LBB1010_122
.LBB1010_111:
	s_or_b32 exec_lo, exec_lo, s1
	s_delay_alu instid0(SALU_CYCLE_1)
	s_mov_b32 s1, exec_lo
	v_cmpx_gt_u32_e64 s0, v18
	s_cbranch_execz .LBB1010_113
.LBB1010_112:
	s_wait_dscnt 0x1
	global_store_b64 v[2:3], v[6:7], off offset:6144
.LBB1010_113:
	s_wait_xcnt 0x0
	s_or_b32 exec_lo, exec_lo, s1
	v_cmp_gt_u32_e64 s0, s0, v1
.LBB1010_114:
	s_wait_xcnt 0x0
	s_delay_alu instid0(VALU_DEP_1)
	s_and_saveexec_b32 s1, s0
	s_cbranch_execz .LBB1010_116
; %bb.115:
	s_wait_dscnt 0x0
	global_store_b64 v[2:3], v[4:5], off offset:7168
.LBB1010_116:
	s_endpgm
.LBB1010_117:
	ds_load_b64 v[20:21], v26
	s_wait_dscnt 0x0
	global_store_b64 v[2:3], v[20:21], off
	s_wait_xcnt 0x0
	s_or_b32 exec_lo, exec_lo, s1
	s_delay_alu instid0(SALU_CYCLE_1)
	s_mov_b32 s1, exec_lo
	v_cmpx_gt_u32_e64 s0, v25
	s_cbranch_execz .LBB1010_107
.LBB1010_118:
	s_wait_dscnt 0x6
	global_store_b64 v[2:3], v[16:17], off offset:1024
	s_wait_xcnt 0x0
	s_or_b32 exec_lo, exec_lo, s1
	s_delay_alu instid0(SALU_CYCLE_1)
	s_mov_b32 s1, exec_lo
	v_cmpx_gt_u32_e64 s0, v22
	s_cbranch_execz .LBB1010_108
.LBB1010_119:
	s_wait_dscnt 0x5
	global_store_b64 v[2:3], v[14:15], off offset:2048
	s_wait_xcnt 0x0
	s_or_b32 exec_lo, exec_lo, s1
	s_delay_alu instid0(SALU_CYCLE_1)
	s_mov_b32 s1, exec_lo
	v_cmpx_gt_u32_e64 s0, v24
	s_cbranch_execz .LBB1010_109
.LBB1010_120:
	s_wait_dscnt 0x4
	global_store_b64 v[2:3], v[12:13], off offset:3072
	s_wait_xcnt 0x0
	s_or_b32 exec_lo, exec_lo, s1
	s_delay_alu instid0(SALU_CYCLE_1)
	s_mov_b32 s1, exec_lo
	v_cmpx_gt_u32_e64 s0, v23
	s_cbranch_execz .LBB1010_110
.LBB1010_121:
	s_wait_dscnt 0x3
	global_store_b64 v[2:3], v[10:11], off offset:4096
	s_wait_xcnt 0x0
	s_or_b32 exec_lo, exec_lo, s1
	s_delay_alu instid0(SALU_CYCLE_1)
	s_mov_b32 s1, exec_lo
	v_cmpx_gt_u32_e64 s0, v19
	s_cbranch_execz .LBB1010_111
.LBB1010_122:
	s_wait_dscnt 0x2
	global_store_b64 v[2:3], v[8:9], off offset:5120
	s_wait_xcnt 0x0
	s_or_b32 exec_lo, exec_lo, s1
	s_delay_alu instid0(SALU_CYCLE_1)
	s_mov_b32 s1, exec_lo
	v_cmpx_gt_u32_e64 s0, v18
	s_cbranch_execnz .LBB1010_112
	s_branch .LBB1010_113
	.section	.rodata,"a",@progbits
	.p2align	6, 0x0
	.amdhsa_kernel _ZN7rocprim17ROCPRIM_400000_NS6detail17trampoline_kernelINS0_14default_configENS1_38merge_sort_block_merge_config_selectorIlNS0_10empty_typeEEEZZNS1_27merge_sort_block_merge_implIS3_PlPS5_mZN2at6native12_GLOBAL__N_124unique_dim_cuda_templateIbEESt5tupleIJNSA_6TensorESF_SF_EERKSF_lbbbEUlllE_EE10hipError_tT0_T1_T2_jT3_P12ihipStream_tbPNSt15iterator_traitsISL_E10value_typeEPNSR_ISM_E10value_typeEPSN_NS1_7vsmem_tEENKUlT_SL_SM_SN_E_clIS8_S8_S9_S9_EESK_S10_SL_SM_SN_EUlS10_E0_NS1_11comp_targetILNS1_3genE0ELNS1_11target_archE4294967295ELNS1_3gpuE0ELNS1_3repE0EEENS1_38merge_mergepath_config_static_selectorELNS0_4arch9wavefront6targetE0EEEvSM_
		.amdhsa_group_segment_fixed_size 8448
		.amdhsa_private_segment_fixed_size 0
		.amdhsa_kernarg_size 344
		.amdhsa_user_sgpr_count 2
		.amdhsa_user_sgpr_dispatch_ptr 0
		.amdhsa_user_sgpr_queue_ptr 0
		.amdhsa_user_sgpr_kernarg_segment_ptr 1
		.amdhsa_user_sgpr_dispatch_id 0
		.amdhsa_user_sgpr_kernarg_preload_length 0
		.amdhsa_user_sgpr_kernarg_preload_offset 0
		.amdhsa_user_sgpr_private_segment_size 0
		.amdhsa_wavefront_size32 1
		.amdhsa_uses_dynamic_stack 0
		.amdhsa_enable_private_segment 0
		.amdhsa_system_sgpr_workgroup_id_x 1
		.amdhsa_system_sgpr_workgroup_id_y 1
		.amdhsa_system_sgpr_workgroup_id_z 1
		.amdhsa_system_sgpr_workgroup_info 0
		.amdhsa_system_vgpr_workitem_id 0
		.amdhsa_next_free_vgpr 41
		.amdhsa_next_free_sgpr 32
		.amdhsa_named_barrier_count 0
		.amdhsa_reserve_vcc 1
		.amdhsa_float_round_mode_32 0
		.amdhsa_float_round_mode_16_64 0
		.amdhsa_float_denorm_mode_32 3
		.amdhsa_float_denorm_mode_16_64 3
		.amdhsa_fp16_overflow 0
		.amdhsa_memory_ordered 1
		.amdhsa_forward_progress 1
		.amdhsa_inst_pref_size 55
		.amdhsa_round_robin_scheduling 0
		.amdhsa_exception_fp_ieee_invalid_op 0
		.amdhsa_exception_fp_denorm_src 0
		.amdhsa_exception_fp_ieee_div_zero 0
		.amdhsa_exception_fp_ieee_overflow 0
		.amdhsa_exception_fp_ieee_underflow 0
		.amdhsa_exception_fp_ieee_inexact 0
		.amdhsa_exception_int_div_zero 0
	.end_amdhsa_kernel
	.section	.text._ZN7rocprim17ROCPRIM_400000_NS6detail17trampoline_kernelINS0_14default_configENS1_38merge_sort_block_merge_config_selectorIlNS0_10empty_typeEEEZZNS1_27merge_sort_block_merge_implIS3_PlPS5_mZN2at6native12_GLOBAL__N_124unique_dim_cuda_templateIbEESt5tupleIJNSA_6TensorESF_SF_EERKSF_lbbbEUlllE_EE10hipError_tT0_T1_T2_jT3_P12ihipStream_tbPNSt15iterator_traitsISL_E10value_typeEPNSR_ISM_E10value_typeEPSN_NS1_7vsmem_tEENKUlT_SL_SM_SN_E_clIS8_S8_S9_S9_EESK_S10_SL_SM_SN_EUlS10_E0_NS1_11comp_targetILNS1_3genE0ELNS1_11target_archE4294967295ELNS1_3gpuE0ELNS1_3repE0EEENS1_38merge_mergepath_config_static_selectorELNS0_4arch9wavefront6targetE0EEEvSM_,"axG",@progbits,_ZN7rocprim17ROCPRIM_400000_NS6detail17trampoline_kernelINS0_14default_configENS1_38merge_sort_block_merge_config_selectorIlNS0_10empty_typeEEEZZNS1_27merge_sort_block_merge_implIS3_PlPS5_mZN2at6native12_GLOBAL__N_124unique_dim_cuda_templateIbEESt5tupleIJNSA_6TensorESF_SF_EERKSF_lbbbEUlllE_EE10hipError_tT0_T1_T2_jT3_P12ihipStream_tbPNSt15iterator_traitsISL_E10value_typeEPNSR_ISM_E10value_typeEPSN_NS1_7vsmem_tEENKUlT_SL_SM_SN_E_clIS8_S8_S9_S9_EESK_S10_SL_SM_SN_EUlS10_E0_NS1_11comp_targetILNS1_3genE0ELNS1_11target_archE4294967295ELNS1_3gpuE0ELNS1_3repE0EEENS1_38merge_mergepath_config_static_selectorELNS0_4arch9wavefront6targetE0EEEvSM_,comdat
.Lfunc_end1010:
	.size	_ZN7rocprim17ROCPRIM_400000_NS6detail17trampoline_kernelINS0_14default_configENS1_38merge_sort_block_merge_config_selectorIlNS0_10empty_typeEEEZZNS1_27merge_sort_block_merge_implIS3_PlPS5_mZN2at6native12_GLOBAL__N_124unique_dim_cuda_templateIbEESt5tupleIJNSA_6TensorESF_SF_EERKSF_lbbbEUlllE_EE10hipError_tT0_T1_T2_jT3_P12ihipStream_tbPNSt15iterator_traitsISL_E10value_typeEPNSR_ISM_E10value_typeEPSN_NS1_7vsmem_tEENKUlT_SL_SM_SN_E_clIS8_S8_S9_S9_EESK_S10_SL_SM_SN_EUlS10_E0_NS1_11comp_targetILNS1_3genE0ELNS1_11target_archE4294967295ELNS1_3gpuE0ELNS1_3repE0EEENS1_38merge_mergepath_config_static_selectorELNS0_4arch9wavefront6targetE0EEEvSM_, .Lfunc_end1010-_ZN7rocprim17ROCPRIM_400000_NS6detail17trampoline_kernelINS0_14default_configENS1_38merge_sort_block_merge_config_selectorIlNS0_10empty_typeEEEZZNS1_27merge_sort_block_merge_implIS3_PlPS5_mZN2at6native12_GLOBAL__N_124unique_dim_cuda_templateIbEESt5tupleIJNSA_6TensorESF_SF_EERKSF_lbbbEUlllE_EE10hipError_tT0_T1_T2_jT3_P12ihipStream_tbPNSt15iterator_traitsISL_E10value_typeEPNSR_ISM_E10value_typeEPSN_NS1_7vsmem_tEENKUlT_SL_SM_SN_E_clIS8_S8_S9_S9_EESK_S10_SL_SM_SN_EUlS10_E0_NS1_11comp_targetILNS1_3genE0ELNS1_11target_archE4294967295ELNS1_3gpuE0ELNS1_3repE0EEENS1_38merge_mergepath_config_static_selectorELNS0_4arch9wavefront6targetE0EEEvSM_
                                        ; -- End function
	.set _ZN7rocprim17ROCPRIM_400000_NS6detail17trampoline_kernelINS0_14default_configENS1_38merge_sort_block_merge_config_selectorIlNS0_10empty_typeEEEZZNS1_27merge_sort_block_merge_implIS3_PlPS5_mZN2at6native12_GLOBAL__N_124unique_dim_cuda_templateIbEESt5tupleIJNSA_6TensorESF_SF_EERKSF_lbbbEUlllE_EE10hipError_tT0_T1_T2_jT3_P12ihipStream_tbPNSt15iterator_traitsISL_E10value_typeEPNSR_ISM_E10value_typeEPSN_NS1_7vsmem_tEENKUlT_SL_SM_SN_E_clIS8_S8_S9_S9_EESK_S10_SL_SM_SN_EUlS10_E0_NS1_11comp_targetILNS1_3genE0ELNS1_11target_archE4294967295ELNS1_3gpuE0ELNS1_3repE0EEENS1_38merge_mergepath_config_static_selectorELNS0_4arch9wavefront6targetE0EEEvSM_.num_vgpr, 41
	.set _ZN7rocprim17ROCPRIM_400000_NS6detail17trampoline_kernelINS0_14default_configENS1_38merge_sort_block_merge_config_selectorIlNS0_10empty_typeEEEZZNS1_27merge_sort_block_merge_implIS3_PlPS5_mZN2at6native12_GLOBAL__N_124unique_dim_cuda_templateIbEESt5tupleIJNSA_6TensorESF_SF_EERKSF_lbbbEUlllE_EE10hipError_tT0_T1_T2_jT3_P12ihipStream_tbPNSt15iterator_traitsISL_E10value_typeEPNSR_ISM_E10value_typeEPSN_NS1_7vsmem_tEENKUlT_SL_SM_SN_E_clIS8_S8_S9_S9_EESK_S10_SL_SM_SN_EUlS10_E0_NS1_11comp_targetILNS1_3genE0ELNS1_11target_archE4294967295ELNS1_3gpuE0ELNS1_3repE0EEENS1_38merge_mergepath_config_static_selectorELNS0_4arch9wavefront6targetE0EEEvSM_.num_agpr, 0
	.set _ZN7rocprim17ROCPRIM_400000_NS6detail17trampoline_kernelINS0_14default_configENS1_38merge_sort_block_merge_config_selectorIlNS0_10empty_typeEEEZZNS1_27merge_sort_block_merge_implIS3_PlPS5_mZN2at6native12_GLOBAL__N_124unique_dim_cuda_templateIbEESt5tupleIJNSA_6TensorESF_SF_EERKSF_lbbbEUlllE_EE10hipError_tT0_T1_T2_jT3_P12ihipStream_tbPNSt15iterator_traitsISL_E10value_typeEPNSR_ISM_E10value_typeEPSN_NS1_7vsmem_tEENKUlT_SL_SM_SN_E_clIS8_S8_S9_S9_EESK_S10_SL_SM_SN_EUlS10_E0_NS1_11comp_targetILNS1_3genE0ELNS1_11target_archE4294967295ELNS1_3gpuE0ELNS1_3repE0EEENS1_38merge_mergepath_config_static_selectorELNS0_4arch9wavefront6targetE0EEEvSM_.numbered_sgpr, 32
	.set _ZN7rocprim17ROCPRIM_400000_NS6detail17trampoline_kernelINS0_14default_configENS1_38merge_sort_block_merge_config_selectorIlNS0_10empty_typeEEEZZNS1_27merge_sort_block_merge_implIS3_PlPS5_mZN2at6native12_GLOBAL__N_124unique_dim_cuda_templateIbEESt5tupleIJNSA_6TensorESF_SF_EERKSF_lbbbEUlllE_EE10hipError_tT0_T1_T2_jT3_P12ihipStream_tbPNSt15iterator_traitsISL_E10value_typeEPNSR_ISM_E10value_typeEPSN_NS1_7vsmem_tEENKUlT_SL_SM_SN_E_clIS8_S8_S9_S9_EESK_S10_SL_SM_SN_EUlS10_E0_NS1_11comp_targetILNS1_3genE0ELNS1_11target_archE4294967295ELNS1_3gpuE0ELNS1_3repE0EEENS1_38merge_mergepath_config_static_selectorELNS0_4arch9wavefront6targetE0EEEvSM_.num_named_barrier, 0
	.set _ZN7rocprim17ROCPRIM_400000_NS6detail17trampoline_kernelINS0_14default_configENS1_38merge_sort_block_merge_config_selectorIlNS0_10empty_typeEEEZZNS1_27merge_sort_block_merge_implIS3_PlPS5_mZN2at6native12_GLOBAL__N_124unique_dim_cuda_templateIbEESt5tupleIJNSA_6TensorESF_SF_EERKSF_lbbbEUlllE_EE10hipError_tT0_T1_T2_jT3_P12ihipStream_tbPNSt15iterator_traitsISL_E10value_typeEPNSR_ISM_E10value_typeEPSN_NS1_7vsmem_tEENKUlT_SL_SM_SN_E_clIS8_S8_S9_S9_EESK_S10_SL_SM_SN_EUlS10_E0_NS1_11comp_targetILNS1_3genE0ELNS1_11target_archE4294967295ELNS1_3gpuE0ELNS1_3repE0EEENS1_38merge_mergepath_config_static_selectorELNS0_4arch9wavefront6targetE0EEEvSM_.private_seg_size, 0
	.set _ZN7rocprim17ROCPRIM_400000_NS6detail17trampoline_kernelINS0_14default_configENS1_38merge_sort_block_merge_config_selectorIlNS0_10empty_typeEEEZZNS1_27merge_sort_block_merge_implIS3_PlPS5_mZN2at6native12_GLOBAL__N_124unique_dim_cuda_templateIbEESt5tupleIJNSA_6TensorESF_SF_EERKSF_lbbbEUlllE_EE10hipError_tT0_T1_T2_jT3_P12ihipStream_tbPNSt15iterator_traitsISL_E10value_typeEPNSR_ISM_E10value_typeEPSN_NS1_7vsmem_tEENKUlT_SL_SM_SN_E_clIS8_S8_S9_S9_EESK_S10_SL_SM_SN_EUlS10_E0_NS1_11comp_targetILNS1_3genE0ELNS1_11target_archE4294967295ELNS1_3gpuE0ELNS1_3repE0EEENS1_38merge_mergepath_config_static_selectorELNS0_4arch9wavefront6targetE0EEEvSM_.uses_vcc, 1
	.set _ZN7rocprim17ROCPRIM_400000_NS6detail17trampoline_kernelINS0_14default_configENS1_38merge_sort_block_merge_config_selectorIlNS0_10empty_typeEEEZZNS1_27merge_sort_block_merge_implIS3_PlPS5_mZN2at6native12_GLOBAL__N_124unique_dim_cuda_templateIbEESt5tupleIJNSA_6TensorESF_SF_EERKSF_lbbbEUlllE_EE10hipError_tT0_T1_T2_jT3_P12ihipStream_tbPNSt15iterator_traitsISL_E10value_typeEPNSR_ISM_E10value_typeEPSN_NS1_7vsmem_tEENKUlT_SL_SM_SN_E_clIS8_S8_S9_S9_EESK_S10_SL_SM_SN_EUlS10_E0_NS1_11comp_targetILNS1_3genE0ELNS1_11target_archE4294967295ELNS1_3gpuE0ELNS1_3repE0EEENS1_38merge_mergepath_config_static_selectorELNS0_4arch9wavefront6targetE0EEEvSM_.uses_flat_scratch, 0
	.set _ZN7rocprim17ROCPRIM_400000_NS6detail17trampoline_kernelINS0_14default_configENS1_38merge_sort_block_merge_config_selectorIlNS0_10empty_typeEEEZZNS1_27merge_sort_block_merge_implIS3_PlPS5_mZN2at6native12_GLOBAL__N_124unique_dim_cuda_templateIbEESt5tupleIJNSA_6TensorESF_SF_EERKSF_lbbbEUlllE_EE10hipError_tT0_T1_T2_jT3_P12ihipStream_tbPNSt15iterator_traitsISL_E10value_typeEPNSR_ISM_E10value_typeEPSN_NS1_7vsmem_tEENKUlT_SL_SM_SN_E_clIS8_S8_S9_S9_EESK_S10_SL_SM_SN_EUlS10_E0_NS1_11comp_targetILNS1_3genE0ELNS1_11target_archE4294967295ELNS1_3gpuE0ELNS1_3repE0EEENS1_38merge_mergepath_config_static_selectorELNS0_4arch9wavefront6targetE0EEEvSM_.has_dyn_sized_stack, 0
	.set _ZN7rocprim17ROCPRIM_400000_NS6detail17trampoline_kernelINS0_14default_configENS1_38merge_sort_block_merge_config_selectorIlNS0_10empty_typeEEEZZNS1_27merge_sort_block_merge_implIS3_PlPS5_mZN2at6native12_GLOBAL__N_124unique_dim_cuda_templateIbEESt5tupleIJNSA_6TensorESF_SF_EERKSF_lbbbEUlllE_EE10hipError_tT0_T1_T2_jT3_P12ihipStream_tbPNSt15iterator_traitsISL_E10value_typeEPNSR_ISM_E10value_typeEPSN_NS1_7vsmem_tEENKUlT_SL_SM_SN_E_clIS8_S8_S9_S9_EESK_S10_SL_SM_SN_EUlS10_E0_NS1_11comp_targetILNS1_3genE0ELNS1_11target_archE4294967295ELNS1_3gpuE0ELNS1_3repE0EEENS1_38merge_mergepath_config_static_selectorELNS0_4arch9wavefront6targetE0EEEvSM_.has_recursion, 0
	.set _ZN7rocprim17ROCPRIM_400000_NS6detail17trampoline_kernelINS0_14default_configENS1_38merge_sort_block_merge_config_selectorIlNS0_10empty_typeEEEZZNS1_27merge_sort_block_merge_implIS3_PlPS5_mZN2at6native12_GLOBAL__N_124unique_dim_cuda_templateIbEESt5tupleIJNSA_6TensorESF_SF_EERKSF_lbbbEUlllE_EE10hipError_tT0_T1_T2_jT3_P12ihipStream_tbPNSt15iterator_traitsISL_E10value_typeEPNSR_ISM_E10value_typeEPSN_NS1_7vsmem_tEENKUlT_SL_SM_SN_E_clIS8_S8_S9_S9_EESK_S10_SL_SM_SN_EUlS10_E0_NS1_11comp_targetILNS1_3genE0ELNS1_11target_archE4294967295ELNS1_3gpuE0ELNS1_3repE0EEENS1_38merge_mergepath_config_static_selectorELNS0_4arch9wavefront6targetE0EEEvSM_.has_indirect_call, 0
	.section	.AMDGPU.csdata,"",@progbits
; Kernel info:
; codeLenInByte = 7016
; TotalNumSgprs: 34
; NumVgprs: 41
; ScratchSize: 0
; MemoryBound: 0
; FloatMode: 240
; IeeeMode: 1
; LDSByteSize: 8448 bytes/workgroup (compile time only)
; SGPRBlocks: 0
; VGPRBlocks: 2
; NumSGPRsForWavesPerEU: 34
; NumVGPRsForWavesPerEU: 41
; NamedBarCnt: 0
; Occupancy: 16
; WaveLimiterHint : 1
; COMPUTE_PGM_RSRC2:SCRATCH_EN: 0
; COMPUTE_PGM_RSRC2:USER_SGPR: 2
; COMPUTE_PGM_RSRC2:TRAP_HANDLER: 0
; COMPUTE_PGM_RSRC2:TGID_X_EN: 1
; COMPUTE_PGM_RSRC2:TGID_Y_EN: 1
; COMPUTE_PGM_RSRC2:TGID_Z_EN: 1
; COMPUTE_PGM_RSRC2:TIDIG_COMP_CNT: 0
	.section	.text._ZN7rocprim17ROCPRIM_400000_NS6detail17trampoline_kernelINS0_14default_configENS1_38merge_sort_block_merge_config_selectorIlNS0_10empty_typeEEEZZNS1_27merge_sort_block_merge_implIS3_PlPS5_mZN2at6native12_GLOBAL__N_124unique_dim_cuda_templateIbEESt5tupleIJNSA_6TensorESF_SF_EERKSF_lbbbEUlllE_EE10hipError_tT0_T1_T2_jT3_P12ihipStream_tbPNSt15iterator_traitsISL_E10value_typeEPNSR_ISM_E10value_typeEPSN_NS1_7vsmem_tEENKUlT_SL_SM_SN_E_clIS8_S8_S9_S9_EESK_S10_SL_SM_SN_EUlS10_E0_NS1_11comp_targetILNS1_3genE10ELNS1_11target_archE1201ELNS1_3gpuE5ELNS1_3repE0EEENS1_38merge_mergepath_config_static_selectorELNS0_4arch9wavefront6targetE0EEEvSM_,"axG",@progbits,_ZN7rocprim17ROCPRIM_400000_NS6detail17trampoline_kernelINS0_14default_configENS1_38merge_sort_block_merge_config_selectorIlNS0_10empty_typeEEEZZNS1_27merge_sort_block_merge_implIS3_PlPS5_mZN2at6native12_GLOBAL__N_124unique_dim_cuda_templateIbEESt5tupleIJNSA_6TensorESF_SF_EERKSF_lbbbEUlllE_EE10hipError_tT0_T1_T2_jT3_P12ihipStream_tbPNSt15iterator_traitsISL_E10value_typeEPNSR_ISM_E10value_typeEPSN_NS1_7vsmem_tEENKUlT_SL_SM_SN_E_clIS8_S8_S9_S9_EESK_S10_SL_SM_SN_EUlS10_E0_NS1_11comp_targetILNS1_3genE10ELNS1_11target_archE1201ELNS1_3gpuE5ELNS1_3repE0EEENS1_38merge_mergepath_config_static_selectorELNS0_4arch9wavefront6targetE0EEEvSM_,comdat
	.globl	_ZN7rocprim17ROCPRIM_400000_NS6detail17trampoline_kernelINS0_14default_configENS1_38merge_sort_block_merge_config_selectorIlNS0_10empty_typeEEEZZNS1_27merge_sort_block_merge_implIS3_PlPS5_mZN2at6native12_GLOBAL__N_124unique_dim_cuda_templateIbEESt5tupleIJNSA_6TensorESF_SF_EERKSF_lbbbEUlllE_EE10hipError_tT0_T1_T2_jT3_P12ihipStream_tbPNSt15iterator_traitsISL_E10value_typeEPNSR_ISM_E10value_typeEPSN_NS1_7vsmem_tEENKUlT_SL_SM_SN_E_clIS8_S8_S9_S9_EESK_S10_SL_SM_SN_EUlS10_E0_NS1_11comp_targetILNS1_3genE10ELNS1_11target_archE1201ELNS1_3gpuE5ELNS1_3repE0EEENS1_38merge_mergepath_config_static_selectorELNS0_4arch9wavefront6targetE0EEEvSM_ ; -- Begin function _ZN7rocprim17ROCPRIM_400000_NS6detail17trampoline_kernelINS0_14default_configENS1_38merge_sort_block_merge_config_selectorIlNS0_10empty_typeEEEZZNS1_27merge_sort_block_merge_implIS3_PlPS5_mZN2at6native12_GLOBAL__N_124unique_dim_cuda_templateIbEESt5tupleIJNSA_6TensorESF_SF_EERKSF_lbbbEUlllE_EE10hipError_tT0_T1_T2_jT3_P12ihipStream_tbPNSt15iterator_traitsISL_E10value_typeEPNSR_ISM_E10value_typeEPSN_NS1_7vsmem_tEENKUlT_SL_SM_SN_E_clIS8_S8_S9_S9_EESK_S10_SL_SM_SN_EUlS10_E0_NS1_11comp_targetILNS1_3genE10ELNS1_11target_archE1201ELNS1_3gpuE5ELNS1_3repE0EEENS1_38merge_mergepath_config_static_selectorELNS0_4arch9wavefront6targetE0EEEvSM_
	.p2align	8
	.type	_ZN7rocprim17ROCPRIM_400000_NS6detail17trampoline_kernelINS0_14default_configENS1_38merge_sort_block_merge_config_selectorIlNS0_10empty_typeEEEZZNS1_27merge_sort_block_merge_implIS3_PlPS5_mZN2at6native12_GLOBAL__N_124unique_dim_cuda_templateIbEESt5tupleIJNSA_6TensorESF_SF_EERKSF_lbbbEUlllE_EE10hipError_tT0_T1_T2_jT3_P12ihipStream_tbPNSt15iterator_traitsISL_E10value_typeEPNSR_ISM_E10value_typeEPSN_NS1_7vsmem_tEENKUlT_SL_SM_SN_E_clIS8_S8_S9_S9_EESK_S10_SL_SM_SN_EUlS10_E0_NS1_11comp_targetILNS1_3genE10ELNS1_11target_archE1201ELNS1_3gpuE5ELNS1_3repE0EEENS1_38merge_mergepath_config_static_selectorELNS0_4arch9wavefront6targetE0EEEvSM_,@function
_ZN7rocprim17ROCPRIM_400000_NS6detail17trampoline_kernelINS0_14default_configENS1_38merge_sort_block_merge_config_selectorIlNS0_10empty_typeEEEZZNS1_27merge_sort_block_merge_implIS3_PlPS5_mZN2at6native12_GLOBAL__N_124unique_dim_cuda_templateIbEESt5tupleIJNSA_6TensorESF_SF_EERKSF_lbbbEUlllE_EE10hipError_tT0_T1_T2_jT3_P12ihipStream_tbPNSt15iterator_traitsISL_E10value_typeEPNSR_ISM_E10value_typeEPSN_NS1_7vsmem_tEENKUlT_SL_SM_SN_E_clIS8_S8_S9_S9_EESK_S10_SL_SM_SN_EUlS10_E0_NS1_11comp_targetILNS1_3genE10ELNS1_11target_archE1201ELNS1_3gpuE5ELNS1_3repE0EEENS1_38merge_mergepath_config_static_selectorELNS0_4arch9wavefront6targetE0EEEvSM_: ; @_ZN7rocprim17ROCPRIM_400000_NS6detail17trampoline_kernelINS0_14default_configENS1_38merge_sort_block_merge_config_selectorIlNS0_10empty_typeEEEZZNS1_27merge_sort_block_merge_implIS3_PlPS5_mZN2at6native12_GLOBAL__N_124unique_dim_cuda_templateIbEESt5tupleIJNSA_6TensorESF_SF_EERKSF_lbbbEUlllE_EE10hipError_tT0_T1_T2_jT3_P12ihipStream_tbPNSt15iterator_traitsISL_E10value_typeEPNSR_ISM_E10value_typeEPSN_NS1_7vsmem_tEENKUlT_SL_SM_SN_E_clIS8_S8_S9_S9_EESK_S10_SL_SM_SN_EUlS10_E0_NS1_11comp_targetILNS1_3genE10ELNS1_11target_archE1201ELNS1_3gpuE5ELNS1_3repE0EEENS1_38merge_mergepath_config_static_selectorELNS0_4arch9wavefront6targetE0EEEvSM_
; %bb.0:
	.section	.rodata,"a",@progbits
	.p2align	6, 0x0
	.amdhsa_kernel _ZN7rocprim17ROCPRIM_400000_NS6detail17trampoline_kernelINS0_14default_configENS1_38merge_sort_block_merge_config_selectorIlNS0_10empty_typeEEEZZNS1_27merge_sort_block_merge_implIS3_PlPS5_mZN2at6native12_GLOBAL__N_124unique_dim_cuda_templateIbEESt5tupleIJNSA_6TensorESF_SF_EERKSF_lbbbEUlllE_EE10hipError_tT0_T1_T2_jT3_P12ihipStream_tbPNSt15iterator_traitsISL_E10value_typeEPNSR_ISM_E10value_typeEPSN_NS1_7vsmem_tEENKUlT_SL_SM_SN_E_clIS8_S8_S9_S9_EESK_S10_SL_SM_SN_EUlS10_E0_NS1_11comp_targetILNS1_3genE10ELNS1_11target_archE1201ELNS1_3gpuE5ELNS1_3repE0EEENS1_38merge_mergepath_config_static_selectorELNS0_4arch9wavefront6targetE0EEEvSM_
		.amdhsa_group_segment_fixed_size 0
		.amdhsa_private_segment_fixed_size 0
		.amdhsa_kernarg_size 88
		.amdhsa_user_sgpr_count 2
		.amdhsa_user_sgpr_dispatch_ptr 0
		.amdhsa_user_sgpr_queue_ptr 0
		.amdhsa_user_sgpr_kernarg_segment_ptr 1
		.amdhsa_user_sgpr_dispatch_id 0
		.amdhsa_user_sgpr_kernarg_preload_length 0
		.amdhsa_user_sgpr_kernarg_preload_offset 0
		.amdhsa_user_sgpr_private_segment_size 0
		.amdhsa_wavefront_size32 1
		.amdhsa_uses_dynamic_stack 0
		.amdhsa_enable_private_segment 0
		.amdhsa_system_sgpr_workgroup_id_x 1
		.amdhsa_system_sgpr_workgroup_id_y 0
		.amdhsa_system_sgpr_workgroup_id_z 0
		.amdhsa_system_sgpr_workgroup_info 0
		.amdhsa_system_vgpr_workitem_id 0
		.amdhsa_next_free_vgpr 1
		.amdhsa_next_free_sgpr 1
		.amdhsa_named_barrier_count 0
		.amdhsa_reserve_vcc 0
		.amdhsa_float_round_mode_32 0
		.amdhsa_float_round_mode_16_64 0
		.amdhsa_float_denorm_mode_32 3
		.amdhsa_float_denorm_mode_16_64 3
		.amdhsa_fp16_overflow 0
		.amdhsa_memory_ordered 1
		.amdhsa_forward_progress 1
		.amdhsa_inst_pref_size 0
		.amdhsa_round_robin_scheduling 0
		.amdhsa_exception_fp_ieee_invalid_op 0
		.amdhsa_exception_fp_denorm_src 0
		.amdhsa_exception_fp_ieee_div_zero 0
		.amdhsa_exception_fp_ieee_overflow 0
		.amdhsa_exception_fp_ieee_underflow 0
		.amdhsa_exception_fp_ieee_inexact 0
		.amdhsa_exception_int_div_zero 0
	.end_amdhsa_kernel
	.section	.text._ZN7rocprim17ROCPRIM_400000_NS6detail17trampoline_kernelINS0_14default_configENS1_38merge_sort_block_merge_config_selectorIlNS0_10empty_typeEEEZZNS1_27merge_sort_block_merge_implIS3_PlPS5_mZN2at6native12_GLOBAL__N_124unique_dim_cuda_templateIbEESt5tupleIJNSA_6TensorESF_SF_EERKSF_lbbbEUlllE_EE10hipError_tT0_T1_T2_jT3_P12ihipStream_tbPNSt15iterator_traitsISL_E10value_typeEPNSR_ISM_E10value_typeEPSN_NS1_7vsmem_tEENKUlT_SL_SM_SN_E_clIS8_S8_S9_S9_EESK_S10_SL_SM_SN_EUlS10_E0_NS1_11comp_targetILNS1_3genE10ELNS1_11target_archE1201ELNS1_3gpuE5ELNS1_3repE0EEENS1_38merge_mergepath_config_static_selectorELNS0_4arch9wavefront6targetE0EEEvSM_,"axG",@progbits,_ZN7rocprim17ROCPRIM_400000_NS6detail17trampoline_kernelINS0_14default_configENS1_38merge_sort_block_merge_config_selectorIlNS0_10empty_typeEEEZZNS1_27merge_sort_block_merge_implIS3_PlPS5_mZN2at6native12_GLOBAL__N_124unique_dim_cuda_templateIbEESt5tupleIJNSA_6TensorESF_SF_EERKSF_lbbbEUlllE_EE10hipError_tT0_T1_T2_jT3_P12ihipStream_tbPNSt15iterator_traitsISL_E10value_typeEPNSR_ISM_E10value_typeEPSN_NS1_7vsmem_tEENKUlT_SL_SM_SN_E_clIS8_S8_S9_S9_EESK_S10_SL_SM_SN_EUlS10_E0_NS1_11comp_targetILNS1_3genE10ELNS1_11target_archE1201ELNS1_3gpuE5ELNS1_3repE0EEENS1_38merge_mergepath_config_static_selectorELNS0_4arch9wavefront6targetE0EEEvSM_,comdat
.Lfunc_end1011:
	.size	_ZN7rocprim17ROCPRIM_400000_NS6detail17trampoline_kernelINS0_14default_configENS1_38merge_sort_block_merge_config_selectorIlNS0_10empty_typeEEEZZNS1_27merge_sort_block_merge_implIS3_PlPS5_mZN2at6native12_GLOBAL__N_124unique_dim_cuda_templateIbEESt5tupleIJNSA_6TensorESF_SF_EERKSF_lbbbEUlllE_EE10hipError_tT0_T1_T2_jT3_P12ihipStream_tbPNSt15iterator_traitsISL_E10value_typeEPNSR_ISM_E10value_typeEPSN_NS1_7vsmem_tEENKUlT_SL_SM_SN_E_clIS8_S8_S9_S9_EESK_S10_SL_SM_SN_EUlS10_E0_NS1_11comp_targetILNS1_3genE10ELNS1_11target_archE1201ELNS1_3gpuE5ELNS1_3repE0EEENS1_38merge_mergepath_config_static_selectorELNS0_4arch9wavefront6targetE0EEEvSM_, .Lfunc_end1011-_ZN7rocprim17ROCPRIM_400000_NS6detail17trampoline_kernelINS0_14default_configENS1_38merge_sort_block_merge_config_selectorIlNS0_10empty_typeEEEZZNS1_27merge_sort_block_merge_implIS3_PlPS5_mZN2at6native12_GLOBAL__N_124unique_dim_cuda_templateIbEESt5tupleIJNSA_6TensorESF_SF_EERKSF_lbbbEUlllE_EE10hipError_tT0_T1_T2_jT3_P12ihipStream_tbPNSt15iterator_traitsISL_E10value_typeEPNSR_ISM_E10value_typeEPSN_NS1_7vsmem_tEENKUlT_SL_SM_SN_E_clIS8_S8_S9_S9_EESK_S10_SL_SM_SN_EUlS10_E0_NS1_11comp_targetILNS1_3genE10ELNS1_11target_archE1201ELNS1_3gpuE5ELNS1_3repE0EEENS1_38merge_mergepath_config_static_selectorELNS0_4arch9wavefront6targetE0EEEvSM_
                                        ; -- End function
	.set _ZN7rocprim17ROCPRIM_400000_NS6detail17trampoline_kernelINS0_14default_configENS1_38merge_sort_block_merge_config_selectorIlNS0_10empty_typeEEEZZNS1_27merge_sort_block_merge_implIS3_PlPS5_mZN2at6native12_GLOBAL__N_124unique_dim_cuda_templateIbEESt5tupleIJNSA_6TensorESF_SF_EERKSF_lbbbEUlllE_EE10hipError_tT0_T1_T2_jT3_P12ihipStream_tbPNSt15iterator_traitsISL_E10value_typeEPNSR_ISM_E10value_typeEPSN_NS1_7vsmem_tEENKUlT_SL_SM_SN_E_clIS8_S8_S9_S9_EESK_S10_SL_SM_SN_EUlS10_E0_NS1_11comp_targetILNS1_3genE10ELNS1_11target_archE1201ELNS1_3gpuE5ELNS1_3repE0EEENS1_38merge_mergepath_config_static_selectorELNS0_4arch9wavefront6targetE0EEEvSM_.num_vgpr, 0
	.set _ZN7rocprim17ROCPRIM_400000_NS6detail17trampoline_kernelINS0_14default_configENS1_38merge_sort_block_merge_config_selectorIlNS0_10empty_typeEEEZZNS1_27merge_sort_block_merge_implIS3_PlPS5_mZN2at6native12_GLOBAL__N_124unique_dim_cuda_templateIbEESt5tupleIJNSA_6TensorESF_SF_EERKSF_lbbbEUlllE_EE10hipError_tT0_T1_T2_jT3_P12ihipStream_tbPNSt15iterator_traitsISL_E10value_typeEPNSR_ISM_E10value_typeEPSN_NS1_7vsmem_tEENKUlT_SL_SM_SN_E_clIS8_S8_S9_S9_EESK_S10_SL_SM_SN_EUlS10_E0_NS1_11comp_targetILNS1_3genE10ELNS1_11target_archE1201ELNS1_3gpuE5ELNS1_3repE0EEENS1_38merge_mergepath_config_static_selectorELNS0_4arch9wavefront6targetE0EEEvSM_.num_agpr, 0
	.set _ZN7rocprim17ROCPRIM_400000_NS6detail17trampoline_kernelINS0_14default_configENS1_38merge_sort_block_merge_config_selectorIlNS0_10empty_typeEEEZZNS1_27merge_sort_block_merge_implIS3_PlPS5_mZN2at6native12_GLOBAL__N_124unique_dim_cuda_templateIbEESt5tupleIJNSA_6TensorESF_SF_EERKSF_lbbbEUlllE_EE10hipError_tT0_T1_T2_jT3_P12ihipStream_tbPNSt15iterator_traitsISL_E10value_typeEPNSR_ISM_E10value_typeEPSN_NS1_7vsmem_tEENKUlT_SL_SM_SN_E_clIS8_S8_S9_S9_EESK_S10_SL_SM_SN_EUlS10_E0_NS1_11comp_targetILNS1_3genE10ELNS1_11target_archE1201ELNS1_3gpuE5ELNS1_3repE0EEENS1_38merge_mergepath_config_static_selectorELNS0_4arch9wavefront6targetE0EEEvSM_.numbered_sgpr, 0
	.set _ZN7rocprim17ROCPRIM_400000_NS6detail17trampoline_kernelINS0_14default_configENS1_38merge_sort_block_merge_config_selectorIlNS0_10empty_typeEEEZZNS1_27merge_sort_block_merge_implIS3_PlPS5_mZN2at6native12_GLOBAL__N_124unique_dim_cuda_templateIbEESt5tupleIJNSA_6TensorESF_SF_EERKSF_lbbbEUlllE_EE10hipError_tT0_T1_T2_jT3_P12ihipStream_tbPNSt15iterator_traitsISL_E10value_typeEPNSR_ISM_E10value_typeEPSN_NS1_7vsmem_tEENKUlT_SL_SM_SN_E_clIS8_S8_S9_S9_EESK_S10_SL_SM_SN_EUlS10_E0_NS1_11comp_targetILNS1_3genE10ELNS1_11target_archE1201ELNS1_3gpuE5ELNS1_3repE0EEENS1_38merge_mergepath_config_static_selectorELNS0_4arch9wavefront6targetE0EEEvSM_.num_named_barrier, 0
	.set _ZN7rocprim17ROCPRIM_400000_NS6detail17trampoline_kernelINS0_14default_configENS1_38merge_sort_block_merge_config_selectorIlNS0_10empty_typeEEEZZNS1_27merge_sort_block_merge_implIS3_PlPS5_mZN2at6native12_GLOBAL__N_124unique_dim_cuda_templateIbEESt5tupleIJNSA_6TensorESF_SF_EERKSF_lbbbEUlllE_EE10hipError_tT0_T1_T2_jT3_P12ihipStream_tbPNSt15iterator_traitsISL_E10value_typeEPNSR_ISM_E10value_typeEPSN_NS1_7vsmem_tEENKUlT_SL_SM_SN_E_clIS8_S8_S9_S9_EESK_S10_SL_SM_SN_EUlS10_E0_NS1_11comp_targetILNS1_3genE10ELNS1_11target_archE1201ELNS1_3gpuE5ELNS1_3repE0EEENS1_38merge_mergepath_config_static_selectorELNS0_4arch9wavefront6targetE0EEEvSM_.private_seg_size, 0
	.set _ZN7rocprim17ROCPRIM_400000_NS6detail17trampoline_kernelINS0_14default_configENS1_38merge_sort_block_merge_config_selectorIlNS0_10empty_typeEEEZZNS1_27merge_sort_block_merge_implIS3_PlPS5_mZN2at6native12_GLOBAL__N_124unique_dim_cuda_templateIbEESt5tupleIJNSA_6TensorESF_SF_EERKSF_lbbbEUlllE_EE10hipError_tT0_T1_T2_jT3_P12ihipStream_tbPNSt15iterator_traitsISL_E10value_typeEPNSR_ISM_E10value_typeEPSN_NS1_7vsmem_tEENKUlT_SL_SM_SN_E_clIS8_S8_S9_S9_EESK_S10_SL_SM_SN_EUlS10_E0_NS1_11comp_targetILNS1_3genE10ELNS1_11target_archE1201ELNS1_3gpuE5ELNS1_3repE0EEENS1_38merge_mergepath_config_static_selectorELNS0_4arch9wavefront6targetE0EEEvSM_.uses_vcc, 0
	.set _ZN7rocprim17ROCPRIM_400000_NS6detail17trampoline_kernelINS0_14default_configENS1_38merge_sort_block_merge_config_selectorIlNS0_10empty_typeEEEZZNS1_27merge_sort_block_merge_implIS3_PlPS5_mZN2at6native12_GLOBAL__N_124unique_dim_cuda_templateIbEESt5tupleIJNSA_6TensorESF_SF_EERKSF_lbbbEUlllE_EE10hipError_tT0_T1_T2_jT3_P12ihipStream_tbPNSt15iterator_traitsISL_E10value_typeEPNSR_ISM_E10value_typeEPSN_NS1_7vsmem_tEENKUlT_SL_SM_SN_E_clIS8_S8_S9_S9_EESK_S10_SL_SM_SN_EUlS10_E0_NS1_11comp_targetILNS1_3genE10ELNS1_11target_archE1201ELNS1_3gpuE5ELNS1_3repE0EEENS1_38merge_mergepath_config_static_selectorELNS0_4arch9wavefront6targetE0EEEvSM_.uses_flat_scratch, 0
	.set _ZN7rocprim17ROCPRIM_400000_NS6detail17trampoline_kernelINS0_14default_configENS1_38merge_sort_block_merge_config_selectorIlNS0_10empty_typeEEEZZNS1_27merge_sort_block_merge_implIS3_PlPS5_mZN2at6native12_GLOBAL__N_124unique_dim_cuda_templateIbEESt5tupleIJNSA_6TensorESF_SF_EERKSF_lbbbEUlllE_EE10hipError_tT0_T1_T2_jT3_P12ihipStream_tbPNSt15iterator_traitsISL_E10value_typeEPNSR_ISM_E10value_typeEPSN_NS1_7vsmem_tEENKUlT_SL_SM_SN_E_clIS8_S8_S9_S9_EESK_S10_SL_SM_SN_EUlS10_E0_NS1_11comp_targetILNS1_3genE10ELNS1_11target_archE1201ELNS1_3gpuE5ELNS1_3repE0EEENS1_38merge_mergepath_config_static_selectorELNS0_4arch9wavefront6targetE0EEEvSM_.has_dyn_sized_stack, 0
	.set _ZN7rocprim17ROCPRIM_400000_NS6detail17trampoline_kernelINS0_14default_configENS1_38merge_sort_block_merge_config_selectorIlNS0_10empty_typeEEEZZNS1_27merge_sort_block_merge_implIS3_PlPS5_mZN2at6native12_GLOBAL__N_124unique_dim_cuda_templateIbEESt5tupleIJNSA_6TensorESF_SF_EERKSF_lbbbEUlllE_EE10hipError_tT0_T1_T2_jT3_P12ihipStream_tbPNSt15iterator_traitsISL_E10value_typeEPNSR_ISM_E10value_typeEPSN_NS1_7vsmem_tEENKUlT_SL_SM_SN_E_clIS8_S8_S9_S9_EESK_S10_SL_SM_SN_EUlS10_E0_NS1_11comp_targetILNS1_3genE10ELNS1_11target_archE1201ELNS1_3gpuE5ELNS1_3repE0EEENS1_38merge_mergepath_config_static_selectorELNS0_4arch9wavefront6targetE0EEEvSM_.has_recursion, 0
	.set _ZN7rocprim17ROCPRIM_400000_NS6detail17trampoline_kernelINS0_14default_configENS1_38merge_sort_block_merge_config_selectorIlNS0_10empty_typeEEEZZNS1_27merge_sort_block_merge_implIS3_PlPS5_mZN2at6native12_GLOBAL__N_124unique_dim_cuda_templateIbEESt5tupleIJNSA_6TensorESF_SF_EERKSF_lbbbEUlllE_EE10hipError_tT0_T1_T2_jT3_P12ihipStream_tbPNSt15iterator_traitsISL_E10value_typeEPNSR_ISM_E10value_typeEPSN_NS1_7vsmem_tEENKUlT_SL_SM_SN_E_clIS8_S8_S9_S9_EESK_S10_SL_SM_SN_EUlS10_E0_NS1_11comp_targetILNS1_3genE10ELNS1_11target_archE1201ELNS1_3gpuE5ELNS1_3repE0EEENS1_38merge_mergepath_config_static_selectorELNS0_4arch9wavefront6targetE0EEEvSM_.has_indirect_call, 0
	.section	.AMDGPU.csdata,"",@progbits
; Kernel info:
; codeLenInByte = 0
; TotalNumSgprs: 0
; NumVgprs: 0
; ScratchSize: 0
; MemoryBound: 0
; FloatMode: 240
; IeeeMode: 1
; LDSByteSize: 0 bytes/workgroup (compile time only)
; SGPRBlocks: 0
; VGPRBlocks: 0
; NumSGPRsForWavesPerEU: 1
; NumVGPRsForWavesPerEU: 1
; NamedBarCnt: 0
; Occupancy: 16
; WaveLimiterHint : 0
; COMPUTE_PGM_RSRC2:SCRATCH_EN: 0
; COMPUTE_PGM_RSRC2:USER_SGPR: 2
; COMPUTE_PGM_RSRC2:TRAP_HANDLER: 0
; COMPUTE_PGM_RSRC2:TGID_X_EN: 1
; COMPUTE_PGM_RSRC2:TGID_Y_EN: 0
; COMPUTE_PGM_RSRC2:TGID_Z_EN: 0
; COMPUTE_PGM_RSRC2:TIDIG_COMP_CNT: 0
	.section	.text._ZN7rocprim17ROCPRIM_400000_NS6detail17trampoline_kernelINS0_14default_configENS1_38merge_sort_block_merge_config_selectorIlNS0_10empty_typeEEEZZNS1_27merge_sort_block_merge_implIS3_PlPS5_mZN2at6native12_GLOBAL__N_124unique_dim_cuda_templateIbEESt5tupleIJNSA_6TensorESF_SF_EERKSF_lbbbEUlllE_EE10hipError_tT0_T1_T2_jT3_P12ihipStream_tbPNSt15iterator_traitsISL_E10value_typeEPNSR_ISM_E10value_typeEPSN_NS1_7vsmem_tEENKUlT_SL_SM_SN_E_clIS8_S8_S9_S9_EESK_S10_SL_SM_SN_EUlS10_E0_NS1_11comp_targetILNS1_3genE5ELNS1_11target_archE942ELNS1_3gpuE9ELNS1_3repE0EEENS1_38merge_mergepath_config_static_selectorELNS0_4arch9wavefront6targetE0EEEvSM_,"axG",@progbits,_ZN7rocprim17ROCPRIM_400000_NS6detail17trampoline_kernelINS0_14default_configENS1_38merge_sort_block_merge_config_selectorIlNS0_10empty_typeEEEZZNS1_27merge_sort_block_merge_implIS3_PlPS5_mZN2at6native12_GLOBAL__N_124unique_dim_cuda_templateIbEESt5tupleIJNSA_6TensorESF_SF_EERKSF_lbbbEUlllE_EE10hipError_tT0_T1_T2_jT3_P12ihipStream_tbPNSt15iterator_traitsISL_E10value_typeEPNSR_ISM_E10value_typeEPSN_NS1_7vsmem_tEENKUlT_SL_SM_SN_E_clIS8_S8_S9_S9_EESK_S10_SL_SM_SN_EUlS10_E0_NS1_11comp_targetILNS1_3genE5ELNS1_11target_archE942ELNS1_3gpuE9ELNS1_3repE0EEENS1_38merge_mergepath_config_static_selectorELNS0_4arch9wavefront6targetE0EEEvSM_,comdat
	.globl	_ZN7rocprim17ROCPRIM_400000_NS6detail17trampoline_kernelINS0_14default_configENS1_38merge_sort_block_merge_config_selectorIlNS0_10empty_typeEEEZZNS1_27merge_sort_block_merge_implIS3_PlPS5_mZN2at6native12_GLOBAL__N_124unique_dim_cuda_templateIbEESt5tupleIJNSA_6TensorESF_SF_EERKSF_lbbbEUlllE_EE10hipError_tT0_T1_T2_jT3_P12ihipStream_tbPNSt15iterator_traitsISL_E10value_typeEPNSR_ISM_E10value_typeEPSN_NS1_7vsmem_tEENKUlT_SL_SM_SN_E_clIS8_S8_S9_S9_EESK_S10_SL_SM_SN_EUlS10_E0_NS1_11comp_targetILNS1_3genE5ELNS1_11target_archE942ELNS1_3gpuE9ELNS1_3repE0EEENS1_38merge_mergepath_config_static_selectorELNS0_4arch9wavefront6targetE0EEEvSM_ ; -- Begin function _ZN7rocprim17ROCPRIM_400000_NS6detail17trampoline_kernelINS0_14default_configENS1_38merge_sort_block_merge_config_selectorIlNS0_10empty_typeEEEZZNS1_27merge_sort_block_merge_implIS3_PlPS5_mZN2at6native12_GLOBAL__N_124unique_dim_cuda_templateIbEESt5tupleIJNSA_6TensorESF_SF_EERKSF_lbbbEUlllE_EE10hipError_tT0_T1_T2_jT3_P12ihipStream_tbPNSt15iterator_traitsISL_E10value_typeEPNSR_ISM_E10value_typeEPSN_NS1_7vsmem_tEENKUlT_SL_SM_SN_E_clIS8_S8_S9_S9_EESK_S10_SL_SM_SN_EUlS10_E0_NS1_11comp_targetILNS1_3genE5ELNS1_11target_archE942ELNS1_3gpuE9ELNS1_3repE0EEENS1_38merge_mergepath_config_static_selectorELNS0_4arch9wavefront6targetE0EEEvSM_
	.p2align	8
	.type	_ZN7rocprim17ROCPRIM_400000_NS6detail17trampoline_kernelINS0_14default_configENS1_38merge_sort_block_merge_config_selectorIlNS0_10empty_typeEEEZZNS1_27merge_sort_block_merge_implIS3_PlPS5_mZN2at6native12_GLOBAL__N_124unique_dim_cuda_templateIbEESt5tupleIJNSA_6TensorESF_SF_EERKSF_lbbbEUlllE_EE10hipError_tT0_T1_T2_jT3_P12ihipStream_tbPNSt15iterator_traitsISL_E10value_typeEPNSR_ISM_E10value_typeEPSN_NS1_7vsmem_tEENKUlT_SL_SM_SN_E_clIS8_S8_S9_S9_EESK_S10_SL_SM_SN_EUlS10_E0_NS1_11comp_targetILNS1_3genE5ELNS1_11target_archE942ELNS1_3gpuE9ELNS1_3repE0EEENS1_38merge_mergepath_config_static_selectorELNS0_4arch9wavefront6targetE0EEEvSM_,@function
_ZN7rocprim17ROCPRIM_400000_NS6detail17trampoline_kernelINS0_14default_configENS1_38merge_sort_block_merge_config_selectorIlNS0_10empty_typeEEEZZNS1_27merge_sort_block_merge_implIS3_PlPS5_mZN2at6native12_GLOBAL__N_124unique_dim_cuda_templateIbEESt5tupleIJNSA_6TensorESF_SF_EERKSF_lbbbEUlllE_EE10hipError_tT0_T1_T2_jT3_P12ihipStream_tbPNSt15iterator_traitsISL_E10value_typeEPNSR_ISM_E10value_typeEPSN_NS1_7vsmem_tEENKUlT_SL_SM_SN_E_clIS8_S8_S9_S9_EESK_S10_SL_SM_SN_EUlS10_E0_NS1_11comp_targetILNS1_3genE5ELNS1_11target_archE942ELNS1_3gpuE9ELNS1_3repE0EEENS1_38merge_mergepath_config_static_selectorELNS0_4arch9wavefront6targetE0EEEvSM_: ; @_ZN7rocprim17ROCPRIM_400000_NS6detail17trampoline_kernelINS0_14default_configENS1_38merge_sort_block_merge_config_selectorIlNS0_10empty_typeEEEZZNS1_27merge_sort_block_merge_implIS3_PlPS5_mZN2at6native12_GLOBAL__N_124unique_dim_cuda_templateIbEESt5tupleIJNSA_6TensorESF_SF_EERKSF_lbbbEUlllE_EE10hipError_tT0_T1_T2_jT3_P12ihipStream_tbPNSt15iterator_traitsISL_E10value_typeEPNSR_ISM_E10value_typeEPSN_NS1_7vsmem_tEENKUlT_SL_SM_SN_E_clIS8_S8_S9_S9_EESK_S10_SL_SM_SN_EUlS10_E0_NS1_11comp_targetILNS1_3genE5ELNS1_11target_archE942ELNS1_3gpuE9ELNS1_3repE0EEENS1_38merge_mergepath_config_static_selectorELNS0_4arch9wavefront6targetE0EEEvSM_
; %bb.0:
	.section	.rodata,"a",@progbits
	.p2align	6, 0x0
	.amdhsa_kernel _ZN7rocprim17ROCPRIM_400000_NS6detail17trampoline_kernelINS0_14default_configENS1_38merge_sort_block_merge_config_selectorIlNS0_10empty_typeEEEZZNS1_27merge_sort_block_merge_implIS3_PlPS5_mZN2at6native12_GLOBAL__N_124unique_dim_cuda_templateIbEESt5tupleIJNSA_6TensorESF_SF_EERKSF_lbbbEUlllE_EE10hipError_tT0_T1_T2_jT3_P12ihipStream_tbPNSt15iterator_traitsISL_E10value_typeEPNSR_ISM_E10value_typeEPSN_NS1_7vsmem_tEENKUlT_SL_SM_SN_E_clIS8_S8_S9_S9_EESK_S10_SL_SM_SN_EUlS10_E0_NS1_11comp_targetILNS1_3genE5ELNS1_11target_archE942ELNS1_3gpuE9ELNS1_3repE0EEENS1_38merge_mergepath_config_static_selectorELNS0_4arch9wavefront6targetE0EEEvSM_
		.amdhsa_group_segment_fixed_size 0
		.amdhsa_private_segment_fixed_size 0
		.amdhsa_kernarg_size 88
		.amdhsa_user_sgpr_count 2
		.amdhsa_user_sgpr_dispatch_ptr 0
		.amdhsa_user_sgpr_queue_ptr 0
		.amdhsa_user_sgpr_kernarg_segment_ptr 1
		.amdhsa_user_sgpr_dispatch_id 0
		.amdhsa_user_sgpr_kernarg_preload_length 0
		.amdhsa_user_sgpr_kernarg_preload_offset 0
		.amdhsa_user_sgpr_private_segment_size 0
		.amdhsa_wavefront_size32 1
		.amdhsa_uses_dynamic_stack 0
		.amdhsa_enable_private_segment 0
		.amdhsa_system_sgpr_workgroup_id_x 1
		.amdhsa_system_sgpr_workgroup_id_y 0
		.amdhsa_system_sgpr_workgroup_id_z 0
		.amdhsa_system_sgpr_workgroup_info 0
		.amdhsa_system_vgpr_workitem_id 0
		.amdhsa_next_free_vgpr 1
		.amdhsa_next_free_sgpr 1
		.amdhsa_named_barrier_count 0
		.amdhsa_reserve_vcc 0
		.amdhsa_float_round_mode_32 0
		.amdhsa_float_round_mode_16_64 0
		.amdhsa_float_denorm_mode_32 3
		.amdhsa_float_denorm_mode_16_64 3
		.amdhsa_fp16_overflow 0
		.amdhsa_memory_ordered 1
		.amdhsa_forward_progress 1
		.amdhsa_inst_pref_size 0
		.amdhsa_round_robin_scheduling 0
		.amdhsa_exception_fp_ieee_invalid_op 0
		.amdhsa_exception_fp_denorm_src 0
		.amdhsa_exception_fp_ieee_div_zero 0
		.amdhsa_exception_fp_ieee_overflow 0
		.amdhsa_exception_fp_ieee_underflow 0
		.amdhsa_exception_fp_ieee_inexact 0
		.amdhsa_exception_int_div_zero 0
	.end_amdhsa_kernel
	.section	.text._ZN7rocprim17ROCPRIM_400000_NS6detail17trampoline_kernelINS0_14default_configENS1_38merge_sort_block_merge_config_selectorIlNS0_10empty_typeEEEZZNS1_27merge_sort_block_merge_implIS3_PlPS5_mZN2at6native12_GLOBAL__N_124unique_dim_cuda_templateIbEESt5tupleIJNSA_6TensorESF_SF_EERKSF_lbbbEUlllE_EE10hipError_tT0_T1_T2_jT3_P12ihipStream_tbPNSt15iterator_traitsISL_E10value_typeEPNSR_ISM_E10value_typeEPSN_NS1_7vsmem_tEENKUlT_SL_SM_SN_E_clIS8_S8_S9_S9_EESK_S10_SL_SM_SN_EUlS10_E0_NS1_11comp_targetILNS1_3genE5ELNS1_11target_archE942ELNS1_3gpuE9ELNS1_3repE0EEENS1_38merge_mergepath_config_static_selectorELNS0_4arch9wavefront6targetE0EEEvSM_,"axG",@progbits,_ZN7rocprim17ROCPRIM_400000_NS6detail17trampoline_kernelINS0_14default_configENS1_38merge_sort_block_merge_config_selectorIlNS0_10empty_typeEEEZZNS1_27merge_sort_block_merge_implIS3_PlPS5_mZN2at6native12_GLOBAL__N_124unique_dim_cuda_templateIbEESt5tupleIJNSA_6TensorESF_SF_EERKSF_lbbbEUlllE_EE10hipError_tT0_T1_T2_jT3_P12ihipStream_tbPNSt15iterator_traitsISL_E10value_typeEPNSR_ISM_E10value_typeEPSN_NS1_7vsmem_tEENKUlT_SL_SM_SN_E_clIS8_S8_S9_S9_EESK_S10_SL_SM_SN_EUlS10_E0_NS1_11comp_targetILNS1_3genE5ELNS1_11target_archE942ELNS1_3gpuE9ELNS1_3repE0EEENS1_38merge_mergepath_config_static_selectorELNS0_4arch9wavefront6targetE0EEEvSM_,comdat
.Lfunc_end1012:
	.size	_ZN7rocprim17ROCPRIM_400000_NS6detail17trampoline_kernelINS0_14default_configENS1_38merge_sort_block_merge_config_selectorIlNS0_10empty_typeEEEZZNS1_27merge_sort_block_merge_implIS3_PlPS5_mZN2at6native12_GLOBAL__N_124unique_dim_cuda_templateIbEESt5tupleIJNSA_6TensorESF_SF_EERKSF_lbbbEUlllE_EE10hipError_tT0_T1_T2_jT3_P12ihipStream_tbPNSt15iterator_traitsISL_E10value_typeEPNSR_ISM_E10value_typeEPSN_NS1_7vsmem_tEENKUlT_SL_SM_SN_E_clIS8_S8_S9_S9_EESK_S10_SL_SM_SN_EUlS10_E0_NS1_11comp_targetILNS1_3genE5ELNS1_11target_archE942ELNS1_3gpuE9ELNS1_3repE0EEENS1_38merge_mergepath_config_static_selectorELNS0_4arch9wavefront6targetE0EEEvSM_, .Lfunc_end1012-_ZN7rocprim17ROCPRIM_400000_NS6detail17trampoline_kernelINS0_14default_configENS1_38merge_sort_block_merge_config_selectorIlNS0_10empty_typeEEEZZNS1_27merge_sort_block_merge_implIS3_PlPS5_mZN2at6native12_GLOBAL__N_124unique_dim_cuda_templateIbEESt5tupleIJNSA_6TensorESF_SF_EERKSF_lbbbEUlllE_EE10hipError_tT0_T1_T2_jT3_P12ihipStream_tbPNSt15iterator_traitsISL_E10value_typeEPNSR_ISM_E10value_typeEPSN_NS1_7vsmem_tEENKUlT_SL_SM_SN_E_clIS8_S8_S9_S9_EESK_S10_SL_SM_SN_EUlS10_E0_NS1_11comp_targetILNS1_3genE5ELNS1_11target_archE942ELNS1_3gpuE9ELNS1_3repE0EEENS1_38merge_mergepath_config_static_selectorELNS0_4arch9wavefront6targetE0EEEvSM_
                                        ; -- End function
	.set _ZN7rocprim17ROCPRIM_400000_NS6detail17trampoline_kernelINS0_14default_configENS1_38merge_sort_block_merge_config_selectorIlNS0_10empty_typeEEEZZNS1_27merge_sort_block_merge_implIS3_PlPS5_mZN2at6native12_GLOBAL__N_124unique_dim_cuda_templateIbEESt5tupleIJNSA_6TensorESF_SF_EERKSF_lbbbEUlllE_EE10hipError_tT0_T1_T2_jT3_P12ihipStream_tbPNSt15iterator_traitsISL_E10value_typeEPNSR_ISM_E10value_typeEPSN_NS1_7vsmem_tEENKUlT_SL_SM_SN_E_clIS8_S8_S9_S9_EESK_S10_SL_SM_SN_EUlS10_E0_NS1_11comp_targetILNS1_3genE5ELNS1_11target_archE942ELNS1_3gpuE9ELNS1_3repE0EEENS1_38merge_mergepath_config_static_selectorELNS0_4arch9wavefront6targetE0EEEvSM_.num_vgpr, 0
	.set _ZN7rocprim17ROCPRIM_400000_NS6detail17trampoline_kernelINS0_14default_configENS1_38merge_sort_block_merge_config_selectorIlNS0_10empty_typeEEEZZNS1_27merge_sort_block_merge_implIS3_PlPS5_mZN2at6native12_GLOBAL__N_124unique_dim_cuda_templateIbEESt5tupleIJNSA_6TensorESF_SF_EERKSF_lbbbEUlllE_EE10hipError_tT0_T1_T2_jT3_P12ihipStream_tbPNSt15iterator_traitsISL_E10value_typeEPNSR_ISM_E10value_typeEPSN_NS1_7vsmem_tEENKUlT_SL_SM_SN_E_clIS8_S8_S9_S9_EESK_S10_SL_SM_SN_EUlS10_E0_NS1_11comp_targetILNS1_3genE5ELNS1_11target_archE942ELNS1_3gpuE9ELNS1_3repE0EEENS1_38merge_mergepath_config_static_selectorELNS0_4arch9wavefront6targetE0EEEvSM_.num_agpr, 0
	.set _ZN7rocprim17ROCPRIM_400000_NS6detail17trampoline_kernelINS0_14default_configENS1_38merge_sort_block_merge_config_selectorIlNS0_10empty_typeEEEZZNS1_27merge_sort_block_merge_implIS3_PlPS5_mZN2at6native12_GLOBAL__N_124unique_dim_cuda_templateIbEESt5tupleIJNSA_6TensorESF_SF_EERKSF_lbbbEUlllE_EE10hipError_tT0_T1_T2_jT3_P12ihipStream_tbPNSt15iterator_traitsISL_E10value_typeEPNSR_ISM_E10value_typeEPSN_NS1_7vsmem_tEENKUlT_SL_SM_SN_E_clIS8_S8_S9_S9_EESK_S10_SL_SM_SN_EUlS10_E0_NS1_11comp_targetILNS1_3genE5ELNS1_11target_archE942ELNS1_3gpuE9ELNS1_3repE0EEENS1_38merge_mergepath_config_static_selectorELNS0_4arch9wavefront6targetE0EEEvSM_.numbered_sgpr, 0
	.set _ZN7rocprim17ROCPRIM_400000_NS6detail17trampoline_kernelINS0_14default_configENS1_38merge_sort_block_merge_config_selectorIlNS0_10empty_typeEEEZZNS1_27merge_sort_block_merge_implIS3_PlPS5_mZN2at6native12_GLOBAL__N_124unique_dim_cuda_templateIbEESt5tupleIJNSA_6TensorESF_SF_EERKSF_lbbbEUlllE_EE10hipError_tT0_T1_T2_jT3_P12ihipStream_tbPNSt15iterator_traitsISL_E10value_typeEPNSR_ISM_E10value_typeEPSN_NS1_7vsmem_tEENKUlT_SL_SM_SN_E_clIS8_S8_S9_S9_EESK_S10_SL_SM_SN_EUlS10_E0_NS1_11comp_targetILNS1_3genE5ELNS1_11target_archE942ELNS1_3gpuE9ELNS1_3repE0EEENS1_38merge_mergepath_config_static_selectorELNS0_4arch9wavefront6targetE0EEEvSM_.num_named_barrier, 0
	.set _ZN7rocprim17ROCPRIM_400000_NS6detail17trampoline_kernelINS0_14default_configENS1_38merge_sort_block_merge_config_selectorIlNS0_10empty_typeEEEZZNS1_27merge_sort_block_merge_implIS3_PlPS5_mZN2at6native12_GLOBAL__N_124unique_dim_cuda_templateIbEESt5tupleIJNSA_6TensorESF_SF_EERKSF_lbbbEUlllE_EE10hipError_tT0_T1_T2_jT3_P12ihipStream_tbPNSt15iterator_traitsISL_E10value_typeEPNSR_ISM_E10value_typeEPSN_NS1_7vsmem_tEENKUlT_SL_SM_SN_E_clIS8_S8_S9_S9_EESK_S10_SL_SM_SN_EUlS10_E0_NS1_11comp_targetILNS1_3genE5ELNS1_11target_archE942ELNS1_3gpuE9ELNS1_3repE0EEENS1_38merge_mergepath_config_static_selectorELNS0_4arch9wavefront6targetE0EEEvSM_.private_seg_size, 0
	.set _ZN7rocprim17ROCPRIM_400000_NS6detail17trampoline_kernelINS0_14default_configENS1_38merge_sort_block_merge_config_selectorIlNS0_10empty_typeEEEZZNS1_27merge_sort_block_merge_implIS3_PlPS5_mZN2at6native12_GLOBAL__N_124unique_dim_cuda_templateIbEESt5tupleIJNSA_6TensorESF_SF_EERKSF_lbbbEUlllE_EE10hipError_tT0_T1_T2_jT3_P12ihipStream_tbPNSt15iterator_traitsISL_E10value_typeEPNSR_ISM_E10value_typeEPSN_NS1_7vsmem_tEENKUlT_SL_SM_SN_E_clIS8_S8_S9_S9_EESK_S10_SL_SM_SN_EUlS10_E0_NS1_11comp_targetILNS1_3genE5ELNS1_11target_archE942ELNS1_3gpuE9ELNS1_3repE0EEENS1_38merge_mergepath_config_static_selectorELNS0_4arch9wavefront6targetE0EEEvSM_.uses_vcc, 0
	.set _ZN7rocprim17ROCPRIM_400000_NS6detail17trampoline_kernelINS0_14default_configENS1_38merge_sort_block_merge_config_selectorIlNS0_10empty_typeEEEZZNS1_27merge_sort_block_merge_implIS3_PlPS5_mZN2at6native12_GLOBAL__N_124unique_dim_cuda_templateIbEESt5tupleIJNSA_6TensorESF_SF_EERKSF_lbbbEUlllE_EE10hipError_tT0_T1_T2_jT3_P12ihipStream_tbPNSt15iterator_traitsISL_E10value_typeEPNSR_ISM_E10value_typeEPSN_NS1_7vsmem_tEENKUlT_SL_SM_SN_E_clIS8_S8_S9_S9_EESK_S10_SL_SM_SN_EUlS10_E0_NS1_11comp_targetILNS1_3genE5ELNS1_11target_archE942ELNS1_3gpuE9ELNS1_3repE0EEENS1_38merge_mergepath_config_static_selectorELNS0_4arch9wavefront6targetE0EEEvSM_.uses_flat_scratch, 0
	.set _ZN7rocprim17ROCPRIM_400000_NS6detail17trampoline_kernelINS0_14default_configENS1_38merge_sort_block_merge_config_selectorIlNS0_10empty_typeEEEZZNS1_27merge_sort_block_merge_implIS3_PlPS5_mZN2at6native12_GLOBAL__N_124unique_dim_cuda_templateIbEESt5tupleIJNSA_6TensorESF_SF_EERKSF_lbbbEUlllE_EE10hipError_tT0_T1_T2_jT3_P12ihipStream_tbPNSt15iterator_traitsISL_E10value_typeEPNSR_ISM_E10value_typeEPSN_NS1_7vsmem_tEENKUlT_SL_SM_SN_E_clIS8_S8_S9_S9_EESK_S10_SL_SM_SN_EUlS10_E0_NS1_11comp_targetILNS1_3genE5ELNS1_11target_archE942ELNS1_3gpuE9ELNS1_3repE0EEENS1_38merge_mergepath_config_static_selectorELNS0_4arch9wavefront6targetE0EEEvSM_.has_dyn_sized_stack, 0
	.set _ZN7rocprim17ROCPRIM_400000_NS6detail17trampoline_kernelINS0_14default_configENS1_38merge_sort_block_merge_config_selectorIlNS0_10empty_typeEEEZZNS1_27merge_sort_block_merge_implIS3_PlPS5_mZN2at6native12_GLOBAL__N_124unique_dim_cuda_templateIbEESt5tupleIJNSA_6TensorESF_SF_EERKSF_lbbbEUlllE_EE10hipError_tT0_T1_T2_jT3_P12ihipStream_tbPNSt15iterator_traitsISL_E10value_typeEPNSR_ISM_E10value_typeEPSN_NS1_7vsmem_tEENKUlT_SL_SM_SN_E_clIS8_S8_S9_S9_EESK_S10_SL_SM_SN_EUlS10_E0_NS1_11comp_targetILNS1_3genE5ELNS1_11target_archE942ELNS1_3gpuE9ELNS1_3repE0EEENS1_38merge_mergepath_config_static_selectorELNS0_4arch9wavefront6targetE0EEEvSM_.has_recursion, 0
	.set _ZN7rocprim17ROCPRIM_400000_NS6detail17trampoline_kernelINS0_14default_configENS1_38merge_sort_block_merge_config_selectorIlNS0_10empty_typeEEEZZNS1_27merge_sort_block_merge_implIS3_PlPS5_mZN2at6native12_GLOBAL__N_124unique_dim_cuda_templateIbEESt5tupleIJNSA_6TensorESF_SF_EERKSF_lbbbEUlllE_EE10hipError_tT0_T1_T2_jT3_P12ihipStream_tbPNSt15iterator_traitsISL_E10value_typeEPNSR_ISM_E10value_typeEPSN_NS1_7vsmem_tEENKUlT_SL_SM_SN_E_clIS8_S8_S9_S9_EESK_S10_SL_SM_SN_EUlS10_E0_NS1_11comp_targetILNS1_3genE5ELNS1_11target_archE942ELNS1_3gpuE9ELNS1_3repE0EEENS1_38merge_mergepath_config_static_selectorELNS0_4arch9wavefront6targetE0EEEvSM_.has_indirect_call, 0
	.section	.AMDGPU.csdata,"",@progbits
; Kernel info:
; codeLenInByte = 0
; TotalNumSgprs: 0
; NumVgprs: 0
; ScratchSize: 0
; MemoryBound: 0
; FloatMode: 240
; IeeeMode: 1
; LDSByteSize: 0 bytes/workgroup (compile time only)
; SGPRBlocks: 0
; VGPRBlocks: 0
; NumSGPRsForWavesPerEU: 1
; NumVGPRsForWavesPerEU: 1
; NamedBarCnt: 0
; Occupancy: 16
; WaveLimiterHint : 0
; COMPUTE_PGM_RSRC2:SCRATCH_EN: 0
; COMPUTE_PGM_RSRC2:USER_SGPR: 2
; COMPUTE_PGM_RSRC2:TRAP_HANDLER: 0
; COMPUTE_PGM_RSRC2:TGID_X_EN: 1
; COMPUTE_PGM_RSRC2:TGID_Y_EN: 0
; COMPUTE_PGM_RSRC2:TGID_Z_EN: 0
; COMPUTE_PGM_RSRC2:TIDIG_COMP_CNT: 0
	.section	.text._ZN7rocprim17ROCPRIM_400000_NS6detail17trampoline_kernelINS0_14default_configENS1_38merge_sort_block_merge_config_selectorIlNS0_10empty_typeEEEZZNS1_27merge_sort_block_merge_implIS3_PlPS5_mZN2at6native12_GLOBAL__N_124unique_dim_cuda_templateIbEESt5tupleIJNSA_6TensorESF_SF_EERKSF_lbbbEUlllE_EE10hipError_tT0_T1_T2_jT3_P12ihipStream_tbPNSt15iterator_traitsISL_E10value_typeEPNSR_ISM_E10value_typeEPSN_NS1_7vsmem_tEENKUlT_SL_SM_SN_E_clIS8_S8_S9_S9_EESK_S10_SL_SM_SN_EUlS10_E0_NS1_11comp_targetILNS1_3genE4ELNS1_11target_archE910ELNS1_3gpuE8ELNS1_3repE0EEENS1_38merge_mergepath_config_static_selectorELNS0_4arch9wavefront6targetE0EEEvSM_,"axG",@progbits,_ZN7rocprim17ROCPRIM_400000_NS6detail17trampoline_kernelINS0_14default_configENS1_38merge_sort_block_merge_config_selectorIlNS0_10empty_typeEEEZZNS1_27merge_sort_block_merge_implIS3_PlPS5_mZN2at6native12_GLOBAL__N_124unique_dim_cuda_templateIbEESt5tupleIJNSA_6TensorESF_SF_EERKSF_lbbbEUlllE_EE10hipError_tT0_T1_T2_jT3_P12ihipStream_tbPNSt15iterator_traitsISL_E10value_typeEPNSR_ISM_E10value_typeEPSN_NS1_7vsmem_tEENKUlT_SL_SM_SN_E_clIS8_S8_S9_S9_EESK_S10_SL_SM_SN_EUlS10_E0_NS1_11comp_targetILNS1_3genE4ELNS1_11target_archE910ELNS1_3gpuE8ELNS1_3repE0EEENS1_38merge_mergepath_config_static_selectorELNS0_4arch9wavefront6targetE0EEEvSM_,comdat
	.globl	_ZN7rocprim17ROCPRIM_400000_NS6detail17trampoline_kernelINS0_14default_configENS1_38merge_sort_block_merge_config_selectorIlNS0_10empty_typeEEEZZNS1_27merge_sort_block_merge_implIS3_PlPS5_mZN2at6native12_GLOBAL__N_124unique_dim_cuda_templateIbEESt5tupleIJNSA_6TensorESF_SF_EERKSF_lbbbEUlllE_EE10hipError_tT0_T1_T2_jT3_P12ihipStream_tbPNSt15iterator_traitsISL_E10value_typeEPNSR_ISM_E10value_typeEPSN_NS1_7vsmem_tEENKUlT_SL_SM_SN_E_clIS8_S8_S9_S9_EESK_S10_SL_SM_SN_EUlS10_E0_NS1_11comp_targetILNS1_3genE4ELNS1_11target_archE910ELNS1_3gpuE8ELNS1_3repE0EEENS1_38merge_mergepath_config_static_selectorELNS0_4arch9wavefront6targetE0EEEvSM_ ; -- Begin function _ZN7rocprim17ROCPRIM_400000_NS6detail17trampoline_kernelINS0_14default_configENS1_38merge_sort_block_merge_config_selectorIlNS0_10empty_typeEEEZZNS1_27merge_sort_block_merge_implIS3_PlPS5_mZN2at6native12_GLOBAL__N_124unique_dim_cuda_templateIbEESt5tupleIJNSA_6TensorESF_SF_EERKSF_lbbbEUlllE_EE10hipError_tT0_T1_T2_jT3_P12ihipStream_tbPNSt15iterator_traitsISL_E10value_typeEPNSR_ISM_E10value_typeEPSN_NS1_7vsmem_tEENKUlT_SL_SM_SN_E_clIS8_S8_S9_S9_EESK_S10_SL_SM_SN_EUlS10_E0_NS1_11comp_targetILNS1_3genE4ELNS1_11target_archE910ELNS1_3gpuE8ELNS1_3repE0EEENS1_38merge_mergepath_config_static_selectorELNS0_4arch9wavefront6targetE0EEEvSM_
	.p2align	8
	.type	_ZN7rocprim17ROCPRIM_400000_NS6detail17trampoline_kernelINS0_14default_configENS1_38merge_sort_block_merge_config_selectorIlNS0_10empty_typeEEEZZNS1_27merge_sort_block_merge_implIS3_PlPS5_mZN2at6native12_GLOBAL__N_124unique_dim_cuda_templateIbEESt5tupleIJNSA_6TensorESF_SF_EERKSF_lbbbEUlllE_EE10hipError_tT0_T1_T2_jT3_P12ihipStream_tbPNSt15iterator_traitsISL_E10value_typeEPNSR_ISM_E10value_typeEPSN_NS1_7vsmem_tEENKUlT_SL_SM_SN_E_clIS8_S8_S9_S9_EESK_S10_SL_SM_SN_EUlS10_E0_NS1_11comp_targetILNS1_3genE4ELNS1_11target_archE910ELNS1_3gpuE8ELNS1_3repE0EEENS1_38merge_mergepath_config_static_selectorELNS0_4arch9wavefront6targetE0EEEvSM_,@function
_ZN7rocprim17ROCPRIM_400000_NS6detail17trampoline_kernelINS0_14default_configENS1_38merge_sort_block_merge_config_selectorIlNS0_10empty_typeEEEZZNS1_27merge_sort_block_merge_implIS3_PlPS5_mZN2at6native12_GLOBAL__N_124unique_dim_cuda_templateIbEESt5tupleIJNSA_6TensorESF_SF_EERKSF_lbbbEUlllE_EE10hipError_tT0_T1_T2_jT3_P12ihipStream_tbPNSt15iterator_traitsISL_E10value_typeEPNSR_ISM_E10value_typeEPSN_NS1_7vsmem_tEENKUlT_SL_SM_SN_E_clIS8_S8_S9_S9_EESK_S10_SL_SM_SN_EUlS10_E0_NS1_11comp_targetILNS1_3genE4ELNS1_11target_archE910ELNS1_3gpuE8ELNS1_3repE0EEENS1_38merge_mergepath_config_static_selectorELNS0_4arch9wavefront6targetE0EEEvSM_: ; @_ZN7rocprim17ROCPRIM_400000_NS6detail17trampoline_kernelINS0_14default_configENS1_38merge_sort_block_merge_config_selectorIlNS0_10empty_typeEEEZZNS1_27merge_sort_block_merge_implIS3_PlPS5_mZN2at6native12_GLOBAL__N_124unique_dim_cuda_templateIbEESt5tupleIJNSA_6TensorESF_SF_EERKSF_lbbbEUlllE_EE10hipError_tT0_T1_T2_jT3_P12ihipStream_tbPNSt15iterator_traitsISL_E10value_typeEPNSR_ISM_E10value_typeEPSN_NS1_7vsmem_tEENKUlT_SL_SM_SN_E_clIS8_S8_S9_S9_EESK_S10_SL_SM_SN_EUlS10_E0_NS1_11comp_targetILNS1_3genE4ELNS1_11target_archE910ELNS1_3gpuE8ELNS1_3repE0EEENS1_38merge_mergepath_config_static_selectorELNS0_4arch9wavefront6targetE0EEEvSM_
; %bb.0:
	.section	.rodata,"a",@progbits
	.p2align	6, 0x0
	.amdhsa_kernel _ZN7rocprim17ROCPRIM_400000_NS6detail17trampoline_kernelINS0_14default_configENS1_38merge_sort_block_merge_config_selectorIlNS0_10empty_typeEEEZZNS1_27merge_sort_block_merge_implIS3_PlPS5_mZN2at6native12_GLOBAL__N_124unique_dim_cuda_templateIbEESt5tupleIJNSA_6TensorESF_SF_EERKSF_lbbbEUlllE_EE10hipError_tT0_T1_T2_jT3_P12ihipStream_tbPNSt15iterator_traitsISL_E10value_typeEPNSR_ISM_E10value_typeEPSN_NS1_7vsmem_tEENKUlT_SL_SM_SN_E_clIS8_S8_S9_S9_EESK_S10_SL_SM_SN_EUlS10_E0_NS1_11comp_targetILNS1_3genE4ELNS1_11target_archE910ELNS1_3gpuE8ELNS1_3repE0EEENS1_38merge_mergepath_config_static_selectorELNS0_4arch9wavefront6targetE0EEEvSM_
		.amdhsa_group_segment_fixed_size 0
		.amdhsa_private_segment_fixed_size 0
		.amdhsa_kernarg_size 88
		.amdhsa_user_sgpr_count 2
		.amdhsa_user_sgpr_dispatch_ptr 0
		.amdhsa_user_sgpr_queue_ptr 0
		.amdhsa_user_sgpr_kernarg_segment_ptr 1
		.amdhsa_user_sgpr_dispatch_id 0
		.amdhsa_user_sgpr_kernarg_preload_length 0
		.amdhsa_user_sgpr_kernarg_preload_offset 0
		.amdhsa_user_sgpr_private_segment_size 0
		.amdhsa_wavefront_size32 1
		.amdhsa_uses_dynamic_stack 0
		.amdhsa_enable_private_segment 0
		.amdhsa_system_sgpr_workgroup_id_x 1
		.amdhsa_system_sgpr_workgroup_id_y 0
		.amdhsa_system_sgpr_workgroup_id_z 0
		.amdhsa_system_sgpr_workgroup_info 0
		.amdhsa_system_vgpr_workitem_id 0
		.amdhsa_next_free_vgpr 1
		.amdhsa_next_free_sgpr 1
		.amdhsa_named_barrier_count 0
		.amdhsa_reserve_vcc 0
		.amdhsa_float_round_mode_32 0
		.amdhsa_float_round_mode_16_64 0
		.amdhsa_float_denorm_mode_32 3
		.amdhsa_float_denorm_mode_16_64 3
		.amdhsa_fp16_overflow 0
		.amdhsa_memory_ordered 1
		.amdhsa_forward_progress 1
		.amdhsa_inst_pref_size 0
		.amdhsa_round_robin_scheduling 0
		.amdhsa_exception_fp_ieee_invalid_op 0
		.amdhsa_exception_fp_denorm_src 0
		.amdhsa_exception_fp_ieee_div_zero 0
		.amdhsa_exception_fp_ieee_overflow 0
		.amdhsa_exception_fp_ieee_underflow 0
		.amdhsa_exception_fp_ieee_inexact 0
		.amdhsa_exception_int_div_zero 0
	.end_amdhsa_kernel
	.section	.text._ZN7rocprim17ROCPRIM_400000_NS6detail17trampoline_kernelINS0_14default_configENS1_38merge_sort_block_merge_config_selectorIlNS0_10empty_typeEEEZZNS1_27merge_sort_block_merge_implIS3_PlPS5_mZN2at6native12_GLOBAL__N_124unique_dim_cuda_templateIbEESt5tupleIJNSA_6TensorESF_SF_EERKSF_lbbbEUlllE_EE10hipError_tT0_T1_T2_jT3_P12ihipStream_tbPNSt15iterator_traitsISL_E10value_typeEPNSR_ISM_E10value_typeEPSN_NS1_7vsmem_tEENKUlT_SL_SM_SN_E_clIS8_S8_S9_S9_EESK_S10_SL_SM_SN_EUlS10_E0_NS1_11comp_targetILNS1_3genE4ELNS1_11target_archE910ELNS1_3gpuE8ELNS1_3repE0EEENS1_38merge_mergepath_config_static_selectorELNS0_4arch9wavefront6targetE0EEEvSM_,"axG",@progbits,_ZN7rocprim17ROCPRIM_400000_NS6detail17trampoline_kernelINS0_14default_configENS1_38merge_sort_block_merge_config_selectorIlNS0_10empty_typeEEEZZNS1_27merge_sort_block_merge_implIS3_PlPS5_mZN2at6native12_GLOBAL__N_124unique_dim_cuda_templateIbEESt5tupleIJNSA_6TensorESF_SF_EERKSF_lbbbEUlllE_EE10hipError_tT0_T1_T2_jT3_P12ihipStream_tbPNSt15iterator_traitsISL_E10value_typeEPNSR_ISM_E10value_typeEPSN_NS1_7vsmem_tEENKUlT_SL_SM_SN_E_clIS8_S8_S9_S9_EESK_S10_SL_SM_SN_EUlS10_E0_NS1_11comp_targetILNS1_3genE4ELNS1_11target_archE910ELNS1_3gpuE8ELNS1_3repE0EEENS1_38merge_mergepath_config_static_selectorELNS0_4arch9wavefront6targetE0EEEvSM_,comdat
.Lfunc_end1013:
	.size	_ZN7rocprim17ROCPRIM_400000_NS6detail17trampoline_kernelINS0_14default_configENS1_38merge_sort_block_merge_config_selectorIlNS0_10empty_typeEEEZZNS1_27merge_sort_block_merge_implIS3_PlPS5_mZN2at6native12_GLOBAL__N_124unique_dim_cuda_templateIbEESt5tupleIJNSA_6TensorESF_SF_EERKSF_lbbbEUlllE_EE10hipError_tT0_T1_T2_jT3_P12ihipStream_tbPNSt15iterator_traitsISL_E10value_typeEPNSR_ISM_E10value_typeEPSN_NS1_7vsmem_tEENKUlT_SL_SM_SN_E_clIS8_S8_S9_S9_EESK_S10_SL_SM_SN_EUlS10_E0_NS1_11comp_targetILNS1_3genE4ELNS1_11target_archE910ELNS1_3gpuE8ELNS1_3repE0EEENS1_38merge_mergepath_config_static_selectorELNS0_4arch9wavefront6targetE0EEEvSM_, .Lfunc_end1013-_ZN7rocprim17ROCPRIM_400000_NS6detail17trampoline_kernelINS0_14default_configENS1_38merge_sort_block_merge_config_selectorIlNS0_10empty_typeEEEZZNS1_27merge_sort_block_merge_implIS3_PlPS5_mZN2at6native12_GLOBAL__N_124unique_dim_cuda_templateIbEESt5tupleIJNSA_6TensorESF_SF_EERKSF_lbbbEUlllE_EE10hipError_tT0_T1_T2_jT3_P12ihipStream_tbPNSt15iterator_traitsISL_E10value_typeEPNSR_ISM_E10value_typeEPSN_NS1_7vsmem_tEENKUlT_SL_SM_SN_E_clIS8_S8_S9_S9_EESK_S10_SL_SM_SN_EUlS10_E0_NS1_11comp_targetILNS1_3genE4ELNS1_11target_archE910ELNS1_3gpuE8ELNS1_3repE0EEENS1_38merge_mergepath_config_static_selectorELNS0_4arch9wavefront6targetE0EEEvSM_
                                        ; -- End function
	.set _ZN7rocprim17ROCPRIM_400000_NS6detail17trampoline_kernelINS0_14default_configENS1_38merge_sort_block_merge_config_selectorIlNS0_10empty_typeEEEZZNS1_27merge_sort_block_merge_implIS3_PlPS5_mZN2at6native12_GLOBAL__N_124unique_dim_cuda_templateIbEESt5tupleIJNSA_6TensorESF_SF_EERKSF_lbbbEUlllE_EE10hipError_tT0_T1_T2_jT3_P12ihipStream_tbPNSt15iterator_traitsISL_E10value_typeEPNSR_ISM_E10value_typeEPSN_NS1_7vsmem_tEENKUlT_SL_SM_SN_E_clIS8_S8_S9_S9_EESK_S10_SL_SM_SN_EUlS10_E0_NS1_11comp_targetILNS1_3genE4ELNS1_11target_archE910ELNS1_3gpuE8ELNS1_3repE0EEENS1_38merge_mergepath_config_static_selectorELNS0_4arch9wavefront6targetE0EEEvSM_.num_vgpr, 0
	.set _ZN7rocprim17ROCPRIM_400000_NS6detail17trampoline_kernelINS0_14default_configENS1_38merge_sort_block_merge_config_selectorIlNS0_10empty_typeEEEZZNS1_27merge_sort_block_merge_implIS3_PlPS5_mZN2at6native12_GLOBAL__N_124unique_dim_cuda_templateIbEESt5tupleIJNSA_6TensorESF_SF_EERKSF_lbbbEUlllE_EE10hipError_tT0_T1_T2_jT3_P12ihipStream_tbPNSt15iterator_traitsISL_E10value_typeEPNSR_ISM_E10value_typeEPSN_NS1_7vsmem_tEENKUlT_SL_SM_SN_E_clIS8_S8_S9_S9_EESK_S10_SL_SM_SN_EUlS10_E0_NS1_11comp_targetILNS1_3genE4ELNS1_11target_archE910ELNS1_3gpuE8ELNS1_3repE0EEENS1_38merge_mergepath_config_static_selectorELNS0_4arch9wavefront6targetE0EEEvSM_.num_agpr, 0
	.set _ZN7rocprim17ROCPRIM_400000_NS6detail17trampoline_kernelINS0_14default_configENS1_38merge_sort_block_merge_config_selectorIlNS0_10empty_typeEEEZZNS1_27merge_sort_block_merge_implIS3_PlPS5_mZN2at6native12_GLOBAL__N_124unique_dim_cuda_templateIbEESt5tupleIJNSA_6TensorESF_SF_EERKSF_lbbbEUlllE_EE10hipError_tT0_T1_T2_jT3_P12ihipStream_tbPNSt15iterator_traitsISL_E10value_typeEPNSR_ISM_E10value_typeEPSN_NS1_7vsmem_tEENKUlT_SL_SM_SN_E_clIS8_S8_S9_S9_EESK_S10_SL_SM_SN_EUlS10_E0_NS1_11comp_targetILNS1_3genE4ELNS1_11target_archE910ELNS1_3gpuE8ELNS1_3repE0EEENS1_38merge_mergepath_config_static_selectorELNS0_4arch9wavefront6targetE0EEEvSM_.numbered_sgpr, 0
	.set _ZN7rocprim17ROCPRIM_400000_NS6detail17trampoline_kernelINS0_14default_configENS1_38merge_sort_block_merge_config_selectorIlNS0_10empty_typeEEEZZNS1_27merge_sort_block_merge_implIS3_PlPS5_mZN2at6native12_GLOBAL__N_124unique_dim_cuda_templateIbEESt5tupleIJNSA_6TensorESF_SF_EERKSF_lbbbEUlllE_EE10hipError_tT0_T1_T2_jT3_P12ihipStream_tbPNSt15iterator_traitsISL_E10value_typeEPNSR_ISM_E10value_typeEPSN_NS1_7vsmem_tEENKUlT_SL_SM_SN_E_clIS8_S8_S9_S9_EESK_S10_SL_SM_SN_EUlS10_E0_NS1_11comp_targetILNS1_3genE4ELNS1_11target_archE910ELNS1_3gpuE8ELNS1_3repE0EEENS1_38merge_mergepath_config_static_selectorELNS0_4arch9wavefront6targetE0EEEvSM_.num_named_barrier, 0
	.set _ZN7rocprim17ROCPRIM_400000_NS6detail17trampoline_kernelINS0_14default_configENS1_38merge_sort_block_merge_config_selectorIlNS0_10empty_typeEEEZZNS1_27merge_sort_block_merge_implIS3_PlPS5_mZN2at6native12_GLOBAL__N_124unique_dim_cuda_templateIbEESt5tupleIJNSA_6TensorESF_SF_EERKSF_lbbbEUlllE_EE10hipError_tT0_T1_T2_jT3_P12ihipStream_tbPNSt15iterator_traitsISL_E10value_typeEPNSR_ISM_E10value_typeEPSN_NS1_7vsmem_tEENKUlT_SL_SM_SN_E_clIS8_S8_S9_S9_EESK_S10_SL_SM_SN_EUlS10_E0_NS1_11comp_targetILNS1_3genE4ELNS1_11target_archE910ELNS1_3gpuE8ELNS1_3repE0EEENS1_38merge_mergepath_config_static_selectorELNS0_4arch9wavefront6targetE0EEEvSM_.private_seg_size, 0
	.set _ZN7rocprim17ROCPRIM_400000_NS6detail17trampoline_kernelINS0_14default_configENS1_38merge_sort_block_merge_config_selectorIlNS0_10empty_typeEEEZZNS1_27merge_sort_block_merge_implIS3_PlPS5_mZN2at6native12_GLOBAL__N_124unique_dim_cuda_templateIbEESt5tupleIJNSA_6TensorESF_SF_EERKSF_lbbbEUlllE_EE10hipError_tT0_T1_T2_jT3_P12ihipStream_tbPNSt15iterator_traitsISL_E10value_typeEPNSR_ISM_E10value_typeEPSN_NS1_7vsmem_tEENKUlT_SL_SM_SN_E_clIS8_S8_S9_S9_EESK_S10_SL_SM_SN_EUlS10_E0_NS1_11comp_targetILNS1_3genE4ELNS1_11target_archE910ELNS1_3gpuE8ELNS1_3repE0EEENS1_38merge_mergepath_config_static_selectorELNS0_4arch9wavefront6targetE0EEEvSM_.uses_vcc, 0
	.set _ZN7rocprim17ROCPRIM_400000_NS6detail17trampoline_kernelINS0_14default_configENS1_38merge_sort_block_merge_config_selectorIlNS0_10empty_typeEEEZZNS1_27merge_sort_block_merge_implIS3_PlPS5_mZN2at6native12_GLOBAL__N_124unique_dim_cuda_templateIbEESt5tupleIJNSA_6TensorESF_SF_EERKSF_lbbbEUlllE_EE10hipError_tT0_T1_T2_jT3_P12ihipStream_tbPNSt15iterator_traitsISL_E10value_typeEPNSR_ISM_E10value_typeEPSN_NS1_7vsmem_tEENKUlT_SL_SM_SN_E_clIS8_S8_S9_S9_EESK_S10_SL_SM_SN_EUlS10_E0_NS1_11comp_targetILNS1_3genE4ELNS1_11target_archE910ELNS1_3gpuE8ELNS1_3repE0EEENS1_38merge_mergepath_config_static_selectorELNS0_4arch9wavefront6targetE0EEEvSM_.uses_flat_scratch, 0
	.set _ZN7rocprim17ROCPRIM_400000_NS6detail17trampoline_kernelINS0_14default_configENS1_38merge_sort_block_merge_config_selectorIlNS0_10empty_typeEEEZZNS1_27merge_sort_block_merge_implIS3_PlPS5_mZN2at6native12_GLOBAL__N_124unique_dim_cuda_templateIbEESt5tupleIJNSA_6TensorESF_SF_EERKSF_lbbbEUlllE_EE10hipError_tT0_T1_T2_jT3_P12ihipStream_tbPNSt15iterator_traitsISL_E10value_typeEPNSR_ISM_E10value_typeEPSN_NS1_7vsmem_tEENKUlT_SL_SM_SN_E_clIS8_S8_S9_S9_EESK_S10_SL_SM_SN_EUlS10_E0_NS1_11comp_targetILNS1_3genE4ELNS1_11target_archE910ELNS1_3gpuE8ELNS1_3repE0EEENS1_38merge_mergepath_config_static_selectorELNS0_4arch9wavefront6targetE0EEEvSM_.has_dyn_sized_stack, 0
	.set _ZN7rocprim17ROCPRIM_400000_NS6detail17trampoline_kernelINS0_14default_configENS1_38merge_sort_block_merge_config_selectorIlNS0_10empty_typeEEEZZNS1_27merge_sort_block_merge_implIS3_PlPS5_mZN2at6native12_GLOBAL__N_124unique_dim_cuda_templateIbEESt5tupleIJNSA_6TensorESF_SF_EERKSF_lbbbEUlllE_EE10hipError_tT0_T1_T2_jT3_P12ihipStream_tbPNSt15iterator_traitsISL_E10value_typeEPNSR_ISM_E10value_typeEPSN_NS1_7vsmem_tEENKUlT_SL_SM_SN_E_clIS8_S8_S9_S9_EESK_S10_SL_SM_SN_EUlS10_E0_NS1_11comp_targetILNS1_3genE4ELNS1_11target_archE910ELNS1_3gpuE8ELNS1_3repE0EEENS1_38merge_mergepath_config_static_selectorELNS0_4arch9wavefront6targetE0EEEvSM_.has_recursion, 0
	.set _ZN7rocprim17ROCPRIM_400000_NS6detail17trampoline_kernelINS0_14default_configENS1_38merge_sort_block_merge_config_selectorIlNS0_10empty_typeEEEZZNS1_27merge_sort_block_merge_implIS3_PlPS5_mZN2at6native12_GLOBAL__N_124unique_dim_cuda_templateIbEESt5tupleIJNSA_6TensorESF_SF_EERKSF_lbbbEUlllE_EE10hipError_tT0_T1_T2_jT3_P12ihipStream_tbPNSt15iterator_traitsISL_E10value_typeEPNSR_ISM_E10value_typeEPSN_NS1_7vsmem_tEENKUlT_SL_SM_SN_E_clIS8_S8_S9_S9_EESK_S10_SL_SM_SN_EUlS10_E0_NS1_11comp_targetILNS1_3genE4ELNS1_11target_archE910ELNS1_3gpuE8ELNS1_3repE0EEENS1_38merge_mergepath_config_static_selectorELNS0_4arch9wavefront6targetE0EEEvSM_.has_indirect_call, 0
	.section	.AMDGPU.csdata,"",@progbits
; Kernel info:
; codeLenInByte = 0
; TotalNumSgprs: 0
; NumVgprs: 0
; ScratchSize: 0
; MemoryBound: 0
; FloatMode: 240
; IeeeMode: 1
; LDSByteSize: 0 bytes/workgroup (compile time only)
; SGPRBlocks: 0
; VGPRBlocks: 0
; NumSGPRsForWavesPerEU: 1
; NumVGPRsForWavesPerEU: 1
; NamedBarCnt: 0
; Occupancy: 16
; WaveLimiterHint : 0
; COMPUTE_PGM_RSRC2:SCRATCH_EN: 0
; COMPUTE_PGM_RSRC2:USER_SGPR: 2
; COMPUTE_PGM_RSRC2:TRAP_HANDLER: 0
; COMPUTE_PGM_RSRC2:TGID_X_EN: 1
; COMPUTE_PGM_RSRC2:TGID_Y_EN: 0
; COMPUTE_PGM_RSRC2:TGID_Z_EN: 0
; COMPUTE_PGM_RSRC2:TIDIG_COMP_CNT: 0
	.section	.text._ZN7rocprim17ROCPRIM_400000_NS6detail17trampoline_kernelINS0_14default_configENS1_38merge_sort_block_merge_config_selectorIlNS0_10empty_typeEEEZZNS1_27merge_sort_block_merge_implIS3_PlPS5_mZN2at6native12_GLOBAL__N_124unique_dim_cuda_templateIbEESt5tupleIJNSA_6TensorESF_SF_EERKSF_lbbbEUlllE_EE10hipError_tT0_T1_T2_jT3_P12ihipStream_tbPNSt15iterator_traitsISL_E10value_typeEPNSR_ISM_E10value_typeEPSN_NS1_7vsmem_tEENKUlT_SL_SM_SN_E_clIS8_S8_S9_S9_EESK_S10_SL_SM_SN_EUlS10_E0_NS1_11comp_targetILNS1_3genE3ELNS1_11target_archE908ELNS1_3gpuE7ELNS1_3repE0EEENS1_38merge_mergepath_config_static_selectorELNS0_4arch9wavefront6targetE0EEEvSM_,"axG",@progbits,_ZN7rocprim17ROCPRIM_400000_NS6detail17trampoline_kernelINS0_14default_configENS1_38merge_sort_block_merge_config_selectorIlNS0_10empty_typeEEEZZNS1_27merge_sort_block_merge_implIS3_PlPS5_mZN2at6native12_GLOBAL__N_124unique_dim_cuda_templateIbEESt5tupleIJNSA_6TensorESF_SF_EERKSF_lbbbEUlllE_EE10hipError_tT0_T1_T2_jT3_P12ihipStream_tbPNSt15iterator_traitsISL_E10value_typeEPNSR_ISM_E10value_typeEPSN_NS1_7vsmem_tEENKUlT_SL_SM_SN_E_clIS8_S8_S9_S9_EESK_S10_SL_SM_SN_EUlS10_E0_NS1_11comp_targetILNS1_3genE3ELNS1_11target_archE908ELNS1_3gpuE7ELNS1_3repE0EEENS1_38merge_mergepath_config_static_selectorELNS0_4arch9wavefront6targetE0EEEvSM_,comdat
	.globl	_ZN7rocprim17ROCPRIM_400000_NS6detail17trampoline_kernelINS0_14default_configENS1_38merge_sort_block_merge_config_selectorIlNS0_10empty_typeEEEZZNS1_27merge_sort_block_merge_implIS3_PlPS5_mZN2at6native12_GLOBAL__N_124unique_dim_cuda_templateIbEESt5tupleIJNSA_6TensorESF_SF_EERKSF_lbbbEUlllE_EE10hipError_tT0_T1_T2_jT3_P12ihipStream_tbPNSt15iterator_traitsISL_E10value_typeEPNSR_ISM_E10value_typeEPSN_NS1_7vsmem_tEENKUlT_SL_SM_SN_E_clIS8_S8_S9_S9_EESK_S10_SL_SM_SN_EUlS10_E0_NS1_11comp_targetILNS1_3genE3ELNS1_11target_archE908ELNS1_3gpuE7ELNS1_3repE0EEENS1_38merge_mergepath_config_static_selectorELNS0_4arch9wavefront6targetE0EEEvSM_ ; -- Begin function _ZN7rocprim17ROCPRIM_400000_NS6detail17trampoline_kernelINS0_14default_configENS1_38merge_sort_block_merge_config_selectorIlNS0_10empty_typeEEEZZNS1_27merge_sort_block_merge_implIS3_PlPS5_mZN2at6native12_GLOBAL__N_124unique_dim_cuda_templateIbEESt5tupleIJNSA_6TensorESF_SF_EERKSF_lbbbEUlllE_EE10hipError_tT0_T1_T2_jT3_P12ihipStream_tbPNSt15iterator_traitsISL_E10value_typeEPNSR_ISM_E10value_typeEPSN_NS1_7vsmem_tEENKUlT_SL_SM_SN_E_clIS8_S8_S9_S9_EESK_S10_SL_SM_SN_EUlS10_E0_NS1_11comp_targetILNS1_3genE3ELNS1_11target_archE908ELNS1_3gpuE7ELNS1_3repE0EEENS1_38merge_mergepath_config_static_selectorELNS0_4arch9wavefront6targetE0EEEvSM_
	.p2align	8
	.type	_ZN7rocprim17ROCPRIM_400000_NS6detail17trampoline_kernelINS0_14default_configENS1_38merge_sort_block_merge_config_selectorIlNS0_10empty_typeEEEZZNS1_27merge_sort_block_merge_implIS3_PlPS5_mZN2at6native12_GLOBAL__N_124unique_dim_cuda_templateIbEESt5tupleIJNSA_6TensorESF_SF_EERKSF_lbbbEUlllE_EE10hipError_tT0_T1_T2_jT3_P12ihipStream_tbPNSt15iterator_traitsISL_E10value_typeEPNSR_ISM_E10value_typeEPSN_NS1_7vsmem_tEENKUlT_SL_SM_SN_E_clIS8_S8_S9_S9_EESK_S10_SL_SM_SN_EUlS10_E0_NS1_11comp_targetILNS1_3genE3ELNS1_11target_archE908ELNS1_3gpuE7ELNS1_3repE0EEENS1_38merge_mergepath_config_static_selectorELNS0_4arch9wavefront6targetE0EEEvSM_,@function
_ZN7rocprim17ROCPRIM_400000_NS6detail17trampoline_kernelINS0_14default_configENS1_38merge_sort_block_merge_config_selectorIlNS0_10empty_typeEEEZZNS1_27merge_sort_block_merge_implIS3_PlPS5_mZN2at6native12_GLOBAL__N_124unique_dim_cuda_templateIbEESt5tupleIJNSA_6TensorESF_SF_EERKSF_lbbbEUlllE_EE10hipError_tT0_T1_T2_jT3_P12ihipStream_tbPNSt15iterator_traitsISL_E10value_typeEPNSR_ISM_E10value_typeEPSN_NS1_7vsmem_tEENKUlT_SL_SM_SN_E_clIS8_S8_S9_S9_EESK_S10_SL_SM_SN_EUlS10_E0_NS1_11comp_targetILNS1_3genE3ELNS1_11target_archE908ELNS1_3gpuE7ELNS1_3repE0EEENS1_38merge_mergepath_config_static_selectorELNS0_4arch9wavefront6targetE0EEEvSM_: ; @_ZN7rocprim17ROCPRIM_400000_NS6detail17trampoline_kernelINS0_14default_configENS1_38merge_sort_block_merge_config_selectorIlNS0_10empty_typeEEEZZNS1_27merge_sort_block_merge_implIS3_PlPS5_mZN2at6native12_GLOBAL__N_124unique_dim_cuda_templateIbEESt5tupleIJNSA_6TensorESF_SF_EERKSF_lbbbEUlllE_EE10hipError_tT0_T1_T2_jT3_P12ihipStream_tbPNSt15iterator_traitsISL_E10value_typeEPNSR_ISM_E10value_typeEPSN_NS1_7vsmem_tEENKUlT_SL_SM_SN_E_clIS8_S8_S9_S9_EESK_S10_SL_SM_SN_EUlS10_E0_NS1_11comp_targetILNS1_3genE3ELNS1_11target_archE908ELNS1_3gpuE7ELNS1_3repE0EEENS1_38merge_mergepath_config_static_selectorELNS0_4arch9wavefront6targetE0EEEvSM_
; %bb.0:
	.section	.rodata,"a",@progbits
	.p2align	6, 0x0
	.amdhsa_kernel _ZN7rocprim17ROCPRIM_400000_NS6detail17trampoline_kernelINS0_14default_configENS1_38merge_sort_block_merge_config_selectorIlNS0_10empty_typeEEEZZNS1_27merge_sort_block_merge_implIS3_PlPS5_mZN2at6native12_GLOBAL__N_124unique_dim_cuda_templateIbEESt5tupleIJNSA_6TensorESF_SF_EERKSF_lbbbEUlllE_EE10hipError_tT0_T1_T2_jT3_P12ihipStream_tbPNSt15iterator_traitsISL_E10value_typeEPNSR_ISM_E10value_typeEPSN_NS1_7vsmem_tEENKUlT_SL_SM_SN_E_clIS8_S8_S9_S9_EESK_S10_SL_SM_SN_EUlS10_E0_NS1_11comp_targetILNS1_3genE3ELNS1_11target_archE908ELNS1_3gpuE7ELNS1_3repE0EEENS1_38merge_mergepath_config_static_selectorELNS0_4arch9wavefront6targetE0EEEvSM_
		.amdhsa_group_segment_fixed_size 0
		.amdhsa_private_segment_fixed_size 0
		.amdhsa_kernarg_size 88
		.amdhsa_user_sgpr_count 2
		.amdhsa_user_sgpr_dispatch_ptr 0
		.amdhsa_user_sgpr_queue_ptr 0
		.amdhsa_user_sgpr_kernarg_segment_ptr 1
		.amdhsa_user_sgpr_dispatch_id 0
		.amdhsa_user_sgpr_kernarg_preload_length 0
		.amdhsa_user_sgpr_kernarg_preload_offset 0
		.amdhsa_user_sgpr_private_segment_size 0
		.amdhsa_wavefront_size32 1
		.amdhsa_uses_dynamic_stack 0
		.amdhsa_enable_private_segment 0
		.amdhsa_system_sgpr_workgroup_id_x 1
		.amdhsa_system_sgpr_workgroup_id_y 0
		.amdhsa_system_sgpr_workgroup_id_z 0
		.amdhsa_system_sgpr_workgroup_info 0
		.amdhsa_system_vgpr_workitem_id 0
		.amdhsa_next_free_vgpr 1
		.amdhsa_next_free_sgpr 1
		.amdhsa_named_barrier_count 0
		.amdhsa_reserve_vcc 0
		.amdhsa_float_round_mode_32 0
		.amdhsa_float_round_mode_16_64 0
		.amdhsa_float_denorm_mode_32 3
		.amdhsa_float_denorm_mode_16_64 3
		.amdhsa_fp16_overflow 0
		.amdhsa_memory_ordered 1
		.amdhsa_forward_progress 1
		.amdhsa_inst_pref_size 0
		.amdhsa_round_robin_scheduling 0
		.amdhsa_exception_fp_ieee_invalid_op 0
		.amdhsa_exception_fp_denorm_src 0
		.amdhsa_exception_fp_ieee_div_zero 0
		.amdhsa_exception_fp_ieee_overflow 0
		.amdhsa_exception_fp_ieee_underflow 0
		.amdhsa_exception_fp_ieee_inexact 0
		.amdhsa_exception_int_div_zero 0
	.end_amdhsa_kernel
	.section	.text._ZN7rocprim17ROCPRIM_400000_NS6detail17trampoline_kernelINS0_14default_configENS1_38merge_sort_block_merge_config_selectorIlNS0_10empty_typeEEEZZNS1_27merge_sort_block_merge_implIS3_PlPS5_mZN2at6native12_GLOBAL__N_124unique_dim_cuda_templateIbEESt5tupleIJNSA_6TensorESF_SF_EERKSF_lbbbEUlllE_EE10hipError_tT0_T1_T2_jT3_P12ihipStream_tbPNSt15iterator_traitsISL_E10value_typeEPNSR_ISM_E10value_typeEPSN_NS1_7vsmem_tEENKUlT_SL_SM_SN_E_clIS8_S8_S9_S9_EESK_S10_SL_SM_SN_EUlS10_E0_NS1_11comp_targetILNS1_3genE3ELNS1_11target_archE908ELNS1_3gpuE7ELNS1_3repE0EEENS1_38merge_mergepath_config_static_selectorELNS0_4arch9wavefront6targetE0EEEvSM_,"axG",@progbits,_ZN7rocprim17ROCPRIM_400000_NS6detail17trampoline_kernelINS0_14default_configENS1_38merge_sort_block_merge_config_selectorIlNS0_10empty_typeEEEZZNS1_27merge_sort_block_merge_implIS3_PlPS5_mZN2at6native12_GLOBAL__N_124unique_dim_cuda_templateIbEESt5tupleIJNSA_6TensorESF_SF_EERKSF_lbbbEUlllE_EE10hipError_tT0_T1_T2_jT3_P12ihipStream_tbPNSt15iterator_traitsISL_E10value_typeEPNSR_ISM_E10value_typeEPSN_NS1_7vsmem_tEENKUlT_SL_SM_SN_E_clIS8_S8_S9_S9_EESK_S10_SL_SM_SN_EUlS10_E0_NS1_11comp_targetILNS1_3genE3ELNS1_11target_archE908ELNS1_3gpuE7ELNS1_3repE0EEENS1_38merge_mergepath_config_static_selectorELNS0_4arch9wavefront6targetE0EEEvSM_,comdat
.Lfunc_end1014:
	.size	_ZN7rocprim17ROCPRIM_400000_NS6detail17trampoline_kernelINS0_14default_configENS1_38merge_sort_block_merge_config_selectorIlNS0_10empty_typeEEEZZNS1_27merge_sort_block_merge_implIS3_PlPS5_mZN2at6native12_GLOBAL__N_124unique_dim_cuda_templateIbEESt5tupleIJNSA_6TensorESF_SF_EERKSF_lbbbEUlllE_EE10hipError_tT0_T1_T2_jT3_P12ihipStream_tbPNSt15iterator_traitsISL_E10value_typeEPNSR_ISM_E10value_typeEPSN_NS1_7vsmem_tEENKUlT_SL_SM_SN_E_clIS8_S8_S9_S9_EESK_S10_SL_SM_SN_EUlS10_E0_NS1_11comp_targetILNS1_3genE3ELNS1_11target_archE908ELNS1_3gpuE7ELNS1_3repE0EEENS1_38merge_mergepath_config_static_selectorELNS0_4arch9wavefront6targetE0EEEvSM_, .Lfunc_end1014-_ZN7rocprim17ROCPRIM_400000_NS6detail17trampoline_kernelINS0_14default_configENS1_38merge_sort_block_merge_config_selectorIlNS0_10empty_typeEEEZZNS1_27merge_sort_block_merge_implIS3_PlPS5_mZN2at6native12_GLOBAL__N_124unique_dim_cuda_templateIbEESt5tupleIJNSA_6TensorESF_SF_EERKSF_lbbbEUlllE_EE10hipError_tT0_T1_T2_jT3_P12ihipStream_tbPNSt15iterator_traitsISL_E10value_typeEPNSR_ISM_E10value_typeEPSN_NS1_7vsmem_tEENKUlT_SL_SM_SN_E_clIS8_S8_S9_S9_EESK_S10_SL_SM_SN_EUlS10_E0_NS1_11comp_targetILNS1_3genE3ELNS1_11target_archE908ELNS1_3gpuE7ELNS1_3repE0EEENS1_38merge_mergepath_config_static_selectorELNS0_4arch9wavefront6targetE0EEEvSM_
                                        ; -- End function
	.set _ZN7rocprim17ROCPRIM_400000_NS6detail17trampoline_kernelINS0_14default_configENS1_38merge_sort_block_merge_config_selectorIlNS0_10empty_typeEEEZZNS1_27merge_sort_block_merge_implIS3_PlPS5_mZN2at6native12_GLOBAL__N_124unique_dim_cuda_templateIbEESt5tupleIJNSA_6TensorESF_SF_EERKSF_lbbbEUlllE_EE10hipError_tT0_T1_T2_jT3_P12ihipStream_tbPNSt15iterator_traitsISL_E10value_typeEPNSR_ISM_E10value_typeEPSN_NS1_7vsmem_tEENKUlT_SL_SM_SN_E_clIS8_S8_S9_S9_EESK_S10_SL_SM_SN_EUlS10_E0_NS1_11comp_targetILNS1_3genE3ELNS1_11target_archE908ELNS1_3gpuE7ELNS1_3repE0EEENS1_38merge_mergepath_config_static_selectorELNS0_4arch9wavefront6targetE0EEEvSM_.num_vgpr, 0
	.set _ZN7rocprim17ROCPRIM_400000_NS6detail17trampoline_kernelINS0_14default_configENS1_38merge_sort_block_merge_config_selectorIlNS0_10empty_typeEEEZZNS1_27merge_sort_block_merge_implIS3_PlPS5_mZN2at6native12_GLOBAL__N_124unique_dim_cuda_templateIbEESt5tupleIJNSA_6TensorESF_SF_EERKSF_lbbbEUlllE_EE10hipError_tT0_T1_T2_jT3_P12ihipStream_tbPNSt15iterator_traitsISL_E10value_typeEPNSR_ISM_E10value_typeEPSN_NS1_7vsmem_tEENKUlT_SL_SM_SN_E_clIS8_S8_S9_S9_EESK_S10_SL_SM_SN_EUlS10_E0_NS1_11comp_targetILNS1_3genE3ELNS1_11target_archE908ELNS1_3gpuE7ELNS1_3repE0EEENS1_38merge_mergepath_config_static_selectorELNS0_4arch9wavefront6targetE0EEEvSM_.num_agpr, 0
	.set _ZN7rocprim17ROCPRIM_400000_NS6detail17trampoline_kernelINS0_14default_configENS1_38merge_sort_block_merge_config_selectorIlNS0_10empty_typeEEEZZNS1_27merge_sort_block_merge_implIS3_PlPS5_mZN2at6native12_GLOBAL__N_124unique_dim_cuda_templateIbEESt5tupleIJNSA_6TensorESF_SF_EERKSF_lbbbEUlllE_EE10hipError_tT0_T1_T2_jT3_P12ihipStream_tbPNSt15iterator_traitsISL_E10value_typeEPNSR_ISM_E10value_typeEPSN_NS1_7vsmem_tEENKUlT_SL_SM_SN_E_clIS8_S8_S9_S9_EESK_S10_SL_SM_SN_EUlS10_E0_NS1_11comp_targetILNS1_3genE3ELNS1_11target_archE908ELNS1_3gpuE7ELNS1_3repE0EEENS1_38merge_mergepath_config_static_selectorELNS0_4arch9wavefront6targetE0EEEvSM_.numbered_sgpr, 0
	.set _ZN7rocprim17ROCPRIM_400000_NS6detail17trampoline_kernelINS0_14default_configENS1_38merge_sort_block_merge_config_selectorIlNS0_10empty_typeEEEZZNS1_27merge_sort_block_merge_implIS3_PlPS5_mZN2at6native12_GLOBAL__N_124unique_dim_cuda_templateIbEESt5tupleIJNSA_6TensorESF_SF_EERKSF_lbbbEUlllE_EE10hipError_tT0_T1_T2_jT3_P12ihipStream_tbPNSt15iterator_traitsISL_E10value_typeEPNSR_ISM_E10value_typeEPSN_NS1_7vsmem_tEENKUlT_SL_SM_SN_E_clIS8_S8_S9_S9_EESK_S10_SL_SM_SN_EUlS10_E0_NS1_11comp_targetILNS1_3genE3ELNS1_11target_archE908ELNS1_3gpuE7ELNS1_3repE0EEENS1_38merge_mergepath_config_static_selectorELNS0_4arch9wavefront6targetE0EEEvSM_.num_named_barrier, 0
	.set _ZN7rocprim17ROCPRIM_400000_NS6detail17trampoline_kernelINS0_14default_configENS1_38merge_sort_block_merge_config_selectorIlNS0_10empty_typeEEEZZNS1_27merge_sort_block_merge_implIS3_PlPS5_mZN2at6native12_GLOBAL__N_124unique_dim_cuda_templateIbEESt5tupleIJNSA_6TensorESF_SF_EERKSF_lbbbEUlllE_EE10hipError_tT0_T1_T2_jT3_P12ihipStream_tbPNSt15iterator_traitsISL_E10value_typeEPNSR_ISM_E10value_typeEPSN_NS1_7vsmem_tEENKUlT_SL_SM_SN_E_clIS8_S8_S9_S9_EESK_S10_SL_SM_SN_EUlS10_E0_NS1_11comp_targetILNS1_3genE3ELNS1_11target_archE908ELNS1_3gpuE7ELNS1_3repE0EEENS1_38merge_mergepath_config_static_selectorELNS0_4arch9wavefront6targetE0EEEvSM_.private_seg_size, 0
	.set _ZN7rocprim17ROCPRIM_400000_NS6detail17trampoline_kernelINS0_14default_configENS1_38merge_sort_block_merge_config_selectorIlNS0_10empty_typeEEEZZNS1_27merge_sort_block_merge_implIS3_PlPS5_mZN2at6native12_GLOBAL__N_124unique_dim_cuda_templateIbEESt5tupleIJNSA_6TensorESF_SF_EERKSF_lbbbEUlllE_EE10hipError_tT0_T1_T2_jT3_P12ihipStream_tbPNSt15iterator_traitsISL_E10value_typeEPNSR_ISM_E10value_typeEPSN_NS1_7vsmem_tEENKUlT_SL_SM_SN_E_clIS8_S8_S9_S9_EESK_S10_SL_SM_SN_EUlS10_E0_NS1_11comp_targetILNS1_3genE3ELNS1_11target_archE908ELNS1_3gpuE7ELNS1_3repE0EEENS1_38merge_mergepath_config_static_selectorELNS0_4arch9wavefront6targetE0EEEvSM_.uses_vcc, 0
	.set _ZN7rocprim17ROCPRIM_400000_NS6detail17trampoline_kernelINS0_14default_configENS1_38merge_sort_block_merge_config_selectorIlNS0_10empty_typeEEEZZNS1_27merge_sort_block_merge_implIS3_PlPS5_mZN2at6native12_GLOBAL__N_124unique_dim_cuda_templateIbEESt5tupleIJNSA_6TensorESF_SF_EERKSF_lbbbEUlllE_EE10hipError_tT0_T1_T2_jT3_P12ihipStream_tbPNSt15iterator_traitsISL_E10value_typeEPNSR_ISM_E10value_typeEPSN_NS1_7vsmem_tEENKUlT_SL_SM_SN_E_clIS8_S8_S9_S9_EESK_S10_SL_SM_SN_EUlS10_E0_NS1_11comp_targetILNS1_3genE3ELNS1_11target_archE908ELNS1_3gpuE7ELNS1_3repE0EEENS1_38merge_mergepath_config_static_selectorELNS0_4arch9wavefront6targetE0EEEvSM_.uses_flat_scratch, 0
	.set _ZN7rocprim17ROCPRIM_400000_NS6detail17trampoline_kernelINS0_14default_configENS1_38merge_sort_block_merge_config_selectorIlNS0_10empty_typeEEEZZNS1_27merge_sort_block_merge_implIS3_PlPS5_mZN2at6native12_GLOBAL__N_124unique_dim_cuda_templateIbEESt5tupleIJNSA_6TensorESF_SF_EERKSF_lbbbEUlllE_EE10hipError_tT0_T1_T2_jT3_P12ihipStream_tbPNSt15iterator_traitsISL_E10value_typeEPNSR_ISM_E10value_typeEPSN_NS1_7vsmem_tEENKUlT_SL_SM_SN_E_clIS8_S8_S9_S9_EESK_S10_SL_SM_SN_EUlS10_E0_NS1_11comp_targetILNS1_3genE3ELNS1_11target_archE908ELNS1_3gpuE7ELNS1_3repE0EEENS1_38merge_mergepath_config_static_selectorELNS0_4arch9wavefront6targetE0EEEvSM_.has_dyn_sized_stack, 0
	.set _ZN7rocprim17ROCPRIM_400000_NS6detail17trampoline_kernelINS0_14default_configENS1_38merge_sort_block_merge_config_selectorIlNS0_10empty_typeEEEZZNS1_27merge_sort_block_merge_implIS3_PlPS5_mZN2at6native12_GLOBAL__N_124unique_dim_cuda_templateIbEESt5tupleIJNSA_6TensorESF_SF_EERKSF_lbbbEUlllE_EE10hipError_tT0_T1_T2_jT3_P12ihipStream_tbPNSt15iterator_traitsISL_E10value_typeEPNSR_ISM_E10value_typeEPSN_NS1_7vsmem_tEENKUlT_SL_SM_SN_E_clIS8_S8_S9_S9_EESK_S10_SL_SM_SN_EUlS10_E0_NS1_11comp_targetILNS1_3genE3ELNS1_11target_archE908ELNS1_3gpuE7ELNS1_3repE0EEENS1_38merge_mergepath_config_static_selectorELNS0_4arch9wavefront6targetE0EEEvSM_.has_recursion, 0
	.set _ZN7rocprim17ROCPRIM_400000_NS6detail17trampoline_kernelINS0_14default_configENS1_38merge_sort_block_merge_config_selectorIlNS0_10empty_typeEEEZZNS1_27merge_sort_block_merge_implIS3_PlPS5_mZN2at6native12_GLOBAL__N_124unique_dim_cuda_templateIbEESt5tupleIJNSA_6TensorESF_SF_EERKSF_lbbbEUlllE_EE10hipError_tT0_T1_T2_jT3_P12ihipStream_tbPNSt15iterator_traitsISL_E10value_typeEPNSR_ISM_E10value_typeEPSN_NS1_7vsmem_tEENKUlT_SL_SM_SN_E_clIS8_S8_S9_S9_EESK_S10_SL_SM_SN_EUlS10_E0_NS1_11comp_targetILNS1_3genE3ELNS1_11target_archE908ELNS1_3gpuE7ELNS1_3repE0EEENS1_38merge_mergepath_config_static_selectorELNS0_4arch9wavefront6targetE0EEEvSM_.has_indirect_call, 0
	.section	.AMDGPU.csdata,"",@progbits
; Kernel info:
; codeLenInByte = 0
; TotalNumSgprs: 0
; NumVgprs: 0
; ScratchSize: 0
; MemoryBound: 0
; FloatMode: 240
; IeeeMode: 1
; LDSByteSize: 0 bytes/workgroup (compile time only)
; SGPRBlocks: 0
; VGPRBlocks: 0
; NumSGPRsForWavesPerEU: 1
; NumVGPRsForWavesPerEU: 1
; NamedBarCnt: 0
; Occupancy: 16
; WaveLimiterHint : 0
; COMPUTE_PGM_RSRC2:SCRATCH_EN: 0
; COMPUTE_PGM_RSRC2:USER_SGPR: 2
; COMPUTE_PGM_RSRC2:TRAP_HANDLER: 0
; COMPUTE_PGM_RSRC2:TGID_X_EN: 1
; COMPUTE_PGM_RSRC2:TGID_Y_EN: 0
; COMPUTE_PGM_RSRC2:TGID_Z_EN: 0
; COMPUTE_PGM_RSRC2:TIDIG_COMP_CNT: 0
	.section	.text._ZN7rocprim17ROCPRIM_400000_NS6detail17trampoline_kernelINS0_14default_configENS1_38merge_sort_block_merge_config_selectorIlNS0_10empty_typeEEEZZNS1_27merge_sort_block_merge_implIS3_PlPS5_mZN2at6native12_GLOBAL__N_124unique_dim_cuda_templateIbEESt5tupleIJNSA_6TensorESF_SF_EERKSF_lbbbEUlllE_EE10hipError_tT0_T1_T2_jT3_P12ihipStream_tbPNSt15iterator_traitsISL_E10value_typeEPNSR_ISM_E10value_typeEPSN_NS1_7vsmem_tEENKUlT_SL_SM_SN_E_clIS8_S8_S9_S9_EESK_S10_SL_SM_SN_EUlS10_E0_NS1_11comp_targetILNS1_3genE2ELNS1_11target_archE906ELNS1_3gpuE6ELNS1_3repE0EEENS1_38merge_mergepath_config_static_selectorELNS0_4arch9wavefront6targetE0EEEvSM_,"axG",@progbits,_ZN7rocprim17ROCPRIM_400000_NS6detail17trampoline_kernelINS0_14default_configENS1_38merge_sort_block_merge_config_selectorIlNS0_10empty_typeEEEZZNS1_27merge_sort_block_merge_implIS3_PlPS5_mZN2at6native12_GLOBAL__N_124unique_dim_cuda_templateIbEESt5tupleIJNSA_6TensorESF_SF_EERKSF_lbbbEUlllE_EE10hipError_tT0_T1_T2_jT3_P12ihipStream_tbPNSt15iterator_traitsISL_E10value_typeEPNSR_ISM_E10value_typeEPSN_NS1_7vsmem_tEENKUlT_SL_SM_SN_E_clIS8_S8_S9_S9_EESK_S10_SL_SM_SN_EUlS10_E0_NS1_11comp_targetILNS1_3genE2ELNS1_11target_archE906ELNS1_3gpuE6ELNS1_3repE0EEENS1_38merge_mergepath_config_static_selectorELNS0_4arch9wavefront6targetE0EEEvSM_,comdat
	.globl	_ZN7rocprim17ROCPRIM_400000_NS6detail17trampoline_kernelINS0_14default_configENS1_38merge_sort_block_merge_config_selectorIlNS0_10empty_typeEEEZZNS1_27merge_sort_block_merge_implIS3_PlPS5_mZN2at6native12_GLOBAL__N_124unique_dim_cuda_templateIbEESt5tupleIJNSA_6TensorESF_SF_EERKSF_lbbbEUlllE_EE10hipError_tT0_T1_T2_jT3_P12ihipStream_tbPNSt15iterator_traitsISL_E10value_typeEPNSR_ISM_E10value_typeEPSN_NS1_7vsmem_tEENKUlT_SL_SM_SN_E_clIS8_S8_S9_S9_EESK_S10_SL_SM_SN_EUlS10_E0_NS1_11comp_targetILNS1_3genE2ELNS1_11target_archE906ELNS1_3gpuE6ELNS1_3repE0EEENS1_38merge_mergepath_config_static_selectorELNS0_4arch9wavefront6targetE0EEEvSM_ ; -- Begin function _ZN7rocprim17ROCPRIM_400000_NS6detail17trampoline_kernelINS0_14default_configENS1_38merge_sort_block_merge_config_selectorIlNS0_10empty_typeEEEZZNS1_27merge_sort_block_merge_implIS3_PlPS5_mZN2at6native12_GLOBAL__N_124unique_dim_cuda_templateIbEESt5tupleIJNSA_6TensorESF_SF_EERKSF_lbbbEUlllE_EE10hipError_tT0_T1_T2_jT3_P12ihipStream_tbPNSt15iterator_traitsISL_E10value_typeEPNSR_ISM_E10value_typeEPSN_NS1_7vsmem_tEENKUlT_SL_SM_SN_E_clIS8_S8_S9_S9_EESK_S10_SL_SM_SN_EUlS10_E0_NS1_11comp_targetILNS1_3genE2ELNS1_11target_archE906ELNS1_3gpuE6ELNS1_3repE0EEENS1_38merge_mergepath_config_static_selectorELNS0_4arch9wavefront6targetE0EEEvSM_
	.p2align	8
	.type	_ZN7rocprim17ROCPRIM_400000_NS6detail17trampoline_kernelINS0_14default_configENS1_38merge_sort_block_merge_config_selectorIlNS0_10empty_typeEEEZZNS1_27merge_sort_block_merge_implIS3_PlPS5_mZN2at6native12_GLOBAL__N_124unique_dim_cuda_templateIbEESt5tupleIJNSA_6TensorESF_SF_EERKSF_lbbbEUlllE_EE10hipError_tT0_T1_T2_jT3_P12ihipStream_tbPNSt15iterator_traitsISL_E10value_typeEPNSR_ISM_E10value_typeEPSN_NS1_7vsmem_tEENKUlT_SL_SM_SN_E_clIS8_S8_S9_S9_EESK_S10_SL_SM_SN_EUlS10_E0_NS1_11comp_targetILNS1_3genE2ELNS1_11target_archE906ELNS1_3gpuE6ELNS1_3repE0EEENS1_38merge_mergepath_config_static_selectorELNS0_4arch9wavefront6targetE0EEEvSM_,@function
_ZN7rocprim17ROCPRIM_400000_NS6detail17trampoline_kernelINS0_14default_configENS1_38merge_sort_block_merge_config_selectorIlNS0_10empty_typeEEEZZNS1_27merge_sort_block_merge_implIS3_PlPS5_mZN2at6native12_GLOBAL__N_124unique_dim_cuda_templateIbEESt5tupleIJNSA_6TensorESF_SF_EERKSF_lbbbEUlllE_EE10hipError_tT0_T1_T2_jT3_P12ihipStream_tbPNSt15iterator_traitsISL_E10value_typeEPNSR_ISM_E10value_typeEPSN_NS1_7vsmem_tEENKUlT_SL_SM_SN_E_clIS8_S8_S9_S9_EESK_S10_SL_SM_SN_EUlS10_E0_NS1_11comp_targetILNS1_3genE2ELNS1_11target_archE906ELNS1_3gpuE6ELNS1_3repE0EEENS1_38merge_mergepath_config_static_selectorELNS0_4arch9wavefront6targetE0EEEvSM_: ; @_ZN7rocprim17ROCPRIM_400000_NS6detail17trampoline_kernelINS0_14default_configENS1_38merge_sort_block_merge_config_selectorIlNS0_10empty_typeEEEZZNS1_27merge_sort_block_merge_implIS3_PlPS5_mZN2at6native12_GLOBAL__N_124unique_dim_cuda_templateIbEESt5tupleIJNSA_6TensorESF_SF_EERKSF_lbbbEUlllE_EE10hipError_tT0_T1_T2_jT3_P12ihipStream_tbPNSt15iterator_traitsISL_E10value_typeEPNSR_ISM_E10value_typeEPSN_NS1_7vsmem_tEENKUlT_SL_SM_SN_E_clIS8_S8_S9_S9_EESK_S10_SL_SM_SN_EUlS10_E0_NS1_11comp_targetILNS1_3genE2ELNS1_11target_archE906ELNS1_3gpuE6ELNS1_3repE0EEENS1_38merge_mergepath_config_static_selectorELNS0_4arch9wavefront6targetE0EEEvSM_
; %bb.0:
	.section	.rodata,"a",@progbits
	.p2align	6, 0x0
	.amdhsa_kernel _ZN7rocprim17ROCPRIM_400000_NS6detail17trampoline_kernelINS0_14default_configENS1_38merge_sort_block_merge_config_selectorIlNS0_10empty_typeEEEZZNS1_27merge_sort_block_merge_implIS3_PlPS5_mZN2at6native12_GLOBAL__N_124unique_dim_cuda_templateIbEESt5tupleIJNSA_6TensorESF_SF_EERKSF_lbbbEUlllE_EE10hipError_tT0_T1_T2_jT3_P12ihipStream_tbPNSt15iterator_traitsISL_E10value_typeEPNSR_ISM_E10value_typeEPSN_NS1_7vsmem_tEENKUlT_SL_SM_SN_E_clIS8_S8_S9_S9_EESK_S10_SL_SM_SN_EUlS10_E0_NS1_11comp_targetILNS1_3genE2ELNS1_11target_archE906ELNS1_3gpuE6ELNS1_3repE0EEENS1_38merge_mergepath_config_static_selectorELNS0_4arch9wavefront6targetE0EEEvSM_
		.amdhsa_group_segment_fixed_size 0
		.amdhsa_private_segment_fixed_size 0
		.amdhsa_kernarg_size 88
		.amdhsa_user_sgpr_count 2
		.amdhsa_user_sgpr_dispatch_ptr 0
		.amdhsa_user_sgpr_queue_ptr 0
		.amdhsa_user_sgpr_kernarg_segment_ptr 1
		.amdhsa_user_sgpr_dispatch_id 0
		.amdhsa_user_sgpr_kernarg_preload_length 0
		.amdhsa_user_sgpr_kernarg_preload_offset 0
		.amdhsa_user_sgpr_private_segment_size 0
		.amdhsa_wavefront_size32 1
		.amdhsa_uses_dynamic_stack 0
		.amdhsa_enable_private_segment 0
		.amdhsa_system_sgpr_workgroup_id_x 1
		.amdhsa_system_sgpr_workgroup_id_y 0
		.amdhsa_system_sgpr_workgroup_id_z 0
		.amdhsa_system_sgpr_workgroup_info 0
		.amdhsa_system_vgpr_workitem_id 0
		.amdhsa_next_free_vgpr 1
		.amdhsa_next_free_sgpr 1
		.amdhsa_named_barrier_count 0
		.amdhsa_reserve_vcc 0
		.amdhsa_float_round_mode_32 0
		.amdhsa_float_round_mode_16_64 0
		.amdhsa_float_denorm_mode_32 3
		.amdhsa_float_denorm_mode_16_64 3
		.amdhsa_fp16_overflow 0
		.amdhsa_memory_ordered 1
		.amdhsa_forward_progress 1
		.amdhsa_inst_pref_size 0
		.amdhsa_round_robin_scheduling 0
		.amdhsa_exception_fp_ieee_invalid_op 0
		.amdhsa_exception_fp_denorm_src 0
		.amdhsa_exception_fp_ieee_div_zero 0
		.amdhsa_exception_fp_ieee_overflow 0
		.amdhsa_exception_fp_ieee_underflow 0
		.amdhsa_exception_fp_ieee_inexact 0
		.amdhsa_exception_int_div_zero 0
	.end_amdhsa_kernel
	.section	.text._ZN7rocprim17ROCPRIM_400000_NS6detail17trampoline_kernelINS0_14default_configENS1_38merge_sort_block_merge_config_selectorIlNS0_10empty_typeEEEZZNS1_27merge_sort_block_merge_implIS3_PlPS5_mZN2at6native12_GLOBAL__N_124unique_dim_cuda_templateIbEESt5tupleIJNSA_6TensorESF_SF_EERKSF_lbbbEUlllE_EE10hipError_tT0_T1_T2_jT3_P12ihipStream_tbPNSt15iterator_traitsISL_E10value_typeEPNSR_ISM_E10value_typeEPSN_NS1_7vsmem_tEENKUlT_SL_SM_SN_E_clIS8_S8_S9_S9_EESK_S10_SL_SM_SN_EUlS10_E0_NS1_11comp_targetILNS1_3genE2ELNS1_11target_archE906ELNS1_3gpuE6ELNS1_3repE0EEENS1_38merge_mergepath_config_static_selectorELNS0_4arch9wavefront6targetE0EEEvSM_,"axG",@progbits,_ZN7rocprim17ROCPRIM_400000_NS6detail17trampoline_kernelINS0_14default_configENS1_38merge_sort_block_merge_config_selectorIlNS0_10empty_typeEEEZZNS1_27merge_sort_block_merge_implIS3_PlPS5_mZN2at6native12_GLOBAL__N_124unique_dim_cuda_templateIbEESt5tupleIJNSA_6TensorESF_SF_EERKSF_lbbbEUlllE_EE10hipError_tT0_T1_T2_jT3_P12ihipStream_tbPNSt15iterator_traitsISL_E10value_typeEPNSR_ISM_E10value_typeEPSN_NS1_7vsmem_tEENKUlT_SL_SM_SN_E_clIS8_S8_S9_S9_EESK_S10_SL_SM_SN_EUlS10_E0_NS1_11comp_targetILNS1_3genE2ELNS1_11target_archE906ELNS1_3gpuE6ELNS1_3repE0EEENS1_38merge_mergepath_config_static_selectorELNS0_4arch9wavefront6targetE0EEEvSM_,comdat
.Lfunc_end1015:
	.size	_ZN7rocprim17ROCPRIM_400000_NS6detail17trampoline_kernelINS0_14default_configENS1_38merge_sort_block_merge_config_selectorIlNS0_10empty_typeEEEZZNS1_27merge_sort_block_merge_implIS3_PlPS5_mZN2at6native12_GLOBAL__N_124unique_dim_cuda_templateIbEESt5tupleIJNSA_6TensorESF_SF_EERKSF_lbbbEUlllE_EE10hipError_tT0_T1_T2_jT3_P12ihipStream_tbPNSt15iterator_traitsISL_E10value_typeEPNSR_ISM_E10value_typeEPSN_NS1_7vsmem_tEENKUlT_SL_SM_SN_E_clIS8_S8_S9_S9_EESK_S10_SL_SM_SN_EUlS10_E0_NS1_11comp_targetILNS1_3genE2ELNS1_11target_archE906ELNS1_3gpuE6ELNS1_3repE0EEENS1_38merge_mergepath_config_static_selectorELNS0_4arch9wavefront6targetE0EEEvSM_, .Lfunc_end1015-_ZN7rocprim17ROCPRIM_400000_NS6detail17trampoline_kernelINS0_14default_configENS1_38merge_sort_block_merge_config_selectorIlNS0_10empty_typeEEEZZNS1_27merge_sort_block_merge_implIS3_PlPS5_mZN2at6native12_GLOBAL__N_124unique_dim_cuda_templateIbEESt5tupleIJNSA_6TensorESF_SF_EERKSF_lbbbEUlllE_EE10hipError_tT0_T1_T2_jT3_P12ihipStream_tbPNSt15iterator_traitsISL_E10value_typeEPNSR_ISM_E10value_typeEPSN_NS1_7vsmem_tEENKUlT_SL_SM_SN_E_clIS8_S8_S9_S9_EESK_S10_SL_SM_SN_EUlS10_E0_NS1_11comp_targetILNS1_3genE2ELNS1_11target_archE906ELNS1_3gpuE6ELNS1_3repE0EEENS1_38merge_mergepath_config_static_selectorELNS0_4arch9wavefront6targetE0EEEvSM_
                                        ; -- End function
	.set _ZN7rocprim17ROCPRIM_400000_NS6detail17trampoline_kernelINS0_14default_configENS1_38merge_sort_block_merge_config_selectorIlNS0_10empty_typeEEEZZNS1_27merge_sort_block_merge_implIS3_PlPS5_mZN2at6native12_GLOBAL__N_124unique_dim_cuda_templateIbEESt5tupleIJNSA_6TensorESF_SF_EERKSF_lbbbEUlllE_EE10hipError_tT0_T1_T2_jT3_P12ihipStream_tbPNSt15iterator_traitsISL_E10value_typeEPNSR_ISM_E10value_typeEPSN_NS1_7vsmem_tEENKUlT_SL_SM_SN_E_clIS8_S8_S9_S9_EESK_S10_SL_SM_SN_EUlS10_E0_NS1_11comp_targetILNS1_3genE2ELNS1_11target_archE906ELNS1_3gpuE6ELNS1_3repE0EEENS1_38merge_mergepath_config_static_selectorELNS0_4arch9wavefront6targetE0EEEvSM_.num_vgpr, 0
	.set _ZN7rocprim17ROCPRIM_400000_NS6detail17trampoline_kernelINS0_14default_configENS1_38merge_sort_block_merge_config_selectorIlNS0_10empty_typeEEEZZNS1_27merge_sort_block_merge_implIS3_PlPS5_mZN2at6native12_GLOBAL__N_124unique_dim_cuda_templateIbEESt5tupleIJNSA_6TensorESF_SF_EERKSF_lbbbEUlllE_EE10hipError_tT0_T1_T2_jT3_P12ihipStream_tbPNSt15iterator_traitsISL_E10value_typeEPNSR_ISM_E10value_typeEPSN_NS1_7vsmem_tEENKUlT_SL_SM_SN_E_clIS8_S8_S9_S9_EESK_S10_SL_SM_SN_EUlS10_E0_NS1_11comp_targetILNS1_3genE2ELNS1_11target_archE906ELNS1_3gpuE6ELNS1_3repE0EEENS1_38merge_mergepath_config_static_selectorELNS0_4arch9wavefront6targetE0EEEvSM_.num_agpr, 0
	.set _ZN7rocprim17ROCPRIM_400000_NS6detail17trampoline_kernelINS0_14default_configENS1_38merge_sort_block_merge_config_selectorIlNS0_10empty_typeEEEZZNS1_27merge_sort_block_merge_implIS3_PlPS5_mZN2at6native12_GLOBAL__N_124unique_dim_cuda_templateIbEESt5tupleIJNSA_6TensorESF_SF_EERKSF_lbbbEUlllE_EE10hipError_tT0_T1_T2_jT3_P12ihipStream_tbPNSt15iterator_traitsISL_E10value_typeEPNSR_ISM_E10value_typeEPSN_NS1_7vsmem_tEENKUlT_SL_SM_SN_E_clIS8_S8_S9_S9_EESK_S10_SL_SM_SN_EUlS10_E0_NS1_11comp_targetILNS1_3genE2ELNS1_11target_archE906ELNS1_3gpuE6ELNS1_3repE0EEENS1_38merge_mergepath_config_static_selectorELNS0_4arch9wavefront6targetE0EEEvSM_.numbered_sgpr, 0
	.set _ZN7rocprim17ROCPRIM_400000_NS6detail17trampoline_kernelINS0_14default_configENS1_38merge_sort_block_merge_config_selectorIlNS0_10empty_typeEEEZZNS1_27merge_sort_block_merge_implIS3_PlPS5_mZN2at6native12_GLOBAL__N_124unique_dim_cuda_templateIbEESt5tupleIJNSA_6TensorESF_SF_EERKSF_lbbbEUlllE_EE10hipError_tT0_T1_T2_jT3_P12ihipStream_tbPNSt15iterator_traitsISL_E10value_typeEPNSR_ISM_E10value_typeEPSN_NS1_7vsmem_tEENKUlT_SL_SM_SN_E_clIS8_S8_S9_S9_EESK_S10_SL_SM_SN_EUlS10_E0_NS1_11comp_targetILNS1_3genE2ELNS1_11target_archE906ELNS1_3gpuE6ELNS1_3repE0EEENS1_38merge_mergepath_config_static_selectorELNS0_4arch9wavefront6targetE0EEEvSM_.num_named_barrier, 0
	.set _ZN7rocprim17ROCPRIM_400000_NS6detail17trampoline_kernelINS0_14default_configENS1_38merge_sort_block_merge_config_selectorIlNS0_10empty_typeEEEZZNS1_27merge_sort_block_merge_implIS3_PlPS5_mZN2at6native12_GLOBAL__N_124unique_dim_cuda_templateIbEESt5tupleIJNSA_6TensorESF_SF_EERKSF_lbbbEUlllE_EE10hipError_tT0_T1_T2_jT3_P12ihipStream_tbPNSt15iterator_traitsISL_E10value_typeEPNSR_ISM_E10value_typeEPSN_NS1_7vsmem_tEENKUlT_SL_SM_SN_E_clIS8_S8_S9_S9_EESK_S10_SL_SM_SN_EUlS10_E0_NS1_11comp_targetILNS1_3genE2ELNS1_11target_archE906ELNS1_3gpuE6ELNS1_3repE0EEENS1_38merge_mergepath_config_static_selectorELNS0_4arch9wavefront6targetE0EEEvSM_.private_seg_size, 0
	.set _ZN7rocprim17ROCPRIM_400000_NS6detail17trampoline_kernelINS0_14default_configENS1_38merge_sort_block_merge_config_selectorIlNS0_10empty_typeEEEZZNS1_27merge_sort_block_merge_implIS3_PlPS5_mZN2at6native12_GLOBAL__N_124unique_dim_cuda_templateIbEESt5tupleIJNSA_6TensorESF_SF_EERKSF_lbbbEUlllE_EE10hipError_tT0_T1_T2_jT3_P12ihipStream_tbPNSt15iterator_traitsISL_E10value_typeEPNSR_ISM_E10value_typeEPSN_NS1_7vsmem_tEENKUlT_SL_SM_SN_E_clIS8_S8_S9_S9_EESK_S10_SL_SM_SN_EUlS10_E0_NS1_11comp_targetILNS1_3genE2ELNS1_11target_archE906ELNS1_3gpuE6ELNS1_3repE0EEENS1_38merge_mergepath_config_static_selectorELNS0_4arch9wavefront6targetE0EEEvSM_.uses_vcc, 0
	.set _ZN7rocprim17ROCPRIM_400000_NS6detail17trampoline_kernelINS0_14default_configENS1_38merge_sort_block_merge_config_selectorIlNS0_10empty_typeEEEZZNS1_27merge_sort_block_merge_implIS3_PlPS5_mZN2at6native12_GLOBAL__N_124unique_dim_cuda_templateIbEESt5tupleIJNSA_6TensorESF_SF_EERKSF_lbbbEUlllE_EE10hipError_tT0_T1_T2_jT3_P12ihipStream_tbPNSt15iterator_traitsISL_E10value_typeEPNSR_ISM_E10value_typeEPSN_NS1_7vsmem_tEENKUlT_SL_SM_SN_E_clIS8_S8_S9_S9_EESK_S10_SL_SM_SN_EUlS10_E0_NS1_11comp_targetILNS1_3genE2ELNS1_11target_archE906ELNS1_3gpuE6ELNS1_3repE0EEENS1_38merge_mergepath_config_static_selectorELNS0_4arch9wavefront6targetE0EEEvSM_.uses_flat_scratch, 0
	.set _ZN7rocprim17ROCPRIM_400000_NS6detail17trampoline_kernelINS0_14default_configENS1_38merge_sort_block_merge_config_selectorIlNS0_10empty_typeEEEZZNS1_27merge_sort_block_merge_implIS3_PlPS5_mZN2at6native12_GLOBAL__N_124unique_dim_cuda_templateIbEESt5tupleIJNSA_6TensorESF_SF_EERKSF_lbbbEUlllE_EE10hipError_tT0_T1_T2_jT3_P12ihipStream_tbPNSt15iterator_traitsISL_E10value_typeEPNSR_ISM_E10value_typeEPSN_NS1_7vsmem_tEENKUlT_SL_SM_SN_E_clIS8_S8_S9_S9_EESK_S10_SL_SM_SN_EUlS10_E0_NS1_11comp_targetILNS1_3genE2ELNS1_11target_archE906ELNS1_3gpuE6ELNS1_3repE0EEENS1_38merge_mergepath_config_static_selectorELNS0_4arch9wavefront6targetE0EEEvSM_.has_dyn_sized_stack, 0
	.set _ZN7rocprim17ROCPRIM_400000_NS6detail17trampoline_kernelINS0_14default_configENS1_38merge_sort_block_merge_config_selectorIlNS0_10empty_typeEEEZZNS1_27merge_sort_block_merge_implIS3_PlPS5_mZN2at6native12_GLOBAL__N_124unique_dim_cuda_templateIbEESt5tupleIJNSA_6TensorESF_SF_EERKSF_lbbbEUlllE_EE10hipError_tT0_T1_T2_jT3_P12ihipStream_tbPNSt15iterator_traitsISL_E10value_typeEPNSR_ISM_E10value_typeEPSN_NS1_7vsmem_tEENKUlT_SL_SM_SN_E_clIS8_S8_S9_S9_EESK_S10_SL_SM_SN_EUlS10_E0_NS1_11comp_targetILNS1_3genE2ELNS1_11target_archE906ELNS1_3gpuE6ELNS1_3repE0EEENS1_38merge_mergepath_config_static_selectorELNS0_4arch9wavefront6targetE0EEEvSM_.has_recursion, 0
	.set _ZN7rocprim17ROCPRIM_400000_NS6detail17trampoline_kernelINS0_14default_configENS1_38merge_sort_block_merge_config_selectorIlNS0_10empty_typeEEEZZNS1_27merge_sort_block_merge_implIS3_PlPS5_mZN2at6native12_GLOBAL__N_124unique_dim_cuda_templateIbEESt5tupleIJNSA_6TensorESF_SF_EERKSF_lbbbEUlllE_EE10hipError_tT0_T1_T2_jT3_P12ihipStream_tbPNSt15iterator_traitsISL_E10value_typeEPNSR_ISM_E10value_typeEPSN_NS1_7vsmem_tEENKUlT_SL_SM_SN_E_clIS8_S8_S9_S9_EESK_S10_SL_SM_SN_EUlS10_E0_NS1_11comp_targetILNS1_3genE2ELNS1_11target_archE906ELNS1_3gpuE6ELNS1_3repE0EEENS1_38merge_mergepath_config_static_selectorELNS0_4arch9wavefront6targetE0EEEvSM_.has_indirect_call, 0
	.section	.AMDGPU.csdata,"",@progbits
; Kernel info:
; codeLenInByte = 0
; TotalNumSgprs: 0
; NumVgprs: 0
; ScratchSize: 0
; MemoryBound: 0
; FloatMode: 240
; IeeeMode: 1
; LDSByteSize: 0 bytes/workgroup (compile time only)
; SGPRBlocks: 0
; VGPRBlocks: 0
; NumSGPRsForWavesPerEU: 1
; NumVGPRsForWavesPerEU: 1
; NamedBarCnt: 0
; Occupancy: 16
; WaveLimiterHint : 0
; COMPUTE_PGM_RSRC2:SCRATCH_EN: 0
; COMPUTE_PGM_RSRC2:USER_SGPR: 2
; COMPUTE_PGM_RSRC2:TRAP_HANDLER: 0
; COMPUTE_PGM_RSRC2:TGID_X_EN: 1
; COMPUTE_PGM_RSRC2:TGID_Y_EN: 0
; COMPUTE_PGM_RSRC2:TGID_Z_EN: 0
; COMPUTE_PGM_RSRC2:TIDIG_COMP_CNT: 0
	.section	.text._ZN7rocprim17ROCPRIM_400000_NS6detail17trampoline_kernelINS0_14default_configENS1_38merge_sort_block_merge_config_selectorIlNS0_10empty_typeEEEZZNS1_27merge_sort_block_merge_implIS3_PlPS5_mZN2at6native12_GLOBAL__N_124unique_dim_cuda_templateIbEESt5tupleIJNSA_6TensorESF_SF_EERKSF_lbbbEUlllE_EE10hipError_tT0_T1_T2_jT3_P12ihipStream_tbPNSt15iterator_traitsISL_E10value_typeEPNSR_ISM_E10value_typeEPSN_NS1_7vsmem_tEENKUlT_SL_SM_SN_E_clIS8_S8_S9_S9_EESK_S10_SL_SM_SN_EUlS10_E0_NS1_11comp_targetILNS1_3genE9ELNS1_11target_archE1100ELNS1_3gpuE3ELNS1_3repE0EEENS1_38merge_mergepath_config_static_selectorELNS0_4arch9wavefront6targetE0EEEvSM_,"axG",@progbits,_ZN7rocprim17ROCPRIM_400000_NS6detail17trampoline_kernelINS0_14default_configENS1_38merge_sort_block_merge_config_selectorIlNS0_10empty_typeEEEZZNS1_27merge_sort_block_merge_implIS3_PlPS5_mZN2at6native12_GLOBAL__N_124unique_dim_cuda_templateIbEESt5tupleIJNSA_6TensorESF_SF_EERKSF_lbbbEUlllE_EE10hipError_tT0_T1_T2_jT3_P12ihipStream_tbPNSt15iterator_traitsISL_E10value_typeEPNSR_ISM_E10value_typeEPSN_NS1_7vsmem_tEENKUlT_SL_SM_SN_E_clIS8_S8_S9_S9_EESK_S10_SL_SM_SN_EUlS10_E0_NS1_11comp_targetILNS1_3genE9ELNS1_11target_archE1100ELNS1_3gpuE3ELNS1_3repE0EEENS1_38merge_mergepath_config_static_selectorELNS0_4arch9wavefront6targetE0EEEvSM_,comdat
	.globl	_ZN7rocprim17ROCPRIM_400000_NS6detail17trampoline_kernelINS0_14default_configENS1_38merge_sort_block_merge_config_selectorIlNS0_10empty_typeEEEZZNS1_27merge_sort_block_merge_implIS3_PlPS5_mZN2at6native12_GLOBAL__N_124unique_dim_cuda_templateIbEESt5tupleIJNSA_6TensorESF_SF_EERKSF_lbbbEUlllE_EE10hipError_tT0_T1_T2_jT3_P12ihipStream_tbPNSt15iterator_traitsISL_E10value_typeEPNSR_ISM_E10value_typeEPSN_NS1_7vsmem_tEENKUlT_SL_SM_SN_E_clIS8_S8_S9_S9_EESK_S10_SL_SM_SN_EUlS10_E0_NS1_11comp_targetILNS1_3genE9ELNS1_11target_archE1100ELNS1_3gpuE3ELNS1_3repE0EEENS1_38merge_mergepath_config_static_selectorELNS0_4arch9wavefront6targetE0EEEvSM_ ; -- Begin function _ZN7rocprim17ROCPRIM_400000_NS6detail17trampoline_kernelINS0_14default_configENS1_38merge_sort_block_merge_config_selectorIlNS0_10empty_typeEEEZZNS1_27merge_sort_block_merge_implIS3_PlPS5_mZN2at6native12_GLOBAL__N_124unique_dim_cuda_templateIbEESt5tupleIJNSA_6TensorESF_SF_EERKSF_lbbbEUlllE_EE10hipError_tT0_T1_T2_jT3_P12ihipStream_tbPNSt15iterator_traitsISL_E10value_typeEPNSR_ISM_E10value_typeEPSN_NS1_7vsmem_tEENKUlT_SL_SM_SN_E_clIS8_S8_S9_S9_EESK_S10_SL_SM_SN_EUlS10_E0_NS1_11comp_targetILNS1_3genE9ELNS1_11target_archE1100ELNS1_3gpuE3ELNS1_3repE0EEENS1_38merge_mergepath_config_static_selectorELNS0_4arch9wavefront6targetE0EEEvSM_
	.p2align	8
	.type	_ZN7rocprim17ROCPRIM_400000_NS6detail17trampoline_kernelINS0_14default_configENS1_38merge_sort_block_merge_config_selectorIlNS0_10empty_typeEEEZZNS1_27merge_sort_block_merge_implIS3_PlPS5_mZN2at6native12_GLOBAL__N_124unique_dim_cuda_templateIbEESt5tupleIJNSA_6TensorESF_SF_EERKSF_lbbbEUlllE_EE10hipError_tT0_T1_T2_jT3_P12ihipStream_tbPNSt15iterator_traitsISL_E10value_typeEPNSR_ISM_E10value_typeEPSN_NS1_7vsmem_tEENKUlT_SL_SM_SN_E_clIS8_S8_S9_S9_EESK_S10_SL_SM_SN_EUlS10_E0_NS1_11comp_targetILNS1_3genE9ELNS1_11target_archE1100ELNS1_3gpuE3ELNS1_3repE0EEENS1_38merge_mergepath_config_static_selectorELNS0_4arch9wavefront6targetE0EEEvSM_,@function
_ZN7rocprim17ROCPRIM_400000_NS6detail17trampoline_kernelINS0_14default_configENS1_38merge_sort_block_merge_config_selectorIlNS0_10empty_typeEEEZZNS1_27merge_sort_block_merge_implIS3_PlPS5_mZN2at6native12_GLOBAL__N_124unique_dim_cuda_templateIbEESt5tupleIJNSA_6TensorESF_SF_EERKSF_lbbbEUlllE_EE10hipError_tT0_T1_T2_jT3_P12ihipStream_tbPNSt15iterator_traitsISL_E10value_typeEPNSR_ISM_E10value_typeEPSN_NS1_7vsmem_tEENKUlT_SL_SM_SN_E_clIS8_S8_S9_S9_EESK_S10_SL_SM_SN_EUlS10_E0_NS1_11comp_targetILNS1_3genE9ELNS1_11target_archE1100ELNS1_3gpuE3ELNS1_3repE0EEENS1_38merge_mergepath_config_static_selectorELNS0_4arch9wavefront6targetE0EEEvSM_: ; @_ZN7rocprim17ROCPRIM_400000_NS6detail17trampoline_kernelINS0_14default_configENS1_38merge_sort_block_merge_config_selectorIlNS0_10empty_typeEEEZZNS1_27merge_sort_block_merge_implIS3_PlPS5_mZN2at6native12_GLOBAL__N_124unique_dim_cuda_templateIbEESt5tupleIJNSA_6TensorESF_SF_EERKSF_lbbbEUlllE_EE10hipError_tT0_T1_T2_jT3_P12ihipStream_tbPNSt15iterator_traitsISL_E10value_typeEPNSR_ISM_E10value_typeEPSN_NS1_7vsmem_tEENKUlT_SL_SM_SN_E_clIS8_S8_S9_S9_EESK_S10_SL_SM_SN_EUlS10_E0_NS1_11comp_targetILNS1_3genE9ELNS1_11target_archE1100ELNS1_3gpuE3ELNS1_3repE0EEENS1_38merge_mergepath_config_static_selectorELNS0_4arch9wavefront6targetE0EEEvSM_
; %bb.0:
	.section	.rodata,"a",@progbits
	.p2align	6, 0x0
	.amdhsa_kernel _ZN7rocprim17ROCPRIM_400000_NS6detail17trampoline_kernelINS0_14default_configENS1_38merge_sort_block_merge_config_selectorIlNS0_10empty_typeEEEZZNS1_27merge_sort_block_merge_implIS3_PlPS5_mZN2at6native12_GLOBAL__N_124unique_dim_cuda_templateIbEESt5tupleIJNSA_6TensorESF_SF_EERKSF_lbbbEUlllE_EE10hipError_tT0_T1_T2_jT3_P12ihipStream_tbPNSt15iterator_traitsISL_E10value_typeEPNSR_ISM_E10value_typeEPSN_NS1_7vsmem_tEENKUlT_SL_SM_SN_E_clIS8_S8_S9_S9_EESK_S10_SL_SM_SN_EUlS10_E0_NS1_11comp_targetILNS1_3genE9ELNS1_11target_archE1100ELNS1_3gpuE3ELNS1_3repE0EEENS1_38merge_mergepath_config_static_selectorELNS0_4arch9wavefront6targetE0EEEvSM_
		.amdhsa_group_segment_fixed_size 0
		.amdhsa_private_segment_fixed_size 0
		.amdhsa_kernarg_size 88
		.amdhsa_user_sgpr_count 2
		.amdhsa_user_sgpr_dispatch_ptr 0
		.amdhsa_user_sgpr_queue_ptr 0
		.amdhsa_user_sgpr_kernarg_segment_ptr 1
		.amdhsa_user_sgpr_dispatch_id 0
		.amdhsa_user_sgpr_kernarg_preload_length 0
		.amdhsa_user_sgpr_kernarg_preload_offset 0
		.amdhsa_user_sgpr_private_segment_size 0
		.amdhsa_wavefront_size32 1
		.amdhsa_uses_dynamic_stack 0
		.amdhsa_enable_private_segment 0
		.amdhsa_system_sgpr_workgroup_id_x 1
		.amdhsa_system_sgpr_workgroup_id_y 0
		.amdhsa_system_sgpr_workgroup_id_z 0
		.amdhsa_system_sgpr_workgroup_info 0
		.amdhsa_system_vgpr_workitem_id 0
		.amdhsa_next_free_vgpr 1
		.amdhsa_next_free_sgpr 1
		.amdhsa_named_barrier_count 0
		.amdhsa_reserve_vcc 0
		.amdhsa_float_round_mode_32 0
		.amdhsa_float_round_mode_16_64 0
		.amdhsa_float_denorm_mode_32 3
		.amdhsa_float_denorm_mode_16_64 3
		.amdhsa_fp16_overflow 0
		.amdhsa_memory_ordered 1
		.amdhsa_forward_progress 1
		.amdhsa_inst_pref_size 0
		.amdhsa_round_robin_scheduling 0
		.amdhsa_exception_fp_ieee_invalid_op 0
		.amdhsa_exception_fp_denorm_src 0
		.amdhsa_exception_fp_ieee_div_zero 0
		.amdhsa_exception_fp_ieee_overflow 0
		.amdhsa_exception_fp_ieee_underflow 0
		.amdhsa_exception_fp_ieee_inexact 0
		.amdhsa_exception_int_div_zero 0
	.end_amdhsa_kernel
	.section	.text._ZN7rocprim17ROCPRIM_400000_NS6detail17trampoline_kernelINS0_14default_configENS1_38merge_sort_block_merge_config_selectorIlNS0_10empty_typeEEEZZNS1_27merge_sort_block_merge_implIS3_PlPS5_mZN2at6native12_GLOBAL__N_124unique_dim_cuda_templateIbEESt5tupleIJNSA_6TensorESF_SF_EERKSF_lbbbEUlllE_EE10hipError_tT0_T1_T2_jT3_P12ihipStream_tbPNSt15iterator_traitsISL_E10value_typeEPNSR_ISM_E10value_typeEPSN_NS1_7vsmem_tEENKUlT_SL_SM_SN_E_clIS8_S8_S9_S9_EESK_S10_SL_SM_SN_EUlS10_E0_NS1_11comp_targetILNS1_3genE9ELNS1_11target_archE1100ELNS1_3gpuE3ELNS1_3repE0EEENS1_38merge_mergepath_config_static_selectorELNS0_4arch9wavefront6targetE0EEEvSM_,"axG",@progbits,_ZN7rocprim17ROCPRIM_400000_NS6detail17trampoline_kernelINS0_14default_configENS1_38merge_sort_block_merge_config_selectorIlNS0_10empty_typeEEEZZNS1_27merge_sort_block_merge_implIS3_PlPS5_mZN2at6native12_GLOBAL__N_124unique_dim_cuda_templateIbEESt5tupleIJNSA_6TensorESF_SF_EERKSF_lbbbEUlllE_EE10hipError_tT0_T1_T2_jT3_P12ihipStream_tbPNSt15iterator_traitsISL_E10value_typeEPNSR_ISM_E10value_typeEPSN_NS1_7vsmem_tEENKUlT_SL_SM_SN_E_clIS8_S8_S9_S9_EESK_S10_SL_SM_SN_EUlS10_E0_NS1_11comp_targetILNS1_3genE9ELNS1_11target_archE1100ELNS1_3gpuE3ELNS1_3repE0EEENS1_38merge_mergepath_config_static_selectorELNS0_4arch9wavefront6targetE0EEEvSM_,comdat
.Lfunc_end1016:
	.size	_ZN7rocprim17ROCPRIM_400000_NS6detail17trampoline_kernelINS0_14default_configENS1_38merge_sort_block_merge_config_selectorIlNS0_10empty_typeEEEZZNS1_27merge_sort_block_merge_implIS3_PlPS5_mZN2at6native12_GLOBAL__N_124unique_dim_cuda_templateIbEESt5tupleIJNSA_6TensorESF_SF_EERKSF_lbbbEUlllE_EE10hipError_tT0_T1_T2_jT3_P12ihipStream_tbPNSt15iterator_traitsISL_E10value_typeEPNSR_ISM_E10value_typeEPSN_NS1_7vsmem_tEENKUlT_SL_SM_SN_E_clIS8_S8_S9_S9_EESK_S10_SL_SM_SN_EUlS10_E0_NS1_11comp_targetILNS1_3genE9ELNS1_11target_archE1100ELNS1_3gpuE3ELNS1_3repE0EEENS1_38merge_mergepath_config_static_selectorELNS0_4arch9wavefront6targetE0EEEvSM_, .Lfunc_end1016-_ZN7rocprim17ROCPRIM_400000_NS6detail17trampoline_kernelINS0_14default_configENS1_38merge_sort_block_merge_config_selectorIlNS0_10empty_typeEEEZZNS1_27merge_sort_block_merge_implIS3_PlPS5_mZN2at6native12_GLOBAL__N_124unique_dim_cuda_templateIbEESt5tupleIJNSA_6TensorESF_SF_EERKSF_lbbbEUlllE_EE10hipError_tT0_T1_T2_jT3_P12ihipStream_tbPNSt15iterator_traitsISL_E10value_typeEPNSR_ISM_E10value_typeEPSN_NS1_7vsmem_tEENKUlT_SL_SM_SN_E_clIS8_S8_S9_S9_EESK_S10_SL_SM_SN_EUlS10_E0_NS1_11comp_targetILNS1_3genE9ELNS1_11target_archE1100ELNS1_3gpuE3ELNS1_3repE0EEENS1_38merge_mergepath_config_static_selectorELNS0_4arch9wavefront6targetE0EEEvSM_
                                        ; -- End function
	.set _ZN7rocprim17ROCPRIM_400000_NS6detail17trampoline_kernelINS0_14default_configENS1_38merge_sort_block_merge_config_selectorIlNS0_10empty_typeEEEZZNS1_27merge_sort_block_merge_implIS3_PlPS5_mZN2at6native12_GLOBAL__N_124unique_dim_cuda_templateIbEESt5tupleIJNSA_6TensorESF_SF_EERKSF_lbbbEUlllE_EE10hipError_tT0_T1_T2_jT3_P12ihipStream_tbPNSt15iterator_traitsISL_E10value_typeEPNSR_ISM_E10value_typeEPSN_NS1_7vsmem_tEENKUlT_SL_SM_SN_E_clIS8_S8_S9_S9_EESK_S10_SL_SM_SN_EUlS10_E0_NS1_11comp_targetILNS1_3genE9ELNS1_11target_archE1100ELNS1_3gpuE3ELNS1_3repE0EEENS1_38merge_mergepath_config_static_selectorELNS0_4arch9wavefront6targetE0EEEvSM_.num_vgpr, 0
	.set _ZN7rocprim17ROCPRIM_400000_NS6detail17trampoline_kernelINS0_14default_configENS1_38merge_sort_block_merge_config_selectorIlNS0_10empty_typeEEEZZNS1_27merge_sort_block_merge_implIS3_PlPS5_mZN2at6native12_GLOBAL__N_124unique_dim_cuda_templateIbEESt5tupleIJNSA_6TensorESF_SF_EERKSF_lbbbEUlllE_EE10hipError_tT0_T1_T2_jT3_P12ihipStream_tbPNSt15iterator_traitsISL_E10value_typeEPNSR_ISM_E10value_typeEPSN_NS1_7vsmem_tEENKUlT_SL_SM_SN_E_clIS8_S8_S9_S9_EESK_S10_SL_SM_SN_EUlS10_E0_NS1_11comp_targetILNS1_3genE9ELNS1_11target_archE1100ELNS1_3gpuE3ELNS1_3repE0EEENS1_38merge_mergepath_config_static_selectorELNS0_4arch9wavefront6targetE0EEEvSM_.num_agpr, 0
	.set _ZN7rocprim17ROCPRIM_400000_NS6detail17trampoline_kernelINS0_14default_configENS1_38merge_sort_block_merge_config_selectorIlNS0_10empty_typeEEEZZNS1_27merge_sort_block_merge_implIS3_PlPS5_mZN2at6native12_GLOBAL__N_124unique_dim_cuda_templateIbEESt5tupleIJNSA_6TensorESF_SF_EERKSF_lbbbEUlllE_EE10hipError_tT0_T1_T2_jT3_P12ihipStream_tbPNSt15iterator_traitsISL_E10value_typeEPNSR_ISM_E10value_typeEPSN_NS1_7vsmem_tEENKUlT_SL_SM_SN_E_clIS8_S8_S9_S9_EESK_S10_SL_SM_SN_EUlS10_E0_NS1_11comp_targetILNS1_3genE9ELNS1_11target_archE1100ELNS1_3gpuE3ELNS1_3repE0EEENS1_38merge_mergepath_config_static_selectorELNS0_4arch9wavefront6targetE0EEEvSM_.numbered_sgpr, 0
	.set _ZN7rocprim17ROCPRIM_400000_NS6detail17trampoline_kernelINS0_14default_configENS1_38merge_sort_block_merge_config_selectorIlNS0_10empty_typeEEEZZNS1_27merge_sort_block_merge_implIS3_PlPS5_mZN2at6native12_GLOBAL__N_124unique_dim_cuda_templateIbEESt5tupleIJNSA_6TensorESF_SF_EERKSF_lbbbEUlllE_EE10hipError_tT0_T1_T2_jT3_P12ihipStream_tbPNSt15iterator_traitsISL_E10value_typeEPNSR_ISM_E10value_typeEPSN_NS1_7vsmem_tEENKUlT_SL_SM_SN_E_clIS8_S8_S9_S9_EESK_S10_SL_SM_SN_EUlS10_E0_NS1_11comp_targetILNS1_3genE9ELNS1_11target_archE1100ELNS1_3gpuE3ELNS1_3repE0EEENS1_38merge_mergepath_config_static_selectorELNS0_4arch9wavefront6targetE0EEEvSM_.num_named_barrier, 0
	.set _ZN7rocprim17ROCPRIM_400000_NS6detail17trampoline_kernelINS0_14default_configENS1_38merge_sort_block_merge_config_selectorIlNS0_10empty_typeEEEZZNS1_27merge_sort_block_merge_implIS3_PlPS5_mZN2at6native12_GLOBAL__N_124unique_dim_cuda_templateIbEESt5tupleIJNSA_6TensorESF_SF_EERKSF_lbbbEUlllE_EE10hipError_tT0_T1_T2_jT3_P12ihipStream_tbPNSt15iterator_traitsISL_E10value_typeEPNSR_ISM_E10value_typeEPSN_NS1_7vsmem_tEENKUlT_SL_SM_SN_E_clIS8_S8_S9_S9_EESK_S10_SL_SM_SN_EUlS10_E0_NS1_11comp_targetILNS1_3genE9ELNS1_11target_archE1100ELNS1_3gpuE3ELNS1_3repE0EEENS1_38merge_mergepath_config_static_selectorELNS0_4arch9wavefront6targetE0EEEvSM_.private_seg_size, 0
	.set _ZN7rocprim17ROCPRIM_400000_NS6detail17trampoline_kernelINS0_14default_configENS1_38merge_sort_block_merge_config_selectorIlNS0_10empty_typeEEEZZNS1_27merge_sort_block_merge_implIS3_PlPS5_mZN2at6native12_GLOBAL__N_124unique_dim_cuda_templateIbEESt5tupleIJNSA_6TensorESF_SF_EERKSF_lbbbEUlllE_EE10hipError_tT0_T1_T2_jT3_P12ihipStream_tbPNSt15iterator_traitsISL_E10value_typeEPNSR_ISM_E10value_typeEPSN_NS1_7vsmem_tEENKUlT_SL_SM_SN_E_clIS8_S8_S9_S9_EESK_S10_SL_SM_SN_EUlS10_E0_NS1_11comp_targetILNS1_3genE9ELNS1_11target_archE1100ELNS1_3gpuE3ELNS1_3repE0EEENS1_38merge_mergepath_config_static_selectorELNS0_4arch9wavefront6targetE0EEEvSM_.uses_vcc, 0
	.set _ZN7rocprim17ROCPRIM_400000_NS6detail17trampoline_kernelINS0_14default_configENS1_38merge_sort_block_merge_config_selectorIlNS0_10empty_typeEEEZZNS1_27merge_sort_block_merge_implIS3_PlPS5_mZN2at6native12_GLOBAL__N_124unique_dim_cuda_templateIbEESt5tupleIJNSA_6TensorESF_SF_EERKSF_lbbbEUlllE_EE10hipError_tT0_T1_T2_jT3_P12ihipStream_tbPNSt15iterator_traitsISL_E10value_typeEPNSR_ISM_E10value_typeEPSN_NS1_7vsmem_tEENKUlT_SL_SM_SN_E_clIS8_S8_S9_S9_EESK_S10_SL_SM_SN_EUlS10_E0_NS1_11comp_targetILNS1_3genE9ELNS1_11target_archE1100ELNS1_3gpuE3ELNS1_3repE0EEENS1_38merge_mergepath_config_static_selectorELNS0_4arch9wavefront6targetE0EEEvSM_.uses_flat_scratch, 0
	.set _ZN7rocprim17ROCPRIM_400000_NS6detail17trampoline_kernelINS0_14default_configENS1_38merge_sort_block_merge_config_selectorIlNS0_10empty_typeEEEZZNS1_27merge_sort_block_merge_implIS3_PlPS5_mZN2at6native12_GLOBAL__N_124unique_dim_cuda_templateIbEESt5tupleIJNSA_6TensorESF_SF_EERKSF_lbbbEUlllE_EE10hipError_tT0_T1_T2_jT3_P12ihipStream_tbPNSt15iterator_traitsISL_E10value_typeEPNSR_ISM_E10value_typeEPSN_NS1_7vsmem_tEENKUlT_SL_SM_SN_E_clIS8_S8_S9_S9_EESK_S10_SL_SM_SN_EUlS10_E0_NS1_11comp_targetILNS1_3genE9ELNS1_11target_archE1100ELNS1_3gpuE3ELNS1_3repE0EEENS1_38merge_mergepath_config_static_selectorELNS0_4arch9wavefront6targetE0EEEvSM_.has_dyn_sized_stack, 0
	.set _ZN7rocprim17ROCPRIM_400000_NS6detail17trampoline_kernelINS0_14default_configENS1_38merge_sort_block_merge_config_selectorIlNS0_10empty_typeEEEZZNS1_27merge_sort_block_merge_implIS3_PlPS5_mZN2at6native12_GLOBAL__N_124unique_dim_cuda_templateIbEESt5tupleIJNSA_6TensorESF_SF_EERKSF_lbbbEUlllE_EE10hipError_tT0_T1_T2_jT3_P12ihipStream_tbPNSt15iterator_traitsISL_E10value_typeEPNSR_ISM_E10value_typeEPSN_NS1_7vsmem_tEENKUlT_SL_SM_SN_E_clIS8_S8_S9_S9_EESK_S10_SL_SM_SN_EUlS10_E0_NS1_11comp_targetILNS1_3genE9ELNS1_11target_archE1100ELNS1_3gpuE3ELNS1_3repE0EEENS1_38merge_mergepath_config_static_selectorELNS0_4arch9wavefront6targetE0EEEvSM_.has_recursion, 0
	.set _ZN7rocprim17ROCPRIM_400000_NS6detail17trampoline_kernelINS0_14default_configENS1_38merge_sort_block_merge_config_selectorIlNS0_10empty_typeEEEZZNS1_27merge_sort_block_merge_implIS3_PlPS5_mZN2at6native12_GLOBAL__N_124unique_dim_cuda_templateIbEESt5tupleIJNSA_6TensorESF_SF_EERKSF_lbbbEUlllE_EE10hipError_tT0_T1_T2_jT3_P12ihipStream_tbPNSt15iterator_traitsISL_E10value_typeEPNSR_ISM_E10value_typeEPSN_NS1_7vsmem_tEENKUlT_SL_SM_SN_E_clIS8_S8_S9_S9_EESK_S10_SL_SM_SN_EUlS10_E0_NS1_11comp_targetILNS1_3genE9ELNS1_11target_archE1100ELNS1_3gpuE3ELNS1_3repE0EEENS1_38merge_mergepath_config_static_selectorELNS0_4arch9wavefront6targetE0EEEvSM_.has_indirect_call, 0
	.section	.AMDGPU.csdata,"",@progbits
; Kernel info:
; codeLenInByte = 0
; TotalNumSgprs: 0
; NumVgprs: 0
; ScratchSize: 0
; MemoryBound: 0
; FloatMode: 240
; IeeeMode: 1
; LDSByteSize: 0 bytes/workgroup (compile time only)
; SGPRBlocks: 0
; VGPRBlocks: 0
; NumSGPRsForWavesPerEU: 1
; NumVGPRsForWavesPerEU: 1
; NamedBarCnt: 0
; Occupancy: 16
; WaveLimiterHint : 0
; COMPUTE_PGM_RSRC2:SCRATCH_EN: 0
; COMPUTE_PGM_RSRC2:USER_SGPR: 2
; COMPUTE_PGM_RSRC2:TRAP_HANDLER: 0
; COMPUTE_PGM_RSRC2:TGID_X_EN: 1
; COMPUTE_PGM_RSRC2:TGID_Y_EN: 0
; COMPUTE_PGM_RSRC2:TGID_Z_EN: 0
; COMPUTE_PGM_RSRC2:TIDIG_COMP_CNT: 0
	.section	.text._ZN7rocprim17ROCPRIM_400000_NS6detail17trampoline_kernelINS0_14default_configENS1_38merge_sort_block_merge_config_selectorIlNS0_10empty_typeEEEZZNS1_27merge_sort_block_merge_implIS3_PlPS5_mZN2at6native12_GLOBAL__N_124unique_dim_cuda_templateIbEESt5tupleIJNSA_6TensorESF_SF_EERKSF_lbbbEUlllE_EE10hipError_tT0_T1_T2_jT3_P12ihipStream_tbPNSt15iterator_traitsISL_E10value_typeEPNSR_ISM_E10value_typeEPSN_NS1_7vsmem_tEENKUlT_SL_SM_SN_E_clIS8_S8_S9_S9_EESK_S10_SL_SM_SN_EUlS10_E0_NS1_11comp_targetILNS1_3genE8ELNS1_11target_archE1030ELNS1_3gpuE2ELNS1_3repE0EEENS1_38merge_mergepath_config_static_selectorELNS0_4arch9wavefront6targetE0EEEvSM_,"axG",@progbits,_ZN7rocprim17ROCPRIM_400000_NS6detail17trampoline_kernelINS0_14default_configENS1_38merge_sort_block_merge_config_selectorIlNS0_10empty_typeEEEZZNS1_27merge_sort_block_merge_implIS3_PlPS5_mZN2at6native12_GLOBAL__N_124unique_dim_cuda_templateIbEESt5tupleIJNSA_6TensorESF_SF_EERKSF_lbbbEUlllE_EE10hipError_tT0_T1_T2_jT3_P12ihipStream_tbPNSt15iterator_traitsISL_E10value_typeEPNSR_ISM_E10value_typeEPSN_NS1_7vsmem_tEENKUlT_SL_SM_SN_E_clIS8_S8_S9_S9_EESK_S10_SL_SM_SN_EUlS10_E0_NS1_11comp_targetILNS1_3genE8ELNS1_11target_archE1030ELNS1_3gpuE2ELNS1_3repE0EEENS1_38merge_mergepath_config_static_selectorELNS0_4arch9wavefront6targetE0EEEvSM_,comdat
	.globl	_ZN7rocprim17ROCPRIM_400000_NS6detail17trampoline_kernelINS0_14default_configENS1_38merge_sort_block_merge_config_selectorIlNS0_10empty_typeEEEZZNS1_27merge_sort_block_merge_implIS3_PlPS5_mZN2at6native12_GLOBAL__N_124unique_dim_cuda_templateIbEESt5tupleIJNSA_6TensorESF_SF_EERKSF_lbbbEUlllE_EE10hipError_tT0_T1_T2_jT3_P12ihipStream_tbPNSt15iterator_traitsISL_E10value_typeEPNSR_ISM_E10value_typeEPSN_NS1_7vsmem_tEENKUlT_SL_SM_SN_E_clIS8_S8_S9_S9_EESK_S10_SL_SM_SN_EUlS10_E0_NS1_11comp_targetILNS1_3genE8ELNS1_11target_archE1030ELNS1_3gpuE2ELNS1_3repE0EEENS1_38merge_mergepath_config_static_selectorELNS0_4arch9wavefront6targetE0EEEvSM_ ; -- Begin function _ZN7rocprim17ROCPRIM_400000_NS6detail17trampoline_kernelINS0_14default_configENS1_38merge_sort_block_merge_config_selectorIlNS0_10empty_typeEEEZZNS1_27merge_sort_block_merge_implIS3_PlPS5_mZN2at6native12_GLOBAL__N_124unique_dim_cuda_templateIbEESt5tupleIJNSA_6TensorESF_SF_EERKSF_lbbbEUlllE_EE10hipError_tT0_T1_T2_jT3_P12ihipStream_tbPNSt15iterator_traitsISL_E10value_typeEPNSR_ISM_E10value_typeEPSN_NS1_7vsmem_tEENKUlT_SL_SM_SN_E_clIS8_S8_S9_S9_EESK_S10_SL_SM_SN_EUlS10_E0_NS1_11comp_targetILNS1_3genE8ELNS1_11target_archE1030ELNS1_3gpuE2ELNS1_3repE0EEENS1_38merge_mergepath_config_static_selectorELNS0_4arch9wavefront6targetE0EEEvSM_
	.p2align	8
	.type	_ZN7rocprim17ROCPRIM_400000_NS6detail17trampoline_kernelINS0_14default_configENS1_38merge_sort_block_merge_config_selectorIlNS0_10empty_typeEEEZZNS1_27merge_sort_block_merge_implIS3_PlPS5_mZN2at6native12_GLOBAL__N_124unique_dim_cuda_templateIbEESt5tupleIJNSA_6TensorESF_SF_EERKSF_lbbbEUlllE_EE10hipError_tT0_T1_T2_jT3_P12ihipStream_tbPNSt15iterator_traitsISL_E10value_typeEPNSR_ISM_E10value_typeEPSN_NS1_7vsmem_tEENKUlT_SL_SM_SN_E_clIS8_S8_S9_S9_EESK_S10_SL_SM_SN_EUlS10_E0_NS1_11comp_targetILNS1_3genE8ELNS1_11target_archE1030ELNS1_3gpuE2ELNS1_3repE0EEENS1_38merge_mergepath_config_static_selectorELNS0_4arch9wavefront6targetE0EEEvSM_,@function
_ZN7rocprim17ROCPRIM_400000_NS6detail17trampoline_kernelINS0_14default_configENS1_38merge_sort_block_merge_config_selectorIlNS0_10empty_typeEEEZZNS1_27merge_sort_block_merge_implIS3_PlPS5_mZN2at6native12_GLOBAL__N_124unique_dim_cuda_templateIbEESt5tupleIJNSA_6TensorESF_SF_EERKSF_lbbbEUlllE_EE10hipError_tT0_T1_T2_jT3_P12ihipStream_tbPNSt15iterator_traitsISL_E10value_typeEPNSR_ISM_E10value_typeEPSN_NS1_7vsmem_tEENKUlT_SL_SM_SN_E_clIS8_S8_S9_S9_EESK_S10_SL_SM_SN_EUlS10_E0_NS1_11comp_targetILNS1_3genE8ELNS1_11target_archE1030ELNS1_3gpuE2ELNS1_3repE0EEENS1_38merge_mergepath_config_static_selectorELNS0_4arch9wavefront6targetE0EEEvSM_: ; @_ZN7rocprim17ROCPRIM_400000_NS6detail17trampoline_kernelINS0_14default_configENS1_38merge_sort_block_merge_config_selectorIlNS0_10empty_typeEEEZZNS1_27merge_sort_block_merge_implIS3_PlPS5_mZN2at6native12_GLOBAL__N_124unique_dim_cuda_templateIbEESt5tupleIJNSA_6TensorESF_SF_EERKSF_lbbbEUlllE_EE10hipError_tT0_T1_T2_jT3_P12ihipStream_tbPNSt15iterator_traitsISL_E10value_typeEPNSR_ISM_E10value_typeEPSN_NS1_7vsmem_tEENKUlT_SL_SM_SN_E_clIS8_S8_S9_S9_EESK_S10_SL_SM_SN_EUlS10_E0_NS1_11comp_targetILNS1_3genE8ELNS1_11target_archE1030ELNS1_3gpuE2ELNS1_3repE0EEENS1_38merge_mergepath_config_static_selectorELNS0_4arch9wavefront6targetE0EEEvSM_
; %bb.0:
	.section	.rodata,"a",@progbits
	.p2align	6, 0x0
	.amdhsa_kernel _ZN7rocprim17ROCPRIM_400000_NS6detail17trampoline_kernelINS0_14default_configENS1_38merge_sort_block_merge_config_selectorIlNS0_10empty_typeEEEZZNS1_27merge_sort_block_merge_implIS3_PlPS5_mZN2at6native12_GLOBAL__N_124unique_dim_cuda_templateIbEESt5tupleIJNSA_6TensorESF_SF_EERKSF_lbbbEUlllE_EE10hipError_tT0_T1_T2_jT3_P12ihipStream_tbPNSt15iterator_traitsISL_E10value_typeEPNSR_ISM_E10value_typeEPSN_NS1_7vsmem_tEENKUlT_SL_SM_SN_E_clIS8_S8_S9_S9_EESK_S10_SL_SM_SN_EUlS10_E0_NS1_11comp_targetILNS1_3genE8ELNS1_11target_archE1030ELNS1_3gpuE2ELNS1_3repE0EEENS1_38merge_mergepath_config_static_selectorELNS0_4arch9wavefront6targetE0EEEvSM_
		.amdhsa_group_segment_fixed_size 0
		.amdhsa_private_segment_fixed_size 0
		.amdhsa_kernarg_size 88
		.amdhsa_user_sgpr_count 2
		.amdhsa_user_sgpr_dispatch_ptr 0
		.amdhsa_user_sgpr_queue_ptr 0
		.amdhsa_user_sgpr_kernarg_segment_ptr 1
		.amdhsa_user_sgpr_dispatch_id 0
		.amdhsa_user_sgpr_kernarg_preload_length 0
		.amdhsa_user_sgpr_kernarg_preload_offset 0
		.amdhsa_user_sgpr_private_segment_size 0
		.amdhsa_wavefront_size32 1
		.amdhsa_uses_dynamic_stack 0
		.amdhsa_enable_private_segment 0
		.amdhsa_system_sgpr_workgroup_id_x 1
		.amdhsa_system_sgpr_workgroup_id_y 0
		.amdhsa_system_sgpr_workgroup_id_z 0
		.amdhsa_system_sgpr_workgroup_info 0
		.amdhsa_system_vgpr_workitem_id 0
		.amdhsa_next_free_vgpr 1
		.amdhsa_next_free_sgpr 1
		.amdhsa_named_barrier_count 0
		.amdhsa_reserve_vcc 0
		.amdhsa_float_round_mode_32 0
		.amdhsa_float_round_mode_16_64 0
		.amdhsa_float_denorm_mode_32 3
		.amdhsa_float_denorm_mode_16_64 3
		.amdhsa_fp16_overflow 0
		.amdhsa_memory_ordered 1
		.amdhsa_forward_progress 1
		.amdhsa_inst_pref_size 0
		.amdhsa_round_robin_scheduling 0
		.amdhsa_exception_fp_ieee_invalid_op 0
		.amdhsa_exception_fp_denorm_src 0
		.amdhsa_exception_fp_ieee_div_zero 0
		.amdhsa_exception_fp_ieee_overflow 0
		.amdhsa_exception_fp_ieee_underflow 0
		.amdhsa_exception_fp_ieee_inexact 0
		.amdhsa_exception_int_div_zero 0
	.end_amdhsa_kernel
	.section	.text._ZN7rocprim17ROCPRIM_400000_NS6detail17trampoline_kernelINS0_14default_configENS1_38merge_sort_block_merge_config_selectorIlNS0_10empty_typeEEEZZNS1_27merge_sort_block_merge_implIS3_PlPS5_mZN2at6native12_GLOBAL__N_124unique_dim_cuda_templateIbEESt5tupleIJNSA_6TensorESF_SF_EERKSF_lbbbEUlllE_EE10hipError_tT0_T1_T2_jT3_P12ihipStream_tbPNSt15iterator_traitsISL_E10value_typeEPNSR_ISM_E10value_typeEPSN_NS1_7vsmem_tEENKUlT_SL_SM_SN_E_clIS8_S8_S9_S9_EESK_S10_SL_SM_SN_EUlS10_E0_NS1_11comp_targetILNS1_3genE8ELNS1_11target_archE1030ELNS1_3gpuE2ELNS1_3repE0EEENS1_38merge_mergepath_config_static_selectorELNS0_4arch9wavefront6targetE0EEEvSM_,"axG",@progbits,_ZN7rocprim17ROCPRIM_400000_NS6detail17trampoline_kernelINS0_14default_configENS1_38merge_sort_block_merge_config_selectorIlNS0_10empty_typeEEEZZNS1_27merge_sort_block_merge_implIS3_PlPS5_mZN2at6native12_GLOBAL__N_124unique_dim_cuda_templateIbEESt5tupleIJNSA_6TensorESF_SF_EERKSF_lbbbEUlllE_EE10hipError_tT0_T1_T2_jT3_P12ihipStream_tbPNSt15iterator_traitsISL_E10value_typeEPNSR_ISM_E10value_typeEPSN_NS1_7vsmem_tEENKUlT_SL_SM_SN_E_clIS8_S8_S9_S9_EESK_S10_SL_SM_SN_EUlS10_E0_NS1_11comp_targetILNS1_3genE8ELNS1_11target_archE1030ELNS1_3gpuE2ELNS1_3repE0EEENS1_38merge_mergepath_config_static_selectorELNS0_4arch9wavefront6targetE0EEEvSM_,comdat
.Lfunc_end1017:
	.size	_ZN7rocprim17ROCPRIM_400000_NS6detail17trampoline_kernelINS0_14default_configENS1_38merge_sort_block_merge_config_selectorIlNS0_10empty_typeEEEZZNS1_27merge_sort_block_merge_implIS3_PlPS5_mZN2at6native12_GLOBAL__N_124unique_dim_cuda_templateIbEESt5tupleIJNSA_6TensorESF_SF_EERKSF_lbbbEUlllE_EE10hipError_tT0_T1_T2_jT3_P12ihipStream_tbPNSt15iterator_traitsISL_E10value_typeEPNSR_ISM_E10value_typeEPSN_NS1_7vsmem_tEENKUlT_SL_SM_SN_E_clIS8_S8_S9_S9_EESK_S10_SL_SM_SN_EUlS10_E0_NS1_11comp_targetILNS1_3genE8ELNS1_11target_archE1030ELNS1_3gpuE2ELNS1_3repE0EEENS1_38merge_mergepath_config_static_selectorELNS0_4arch9wavefront6targetE0EEEvSM_, .Lfunc_end1017-_ZN7rocprim17ROCPRIM_400000_NS6detail17trampoline_kernelINS0_14default_configENS1_38merge_sort_block_merge_config_selectorIlNS0_10empty_typeEEEZZNS1_27merge_sort_block_merge_implIS3_PlPS5_mZN2at6native12_GLOBAL__N_124unique_dim_cuda_templateIbEESt5tupleIJNSA_6TensorESF_SF_EERKSF_lbbbEUlllE_EE10hipError_tT0_T1_T2_jT3_P12ihipStream_tbPNSt15iterator_traitsISL_E10value_typeEPNSR_ISM_E10value_typeEPSN_NS1_7vsmem_tEENKUlT_SL_SM_SN_E_clIS8_S8_S9_S9_EESK_S10_SL_SM_SN_EUlS10_E0_NS1_11comp_targetILNS1_3genE8ELNS1_11target_archE1030ELNS1_3gpuE2ELNS1_3repE0EEENS1_38merge_mergepath_config_static_selectorELNS0_4arch9wavefront6targetE0EEEvSM_
                                        ; -- End function
	.set _ZN7rocprim17ROCPRIM_400000_NS6detail17trampoline_kernelINS0_14default_configENS1_38merge_sort_block_merge_config_selectorIlNS0_10empty_typeEEEZZNS1_27merge_sort_block_merge_implIS3_PlPS5_mZN2at6native12_GLOBAL__N_124unique_dim_cuda_templateIbEESt5tupleIJNSA_6TensorESF_SF_EERKSF_lbbbEUlllE_EE10hipError_tT0_T1_T2_jT3_P12ihipStream_tbPNSt15iterator_traitsISL_E10value_typeEPNSR_ISM_E10value_typeEPSN_NS1_7vsmem_tEENKUlT_SL_SM_SN_E_clIS8_S8_S9_S9_EESK_S10_SL_SM_SN_EUlS10_E0_NS1_11comp_targetILNS1_3genE8ELNS1_11target_archE1030ELNS1_3gpuE2ELNS1_3repE0EEENS1_38merge_mergepath_config_static_selectorELNS0_4arch9wavefront6targetE0EEEvSM_.num_vgpr, 0
	.set _ZN7rocprim17ROCPRIM_400000_NS6detail17trampoline_kernelINS0_14default_configENS1_38merge_sort_block_merge_config_selectorIlNS0_10empty_typeEEEZZNS1_27merge_sort_block_merge_implIS3_PlPS5_mZN2at6native12_GLOBAL__N_124unique_dim_cuda_templateIbEESt5tupleIJNSA_6TensorESF_SF_EERKSF_lbbbEUlllE_EE10hipError_tT0_T1_T2_jT3_P12ihipStream_tbPNSt15iterator_traitsISL_E10value_typeEPNSR_ISM_E10value_typeEPSN_NS1_7vsmem_tEENKUlT_SL_SM_SN_E_clIS8_S8_S9_S9_EESK_S10_SL_SM_SN_EUlS10_E0_NS1_11comp_targetILNS1_3genE8ELNS1_11target_archE1030ELNS1_3gpuE2ELNS1_3repE0EEENS1_38merge_mergepath_config_static_selectorELNS0_4arch9wavefront6targetE0EEEvSM_.num_agpr, 0
	.set _ZN7rocprim17ROCPRIM_400000_NS6detail17trampoline_kernelINS0_14default_configENS1_38merge_sort_block_merge_config_selectorIlNS0_10empty_typeEEEZZNS1_27merge_sort_block_merge_implIS3_PlPS5_mZN2at6native12_GLOBAL__N_124unique_dim_cuda_templateIbEESt5tupleIJNSA_6TensorESF_SF_EERKSF_lbbbEUlllE_EE10hipError_tT0_T1_T2_jT3_P12ihipStream_tbPNSt15iterator_traitsISL_E10value_typeEPNSR_ISM_E10value_typeEPSN_NS1_7vsmem_tEENKUlT_SL_SM_SN_E_clIS8_S8_S9_S9_EESK_S10_SL_SM_SN_EUlS10_E0_NS1_11comp_targetILNS1_3genE8ELNS1_11target_archE1030ELNS1_3gpuE2ELNS1_3repE0EEENS1_38merge_mergepath_config_static_selectorELNS0_4arch9wavefront6targetE0EEEvSM_.numbered_sgpr, 0
	.set _ZN7rocprim17ROCPRIM_400000_NS6detail17trampoline_kernelINS0_14default_configENS1_38merge_sort_block_merge_config_selectorIlNS0_10empty_typeEEEZZNS1_27merge_sort_block_merge_implIS3_PlPS5_mZN2at6native12_GLOBAL__N_124unique_dim_cuda_templateIbEESt5tupleIJNSA_6TensorESF_SF_EERKSF_lbbbEUlllE_EE10hipError_tT0_T1_T2_jT3_P12ihipStream_tbPNSt15iterator_traitsISL_E10value_typeEPNSR_ISM_E10value_typeEPSN_NS1_7vsmem_tEENKUlT_SL_SM_SN_E_clIS8_S8_S9_S9_EESK_S10_SL_SM_SN_EUlS10_E0_NS1_11comp_targetILNS1_3genE8ELNS1_11target_archE1030ELNS1_3gpuE2ELNS1_3repE0EEENS1_38merge_mergepath_config_static_selectorELNS0_4arch9wavefront6targetE0EEEvSM_.num_named_barrier, 0
	.set _ZN7rocprim17ROCPRIM_400000_NS6detail17trampoline_kernelINS0_14default_configENS1_38merge_sort_block_merge_config_selectorIlNS0_10empty_typeEEEZZNS1_27merge_sort_block_merge_implIS3_PlPS5_mZN2at6native12_GLOBAL__N_124unique_dim_cuda_templateIbEESt5tupleIJNSA_6TensorESF_SF_EERKSF_lbbbEUlllE_EE10hipError_tT0_T1_T2_jT3_P12ihipStream_tbPNSt15iterator_traitsISL_E10value_typeEPNSR_ISM_E10value_typeEPSN_NS1_7vsmem_tEENKUlT_SL_SM_SN_E_clIS8_S8_S9_S9_EESK_S10_SL_SM_SN_EUlS10_E0_NS1_11comp_targetILNS1_3genE8ELNS1_11target_archE1030ELNS1_3gpuE2ELNS1_3repE0EEENS1_38merge_mergepath_config_static_selectorELNS0_4arch9wavefront6targetE0EEEvSM_.private_seg_size, 0
	.set _ZN7rocprim17ROCPRIM_400000_NS6detail17trampoline_kernelINS0_14default_configENS1_38merge_sort_block_merge_config_selectorIlNS0_10empty_typeEEEZZNS1_27merge_sort_block_merge_implIS3_PlPS5_mZN2at6native12_GLOBAL__N_124unique_dim_cuda_templateIbEESt5tupleIJNSA_6TensorESF_SF_EERKSF_lbbbEUlllE_EE10hipError_tT0_T1_T2_jT3_P12ihipStream_tbPNSt15iterator_traitsISL_E10value_typeEPNSR_ISM_E10value_typeEPSN_NS1_7vsmem_tEENKUlT_SL_SM_SN_E_clIS8_S8_S9_S9_EESK_S10_SL_SM_SN_EUlS10_E0_NS1_11comp_targetILNS1_3genE8ELNS1_11target_archE1030ELNS1_3gpuE2ELNS1_3repE0EEENS1_38merge_mergepath_config_static_selectorELNS0_4arch9wavefront6targetE0EEEvSM_.uses_vcc, 0
	.set _ZN7rocprim17ROCPRIM_400000_NS6detail17trampoline_kernelINS0_14default_configENS1_38merge_sort_block_merge_config_selectorIlNS0_10empty_typeEEEZZNS1_27merge_sort_block_merge_implIS3_PlPS5_mZN2at6native12_GLOBAL__N_124unique_dim_cuda_templateIbEESt5tupleIJNSA_6TensorESF_SF_EERKSF_lbbbEUlllE_EE10hipError_tT0_T1_T2_jT3_P12ihipStream_tbPNSt15iterator_traitsISL_E10value_typeEPNSR_ISM_E10value_typeEPSN_NS1_7vsmem_tEENKUlT_SL_SM_SN_E_clIS8_S8_S9_S9_EESK_S10_SL_SM_SN_EUlS10_E0_NS1_11comp_targetILNS1_3genE8ELNS1_11target_archE1030ELNS1_3gpuE2ELNS1_3repE0EEENS1_38merge_mergepath_config_static_selectorELNS0_4arch9wavefront6targetE0EEEvSM_.uses_flat_scratch, 0
	.set _ZN7rocprim17ROCPRIM_400000_NS6detail17trampoline_kernelINS0_14default_configENS1_38merge_sort_block_merge_config_selectorIlNS0_10empty_typeEEEZZNS1_27merge_sort_block_merge_implIS3_PlPS5_mZN2at6native12_GLOBAL__N_124unique_dim_cuda_templateIbEESt5tupleIJNSA_6TensorESF_SF_EERKSF_lbbbEUlllE_EE10hipError_tT0_T1_T2_jT3_P12ihipStream_tbPNSt15iterator_traitsISL_E10value_typeEPNSR_ISM_E10value_typeEPSN_NS1_7vsmem_tEENKUlT_SL_SM_SN_E_clIS8_S8_S9_S9_EESK_S10_SL_SM_SN_EUlS10_E0_NS1_11comp_targetILNS1_3genE8ELNS1_11target_archE1030ELNS1_3gpuE2ELNS1_3repE0EEENS1_38merge_mergepath_config_static_selectorELNS0_4arch9wavefront6targetE0EEEvSM_.has_dyn_sized_stack, 0
	.set _ZN7rocprim17ROCPRIM_400000_NS6detail17trampoline_kernelINS0_14default_configENS1_38merge_sort_block_merge_config_selectorIlNS0_10empty_typeEEEZZNS1_27merge_sort_block_merge_implIS3_PlPS5_mZN2at6native12_GLOBAL__N_124unique_dim_cuda_templateIbEESt5tupleIJNSA_6TensorESF_SF_EERKSF_lbbbEUlllE_EE10hipError_tT0_T1_T2_jT3_P12ihipStream_tbPNSt15iterator_traitsISL_E10value_typeEPNSR_ISM_E10value_typeEPSN_NS1_7vsmem_tEENKUlT_SL_SM_SN_E_clIS8_S8_S9_S9_EESK_S10_SL_SM_SN_EUlS10_E0_NS1_11comp_targetILNS1_3genE8ELNS1_11target_archE1030ELNS1_3gpuE2ELNS1_3repE0EEENS1_38merge_mergepath_config_static_selectorELNS0_4arch9wavefront6targetE0EEEvSM_.has_recursion, 0
	.set _ZN7rocprim17ROCPRIM_400000_NS6detail17trampoline_kernelINS0_14default_configENS1_38merge_sort_block_merge_config_selectorIlNS0_10empty_typeEEEZZNS1_27merge_sort_block_merge_implIS3_PlPS5_mZN2at6native12_GLOBAL__N_124unique_dim_cuda_templateIbEESt5tupleIJNSA_6TensorESF_SF_EERKSF_lbbbEUlllE_EE10hipError_tT0_T1_T2_jT3_P12ihipStream_tbPNSt15iterator_traitsISL_E10value_typeEPNSR_ISM_E10value_typeEPSN_NS1_7vsmem_tEENKUlT_SL_SM_SN_E_clIS8_S8_S9_S9_EESK_S10_SL_SM_SN_EUlS10_E0_NS1_11comp_targetILNS1_3genE8ELNS1_11target_archE1030ELNS1_3gpuE2ELNS1_3repE0EEENS1_38merge_mergepath_config_static_selectorELNS0_4arch9wavefront6targetE0EEEvSM_.has_indirect_call, 0
	.section	.AMDGPU.csdata,"",@progbits
; Kernel info:
; codeLenInByte = 0
; TotalNumSgprs: 0
; NumVgprs: 0
; ScratchSize: 0
; MemoryBound: 0
; FloatMode: 240
; IeeeMode: 1
; LDSByteSize: 0 bytes/workgroup (compile time only)
; SGPRBlocks: 0
; VGPRBlocks: 0
; NumSGPRsForWavesPerEU: 1
; NumVGPRsForWavesPerEU: 1
; NamedBarCnt: 0
; Occupancy: 16
; WaveLimiterHint : 0
; COMPUTE_PGM_RSRC2:SCRATCH_EN: 0
; COMPUTE_PGM_RSRC2:USER_SGPR: 2
; COMPUTE_PGM_RSRC2:TRAP_HANDLER: 0
; COMPUTE_PGM_RSRC2:TGID_X_EN: 1
; COMPUTE_PGM_RSRC2:TGID_Y_EN: 0
; COMPUTE_PGM_RSRC2:TGID_Z_EN: 0
; COMPUTE_PGM_RSRC2:TIDIG_COMP_CNT: 0
	.section	.text._ZN7rocprim17ROCPRIM_400000_NS6detail17trampoline_kernelINS0_14default_configENS1_38merge_sort_block_merge_config_selectorIlNS0_10empty_typeEEEZZNS1_27merge_sort_block_merge_implIS3_PlPS5_mZN2at6native12_GLOBAL__N_124unique_dim_cuda_templateIbEESt5tupleIJNSA_6TensorESF_SF_EERKSF_lbbbEUlllE_EE10hipError_tT0_T1_T2_jT3_P12ihipStream_tbPNSt15iterator_traitsISL_E10value_typeEPNSR_ISM_E10value_typeEPSN_NS1_7vsmem_tEENKUlT_SL_SM_SN_E_clIS8_S8_S9_S9_EESK_S10_SL_SM_SN_EUlS10_E1_NS1_11comp_targetILNS1_3genE0ELNS1_11target_archE4294967295ELNS1_3gpuE0ELNS1_3repE0EEENS1_36merge_oddeven_config_static_selectorELNS0_4arch9wavefront6targetE0EEEvSM_,"axG",@progbits,_ZN7rocprim17ROCPRIM_400000_NS6detail17trampoline_kernelINS0_14default_configENS1_38merge_sort_block_merge_config_selectorIlNS0_10empty_typeEEEZZNS1_27merge_sort_block_merge_implIS3_PlPS5_mZN2at6native12_GLOBAL__N_124unique_dim_cuda_templateIbEESt5tupleIJNSA_6TensorESF_SF_EERKSF_lbbbEUlllE_EE10hipError_tT0_T1_T2_jT3_P12ihipStream_tbPNSt15iterator_traitsISL_E10value_typeEPNSR_ISM_E10value_typeEPSN_NS1_7vsmem_tEENKUlT_SL_SM_SN_E_clIS8_S8_S9_S9_EESK_S10_SL_SM_SN_EUlS10_E1_NS1_11comp_targetILNS1_3genE0ELNS1_11target_archE4294967295ELNS1_3gpuE0ELNS1_3repE0EEENS1_36merge_oddeven_config_static_selectorELNS0_4arch9wavefront6targetE0EEEvSM_,comdat
	.globl	_ZN7rocprim17ROCPRIM_400000_NS6detail17trampoline_kernelINS0_14default_configENS1_38merge_sort_block_merge_config_selectorIlNS0_10empty_typeEEEZZNS1_27merge_sort_block_merge_implIS3_PlPS5_mZN2at6native12_GLOBAL__N_124unique_dim_cuda_templateIbEESt5tupleIJNSA_6TensorESF_SF_EERKSF_lbbbEUlllE_EE10hipError_tT0_T1_T2_jT3_P12ihipStream_tbPNSt15iterator_traitsISL_E10value_typeEPNSR_ISM_E10value_typeEPSN_NS1_7vsmem_tEENKUlT_SL_SM_SN_E_clIS8_S8_S9_S9_EESK_S10_SL_SM_SN_EUlS10_E1_NS1_11comp_targetILNS1_3genE0ELNS1_11target_archE4294967295ELNS1_3gpuE0ELNS1_3repE0EEENS1_36merge_oddeven_config_static_selectorELNS0_4arch9wavefront6targetE0EEEvSM_ ; -- Begin function _ZN7rocprim17ROCPRIM_400000_NS6detail17trampoline_kernelINS0_14default_configENS1_38merge_sort_block_merge_config_selectorIlNS0_10empty_typeEEEZZNS1_27merge_sort_block_merge_implIS3_PlPS5_mZN2at6native12_GLOBAL__N_124unique_dim_cuda_templateIbEESt5tupleIJNSA_6TensorESF_SF_EERKSF_lbbbEUlllE_EE10hipError_tT0_T1_T2_jT3_P12ihipStream_tbPNSt15iterator_traitsISL_E10value_typeEPNSR_ISM_E10value_typeEPSN_NS1_7vsmem_tEENKUlT_SL_SM_SN_E_clIS8_S8_S9_S9_EESK_S10_SL_SM_SN_EUlS10_E1_NS1_11comp_targetILNS1_3genE0ELNS1_11target_archE4294967295ELNS1_3gpuE0ELNS1_3repE0EEENS1_36merge_oddeven_config_static_selectorELNS0_4arch9wavefront6targetE0EEEvSM_
	.p2align	8
	.type	_ZN7rocprim17ROCPRIM_400000_NS6detail17trampoline_kernelINS0_14default_configENS1_38merge_sort_block_merge_config_selectorIlNS0_10empty_typeEEEZZNS1_27merge_sort_block_merge_implIS3_PlPS5_mZN2at6native12_GLOBAL__N_124unique_dim_cuda_templateIbEESt5tupleIJNSA_6TensorESF_SF_EERKSF_lbbbEUlllE_EE10hipError_tT0_T1_T2_jT3_P12ihipStream_tbPNSt15iterator_traitsISL_E10value_typeEPNSR_ISM_E10value_typeEPSN_NS1_7vsmem_tEENKUlT_SL_SM_SN_E_clIS8_S8_S9_S9_EESK_S10_SL_SM_SN_EUlS10_E1_NS1_11comp_targetILNS1_3genE0ELNS1_11target_archE4294967295ELNS1_3gpuE0ELNS1_3repE0EEENS1_36merge_oddeven_config_static_selectorELNS0_4arch9wavefront6targetE0EEEvSM_,@function
_ZN7rocprim17ROCPRIM_400000_NS6detail17trampoline_kernelINS0_14default_configENS1_38merge_sort_block_merge_config_selectorIlNS0_10empty_typeEEEZZNS1_27merge_sort_block_merge_implIS3_PlPS5_mZN2at6native12_GLOBAL__N_124unique_dim_cuda_templateIbEESt5tupleIJNSA_6TensorESF_SF_EERKSF_lbbbEUlllE_EE10hipError_tT0_T1_T2_jT3_P12ihipStream_tbPNSt15iterator_traitsISL_E10value_typeEPNSR_ISM_E10value_typeEPSN_NS1_7vsmem_tEENKUlT_SL_SM_SN_E_clIS8_S8_S9_S9_EESK_S10_SL_SM_SN_EUlS10_E1_NS1_11comp_targetILNS1_3genE0ELNS1_11target_archE4294967295ELNS1_3gpuE0ELNS1_3repE0EEENS1_36merge_oddeven_config_static_selectorELNS0_4arch9wavefront6targetE0EEEvSM_: ; @_ZN7rocprim17ROCPRIM_400000_NS6detail17trampoline_kernelINS0_14default_configENS1_38merge_sort_block_merge_config_selectorIlNS0_10empty_typeEEEZZNS1_27merge_sort_block_merge_implIS3_PlPS5_mZN2at6native12_GLOBAL__N_124unique_dim_cuda_templateIbEESt5tupleIJNSA_6TensorESF_SF_EERKSF_lbbbEUlllE_EE10hipError_tT0_T1_T2_jT3_P12ihipStream_tbPNSt15iterator_traitsISL_E10value_typeEPNSR_ISM_E10value_typeEPSN_NS1_7vsmem_tEENKUlT_SL_SM_SN_E_clIS8_S8_S9_S9_EESK_S10_SL_SM_SN_EUlS10_E1_NS1_11comp_targetILNS1_3genE0ELNS1_11target_archE4294967295ELNS1_3gpuE0ELNS1_3repE0EEENS1_36merge_oddeven_config_static_selectorELNS0_4arch9wavefront6targetE0EEEvSM_
; %bb.0:
	s_load_b32 s3, s[0:1], 0x20
	s_bfe_u32 s2, ttmp6, 0x4000c
	s_and_b32 s4, ttmp6, 15
	s_add_co_i32 s2, s2, 1
	s_getreg_b32 s5, hwreg(HW_REG_IB_STS2, 6, 4)
	s_mul_i32 s2, ttmp9, s2
	s_mov_b32 s13, 0
	s_add_co_i32 s4, s4, s2
	s_cmp_eq_u32 s5, 0
	s_cselect_b32 s9, ttmp9, s4
	s_wait_kmcnt 0x0
	s_lshr_b32 s2, s3, 8
	s_delay_alu instid0(SALU_CYCLE_1) | instskip(SKIP_4) | instid1(SALU_CYCLE_1)
	s_cmp_lg_u32 s9, s2
	s_cselect_b32 s8, -1, 0
	s_cmp_eq_u32 s9, s2
	s_cselect_b32 s16, -1, 0
	s_lshl_b32 s12, s9, 8
	s_sub_co_i32 s2, s3, s12
	s_delay_alu instid0(SALU_CYCLE_1) | instskip(SKIP_1) | instid1(SALU_CYCLE_1)
	v_cmp_gt_u32_e64 s2, s2, v0
	s_or_b32 s4, s8, s2
	s_and_saveexec_b32 s5, s4
	s_cbranch_execz .LBB1018_54
; %bb.1:
	s_clause 0x1
	s_load_b128 s[4:7], s[0:1], 0x0
	s_load_b32 s17, s[0:1], 0x28
	s_lshl_b64 s[10:11], s[12:13], 3
	s_wait_kmcnt 0x0
	s_add_nc_u64 s[10:11], s[4:5], s[10:11]
	global_load_b64 v[2:3], v0, s[10:11] scale_offset
	s_wait_xcnt 0x0
	s_lshr_b32 s10, s17, 8
	s_delay_alu instid0(SALU_CYCLE_1) | instskip(NEXT) | instid1(SALU_CYCLE_1)
	s_sub_co_i32 s11, 0, s10
	s_and_b32 s9, s9, s11
	s_delay_alu instid0(SALU_CYCLE_1) | instskip(NEXT) | instid1(SALU_CYCLE_1)
	s_and_b32 s10, s9, s10
	s_cmp_lg_u32 s10, 0
	s_cselect_b32 s14, -1, 0
	s_lshl_b32 s18, s9, 8
	s_sub_co_i32 s9, 0, s17
	s_cmp_eq_u32 s10, 0
	s_cselect_b32 s15, s17, s9
	s_delay_alu instid0(SALU_CYCLE_1) | instskip(NEXT) | instid1(SALU_CYCLE_1)
	s_add_co_i32 s15, s15, s18
	s_cmp_lt_u32 s15, s3
	s_cbranch_scc1 .LBB1018_3
; %bb.2:
	v_add_nc_u32_e32 v1, s12, v0
	s_delay_alu instid0(VALU_DEP_1) | instskip(SKIP_1) | instid1(SALU_CYCLE_1)
	v_cmp_gt_u32_e32 vcc_lo, s3, v1
	s_or_b32 s9, vcc_lo, s8
	s_and_b32 s13, s9, exec_lo
	s_cbranch_execz .LBB1018_4
	s_branch .LBB1018_52
.LBB1018_3:
                                        ; implicit-def: $vgpr1
.LBB1018_4:
	s_load_b128 s[8:11], s[0:1], 0x30
	v_add_nc_u32_e32 v0, s12, v0
	s_min_u32 s12, s15, s3
	s_and_b32 vcc_lo, exec_lo, s16
	s_wait_xcnt 0x0
	s_add_co_i32 s0, s18, s12
	s_delay_alu instid0(SALU_CYCLE_1) | instskip(SKIP_3) | instid1(VALU_DEP_1)
	v_subrev_nc_u32_e32 v0, s0, v0
	s_add_co_i32 s0, s12, s17
	s_min_u32 s17, s18, s12
	s_min_u32 s16, s0, s3
	v_add_nc_u32_e32 v12, s17, v0
	s_wait_loadcnt 0x0
	s_wait_kmcnt 0x0
	v_mul_u64_e32 v[4:5], s[8:9], v[2:3]
	v_cmp_gt_i64_e64 s1, s[8:9], 0
	s_cbranch_vccz .LBB1018_26
; %bb.5:
                                        ; implicit-def: $vgpr1
	s_and_saveexec_b32 s17, s2
	s_cbranch_execz .LBB1018_29
; %bb.6:
	v_mov_b32_e32 v13, s12
	s_cmp_ge_u32 s15, s16
	s_cbranch_scc1 .LBB1018_28
; %bb.7:
	v_add_nc_u64_e32 v[0:1], s[10:11], v[4:5]
	v_dual_mov_b32 v14, s16 :: v_dual_mov_b32 v13, s12
	s_mov_b32 s18, 0
	s_branch .LBB1018_10
.LBB1018_8:                             ;   in Loop: Header=BB1018_10 Depth=1
	s_or_b32 exec_lo, exec_lo, s20
.LBB1018_9:                             ;   in Loop: Header=BB1018_10 Depth=1
	s_wait_loadcnt 0x0
	v_dual_add_nc_u32 v6, 1, v15 :: v_dual_cndmask_b32 v14, v15, v14, s19
	s_delay_alu instid0(VALU_DEP_1) | instskip(NEXT) | instid1(VALU_DEP_1)
	v_cndmask_b32_e64 v13, v13, v6, s19
	v_cmp_ge_u32_e32 vcc_lo, v13, v14
	s_or_b32 s18, vcc_lo, s18
	s_delay_alu instid0(SALU_CYCLE_1)
	s_and_not1_b32 exec_lo, exec_lo, s18
	s_cbranch_execz .LBB1018_27
.LBB1018_10:                            ; =>This Loop Header: Depth=1
                                        ;     Child Loop BB1018_14 Depth 2
                                        ;     Child Loop BB1018_23 Depth 2
	s_delay_alu instid0(VALU_DEP_1) | instskip(SKIP_2) | instid1(VALU_DEP_1)
	v_add_nc_u32_e32 v6, v13, v14
	s_and_not1_b32 vcc_lo, exec_lo, s14
	s_mov_b32 s0, -1
                                        ; implicit-def: $sgpr19
	v_lshrrev_b32_e32 v15, 1, v6
	global_load_b64 v[6:7], v15, s[4:5] scale_offset
	s_cbranch_vccnz .LBB1018_19
; %bb.11:                               ;   in Loop: Header=BB1018_10 Depth=1
	s_and_not1_b32 vcc_lo, exec_lo, s1
	s_cbranch_vccnz .LBB1018_17
; %bb.12:                               ;   in Loop: Header=BB1018_10 Depth=1
	s_wait_loadcnt 0x0
	v_mad_nc_u64_u32 v[8:9], v6, s8, s[10:11]
	v_mov_b64_e32 v[10:11], v[0:1]
	s_mov_b32 s19, 0
	s_mov_b64 s[2:3], s[8:9]
                                        ; implicit-def: $sgpr20
                                        ; implicit-def: $sgpr21
                                        ; implicit-def: $sgpr22
                                        ; implicit-def: $sgpr23
	s_delay_alu instid0(VALU_DEP_2) | instskip(NEXT) | instid1(VALU_DEP_1)
	v_mad_u32 v9, v7, s8, v9
	v_mad_u32 v9, v6, s9, v9
	s_branch .LBB1018_14
.LBB1018_13:                            ;   in Loop: Header=BB1018_14 Depth=2
	s_or_b32 exec_lo, exec_lo, s0
	s_delay_alu instid0(SALU_CYCLE_1) | instskip(NEXT) | instid1(SALU_CYCLE_1)
	s_and_b32 s0, exec_lo, s21
	s_or_b32 s19, s0, s19
	s_and_not1_b32 s0, s23, exec_lo
	s_and_b32 s23, s24, exec_lo
	s_and_not1_b32 s20, s20, exec_lo
	s_and_b32 s24, s22, exec_lo
	s_or_b32 s23, s0, s23
	s_or_b32 s20, s20, s24
	s_and_not1_b32 exec_lo, exec_lo, s19
	s_cbranch_execz .LBB1018_16
.LBB1018_14:                            ;   Parent Loop BB1018_10 Depth=1
                                        ; =>  This Inner Loop Header: Depth=2
	global_load_u8 v16, v[10:11], off
	global_load_u8 v17, v[8:9], off
	s_and_not1_b32 s22, s22, exec_lo
	s_or_b32 s21, s21, exec_lo
	s_wait_loadcnt 0x1
	v_cmp_eq_u16_e32 vcc_lo, 0, v16
	s_wait_loadcnt 0x0
	v_cmp_ne_u16_e64 s0, 0, v17
	s_or_b32 s24, vcc_lo, s0
	s_and_b32 s25, vcc_lo, s0
	s_and_b32 s24, s24, s23
	s_xor_b32 s26, vcc_lo, s0
	s_or_b32 s24, s25, s24
	s_delay_alu instid0(SALU_CYCLE_1) | instskip(NEXT) | instid1(SALU_CYCLE_1)
	s_and_b32 s25, s24, exec_lo
	s_or_b32 s22, s22, s25
	s_and_saveexec_b32 s0, s26
	s_cbranch_execz .LBB1018_13
; %bb.15:                               ;   in Loop: Header=BB1018_14 Depth=2
	s_add_nc_u64 s[2:3], s[2:3], -1
	v_add_nc_u64_e32 v[10:11], 1, v[10:11]
	s_cmp_eq_u64 s[2:3], 0
	v_add_nc_u64_e32 v[8:9], 1, v[8:9]
	s_cselect_b32 s23, -1, 0
	s_and_not1_b32 s21, s21, exec_lo
	s_and_b32 s23, s23, exec_lo
	s_and_not1_b32 s22, s22, exec_lo
	s_or_b32 s21, s21, s23
                                        ; implicit-def: $sgpr23
	s_branch .LBB1018_13
.LBB1018_16:                            ;   in Loop: Header=BB1018_10 Depth=1
	s_or_b32 exec_lo, exec_lo, s19
	s_xor_b32 s19, s20, -1
	s_branch .LBB1018_18
.LBB1018_17:                            ;   in Loop: Header=BB1018_10 Depth=1
	s_mov_b32 s19, -1
.LBB1018_18:                            ;   in Loop: Header=BB1018_10 Depth=1
	s_mov_b32 s0, 0
.LBB1018_19:                            ;   in Loop: Header=BB1018_10 Depth=1
	s_delay_alu instid0(SALU_CYCLE_1)
	s_and_not1_b32 vcc_lo, exec_lo, s0
	s_cbranch_vccnz .LBB1018_9
; %bb.20:                               ;   in Loop: Header=BB1018_10 Depth=1
	s_and_not1_b32 vcc_lo, exec_lo, s1
	s_cbranch_vccnz .LBB1018_25
; %bb.21:                               ;   in Loop: Header=BB1018_10 Depth=1
	s_wait_loadcnt 0x0
	v_mad_nc_u64_u32 v[8:9], v6, s8, s[10:11]
	s_mov_b32 s20, 0
	s_mov_b64 s[2:3], s[8:9]
                                        ; implicit-def: $sgpr19
                                        ; implicit-def: $sgpr21
                                        ; implicit-def: $sgpr22
                                        ; implicit-def: $sgpr23
	s_delay_alu instid0(VALU_DEP_1) | instskip(NEXT) | instid1(VALU_DEP_1)
	v_mad_u32 v7, v7, s8, v9
	v_mad_u32 v9, v6, s9, v7
	v_mov_b64_e32 v[6:7], v[0:1]
	s_branch .LBB1018_23
.LBB1018_22:                            ;   in Loop: Header=BB1018_23 Depth=2
	s_or_b32 exec_lo, exec_lo, s0
	s_delay_alu instid0(SALU_CYCLE_1) | instskip(NEXT) | instid1(SALU_CYCLE_1)
	s_and_b32 s0, exec_lo, s21
	s_or_b32 s20, s0, s20
	s_and_not1_b32 s0, s23, exec_lo
	s_and_b32 s23, s24, exec_lo
	s_and_not1_b32 s19, s19, exec_lo
	s_and_b32 s24, s22, exec_lo
	s_or_b32 s23, s0, s23
	s_or_b32 s19, s19, s24
	s_and_not1_b32 exec_lo, exec_lo, s20
	s_cbranch_execz .LBB1018_8
.LBB1018_23:                            ;   Parent Loop BB1018_10 Depth=1
                                        ; =>  This Inner Loop Header: Depth=2
	global_load_u8 v10, v[8:9], off
	global_load_u8 v11, v[6:7], off
	s_and_not1_b32 s22, s22, exec_lo
	s_or_b32 s21, s21, exec_lo
	s_wait_loadcnt 0x1
	v_cmp_eq_u16_e32 vcc_lo, 0, v10
	s_wait_loadcnt 0x0
	v_cmp_ne_u16_e64 s0, 0, v11
	s_or_b32 s24, vcc_lo, s0
	s_and_b32 s25, vcc_lo, s0
	s_and_b32 s24, s24, s23
	s_xor_b32 s26, vcc_lo, s0
	s_or_b32 s24, s25, s24
	s_delay_alu instid0(SALU_CYCLE_1) | instskip(NEXT) | instid1(SALU_CYCLE_1)
	s_and_b32 s25, s24, exec_lo
	s_or_b32 s22, s22, s25
	s_and_saveexec_b32 s0, s26
	s_cbranch_execz .LBB1018_22
; %bb.24:                               ;   in Loop: Header=BB1018_23 Depth=2
	s_add_nc_u64 s[2:3], s[2:3], -1
	v_add_nc_u64_e32 v[8:9], 1, v[8:9]
	s_cmp_eq_u64 s[2:3], 0
	v_add_nc_u64_e32 v[6:7], 1, v[6:7]
	s_cselect_b32 s23, -1, 0
	s_and_not1_b32 s21, s21, exec_lo
	s_and_b32 s23, s23, exec_lo
	s_and_not1_b32 s22, s22, exec_lo
	s_or_b32 s21, s21, s23
                                        ; implicit-def: $sgpr23
	s_branch .LBB1018_22
.LBB1018_25:                            ;   in Loop: Header=BB1018_10 Depth=1
	s_mov_b32 s19, 0
	s_branch .LBB1018_9
.LBB1018_26:
                                        ; implicit-def: $vgpr1
	s_cbranch_execnz .LBB1018_30
	s_branch .LBB1018_52
.LBB1018_27:
	s_or_b32 exec_lo, exec_lo, s18
.LBB1018_28:
	s_delay_alu instid0(VALU_DEP_1)
	v_add_nc_u32_e32 v1, v13, v12
	s_or_b32 s13, s13, exec_lo
.LBB1018_29:
	s_or_b32 exec_lo, exec_lo, s17
	s_branch .LBB1018_52
.LBB1018_30:
	v_mov_b32_e32 v10, s12
	s_cmp_ge_u32 s15, s16
	s_cbranch_scc1 .LBB1018_51
; %bb.31:
	v_add_nc_u64_e32 v[0:1], s[10:11], v[4:5]
	v_dual_mov_b32 v11, s16 :: v_dual_mov_b32 v10, s12
	v_cndmask_b32_e64 v13, 0, 1, s1
	s_mov_b32 s12, 0
	s_branch .LBB1018_34
.LBB1018_32:                            ;   in Loop: Header=BB1018_34 Depth=1
	s_or_b32 exec_lo, exec_lo, s15
.LBB1018_33:                            ;   in Loop: Header=BB1018_34 Depth=1
	s_wait_loadcnt 0x0
	v_dual_add_nc_u32 v4, 1, v14 :: v_dual_cndmask_b32 v11, v14, v11, s13
	s_delay_alu instid0(VALU_DEP_1) | instskip(NEXT) | instid1(VALU_DEP_1)
	v_cndmask_b32_e64 v10, v10, v4, s13
	v_cmp_ge_u32_e32 vcc_lo, v10, v11
	s_or_b32 s12, vcc_lo, s12
	s_delay_alu instid0(SALU_CYCLE_1)
	s_and_not1_b32 exec_lo, exec_lo, s12
	s_cbranch_execz .LBB1018_50
.LBB1018_34:                            ; =>This Loop Header: Depth=1
                                        ;     Child Loop BB1018_38 Depth 2
                                        ;     Child Loop BB1018_47 Depth 2
	s_delay_alu instid0(VALU_DEP_2) | instskip(NEXT) | instid1(VALU_DEP_2)
	v_add_nc_u32_e32 v4, v10, v11
	v_cmp_ne_u32_e64 s0, 1, v13
	s_and_not1_b32 vcc_lo, exec_lo, s14
	s_mov_b32 s2, -1
                                        ; implicit-def: $sgpr13
	v_lshrrev_b32_e32 v14, 1, v4
	global_load_b64 v[4:5], v14, s[4:5] scale_offset
	s_cbranch_vccnz .LBB1018_43
; %bb.35:                               ;   in Loop: Header=BB1018_34 Depth=1
	s_and_b32 vcc_lo, exec_lo, s0
	s_cbranch_vccnz .LBB1018_41
; %bb.36:                               ;   in Loop: Header=BB1018_34 Depth=1
	s_wait_loadcnt 0x0
	v_mad_nc_u64_u32 v[6:7], v4, s8, s[10:11]
	v_mov_b64_e32 v[8:9], v[0:1]
	s_mov_b32 s13, 0
	s_mov_b64 s[2:3], s[8:9]
                                        ; implicit-def: $sgpr15
                                        ; implicit-def: $sgpr16
                                        ; implicit-def: $sgpr17
                                        ; implicit-def: $sgpr18
	s_delay_alu instid0(VALU_DEP_2) | instskip(NEXT) | instid1(VALU_DEP_1)
	v_mad_u32 v7, v5, s8, v7
	v_mad_u32 v7, v4, s9, v7
	s_branch .LBB1018_38
.LBB1018_37:                            ;   in Loop: Header=BB1018_38 Depth=2
	s_or_b32 exec_lo, exec_lo, s0
	s_delay_alu instid0(SALU_CYCLE_1) | instskip(NEXT) | instid1(SALU_CYCLE_1)
	s_and_b32 s0, exec_lo, s16
	s_or_b32 s13, s0, s13
	s_and_not1_b32 s0, s18, exec_lo
	s_and_b32 s18, s19, exec_lo
	s_and_not1_b32 s15, s15, exec_lo
	s_and_b32 s19, s17, exec_lo
	s_or_b32 s18, s0, s18
	s_or_b32 s15, s15, s19
	s_and_not1_b32 exec_lo, exec_lo, s13
	s_cbranch_execz .LBB1018_40
.LBB1018_38:                            ;   Parent Loop BB1018_34 Depth=1
                                        ; =>  This Inner Loop Header: Depth=2
	global_load_u8 v15, v[8:9], off
	global_load_u8 v16, v[6:7], off
	s_and_not1_b32 s17, s17, exec_lo
	s_or_b32 s16, s16, exec_lo
	s_wait_loadcnt 0x1
	v_cmp_eq_u16_e32 vcc_lo, 0, v15
	s_wait_loadcnt 0x0
	v_cmp_ne_u16_e64 s0, 0, v16
	s_or_b32 s19, vcc_lo, s0
	s_and_b32 s20, vcc_lo, s0
	s_and_b32 s19, s19, s18
	s_xor_b32 s21, vcc_lo, s0
	s_or_b32 s19, s20, s19
	s_delay_alu instid0(SALU_CYCLE_1) | instskip(NEXT) | instid1(SALU_CYCLE_1)
	s_and_b32 s20, s19, exec_lo
	s_or_b32 s17, s17, s20
	s_and_saveexec_b32 s0, s21
	s_cbranch_execz .LBB1018_37
; %bb.39:                               ;   in Loop: Header=BB1018_38 Depth=2
	s_add_nc_u64 s[2:3], s[2:3], -1
	v_add_nc_u64_e32 v[8:9], 1, v[8:9]
	s_cmp_eq_u64 s[2:3], 0
	v_add_nc_u64_e32 v[6:7], 1, v[6:7]
	s_cselect_b32 s18, -1, 0
	s_and_not1_b32 s16, s16, exec_lo
	s_and_b32 s18, s18, exec_lo
	s_and_not1_b32 s17, s17, exec_lo
	s_or_b32 s16, s16, s18
                                        ; implicit-def: $sgpr18
	s_branch .LBB1018_37
.LBB1018_40:                            ;   in Loop: Header=BB1018_34 Depth=1
	s_or_b32 exec_lo, exec_lo, s13
	s_xor_b32 s13, s15, -1
	s_branch .LBB1018_42
.LBB1018_41:                            ;   in Loop: Header=BB1018_34 Depth=1
	s_mov_b32 s13, -1
.LBB1018_42:                            ;   in Loop: Header=BB1018_34 Depth=1
	s_mov_b32 s2, 0
.LBB1018_43:                            ;   in Loop: Header=BB1018_34 Depth=1
	s_delay_alu instid0(SALU_CYCLE_1)
	s_and_not1_b32 vcc_lo, exec_lo, s2
	s_cbranch_vccnz .LBB1018_33
; %bb.44:                               ;   in Loop: Header=BB1018_34 Depth=1
	s_and_not1_b32 vcc_lo, exec_lo, s1
	s_cbranch_vccnz .LBB1018_49
; %bb.45:                               ;   in Loop: Header=BB1018_34 Depth=1
	s_wait_loadcnt 0x0
	v_mad_nc_u64_u32 v[6:7], v4, s8, s[10:11]
	s_mov_b32 s15, 0
	s_mov_b64 s[2:3], s[8:9]
                                        ; implicit-def: $sgpr13
                                        ; implicit-def: $sgpr16
                                        ; implicit-def: $sgpr17
                                        ; implicit-def: $sgpr18
	s_delay_alu instid0(VALU_DEP_1) | instskip(NEXT) | instid1(VALU_DEP_1)
	v_mad_u32 v5, v5, s8, v7
	v_mad_u32 v7, v4, s9, v5
	v_mov_b64_e32 v[4:5], v[0:1]
	s_branch .LBB1018_47
.LBB1018_46:                            ;   in Loop: Header=BB1018_47 Depth=2
	s_or_b32 exec_lo, exec_lo, s0
	s_delay_alu instid0(SALU_CYCLE_1) | instskip(NEXT) | instid1(SALU_CYCLE_1)
	s_and_b32 s0, exec_lo, s16
	s_or_b32 s15, s0, s15
	s_and_not1_b32 s0, s18, exec_lo
	s_and_b32 s18, s19, exec_lo
	s_and_not1_b32 s13, s13, exec_lo
	s_and_b32 s19, s17, exec_lo
	s_or_b32 s18, s0, s18
	s_or_b32 s13, s13, s19
	s_and_not1_b32 exec_lo, exec_lo, s15
	s_cbranch_execz .LBB1018_32
.LBB1018_47:                            ;   Parent Loop BB1018_34 Depth=1
                                        ; =>  This Inner Loop Header: Depth=2
	global_load_u8 v8, v[6:7], off
	global_load_u8 v9, v[4:5], off
	s_and_not1_b32 s17, s17, exec_lo
	s_or_b32 s16, s16, exec_lo
	s_wait_loadcnt 0x1
	v_cmp_eq_u16_e32 vcc_lo, 0, v8
	s_wait_loadcnt 0x0
	v_cmp_ne_u16_e64 s0, 0, v9
	s_or_b32 s19, vcc_lo, s0
	s_and_b32 s20, vcc_lo, s0
	s_and_b32 s19, s19, s18
	s_xor_b32 s21, vcc_lo, s0
	s_or_b32 s19, s20, s19
	s_delay_alu instid0(SALU_CYCLE_1) | instskip(NEXT) | instid1(SALU_CYCLE_1)
	s_and_b32 s20, s19, exec_lo
	s_or_b32 s17, s17, s20
	s_and_saveexec_b32 s0, s21
	s_cbranch_execz .LBB1018_46
; %bb.48:                               ;   in Loop: Header=BB1018_47 Depth=2
	s_add_nc_u64 s[2:3], s[2:3], -1
	v_add_nc_u64_e32 v[6:7], 1, v[6:7]
	s_cmp_eq_u64 s[2:3], 0
	v_add_nc_u64_e32 v[4:5], 1, v[4:5]
	s_cselect_b32 s18, -1, 0
	s_and_not1_b32 s16, s16, exec_lo
	s_and_b32 s18, s18, exec_lo
	s_and_not1_b32 s17, s17, exec_lo
	s_or_b32 s16, s16, s18
                                        ; implicit-def: $sgpr18
	s_branch .LBB1018_46
.LBB1018_49:                            ;   in Loop: Header=BB1018_34 Depth=1
	s_mov_b32 s13, 0
	s_branch .LBB1018_33
.LBB1018_50:
	s_or_b32 exec_lo, exec_lo, s12
.LBB1018_51:
	s_delay_alu instid0(VALU_DEP_1)
	v_add_nc_u32_e32 v1, v10, v12
	s_mov_b32 s13, -1
.LBB1018_52:
	s_delay_alu instid0(SALU_CYCLE_1)
	s_and_b32 exec_lo, exec_lo, s13
	s_cbranch_execz .LBB1018_54
; %bb.53:
	s_wait_loadcnt 0x0
	global_store_b64 v1, v[2:3], s[6:7] scale_offset
.LBB1018_54:
	s_endpgm
	.section	.rodata,"a",@progbits
	.p2align	6, 0x0
	.amdhsa_kernel _ZN7rocprim17ROCPRIM_400000_NS6detail17trampoline_kernelINS0_14default_configENS1_38merge_sort_block_merge_config_selectorIlNS0_10empty_typeEEEZZNS1_27merge_sort_block_merge_implIS3_PlPS5_mZN2at6native12_GLOBAL__N_124unique_dim_cuda_templateIbEESt5tupleIJNSA_6TensorESF_SF_EERKSF_lbbbEUlllE_EE10hipError_tT0_T1_T2_jT3_P12ihipStream_tbPNSt15iterator_traitsISL_E10value_typeEPNSR_ISM_E10value_typeEPSN_NS1_7vsmem_tEENKUlT_SL_SM_SN_E_clIS8_S8_S9_S9_EESK_S10_SL_SM_SN_EUlS10_E1_NS1_11comp_targetILNS1_3genE0ELNS1_11target_archE4294967295ELNS1_3gpuE0ELNS1_3repE0EEENS1_36merge_oddeven_config_static_selectorELNS0_4arch9wavefront6targetE0EEEvSM_
		.amdhsa_group_segment_fixed_size 0
		.amdhsa_private_segment_fixed_size 0
		.amdhsa_kernarg_size 64
		.amdhsa_user_sgpr_count 2
		.amdhsa_user_sgpr_dispatch_ptr 0
		.amdhsa_user_sgpr_queue_ptr 0
		.amdhsa_user_sgpr_kernarg_segment_ptr 1
		.amdhsa_user_sgpr_dispatch_id 0
		.amdhsa_user_sgpr_kernarg_preload_length 0
		.amdhsa_user_sgpr_kernarg_preload_offset 0
		.amdhsa_user_sgpr_private_segment_size 0
		.amdhsa_wavefront_size32 1
		.amdhsa_uses_dynamic_stack 0
		.amdhsa_enable_private_segment 0
		.amdhsa_system_sgpr_workgroup_id_x 1
		.amdhsa_system_sgpr_workgroup_id_y 0
		.amdhsa_system_sgpr_workgroup_id_z 0
		.amdhsa_system_sgpr_workgroup_info 0
		.amdhsa_system_vgpr_workitem_id 0
		.amdhsa_next_free_vgpr 18
		.amdhsa_next_free_sgpr 27
		.amdhsa_named_barrier_count 0
		.amdhsa_reserve_vcc 1
		.amdhsa_float_round_mode_32 0
		.amdhsa_float_round_mode_16_64 0
		.amdhsa_float_denorm_mode_32 3
		.amdhsa_float_denorm_mode_16_64 3
		.amdhsa_fp16_overflow 0
		.amdhsa_memory_ordered 1
		.amdhsa_forward_progress 1
		.amdhsa_inst_pref_size 14
		.amdhsa_round_robin_scheduling 0
		.amdhsa_exception_fp_ieee_invalid_op 0
		.amdhsa_exception_fp_denorm_src 0
		.amdhsa_exception_fp_ieee_div_zero 0
		.amdhsa_exception_fp_ieee_overflow 0
		.amdhsa_exception_fp_ieee_underflow 0
		.amdhsa_exception_fp_ieee_inexact 0
		.amdhsa_exception_int_div_zero 0
	.end_amdhsa_kernel
	.section	.text._ZN7rocprim17ROCPRIM_400000_NS6detail17trampoline_kernelINS0_14default_configENS1_38merge_sort_block_merge_config_selectorIlNS0_10empty_typeEEEZZNS1_27merge_sort_block_merge_implIS3_PlPS5_mZN2at6native12_GLOBAL__N_124unique_dim_cuda_templateIbEESt5tupleIJNSA_6TensorESF_SF_EERKSF_lbbbEUlllE_EE10hipError_tT0_T1_T2_jT3_P12ihipStream_tbPNSt15iterator_traitsISL_E10value_typeEPNSR_ISM_E10value_typeEPSN_NS1_7vsmem_tEENKUlT_SL_SM_SN_E_clIS8_S8_S9_S9_EESK_S10_SL_SM_SN_EUlS10_E1_NS1_11comp_targetILNS1_3genE0ELNS1_11target_archE4294967295ELNS1_3gpuE0ELNS1_3repE0EEENS1_36merge_oddeven_config_static_selectorELNS0_4arch9wavefront6targetE0EEEvSM_,"axG",@progbits,_ZN7rocprim17ROCPRIM_400000_NS6detail17trampoline_kernelINS0_14default_configENS1_38merge_sort_block_merge_config_selectorIlNS0_10empty_typeEEEZZNS1_27merge_sort_block_merge_implIS3_PlPS5_mZN2at6native12_GLOBAL__N_124unique_dim_cuda_templateIbEESt5tupleIJNSA_6TensorESF_SF_EERKSF_lbbbEUlllE_EE10hipError_tT0_T1_T2_jT3_P12ihipStream_tbPNSt15iterator_traitsISL_E10value_typeEPNSR_ISM_E10value_typeEPSN_NS1_7vsmem_tEENKUlT_SL_SM_SN_E_clIS8_S8_S9_S9_EESK_S10_SL_SM_SN_EUlS10_E1_NS1_11comp_targetILNS1_3genE0ELNS1_11target_archE4294967295ELNS1_3gpuE0ELNS1_3repE0EEENS1_36merge_oddeven_config_static_selectorELNS0_4arch9wavefront6targetE0EEEvSM_,comdat
.Lfunc_end1018:
	.size	_ZN7rocprim17ROCPRIM_400000_NS6detail17trampoline_kernelINS0_14default_configENS1_38merge_sort_block_merge_config_selectorIlNS0_10empty_typeEEEZZNS1_27merge_sort_block_merge_implIS3_PlPS5_mZN2at6native12_GLOBAL__N_124unique_dim_cuda_templateIbEESt5tupleIJNSA_6TensorESF_SF_EERKSF_lbbbEUlllE_EE10hipError_tT0_T1_T2_jT3_P12ihipStream_tbPNSt15iterator_traitsISL_E10value_typeEPNSR_ISM_E10value_typeEPSN_NS1_7vsmem_tEENKUlT_SL_SM_SN_E_clIS8_S8_S9_S9_EESK_S10_SL_SM_SN_EUlS10_E1_NS1_11comp_targetILNS1_3genE0ELNS1_11target_archE4294967295ELNS1_3gpuE0ELNS1_3repE0EEENS1_36merge_oddeven_config_static_selectorELNS0_4arch9wavefront6targetE0EEEvSM_, .Lfunc_end1018-_ZN7rocprim17ROCPRIM_400000_NS6detail17trampoline_kernelINS0_14default_configENS1_38merge_sort_block_merge_config_selectorIlNS0_10empty_typeEEEZZNS1_27merge_sort_block_merge_implIS3_PlPS5_mZN2at6native12_GLOBAL__N_124unique_dim_cuda_templateIbEESt5tupleIJNSA_6TensorESF_SF_EERKSF_lbbbEUlllE_EE10hipError_tT0_T1_T2_jT3_P12ihipStream_tbPNSt15iterator_traitsISL_E10value_typeEPNSR_ISM_E10value_typeEPSN_NS1_7vsmem_tEENKUlT_SL_SM_SN_E_clIS8_S8_S9_S9_EESK_S10_SL_SM_SN_EUlS10_E1_NS1_11comp_targetILNS1_3genE0ELNS1_11target_archE4294967295ELNS1_3gpuE0ELNS1_3repE0EEENS1_36merge_oddeven_config_static_selectorELNS0_4arch9wavefront6targetE0EEEvSM_
                                        ; -- End function
	.set _ZN7rocprim17ROCPRIM_400000_NS6detail17trampoline_kernelINS0_14default_configENS1_38merge_sort_block_merge_config_selectorIlNS0_10empty_typeEEEZZNS1_27merge_sort_block_merge_implIS3_PlPS5_mZN2at6native12_GLOBAL__N_124unique_dim_cuda_templateIbEESt5tupleIJNSA_6TensorESF_SF_EERKSF_lbbbEUlllE_EE10hipError_tT0_T1_T2_jT3_P12ihipStream_tbPNSt15iterator_traitsISL_E10value_typeEPNSR_ISM_E10value_typeEPSN_NS1_7vsmem_tEENKUlT_SL_SM_SN_E_clIS8_S8_S9_S9_EESK_S10_SL_SM_SN_EUlS10_E1_NS1_11comp_targetILNS1_3genE0ELNS1_11target_archE4294967295ELNS1_3gpuE0ELNS1_3repE0EEENS1_36merge_oddeven_config_static_selectorELNS0_4arch9wavefront6targetE0EEEvSM_.num_vgpr, 18
	.set _ZN7rocprim17ROCPRIM_400000_NS6detail17trampoline_kernelINS0_14default_configENS1_38merge_sort_block_merge_config_selectorIlNS0_10empty_typeEEEZZNS1_27merge_sort_block_merge_implIS3_PlPS5_mZN2at6native12_GLOBAL__N_124unique_dim_cuda_templateIbEESt5tupleIJNSA_6TensorESF_SF_EERKSF_lbbbEUlllE_EE10hipError_tT0_T1_T2_jT3_P12ihipStream_tbPNSt15iterator_traitsISL_E10value_typeEPNSR_ISM_E10value_typeEPSN_NS1_7vsmem_tEENKUlT_SL_SM_SN_E_clIS8_S8_S9_S9_EESK_S10_SL_SM_SN_EUlS10_E1_NS1_11comp_targetILNS1_3genE0ELNS1_11target_archE4294967295ELNS1_3gpuE0ELNS1_3repE0EEENS1_36merge_oddeven_config_static_selectorELNS0_4arch9wavefront6targetE0EEEvSM_.num_agpr, 0
	.set _ZN7rocprim17ROCPRIM_400000_NS6detail17trampoline_kernelINS0_14default_configENS1_38merge_sort_block_merge_config_selectorIlNS0_10empty_typeEEEZZNS1_27merge_sort_block_merge_implIS3_PlPS5_mZN2at6native12_GLOBAL__N_124unique_dim_cuda_templateIbEESt5tupleIJNSA_6TensorESF_SF_EERKSF_lbbbEUlllE_EE10hipError_tT0_T1_T2_jT3_P12ihipStream_tbPNSt15iterator_traitsISL_E10value_typeEPNSR_ISM_E10value_typeEPSN_NS1_7vsmem_tEENKUlT_SL_SM_SN_E_clIS8_S8_S9_S9_EESK_S10_SL_SM_SN_EUlS10_E1_NS1_11comp_targetILNS1_3genE0ELNS1_11target_archE4294967295ELNS1_3gpuE0ELNS1_3repE0EEENS1_36merge_oddeven_config_static_selectorELNS0_4arch9wavefront6targetE0EEEvSM_.numbered_sgpr, 27
	.set _ZN7rocprim17ROCPRIM_400000_NS6detail17trampoline_kernelINS0_14default_configENS1_38merge_sort_block_merge_config_selectorIlNS0_10empty_typeEEEZZNS1_27merge_sort_block_merge_implIS3_PlPS5_mZN2at6native12_GLOBAL__N_124unique_dim_cuda_templateIbEESt5tupleIJNSA_6TensorESF_SF_EERKSF_lbbbEUlllE_EE10hipError_tT0_T1_T2_jT3_P12ihipStream_tbPNSt15iterator_traitsISL_E10value_typeEPNSR_ISM_E10value_typeEPSN_NS1_7vsmem_tEENKUlT_SL_SM_SN_E_clIS8_S8_S9_S9_EESK_S10_SL_SM_SN_EUlS10_E1_NS1_11comp_targetILNS1_3genE0ELNS1_11target_archE4294967295ELNS1_3gpuE0ELNS1_3repE0EEENS1_36merge_oddeven_config_static_selectorELNS0_4arch9wavefront6targetE0EEEvSM_.num_named_barrier, 0
	.set _ZN7rocprim17ROCPRIM_400000_NS6detail17trampoline_kernelINS0_14default_configENS1_38merge_sort_block_merge_config_selectorIlNS0_10empty_typeEEEZZNS1_27merge_sort_block_merge_implIS3_PlPS5_mZN2at6native12_GLOBAL__N_124unique_dim_cuda_templateIbEESt5tupleIJNSA_6TensorESF_SF_EERKSF_lbbbEUlllE_EE10hipError_tT0_T1_T2_jT3_P12ihipStream_tbPNSt15iterator_traitsISL_E10value_typeEPNSR_ISM_E10value_typeEPSN_NS1_7vsmem_tEENKUlT_SL_SM_SN_E_clIS8_S8_S9_S9_EESK_S10_SL_SM_SN_EUlS10_E1_NS1_11comp_targetILNS1_3genE0ELNS1_11target_archE4294967295ELNS1_3gpuE0ELNS1_3repE0EEENS1_36merge_oddeven_config_static_selectorELNS0_4arch9wavefront6targetE0EEEvSM_.private_seg_size, 0
	.set _ZN7rocprim17ROCPRIM_400000_NS6detail17trampoline_kernelINS0_14default_configENS1_38merge_sort_block_merge_config_selectorIlNS0_10empty_typeEEEZZNS1_27merge_sort_block_merge_implIS3_PlPS5_mZN2at6native12_GLOBAL__N_124unique_dim_cuda_templateIbEESt5tupleIJNSA_6TensorESF_SF_EERKSF_lbbbEUlllE_EE10hipError_tT0_T1_T2_jT3_P12ihipStream_tbPNSt15iterator_traitsISL_E10value_typeEPNSR_ISM_E10value_typeEPSN_NS1_7vsmem_tEENKUlT_SL_SM_SN_E_clIS8_S8_S9_S9_EESK_S10_SL_SM_SN_EUlS10_E1_NS1_11comp_targetILNS1_3genE0ELNS1_11target_archE4294967295ELNS1_3gpuE0ELNS1_3repE0EEENS1_36merge_oddeven_config_static_selectorELNS0_4arch9wavefront6targetE0EEEvSM_.uses_vcc, 1
	.set _ZN7rocprim17ROCPRIM_400000_NS6detail17trampoline_kernelINS0_14default_configENS1_38merge_sort_block_merge_config_selectorIlNS0_10empty_typeEEEZZNS1_27merge_sort_block_merge_implIS3_PlPS5_mZN2at6native12_GLOBAL__N_124unique_dim_cuda_templateIbEESt5tupleIJNSA_6TensorESF_SF_EERKSF_lbbbEUlllE_EE10hipError_tT0_T1_T2_jT3_P12ihipStream_tbPNSt15iterator_traitsISL_E10value_typeEPNSR_ISM_E10value_typeEPSN_NS1_7vsmem_tEENKUlT_SL_SM_SN_E_clIS8_S8_S9_S9_EESK_S10_SL_SM_SN_EUlS10_E1_NS1_11comp_targetILNS1_3genE0ELNS1_11target_archE4294967295ELNS1_3gpuE0ELNS1_3repE0EEENS1_36merge_oddeven_config_static_selectorELNS0_4arch9wavefront6targetE0EEEvSM_.uses_flat_scratch, 0
	.set _ZN7rocprim17ROCPRIM_400000_NS6detail17trampoline_kernelINS0_14default_configENS1_38merge_sort_block_merge_config_selectorIlNS0_10empty_typeEEEZZNS1_27merge_sort_block_merge_implIS3_PlPS5_mZN2at6native12_GLOBAL__N_124unique_dim_cuda_templateIbEESt5tupleIJNSA_6TensorESF_SF_EERKSF_lbbbEUlllE_EE10hipError_tT0_T1_T2_jT3_P12ihipStream_tbPNSt15iterator_traitsISL_E10value_typeEPNSR_ISM_E10value_typeEPSN_NS1_7vsmem_tEENKUlT_SL_SM_SN_E_clIS8_S8_S9_S9_EESK_S10_SL_SM_SN_EUlS10_E1_NS1_11comp_targetILNS1_3genE0ELNS1_11target_archE4294967295ELNS1_3gpuE0ELNS1_3repE0EEENS1_36merge_oddeven_config_static_selectorELNS0_4arch9wavefront6targetE0EEEvSM_.has_dyn_sized_stack, 0
	.set _ZN7rocprim17ROCPRIM_400000_NS6detail17trampoline_kernelINS0_14default_configENS1_38merge_sort_block_merge_config_selectorIlNS0_10empty_typeEEEZZNS1_27merge_sort_block_merge_implIS3_PlPS5_mZN2at6native12_GLOBAL__N_124unique_dim_cuda_templateIbEESt5tupleIJNSA_6TensorESF_SF_EERKSF_lbbbEUlllE_EE10hipError_tT0_T1_T2_jT3_P12ihipStream_tbPNSt15iterator_traitsISL_E10value_typeEPNSR_ISM_E10value_typeEPSN_NS1_7vsmem_tEENKUlT_SL_SM_SN_E_clIS8_S8_S9_S9_EESK_S10_SL_SM_SN_EUlS10_E1_NS1_11comp_targetILNS1_3genE0ELNS1_11target_archE4294967295ELNS1_3gpuE0ELNS1_3repE0EEENS1_36merge_oddeven_config_static_selectorELNS0_4arch9wavefront6targetE0EEEvSM_.has_recursion, 0
	.set _ZN7rocprim17ROCPRIM_400000_NS6detail17trampoline_kernelINS0_14default_configENS1_38merge_sort_block_merge_config_selectorIlNS0_10empty_typeEEEZZNS1_27merge_sort_block_merge_implIS3_PlPS5_mZN2at6native12_GLOBAL__N_124unique_dim_cuda_templateIbEESt5tupleIJNSA_6TensorESF_SF_EERKSF_lbbbEUlllE_EE10hipError_tT0_T1_T2_jT3_P12ihipStream_tbPNSt15iterator_traitsISL_E10value_typeEPNSR_ISM_E10value_typeEPSN_NS1_7vsmem_tEENKUlT_SL_SM_SN_E_clIS8_S8_S9_S9_EESK_S10_SL_SM_SN_EUlS10_E1_NS1_11comp_targetILNS1_3genE0ELNS1_11target_archE4294967295ELNS1_3gpuE0ELNS1_3repE0EEENS1_36merge_oddeven_config_static_selectorELNS0_4arch9wavefront6targetE0EEEvSM_.has_indirect_call, 0
	.section	.AMDGPU.csdata,"",@progbits
; Kernel info:
; codeLenInByte = 1692
; TotalNumSgprs: 29
; NumVgprs: 18
; ScratchSize: 0
; MemoryBound: 0
; FloatMode: 240
; IeeeMode: 1
; LDSByteSize: 0 bytes/workgroup (compile time only)
; SGPRBlocks: 0
; VGPRBlocks: 1
; NumSGPRsForWavesPerEU: 29
; NumVGPRsForWavesPerEU: 18
; NamedBarCnt: 0
; Occupancy: 16
; WaveLimiterHint : 0
; COMPUTE_PGM_RSRC2:SCRATCH_EN: 0
; COMPUTE_PGM_RSRC2:USER_SGPR: 2
; COMPUTE_PGM_RSRC2:TRAP_HANDLER: 0
; COMPUTE_PGM_RSRC2:TGID_X_EN: 1
; COMPUTE_PGM_RSRC2:TGID_Y_EN: 0
; COMPUTE_PGM_RSRC2:TGID_Z_EN: 0
; COMPUTE_PGM_RSRC2:TIDIG_COMP_CNT: 0
	.section	.text._ZN7rocprim17ROCPRIM_400000_NS6detail17trampoline_kernelINS0_14default_configENS1_38merge_sort_block_merge_config_selectorIlNS0_10empty_typeEEEZZNS1_27merge_sort_block_merge_implIS3_PlPS5_mZN2at6native12_GLOBAL__N_124unique_dim_cuda_templateIbEESt5tupleIJNSA_6TensorESF_SF_EERKSF_lbbbEUlllE_EE10hipError_tT0_T1_T2_jT3_P12ihipStream_tbPNSt15iterator_traitsISL_E10value_typeEPNSR_ISM_E10value_typeEPSN_NS1_7vsmem_tEENKUlT_SL_SM_SN_E_clIS8_S8_S9_S9_EESK_S10_SL_SM_SN_EUlS10_E1_NS1_11comp_targetILNS1_3genE10ELNS1_11target_archE1201ELNS1_3gpuE5ELNS1_3repE0EEENS1_36merge_oddeven_config_static_selectorELNS0_4arch9wavefront6targetE0EEEvSM_,"axG",@progbits,_ZN7rocprim17ROCPRIM_400000_NS6detail17trampoline_kernelINS0_14default_configENS1_38merge_sort_block_merge_config_selectorIlNS0_10empty_typeEEEZZNS1_27merge_sort_block_merge_implIS3_PlPS5_mZN2at6native12_GLOBAL__N_124unique_dim_cuda_templateIbEESt5tupleIJNSA_6TensorESF_SF_EERKSF_lbbbEUlllE_EE10hipError_tT0_T1_T2_jT3_P12ihipStream_tbPNSt15iterator_traitsISL_E10value_typeEPNSR_ISM_E10value_typeEPSN_NS1_7vsmem_tEENKUlT_SL_SM_SN_E_clIS8_S8_S9_S9_EESK_S10_SL_SM_SN_EUlS10_E1_NS1_11comp_targetILNS1_3genE10ELNS1_11target_archE1201ELNS1_3gpuE5ELNS1_3repE0EEENS1_36merge_oddeven_config_static_selectorELNS0_4arch9wavefront6targetE0EEEvSM_,comdat
	.globl	_ZN7rocprim17ROCPRIM_400000_NS6detail17trampoline_kernelINS0_14default_configENS1_38merge_sort_block_merge_config_selectorIlNS0_10empty_typeEEEZZNS1_27merge_sort_block_merge_implIS3_PlPS5_mZN2at6native12_GLOBAL__N_124unique_dim_cuda_templateIbEESt5tupleIJNSA_6TensorESF_SF_EERKSF_lbbbEUlllE_EE10hipError_tT0_T1_T2_jT3_P12ihipStream_tbPNSt15iterator_traitsISL_E10value_typeEPNSR_ISM_E10value_typeEPSN_NS1_7vsmem_tEENKUlT_SL_SM_SN_E_clIS8_S8_S9_S9_EESK_S10_SL_SM_SN_EUlS10_E1_NS1_11comp_targetILNS1_3genE10ELNS1_11target_archE1201ELNS1_3gpuE5ELNS1_3repE0EEENS1_36merge_oddeven_config_static_selectorELNS0_4arch9wavefront6targetE0EEEvSM_ ; -- Begin function _ZN7rocprim17ROCPRIM_400000_NS6detail17trampoline_kernelINS0_14default_configENS1_38merge_sort_block_merge_config_selectorIlNS0_10empty_typeEEEZZNS1_27merge_sort_block_merge_implIS3_PlPS5_mZN2at6native12_GLOBAL__N_124unique_dim_cuda_templateIbEESt5tupleIJNSA_6TensorESF_SF_EERKSF_lbbbEUlllE_EE10hipError_tT0_T1_T2_jT3_P12ihipStream_tbPNSt15iterator_traitsISL_E10value_typeEPNSR_ISM_E10value_typeEPSN_NS1_7vsmem_tEENKUlT_SL_SM_SN_E_clIS8_S8_S9_S9_EESK_S10_SL_SM_SN_EUlS10_E1_NS1_11comp_targetILNS1_3genE10ELNS1_11target_archE1201ELNS1_3gpuE5ELNS1_3repE0EEENS1_36merge_oddeven_config_static_selectorELNS0_4arch9wavefront6targetE0EEEvSM_
	.p2align	8
	.type	_ZN7rocprim17ROCPRIM_400000_NS6detail17trampoline_kernelINS0_14default_configENS1_38merge_sort_block_merge_config_selectorIlNS0_10empty_typeEEEZZNS1_27merge_sort_block_merge_implIS3_PlPS5_mZN2at6native12_GLOBAL__N_124unique_dim_cuda_templateIbEESt5tupleIJNSA_6TensorESF_SF_EERKSF_lbbbEUlllE_EE10hipError_tT0_T1_T2_jT3_P12ihipStream_tbPNSt15iterator_traitsISL_E10value_typeEPNSR_ISM_E10value_typeEPSN_NS1_7vsmem_tEENKUlT_SL_SM_SN_E_clIS8_S8_S9_S9_EESK_S10_SL_SM_SN_EUlS10_E1_NS1_11comp_targetILNS1_3genE10ELNS1_11target_archE1201ELNS1_3gpuE5ELNS1_3repE0EEENS1_36merge_oddeven_config_static_selectorELNS0_4arch9wavefront6targetE0EEEvSM_,@function
_ZN7rocprim17ROCPRIM_400000_NS6detail17trampoline_kernelINS0_14default_configENS1_38merge_sort_block_merge_config_selectorIlNS0_10empty_typeEEEZZNS1_27merge_sort_block_merge_implIS3_PlPS5_mZN2at6native12_GLOBAL__N_124unique_dim_cuda_templateIbEESt5tupleIJNSA_6TensorESF_SF_EERKSF_lbbbEUlllE_EE10hipError_tT0_T1_T2_jT3_P12ihipStream_tbPNSt15iterator_traitsISL_E10value_typeEPNSR_ISM_E10value_typeEPSN_NS1_7vsmem_tEENKUlT_SL_SM_SN_E_clIS8_S8_S9_S9_EESK_S10_SL_SM_SN_EUlS10_E1_NS1_11comp_targetILNS1_3genE10ELNS1_11target_archE1201ELNS1_3gpuE5ELNS1_3repE0EEENS1_36merge_oddeven_config_static_selectorELNS0_4arch9wavefront6targetE0EEEvSM_: ; @_ZN7rocprim17ROCPRIM_400000_NS6detail17trampoline_kernelINS0_14default_configENS1_38merge_sort_block_merge_config_selectorIlNS0_10empty_typeEEEZZNS1_27merge_sort_block_merge_implIS3_PlPS5_mZN2at6native12_GLOBAL__N_124unique_dim_cuda_templateIbEESt5tupleIJNSA_6TensorESF_SF_EERKSF_lbbbEUlllE_EE10hipError_tT0_T1_T2_jT3_P12ihipStream_tbPNSt15iterator_traitsISL_E10value_typeEPNSR_ISM_E10value_typeEPSN_NS1_7vsmem_tEENKUlT_SL_SM_SN_E_clIS8_S8_S9_S9_EESK_S10_SL_SM_SN_EUlS10_E1_NS1_11comp_targetILNS1_3genE10ELNS1_11target_archE1201ELNS1_3gpuE5ELNS1_3repE0EEENS1_36merge_oddeven_config_static_selectorELNS0_4arch9wavefront6targetE0EEEvSM_
; %bb.0:
	.section	.rodata,"a",@progbits
	.p2align	6, 0x0
	.amdhsa_kernel _ZN7rocprim17ROCPRIM_400000_NS6detail17trampoline_kernelINS0_14default_configENS1_38merge_sort_block_merge_config_selectorIlNS0_10empty_typeEEEZZNS1_27merge_sort_block_merge_implIS3_PlPS5_mZN2at6native12_GLOBAL__N_124unique_dim_cuda_templateIbEESt5tupleIJNSA_6TensorESF_SF_EERKSF_lbbbEUlllE_EE10hipError_tT0_T1_T2_jT3_P12ihipStream_tbPNSt15iterator_traitsISL_E10value_typeEPNSR_ISM_E10value_typeEPSN_NS1_7vsmem_tEENKUlT_SL_SM_SN_E_clIS8_S8_S9_S9_EESK_S10_SL_SM_SN_EUlS10_E1_NS1_11comp_targetILNS1_3genE10ELNS1_11target_archE1201ELNS1_3gpuE5ELNS1_3repE0EEENS1_36merge_oddeven_config_static_selectorELNS0_4arch9wavefront6targetE0EEEvSM_
		.amdhsa_group_segment_fixed_size 0
		.amdhsa_private_segment_fixed_size 0
		.amdhsa_kernarg_size 64
		.amdhsa_user_sgpr_count 2
		.amdhsa_user_sgpr_dispatch_ptr 0
		.amdhsa_user_sgpr_queue_ptr 0
		.amdhsa_user_sgpr_kernarg_segment_ptr 1
		.amdhsa_user_sgpr_dispatch_id 0
		.amdhsa_user_sgpr_kernarg_preload_length 0
		.amdhsa_user_sgpr_kernarg_preload_offset 0
		.amdhsa_user_sgpr_private_segment_size 0
		.amdhsa_wavefront_size32 1
		.amdhsa_uses_dynamic_stack 0
		.amdhsa_enable_private_segment 0
		.amdhsa_system_sgpr_workgroup_id_x 1
		.amdhsa_system_sgpr_workgroup_id_y 0
		.amdhsa_system_sgpr_workgroup_id_z 0
		.amdhsa_system_sgpr_workgroup_info 0
		.amdhsa_system_vgpr_workitem_id 0
		.amdhsa_next_free_vgpr 1
		.amdhsa_next_free_sgpr 1
		.amdhsa_named_barrier_count 0
		.amdhsa_reserve_vcc 0
		.amdhsa_float_round_mode_32 0
		.amdhsa_float_round_mode_16_64 0
		.amdhsa_float_denorm_mode_32 3
		.amdhsa_float_denorm_mode_16_64 3
		.amdhsa_fp16_overflow 0
		.amdhsa_memory_ordered 1
		.amdhsa_forward_progress 1
		.amdhsa_inst_pref_size 0
		.amdhsa_round_robin_scheduling 0
		.amdhsa_exception_fp_ieee_invalid_op 0
		.amdhsa_exception_fp_denorm_src 0
		.amdhsa_exception_fp_ieee_div_zero 0
		.amdhsa_exception_fp_ieee_overflow 0
		.amdhsa_exception_fp_ieee_underflow 0
		.amdhsa_exception_fp_ieee_inexact 0
		.amdhsa_exception_int_div_zero 0
	.end_amdhsa_kernel
	.section	.text._ZN7rocprim17ROCPRIM_400000_NS6detail17trampoline_kernelINS0_14default_configENS1_38merge_sort_block_merge_config_selectorIlNS0_10empty_typeEEEZZNS1_27merge_sort_block_merge_implIS3_PlPS5_mZN2at6native12_GLOBAL__N_124unique_dim_cuda_templateIbEESt5tupleIJNSA_6TensorESF_SF_EERKSF_lbbbEUlllE_EE10hipError_tT0_T1_T2_jT3_P12ihipStream_tbPNSt15iterator_traitsISL_E10value_typeEPNSR_ISM_E10value_typeEPSN_NS1_7vsmem_tEENKUlT_SL_SM_SN_E_clIS8_S8_S9_S9_EESK_S10_SL_SM_SN_EUlS10_E1_NS1_11comp_targetILNS1_3genE10ELNS1_11target_archE1201ELNS1_3gpuE5ELNS1_3repE0EEENS1_36merge_oddeven_config_static_selectorELNS0_4arch9wavefront6targetE0EEEvSM_,"axG",@progbits,_ZN7rocprim17ROCPRIM_400000_NS6detail17trampoline_kernelINS0_14default_configENS1_38merge_sort_block_merge_config_selectorIlNS0_10empty_typeEEEZZNS1_27merge_sort_block_merge_implIS3_PlPS5_mZN2at6native12_GLOBAL__N_124unique_dim_cuda_templateIbEESt5tupleIJNSA_6TensorESF_SF_EERKSF_lbbbEUlllE_EE10hipError_tT0_T1_T2_jT3_P12ihipStream_tbPNSt15iterator_traitsISL_E10value_typeEPNSR_ISM_E10value_typeEPSN_NS1_7vsmem_tEENKUlT_SL_SM_SN_E_clIS8_S8_S9_S9_EESK_S10_SL_SM_SN_EUlS10_E1_NS1_11comp_targetILNS1_3genE10ELNS1_11target_archE1201ELNS1_3gpuE5ELNS1_3repE0EEENS1_36merge_oddeven_config_static_selectorELNS0_4arch9wavefront6targetE0EEEvSM_,comdat
.Lfunc_end1019:
	.size	_ZN7rocprim17ROCPRIM_400000_NS6detail17trampoline_kernelINS0_14default_configENS1_38merge_sort_block_merge_config_selectorIlNS0_10empty_typeEEEZZNS1_27merge_sort_block_merge_implIS3_PlPS5_mZN2at6native12_GLOBAL__N_124unique_dim_cuda_templateIbEESt5tupleIJNSA_6TensorESF_SF_EERKSF_lbbbEUlllE_EE10hipError_tT0_T1_T2_jT3_P12ihipStream_tbPNSt15iterator_traitsISL_E10value_typeEPNSR_ISM_E10value_typeEPSN_NS1_7vsmem_tEENKUlT_SL_SM_SN_E_clIS8_S8_S9_S9_EESK_S10_SL_SM_SN_EUlS10_E1_NS1_11comp_targetILNS1_3genE10ELNS1_11target_archE1201ELNS1_3gpuE5ELNS1_3repE0EEENS1_36merge_oddeven_config_static_selectorELNS0_4arch9wavefront6targetE0EEEvSM_, .Lfunc_end1019-_ZN7rocprim17ROCPRIM_400000_NS6detail17trampoline_kernelINS0_14default_configENS1_38merge_sort_block_merge_config_selectorIlNS0_10empty_typeEEEZZNS1_27merge_sort_block_merge_implIS3_PlPS5_mZN2at6native12_GLOBAL__N_124unique_dim_cuda_templateIbEESt5tupleIJNSA_6TensorESF_SF_EERKSF_lbbbEUlllE_EE10hipError_tT0_T1_T2_jT3_P12ihipStream_tbPNSt15iterator_traitsISL_E10value_typeEPNSR_ISM_E10value_typeEPSN_NS1_7vsmem_tEENKUlT_SL_SM_SN_E_clIS8_S8_S9_S9_EESK_S10_SL_SM_SN_EUlS10_E1_NS1_11comp_targetILNS1_3genE10ELNS1_11target_archE1201ELNS1_3gpuE5ELNS1_3repE0EEENS1_36merge_oddeven_config_static_selectorELNS0_4arch9wavefront6targetE0EEEvSM_
                                        ; -- End function
	.set _ZN7rocprim17ROCPRIM_400000_NS6detail17trampoline_kernelINS0_14default_configENS1_38merge_sort_block_merge_config_selectorIlNS0_10empty_typeEEEZZNS1_27merge_sort_block_merge_implIS3_PlPS5_mZN2at6native12_GLOBAL__N_124unique_dim_cuda_templateIbEESt5tupleIJNSA_6TensorESF_SF_EERKSF_lbbbEUlllE_EE10hipError_tT0_T1_T2_jT3_P12ihipStream_tbPNSt15iterator_traitsISL_E10value_typeEPNSR_ISM_E10value_typeEPSN_NS1_7vsmem_tEENKUlT_SL_SM_SN_E_clIS8_S8_S9_S9_EESK_S10_SL_SM_SN_EUlS10_E1_NS1_11comp_targetILNS1_3genE10ELNS1_11target_archE1201ELNS1_3gpuE5ELNS1_3repE0EEENS1_36merge_oddeven_config_static_selectorELNS0_4arch9wavefront6targetE0EEEvSM_.num_vgpr, 0
	.set _ZN7rocprim17ROCPRIM_400000_NS6detail17trampoline_kernelINS0_14default_configENS1_38merge_sort_block_merge_config_selectorIlNS0_10empty_typeEEEZZNS1_27merge_sort_block_merge_implIS3_PlPS5_mZN2at6native12_GLOBAL__N_124unique_dim_cuda_templateIbEESt5tupleIJNSA_6TensorESF_SF_EERKSF_lbbbEUlllE_EE10hipError_tT0_T1_T2_jT3_P12ihipStream_tbPNSt15iterator_traitsISL_E10value_typeEPNSR_ISM_E10value_typeEPSN_NS1_7vsmem_tEENKUlT_SL_SM_SN_E_clIS8_S8_S9_S9_EESK_S10_SL_SM_SN_EUlS10_E1_NS1_11comp_targetILNS1_3genE10ELNS1_11target_archE1201ELNS1_3gpuE5ELNS1_3repE0EEENS1_36merge_oddeven_config_static_selectorELNS0_4arch9wavefront6targetE0EEEvSM_.num_agpr, 0
	.set _ZN7rocprim17ROCPRIM_400000_NS6detail17trampoline_kernelINS0_14default_configENS1_38merge_sort_block_merge_config_selectorIlNS0_10empty_typeEEEZZNS1_27merge_sort_block_merge_implIS3_PlPS5_mZN2at6native12_GLOBAL__N_124unique_dim_cuda_templateIbEESt5tupleIJNSA_6TensorESF_SF_EERKSF_lbbbEUlllE_EE10hipError_tT0_T1_T2_jT3_P12ihipStream_tbPNSt15iterator_traitsISL_E10value_typeEPNSR_ISM_E10value_typeEPSN_NS1_7vsmem_tEENKUlT_SL_SM_SN_E_clIS8_S8_S9_S9_EESK_S10_SL_SM_SN_EUlS10_E1_NS1_11comp_targetILNS1_3genE10ELNS1_11target_archE1201ELNS1_3gpuE5ELNS1_3repE0EEENS1_36merge_oddeven_config_static_selectorELNS0_4arch9wavefront6targetE0EEEvSM_.numbered_sgpr, 0
	.set _ZN7rocprim17ROCPRIM_400000_NS6detail17trampoline_kernelINS0_14default_configENS1_38merge_sort_block_merge_config_selectorIlNS0_10empty_typeEEEZZNS1_27merge_sort_block_merge_implIS3_PlPS5_mZN2at6native12_GLOBAL__N_124unique_dim_cuda_templateIbEESt5tupleIJNSA_6TensorESF_SF_EERKSF_lbbbEUlllE_EE10hipError_tT0_T1_T2_jT3_P12ihipStream_tbPNSt15iterator_traitsISL_E10value_typeEPNSR_ISM_E10value_typeEPSN_NS1_7vsmem_tEENKUlT_SL_SM_SN_E_clIS8_S8_S9_S9_EESK_S10_SL_SM_SN_EUlS10_E1_NS1_11comp_targetILNS1_3genE10ELNS1_11target_archE1201ELNS1_3gpuE5ELNS1_3repE0EEENS1_36merge_oddeven_config_static_selectorELNS0_4arch9wavefront6targetE0EEEvSM_.num_named_barrier, 0
	.set _ZN7rocprim17ROCPRIM_400000_NS6detail17trampoline_kernelINS0_14default_configENS1_38merge_sort_block_merge_config_selectorIlNS0_10empty_typeEEEZZNS1_27merge_sort_block_merge_implIS3_PlPS5_mZN2at6native12_GLOBAL__N_124unique_dim_cuda_templateIbEESt5tupleIJNSA_6TensorESF_SF_EERKSF_lbbbEUlllE_EE10hipError_tT0_T1_T2_jT3_P12ihipStream_tbPNSt15iterator_traitsISL_E10value_typeEPNSR_ISM_E10value_typeEPSN_NS1_7vsmem_tEENKUlT_SL_SM_SN_E_clIS8_S8_S9_S9_EESK_S10_SL_SM_SN_EUlS10_E1_NS1_11comp_targetILNS1_3genE10ELNS1_11target_archE1201ELNS1_3gpuE5ELNS1_3repE0EEENS1_36merge_oddeven_config_static_selectorELNS0_4arch9wavefront6targetE0EEEvSM_.private_seg_size, 0
	.set _ZN7rocprim17ROCPRIM_400000_NS6detail17trampoline_kernelINS0_14default_configENS1_38merge_sort_block_merge_config_selectorIlNS0_10empty_typeEEEZZNS1_27merge_sort_block_merge_implIS3_PlPS5_mZN2at6native12_GLOBAL__N_124unique_dim_cuda_templateIbEESt5tupleIJNSA_6TensorESF_SF_EERKSF_lbbbEUlllE_EE10hipError_tT0_T1_T2_jT3_P12ihipStream_tbPNSt15iterator_traitsISL_E10value_typeEPNSR_ISM_E10value_typeEPSN_NS1_7vsmem_tEENKUlT_SL_SM_SN_E_clIS8_S8_S9_S9_EESK_S10_SL_SM_SN_EUlS10_E1_NS1_11comp_targetILNS1_3genE10ELNS1_11target_archE1201ELNS1_3gpuE5ELNS1_3repE0EEENS1_36merge_oddeven_config_static_selectorELNS0_4arch9wavefront6targetE0EEEvSM_.uses_vcc, 0
	.set _ZN7rocprim17ROCPRIM_400000_NS6detail17trampoline_kernelINS0_14default_configENS1_38merge_sort_block_merge_config_selectorIlNS0_10empty_typeEEEZZNS1_27merge_sort_block_merge_implIS3_PlPS5_mZN2at6native12_GLOBAL__N_124unique_dim_cuda_templateIbEESt5tupleIJNSA_6TensorESF_SF_EERKSF_lbbbEUlllE_EE10hipError_tT0_T1_T2_jT3_P12ihipStream_tbPNSt15iterator_traitsISL_E10value_typeEPNSR_ISM_E10value_typeEPSN_NS1_7vsmem_tEENKUlT_SL_SM_SN_E_clIS8_S8_S9_S9_EESK_S10_SL_SM_SN_EUlS10_E1_NS1_11comp_targetILNS1_3genE10ELNS1_11target_archE1201ELNS1_3gpuE5ELNS1_3repE0EEENS1_36merge_oddeven_config_static_selectorELNS0_4arch9wavefront6targetE0EEEvSM_.uses_flat_scratch, 0
	.set _ZN7rocprim17ROCPRIM_400000_NS6detail17trampoline_kernelINS0_14default_configENS1_38merge_sort_block_merge_config_selectorIlNS0_10empty_typeEEEZZNS1_27merge_sort_block_merge_implIS3_PlPS5_mZN2at6native12_GLOBAL__N_124unique_dim_cuda_templateIbEESt5tupleIJNSA_6TensorESF_SF_EERKSF_lbbbEUlllE_EE10hipError_tT0_T1_T2_jT3_P12ihipStream_tbPNSt15iterator_traitsISL_E10value_typeEPNSR_ISM_E10value_typeEPSN_NS1_7vsmem_tEENKUlT_SL_SM_SN_E_clIS8_S8_S9_S9_EESK_S10_SL_SM_SN_EUlS10_E1_NS1_11comp_targetILNS1_3genE10ELNS1_11target_archE1201ELNS1_3gpuE5ELNS1_3repE0EEENS1_36merge_oddeven_config_static_selectorELNS0_4arch9wavefront6targetE0EEEvSM_.has_dyn_sized_stack, 0
	.set _ZN7rocprim17ROCPRIM_400000_NS6detail17trampoline_kernelINS0_14default_configENS1_38merge_sort_block_merge_config_selectorIlNS0_10empty_typeEEEZZNS1_27merge_sort_block_merge_implIS3_PlPS5_mZN2at6native12_GLOBAL__N_124unique_dim_cuda_templateIbEESt5tupleIJNSA_6TensorESF_SF_EERKSF_lbbbEUlllE_EE10hipError_tT0_T1_T2_jT3_P12ihipStream_tbPNSt15iterator_traitsISL_E10value_typeEPNSR_ISM_E10value_typeEPSN_NS1_7vsmem_tEENKUlT_SL_SM_SN_E_clIS8_S8_S9_S9_EESK_S10_SL_SM_SN_EUlS10_E1_NS1_11comp_targetILNS1_3genE10ELNS1_11target_archE1201ELNS1_3gpuE5ELNS1_3repE0EEENS1_36merge_oddeven_config_static_selectorELNS0_4arch9wavefront6targetE0EEEvSM_.has_recursion, 0
	.set _ZN7rocprim17ROCPRIM_400000_NS6detail17trampoline_kernelINS0_14default_configENS1_38merge_sort_block_merge_config_selectorIlNS0_10empty_typeEEEZZNS1_27merge_sort_block_merge_implIS3_PlPS5_mZN2at6native12_GLOBAL__N_124unique_dim_cuda_templateIbEESt5tupleIJNSA_6TensorESF_SF_EERKSF_lbbbEUlllE_EE10hipError_tT0_T1_T2_jT3_P12ihipStream_tbPNSt15iterator_traitsISL_E10value_typeEPNSR_ISM_E10value_typeEPSN_NS1_7vsmem_tEENKUlT_SL_SM_SN_E_clIS8_S8_S9_S9_EESK_S10_SL_SM_SN_EUlS10_E1_NS1_11comp_targetILNS1_3genE10ELNS1_11target_archE1201ELNS1_3gpuE5ELNS1_3repE0EEENS1_36merge_oddeven_config_static_selectorELNS0_4arch9wavefront6targetE0EEEvSM_.has_indirect_call, 0
	.section	.AMDGPU.csdata,"",@progbits
; Kernel info:
; codeLenInByte = 0
; TotalNumSgprs: 0
; NumVgprs: 0
; ScratchSize: 0
; MemoryBound: 0
; FloatMode: 240
; IeeeMode: 1
; LDSByteSize: 0 bytes/workgroup (compile time only)
; SGPRBlocks: 0
; VGPRBlocks: 0
; NumSGPRsForWavesPerEU: 1
; NumVGPRsForWavesPerEU: 1
; NamedBarCnt: 0
; Occupancy: 16
; WaveLimiterHint : 0
; COMPUTE_PGM_RSRC2:SCRATCH_EN: 0
; COMPUTE_PGM_RSRC2:USER_SGPR: 2
; COMPUTE_PGM_RSRC2:TRAP_HANDLER: 0
; COMPUTE_PGM_RSRC2:TGID_X_EN: 1
; COMPUTE_PGM_RSRC2:TGID_Y_EN: 0
; COMPUTE_PGM_RSRC2:TGID_Z_EN: 0
; COMPUTE_PGM_RSRC2:TIDIG_COMP_CNT: 0
	.section	.text._ZN7rocprim17ROCPRIM_400000_NS6detail17trampoline_kernelINS0_14default_configENS1_38merge_sort_block_merge_config_selectorIlNS0_10empty_typeEEEZZNS1_27merge_sort_block_merge_implIS3_PlPS5_mZN2at6native12_GLOBAL__N_124unique_dim_cuda_templateIbEESt5tupleIJNSA_6TensorESF_SF_EERKSF_lbbbEUlllE_EE10hipError_tT0_T1_T2_jT3_P12ihipStream_tbPNSt15iterator_traitsISL_E10value_typeEPNSR_ISM_E10value_typeEPSN_NS1_7vsmem_tEENKUlT_SL_SM_SN_E_clIS8_S8_S9_S9_EESK_S10_SL_SM_SN_EUlS10_E1_NS1_11comp_targetILNS1_3genE5ELNS1_11target_archE942ELNS1_3gpuE9ELNS1_3repE0EEENS1_36merge_oddeven_config_static_selectorELNS0_4arch9wavefront6targetE0EEEvSM_,"axG",@progbits,_ZN7rocprim17ROCPRIM_400000_NS6detail17trampoline_kernelINS0_14default_configENS1_38merge_sort_block_merge_config_selectorIlNS0_10empty_typeEEEZZNS1_27merge_sort_block_merge_implIS3_PlPS5_mZN2at6native12_GLOBAL__N_124unique_dim_cuda_templateIbEESt5tupleIJNSA_6TensorESF_SF_EERKSF_lbbbEUlllE_EE10hipError_tT0_T1_T2_jT3_P12ihipStream_tbPNSt15iterator_traitsISL_E10value_typeEPNSR_ISM_E10value_typeEPSN_NS1_7vsmem_tEENKUlT_SL_SM_SN_E_clIS8_S8_S9_S9_EESK_S10_SL_SM_SN_EUlS10_E1_NS1_11comp_targetILNS1_3genE5ELNS1_11target_archE942ELNS1_3gpuE9ELNS1_3repE0EEENS1_36merge_oddeven_config_static_selectorELNS0_4arch9wavefront6targetE0EEEvSM_,comdat
	.globl	_ZN7rocprim17ROCPRIM_400000_NS6detail17trampoline_kernelINS0_14default_configENS1_38merge_sort_block_merge_config_selectorIlNS0_10empty_typeEEEZZNS1_27merge_sort_block_merge_implIS3_PlPS5_mZN2at6native12_GLOBAL__N_124unique_dim_cuda_templateIbEESt5tupleIJNSA_6TensorESF_SF_EERKSF_lbbbEUlllE_EE10hipError_tT0_T1_T2_jT3_P12ihipStream_tbPNSt15iterator_traitsISL_E10value_typeEPNSR_ISM_E10value_typeEPSN_NS1_7vsmem_tEENKUlT_SL_SM_SN_E_clIS8_S8_S9_S9_EESK_S10_SL_SM_SN_EUlS10_E1_NS1_11comp_targetILNS1_3genE5ELNS1_11target_archE942ELNS1_3gpuE9ELNS1_3repE0EEENS1_36merge_oddeven_config_static_selectorELNS0_4arch9wavefront6targetE0EEEvSM_ ; -- Begin function _ZN7rocprim17ROCPRIM_400000_NS6detail17trampoline_kernelINS0_14default_configENS1_38merge_sort_block_merge_config_selectorIlNS0_10empty_typeEEEZZNS1_27merge_sort_block_merge_implIS3_PlPS5_mZN2at6native12_GLOBAL__N_124unique_dim_cuda_templateIbEESt5tupleIJNSA_6TensorESF_SF_EERKSF_lbbbEUlllE_EE10hipError_tT0_T1_T2_jT3_P12ihipStream_tbPNSt15iterator_traitsISL_E10value_typeEPNSR_ISM_E10value_typeEPSN_NS1_7vsmem_tEENKUlT_SL_SM_SN_E_clIS8_S8_S9_S9_EESK_S10_SL_SM_SN_EUlS10_E1_NS1_11comp_targetILNS1_3genE5ELNS1_11target_archE942ELNS1_3gpuE9ELNS1_3repE0EEENS1_36merge_oddeven_config_static_selectorELNS0_4arch9wavefront6targetE0EEEvSM_
	.p2align	8
	.type	_ZN7rocprim17ROCPRIM_400000_NS6detail17trampoline_kernelINS0_14default_configENS1_38merge_sort_block_merge_config_selectorIlNS0_10empty_typeEEEZZNS1_27merge_sort_block_merge_implIS3_PlPS5_mZN2at6native12_GLOBAL__N_124unique_dim_cuda_templateIbEESt5tupleIJNSA_6TensorESF_SF_EERKSF_lbbbEUlllE_EE10hipError_tT0_T1_T2_jT3_P12ihipStream_tbPNSt15iterator_traitsISL_E10value_typeEPNSR_ISM_E10value_typeEPSN_NS1_7vsmem_tEENKUlT_SL_SM_SN_E_clIS8_S8_S9_S9_EESK_S10_SL_SM_SN_EUlS10_E1_NS1_11comp_targetILNS1_3genE5ELNS1_11target_archE942ELNS1_3gpuE9ELNS1_3repE0EEENS1_36merge_oddeven_config_static_selectorELNS0_4arch9wavefront6targetE0EEEvSM_,@function
_ZN7rocprim17ROCPRIM_400000_NS6detail17trampoline_kernelINS0_14default_configENS1_38merge_sort_block_merge_config_selectorIlNS0_10empty_typeEEEZZNS1_27merge_sort_block_merge_implIS3_PlPS5_mZN2at6native12_GLOBAL__N_124unique_dim_cuda_templateIbEESt5tupleIJNSA_6TensorESF_SF_EERKSF_lbbbEUlllE_EE10hipError_tT0_T1_T2_jT3_P12ihipStream_tbPNSt15iterator_traitsISL_E10value_typeEPNSR_ISM_E10value_typeEPSN_NS1_7vsmem_tEENKUlT_SL_SM_SN_E_clIS8_S8_S9_S9_EESK_S10_SL_SM_SN_EUlS10_E1_NS1_11comp_targetILNS1_3genE5ELNS1_11target_archE942ELNS1_3gpuE9ELNS1_3repE0EEENS1_36merge_oddeven_config_static_selectorELNS0_4arch9wavefront6targetE0EEEvSM_: ; @_ZN7rocprim17ROCPRIM_400000_NS6detail17trampoline_kernelINS0_14default_configENS1_38merge_sort_block_merge_config_selectorIlNS0_10empty_typeEEEZZNS1_27merge_sort_block_merge_implIS3_PlPS5_mZN2at6native12_GLOBAL__N_124unique_dim_cuda_templateIbEESt5tupleIJNSA_6TensorESF_SF_EERKSF_lbbbEUlllE_EE10hipError_tT0_T1_T2_jT3_P12ihipStream_tbPNSt15iterator_traitsISL_E10value_typeEPNSR_ISM_E10value_typeEPSN_NS1_7vsmem_tEENKUlT_SL_SM_SN_E_clIS8_S8_S9_S9_EESK_S10_SL_SM_SN_EUlS10_E1_NS1_11comp_targetILNS1_3genE5ELNS1_11target_archE942ELNS1_3gpuE9ELNS1_3repE0EEENS1_36merge_oddeven_config_static_selectorELNS0_4arch9wavefront6targetE0EEEvSM_
; %bb.0:
	.section	.rodata,"a",@progbits
	.p2align	6, 0x0
	.amdhsa_kernel _ZN7rocprim17ROCPRIM_400000_NS6detail17trampoline_kernelINS0_14default_configENS1_38merge_sort_block_merge_config_selectorIlNS0_10empty_typeEEEZZNS1_27merge_sort_block_merge_implIS3_PlPS5_mZN2at6native12_GLOBAL__N_124unique_dim_cuda_templateIbEESt5tupleIJNSA_6TensorESF_SF_EERKSF_lbbbEUlllE_EE10hipError_tT0_T1_T2_jT3_P12ihipStream_tbPNSt15iterator_traitsISL_E10value_typeEPNSR_ISM_E10value_typeEPSN_NS1_7vsmem_tEENKUlT_SL_SM_SN_E_clIS8_S8_S9_S9_EESK_S10_SL_SM_SN_EUlS10_E1_NS1_11comp_targetILNS1_3genE5ELNS1_11target_archE942ELNS1_3gpuE9ELNS1_3repE0EEENS1_36merge_oddeven_config_static_selectorELNS0_4arch9wavefront6targetE0EEEvSM_
		.amdhsa_group_segment_fixed_size 0
		.amdhsa_private_segment_fixed_size 0
		.amdhsa_kernarg_size 64
		.amdhsa_user_sgpr_count 2
		.amdhsa_user_sgpr_dispatch_ptr 0
		.amdhsa_user_sgpr_queue_ptr 0
		.amdhsa_user_sgpr_kernarg_segment_ptr 1
		.amdhsa_user_sgpr_dispatch_id 0
		.amdhsa_user_sgpr_kernarg_preload_length 0
		.amdhsa_user_sgpr_kernarg_preload_offset 0
		.amdhsa_user_sgpr_private_segment_size 0
		.amdhsa_wavefront_size32 1
		.amdhsa_uses_dynamic_stack 0
		.amdhsa_enable_private_segment 0
		.amdhsa_system_sgpr_workgroup_id_x 1
		.amdhsa_system_sgpr_workgroup_id_y 0
		.amdhsa_system_sgpr_workgroup_id_z 0
		.amdhsa_system_sgpr_workgroup_info 0
		.amdhsa_system_vgpr_workitem_id 0
		.amdhsa_next_free_vgpr 1
		.amdhsa_next_free_sgpr 1
		.amdhsa_named_barrier_count 0
		.amdhsa_reserve_vcc 0
		.amdhsa_float_round_mode_32 0
		.amdhsa_float_round_mode_16_64 0
		.amdhsa_float_denorm_mode_32 3
		.amdhsa_float_denorm_mode_16_64 3
		.amdhsa_fp16_overflow 0
		.amdhsa_memory_ordered 1
		.amdhsa_forward_progress 1
		.amdhsa_inst_pref_size 0
		.amdhsa_round_robin_scheduling 0
		.amdhsa_exception_fp_ieee_invalid_op 0
		.amdhsa_exception_fp_denorm_src 0
		.amdhsa_exception_fp_ieee_div_zero 0
		.amdhsa_exception_fp_ieee_overflow 0
		.amdhsa_exception_fp_ieee_underflow 0
		.amdhsa_exception_fp_ieee_inexact 0
		.amdhsa_exception_int_div_zero 0
	.end_amdhsa_kernel
	.section	.text._ZN7rocprim17ROCPRIM_400000_NS6detail17trampoline_kernelINS0_14default_configENS1_38merge_sort_block_merge_config_selectorIlNS0_10empty_typeEEEZZNS1_27merge_sort_block_merge_implIS3_PlPS5_mZN2at6native12_GLOBAL__N_124unique_dim_cuda_templateIbEESt5tupleIJNSA_6TensorESF_SF_EERKSF_lbbbEUlllE_EE10hipError_tT0_T1_T2_jT3_P12ihipStream_tbPNSt15iterator_traitsISL_E10value_typeEPNSR_ISM_E10value_typeEPSN_NS1_7vsmem_tEENKUlT_SL_SM_SN_E_clIS8_S8_S9_S9_EESK_S10_SL_SM_SN_EUlS10_E1_NS1_11comp_targetILNS1_3genE5ELNS1_11target_archE942ELNS1_3gpuE9ELNS1_3repE0EEENS1_36merge_oddeven_config_static_selectorELNS0_4arch9wavefront6targetE0EEEvSM_,"axG",@progbits,_ZN7rocprim17ROCPRIM_400000_NS6detail17trampoline_kernelINS0_14default_configENS1_38merge_sort_block_merge_config_selectorIlNS0_10empty_typeEEEZZNS1_27merge_sort_block_merge_implIS3_PlPS5_mZN2at6native12_GLOBAL__N_124unique_dim_cuda_templateIbEESt5tupleIJNSA_6TensorESF_SF_EERKSF_lbbbEUlllE_EE10hipError_tT0_T1_T2_jT3_P12ihipStream_tbPNSt15iterator_traitsISL_E10value_typeEPNSR_ISM_E10value_typeEPSN_NS1_7vsmem_tEENKUlT_SL_SM_SN_E_clIS8_S8_S9_S9_EESK_S10_SL_SM_SN_EUlS10_E1_NS1_11comp_targetILNS1_3genE5ELNS1_11target_archE942ELNS1_3gpuE9ELNS1_3repE0EEENS1_36merge_oddeven_config_static_selectorELNS0_4arch9wavefront6targetE0EEEvSM_,comdat
.Lfunc_end1020:
	.size	_ZN7rocprim17ROCPRIM_400000_NS6detail17trampoline_kernelINS0_14default_configENS1_38merge_sort_block_merge_config_selectorIlNS0_10empty_typeEEEZZNS1_27merge_sort_block_merge_implIS3_PlPS5_mZN2at6native12_GLOBAL__N_124unique_dim_cuda_templateIbEESt5tupleIJNSA_6TensorESF_SF_EERKSF_lbbbEUlllE_EE10hipError_tT0_T1_T2_jT3_P12ihipStream_tbPNSt15iterator_traitsISL_E10value_typeEPNSR_ISM_E10value_typeEPSN_NS1_7vsmem_tEENKUlT_SL_SM_SN_E_clIS8_S8_S9_S9_EESK_S10_SL_SM_SN_EUlS10_E1_NS1_11comp_targetILNS1_3genE5ELNS1_11target_archE942ELNS1_3gpuE9ELNS1_3repE0EEENS1_36merge_oddeven_config_static_selectorELNS0_4arch9wavefront6targetE0EEEvSM_, .Lfunc_end1020-_ZN7rocprim17ROCPRIM_400000_NS6detail17trampoline_kernelINS0_14default_configENS1_38merge_sort_block_merge_config_selectorIlNS0_10empty_typeEEEZZNS1_27merge_sort_block_merge_implIS3_PlPS5_mZN2at6native12_GLOBAL__N_124unique_dim_cuda_templateIbEESt5tupleIJNSA_6TensorESF_SF_EERKSF_lbbbEUlllE_EE10hipError_tT0_T1_T2_jT3_P12ihipStream_tbPNSt15iterator_traitsISL_E10value_typeEPNSR_ISM_E10value_typeEPSN_NS1_7vsmem_tEENKUlT_SL_SM_SN_E_clIS8_S8_S9_S9_EESK_S10_SL_SM_SN_EUlS10_E1_NS1_11comp_targetILNS1_3genE5ELNS1_11target_archE942ELNS1_3gpuE9ELNS1_3repE0EEENS1_36merge_oddeven_config_static_selectorELNS0_4arch9wavefront6targetE0EEEvSM_
                                        ; -- End function
	.set _ZN7rocprim17ROCPRIM_400000_NS6detail17trampoline_kernelINS0_14default_configENS1_38merge_sort_block_merge_config_selectorIlNS0_10empty_typeEEEZZNS1_27merge_sort_block_merge_implIS3_PlPS5_mZN2at6native12_GLOBAL__N_124unique_dim_cuda_templateIbEESt5tupleIJNSA_6TensorESF_SF_EERKSF_lbbbEUlllE_EE10hipError_tT0_T1_T2_jT3_P12ihipStream_tbPNSt15iterator_traitsISL_E10value_typeEPNSR_ISM_E10value_typeEPSN_NS1_7vsmem_tEENKUlT_SL_SM_SN_E_clIS8_S8_S9_S9_EESK_S10_SL_SM_SN_EUlS10_E1_NS1_11comp_targetILNS1_3genE5ELNS1_11target_archE942ELNS1_3gpuE9ELNS1_3repE0EEENS1_36merge_oddeven_config_static_selectorELNS0_4arch9wavefront6targetE0EEEvSM_.num_vgpr, 0
	.set _ZN7rocprim17ROCPRIM_400000_NS6detail17trampoline_kernelINS0_14default_configENS1_38merge_sort_block_merge_config_selectorIlNS0_10empty_typeEEEZZNS1_27merge_sort_block_merge_implIS3_PlPS5_mZN2at6native12_GLOBAL__N_124unique_dim_cuda_templateIbEESt5tupleIJNSA_6TensorESF_SF_EERKSF_lbbbEUlllE_EE10hipError_tT0_T1_T2_jT3_P12ihipStream_tbPNSt15iterator_traitsISL_E10value_typeEPNSR_ISM_E10value_typeEPSN_NS1_7vsmem_tEENKUlT_SL_SM_SN_E_clIS8_S8_S9_S9_EESK_S10_SL_SM_SN_EUlS10_E1_NS1_11comp_targetILNS1_3genE5ELNS1_11target_archE942ELNS1_3gpuE9ELNS1_3repE0EEENS1_36merge_oddeven_config_static_selectorELNS0_4arch9wavefront6targetE0EEEvSM_.num_agpr, 0
	.set _ZN7rocprim17ROCPRIM_400000_NS6detail17trampoline_kernelINS0_14default_configENS1_38merge_sort_block_merge_config_selectorIlNS0_10empty_typeEEEZZNS1_27merge_sort_block_merge_implIS3_PlPS5_mZN2at6native12_GLOBAL__N_124unique_dim_cuda_templateIbEESt5tupleIJNSA_6TensorESF_SF_EERKSF_lbbbEUlllE_EE10hipError_tT0_T1_T2_jT3_P12ihipStream_tbPNSt15iterator_traitsISL_E10value_typeEPNSR_ISM_E10value_typeEPSN_NS1_7vsmem_tEENKUlT_SL_SM_SN_E_clIS8_S8_S9_S9_EESK_S10_SL_SM_SN_EUlS10_E1_NS1_11comp_targetILNS1_3genE5ELNS1_11target_archE942ELNS1_3gpuE9ELNS1_3repE0EEENS1_36merge_oddeven_config_static_selectorELNS0_4arch9wavefront6targetE0EEEvSM_.numbered_sgpr, 0
	.set _ZN7rocprim17ROCPRIM_400000_NS6detail17trampoline_kernelINS0_14default_configENS1_38merge_sort_block_merge_config_selectorIlNS0_10empty_typeEEEZZNS1_27merge_sort_block_merge_implIS3_PlPS5_mZN2at6native12_GLOBAL__N_124unique_dim_cuda_templateIbEESt5tupleIJNSA_6TensorESF_SF_EERKSF_lbbbEUlllE_EE10hipError_tT0_T1_T2_jT3_P12ihipStream_tbPNSt15iterator_traitsISL_E10value_typeEPNSR_ISM_E10value_typeEPSN_NS1_7vsmem_tEENKUlT_SL_SM_SN_E_clIS8_S8_S9_S9_EESK_S10_SL_SM_SN_EUlS10_E1_NS1_11comp_targetILNS1_3genE5ELNS1_11target_archE942ELNS1_3gpuE9ELNS1_3repE0EEENS1_36merge_oddeven_config_static_selectorELNS0_4arch9wavefront6targetE0EEEvSM_.num_named_barrier, 0
	.set _ZN7rocprim17ROCPRIM_400000_NS6detail17trampoline_kernelINS0_14default_configENS1_38merge_sort_block_merge_config_selectorIlNS0_10empty_typeEEEZZNS1_27merge_sort_block_merge_implIS3_PlPS5_mZN2at6native12_GLOBAL__N_124unique_dim_cuda_templateIbEESt5tupleIJNSA_6TensorESF_SF_EERKSF_lbbbEUlllE_EE10hipError_tT0_T1_T2_jT3_P12ihipStream_tbPNSt15iterator_traitsISL_E10value_typeEPNSR_ISM_E10value_typeEPSN_NS1_7vsmem_tEENKUlT_SL_SM_SN_E_clIS8_S8_S9_S9_EESK_S10_SL_SM_SN_EUlS10_E1_NS1_11comp_targetILNS1_3genE5ELNS1_11target_archE942ELNS1_3gpuE9ELNS1_3repE0EEENS1_36merge_oddeven_config_static_selectorELNS0_4arch9wavefront6targetE0EEEvSM_.private_seg_size, 0
	.set _ZN7rocprim17ROCPRIM_400000_NS6detail17trampoline_kernelINS0_14default_configENS1_38merge_sort_block_merge_config_selectorIlNS0_10empty_typeEEEZZNS1_27merge_sort_block_merge_implIS3_PlPS5_mZN2at6native12_GLOBAL__N_124unique_dim_cuda_templateIbEESt5tupleIJNSA_6TensorESF_SF_EERKSF_lbbbEUlllE_EE10hipError_tT0_T1_T2_jT3_P12ihipStream_tbPNSt15iterator_traitsISL_E10value_typeEPNSR_ISM_E10value_typeEPSN_NS1_7vsmem_tEENKUlT_SL_SM_SN_E_clIS8_S8_S9_S9_EESK_S10_SL_SM_SN_EUlS10_E1_NS1_11comp_targetILNS1_3genE5ELNS1_11target_archE942ELNS1_3gpuE9ELNS1_3repE0EEENS1_36merge_oddeven_config_static_selectorELNS0_4arch9wavefront6targetE0EEEvSM_.uses_vcc, 0
	.set _ZN7rocprim17ROCPRIM_400000_NS6detail17trampoline_kernelINS0_14default_configENS1_38merge_sort_block_merge_config_selectorIlNS0_10empty_typeEEEZZNS1_27merge_sort_block_merge_implIS3_PlPS5_mZN2at6native12_GLOBAL__N_124unique_dim_cuda_templateIbEESt5tupleIJNSA_6TensorESF_SF_EERKSF_lbbbEUlllE_EE10hipError_tT0_T1_T2_jT3_P12ihipStream_tbPNSt15iterator_traitsISL_E10value_typeEPNSR_ISM_E10value_typeEPSN_NS1_7vsmem_tEENKUlT_SL_SM_SN_E_clIS8_S8_S9_S9_EESK_S10_SL_SM_SN_EUlS10_E1_NS1_11comp_targetILNS1_3genE5ELNS1_11target_archE942ELNS1_3gpuE9ELNS1_3repE0EEENS1_36merge_oddeven_config_static_selectorELNS0_4arch9wavefront6targetE0EEEvSM_.uses_flat_scratch, 0
	.set _ZN7rocprim17ROCPRIM_400000_NS6detail17trampoline_kernelINS0_14default_configENS1_38merge_sort_block_merge_config_selectorIlNS0_10empty_typeEEEZZNS1_27merge_sort_block_merge_implIS3_PlPS5_mZN2at6native12_GLOBAL__N_124unique_dim_cuda_templateIbEESt5tupleIJNSA_6TensorESF_SF_EERKSF_lbbbEUlllE_EE10hipError_tT0_T1_T2_jT3_P12ihipStream_tbPNSt15iterator_traitsISL_E10value_typeEPNSR_ISM_E10value_typeEPSN_NS1_7vsmem_tEENKUlT_SL_SM_SN_E_clIS8_S8_S9_S9_EESK_S10_SL_SM_SN_EUlS10_E1_NS1_11comp_targetILNS1_3genE5ELNS1_11target_archE942ELNS1_3gpuE9ELNS1_3repE0EEENS1_36merge_oddeven_config_static_selectorELNS0_4arch9wavefront6targetE0EEEvSM_.has_dyn_sized_stack, 0
	.set _ZN7rocprim17ROCPRIM_400000_NS6detail17trampoline_kernelINS0_14default_configENS1_38merge_sort_block_merge_config_selectorIlNS0_10empty_typeEEEZZNS1_27merge_sort_block_merge_implIS3_PlPS5_mZN2at6native12_GLOBAL__N_124unique_dim_cuda_templateIbEESt5tupleIJNSA_6TensorESF_SF_EERKSF_lbbbEUlllE_EE10hipError_tT0_T1_T2_jT3_P12ihipStream_tbPNSt15iterator_traitsISL_E10value_typeEPNSR_ISM_E10value_typeEPSN_NS1_7vsmem_tEENKUlT_SL_SM_SN_E_clIS8_S8_S9_S9_EESK_S10_SL_SM_SN_EUlS10_E1_NS1_11comp_targetILNS1_3genE5ELNS1_11target_archE942ELNS1_3gpuE9ELNS1_3repE0EEENS1_36merge_oddeven_config_static_selectorELNS0_4arch9wavefront6targetE0EEEvSM_.has_recursion, 0
	.set _ZN7rocprim17ROCPRIM_400000_NS6detail17trampoline_kernelINS0_14default_configENS1_38merge_sort_block_merge_config_selectorIlNS0_10empty_typeEEEZZNS1_27merge_sort_block_merge_implIS3_PlPS5_mZN2at6native12_GLOBAL__N_124unique_dim_cuda_templateIbEESt5tupleIJNSA_6TensorESF_SF_EERKSF_lbbbEUlllE_EE10hipError_tT0_T1_T2_jT3_P12ihipStream_tbPNSt15iterator_traitsISL_E10value_typeEPNSR_ISM_E10value_typeEPSN_NS1_7vsmem_tEENKUlT_SL_SM_SN_E_clIS8_S8_S9_S9_EESK_S10_SL_SM_SN_EUlS10_E1_NS1_11comp_targetILNS1_3genE5ELNS1_11target_archE942ELNS1_3gpuE9ELNS1_3repE0EEENS1_36merge_oddeven_config_static_selectorELNS0_4arch9wavefront6targetE0EEEvSM_.has_indirect_call, 0
	.section	.AMDGPU.csdata,"",@progbits
; Kernel info:
; codeLenInByte = 0
; TotalNumSgprs: 0
; NumVgprs: 0
; ScratchSize: 0
; MemoryBound: 0
; FloatMode: 240
; IeeeMode: 1
; LDSByteSize: 0 bytes/workgroup (compile time only)
; SGPRBlocks: 0
; VGPRBlocks: 0
; NumSGPRsForWavesPerEU: 1
; NumVGPRsForWavesPerEU: 1
; NamedBarCnt: 0
; Occupancy: 16
; WaveLimiterHint : 0
; COMPUTE_PGM_RSRC2:SCRATCH_EN: 0
; COMPUTE_PGM_RSRC2:USER_SGPR: 2
; COMPUTE_PGM_RSRC2:TRAP_HANDLER: 0
; COMPUTE_PGM_RSRC2:TGID_X_EN: 1
; COMPUTE_PGM_RSRC2:TGID_Y_EN: 0
; COMPUTE_PGM_RSRC2:TGID_Z_EN: 0
; COMPUTE_PGM_RSRC2:TIDIG_COMP_CNT: 0
	.section	.text._ZN7rocprim17ROCPRIM_400000_NS6detail17trampoline_kernelINS0_14default_configENS1_38merge_sort_block_merge_config_selectorIlNS0_10empty_typeEEEZZNS1_27merge_sort_block_merge_implIS3_PlPS5_mZN2at6native12_GLOBAL__N_124unique_dim_cuda_templateIbEESt5tupleIJNSA_6TensorESF_SF_EERKSF_lbbbEUlllE_EE10hipError_tT0_T1_T2_jT3_P12ihipStream_tbPNSt15iterator_traitsISL_E10value_typeEPNSR_ISM_E10value_typeEPSN_NS1_7vsmem_tEENKUlT_SL_SM_SN_E_clIS8_S8_S9_S9_EESK_S10_SL_SM_SN_EUlS10_E1_NS1_11comp_targetILNS1_3genE4ELNS1_11target_archE910ELNS1_3gpuE8ELNS1_3repE0EEENS1_36merge_oddeven_config_static_selectorELNS0_4arch9wavefront6targetE0EEEvSM_,"axG",@progbits,_ZN7rocprim17ROCPRIM_400000_NS6detail17trampoline_kernelINS0_14default_configENS1_38merge_sort_block_merge_config_selectorIlNS0_10empty_typeEEEZZNS1_27merge_sort_block_merge_implIS3_PlPS5_mZN2at6native12_GLOBAL__N_124unique_dim_cuda_templateIbEESt5tupleIJNSA_6TensorESF_SF_EERKSF_lbbbEUlllE_EE10hipError_tT0_T1_T2_jT3_P12ihipStream_tbPNSt15iterator_traitsISL_E10value_typeEPNSR_ISM_E10value_typeEPSN_NS1_7vsmem_tEENKUlT_SL_SM_SN_E_clIS8_S8_S9_S9_EESK_S10_SL_SM_SN_EUlS10_E1_NS1_11comp_targetILNS1_3genE4ELNS1_11target_archE910ELNS1_3gpuE8ELNS1_3repE0EEENS1_36merge_oddeven_config_static_selectorELNS0_4arch9wavefront6targetE0EEEvSM_,comdat
	.globl	_ZN7rocprim17ROCPRIM_400000_NS6detail17trampoline_kernelINS0_14default_configENS1_38merge_sort_block_merge_config_selectorIlNS0_10empty_typeEEEZZNS1_27merge_sort_block_merge_implIS3_PlPS5_mZN2at6native12_GLOBAL__N_124unique_dim_cuda_templateIbEESt5tupleIJNSA_6TensorESF_SF_EERKSF_lbbbEUlllE_EE10hipError_tT0_T1_T2_jT3_P12ihipStream_tbPNSt15iterator_traitsISL_E10value_typeEPNSR_ISM_E10value_typeEPSN_NS1_7vsmem_tEENKUlT_SL_SM_SN_E_clIS8_S8_S9_S9_EESK_S10_SL_SM_SN_EUlS10_E1_NS1_11comp_targetILNS1_3genE4ELNS1_11target_archE910ELNS1_3gpuE8ELNS1_3repE0EEENS1_36merge_oddeven_config_static_selectorELNS0_4arch9wavefront6targetE0EEEvSM_ ; -- Begin function _ZN7rocprim17ROCPRIM_400000_NS6detail17trampoline_kernelINS0_14default_configENS1_38merge_sort_block_merge_config_selectorIlNS0_10empty_typeEEEZZNS1_27merge_sort_block_merge_implIS3_PlPS5_mZN2at6native12_GLOBAL__N_124unique_dim_cuda_templateIbEESt5tupleIJNSA_6TensorESF_SF_EERKSF_lbbbEUlllE_EE10hipError_tT0_T1_T2_jT3_P12ihipStream_tbPNSt15iterator_traitsISL_E10value_typeEPNSR_ISM_E10value_typeEPSN_NS1_7vsmem_tEENKUlT_SL_SM_SN_E_clIS8_S8_S9_S9_EESK_S10_SL_SM_SN_EUlS10_E1_NS1_11comp_targetILNS1_3genE4ELNS1_11target_archE910ELNS1_3gpuE8ELNS1_3repE0EEENS1_36merge_oddeven_config_static_selectorELNS0_4arch9wavefront6targetE0EEEvSM_
	.p2align	8
	.type	_ZN7rocprim17ROCPRIM_400000_NS6detail17trampoline_kernelINS0_14default_configENS1_38merge_sort_block_merge_config_selectorIlNS0_10empty_typeEEEZZNS1_27merge_sort_block_merge_implIS3_PlPS5_mZN2at6native12_GLOBAL__N_124unique_dim_cuda_templateIbEESt5tupleIJNSA_6TensorESF_SF_EERKSF_lbbbEUlllE_EE10hipError_tT0_T1_T2_jT3_P12ihipStream_tbPNSt15iterator_traitsISL_E10value_typeEPNSR_ISM_E10value_typeEPSN_NS1_7vsmem_tEENKUlT_SL_SM_SN_E_clIS8_S8_S9_S9_EESK_S10_SL_SM_SN_EUlS10_E1_NS1_11comp_targetILNS1_3genE4ELNS1_11target_archE910ELNS1_3gpuE8ELNS1_3repE0EEENS1_36merge_oddeven_config_static_selectorELNS0_4arch9wavefront6targetE0EEEvSM_,@function
_ZN7rocprim17ROCPRIM_400000_NS6detail17trampoline_kernelINS0_14default_configENS1_38merge_sort_block_merge_config_selectorIlNS0_10empty_typeEEEZZNS1_27merge_sort_block_merge_implIS3_PlPS5_mZN2at6native12_GLOBAL__N_124unique_dim_cuda_templateIbEESt5tupleIJNSA_6TensorESF_SF_EERKSF_lbbbEUlllE_EE10hipError_tT0_T1_T2_jT3_P12ihipStream_tbPNSt15iterator_traitsISL_E10value_typeEPNSR_ISM_E10value_typeEPSN_NS1_7vsmem_tEENKUlT_SL_SM_SN_E_clIS8_S8_S9_S9_EESK_S10_SL_SM_SN_EUlS10_E1_NS1_11comp_targetILNS1_3genE4ELNS1_11target_archE910ELNS1_3gpuE8ELNS1_3repE0EEENS1_36merge_oddeven_config_static_selectorELNS0_4arch9wavefront6targetE0EEEvSM_: ; @_ZN7rocprim17ROCPRIM_400000_NS6detail17trampoline_kernelINS0_14default_configENS1_38merge_sort_block_merge_config_selectorIlNS0_10empty_typeEEEZZNS1_27merge_sort_block_merge_implIS3_PlPS5_mZN2at6native12_GLOBAL__N_124unique_dim_cuda_templateIbEESt5tupleIJNSA_6TensorESF_SF_EERKSF_lbbbEUlllE_EE10hipError_tT0_T1_T2_jT3_P12ihipStream_tbPNSt15iterator_traitsISL_E10value_typeEPNSR_ISM_E10value_typeEPSN_NS1_7vsmem_tEENKUlT_SL_SM_SN_E_clIS8_S8_S9_S9_EESK_S10_SL_SM_SN_EUlS10_E1_NS1_11comp_targetILNS1_3genE4ELNS1_11target_archE910ELNS1_3gpuE8ELNS1_3repE0EEENS1_36merge_oddeven_config_static_selectorELNS0_4arch9wavefront6targetE0EEEvSM_
; %bb.0:
	.section	.rodata,"a",@progbits
	.p2align	6, 0x0
	.amdhsa_kernel _ZN7rocprim17ROCPRIM_400000_NS6detail17trampoline_kernelINS0_14default_configENS1_38merge_sort_block_merge_config_selectorIlNS0_10empty_typeEEEZZNS1_27merge_sort_block_merge_implIS3_PlPS5_mZN2at6native12_GLOBAL__N_124unique_dim_cuda_templateIbEESt5tupleIJNSA_6TensorESF_SF_EERKSF_lbbbEUlllE_EE10hipError_tT0_T1_T2_jT3_P12ihipStream_tbPNSt15iterator_traitsISL_E10value_typeEPNSR_ISM_E10value_typeEPSN_NS1_7vsmem_tEENKUlT_SL_SM_SN_E_clIS8_S8_S9_S9_EESK_S10_SL_SM_SN_EUlS10_E1_NS1_11comp_targetILNS1_3genE4ELNS1_11target_archE910ELNS1_3gpuE8ELNS1_3repE0EEENS1_36merge_oddeven_config_static_selectorELNS0_4arch9wavefront6targetE0EEEvSM_
		.amdhsa_group_segment_fixed_size 0
		.amdhsa_private_segment_fixed_size 0
		.amdhsa_kernarg_size 64
		.amdhsa_user_sgpr_count 2
		.amdhsa_user_sgpr_dispatch_ptr 0
		.amdhsa_user_sgpr_queue_ptr 0
		.amdhsa_user_sgpr_kernarg_segment_ptr 1
		.amdhsa_user_sgpr_dispatch_id 0
		.amdhsa_user_sgpr_kernarg_preload_length 0
		.amdhsa_user_sgpr_kernarg_preload_offset 0
		.amdhsa_user_sgpr_private_segment_size 0
		.amdhsa_wavefront_size32 1
		.amdhsa_uses_dynamic_stack 0
		.amdhsa_enable_private_segment 0
		.amdhsa_system_sgpr_workgroup_id_x 1
		.amdhsa_system_sgpr_workgroup_id_y 0
		.amdhsa_system_sgpr_workgroup_id_z 0
		.amdhsa_system_sgpr_workgroup_info 0
		.amdhsa_system_vgpr_workitem_id 0
		.amdhsa_next_free_vgpr 1
		.amdhsa_next_free_sgpr 1
		.amdhsa_named_barrier_count 0
		.amdhsa_reserve_vcc 0
		.amdhsa_float_round_mode_32 0
		.amdhsa_float_round_mode_16_64 0
		.amdhsa_float_denorm_mode_32 3
		.amdhsa_float_denorm_mode_16_64 3
		.amdhsa_fp16_overflow 0
		.amdhsa_memory_ordered 1
		.amdhsa_forward_progress 1
		.amdhsa_inst_pref_size 0
		.amdhsa_round_robin_scheduling 0
		.amdhsa_exception_fp_ieee_invalid_op 0
		.amdhsa_exception_fp_denorm_src 0
		.amdhsa_exception_fp_ieee_div_zero 0
		.amdhsa_exception_fp_ieee_overflow 0
		.amdhsa_exception_fp_ieee_underflow 0
		.amdhsa_exception_fp_ieee_inexact 0
		.amdhsa_exception_int_div_zero 0
	.end_amdhsa_kernel
	.section	.text._ZN7rocprim17ROCPRIM_400000_NS6detail17trampoline_kernelINS0_14default_configENS1_38merge_sort_block_merge_config_selectorIlNS0_10empty_typeEEEZZNS1_27merge_sort_block_merge_implIS3_PlPS5_mZN2at6native12_GLOBAL__N_124unique_dim_cuda_templateIbEESt5tupleIJNSA_6TensorESF_SF_EERKSF_lbbbEUlllE_EE10hipError_tT0_T1_T2_jT3_P12ihipStream_tbPNSt15iterator_traitsISL_E10value_typeEPNSR_ISM_E10value_typeEPSN_NS1_7vsmem_tEENKUlT_SL_SM_SN_E_clIS8_S8_S9_S9_EESK_S10_SL_SM_SN_EUlS10_E1_NS1_11comp_targetILNS1_3genE4ELNS1_11target_archE910ELNS1_3gpuE8ELNS1_3repE0EEENS1_36merge_oddeven_config_static_selectorELNS0_4arch9wavefront6targetE0EEEvSM_,"axG",@progbits,_ZN7rocprim17ROCPRIM_400000_NS6detail17trampoline_kernelINS0_14default_configENS1_38merge_sort_block_merge_config_selectorIlNS0_10empty_typeEEEZZNS1_27merge_sort_block_merge_implIS3_PlPS5_mZN2at6native12_GLOBAL__N_124unique_dim_cuda_templateIbEESt5tupleIJNSA_6TensorESF_SF_EERKSF_lbbbEUlllE_EE10hipError_tT0_T1_T2_jT3_P12ihipStream_tbPNSt15iterator_traitsISL_E10value_typeEPNSR_ISM_E10value_typeEPSN_NS1_7vsmem_tEENKUlT_SL_SM_SN_E_clIS8_S8_S9_S9_EESK_S10_SL_SM_SN_EUlS10_E1_NS1_11comp_targetILNS1_3genE4ELNS1_11target_archE910ELNS1_3gpuE8ELNS1_3repE0EEENS1_36merge_oddeven_config_static_selectorELNS0_4arch9wavefront6targetE0EEEvSM_,comdat
.Lfunc_end1021:
	.size	_ZN7rocprim17ROCPRIM_400000_NS6detail17trampoline_kernelINS0_14default_configENS1_38merge_sort_block_merge_config_selectorIlNS0_10empty_typeEEEZZNS1_27merge_sort_block_merge_implIS3_PlPS5_mZN2at6native12_GLOBAL__N_124unique_dim_cuda_templateIbEESt5tupleIJNSA_6TensorESF_SF_EERKSF_lbbbEUlllE_EE10hipError_tT0_T1_T2_jT3_P12ihipStream_tbPNSt15iterator_traitsISL_E10value_typeEPNSR_ISM_E10value_typeEPSN_NS1_7vsmem_tEENKUlT_SL_SM_SN_E_clIS8_S8_S9_S9_EESK_S10_SL_SM_SN_EUlS10_E1_NS1_11comp_targetILNS1_3genE4ELNS1_11target_archE910ELNS1_3gpuE8ELNS1_3repE0EEENS1_36merge_oddeven_config_static_selectorELNS0_4arch9wavefront6targetE0EEEvSM_, .Lfunc_end1021-_ZN7rocprim17ROCPRIM_400000_NS6detail17trampoline_kernelINS0_14default_configENS1_38merge_sort_block_merge_config_selectorIlNS0_10empty_typeEEEZZNS1_27merge_sort_block_merge_implIS3_PlPS5_mZN2at6native12_GLOBAL__N_124unique_dim_cuda_templateIbEESt5tupleIJNSA_6TensorESF_SF_EERKSF_lbbbEUlllE_EE10hipError_tT0_T1_T2_jT3_P12ihipStream_tbPNSt15iterator_traitsISL_E10value_typeEPNSR_ISM_E10value_typeEPSN_NS1_7vsmem_tEENKUlT_SL_SM_SN_E_clIS8_S8_S9_S9_EESK_S10_SL_SM_SN_EUlS10_E1_NS1_11comp_targetILNS1_3genE4ELNS1_11target_archE910ELNS1_3gpuE8ELNS1_3repE0EEENS1_36merge_oddeven_config_static_selectorELNS0_4arch9wavefront6targetE0EEEvSM_
                                        ; -- End function
	.set _ZN7rocprim17ROCPRIM_400000_NS6detail17trampoline_kernelINS0_14default_configENS1_38merge_sort_block_merge_config_selectorIlNS0_10empty_typeEEEZZNS1_27merge_sort_block_merge_implIS3_PlPS5_mZN2at6native12_GLOBAL__N_124unique_dim_cuda_templateIbEESt5tupleIJNSA_6TensorESF_SF_EERKSF_lbbbEUlllE_EE10hipError_tT0_T1_T2_jT3_P12ihipStream_tbPNSt15iterator_traitsISL_E10value_typeEPNSR_ISM_E10value_typeEPSN_NS1_7vsmem_tEENKUlT_SL_SM_SN_E_clIS8_S8_S9_S9_EESK_S10_SL_SM_SN_EUlS10_E1_NS1_11comp_targetILNS1_3genE4ELNS1_11target_archE910ELNS1_3gpuE8ELNS1_3repE0EEENS1_36merge_oddeven_config_static_selectorELNS0_4arch9wavefront6targetE0EEEvSM_.num_vgpr, 0
	.set _ZN7rocprim17ROCPRIM_400000_NS6detail17trampoline_kernelINS0_14default_configENS1_38merge_sort_block_merge_config_selectorIlNS0_10empty_typeEEEZZNS1_27merge_sort_block_merge_implIS3_PlPS5_mZN2at6native12_GLOBAL__N_124unique_dim_cuda_templateIbEESt5tupleIJNSA_6TensorESF_SF_EERKSF_lbbbEUlllE_EE10hipError_tT0_T1_T2_jT3_P12ihipStream_tbPNSt15iterator_traitsISL_E10value_typeEPNSR_ISM_E10value_typeEPSN_NS1_7vsmem_tEENKUlT_SL_SM_SN_E_clIS8_S8_S9_S9_EESK_S10_SL_SM_SN_EUlS10_E1_NS1_11comp_targetILNS1_3genE4ELNS1_11target_archE910ELNS1_3gpuE8ELNS1_3repE0EEENS1_36merge_oddeven_config_static_selectorELNS0_4arch9wavefront6targetE0EEEvSM_.num_agpr, 0
	.set _ZN7rocprim17ROCPRIM_400000_NS6detail17trampoline_kernelINS0_14default_configENS1_38merge_sort_block_merge_config_selectorIlNS0_10empty_typeEEEZZNS1_27merge_sort_block_merge_implIS3_PlPS5_mZN2at6native12_GLOBAL__N_124unique_dim_cuda_templateIbEESt5tupleIJNSA_6TensorESF_SF_EERKSF_lbbbEUlllE_EE10hipError_tT0_T1_T2_jT3_P12ihipStream_tbPNSt15iterator_traitsISL_E10value_typeEPNSR_ISM_E10value_typeEPSN_NS1_7vsmem_tEENKUlT_SL_SM_SN_E_clIS8_S8_S9_S9_EESK_S10_SL_SM_SN_EUlS10_E1_NS1_11comp_targetILNS1_3genE4ELNS1_11target_archE910ELNS1_3gpuE8ELNS1_3repE0EEENS1_36merge_oddeven_config_static_selectorELNS0_4arch9wavefront6targetE0EEEvSM_.numbered_sgpr, 0
	.set _ZN7rocprim17ROCPRIM_400000_NS6detail17trampoline_kernelINS0_14default_configENS1_38merge_sort_block_merge_config_selectorIlNS0_10empty_typeEEEZZNS1_27merge_sort_block_merge_implIS3_PlPS5_mZN2at6native12_GLOBAL__N_124unique_dim_cuda_templateIbEESt5tupleIJNSA_6TensorESF_SF_EERKSF_lbbbEUlllE_EE10hipError_tT0_T1_T2_jT3_P12ihipStream_tbPNSt15iterator_traitsISL_E10value_typeEPNSR_ISM_E10value_typeEPSN_NS1_7vsmem_tEENKUlT_SL_SM_SN_E_clIS8_S8_S9_S9_EESK_S10_SL_SM_SN_EUlS10_E1_NS1_11comp_targetILNS1_3genE4ELNS1_11target_archE910ELNS1_3gpuE8ELNS1_3repE0EEENS1_36merge_oddeven_config_static_selectorELNS0_4arch9wavefront6targetE0EEEvSM_.num_named_barrier, 0
	.set _ZN7rocprim17ROCPRIM_400000_NS6detail17trampoline_kernelINS0_14default_configENS1_38merge_sort_block_merge_config_selectorIlNS0_10empty_typeEEEZZNS1_27merge_sort_block_merge_implIS3_PlPS5_mZN2at6native12_GLOBAL__N_124unique_dim_cuda_templateIbEESt5tupleIJNSA_6TensorESF_SF_EERKSF_lbbbEUlllE_EE10hipError_tT0_T1_T2_jT3_P12ihipStream_tbPNSt15iterator_traitsISL_E10value_typeEPNSR_ISM_E10value_typeEPSN_NS1_7vsmem_tEENKUlT_SL_SM_SN_E_clIS8_S8_S9_S9_EESK_S10_SL_SM_SN_EUlS10_E1_NS1_11comp_targetILNS1_3genE4ELNS1_11target_archE910ELNS1_3gpuE8ELNS1_3repE0EEENS1_36merge_oddeven_config_static_selectorELNS0_4arch9wavefront6targetE0EEEvSM_.private_seg_size, 0
	.set _ZN7rocprim17ROCPRIM_400000_NS6detail17trampoline_kernelINS0_14default_configENS1_38merge_sort_block_merge_config_selectorIlNS0_10empty_typeEEEZZNS1_27merge_sort_block_merge_implIS3_PlPS5_mZN2at6native12_GLOBAL__N_124unique_dim_cuda_templateIbEESt5tupleIJNSA_6TensorESF_SF_EERKSF_lbbbEUlllE_EE10hipError_tT0_T1_T2_jT3_P12ihipStream_tbPNSt15iterator_traitsISL_E10value_typeEPNSR_ISM_E10value_typeEPSN_NS1_7vsmem_tEENKUlT_SL_SM_SN_E_clIS8_S8_S9_S9_EESK_S10_SL_SM_SN_EUlS10_E1_NS1_11comp_targetILNS1_3genE4ELNS1_11target_archE910ELNS1_3gpuE8ELNS1_3repE0EEENS1_36merge_oddeven_config_static_selectorELNS0_4arch9wavefront6targetE0EEEvSM_.uses_vcc, 0
	.set _ZN7rocprim17ROCPRIM_400000_NS6detail17trampoline_kernelINS0_14default_configENS1_38merge_sort_block_merge_config_selectorIlNS0_10empty_typeEEEZZNS1_27merge_sort_block_merge_implIS3_PlPS5_mZN2at6native12_GLOBAL__N_124unique_dim_cuda_templateIbEESt5tupleIJNSA_6TensorESF_SF_EERKSF_lbbbEUlllE_EE10hipError_tT0_T1_T2_jT3_P12ihipStream_tbPNSt15iterator_traitsISL_E10value_typeEPNSR_ISM_E10value_typeEPSN_NS1_7vsmem_tEENKUlT_SL_SM_SN_E_clIS8_S8_S9_S9_EESK_S10_SL_SM_SN_EUlS10_E1_NS1_11comp_targetILNS1_3genE4ELNS1_11target_archE910ELNS1_3gpuE8ELNS1_3repE0EEENS1_36merge_oddeven_config_static_selectorELNS0_4arch9wavefront6targetE0EEEvSM_.uses_flat_scratch, 0
	.set _ZN7rocprim17ROCPRIM_400000_NS6detail17trampoline_kernelINS0_14default_configENS1_38merge_sort_block_merge_config_selectorIlNS0_10empty_typeEEEZZNS1_27merge_sort_block_merge_implIS3_PlPS5_mZN2at6native12_GLOBAL__N_124unique_dim_cuda_templateIbEESt5tupleIJNSA_6TensorESF_SF_EERKSF_lbbbEUlllE_EE10hipError_tT0_T1_T2_jT3_P12ihipStream_tbPNSt15iterator_traitsISL_E10value_typeEPNSR_ISM_E10value_typeEPSN_NS1_7vsmem_tEENKUlT_SL_SM_SN_E_clIS8_S8_S9_S9_EESK_S10_SL_SM_SN_EUlS10_E1_NS1_11comp_targetILNS1_3genE4ELNS1_11target_archE910ELNS1_3gpuE8ELNS1_3repE0EEENS1_36merge_oddeven_config_static_selectorELNS0_4arch9wavefront6targetE0EEEvSM_.has_dyn_sized_stack, 0
	.set _ZN7rocprim17ROCPRIM_400000_NS6detail17trampoline_kernelINS0_14default_configENS1_38merge_sort_block_merge_config_selectorIlNS0_10empty_typeEEEZZNS1_27merge_sort_block_merge_implIS3_PlPS5_mZN2at6native12_GLOBAL__N_124unique_dim_cuda_templateIbEESt5tupleIJNSA_6TensorESF_SF_EERKSF_lbbbEUlllE_EE10hipError_tT0_T1_T2_jT3_P12ihipStream_tbPNSt15iterator_traitsISL_E10value_typeEPNSR_ISM_E10value_typeEPSN_NS1_7vsmem_tEENKUlT_SL_SM_SN_E_clIS8_S8_S9_S9_EESK_S10_SL_SM_SN_EUlS10_E1_NS1_11comp_targetILNS1_3genE4ELNS1_11target_archE910ELNS1_3gpuE8ELNS1_3repE0EEENS1_36merge_oddeven_config_static_selectorELNS0_4arch9wavefront6targetE0EEEvSM_.has_recursion, 0
	.set _ZN7rocprim17ROCPRIM_400000_NS6detail17trampoline_kernelINS0_14default_configENS1_38merge_sort_block_merge_config_selectorIlNS0_10empty_typeEEEZZNS1_27merge_sort_block_merge_implIS3_PlPS5_mZN2at6native12_GLOBAL__N_124unique_dim_cuda_templateIbEESt5tupleIJNSA_6TensorESF_SF_EERKSF_lbbbEUlllE_EE10hipError_tT0_T1_T2_jT3_P12ihipStream_tbPNSt15iterator_traitsISL_E10value_typeEPNSR_ISM_E10value_typeEPSN_NS1_7vsmem_tEENKUlT_SL_SM_SN_E_clIS8_S8_S9_S9_EESK_S10_SL_SM_SN_EUlS10_E1_NS1_11comp_targetILNS1_3genE4ELNS1_11target_archE910ELNS1_3gpuE8ELNS1_3repE0EEENS1_36merge_oddeven_config_static_selectorELNS0_4arch9wavefront6targetE0EEEvSM_.has_indirect_call, 0
	.section	.AMDGPU.csdata,"",@progbits
; Kernel info:
; codeLenInByte = 0
; TotalNumSgprs: 0
; NumVgprs: 0
; ScratchSize: 0
; MemoryBound: 0
; FloatMode: 240
; IeeeMode: 1
; LDSByteSize: 0 bytes/workgroup (compile time only)
; SGPRBlocks: 0
; VGPRBlocks: 0
; NumSGPRsForWavesPerEU: 1
; NumVGPRsForWavesPerEU: 1
; NamedBarCnt: 0
; Occupancy: 16
; WaveLimiterHint : 0
; COMPUTE_PGM_RSRC2:SCRATCH_EN: 0
; COMPUTE_PGM_RSRC2:USER_SGPR: 2
; COMPUTE_PGM_RSRC2:TRAP_HANDLER: 0
; COMPUTE_PGM_RSRC2:TGID_X_EN: 1
; COMPUTE_PGM_RSRC2:TGID_Y_EN: 0
; COMPUTE_PGM_RSRC2:TGID_Z_EN: 0
; COMPUTE_PGM_RSRC2:TIDIG_COMP_CNT: 0
	.section	.text._ZN7rocprim17ROCPRIM_400000_NS6detail17trampoline_kernelINS0_14default_configENS1_38merge_sort_block_merge_config_selectorIlNS0_10empty_typeEEEZZNS1_27merge_sort_block_merge_implIS3_PlPS5_mZN2at6native12_GLOBAL__N_124unique_dim_cuda_templateIbEESt5tupleIJNSA_6TensorESF_SF_EERKSF_lbbbEUlllE_EE10hipError_tT0_T1_T2_jT3_P12ihipStream_tbPNSt15iterator_traitsISL_E10value_typeEPNSR_ISM_E10value_typeEPSN_NS1_7vsmem_tEENKUlT_SL_SM_SN_E_clIS8_S8_S9_S9_EESK_S10_SL_SM_SN_EUlS10_E1_NS1_11comp_targetILNS1_3genE3ELNS1_11target_archE908ELNS1_3gpuE7ELNS1_3repE0EEENS1_36merge_oddeven_config_static_selectorELNS0_4arch9wavefront6targetE0EEEvSM_,"axG",@progbits,_ZN7rocprim17ROCPRIM_400000_NS6detail17trampoline_kernelINS0_14default_configENS1_38merge_sort_block_merge_config_selectorIlNS0_10empty_typeEEEZZNS1_27merge_sort_block_merge_implIS3_PlPS5_mZN2at6native12_GLOBAL__N_124unique_dim_cuda_templateIbEESt5tupleIJNSA_6TensorESF_SF_EERKSF_lbbbEUlllE_EE10hipError_tT0_T1_T2_jT3_P12ihipStream_tbPNSt15iterator_traitsISL_E10value_typeEPNSR_ISM_E10value_typeEPSN_NS1_7vsmem_tEENKUlT_SL_SM_SN_E_clIS8_S8_S9_S9_EESK_S10_SL_SM_SN_EUlS10_E1_NS1_11comp_targetILNS1_3genE3ELNS1_11target_archE908ELNS1_3gpuE7ELNS1_3repE0EEENS1_36merge_oddeven_config_static_selectorELNS0_4arch9wavefront6targetE0EEEvSM_,comdat
	.globl	_ZN7rocprim17ROCPRIM_400000_NS6detail17trampoline_kernelINS0_14default_configENS1_38merge_sort_block_merge_config_selectorIlNS0_10empty_typeEEEZZNS1_27merge_sort_block_merge_implIS3_PlPS5_mZN2at6native12_GLOBAL__N_124unique_dim_cuda_templateIbEESt5tupleIJNSA_6TensorESF_SF_EERKSF_lbbbEUlllE_EE10hipError_tT0_T1_T2_jT3_P12ihipStream_tbPNSt15iterator_traitsISL_E10value_typeEPNSR_ISM_E10value_typeEPSN_NS1_7vsmem_tEENKUlT_SL_SM_SN_E_clIS8_S8_S9_S9_EESK_S10_SL_SM_SN_EUlS10_E1_NS1_11comp_targetILNS1_3genE3ELNS1_11target_archE908ELNS1_3gpuE7ELNS1_3repE0EEENS1_36merge_oddeven_config_static_selectorELNS0_4arch9wavefront6targetE0EEEvSM_ ; -- Begin function _ZN7rocprim17ROCPRIM_400000_NS6detail17trampoline_kernelINS0_14default_configENS1_38merge_sort_block_merge_config_selectorIlNS0_10empty_typeEEEZZNS1_27merge_sort_block_merge_implIS3_PlPS5_mZN2at6native12_GLOBAL__N_124unique_dim_cuda_templateIbEESt5tupleIJNSA_6TensorESF_SF_EERKSF_lbbbEUlllE_EE10hipError_tT0_T1_T2_jT3_P12ihipStream_tbPNSt15iterator_traitsISL_E10value_typeEPNSR_ISM_E10value_typeEPSN_NS1_7vsmem_tEENKUlT_SL_SM_SN_E_clIS8_S8_S9_S9_EESK_S10_SL_SM_SN_EUlS10_E1_NS1_11comp_targetILNS1_3genE3ELNS1_11target_archE908ELNS1_3gpuE7ELNS1_3repE0EEENS1_36merge_oddeven_config_static_selectorELNS0_4arch9wavefront6targetE0EEEvSM_
	.p2align	8
	.type	_ZN7rocprim17ROCPRIM_400000_NS6detail17trampoline_kernelINS0_14default_configENS1_38merge_sort_block_merge_config_selectorIlNS0_10empty_typeEEEZZNS1_27merge_sort_block_merge_implIS3_PlPS5_mZN2at6native12_GLOBAL__N_124unique_dim_cuda_templateIbEESt5tupleIJNSA_6TensorESF_SF_EERKSF_lbbbEUlllE_EE10hipError_tT0_T1_T2_jT3_P12ihipStream_tbPNSt15iterator_traitsISL_E10value_typeEPNSR_ISM_E10value_typeEPSN_NS1_7vsmem_tEENKUlT_SL_SM_SN_E_clIS8_S8_S9_S9_EESK_S10_SL_SM_SN_EUlS10_E1_NS1_11comp_targetILNS1_3genE3ELNS1_11target_archE908ELNS1_3gpuE7ELNS1_3repE0EEENS1_36merge_oddeven_config_static_selectorELNS0_4arch9wavefront6targetE0EEEvSM_,@function
_ZN7rocprim17ROCPRIM_400000_NS6detail17trampoline_kernelINS0_14default_configENS1_38merge_sort_block_merge_config_selectorIlNS0_10empty_typeEEEZZNS1_27merge_sort_block_merge_implIS3_PlPS5_mZN2at6native12_GLOBAL__N_124unique_dim_cuda_templateIbEESt5tupleIJNSA_6TensorESF_SF_EERKSF_lbbbEUlllE_EE10hipError_tT0_T1_T2_jT3_P12ihipStream_tbPNSt15iterator_traitsISL_E10value_typeEPNSR_ISM_E10value_typeEPSN_NS1_7vsmem_tEENKUlT_SL_SM_SN_E_clIS8_S8_S9_S9_EESK_S10_SL_SM_SN_EUlS10_E1_NS1_11comp_targetILNS1_3genE3ELNS1_11target_archE908ELNS1_3gpuE7ELNS1_3repE0EEENS1_36merge_oddeven_config_static_selectorELNS0_4arch9wavefront6targetE0EEEvSM_: ; @_ZN7rocprim17ROCPRIM_400000_NS6detail17trampoline_kernelINS0_14default_configENS1_38merge_sort_block_merge_config_selectorIlNS0_10empty_typeEEEZZNS1_27merge_sort_block_merge_implIS3_PlPS5_mZN2at6native12_GLOBAL__N_124unique_dim_cuda_templateIbEESt5tupleIJNSA_6TensorESF_SF_EERKSF_lbbbEUlllE_EE10hipError_tT0_T1_T2_jT3_P12ihipStream_tbPNSt15iterator_traitsISL_E10value_typeEPNSR_ISM_E10value_typeEPSN_NS1_7vsmem_tEENKUlT_SL_SM_SN_E_clIS8_S8_S9_S9_EESK_S10_SL_SM_SN_EUlS10_E1_NS1_11comp_targetILNS1_3genE3ELNS1_11target_archE908ELNS1_3gpuE7ELNS1_3repE0EEENS1_36merge_oddeven_config_static_selectorELNS0_4arch9wavefront6targetE0EEEvSM_
; %bb.0:
	.section	.rodata,"a",@progbits
	.p2align	6, 0x0
	.amdhsa_kernel _ZN7rocprim17ROCPRIM_400000_NS6detail17trampoline_kernelINS0_14default_configENS1_38merge_sort_block_merge_config_selectorIlNS0_10empty_typeEEEZZNS1_27merge_sort_block_merge_implIS3_PlPS5_mZN2at6native12_GLOBAL__N_124unique_dim_cuda_templateIbEESt5tupleIJNSA_6TensorESF_SF_EERKSF_lbbbEUlllE_EE10hipError_tT0_T1_T2_jT3_P12ihipStream_tbPNSt15iterator_traitsISL_E10value_typeEPNSR_ISM_E10value_typeEPSN_NS1_7vsmem_tEENKUlT_SL_SM_SN_E_clIS8_S8_S9_S9_EESK_S10_SL_SM_SN_EUlS10_E1_NS1_11comp_targetILNS1_3genE3ELNS1_11target_archE908ELNS1_3gpuE7ELNS1_3repE0EEENS1_36merge_oddeven_config_static_selectorELNS0_4arch9wavefront6targetE0EEEvSM_
		.amdhsa_group_segment_fixed_size 0
		.amdhsa_private_segment_fixed_size 0
		.amdhsa_kernarg_size 64
		.amdhsa_user_sgpr_count 2
		.amdhsa_user_sgpr_dispatch_ptr 0
		.amdhsa_user_sgpr_queue_ptr 0
		.amdhsa_user_sgpr_kernarg_segment_ptr 1
		.amdhsa_user_sgpr_dispatch_id 0
		.amdhsa_user_sgpr_kernarg_preload_length 0
		.amdhsa_user_sgpr_kernarg_preload_offset 0
		.amdhsa_user_sgpr_private_segment_size 0
		.amdhsa_wavefront_size32 1
		.amdhsa_uses_dynamic_stack 0
		.amdhsa_enable_private_segment 0
		.amdhsa_system_sgpr_workgroup_id_x 1
		.amdhsa_system_sgpr_workgroup_id_y 0
		.amdhsa_system_sgpr_workgroup_id_z 0
		.amdhsa_system_sgpr_workgroup_info 0
		.amdhsa_system_vgpr_workitem_id 0
		.amdhsa_next_free_vgpr 1
		.amdhsa_next_free_sgpr 1
		.amdhsa_named_barrier_count 0
		.amdhsa_reserve_vcc 0
		.amdhsa_float_round_mode_32 0
		.amdhsa_float_round_mode_16_64 0
		.amdhsa_float_denorm_mode_32 3
		.amdhsa_float_denorm_mode_16_64 3
		.amdhsa_fp16_overflow 0
		.amdhsa_memory_ordered 1
		.amdhsa_forward_progress 1
		.amdhsa_inst_pref_size 0
		.amdhsa_round_robin_scheduling 0
		.amdhsa_exception_fp_ieee_invalid_op 0
		.amdhsa_exception_fp_denorm_src 0
		.amdhsa_exception_fp_ieee_div_zero 0
		.amdhsa_exception_fp_ieee_overflow 0
		.amdhsa_exception_fp_ieee_underflow 0
		.amdhsa_exception_fp_ieee_inexact 0
		.amdhsa_exception_int_div_zero 0
	.end_amdhsa_kernel
	.section	.text._ZN7rocprim17ROCPRIM_400000_NS6detail17trampoline_kernelINS0_14default_configENS1_38merge_sort_block_merge_config_selectorIlNS0_10empty_typeEEEZZNS1_27merge_sort_block_merge_implIS3_PlPS5_mZN2at6native12_GLOBAL__N_124unique_dim_cuda_templateIbEESt5tupleIJNSA_6TensorESF_SF_EERKSF_lbbbEUlllE_EE10hipError_tT0_T1_T2_jT3_P12ihipStream_tbPNSt15iterator_traitsISL_E10value_typeEPNSR_ISM_E10value_typeEPSN_NS1_7vsmem_tEENKUlT_SL_SM_SN_E_clIS8_S8_S9_S9_EESK_S10_SL_SM_SN_EUlS10_E1_NS1_11comp_targetILNS1_3genE3ELNS1_11target_archE908ELNS1_3gpuE7ELNS1_3repE0EEENS1_36merge_oddeven_config_static_selectorELNS0_4arch9wavefront6targetE0EEEvSM_,"axG",@progbits,_ZN7rocprim17ROCPRIM_400000_NS6detail17trampoline_kernelINS0_14default_configENS1_38merge_sort_block_merge_config_selectorIlNS0_10empty_typeEEEZZNS1_27merge_sort_block_merge_implIS3_PlPS5_mZN2at6native12_GLOBAL__N_124unique_dim_cuda_templateIbEESt5tupleIJNSA_6TensorESF_SF_EERKSF_lbbbEUlllE_EE10hipError_tT0_T1_T2_jT3_P12ihipStream_tbPNSt15iterator_traitsISL_E10value_typeEPNSR_ISM_E10value_typeEPSN_NS1_7vsmem_tEENKUlT_SL_SM_SN_E_clIS8_S8_S9_S9_EESK_S10_SL_SM_SN_EUlS10_E1_NS1_11comp_targetILNS1_3genE3ELNS1_11target_archE908ELNS1_3gpuE7ELNS1_3repE0EEENS1_36merge_oddeven_config_static_selectorELNS0_4arch9wavefront6targetE0EEEvSM_,comdat
.Lfunc_end1022:
	.size	_ZN7rocprim17ROCPRIM_400000_NS6detail17trampoline_kernelINS0_14default_configENS1_38merge_sort_block_merge_config_selectorIlNS0_10empty_typeEEEZZNS1_27merge_sort_block_merge_implIS3_PlPS5_mZN2at6native12_GLOBAL__N_124unique_dim_cuda_templateIbEESt5tupleIJNSA_6TensorESF_SF_EERKSF_lbbbEUlllE_EE10hipError_tT0_T1_T2_jT3_P12ihipStream_tbPNSt15iterator_traitsISL_E10value_typeEPNSR_ISM_E10value_typeEPSN_NS1_7vsmem_tEENKUlT_SL_SM_SN_E_clIS8_S8_S9_S9_EESK_S10_SL_SM_SN_EUlS10_E1_NS1_11comp_targetILNS1_3genE3ELNS1_11target_archE908ELNS1_3gpuE7ELNS1_3repE0EEENS1_36merge_oddeven_config_static_selectorELNS0_4arch9wavefront6targetE0EEEvSM_, .Lfunc_end1022-_ZN7rocprim17ROCPRIM_400000_NS6detail17trampoline_kernelINS0_14default_configENS1_38merge_sort_block_merge_config_selectorIlNS0_10empty_typeEEEZZNS1_27merge_sort_block_merge_implIS3_PlPS5_mZN2at6native12_GLOBAL__N_124unique_dim_cuda_templateIbEESt5tupleIJNSA_6TensorESF_SF_EERKSF_lbbbEUlllE_EE10hipError_tT0_T1_T2_jT3_P12ihipStream_tbPNSt15iterator_traitsISL_E10value_typeEPNSR_ISM_E10value_typeEPSN_NS1_7vsmem_tEENKUlT_SL_SM_SN_E_clIS8_S8_S9_S9_EESK_S10_SL_SM_SN_EUlS10_E1_NS1_11comp_targetILNS1_3genE3ELNS1_11target_archE908ELNS1_3gpuE7ELNS1_3repE0EEENS1_36merge_oddeven_config_static_selectorELNS0_4arch9wavefront6targetE0EEEvSM_
                                        ; -- End function
	.set _ZN7rocprim17ROCPRIM_400000_NS6detail17trampoline_kernelINS0_14default_configENS1_38merge_sort_block_merge_config_selectorIlNS0_10empty_typeEEEZZNS1_27merge_sort_block_merge_implIS3_PlPS5_mZN2at6native12_GLOBAL__N_124unique_dim_cuda_templateIbEESt5tupleIJNSA_6TensorESF_SF_EERKSF_lbbbEUlllE_EE10hipError_tT0_T1_T2_jT3_P12ihipStream_tbPNSt15iterator_traitsISL_E10value_typeEPNSR_ISM_E10value_typeEPSN_NS1_7vsmem_tEENKUlT_SL_SM_SN_E_clIS8_S8_S9_S9_EESK_S10_SL_SM_SN_EUlS10_E1_NS1_11comp_targetILNS1_3genE3ELNS1_11target_archE908ELNS1_3gpuE7ELNS1_3repE0EEENS1_36merge_oddeven_config_static_selectorELNS0_4arch9wavefront6targetE0EEEvSM_.num_vgpr, 0
	.set _ZN7rocprim17ROCPRIM_400000_NS6detail17trampoline_kernelINS0_14default_configENS1_38merge_sort_block_merge_config_selectorIlNS0_10empty_typeEEEZZNS1_27merge_sort_block_merge_implIS3_PlPS5_mZN2at6native12_GLOBAL__N_124unique_dim_cuda_templateIbEESt5tupleIJNSA_6TensorESF_SF_EERKSF_lbbbEUlllE_EE10hipError_tT0_T1_T2_jT3_P12ihipStream_tbPNSt15iterator_traitsISL_E10value_typeEPNSR_ISM_E10value_typeEPSN_NS1_7vsmem_tEENKUlT_SL_SM_SN_E_clIS8_S8_S9_S9_EESK_S10_SL_SM_SN_EUlS10_E1_NS1_11comp_targetILNS1_3genE3ELNS1_11target_archE908ELNS1_3gpuE7ELNS1_3repE0EEENS1_36merge_oddeven_config_static_selectorELNS0_4arch9wavefront6targetE0EEEvSM_.num_agpr, 0
	.set _ZN7rocprim17ROCPRIM_400000_NS6detail17trampoline_kernelINS0_14default_configENS1_38merge_sort_block_merge_config_selectorIlNS0_10empty_typeEEEZZNS1_27merge_sort_block_merge_implIS3_PlPS5_mZN2at6native12_GLOBAL__N_124unique_dim_cuda_templateIbEESt5tupleIJNSA_6TensorESF_SF_EERKSF_lbbbEUlllE_EE10hipError_tT0_T1_T2_jT3_P12ihipStream_tbPNSt15iterator_traitsISL_E10value_typeEPNSR_ISM_E10value_typeEPSN_NS1_7vsmem_tEENKUlT_SL_SM_SN_E_clIS8_S8_S9_S9_EESK_S10_SL_SM_SN_EUlS10_E1_NS1_11comp_targetILNS1_3genE3ELNS1_11target_archE908ELNS1_3gpuE7ELNS1_3repE0EEENS1_36merge_oddeven_config_static_selectorELNS0_4arch9wavefront6targetE0EEEvSM_.numbered_sgpr, 0
	.set _ZN7rocprim17ROCPRIM_400000_NS6detail17trampoline_kernelINS0_14default_configENS1_38merge_sort_block_merge_config_selectorIlNS0_10empty_typeEEEZZNS1_27merge_sort_block_merge_implIS3_PlPS5_mZN2at6native12_GLOBAL__N_124unique_dim_cuda_templateIbEESt5tupleIJNSA_6TensorESF_SF_EERKSF_lbbbEUlllE_EE10hipError_tT0_T1_T2_jT3_P12ihipStream_tbPNSt15iterator_traitsISL_E10value_typeEPNSR_ISM_E10value_typeEPSN_NS1_7vsmem_tEENKUlT_SL_SM_SN_E_clIS8_S8_S9_S9_EESK_S10_SL_SM_SN_EUlS10_E1_NS1_11comp_targetILNS1_3genE3ELNS1_11target_archE908ELNS1_3gpuE7ELNS1_3repE0EEENS1_36merge_oddeven_config_static_selectorELNS0_4arch9wavefront6targetE0EEEvSM_.num_named_barrier, 0
	.set _ZN7rocprim17ROCPRIM_400000_NS6detail17trampoline_kernelINS0_14default_configENS1_38merge_sort_block_merge_config_selectorIlNS0_10empty_typeEEEZZNS1_27merge_sort_block_merge_implIS3_PlPS5_mZN2at6native12_GLOBAL__N_124unique_dim_cuda_templateIbEESt5tupleIJNSA_6TensorESF_SF_EERKSF_lbbbEUlllE_EE10hipError_tT0_T1_T2_jT3_P12ihipStream_tbPNSt15iterator_traitsISL_E10value_typeEPNSR_ISM_E10value_typeEPSN_NS1_7vsmem_tEENKUlT_SL_SM_SN_E_clIS8_S8_S9_S9_EESK_S10_SL_SM_SN_EUlS10_E1_NS1_11comp_targetILNS1_3genE3ELNS1_11target_archE908ELNS1_3gpuE7ELNS1_3repE0EEENS1_36merge_oddeven_config_static_selectorELNS0_4arch9wavefront6targetE0EEEvSM_.private_seg_size, 0
	.set _ZN7rocprim17ROCPRIM_400000_NS6detail17trampoline_kernelINS0_14default_configENS1_38merge_sort_block_merge_config_selectorIlNS0_10empty_typeEEEZZNS1_27merge_sort_block_merge_implIS3_PlPS5_mZN2at6native12_GLOBAL__N_124unique_dim_cuda_templateIbEESt5tupleIJNSA_6TensorESF_SF_EERKSF_lbbbEUlllE_EE10hipError_tT0_T1_T2_jT3_P12ihipStream_tbPNSt15iterator_traitsISL_E10value_typeEPNSR_ISM_E10value_typeEPSN_NS1_7vsmem_tEENKUlT_SL_SM_SN_E_clIS8_S8_S9_S9_EESK_S10_SL_SM_SN_EUlS10_E1_NS1_11comp_targetILNS1_3genE3ELNS1_11target_archE908ELNS1_3gpuE7ELNS1_3repE0EEENS1_36merge_oddeven_config_static_selectorELNS0_4arch9wavefront6targetE0EEEvSM_.uses_vcc, 0
	.set _ZN7rocprim17ROCPRIM_400000_NS6detail17trampoline_kernelINS0_14default_configENS1_38merge_sort_block_merge_config_selectorIlNS0_10empty_typeEEEZZNS1_27merge_sort_block_merge_implIS3_PlPS5_mZN2at6native12_GLOBAL__N_124unique_dim_cuda_templateIbEESt5tupleIJNSA_6TensorESF_SF_EERKSF_lbbbEUlllE_EE10hipError_tT0_T1_T2_jT3_P12ihipStream_tbPNSt15iterator_traitsISL_E10value_typeEPNSR_ISM_E10value_typeEPSN_NS1_7vsmem_tEENKUlT_SL_SM_SN_E_clIS8_S8_S9_S9_EESK_S10_SL_SM_SN_EUlS10_E1_NS1_11comp_targetILNS1_3genE3ELNS1_11target_archE908ELNS1_3gpuE7ELNS1_3repE0EEENS1_36merge_oddeven_config_static_selectorELNS0_4arch9wavefront6targetE0EEEvSM_.uses_flat_scratch, 0
	.set _ZN7rocprim17ROCPRIM_400000_NS6detail17trampoline_kernelINS0_14default_configENS1_38merge_sort_block_merge_config_selectorIlNS0_10empty_typeEEEZZNS1_27merge_sort_block_merge_implIS3_PlPS5_mZN2at6native12_GLOBAL__N_124unique_dim_cuda_templateIbEESt5tupleIJNSA_6TensorESF_SF_EERKSF_lbbbEUlllE_EE10hipError_tT0_T1_T2_jT3_P12ihipStream_tbPNSt15iterator_traitsISL_E10value_typeEPNSR_ISM_E10value_typeEPSN_NS1_7vsmem_tEENKUlT_SL_SM_SN_E_clIS8_S8_S9_S9_EESK_S10_SL_SM_SN_EUlS10_E1_NS1_11comp_targetILNS1_3genE3ELNS1_11target_archE908ELNS1_3gpuE7ELNS1_3repE0EEENS1_36merge_oddeven_config_static_selectorELNS0_4arch9wavefront6targetE0EEEvSM_.has_dyn_sized_stack, 0
	.set _ZN7rocprim17ROCPRIM_400000_NS6detail17trampoline_kernelINS0_14default_configENS1_38merge_sort_block_merge_config_selectorIlNS0_10empty_typeEEEZZNS1_27merge_sort_block_merge_implIS3_PlPS5_mZN2at6native12_GLOBAL__N_124unique_dim_cuda_templateIbEESt5tupleIJNSA_6TensorESF_SF_EERKSF_lbbbEUlllE_EE10hipError_tT0_T1_T2_jT3_P12ihipStream_tbPNSt15iterator_traitsISL_E10value_typeEPNSR_ISM_E10value_typeEPSN_NS1_7vsmem_tEENKUlT_SL_SM_SN_E_clIS8_S8_S9_S9_EESK_S10_SL_SM_SN_EUlS10_E1_NS1_11comp_targetILNS1_3genE3ELNS1_11target_archE908ELNS1_3gpuE7ELNS1_3repE0EEENS1_36merge_oddeven_config_static_selectorELNS0_4arch9wavefront6targetE0EEEvSM_.has_recursion, 0
	.set _ZN7rocprim17ROCPRIM_400000_NS6detail17trampoline_kernelINS0_14default_configENS1_38merge_sort_block_merge_config_selectorIlNS0_10empty_typeEEEZZNS1_27merge_sort_block_merge_implIS3_PlPS5_mZN2at6native12_GLOBAL__N_124unique_dim_cuda_templateIbEESt5tupleIJNSA_6TensorESF_SF_EERKSF_lbbbEUlllE_EE10hipError_tT0_T1_T2_jT3_P12ihipStream_tbPNSt15iterator_traitsISL_E10value_typeEPNSR_ISM_E10value_typeEPSN_NS1_7vsmem_tEENKUlT_SL_SM_SN_E_clIS8_S8_S9_S9_EESK_S10_SL_SM_SN_EUlS10_E1_NS1_11comp_targetILNS1_3genE3ELNS1_11target_archE908ELNS1_3gpuE7ELNS1_3repE0EEENS1_36merge_oddeven_config_static_selectorELNS0_4arch9wavefront6targetE0EEEvSM_.has_indirect_call, 0
	.section	.AMDGPU.csdata,"",@progbits
; Kernel info:
; codeLenInByte = 0
; TotalNumSgprs: 0
; NumVgprs: 0
; ScratchSize: 0
; MemoryBound: 0
; FloatMode: 240
; IeeeMode: 1
; LDSByteSize: 0 bytes/workgroup (compile time only)
; SGPRBlocks: 0
; VGPRBlocks: 0
; NumSGPRsForWavesPerEU: 1
; NumVGPRsForWavesPerEU: 1
; NamedBarCnt: 0
; Occupancy: 16
; WaveLimiterHint : 0
; COMPUTE_PGM_RSRC2:SCRATCH_EN: 0
; COMPUTE_PGM_RSRC2:USER_SGPR: 2
; COMPUTE_PGM_RSRC2:TRAP_HANDLER: 0
; COMPUTE_PGM_RSRC2:TGID_X_EN: 1
; COMPUTE_PGM_RSRC2:TGID_Y_EN: 0
; COMPUTE_PGM_RSRC2:TGID_Z_EN: 0
; COMPUTE_PGM_RSRC2:TIDIG_COMP_CNT: 0
	.section	.text._ZN7rocprim17ROCPRIM_400000_NS6detail17trampoline_kernelINS0_14default_configENS1_38merge_sort_block_merge_config_selectorIlNS0_10empty_typeEEEZZNS1_27merge_sort_block_merge_implIS3_PlPS5_mZN2at6native12_GLOBAL__N_124unique_dim_cuda_templateIbEESt5tupleIJNSA_6TensorESF_SF_EERKSF_lbbbEUlllE_EE10hipError_tT0_T1_T2_jT3_P12ihipStream_tbPNSt15iterator_traitsISL_E10value_typeEPNSR_ISM_E10value_typeEPSN_NS1_7vsmem_tEENKUlT_SL_SM_SN_E_clIS8_S8_S9_S9_EESK_S10_SL_SM_SN_EUlS10_E1_NS1_11comp_targetILNS1_3genE2ELNS1_11target_archE906ELNS1_3gpuE6ELNS1_3repE0EEENS1_36merge_oddeven_config_static_selectorELNS0_4arch9wavefront6targetE0EEEvSM_,"axG",@progbits,_ZN7rocprim17ROCPRIM_400000_NS6detail17trampoline_kernelINS0_14default_configENS1_38merge_sort_block_merge_config_selectorIlNS0_10empty_typeEEEZZNS1_27merge_sort_block_merge_implIS3_PlPS5_mZN2at6native12_GLOBAL__N_124unique_dim_cuda_templateIbEESt5tupleIJNSA_6TensorESF_SF_EERKSF_lbbbEUlllE_EE10hipError_tT0_T1_T2_jT3_P12ihipStream_tbPNSt15iterator_traitsISL_E10value_typeEPNSR_ISM_E10value_typeEPSN_NS1_7vsmem_tEENKUlT_SL_SM_SN_E_clIS8_S8_S9_S9_EESK_S10_SL_SM_SN_EUlS10_E1_NS1_11comp_targetILNS1_3genE2ELNS1_11target_archE906ELNS1_3gpuE6ELNS1_3repE0EEENS1_36merge_oddeven_config_static_selectorELNS0_4arch9wavefront6targetE0EEEvSM_,comdat
	.globl	_ZN7rocprim17ROCPRIM_400000_NS6detail17trampoline_kernelINS0_14default_configENS1_38merge_sort_block_merge_config_selectorIlNS0_10empty_typeEEEZZNS1_27merge_sort_block_merge_implIS3_PlPS5_mZN2at6native12_GLOBAL__N_124unique_dim_cuda_templateIbEESt5tupleIJNSA_6TensorESF_SF_EERKSF_lbbbEUlllE_EE10hipError_tT0_T1_T2_jT3_P12ihipStream_tbPNSt15iterator_traitsISL_E10value_typeEPNSR_ISM_E10value_typeEPSN_NS1_7vsmem_tEENKUlT_SL_SM_SN_E_clIS8_S8_S9_S9_EESK_S10_SL_SM_SN_EUlS10_E1_NS1_11comp_targetILNS1_3genE2ELNS1_11target_archE906ELNS1_3gpuE6ELNS1_3repE0EEENS1_36merge_oddeven_config_static_selectorELNS0_4arch9wavefront6targetE0EEEvSM_ ; -- Begin function _ZN7rocprim17ROCPRIM_400000_NS6detail17trampoline_kernelINS0_14default_configENS1_38merge_sort_block_merge_config_selectorIlNS0_10empty_typeEEEZZNS1_27merge_sort_block_merge_implIS3_PlPS5_mZN2at6native12_GLOBAL__N_124unique_dim_cuda_templateIbEESt5tupleIJNSA_6TensorESF_SF_EERKSF_lbbbEUlllE_EE10hipError_tT0_T1_T2_jT3_P12ihipStream_tbPNSt15iterator_traitsISL_E10value_typeEPNSR_ISM_E10value_typeEPSN_NS1_7vsmem_tEENKUlT_SL_SM_SN_E_clIS8_S8_S9_S9_EESK_S10_SL_SM_SN_EUlS10_E1_NS1_11comp_targetILNS1_3genE2ELNS1_11target_archE906ELNS1_3gpuE6ELNS1_3repE0EEENS1_36merge_oddeven_config_static_selectorELNS0_4arch9wavefront6targetE0EEEvSM_
	.p2align	8
	.type	_ZN7rocprim17ROCPRIM_400000_NS6detail17trampoline_kernelINS0_14default_configENS1_38merge_sort_block_merge_config_selectorIlNS0_10empty_typeEEEZZNS1_27merge_sort_block_merge_implIS3_PlPS5_mZN2at6native12_GLOBAL__N_124unique_dim_cuda_templateIbEESt5tupleIJNSA_6TensorESF_SF_EERKSF_lbbbEUlllE_EE10hipError_tT0_T1_T2_jT3_P12ihipStream_tbPNSt15iterator_traitsISL_E10value_typeEPNSR_ISM_E10value_typeEPSN_NS1_7vsmem_tEENKUlT_SL_SM_SN_E_clIS8_S8_S9_S9_EESK_S10_SL_SM_SN_EUlS10_E1_NS1_11comp_targetILNS1_3genE2ELNS1_11target_archE906ELNS1_3gpuE6ELNS1_3repE0EEENS1_36merge_oddeven_config_static_selectorELNS0_4arch9wavefront6targetE0EEEvSM_,@function
_ZN7rocprim17ROCPRIM_400000_NS6detail17trampoline_kernelINS0_14default_configENS1_38merge_sort_block_merge_config_selectorIlNS0_10empty_typeEEEZZNS1_27merge_sort_block_merge_implIS3_PlPS5_mZN2at6native12_GLOBAL__N_124unique_dim_cuda_templateIbEESt5tupleIJNSA_6TensorESF_SF_EERKSF_lbbbEUlllE_EE10hipError_tT0_T1_T2_jT3_P12ihipStream_tbPNSt15iterator_traitsISL_E10value_typeEPNSR_ISM_E10value_typeEPSN_NS1_7vsmem_tEENKUlT_SL_SM_SN_E_clIS8_S8_S9_S9_EESK_S10_SL_SM_SN_EUlS10_E1_NS1_11comp_targetILNS1_3genE2ELNS1_11target_archE906ELNS1_3gpuE6ELNS1_3repE0EEENS1_36merge_oddeven_config_static_selectorELNS0_4arch9wavefront6targetE0EEEvSM_: ; @_ZN7rocprim17ROCPRIM_400000_NS6detail17trampoline_kernelINS0_14default_configENS1_38merge_sort_block_merge_config_selectorIlNS0_10empty_typeEEEZZNS1_27merge_sort_block_merge_implIS3_PlPS5_mZN2at6native12_GLOBAL__N_124unique_dim_cuda_templateIbEESt5tupleIJNSA_6TensorESF_SF_EERKSF_lbbbEUlllE_EE10hipError_tT0_T1_T2_jT3_P12ihipStream_tbPNSt15iterator_traitsISL_E10value_typeEPNSR_ISM_E10value_typeEPSN_NS1_7vsmem_tEENKUlT_SL_SM_SN_E_clIS8_S8_S9_S9_EESK_S10_SL_SM_SN_EUlS10_E1_NS1_11comp_targetILNS1_3genE2ELNS1_11target_archE906ELNS1_3gpuE6ELNS1_3repE0EEENS1_36merge_oddeven_config_static_selectorELNS0_4arch9wavefront6targetE0EEEvSM_
; %bb.0:
	.section	.rodata,"a",@progbits
	.p2align	6, 0x0
	.amdhsa_kernel _ZN7rocprim17ROCPRIM_400000_NS6detail17trampoline_kernelINS0_14default_configENS1_38merge_sort_block_merge_config_selectorIlNS0_10empty_typeEEEZZNS1_27merge_sort_block_merge_implIS3_PlPS5_mZN2at6native12_GLOBAL__N_124unique_dim_cuda_templateIbEESt5tupleIJNSA_6TensorESF_SF_EERKSF_lbbbEUlllE_EE10hipError_tT0_T1_T2_jT3_P12ihipStream_tbPNSt15iterator_traitsISL_E10value_typeEPNSR_ISM_E10value_typeEPSN_NS1_7vsmem_tEENKUlT_SL_SM_SN_E_clIS8_S8_S9_S9_EESK_S10_SL_SM_SN_EUlS10_E1_NS1_11comp_targetILNS1_3genE2ELNS1_11target_archE906ELNS1_3gpuE6ELNS1_3repE0EEENS1_36merge_oddeven_config_static_selectorELNS0_4arch9wavefront6targetE0EEEvSM_
		.amdhsa_group_segment_fixed_size 0
		.amdhsa_private_segment_fixed_size 0
		.amdhsa_kernarg_size 64
		.amdhsa_user_sgpr_count 2
		.amdhsa_user_sgpr_dispatch_ptr 0
		.amdhsa_user_sgpr_queue_ptr 0
		.amdhsa_user_sgpr_kernarg_segment_ptr 1
		.amdhsa_user_sgpr_dispatch_id 0
		.amdhsa_user_sgpr_kernarg_preload_length 0
		.amdhsa_user_sgpr_kernarg_preload_offset 0
		.amdhsa_user_sgpr_private_segment_size 0
		.amdhsa_wavefront_size32 1
		.amdhsa_uses_dynamic_stack 0
		.amdhsa_enable_private_segment 0
		.amdhsa_system_sgpr_workgroup_id_x 1
		.amdhsa_system_sgpr_workgroup_id_y 0
		.amdhsa_system_sgpr_workgroup_id_z 0
		.amdhsa_system_sgpr_workgroup_info 0
		.amdhsa_system_vgpr_workitem_id 0
		.amdhsa_next_free_vgpr 1
		.amdhsa_next_free_sgpr 1
		.amdhsa_named_barrier_count 0
		.amdhsa_reserve_vcc 0
		.amdhsa_float_round_mode_32 0
		.amdhsa_float_round_mode_16_64 0
		.amdhsa_float_denorm_mode_32 3
		.amdhsa_float_denorm_mode_16_64 3
		.amdhsa_fp16_overflow 0
		.amdhsa_memory_ordered 1
		.amdhsa_forward_progress 1
		.amdhsa_inst_pref_size 0
		.amdhsa_round_robin_scheduling 0
		.amdhsa_exception_fp_ieee_invalid_op 0
		.amdhsa_exception_fp_denorm_src 0
		.amdhsa_exception_fp_ieee_div_zero 0
		.amdhsa_exception_fp_ieee_overflow 0
		.amdhsa_exception_fp_ieee_underflow 0
		.amdhsa_exception_fp_ieee_inexact 0
		.amdhsa_exception_int_div_zero 0
	.end_amdhsa_kernel
	.section	.text._ZN7rocprim17ROCPRIM_400000_NS6detail17trampoline_kernelINS0_14default_configENS1_38merge_sort_block_merge_config_selectorIlNS0_10empty_typeEEEZZNS1_27merge_sort_block_merge_implIS3_PlPS5_mZN2at6native12_GLOBAL__N_124unique_dim_cuda_templateIbEESt5tupleIJNSA_6TensorESF_SF_EERKSF_lbbbEUlllE_EE10hipError_tT0_T1_T2_jT3_P12ihipStream_tbPNSt15iterator_traitsISL_E10value_typeEPNSR_ISM_E10value_typeEPSN_NS1_7vsmem_tEENKUlT_SL_SM_SN_E_clIS8_S8_S9_S9_EESK_S10_SL_SM_SN_EUlS10_E1_NS1_11comp_targetILNS1_3genE2ELNS1_11target_archE906ELNS1_3gpuE6ELNS1_3repE0EEENS1_36merge_oddeven_config_static_selectorELNS0_4arch9wavefront6targetE0EEEvSM_,"axG",@progbits,_ZN7rocprim17ROCPRIM_400000_NS6detail17trampoline_kernelINS0_14default_configENS1_38merge_sort_block_merge_config_selectorIlNS0_10empty_typeEEEZZNS1_27merge_sort_block_merge_implIS3_PlPS5_mZN2at6native12_GLOBAL__N_124unique_dim_cuda_templateIbEESt5tupleIJNSA_6TensorESF_SF_EERKSF_lbbbEUlllE_EE10hipError_tT0_T1_T2_jT3_P12ihipStream_tbPNSt15iterator_traitsISL_E10value_typeEPNSR_ISM_E10value_typeEPSN_NS1_7vsmem_tEENKUlT_SL_SM_SN_E_clIS8_S8_S9_S9_EESK_S10_SL_SM_SN_EUlS10_E1_NS1_11comp_targetILNS1_3genE2ELNS1_11target_archE906ELNS1_3gpuE6ELNS1_3repE0EEENS1_36merge_oddeven_config_static_selectorELNS0_4arch9wavefront6targetE0EEEvSM_,comdat
.Lfunc_end1023:
	.size	_ZN7rocprim17ROCPRIM_400000_NS6detail17trampoline_kernelINS0_14default_configENS1_38merge_sort_block_merge_config_selectorIlNS0_10empty_typeEEEZZNS1_27merge_sort_block_merge_implIS3_PlPS5_mZN2at6native12_GLOBAL__N_124unique_dim_cuda_templateIbEESt5tupleIJNSA_6TensorESF_SF_EERKSF_lbbbEUlllE_EE10hipError_tT0_T1_T2_jT3_P12ihipStream_tbPNSt15iterator_traitsISL_E10value_typeEPNSR_ISM_E10value_typeEPSN_NS1_7vsmem_tEENKUlT_SL_SM_SN_E_clIS8_S8_S9_S9_EESK_S10_SL_SM_SN_EUlS10_E1_NS1_11comp_targetILNS1_3genE2ELNS1_11target_archE906ELNS1_3gpuE6ELNS1_3repE0EEENS1_36merge_oddeven_config_static_selectorELNS0_4arch9wavefront6targetE0EEEvSM_, .Lfunc_end1023-_ZN7rocprim17ROCPRIM_400000_NS6detail17trampoline_kernelINS0_14default_configENS1_38merge_sort_block_merge_config_selectorIlNS0_10empty_typeEEEZZNS1_27merge_sort_block_merge_implIS3_PlPS5_mZN2at6native12_GLOBAL__N_124unique_dim_cuda_templateIbEESt5tupleIJNSA_6TensorESF_SF_EERKSF_lbbbEUlllE_EE10hipError_tT0_T1_T2_jT3_P12ihipStream_tbPNSt15iterator_traitsISL_E10value_typeEPNSR_ISM_E10value_typeEPSN_NS1_7vsmem_tEENKUlT_SL_SM_SN_E_clIS8_S8_S9_S9_EESK_S10_SL_SM_SN_EUlS10_E1_NS1_11comp_targetILNS1_3genE2ELNS1_11target_archE906ELNS1_3gpuE6ELNS1_3repE0EEENS1_36merge_oddeven_config_static_selectorELNS0_4arch9wavefront6targetE0EEEvSM_
                                        ; -- End function
	.set _ZN7rocprim17ROCPRIM_400000_NS6detail17trampoline_kernelINS0_14default_configENS1_38merge_sort_block_merge_config_selectorIlNS0_10empty_typeEEEZZNS1_27merge_sort_block_merge_implIS3_PlPS5_mZN2at6native12_GLOBAL__N_124unique_dim_cuda_templateIbEESt5tupleIJNSA_6TensorESF_SF_EERKSF_lbbbEUlllE_EE10hipError_tT0_T1_T2_jT3_P12ihipStream_tbPNSt15iterator_traitsISL_E10value_typeEPNSR_ISM_E10value_typeEPSN_NS1_7vsmem_tEENKUlT_SL_SM_SN_E_clIS8_S8_S9_S9_EESK_S10_SL_SM_SN_EUlS10_E1_NS1_11comp_targetILNS1_3genE2ELNS1_11target_archE906ELNS1_3gpuE6ELNS1_3repE0EEENS1_36merge_oddeven_config_static_selectorELNS0_4arch9wavefront6targetE0EEEvSM_.num_vgpr, 0
	.set _ZN7rocprim17ROCPRIM_400000_NS6detail17trampoline_kernelINS0_14default_configENS1_38merge_sort_block_merge_config_selectorIlNS0_10empty_typeEEEZZNS1_27merge_sort_block_merge_implIS3_PlPS5_mZN2at6native12_GLOBAL__N_124unique_dim_cuda_templateIbEESt5tupleIJNSA_6TensorESF_SF_EERKSF_lbbbEUlllE_EE10hipError_tT0_T1_T2_jT3_P12ihipStream_tbPNSt15iterator_traitsISL_E10value_typeEPNSR_ISM_E10value_typeEPSN_NS1_7vsmem_tEENKUlT_SL_SM_SN_E_clIS8_S8_S9_S9_EESK_S10_SL_SM_SN_EUlS10_E1_NS1_11comp_targetILNS1_3genE2ELNS1_11target_archE906ELNS1_3gpuE6ELNS1_3repE0EEENS1_36merge_oddeven_config_static_selectorELNS0_4arch9wavefront6targetE0EEEvSM_.num_agpr, 0
	.set _ZN7rocprim17ROCPRIM_400000_NS6detail17trampoline_kernelINS0_14default_configENS1_38merge_sort_block_merge_config_selectorIlNS0_10empty_typeEEEZZNS1_27merge_sort_block_merge_implIS3_PlPS5_mZN2at6native12_GLOBAL__N_124unique_dim_cuda_templateIbEESt5tupleIJNSA_6TensorESF_SF_EERKSF_lbbbEUlllE_EE10hipError_tT0_T1_T2_jT3_P12ihipStream_tbPNSt15iterator_traitsISL_E10value_typeEPNSR_ISM_E10value_typeEPSN_NS1_7vsmem_tEENKUlT_SL_SM_SN_E_clIS8_S8_S9_S9_EESK_S10_SL_SM_SN_EUlS10_E1_NS1_11comp_targetILNS1_3genE2ELNS1_11target_archE906ELNS1_3gpuE6ELNS1_3repE0EEENS1_36merge_oddeven_config_static_selectorELNS0_4arch9wavefront6targetE0EEEvSM_.numbered_sgpr, 0
	.set _ZN7rocprim17ROCPRIM_400000_NS6detail17trampoline_kernelINS0_14default_configENS1_38merge_sort_block_merge_config_selectorIlNS0_10empty_typeEEEZZNS1_27merge_sort_block_merge_implIS3_PlPS5_mZN2at6native12_GLOBAL__N_124unique_dim_cuda_templateIbEESt5tupleIJNSA_6TensorESF_SF_EERKSF_lbbbEUlllE_EE10hipError_tT0_T1_T2_jT3_P12ihipStream_tbPNSt15iterator_traitsISL_E10value_typeEPNSR_ISM_E10value_typeEPSN_NS1_7vsmem_tEENKUlT_SL_SM_SN_E_clIS8_S8_S9_S9_EESK_S10_SL_SM_SN_EUlS10_E1_NS1_11comp_targetILNS1_3genE2ELNS1_11target_archE906ELNS1_3gpuE6ELNS1_3repE0EEENS1_36merge_oddeven_config_static_selectorELNS0_4arch9wavefront6targetE0EEEvSM_.num_named_barrier, 0
	.set _ZN7rocprim17ROCPRIM_400000_NS6detail17trampoline_kernelINS0_14default_configENS1_38merge_sort_block_merge_config_selectorIlNS0_10empty_typeEEEZZNS1_27merge_sort_block_merge_implIS3_PlPS5_mZN2at6native12_GLOBAL__N_124unique_dim_cuda_templateIbEESt5tupleIJNSA_6TensorESF_SF_EERKSF_lbbbEUlllE_EE10hipError_tT0_T1_T2_jT3_P12ihipStream_tbPNSt15iterator_traitsISL_E10value_typeEPNSR_ISM_E10value_typeEPSN_NS1_7vsmem_tEENKUlT_SL_SM_SN_E_clIS8_S8_S9_S9_EESK_S10_SL_SM_SN_EUlS10_E1_NS1_11comp_targetILNS1_3genE2ELNS1_11target_archE906ELNS1_3gpuE6ELNS1_3repE0EEENS1_36merge_oddeven_config_static_selectorELNS0_4arch9wavefront6targetE0EEEvSM_.private_seg_size, 0
	.set _ZN7rocprim17ROCPRIM_400000_NS6detail17trampoline_kernelINS0_14default_configENS1_38merge_sort_block_merge_config_selectorIlNS0_10empty_typeEEEZZNS1_27merge_sort_block_merge_implIS3_PlPS5_mZN2at6native12_GLOBAL__N_124unique_dim_cuda_templateIbEESt5tupleIJNSA_6TensorESF_SF_EERKSF_lbbbEUlllE_EE10hipError_tT0_T1_T2_jT3_P12ihipStream_tbPNSt15iterator_traitsISL_E10value_typeEPNSR_ISM_E10value_typeEPSN_NS1_7vsmem_tEENKUlT_SL_SM_SN_E_clIS8_S8_S9_S9_EESK_S10_SL_SM_SN_EUlS10_E1_NS1_11comp_targetILNS1_3genE2ELNS1_11target_archE906ELNS1_3gpuE6ELNS1_3repE0EEENS1_36merge_oddeven_config_static_selectorELNS0_4arch9wavefront6targetE0EEEvSM_.uses_vcc, 0
	.set _ZN7rocprim17ROCPRIM_400000_NS6detail17trampoline_kernelINS0_14default_configENS1_38merge_sort_block_merge_config_selectorIlNS0_10empty_typeEEEZZNS1_27merge_sort_block_merge_implIS3_PlPS5_mZN2at6native12_GLOBAL__N_124unique_dim_cuda_templateIbEESt5tupleIJNSA_6TensorESF_SF_EERKSF_lbbbEUlllE_EE10hipError_tT0_T1_T2_jT3_P12ihipStream_tbPNSt15iterator_traitsISL_E10value_typeEPNSR_ISM_E10value_typeEPSN_NS1_7vsmem_tEENKUlT_SL_SM_SN_E_clIS8_S8_S9_S9_EESK_S10_SL_SM_SN_EUlS10_E1_NS1_11comp_targetILNS1_3genE2ELNS1_11target_archE906ELNS1_3gpuE6ELNS1_3repE0EEENS1_36merge_oddeven_config_static_selectorELNS0_4arch9wavefront6targetE0EEEvSM_.uses_flat_scratch, 0
	.set _ZN7rocprim17ROCPRIM_400000_NS6detail17trampoline_kernelINS0_14default_configENS1_38merge_sort_block_merge_config_selectorIlNS0_10empty_typeEEEZZNS1_27merge_sort_block_merge_implIS3_PlPS5_mZN2at6native12_GLOBAL__N_124unique_dim_cuda_templateIbEESt5tupleIJNSA_6TensorESF_SF_EERKSF_lbbbEUlllE_EE10hipError_tT0_T1_T2_jT3_P12ihipStream_tbPNSt15iterator_traitsISL_E10value_typeEPNSR_ISM_E10value_typeEPSN_NS1_7vsmem_tEENKUlT_SL_SM_SN_E_clIS8_S8_S9_S9_EESK_S10_SL_SM_SN_EUlS10_E1_NS1_11comp_targetILNS1_3genE2ELNS1_11target_archE906ELNS1_3gpuE6ELNS1_3repE0EEENS1_36merge_oddeven_config_static_selectorELNS0_4arch9wavefront6targetE0EEEvSM_.has_dyn_sized_stack, 0
	.set _ZN7rocprim17ROCPRIM_400000_NS6detail17trampoline_kernelINS0_14default_configENS1_38merge_sort_block_merge_config_selectorIlNS0_10empty_typeEEEZZNS1_27merge_sort_block_merge_implIS3_PlPS5_mZN2at6native12_GLOBAL__N_124unique_dim_cuda_templateIbEESt5tupleIJNSA_6TensorESF_SF_EERKSF_lbbbEUlllE_EE10hipError_tT0_T1_T2_jT3_P12ihipStream_tbPNSt15iterator_traitsISL_E10value_typeEPNSR_ISM_E10value_typeEPSN_NS1_7vsmem_tEENKUlT_SL_SM_SN_E_clIS8_S8_S9_S9_EESK_S10_SL_SM_SN_EUlS10_E1_NS1_11comp_targetILNS1_3genE2ELNS1_11target_archE906ELNS1_3gpuE6ELNS1_3repE0EEENS1_36merge_oddeven_config_static_selectorELNS0_4arch9wavefront6targetE0EEEvSM_.has_recursion, 0
	.set _ZN7rocprim17ROCPRIM_400000_NS6detail17trampoline_kernelINS0_14default_configENS1_38merge_sort_block_merge_config_selectorIlNS0_10empty_typeEEEZZNS1_27merge_sort_block_merge_implIS3_PlPS5_mZN2at6native12_GLOBAL__N_124unique_dim_cuda_templateIbEESt5tupleIJNSA_6TensorESF_SF_EERKSF_lbbbEUlllE_EE10hipError_tT0_T1_T2_jT3_P12ihipStream_tbPNSt15iterator_traitsISL_E10value_typeEPNSR_ISM_E10value_typeEPSN_NS1_7vsmem_tEENKUlT_SL_SM_SN_E_clIS8_S8_S9_S9_EESK_S10_SL_SM_SN_EUlS10_E1_NS1_11comp_targetILNS1_3genE2ELNS1_11target_archE906ELNS1_3gpuE6ELNS1_3repE0EEENS1_36merge_oddeven_config_static_selectorELNS0_4arch9wavefront6targetE0EEEvSM_.has_indirect_call, 0
	.section	.AMDGPU.csdata,"",@progbits
; Kernel info:
; codeLenInByte = 0
; TotalNumSgprs: 0
; NumVgprs: 0
; ScratchSize: 0
; MemoryBound: 0
; FloatMode: 240
; IeeeMode: 1
; LDSByteSize: 0 bytes/workgroup (compile time only)
; SGPRBlocks: 0
; VGPRBlocks: 0
; NumSGPRsForWavesPerEU: 1
; NumVGPRsForWavesPerEU: 1
; NamedBarCnt: 0
; Occupancy: 16
; WaveLimiterHint : 0
; COMPUTE_PGM_RSRC2:SCRATCH_EN: 0
; COMPUTE_PGM_RSRC2:USER_SGPR: 2
; COMPUTE_PGM_RSRC2:TRAP_HANDLER: 0
; COMPUTE_PGM_RSRC2:TGID_X_EN: 1
; COMPUTE_PGM_RSRC2:TGID_Y_EN: 0
; COMPUTE_PGM_RSRC2:TGID_Z_EN: 0
; COMPUTE_PGM_RSRC2:TIDIG_COMP_CNT: 0
	.section	.text._ZN7rocprim17ROCPRIM_400000_NS6detail17trampoline_kernelINS0_14default_configENS1_38merge_sort_block_merge_config_selectorIlNS0_10empty_typeEEEZZNS1_27merge_sort_block_merge_implIS3_PlPS5_mZN2at6native12_GLOBAL__N_124unique_dim_cuda_templateIbEESt5tupleIJNSA_6TensorESF_SF_EERKSF_lbbbEUlllE_EE10hipError_tT0_T1_T2_jT3_P12ihipStream_tbPNSt15iterator_traitsISL_E10value_typeEPNSR_ISM_E10value_typeEPSN_NS1_7vsmem_tEENKUlT_SL_SM_SN_E_clIS8_S8_S9_S9_EESK_S10_SL_SM_SN_EUlS10_E1_NS1_11comp_targetILNS1_3genE9ELNS1_11target_archE1100ELNS1_3gpuE3ELNS1_3repE0EEENS1_36merge_oddeven_config_static_selectorELNS0_4arch9wavefront6targetE0EEEvSM_,"axG",@progbits,_ZN7rocprim17ROCPRIM_400000_NS6detail17trampoline_kernelINS0_14default_configENS1_38merge_sort_block_merge_config_selectorIlNS0_10empty_typeEEEZZNS1_27merge_sort_block_merge_implIS3_PlPS5_mZN2at6native12_GLOBAL__N_124unique_dim_cuda_templateIbEESt5tupleIJNSA_6TensorESF_SF_EERKSF_lbbbEUlllE_EE10hipError_tT0_T1_T2_jT3_P12ihipStream_tbPNSt15iterator_traitsISL_E10value_typeEPNSR_ISM_E10value_typeEPSN_NS1_7vsmem_tEENKUlT_SL_SM_SN_E_clIS8_S8_S9_S9_EESK_S10_SL_SM_SN_EUlS10_E1_NS1_11comp_targetILNS1_3genE9ELNS1_11target_archE1100ELNS1_3gpuE3ELNS1_3repE0EEENS1_36merge_oddeven_config_static_selectorELNS0_4arch9wavefront6targetE0EEEvSM_,comdat
	.globl	_ZN7rocprim17ROCPRIM_400000_NS6detail17trampoline_kernelINS0_14default_configENS1_38merge_sort_block_merge_config_selectorIlNS0_10empty_typeEEEZZNS1_27merge_sort_block_merge_implIS3_PlPS5_mZN2at6native12_GLOBAL__N_124unique_dim_cuda_templateIbEESt5tupleIJNSA_6TensorESF_SF_EERKSF_lbbbEUlllE_EE10hipError_tT0_T1_T2_jT3_P12ihipStream_tbPNSt15iterator_traitsISL_E10value_typeEPNSR_ISM_E10value_typeEPSN_NS1_7vsmem_tEENKUlT_SL_SM_SN_E_clIS8_S8_S9_S9_EESK_S10_SL_SM_SN_EUlS10_E1_NS1_11comp_targetILNS1_3genE9ELNS1_11target_archE1100ELNS1_3gpuE3ELNS1_3repE0EEENS1_36merge_oddeven_config_static_selectorELNS0_4arch9wavefront6targetE0EEEvSM_ ; -- Begin function _ZN7rocprim17ROCPRIM_400000_NS6detail17trampoline_kernelINS0_14default_configENS1_38merge_sort_block_merge_config_selectorIlNS0_10empty_typeEEEZZNS1_27merge_sort_block_merge_implIS3_PlPS5_mZN2at6native12_GLOBAL__N_124unique_dim_cuda_templateIbEESt5tupleIJNSA_6TensorESF_SF_EERKSF_lbbbEUlllE_EE10hipError_tT0_T1_T2_jT3_P12ihipStream_tbPNSt15iterator_traitsISL_E10value_typeEPNSR_ISM_E10value_typeEPSN_NS1_7vsmem_tEENKUlT_SL_SM_SN_E_clIS8_S8_S9_S9_EESK_S10_SL_SM_SN_EUlS10_E1_NS1_11comp_targetILNS1_3genE9ELNS1_11target_archE1100ELNS1_3gpuE3ELNS1_3repE0EEENS1_36merge_oddeven_config_static_selectorELNS0_4arch9wavefront6targetE0EEEvSM_
	.p2align	8
	.type	_ZN7rocprim17ROCPRIM_400000_NS6detail17trampoline_kernelINS0_14default_configENS1_38merge_sort_block_merge_config_selectorIlNS0_10empty_typeEEEZZNS1_27merge_sort_block_merge_implIS3_PlPS5_mZN2at6native12_GLOBAL__N_124unique_dim_cuda_templateIbEESt5tupleIJNSA_6TensorESF_SF_EERKSF_lbbbEUlllE_EE10hipError_tT0_T1_T2_jT3_P12ihipStream_tbPNSt15iterator_traitsISL_E10value_typeEPNSR_ISM_E10value_typeEPSN_NS1_7vsmem_tEENKUlT_SL_SM_SN_E_clIS8_S8_S9_S9_EESK_S10_SL_SM_SN_EUlS10_E1_NS1_11comp_targetILNS1_3genE9ELNS1_11target_archE1100ELNS1_3gpuE3ELNS1_3repE0EEENS1_36merge_oddeven_config_static_selectorELNS0_4arch9wavefront6targetE0EEEvSM_,@function
_ZN7rocprim17ROCPRIM_400000_NS6detail17trampoline_kernelINS0_14default_configENS1_38merge_sort_block_merge_config_selectorIlNS0_10empty_typeEEEZZNS1_27merge_sort_block_merge_implIS3_PlPS5_mZN2at6native12_GLOBAL__N_124unique_dim_cuda_templateIbEESt5tupleIJNSA_6TensorESF_SF_EERKSF_lbbbEUlllE_EE10hipError_tT0_T1_T2_jT3_P12ihipStream_tbPNSt15iterator_traitsISL_E10value_typeEPNSR_ISM_E10value_typeEPSN_NS1_7vsmem_tEENKUlT_SL_SM_SN_E_clIS8_S8_S9_S9_EESK_S10_SL_SM_SN_EUlS10_E1_NS1_11comp_targetILNS1_3genE9ELNS1_11target_archE1100ELNS1_3gpuE3ELNS1_3repE0EEENS1_36merge_oddeven_config_static_selectorELNS0_4arch9wavefront6targetE0EEEvSM_: ; @_ZN7rocprim17ROCPRIM_400000_NS6detail17trampoline_kernelINS0_14default_configENS1_38merge_sort_block_merge_config_selectorIlNS0_10empty_typeEEEZZNS1_27merge_sort_block_merge_implIS3_PlPS5_mZN2at6native12_GLOBAL__N_124unique_dim_cuda_templateIbEESt5tupleIJNSA_6TensorESF_SF_EERKSF_lbbbEUlllE_EE10hipError_tT0_T1_T2_jT3_P12ihipStream_tbPNSt15iterator_traitsISL_E10value_typeEPNSR_ISM_E10value_typeEPSN_NS1_7vsmem_tEENKUlT_SL_SM_SN_E_clIS8_S8_S9_S9_EESK_S10_SL_SM_SN_EUlS10_E1_NS1_11comp_targetILNS1_3genE9ELNS1_11target_archE1100ELNS1_3gpuE3ELNS1_3repE0EEENS1_36merge_oddeven_config_static_selectorELNS0_4arch9wavefront6targetE0EEEvSM_
; %bb.0:
	.section	.rodata,"a",@progbits
	.p2align	6, 0x0
	.amdhsa_kernel _ZN7rocprim17ROCPRIM_400000_NS6detail17trampoline_kernelINS0_14default_configENS1_38merge_sort_block_merge_config_selectorIlNS0_10empty_typeEEEZZNS1_27merge_sort_block_merge_implIS3_PlPS5_mZN2at6native12_GLOBAL__N_124unique_dim_cuda_templateIbEESt5tupleIJNSA_6TensorESF_SF_EERKSF_lbbbEUlllE_EE10hipError_tT0_T1_T2_jT3_P12ihipStream_tbPNSt15iterator_traitsISL_E10value_typeEPNSR_ISM_E10value_typeEPSN_NS1_7vsmem_tEENKUlT_SL_SM_SN_E_clIS8_S8_S9_S9_EESK_S10_SL_SM_SN_EUlS10_E1_NS1_11comp_targetILNS1_3genE9ELNS1_11target_archE1100ELNS1_3gpuE3ELNS1_3repE0EEENS1_36merge_oddeven_config_static_selectorELNS0_4arch9wavefront6targetE0EEEvSM_
		.amdhsa_group_segment_fixed_size 0
		.amdhsa_private_segment_fixed_size 0
		.amdhsa_kernarg_size 64
		.amdhsa_user_sgpr_count 2
		.amdhsa_user_sgpr_dispatch_ptr 0
		.amdhsa_user_sgpr_queue_ptr 0
		.amdhsa_user_sgpr_kernarg_segment_ptr 1
		.amdhsa_user_sgpr_dispatch_id 0
		.amdhsa_user_sgpr_kernarg_preload_length 0
		.amdhsa_user_sgpr_kernarg_preload_offset 0
		.amdhsa_user_sgpr_private_segment_size 0
		.amdhsa_wavefront_size32 1
		.amdhsa_uses_dynamic_stack 0
		.amdhsa_enable_private_segment 0
		.amdhsa_system_sgpr_workgroup_id_x 1
		.amdhsa_system_sgpr_workgroup_id_y 0
		.amdhsa_system_sgpr_workgroup_id_z 0
		.amdhsa_system_sgpr_workgroup_info 0
		.amdhsa_system_vgpr_workitem_id 0
		.amdhsa_next_free_vgpr 1
		.amdhsa_next_free_sgpr 1
		.amdhsa_named_barrier_count 0
		.amdhsa_reserve_vcc 0
		.amdhsa_float_round_mode_32 0
		.amdhsa_float_round_mode_16_64 0
		.amdhsa_float_denorm_mode_32 3
		.amdhsa_float_denorm_mode_16_64 3
		.amdhsa_fp16_overflow 0
		.amdhsa_memory_ordered 1
		.amdhsa_forward_progress 1
		.amdhsa_inst_pref_size 0
		.amdhsa_round_robin_scheduling 0
		.amdhsa_exception_fp_ieee_invalid_op 0
		.amdhsa_exception_fp_denorm_src 0
		.amdhsa_exception_fp_ieee_div_zero 0
		.amdhsa_exception_fp_ieee_overflow 0
		.amdhsa_exception_fp_ieee_underflow 0
		.amdhsa_exception_fp_ieee_inexact 0
		.amdhsa_exception_int_div_zero 0
	.end_amdhsa_kernel
	.section	.text._ZN7rocprim17ROCPRIM_400000_NS6detail17trampoline_kernelINS0_14default_configENS1_38merge_sort_block_merge_config_selectorIlNS0_10empty_typeEEEZZNS1_27merge_sort_block_merge_implIS3_PlPS5_mZN2at6native12_GLOBAL__N_124unique_dim_cuda_templateIbEESt5tupleIJNSA_6TensorESF_SF_EERKSF_lbbbEUlllE_EE10hipError_tT0_T1_T2_jT3_P12ihipStream_tbPNSt15iterator_traitsISL_E10value_typeEPNSR_ISM_E10value_typeEPSN_NS1_7vsmem_tEENKUlT_SL_SM_SN_E_clIS8_S8_S9_S9_EESK_S10_SL_SM_SN_EUlS10_E1_NS1_11comp_targetILNS1_3genE9ELNS1_11target_archE1100ELNS1_3gpuE3ELNS1_3repE0EEENS1_36merge_oddeven_config_static_selectorELNS0_4arch9wavefront6targetE0EEEvSM_,"axG",@progbits,_ZN7rocprim17ROCPRIM_400000_NS6detail17trampoline_kernelINS0_14default_configENS1_38merge_sort_block_merge_config_selectorIlNS0_10empty_typeEEEZZNS1_27merge_sort_block_merge_implIS3_PlPS5_mZN2at6native12_GLOBAL__N_124unique_dim_cuda_templateIbEESt5tupleIJNSA_6TensorESF_SF_EERKSF_lbbbEUlllE_EE10hipError_tT0_T1_T2_jT3_P12ihipStream_tbPNSt15iterator_traitsISL_E10value_typeEPNSR_ISM_E10value_typeEPSN_NS1_7vsmem_tEENKUlT_SL_SM_SN_E_clIS8_S8_S9_S9_EESK_S10_SL_SM_SN_EUlS10_E1_NS1_11comp_targetILNS1_3genE9ELNS1_11target_archE1100ELNS1_3gpuE3ELNS1_3repE0EEENS1_36merge_oddeven_config_static_selectorELNS0_4arch9wavefront6targetE0EEEvSM_,comdat
.Lfunc_end1024:
	.size	_ZN7rocprim17ROCPRIM_400000_NS6detail17trampoline_kernelINS0_14default_configENS1_38merge_sort_block_merge_config_selectorIlNS0_10empty_typeEEEZZNS1_27merge_sort_block_merge_implIS3_PlPS5_mZN2at6native12_GLOBAL__N_124unique_dim_cuda_templateIbEESt5tupleIJNSA_6TensorESF_SF_EERKSF_lbbbEUlllE_EE10hipError_tT0_T1_T2_jT3_P12ihipStream_tbPNSt15iterator_traitsISL_E10value_typeEPNSR_ISM_E10value_typeEPSN_NS1_7vsmem_tEENKUlT_SL_SM_SN_E_clIS8_S8_S9_S9_EESK_S10_SL_SM_SN_EUlS10_E1_NS1_11comp_targetILNS1_3genE9ELNS1_11target_archE1100ELNS1_3gpuE3ELNS1_3repE0EEENS1_36merge_oddeven_config_static_selectorELNS0_4arch9wavefront6targetE0EEEvSM_, .Lfunc_end1024-_ZN7rocprim17ROCPRIM_400000_NS6detail17trampoline_kernelINS0_14default_configENS1_38merge_sort_block_merge_config_selectorIlNS0_10empty_typeEEEZZNS1_27merge_sort_block_merge_implIS3_PlPS5_mZN2at6native12_GLOBAL__N_124unique_dim_cuda_templateIbEESt5tupleIJNSA_6TensorESF_SF_EERKSF_lbbbEUlllE_EE10hipError_tT0_T1_T2_jT3_P12ihipStream_tbPNSt15iterator_traitsISL_E10value_typeEPNSR_ISM_E10value_typeEPSN_NS1_7vsmem_tEENKUlT_SL_SM_SN_E_clIS8_S8_S9_S9_EESK_S10_SL_SM_SN_EUlS10_E1_NS1_11comp_targetILNS1_3genE9ELNS1_11target_archE1100ELNS1_3gpuE3ELNS1_3repE0EEENS1_36merge_oddeven_config_static_selectorELNS0_4arch9wavefront6targetE0EEEvSM_
                                        ; -- End function
	.set _ZN7rocprim17ROCPRIM_400000_NS6detail17trampoline_kernelINS0_14default_configENS1_38merge_sort_block_merge_config_selectorIlNS0_10empty_typeEEEZZNS1_27merge_sort_block_merge_implIS3_PlPS5_mZN2at6native12_GLOBAL__N_124unique_dim_cuda_templateIbEESt5tupleIJNSA_6TensorESF_SF_EERKSF_lbbbEUlllE_EE10hipError_tT0_T1_T2_jT3_P12ihipStream_tbPNSt15iterator_traitsISL_E10value_typeEPNSR_ISM_E10value_typeEPSN_NS1_7vsmem_tEENKUlT_SL_SM_SN_E_clIS8_S8_S9_S9_EESK_S10_SL_SM_SN_EUlS10_E1_NS1_11comp_targetILNS1_3genE9ELNS1_11target_archE1100ELNS1_3gpuE3ELNS1_3repE0EEENS1_36merge_oddeven_config_static_selectorELNS0_4arch9wavefront6targetE0EEEvSM_.num_vgpr, 0
	.set _ZN7rocprim17ROCPRIM_400000_NS6detail17trampoline_kernelINS0_14default_configENS1_38merge_sort_block_merge_config_selectorIlNS0_10empty_typeEEEZZNS1_27merge_sort_block_merge_implIS3_PlPS5_mZN2at6native12_GLOBAL__N_124unique_dim_cuda_templateIbEESt5tupleIJNSA_6TensorESF_SF_EERKSF_lbbbEUlllE_EE10hipError_tT0_T1_T2_jT3_P12ihipStream_tbPNSt15iterator_traitsISL_E10value_typeEPNSR_ISM_E10value_typeEPSN_NS1_7vsmem_tEENKUlT_SL_SM_SN_E_clIS8_S8_S9_S9_EESK_S10_SL_SM_SN_EUlS10_E1_NS1_11comp_targetILNS1_3genE9ELNS1_11target_archE1100ELNS1_3gpuE3ELNS1_3repE0EEENS1_36merge_oddeven_config_static_selectorELNS0_4arch9wavefront6targetE0EEEvSM_.num_agpr, 0
	.set _ZN7rocprim17ROCPRIM_400000_NS6detail17trampoline_kernelINS0_14default_configENS1_38merge_sort_block_merge_config_selectorIlNS0_10empty_typeEEEZZNS1_27merge_sort_block_merge_implIS3_PlPS5_mZN2at6native12_GLOBAL__N_124unique_dim_cuda_templateIbEESt5tupleIJNSA_6TensorESF_SF_EERKSF_lbbbEUlllE_EE10hipError_tT0_T1_T2_jT3_P12ihipStream_tbPNSt15iterator_traitsISL_E10value_typeEPNSR_ISM_E10value_typeEPSN_NS1_7vsmem_tEENKUlT_SL_SM_SN_E_clIS8_S8_S9_S9_EESK_S10_SL_SM_SN_EUlS10_E1_NS1_11comp_targetILNS1_3genE9ELNS1_11target_archE1100ELNS1_3gpuE3ELNS1_3repE0EEENS1_36merge_oddeven_config_static_selectorELNS0_4arch9wavefront6targetE0EEEvSM_.numbered_sgpr, 0
	.set _ZN7rocprim17ROCPRIM_400000_NS6detail17trampoline_kernelINS0_14default_configENS1_38merge_sort_block_merge_config_selectorIlNS0_10empty_typeEEEZZNS1_27merge_sort_block_merge_implIS3_PlPS5_mZN2at6native12_GLOBAL__N_124unique_dim_cuda_templateIbEESt5tupleIJNSA_6TensorESF_SF_EERKSF_lbbbEUlllE_EE10hipError_tT0_T1_T2_jT3_P12ihipStream_tbPNSt15iterator_traitsISL_E10value_typeEPNSR_ISM_E10value_typeEPSN_NS1_7vsmem_tEENKUlT_SL_SM_SN_E_clIS8_S8_S9_S9_EESK_S10_SL_SM_SN_EUlS10_E1_NS1_11comp_targetILNS1_3genE9ELNS1_11target_archE1100ELNS1_3gpuE3ELNS1_3repE0EEENS1_36merge_oddeven_config_static_selectorELNS0_4arch9wavefront6targetE0EEEvSM_.num_named_barrier, 0
	.set _ZN7rocprim17ROCPRIM_400000_NS6detail17trampoline_kernelINS0_14default_configENS1_38merge_sort_block_merge_config_selectorIlNS0_10empty_typeEEEZZNS1_27merge_sort_block_merge_implIS3_PlPS5_mZN2at6native12_GLOBAL__N_124unique_dim_cuda_templateIbEESt5tupleIJNSA_6TensorESF_SF_EERKSF_lbbbEUlllE_EE10hipError_tT0_T1_T2_jT3_P12ihipStream_tbPNSt15iterator_traitsISL_E10value_typeEPNSR_ISM_E10value_typeEPSN_NS1_7vsmem_tEENKUlT_SL_SM_SN_E_clIS8_S8_S9_S9_EESK_S10_SL_SM_SN_EUlS10_E1_NS1_11comp_targetILNS1_3genE9ELNS1_11target_archE1100ELNS1_3gpuE3ELNS1_3repE0EEENS1_36merge_oddeven_config_static_selectorELNS0_4arch9wavefront6targetE0EEEvSM_.private_seg_size, 0
	.set _ZN7rocprim17ROCPRIM_400000_NS6detail17trampoline_kernelINS0_14default_configENS1_38merge_sort_block_merge_config_selectorIlNS0_10empty_typeEEEZZNS1_27merge_sort_block_merge_implIS3_PlPS5_mZN2at6native12_GLOBAL__N_124unique_dim_cuda_templateIbEESt5tupleIJNSA_6TensorESF_SF_EERKSF_lbbbEUlllE_EE10hipError_tT0_T1_T2_jT3_P12ihipStream_tbPNSt15iterator_traitsISL_E10value_typeEPNSR_ISM_E10value_typeEPSN_NS1_7vsmem_tEENKUlT_SL_SM_SN_E_clIS8_S8_S9_S9_EESK_S10_SL_SM_SN_EUlS10_E1_NS1_11comp_targetILNS1_3genE9ELNS1_11target_archE1100ELNS1_3gpuE3ELNS1_3repE0EEENS1_36merge_oddeven_config_static_selectorELNS0_4arch9wavefront6targetE0EEEvSM_.uses_vcc, 0
	.set _ZN7rocprim17ROCPRIM_400000_NS6detail17trampoline_kernelINS0_14default_configENS1_38merge_sort_block_merge_config_selectorIlNS0_10empty_typeEEEZZNS1_27merge_sort_block_merge_implIS3_PlPS5_mZN2at6native12_GLOBAL__N_124unique_dim_cuda_templateIbEESt5tupleIJNSA_6TensorESF_SF_EERKSF_lbbbEUlllE_EE10hipError_tT0_T1_T2_jT3_P12ihipStream_tbPNSt15iterator_traitsISL_E10value_typeEPNSR_ISM_E10value_typeEPSN_NS1_7vsmem_tEENKUlT_SL_SM_SN_E_clIS8_S8_S9_S9_EESK_S10_SL_SM_SN_EUlS10_E1_NS1_11comp_targetILNS1_3genE9ELNS1_11target_archE1100ELNS1_3gpuE3ELNS1_3repE0EEENS1_36merge_oddeven_config_static_selectorELNS0_4arch9wavefront6targetE0EEEvSM_.uses_flat_scratch, 0
	.set _ZN7rocprim17ROCPRIM_400000_NS6detail17trampoline_kernelINS0_14default_configENS1_38merge_sort_block_merge_config_selectorIlNS0_10empty_typeEEEZZNS1_27merge_sort_block_merge_implIS3_PlPS5_mZN2at6native12_GLOBAL__N_124unique_dim_cuda_templateIbEESt5tupleIJNSA_6TensorESF_SF_EERKSF_lbbbEUlllE_EE10hipError_tT0_T1_T2_jT3_P12ihipStream_tbPNSt15iterator_traitsISL_E10value_typeEPNSR_ISM_E10value_typeEPSN_NS1_7vsmem_tEENKUlT_SL_SM_SN_E_clIS8_S8_S9_S9_EESK_S10_SL_SM_SN_EUlS10_E1_NS1_11comp_targetILNS1_3genE9ELNS1_11target_archE1100ELNS1_3gpuE3ELNS1_3repE0EEENS1_36merge_oddeven_config_static_selectorELNS0_4arch9wavefront6targetE0EEEvSM_.has_dyn_sized_stack, 0
	.set _ZN7rocprim17ROCPRIM_400000_NS6detail17trampoline_kernelINS0_14default_configENS1_38merge_sort_block_merge_config_selectorIlNS0_10empty_typeEEEZZNS1_27merge_sort_block_merge_implIS3_PlPS5_mZN2at6native12_GLOBAL__N_124unique_dim_cuda_templateIbEESt5tupleIJNSA_6TensorESF_SF_EERKSF_lbbbEUlllE_EE10hipError_tT0_T1_T2_jT3_P12ihipStream_tbPNSt15iterator_traitsISL_E10value_typeEPNSR_ISM_E10value_typeEPSN_NS1_7vsmem_tEENKUlT_SL_SM_SN_E_clIS8_S8_S9_S9_EESK_S10_SL_SM_SN_EUlS10_E1_NS1_11comp_targetILNS1_3genE9ELNS1_11target_archE1100ELNS1_3gpuE3ELNS1_3repE0EEENS1_36merge_oddeven_config_static_selectorELNS0_4arch9wavefront6targetE0EEEvSM_.has_recursion, 0
	.set _ZN7rocprim17ROCPRIM_400000_NS6detail17trampoline_kernelINS0_14default_configENS1_38merge_sort_block_merge_config_selectorIlNS0_10empty_typeEEEZZNS1_27merge_sort_block_merge_implIS3_PlPS5_mZN2at6native12_GLOBAL__N_124unique_dim_cuda_templateIbEESt5tupleIJNSA_6TensorESF_SF_EERKSF_lbbbEUlllE_EE10hipError_tT0_T1_T2_jT3_P12ihipStream_tbPNSt15iterator_traitsISL_E10value_typeEPNSR_ISM_E10value_typeEPSN_NS1_7vsmem_tEENKUlT_SL_SM_SN_E_clIS8_S8_S9_S9_EESK_S10_SL_SM_SN_EUlS10_E1_NS1_11comp_targetILNS1_3genE9ELNS1_11target_archE1100ELNS1_3gpuE3ELNS1_3repE0EEENS1_36merge_oddeven_config_static_selectorELNS0_4arch9wavefront6targetE0EEEvSM_.has_indirect_call, 0
	.section	.AMDGPU.csdata,"",@progbits
; Kernel info:
; codeLenInByte = 0
; TotalNumSgprs: 0
; NumVgprs: 0
; ScratchSize: 0
; MemoryBound: 0
; FloatMode: 240
; IeeeMode: 1
; LDSByteSize: 0 bytes/workgroup (compile time only)
; SGPRBlocks: 0
; VGPRBlocks: 0
; NumSGPRsForWavesPerEU: 1
; NumVGPRsForWavesPerEU: 1
; NamedBarCnt: 0
; Occupancy: 16
; WaveLimiterHint : 0
; COMPUTE_PGM_RSRC2:SCRATCH_EN: 0
; COMPUTE_PGM_RSRC2:USER_SGPR: 2
; COMPUTE_PGM_RSRC2:TRAP_HANDLER: 0
; COMPUTE_PGM_RSRC2:TGID_X_EN: 1
; COMPUTE_PGM_RSRC2:TGID_Y_EN: 0
; COMPUTE_PGM_RSRC2:TGID_Z_EN: 0
; COMPUTE_PGM_RSRC2:TIDIG_COMP_CNT: 0
	.section	.text._ZN7rocprim17ROCPRIM_400000_NS6detail17trampoline_kernelINS0_14default_configENS1_38merge_sort_block_merge_config_selectorIlNS0_10empty_typeEEEZZNS1_27merge_sort_block_merge_implIS3_PlPS5_mZN2at6native12_GLOBAL__N_124unique_dim_cuda_templateIbEESt5tupleIJNSA_6TensorESF_SF_EERKSF_lbbbEUlllE_EE10hipError_tT0_T1_T2_jT3_P12ihipStream_tbPNSt15iterator_traitsISL_E10value_typeEPNSR_ISM_E10value_typeEPSN_NS1_7vsmem_tEENKUlT_SL_SM_SN_E_clIS8_S8_S9_S9_EESK_S10_SL_SM_SN_EUlS10_E1_NS1_11comp_targetILNS1_3genE8ELNS1_11target_archE1030ELNS1_3gpuE2ELNS1_3repE0EEENS1_36merge_oddeven_config_static_selectorELNS0_4arch9wavefront6targetE0EEEvSM_,"axG",@progbits,_ZN7rocprim17ROCPRIM_400000_NS6detail17trampoline_kernelINS0_14default_configENS1_38merge_sort_block_merge_config_selectorIlNS0_10empty_typeEEEZZNS1_27merge_sort_block_merge_implIS3_PlPS5_mZN2at6native12_GLOBAL__N_124unique_dim_cuda_templateIbEESt5tupleIJNSA_6TensorESF_SF_EERKSF_lbbbEUlllE_EE10hipError_tT0_T1_T2_jT3_P12ihipStream_tbPNSt15iterator_traitsISL_E10value_typeEPNSR_ISM_E10value_typeEPSN_NS1_7vsmem_tEENKUlT_SL_SM_SN_E_clIS8_S8_S9_S9_EESK_S10_SL_SM_SN_EUlS10_E1_NS1_11comp_targetILNS1_3genE8ELNS1_11target_archE1030ELNS1_3gpuE2ELNS1_3repE0EEENS1_36merge_oddeven_config_static_selectorELNS0_4arch9wavefront6targetE0EEEvSM_,comdat
	.globl	_ZN7rocprim17ROCPRIM_400000_NS6detail17trampoline_kernelINS0_14default_configENS1_38merge_sort_block_merge_config_selectorIlNS0_10empty_typeEEEZZNS1_27merge_sort_block_merge_implIS3_PlPS5_mZN2at6native12_GLOBAL__N_124unique_dim_cuda_templateIbEESt5tupleIJNSA_6TensorESF_SF_EERKSF_lbbbEUlllE_EE10hipError_tT0_T1_T2_jT3_P12ihipStream_tbPNSt15iterator_traitsISL_E10value_typeEPNSR_ISM_E10value_typeEPSN_NS1_7vsmem_tEENKUlT_SL_SM_SN_E_clIS8_S8_S9_S9_EESK_S10_SL_SM_SN_EUlS10_E1_NS1_11comp_targetILNS1_3genE8ELNS1_11target_archE1030ELNS1_3gpuE2ELNS1_3repE0EEENS1_36merge_oddeven_config_static_selectorELNS0_4arch9wavefront6targetE0EEEvSM_ ; -- Begin function _ZN7rocprim17ROCPRIM_400000_NS6detail17trampoline_kernelINS0_14default_configENS1_38merge_sort_block_merge_config_selectorIlNS0_10empty_typeEEEZZNS1_27merge_sort_block_merge_implIS3_PlPS5_mZN2at6native12_GLOBAL__N_124unique_dim_cuda_templateIbEESt5tupleIJNSA_6TensorESF_SF_EERKSF_lbbbEUlllE_EE10hipError_tT0_T1_T2_jT3_P12ihipStream_tbPNSt15iterator_traitsISL_E10value_typeEPNSR_ISM_E10value_typeEPSN_NS1_7vsmem_tEENKUlT_SL_SM_SN_E_clIS8_S8_S9_S9_EESK_S10_SL_SM_SN_EUlS10_E1_NS1_11comp_targetILNS1_3genE8ELNS1_11target_archE1030ELNS1_3gpuE2ELNS1_3repE0EEENS1_36merge_oddeven_config_static_selectorELNS0_4arch9wavefront6targetE0EEEvSM_
	.p2align	8
	.type	_ZN7rocprim17ROCPRIM_400000_NS6detail17trampoline_kernelINS0_14default_configENS1_38merge_sort_block_merge_config_selectorIlNS0_10empty_typeEEEZZNS1_27merge_sort_block_merge_implIS3_PlPS5_mZN2at6native12_GLOBAL__N_124unique_dim_cuda_templateIbEESt5tupleIJNSA_6TensorESF_SF_EERKSF_lbbbEUlllE_EE10hipError_tT0_T1_T2_jT3_P12ihipStream_tbPNSt15iterator_traitsISL_E10value_typeEPNSR_ISM_E10value_typeEPSN_NS1_7vsmem_tEENKUlT_SL_SM_SN_E_clIS8_S8_S9_S9_EESK_S10_SL_SM_SN_EUlS10_E1_NS1_11comp_targetILNS1_3genE8ELNS1_11target_archE1030ELNS1_3gpuE2ELNS1_3repE0EEENS1_36merge_oddeven_config_static_selectorELNS0_4arch9wavefront6targetE0EEEvSM_,@function
_ZN7rocprim17ROCPRIM_400000_NS6detail17trampoline_kernelINS0_14default_configENS1_38merge_sort_block_merge_config_selectorIlNS0_10empty_typeEEEZZNS1_27merge_sort_block_merge_implIS3_PlPS5_mZN2at6native12_GLOBAL__N_124unique_dim_cuda_templateIbEESt5tupleIJNSA_6TensorESF_SF_EERKSF_lbbbEUlllE_EE10hipError_tT0_T1_T2_jT3_P12ihipStream_tbPNSt15iterator_traitsISL_E10value_typeEPNSR_ISM_E10value_typeEPSN_NS1_7vsmem_tEENKUlT_SL_SM_SN_E_clIS8_S8_S9_S9_EESK_S10_SL_SM_SN_EUlS10_E1_NS1_11comp_targetILNS1_3genE8ELNS1_11target_archE1030ELNS1_3gpuE2ELNS1_3repE0EEENS1_36merge_oddeven_config_static_selectorELNS0_4arch9wavefront6targetE0EEEvSM_: ; @_ZN7rocprim17ROCPRIM_400000_NS6detail17trampoline_kernelINS0_14default_configENS1_38merge_sort_block_merge_config_selectorIlNS0_10empty_typeEEEZZNS1_27merge_sort_block_merge_implIS3_PlPS5_mZN2at6native12_GLOBAL__N_124unique_dim_cuda_templateIbEESt5tupleIJNSA_6TensorESF_SF_EERKSF_lbbbEUlllE_EE10hipError_tT0_T1_T2_jT3_P12ihipStream_tbPNSt15iterator_traitsISL_E10value_typeEPNSR_ISM_E10value_typeEPSN_NS1_7vsmem_tEENKUlT_SL_SM_SN_E_clIS8_S8_S9_S9_EESK_S10_SL_SM_SN_EUlS10_E1_NS1_11comp_targetILNS1_3genE8ELNS1_11target_archE1030ELNS1_3gpuE2ELNS1_3repE0EEENS1_36merge_oddeven_config_static_selectorELNS0_4arch9wavefront6targetE0EEEvSM_
; %bb.0:
	.section	.rodata,"a",@progbits
	.p2align	6, 0x0
	.amdhsa_kernel _ZN7rocprim17ROCPRIM_400000_NS6detail17trampoline_kernelINS0_14default_configENS1_38merge_sort_block_merge_config_selectorIlNS0_10empty_typeEEEZZNS1_27merge_sort_block_merge_implIS3_PlPS5_mZN2at6native12_GLOBAL__N_124unique_dim_cuda_templateIbEESt5tupleIJNSA_6TensorESF_SF_EERKSF_lbbbEUlllE_EE10hipError_tT0_T1_T2_jT3_P12ihipStream_tbPNSt15iterator_traitsISL_E10value_typeEPNSR_ISM_E10value_typeEPSN_NS1_7vsmem_tEENKUlT_SL_SM_SN_E_clIS8_S8_S9_S9_EESK_S10_SL_SM_SN_EUlS10_E1_NS1_11comp_targetILNS1_3genE8ELNS1_11target_archE1030ELNS1_3gpuE2ELNS1_3repE0EEENS1_36merge_oddeven_config_static_selectorELNS0_4arch9wavefront6targetE0EEEvSM_
		.amdhsa_group_segment_fixed_size 0
		.amdhsa_private_segment_fixed_size 0
		.amdhsa_kernarg_size 64
		.amdhsa_user_sgpr_count 2
		.amdhsa_user_sgpr_dispatch_ptr 0
		.amdhsa_user_sgpr_queue_ptr 0
		.amdhsa_user_sgpr_kernarg_segment_ptr 1
		.amdhsa_user_sgpr_dispatch_id 0
		.amdhsa_user_sgpr_kernarg_preload_length 0
		.amdhsa_user_sgpr_kernarg_preload_offset 0
		.amdhsa_user_sgpr_private_segment_size 0
		.amdhsa_wavefront_size32 1
		.amdhsa_uses_dynamic_stack 0
		.amdhsa_enable_private_segment 0
		.amdhsa_system_sgpr_workgroup_id_x 1
		.amdhsa_system_sgpr_workgroup_id_y 0
		.amdhsa_system_sgpr_workgroup_id_z 0
		.amdhsa_system_sgpr_workgroup_info 0
		.amdhsa_system_vgpr_workitem_id 0
		.amdhsa_next_free_vgpr 1
		.amdhsa_next_free_sgpr 1
		.amdhsa_named_barrier_count 0
		.amdhsa_reserve_vcc 0
		.amdhsa_float_round_mode_32 0
		.amdhsa_float_round_mode_16_64 0
		.amdhsa_float_denorm_mode_32 3
		.amdhsa_float_denorm_mode_16_64 3
		.amdhsa_fp16_overflow 0
		.amdhsa_memory_ordered 1
		.amdhsa_forward_progress 1
		.amdhsa_inst_pref_size 0
		.amdhsa_round_robin_scheduling 0
		.amdhsa_exception_fp_ieee_invalid_op 0
		.amdhsa_exception_fp_denorm_src 0
		.amdhsa_exception_fp_ieee_div_zero 0
		.amdhsa_exception_fp_ieee_overflow 0
		.amdhsa_exception_fp_ieee_underflow 0
		.amdhsa_exception_fp_ieee_inexact 0
		.amdhsa_exception_int_div_zero 0
	.end_amdhsa_kernel
	.section	.text._ZN7rocprim17ROCPRIM_400000_NS6detail17trampoline_kernelINS0_14default_configENS1_38merge_sort_block_merge_config_selectorIlNS0_10empty_typeEEEZZNS1_27merge_sort_block_merge_implIS3_PlPS5_mZN2at6native12_GLOBAL__N_124unique_dim_cuda_templateIbEESt5tupleIJNSA_6TensorESF_SF_EERKSF_lbbbEUlllE_EE10hipError_tT0_T1_T2_jT3_P12ihipStream_tbPNSt15iterator_traitsISL_E10value_typeEPNSR_ISM_E10value_typeEPSN_NS1_7vsmem_tEENKUlT_SL_SM_SN_E_clIS8_S8_S9_S9_EESK_S10_SL_SM_SN_EUlS10_E1_NS1_11comp_targetILNS1_3genE8ELNS1_11target_archE1030ELNS1_3gpuE2ELNS1_3repE0EEENS1_36merge_oddeven_config_static_selectorELNS0_4arch9wavefront6targetE0EEEvSM_,"axG",@progbits,_ZN7rocprim17ROCPRIM_400000_NS6detail17trampoline_kernelINS0_14default_configENS1_38merge_sort_block_merge_config_selectorIlNS0_10empty_typeEEEZZNS1_27merge_sort_block_merge_implIS3_PlPS5_mZN2at6native12_GLOBAL__N_124unique_dim_cuda_templateIbEESt5tupleIJNSA_6TensorESF_SF_EERKSF_lbbbEUlllE_EE10hipError_tT0_T1_T2_jT3_P12ihipStream_tbPNSt15iterator_traitsISL_E10value_typeEPNSR_ISM_E10value_typeEPSN_NS1_7vsmem_tEENKUlT_SL_SM_SN_E_clIS8_S8_S9_S9_EESK_S10_SL_SM_SN_EUlS10_E1_NS1_11comp_targetILNS1_3genE8ELNS1_11target_archE1030ELNS1_3gpuE2ELNS1_3repE0EEENS1_36merge_oddeven_config_static_selectorELNS0_4arch9wavefront6targetE0EEEvSM_,comdat
.Lfunc_end1025:
	.size	_ZN7rocprim17ROCPRIM_400000_NS6detail17trampoline_kernelINS0_14default_configENS1_38merge_sort_block_merge_config_selectorIlNS0_10empty_typeEEEZZNS1_27merge_sort_block_merge_implIS3_PlPS5_mZN2at6native12_GLOBAL__N_124unique_dim_cuda_templateIbEESt5tupleIJNSA_6TensorESF_SF_EERKSF_lbbbEUlllE_EE10hipError_tT0_T1_T2_jT3_P12ihipStream_tbPNSt15iterator_traitsISL_E10value_typeEPNSR_ISM_E10value_typeEPSN_NS1_7vsmem_tEENKUlT_SL_SM_SN_E_clIS8_S8_S9_S9_EESK_S10_SL_SM_SN_EUlS10_E1_NS1_11comp_targetILNS1_3genE8ELNS1_11target_archE1030ELNS1_3gpuE2ELNS1_3repE0EEENS1_36merge_oddeven_config_static_selectorELNS0_4arch9wavefront6targetE0EEEvSM_, .Lfunc_end1025-_ZN7rocprim17ROCPRIM_400000_NS6detail17trampoline_kernelINS0_14default_configENS1_38merge_sort_block_merge_config_selectorIlNS0_10empty_typeEEEZZNS1_27merge_sort_block_merge_implIS3_PlPS5_mZN2at6native12_GLOBAL__N_124unique_dim_cuda_templateIbEESt5tupleIJNSA_6TensorESF_SF_EERKSF_lbbbEUlllE_EE10hipError_tT0_T1_T2_jT3_P12ihipStream_tbPNSt15iterator_traitsISL_E10value_typeEPNSR_ISM_E10value_typeEPSN_NS1_7vsmem_tEENKUlT_SL_SM_SN_E_clIS8_S8_S9_S9_EESK_S10_SL_SM_SN_EUlS10_E1_NS1_11comp_targetILNS1_3genE8ELNS1_11target_archE1030ELNS1_3gpuE2ELNS1_3repE0EEENS1_36merge_oddeven_config_static_selectorELNS0_4arch9wavefront6targetE0EEEvSM_
                                        ; -- End function
	.set _ZN7rocprim17ROCPRIM_400000_NS6detail17trampoline_kernelINS0_14default_configENS1_38merge_sort_block_merge_config_selectorIlNS0_10empty_typeEEEZZNS1_27merge_sort_block_merge_implIS3_PlPS5_mZN2at6native12_GLOBAL__N_124unique_dim_cuda_templateIbEESt5tupleIJNSA_6TensorESF_SF_EERKSF_lbbbEUlllE_EE10hipError_tT0_T1_T2_jT3_P12ihipStream_tbPNSt15iterator_traitsISL_E10value_typeEPNSR_ISM_E10value_typeEPSN_NS1_7vsmem_tEENKUlT_SL_SM_SN_E_clIS8_S8_S9_S9_EESK_S10_SL_SM_SN_EUlS10_E1_NS1_11comp_targetILNS1_3genE8ELNS1_11target_archE1030ELNS1_3gpuE2ELNS1_3repE0EEENS1_36merge_oddeven_config_static_selectorELNS0_4arch9wavefront6targetE0EEEvSM_.num_vgpr, 0
	.set _ZN7rocprim17ROCPRIM_400000_NS6detail17trampoline_kernelINS0_14default_configENS1_38merge_sort_block_merge_config_selectorIlNS0_10empty_typeEEEZZNS1_27merge_sort_block_merge_implIS3_PlPS5_mZN2at6native12_GLOBAL__N_124unique_dim_cuda_templateIbEESt5tupleIJNSA_6TensorESF_SF_EERKSF_lbbbEUlllE_EE10hipError_tT0_T1_T2_jT3_P12ihipStream_tbPNSt15iterator_traitsISL_E10value_typeEPNSR_ISM_E10value_typeEPSN_NS1_7vsmem_tEENKUlT_SL_SM_SN_E_clIS8_S8_S9_S9_EESK_S10_SL_SM_SN_EUlS10_E1_NS1_11comp_targetILNS1_3genE8ELNS1_11target_archE1030ELNS1_3gpuE2ELNS1_3repE0EEENS1_36merge_oddeven_config_static_selectorELNS0_4arch9wavefront6targetE0EEEvSM_.num_agpr, 0
	.set _ZN7rocprim17ROCPRIM_400000_NS6detail17trampoline_kernelINS0_14default_configENS1_38merge_sort_block_merge_config_selectorIlNS0_10empty_typeEEEZZNS1_27merge_sort_block_merge_implIS3_PlPS5_mZN2at6native12_GLOBAL__N_124unique_dim_cuda_templateIbEESt5tupleIJNSA_6TensorESF_SF_EERKSF_lbbbEUlllE_EE10hipError_tT0_T1_T2_jT3_P12ihipStream_tbPNSt15iterator_traitsISL_E10value_typeEPNSR_ISM_E10value_typeEPSN_NS1_7vsmem_tEENKUlT_SL_SM_SN_E_clIS8_S8_S9_S9_EESK_S10_SL_SM_SN_EUlS10_E1_NS1_11comp_targetILNS1_3genE8ELNS1_11target_archE1030ELNS1_3gpuE2ELNS1_3repE0EEENS1_36merge_oddeven_config_static_selectorELNS0_4arch9wavefront6targetE0EEEvSM_.numbered_sgpr, 0
	.set _ZN7rocprim17ROCPRIM_400000_NS6detail17trampoline_kernelINS0_14default_configENS1_38merge_sort_block_merge_config_selectorIlNS0_10empty_typeEEEZZNS1_27merge_sort_block_merge_implIS3_PlPS5_mZN2at6native12_GLOBAL__N_124unique_dim_cuda_templateIbEESt5tupleIJNSA_6TensorESF_SF_EERKSF_lbbbEUlllE_EE10hipError_tT0_T1_T2_jT3_P12ihipStream_tbPNSt15iterator_traitsISL_E10value_typeEPNSR_ISM_E10value_typeEPSN_NS1_7vsmem_tEENKUlT_SL_SM_SN_E_clIS8_S8_S9_S9_EESK_S10_SL_SM_SN_EUlS10_E1_NS1_11comp_targetILNS1_3genE8ELNS1_11target_archE1030ELNS1_3gpuE2ELNS1_3repE0EEENS1_36merge_oddeven_config_static_selectorELNS0_4arch9wavefront6targetE0EEEvSM_.num_named_barrier, 0
	.set _ZN7rocprim17ROCPRIM_400000_NS6detail17trampoline_kernelINS0_14default_configENS1_38merge_sort_block_merge_config_selectorIlNS0_10empty_typeEEEZZNS1_27merge_sort_block_merge_implIS3_PlPS5_mZN2at6native12_GLOBAL__N_124unique_dim_cuda_templateIbEESt5tupleIJNSA_6TensorESF_SF_EERKSF_lbbbEUlllE_EE10hipError_tT0_T1_T2_jT3_P12ihipStream_tbPNSt15iterator_traitsISL_E10value_typeEPNSR_ISM_E10value_typeEPSN_NS1_7vsmem_tEENKUlT_SL_SM_SN_E_clIS8_S8_S9_S9_EESK_S10_SL_SM_SN_EUlS10_E1_NS1_11comp_targetILNS1_3genE8ELNS1_11target_archE1030ELNS1_3gpuE2ELNS1_3repE0EEENS1_36merge_oddeven_config_static_selectorELNS0_4arch9wavefront6targetE0EEEvSM_.private_seg_size, 0
	.set _ZN7rocprim17ROCPRIM_400000_NS6detail17trampoline_kernelINS0_14default_configENS1_38merge_sort_block_merge_config_selectorIlNS0_10empty_typeEEEZZNS1_27merge_sort_block_merge_implIS3_PlPS5_mZN2at6native12_GLOBAL__N_124unique_dim_cuda_templateIbEESt5tupleIJNSA_6TensorESF_SF_EERKSF_lbbbEUlllE_EE10hipError_tT0_T1_T2_jT3_P12ihipStream_tbPNSt15iterator_traitsISL_E10value_typeEPNSR_ISM_E10value_typeEPSN_NS1_7vsmem_tEENKUlT_SL_SM_SN_E_clIS8_S8_S9_S9_EESK_S10_SL_SM_SN_EUlS10_E1_NS1_11comp_targetILNS1_3genE8ELNS1_11target_archE1030ELNS1_3gpuE2ELNS1_3repE0EEENS1_36merge_oddeven_config_static_selectorELNS0_4arch9wavefront6targetE0EEEvSM_.uses_vcc, 0
	.set _ZN7rocprim17ROCPRIM_400000_NS6detail17trampoline_kernelINS0_14default_configENS1_38merge_sort_block_merge_config_selectorIlNS0_10empty_typeEEEZZNS1_27merge_sort_block_merge_implIS3_PlPS5_mZN2at6native12_GLOBAL__N_124unique_dim_cuda_templateIbEESt5tupleIJNSA_6TensorESF_SF_EERKSF_lbbbEUlllE_EE10hipError_tT0_T1_T2_jT3_P12ihipStream_tbPNSt15iterator_traitsISL_E10value_typeEPNSR_ISM_E10value_typeEPSN_NS1_7vsmem_tEENKUlT_SL_SM_SN_E_clIS8_S8_S9_S9_EESK_S10_SL_SM_SN_EUlS10_E1_NS1_11comp_targetILNS1_3genE8ELNS1_11target_archE1030ELNS1_3gpuE2ELNS1_3repE0EEENS1_36merge_oddeven_config_static_selectorELNS0_4arch9wavefront6targetE0EEEvSM_.uses_flat_scratch, 0
	.set _ZN7rocprim17ROCPRIM_400000_NS6detail17trampoline_kernelINS0_14default_configENS1_38merge_sort_block_merge_config_selectorIlNS0_10empty_typeEEEZZNS1_27merge_sort_block_merge_implIS3_PlPS5_mZN2at6native12_GLOBAL__N_124unique_dim_cuda_templateIbEESt5tupleIJNSA_6TensorESF_SF_EERKSF_lbbbEUlllE_EE10hipError_tT0_T1_T2_jT3_P12ihipStream_tbPNSt15iterator_traitsISL_E10value_typeEPNSR_ISM_E10value_typeEPSN_NS1_7vsmem_tEENKUlT_SL_SM_SN_E_clIS8_S8_S9_S9_EESK_S10_SL_SM_SN_EUlS10_E1_NS1_11comp_targetILNS1_3genE8ELNS1_11target_archE1030ELNS1_3gpuE2ELNS1_3repE0EEENS1_36merge_oddeven_config_static_selectorELNS0_4arch9wavefront6targetE0EEEvSM_.has_dyn_sized_stack, 0
	.set _ZN7rocprim17ROCPRIM_400000_NS6detail17trampoline_kernelINS0_14default_configENS1_38merge_sort_block_merge_config_selectorIlNS0_10empty_typeEEEZZNS1_27merge_sort_block_merge_implIS3_PlPS5_mZN2at6native12_GLOBAL__N_124unique_dim_cuda_templateIbEESt5tupleIJNSA_6TensorESF_SF_EERKSF_lbbbEUlllE_EE10hipError_tT0_T1_T2_jT3_P12ihipStream_tbPNSt15iterator_traitsISL_E10value_typeEPNSR_ISM_E10value_typeEPSN_NS1_7vsmem_tEENKUlT_SL_SM_SN_E_clIS8_S8_S9_S9_EESK_S10_SL_SM_SN_EUlS10_E1_NS1_11comp_targetILNS1_3genE8ELNS1_11target_archE1030ELNS1_3gpuE2ELNS1_3repE0EEENS1_36merge_oddeven_config_static_selectorELNS0_4arch9wavefront6targetE0EEEvSM_.has_recursion, 0
	.set _ZN7rocprim17ROCPRIM_400000_NS6detail17trampoline_kernelINS0_14default_configENS1_38merge_sort_block_merge_config_selectorIlNS0_10empty_typeEEEZZNS1_27merge_sort_block_merge_implIS3_PlPS5_mZN2at6native12_GLOBAL__N_124unique_dim_cuda_templateIbEESt5tupleIJNSA_6TensorESF_SF_EERKSF_lbbbEUlllE_EE10hipError_tT0_T1_T2_jT3_P12ihipStream_tbPNSt15iterator_traitsISL_E10value_typeEPNSR_ISM_E10value_typeEPSN_NS1_7vsmem_tEENKUlT_SL_SM_SN_E_clIS8_S8_S9_S9_EESK_S10_SL_SM_SN_EUlS10_E1_NS1_11comp_targetILNS1_3genE8ELNS1_11target_archE1030ELNS1_3gpuE2ELNS1_3repE0EEENS1_36merge_oddeven_config_static_selectorELNS0_4arch9wavefront6targetE0EEEvSM_.has_indirect_call, 0
	.section	.AMDGPU.csdata,"",@progbits
; Kernel info:
; codeLenInByte = 0
; TotalNumSgprs: 0
; NumVgprs: 0
; ScratchSize: 0
; MemoryBound: 0
; FloatMode: 240
; IeeeMode: 1
; LDSByteSize: 0 bytes/workgroup (compile time only)
; SGPRBlocks: 0
; VGPRBlocks: 0
; NumSGPRsForWavesPerEU: 1
; NumVGPRsForWavesPerEU: 1
; NamedBarCnt: 0
; Occupancy: 16
; WaveLimiterHint : 0
; COMPUTE_PGM_RSRC2:SCRATCH_EN: 0
; COMPUTE_PGM_RSRC2:USER_SGPR: 2
; COMPUTE_PGM_RSRC2:TRAP_HANDLER: 0
; COMPUTE_PGM_RSRC2:TGID_X_EN: 1
; COMPUTE_PGM_RSRC2:TGID_Y_EN: 0
; COMPUTE_PGM_RSRC2:TGID_Z_EN: 0
; COMPUTE_PGM_RSRC2:TIDIG_COMP_CNT: 0
	.section	.text._ZN7rocprim17ROCPRIM_400000_NS6detail17trampoline_kernelINS0_14default_configENS1_35adjacent_difference_config_selectorILb0ElEEZNS1_24adjacent_difference_implIS3_Lb0ELb0EPlS7_ZN2at6native12_GLOBAL__N_124unique_dim_cuda_templateIbEESt5tupleIJNS8_6TensorESD_SD_EERKSD_lbbbEUlllE1_EE10hipError_tPvRmT2_T3_mT4_P12ihipStream_tbEUlT_E_NS1_11comp_targetILNS1_3genE0ELNS1_11target_archE4294967295ELNS1_3gpuE0ELNS1_3repE0EEENS1_30default_config_static_selectorELNS0_4arch9wavefront6targetE0EEEvT1_,"axG",@progbits,_ZN7rocprim17ROCPRIM_400000_NS6detail17trampoline_kernelINS0_14default_configENS1_35adjacent_difference_config_selectorILb0ElEEZNS1_24adjacent_difference_implIS3_Lb0ELb0EPlS7_ZN2at6native12_GLOBAL__N_124unique_dim_cuda_templateIbEESt5tupleIJNS8_6TensorESD_SD_EERKSD_lbbbEUlllE1_EE10hipError_tPvRmT2_T3_mT4_P12ihipStream_tbEUlT_E_NS1_11comp_targetILNS1_3genE0ELNS1_11target_archE4294967295ELNS1_3gpuE0ELNS1_3repE0EEENS1_30default_config_static_selectorELNS0_4arch9wavefront6targetE0EEEvT1_,comdat
	.globl	_ZN7rocprim17ROCPRIM_400000_NS6detail17trampoline_kernelINS0_14default_configENS1_35adjacent_difference_config_selectorILb0ElEEZNS1_24adjacent_difference_implIS3_Lb0ELb0EPlS7_ZN2at6native12_GLOBAL__N_124unique_dim_cuda_templateIbEESt5tupleIJNS8_6TensorESD_SD_EERKSD_lbbbEUlllE1_EE10hipError_tPvRmT2_T3_mT4_P12ihipStream_tbEUlT_E_NS1_11comp_targetILNS1_3genE0ELNS1_11target_archE4294967295ELNS1_3gpuE0ELNS1_3repE0EEENS1_30default_config_static_selectorELNS0_4arch9wavefront6targetE0EEEvT1_ ; -- Begin function _ZN7rocprim17ROCPRIM_400000_NS6detail17trampoline_kernelINS0_14default_configENS1_35adjacent_difference_config_selectorILb0ElEEZNS1_24adjacent_difference_implIS3_Lb0ELb0EPlS7_ZN2at6native12_GLOBAL__N_124unique_dim_cuda_templateIbEESt5tupleIJNS8_6TensorESD_SD_EERKSD_lbbbEUlllE1_EE10hipError_tPvRmT2_T3_mT4_P12ihipStream_tbEUlT_E_NS1_11comp_targetILNS1_3genE0ELNS1_11target_archE4294967295ELNS1_3gpuE0ELNS1_3repE0EEENS1_30default_config_static_selectorELNS0_4arch9wavefront6targetE0EEEvT1_
	.p2align	8
	.type	_ZN7rocprim17ROCPRIM_400000_NS6detail17trampoline_kernelINS0_14default_configENS1_35adjacent_difference_config_selectorILb0ElEEZNS1_24adjacent_difference_implIS3_Lb0ELb0EPlS7_ZN2at6native12_GLOBAL__N_124unique_dim_cuda_templateIbEESt5tupleIJNS8_6TensorESD_SD_EERKSD_lbbbEUlllE1_EE10hipError_tPvRmT2_T3_mT4_P12ihipStream_tbEUlT_E_NS1_11comp_targetILNS1_3genE0ELNS1_11target_archE4294967295ELNS1_3gpuE0ELNS1_3repE0EEENS1_30default_config_static_selectorELNS0_4arch9wavefront6targetE0EEEvT1_,@function
_ZN7rocprim17ROCPRIM_400000_NS6detail17trampoline_kernelINS0_14default_configENS1_35adjacent_difference_config_selectorILb0ElEEZNS1_24adjacent_difference_implIS3_Lb0ELb0EPlS7_ZN2at6native12_GLOBAL__N_124unique_dim_cuda_templateIbEESt5tupleIJNS8_6TensorESD_SD_EERKSD_lbbbEUlllE1_EE10hipError_tPvRmT2_T3_mT4_P12ihipStream_tbEUlT_E_NS1_11comp_targetILNS1_3genE0ELNS1_11target_archE4294967295ELNS1_3gpuE0ELNS1_3repE0EEENS1_30default_config_static_selectorELNS0_4arch9wavefront6targetE0EEEvT1_: ; @_ZN7rocprim17ROCPRIM_400000_NS6detail17trampoline_kernelINS0_14default_configENS1_35adjacent_difference_config_selectorILb0ElEEZNS1_24adjacent_difference_implIS3_Lb0ELb0EPlS7_ZN2at6native12_GLOBAL__N_124unique_dim_cuda_templateIbEESt5tupleIJNS8_6TensorESD_SD_EERKSD_lbbbEUlllE1_EE10hipError_tPvRmT2_T3_mT4_P12ihipStream_tbEUlT_E_NS1_11comp_targetILNS1_3genE0ELNS1_11target_archE4294967295ELNS1_3gpuE0ELNS1_3repE0EEENS1_30default_config_static_selectorELNS0_4arch9wavefront6targetE0EEEvT1_
; %bb.0:
	s_load_b256 s[4:11], s[0:1], 0x0
	s_bfe_u32 s2, ttmp6, 0x4000c
	s_and_b32 s3, ttmp6, 15
	s_add_co_i32 s2, s2, 1
	s_getreg_b32 s12, hwreg(HW_REG_IB_STS2, 6, 4)
	s_mul_i32 s2, ttmp9, s2
	s_load_b64 s[16:17], s[0:1], 0x38
	s_add_co_i32 s3, s3, s2
	s_mov_b32 s23, 0
	s_delay_alu instid0(SALU_CYCLE_1)
	s_mov_b32 s21, s23
	s_wait_kmcnt 0x0
	s_lshl_b64 s[6:7], s[6:7], 3
	s_cmp_eq_u32 s12, 0
	s_cselect_b32 s20, ttmp9, s3
	s_and_b64 s[12:13], s[10:11], 0x7f
	s_lshr_b64 s[18:19], s[10:11], 7
	s_lshl_b32 s2, s20, 7
	s_cmp_lg_u64 s[12:13], 0
	s_load_b128 s[12:15], s[0:1], 0x20
	s_cselect_b32 s3, -1, 0
	s_add_nc_u64 s[20:21], s[16:17], s[20:21]
	v_cndmask_b32_e64 v1, 0, 1, s3
	s_wait_xcnt 0x0
	s_add_nc_u64 s[0:1], s[4:5], s[6:7]
	s_delay_alu instid0(VALU_DEP_1) | instskip(SKIP_1) | instid1(SALU_CYCLE_1)
	v_readfirstlane_b32 s22, v1
	s_add_nc_u64 s[18:19], s[18:19], s[22:23]
	s_add_nc_u64 s[16:17], s[18:19], -1
	s_delay_alu instid0(SALU_CYCLE_1)
	v_cmp_ge_u64_e64 s11, s[20:21], s[16:17]
	s_and_b32 vcc_lo, exec_lo, s11
	s_cbranch_vccz .LBB1026_4
; %bb.1:
	s_lshl_b32 s3, s16, 7
	s_mov_b32 s4, exec_lo
	s_sub_co_i32 s3, s10, s3
                                        ; implicit-def: $vgpr2_vgpr3
	s_delay_alu instid0(SALU_CYCLE_1)
	v_cmpx_gt_u32_e64 s3, v0
	s_cbranch_execz .LBB1026_3
; %bb.2:
	s_mov_b32 s3, 0
	s_delay_alu instid0(SALU_CYCLE_1) | instskip(NEXT) | instid1(SALU_CYCLE_1)
	s_lshl_b64 s[22:23], s[2:3], 3
	s_add_nc_u64 s[22:23], s[0:1], s[22:23]
	global_load_b64 v[2:3], v0, s[22:23] scale_offset
.LBB1026_3:
	s_wait_xcnt 0x0
	s_or_b32 exec_lo, exec_lo, s4
	v_lshlrev_b32_e32 v1, 3, v0
	s_wait_loadcnt 0x0
	ds_store_b64 v1, v[2:3]
	s_wait_dscnt 0x0
	s_barrier_signal -1
	s_barrier_wait -1
	s_branch .LBB1026_6
.LBB1026_4:
                                        ; implicit-def: $vgpr1
	s_cbranch_execz .LBB1026_6
; %bb.5:
	s_mov_b32 s3, 0
	v_lshlrev_b32_e32 v1, 3, v0
	s_lshl_b64 s[4:5], s[2:3], 3
	s_delay_alu instid0(SALU_CYCLE_1)
	s_add_nc_u64 s[4:5], s[0:1], s[4:5]
	global_load_b64 v[2:3], v0, s[4:5] scale_offset
	s_wait_loadcnt 0x0
	ds_store_b64 v1, v[2:3]
	s_wait_dscnt 0x0
	s_barrier_signal -1
	s_barrier_wait -1
.LBB1026_6:
	ds_load_b64 v[2:3], v1
	s_cmp_eq_u64 s[20:21], 0
	s_wait_dscnt 0x0
	s_barrier_signal -1
	s_barrier_wait -1
	s_cbranch_scc1 .LBB1026_15
; %bb.7:
	s_mov_b32 s3, 0
	s_delay_alu instid0(SALU_CYCLE_1) | instskip(SKIP_2) | instid1(SALU_CYCLE_1)
	s_lshl_b64 s[4:5], s[2:3], 3
	s_cmp_eq_u64 s[20:21], s[16:17]
	s_add_nc_u64 s[0:1], s[0:1], s[4:5]
	s_add_nc_u64 s[0:1], s[0:1], -8
	s_load_b64 s[4:5], s[0:1], 0x0
	s_cbranch_scc1 .LBB1026_16
; %bb.8:
	s_wait_kmcnt 0x0
	v_mov_b64_e32 v[4:5], s[4:5]
	v_lshlrev_b32_e32 v1, 3, v0
	s_mov_b32 s0, exec_lo
	ds_store_b64 v1, v[2:3]
	s_wait_dscnt 0x0
	s_barrier_signal -1
	s_barrier_wait -1
	v_cmpx_ne_u32_e32 0, v0
; %bb.9:
	v_add_nc_u32_e32 v1, -8, v1
	ds_load_b64 v[4:5], v1
; %bb.10:
	s_or_b32 exec_lo, exec_lo, s0
	v_cmp_lt_i64_e64 s0, s[12:13], 1
	s_and_b32 vcc_lo, exec_lo, s0
	s_cbranch_vccnz .LBB1026_18
; %bb.11:
	v_mad_nc_u64_u32 v[6:7], v2, s12, s[14:15]
	s_wait_dscnt 0x0
	v_mad_nc_u64_u32 v[8:9], v4, s12, s[14:15]
	s_mov_b32 s1, 0
	s_mov_b64 s[22:23], s[12:13]
                                        ; implicit-def: $sgpr3
	s_delay_alu instid0(VALU_DEP_2) | instskip(NEXT) | instid1(VALU_DEP_2)
	v_mad_u32 v1, v3, s12, v7
	v_mad_u32 v5, v5, s12, v9
	s_delay_alu instid0(VALU_DEP_2) | instskip(NEXT) | instid1(VALU_DEP_2)
	v_mad_u32 v7, v2, s13, v1
	v_mad_u32 v9, v4, s13, v5
	s_branch .LBB1026_13
.LBB1026_12:                            ;   in Loop: Header=BB1026_13 Depth=1
	s_or_b32 exec_lo, exec_lo, s0
	s_delay_alu instid0(SALU_CYCLE_1) | instskip(NEXT) | instid1(SALU_CYCLE_1)
	s_and_b32 s0, exec_lo, s3
	s_or_b32 s1, s0, s1
	s_delay_alu instid0(SALU_CYCLE_1)
	s_and_not1_b32 exec_lo, exec_lo, s1
	s_cbranch_execz .LBB1026_17
.LBB1026_13:                            ; =>This Inner Loop Header: Depth=1
	global_load_u8 v1, v[6:7], off
	global_load_u8 v4, v[8:9], off
	s_or_b32 s3, s3, exec_lo
	s_wait_loadcnt 0x1
	v_cmp_ne_u16_e32 vcc_lo, 0, v1
	s_wait_loadcnt 0x0
	v_cmp_ne_u16_e64 s0, 0, v4
	v_mov_b64_e32 v[4:5], 1
	s_xor_b32 s0, vcc_lo, s0
	s_delay_alu instid0(SALU_CYCLE_1) | instskip(NEXT) | instid1(SALU_CYCLE_1)
	s_xor_b32 s17, s0, -1
	s_and_saveexec_b32 s0, s17
	s_cbranch_execz .LBB1026_12
; %bb.14:                               ;   in Loop: Header=BB1026_13 Depth=1
	s_add_nc_u64 s[22:23], s[22:23], -1
	v_add_nc_u64_e32 v[6:7], 1, v[6:7]
	s_cmp_eq_u64 s[22:23], 0
	v_add_nc_u64_e32 v[8:9], 1, v[8:9]
	v_mov_b64_e32 v[4:5], 0
	s_cselect_b32 s17, -1, 0
	s_and_not1_b32 s3, s3, exec_lo
	s_and_b32 s17, s17, exec_lo
	s_delay_alu instid0(SALU_CYCLE_1)
	s_or_b32 s3, s3, s17
	s_branch .LBB1026_12
.LBB1026_15:
                                        ; implicit-def: $vgpr4_vgpr5
	s_branch .LBB1026_31
.LBB1026_16:
	s_wait_xcnt 0x0
                                        ; implicit-def: $vgpr4_vgpr5
	s_cbranch_execnz .LBB1026_19
	s_branch .LBB1026_30
.LBB1026_17:
	s_or_b32 exec_lo, exec_lo, s1
	s_branch .LBB1026_30
.LBB1026_18:
	s_wait_dscnt 0x0
	v_mov_b64_e32 v[4:5], 0
	s_branch .LBB1026_30
.LBB1026_19:
	s_wait_kmcnt 0x0
	v_mov_b64_e32 v[10:11], s[4:5]
	v_lshlrev_b32_e32 v1, 3, v0
	s_mov_b32 s0, exec_lo
	ds_store_b64 v1, v[2:3]
	s_wait_dscnt 0x0
	s_barrier_signal -1
	s_barrier_wait -1
	v_cmpx_ne_u32_e32 0, v0
; %bb.20:
	v_add_nc_u32_e32 v1, -8, v1
	ds_load_b64 v[10:11], v1
; %bb.21:
	s_or_b32 exec_lo, exec_lo, s0
	v_mov_b64_e32 v[4:5], v[2:3]
	s_lshl_b32 s0, s20, 7
	s_mov_b32 s1, exec_lo
	s_sub_co_i32 s0, s10, s0
	s_delay_alu instid0(SALU_CYCLE_1)
	v_cmpx_gt_u32_e64 s0, v0
	s_cbranch_execz .LBB1026_29
; %bb.22:
	v_cmp_lt_i64_e64 s0, s[12:13], 1
	s_and_b32 vcc_lo, exec_lo, s0
	s_cbranch_vccnz .LBB1026_28
; %bb.23:
	v_mad_nc_u64_u32 v[6:7], v2, s12, s[14:15]
	s_wait_dscnt 0x0
	v_mad_nc_u64_u32 v[8:9], v10, s12, s[14:15]
	s_mov_b32 s3, 0
	s_mov_b64 s[4:5], s[12:13]
                                        ; implicit-def: $sgpr17
	s_delay_alu instid0(VALU_DEP_2) | instskip(NEXT) | instid1(VALU_DEP_2)
	v_mad_u32 v1, v3, s12, v7
	v_mad_u32 v4, v11, s12, v9
	s_delay_alu instid0(VALU_DEP_2) | instskip(NEXT) | instid1(VALU_DEP_2)
	v_mad_u32 v7, v2, s13, v1
	v_mad_u32 v9, v10, s13, v4
	s_branch .LBB1026_25
.LBB1026_24:                            ;   in Loop: Header=BB1026_25 Depth=1
	s_or_b32 exec_lo, exec_lo, s0
	s_delay_alu instid0(SALU_CYCLE_1) | instskip(NEXT) | instid1(SALU_CYCLE_1)
	s_and_b32 s0, exec_lo, s17
	s_or_b32 s3, s0, s3
	s_delay_alu instid0(SALU_CYCLE_1)
	s_and_not1_b32 exec_lo, exec_lo, s3
	s_cbranch_execz .LBB1026_27
.LBB1026_25:                            ; =>This Inner Loop Header: Depth=1
	global_load_u8 v1, v[6:7], off
	global_load_u8 v4, v[8:9], off
	s_or_b32 s17, s17, exec_lo
	s_wait_loadcnt 0x1
	v_cmp_ne_u16_e32 vcc_lo, 0, v1
	s_wait_loadcnt 0x0
	v_cmp_ne_u16_e64 s0, 0, v4
	v_mov_b64_e32 v[4:5], 1
	s_xor_b32 s0, vcc_lo, s0
	s_delay_alu instid0(SALU_CYCLE_1) | instskip(NEXT) | instid1(SALU_CYCLE_1)
	s_xor_b32 s20, s0, -1
	s_and_saveexec_b32 s0, s20
	s_cbranch_execz .LBB1026_24
; %bb.26:                               ;   in Loop: Header=BB1026_25 Depth=1
	s_add_nc_u64 s[4:5], s[4:5], -1
	v_add_nc_u64_e32 v[6:7], 1, v[6:7]
	s_cmp_eq_u64 s[4:5], 0
	v_add_nc_u64_e32 v[8:9], 1, v[8:9]
	v_mov_b64_e32 v[4:5], 0
	s_cselect_b32 s20, -1, 0
	s_and_not1_b32 s17, s17, exec_lo
	s_and_b32 s20, s20, exec_lo
	s_delay_alu instid0(SALU_CYCLE_1)
	s_or_b32 s17, s17, s20
	s_branch .LBB1026_24
.LBB1026_27:
	s_or_b32 exec_lo, exec_lo, s3
	s_branch .LBB1026_29
.LBB1026_28:
	v_mov_b64_e32 v[4:5], 0
.LBB1026_29:
	s_or_b32 exec_lo, exec_lo, s1
.LBB1026_30:
	s_cbranch_execnz .LBB1026_51
.LBB1026_31:
	s_cmp_eq_u64 s[18:19], 1
	v_cmp_ne_u32_e32 vcc_lo, 0, v0
	s_cbranch_scc1 .LBB1026_38
; %bb.32:
	v_mov_b64_e32 v[4:5], v[2:3]
	v_lshlrev_b32_e32 v1, 3, v0
	s_mov_b32 s1, 0
	ds_store_b64 v1, v[2:3]
	s_wait_dscnt 0x0
	s_barrier_signal -1
	s_barrier_wait -1
	s_and_saveexec_b32 s3, vcc_lo
	s_cbranch_execz .LBB1026_40
; %bb.33:
	s_wait_kmcnt 0x0
	v_cmp_lt_i64_e64 s0, s[12:13], 1
	s_and_b32 vcc_lo, exec_lo, s0
	s_cbranch_vccnz .LBB1026_48
; %bb.34:
	v_add_nc_u32_e32 v1, -8, v1
	v_mad_nc_u64_u32 v[6:7], v2, s12, s[14:15]
	s_mov_b32 s17, 0
	s_mov_b64 s[4:5], s[12:13]
                                        ; implicit-def: $sgpr18
	ds_load_b64 v[4:5], v1
	v_mad_u32 v1, v3, s12, v7
	s_delay_alu instid0(VALU_DEP_1) | instskip(SKIP_2) | instid1(VALU_DEP_1)
	v_mad_u32 v7, v2, s13, v1
	s_wait_dscnt 0x0
	v_mad_nc_u64_u32 v[8:9], v4, s12, s[14:15]
	v_mad_u32 v5, v5, s12, v9
	s_delay_alu instid0(VALU_DEP_1)
	v_mad_u32 v9, v4, s13, v5
	s_branch .LBB1026_36
.LBB1026_35:                            ;   in Loop: Header=BB1026_36 Depth=1
	s_or_b32 exec_lo, exec_lo, s0
	s_delay_alu instid0(SALU_CYCLE_1) | instskip(NEXT) | instid1(SALU_CYCLE_1)
	s_and_b32 s0, exec_lo, s18
	s_or_b32 s17, s0, s17
	s_delay_alu instid0(SALU_CYCLE_1)
	s_and_not1_b32 exec_lo, exec_lo, s17
	s_cbranch_execz .LBB1026_39
.LBB1026_36:                            ; =>This Inner Loop Header: Depth=1
	global_load_u8 v1, v[6:7], off
	global_load_u8 v4, v[8:9], off
	s_or_b32 s18, s18, exec_lo
	s_wait_loadcnt 0x1
	v_cmp_ne_u16_e32 vcc_lo, 0, v1
	s_wait_loadcnt 0x0
	v_cmp_ne_u16_e64 s0, 0, v4
	v_mov_b64_e32 v[4:5], 1
	s_xor_b32 s0, vcc_lo, s0
	s_delay_alu instid0(SALU_CYCLE_1) | instskip(NEXT) | instid1(SALU_CYCLE_1)
	s_xor_b32 s19, s0, -1
	s_and_saveexec_b32 s0, s19
	s_cbranch_execz .LBB1026_35
; %bb.37:                               ;   in Loop: Header=BB1026_36 Depth=1
	s_add_nc_u64 s[4:5], s[4:5], -1
	v_add_nc_u64_e32 v[6:7], 1, v[6:7]
	s_cmp_eq_u64 s[4:5], 0
	v_add_nc_u64_e32 v[8:9], 1, v[8:9]
	v_mov_b64_e32 v[4:5], 0
	s_cselect_b32 s19, -1, 0
	s_and_not1_b32 s18, s18, exec_lo
	s_and_b32 s19, s19, exec_lo
	s_delay_alu instid0(SALU_CYCLE_1)
	s_or_b32 s18, s18, s19
	s_branch .LBB1026_35
.LBB1026_38:
                                        ; implicit-def: $vgpr4_vgpr5
	s_branch .LBB1026_41
.LBB1026_39:
	s_or_b32 exec_lo, exec_lo, s17
.LBB1026_40:
	s_delay_alu instid0(SALU_CYCLE_1) | instskip(NEXT) | instid1(SALU_CYCLE_1)
	s_or_b32 exec_lo, exec_lo, s3
	s_and_not1_b32 vcc_lo, exec_lo, s1
	s_cbranch_vccnz .LBB1026_51
.LBB1026_41:
	v_cmp_ne_u32_e32 vcc_lo, 0, v0
	v_cmp_gt_u32_e64 s0, s10, v0
	v_lshlrev_b32_e32 v1, 3, v0
	s_and_b32 s0, vcc_lo, s0
	ds_store_b64 v1, v[2:3]
	s_wait_dscnt 0x0
	s_barrier_signal -1
	s_barrier_wait -1
	s_and_saveexec_b32 s1, s0
	s_cbranch_execz .LBB1026_50
; %bb.42:
	s_wait_kmcnt 0x0
	v_cmp_lt_i64_e64 s0, s[12:13], 1
	s_and_b32 vcc_lo, exec_lo, s0
	s_cbranch_vccnz .LBB1026_49
; %bb.43:
	v_add_nc_u32_e32 v1, -8, v1
	v_mad_nc_u64_u32 v[4:5], v2, s12, s[14:15]
	s_mov_b32 s3, 0
                                        ; implicit-def: $sgpr4
	ds_load_b64 v[8:9], v1
	v_mad_u32 v1, v3, s12, v5
	s_delay_alu instid0(VALU_DEP_1) | instskip(SKIP_2) | instid1(VALU_DEP_1)
	v_mad_u32 v5, v2, s13, v1
	s_wait_dscnt 0x0
	v_mad_nc_u64_u32 v[6:7], v8, s12, s[14:15]
	v_mad_u32 v3, v9, s12, v7
	s_delay_alu instid0(VALU_DEP_1)
	v_mad_u32 v7, v8, s13, v3
	s_branch .LBB1026_45
.LBB1026_44:                            ;   in Loop: Header=BB1026_45 Depth=1
	s_or_b32 exec_lo, exec_lo, s0
	s_delay_alu instid0(SALU_CYCLE_1) | instskip(NEXT) | instid1(SALU_CYCLE_1)
	s_and_b32 s0, exec_lo, s4
	s_or_b32 s3, s0, s3
	s_delay_alu instid0(SALU_CYCLE_1)
	s_and_not1_b32 exec_lo, exec_lo, s3
	s_cbranch_execz .LBB1026_47
.LBB1026_45:                            ; =>This Inner Loop Header: Depth=1
	global_load_u8 v1, v[4:5], off
	global_load_u8 v2, v[6:7], off
	s_or_b32 s4, s4, exec_lo
	s_wait_loadcnt 0x1
	v_cmp_ne_u16_e32 vcc_lo, 0, v1
	s_wait_loadcnt 0x0
	v_cmp_ne_u16_e64 s0, 0, v2
	v_mov_b64_e32 v[2:3], 1
	s_xor_b32 s0, vcc_lo, s0
	s_delay_alu instid0(SALU_CYCLE_1) | instskip(NEXT) | instid1(SALU_CYCLE_1)
	s_xor_b32 s5, s0, -1
	s_and_saveexec_b32 s0, s5
	s_cbranch_execz .LBB1026_44
; %bb.46:                               ;   in Loop: Header=BB1026_45 Depth=1
	s_add_nc_u64 s[12:13], s[12:13], -1
	v_add_nc_u64_e32 v[4:5], 1, v[4:5]
	s_cmp_eq_u64 s[12:13], 0
	v_add_nc_u64_e32 v[6:7], 1, v[6:7]
	v_mov_b64_e32 v[2:3], 0
	s_cselect_b32 s5, -1, 0
	s_and_not1_b32 s4, s4, exec_lo
	s_and_b32 s5, s5, exec_lo
	s_delay_alu instid0(SALU_CYCLE_1)
	s_or_b32 s4, s4, s5
	s_branch .LBB1026_44
.LBB1026_47:
	s_or_b32 exec_lo, exec_lo, s3
	s_branch .LBB1026_50
.LBB1026_48:
	v_mov_b64_e32 v[4:5], 0
	s_or_b32 exec_lo, exec_lo, s3
	s_delay_alu instid0(SALU_CYCLE_1)
	s_and_not1_b32 vcc_lo, exec_lo, s1
	s_cbranch_vccz .LBB1026_41
	s_branch .LBB1026_51
.LBB1026_49:
	v_mov_b64_e32 v[2:3], 0
.LBB1026_50:
	s_or_b32 exec_lo, exec_lo, s1
	s_delay_alu instid0(VALU_DEP_1)
	v_mov_b64_e32 v[4:5], v[2:3]
.LBB1026_51:
	s_add_nc_u64 s[0:1], s[8:9], s[6:7]
	s_and_b32 vcc_lo, exec_lo, s11
	s_mov_b32 s3, -1
	s_wait_dscnt 0x0
	s_barrier_signal -1
	s_barrier_wait -1
	s_cbranch_vccnz .LBB1026_54
; %bb.52:
	s_and_not1_b32 vcc_lo, exec_lo, s3
	s_cbranch_vccz .LBB1026_57
.LBB1026_53:
	s_endpgm
.LBB1026_54:
	v_lshlrev_b32_e32 v1, 3, v0
	s_lshl_b32 s3, s16, 7
	s_wait_kmcnt 0x0
	s_mov_b32 s4, exec_lo
	s_sub_co_i32 s3, s10, s3
	ds_store_b64 v1, v[4:5]
	s_wait_dscnt 0x0
	s_barrier_signal -1
	s_barrier_wait -1
	v_cmpx_gt_u32_e64 s3, v0
	s_cbranch_execz .LBB1026_56
; %bb.55:
	ds_load_b64 v[2:3], v1
	s_mov_b32 s3, 0
	s_delay_alu instid0(SALU_CYCLE_1) | instskip(NEXT) | instid1(SALU_CYCLE_1)
	s_lshl_b64 s[6:7], s[2:3], 3
	s_add_nc_u64 s[6:7], s[0:1], s[6:7]
	s_wait_dscnt 0x0
	global_store_b64 v0, v[2:3], s[6:7] scale_offset
.LBB1026_56:
	s_wait_xcnt 0x0
	s_or_b32 exec_lo, exec_lo, s4
	s_cbranch_execnz .LBB1026_53
.LBB1026_57:
	v_lshlrev_b32_e32 v1, 3, v0
	s_mov_b32 s3, 0
	s_delay_alu instid0(SALU_CYCLE_1) | instskip(NEXT) | instid1(SALU_CYCLE_1)
	s_lshl_b64 s[2:3], s[2:3], 3
	s_add_nc_u64 s[0:1], s[0:1], s[2:3]
	ds_store_b64 v1, v[4:5]
	s_wait_storecnt_dscnt 0x0
	s_barrier_signal -1
	s_barrier_wait -1
	ds_load_b64 v[2:3], v1
	s_wait_dscnt 0x0
	global_store_b64 v0, v[2:3], s[0:1] scale_offset
	s_endpgm
	.section	.rodata,"a",@progbits
	.p2align	6, 0x0
	.amdhsa_kernel _ZN7rocprim17ROCPRIM_400000_NS6detail17trampoline_kernelINS0_14default_configENS1_35adjacent_difference_config_selectorILb0ElEEZNS1_24adjacent_difference_implIS3_Lb0ELb0EPlS7_ZN2at6native12_GLOBAL__N_124unique_dim_cuda_templateIbEESt5tupleIJNS8_6TensorESD_SD_EERKSD_lbbbEUlllE1_EE10hipError_tPvRmT2_T3_mT4_P12ihipStream_tbEUlT_E_NS1_11comp_targetILNS1_3genE0ELNS1_11target_archE4294967295ELNS1_3gpuE0ELNS1_3repE0EEENS1_30default_config_static_selectorELNS0_4arch9wavefront6targetE0EEEvT1_
		.amdhsa_group_segment_fixed_size 2048
		.amdhsa_private_segment_fixed_size 0
		.amdhsa_kernarg_size 64
		.amdhsa_user_sgpr_count 2
		.amdhsa_user_sgpr_dispatch_ptr 0
		.amdhsa_user_sgpr_queue_ptr 0
		.amdhsa_user_sgpr_kernarg_segment_ptr 1
		.amdhsa_user_sgpr_dispatch_id 0
		.amdhsa_user_sgpr_kernarg_preload_length 0
		.amdhsa_user_sgpr_kernarg_preload_offset 0
		.amdhsa_user_sgpr_private_segment_size 0
		.amdhsa_wavefront_size32 1
		.amdhsa_uses_dynamic_stack 0
		.amdhsa_enable_private_segment 0
		.amdhsa_system_sgpr_workgroup_id_x 1
		.amdhsa_system_sgpr_workgroup_id_y 0
		.amdhsa_system_sgpr_workgroup_id_z 0
		.amdhsa_system_sgpr_workgroup_info 0
		.amdhsa_system_vgpr_workitem_id 0
		.amdhsa_next_free_vgpr 12
		.amdhsa_next_free_sgpr 24
		.amdhsa_named_barrier_count 0
		.amdhsa_reserve_vcc 1
		.amdhsa_float_round_mode_32 0
		.amdhsa_float_round_mode_16_64 0
		.amdhsa_float_denorm_mode_32 3
		.amdhsa_float_denorm_mode_16_64 3
		.amdhsa_fp16_overflow 0
		.amdhsa_memory_ordered 1
		.amdhsa_forward_progress 1
		.amdhsa_inst_pref_size 15
		.amdhsa_round_robin_scheduling 0
		.amdhsa_exception_fp_ieee_invalid_op 0
		.amdhsa_exception_fp_denorm_src 0
		.amdhsa_exception_fp_ieee_div_zero 0
		.amdhsa_exception_fp_ieee_overflow 0
		.amdhsa_exception_fp_ieee_underflow 0
		.amdhsa_exception_fp_ieee_inexact 0
		.amdhsa_exception_int_div_zero 0
	.end_amdhsa_kernel
	.section	.text._ZN7rocprim17ROCPRIM_400000_NS6detail17trampoline_kernelINS0_14default_configENS1_35adjacent_difference_config_selectorILb0ElEEZNS1_24adjacent_difference_implIS3_Lb0ELb0EPlS7_ZN2at6native12_GLOBAL__N_124unique_dim_cuda_templateIbEESt5tupleIJNS8_6TensorESD_SD_EERKSD_lbbbEUlllE1_EE10hipError_tPvRmT2_T3_mT4_P12ihipStream_tbEUlT_E_NS1_11comp_targetILNS1_3genE0ELNS1_11target_archE4294967295ELNS1_3gpuE0ELNS1_3repE0EEENS1_30default_config_static_selectorELNS0_4arch9wavefront6targetE0EEEvT1_,"axG",@progbits,_ZN7rocprim17ROCPRIM_400000_NS6detail17trampoline_kernelINS0_14default_configENS1_35adjacent_difference_config_selectorILb0ElEEZNS1_24adjacent_difference_implIS3_Lb0ELb0EPlS7_ZN2at6native12_GLOBAL__N_124unique_dim_cuda_templateIbEESt5tupleIJNS8_6TensorESD_SD_EERKSD_lbbbEUlllE1_EE10hipError_tPvRmT2_T3_mT4_P12ihipStream_tbEUlT_E_NS1_11comp_targetILNS1_3genE0ELNS1_11target_archE4294967295ELNS1_3gpuE0ELNS1_3repE0EEENS1_30default_config_static_selectorELNS0_4arch9wavefront6targetE0EEEvT1_,comdat
.Lfunc_end1026:
	.size	_ZN7rocprim17ROCPRIM_400000_NS6detail17trampoline_kernelINS0_14default_configENS1_35adjacent_difference_config_selectorILb0ElEEZNS1_24adjacent_difference_implIS3_Lb0ELb0EPlS7_ZN2at6native12_GLOBAL__N_124unique_dim_cuda_templateIbEESt5tupleIJNS8_6TensorESD_SD_EERKSD_lbbbEUlllE1_EE10hipError_tPvRmT2_T3_mT4_P12ihipStream_tbEUlT_E_NS1_11comp_targetILNS1_3genE0ELNS1_11target_archE4294967295ELNS1_3gpuE0ELNS1_3repE0EEENS1_30default_config_static_selectorELNS0_4arch9wavefront6targetE0EEEvT1_, .Lfunc_end1026-_ZN7rocprim17ROCPRIM_400000_NS6detail17trampoline_kernelINS0_14default_configENS1_35adjacent_difference_config_selectorILb0ElEEZNS1_24adjacent_difference_implIS3_Lb0ELb0EPlS7_ZN2at6native12_GLOBAL__N_124unique_dim_cuda_templateIbEESt5tupleIJNS8_6TensorESD_SD_EERKSD_lbbbEUlllE1_EE10hipError_tPvRmT2_T3_mT4_P12ihipStream_tbEUlT_E_NS1_11comp_targetILNS1_3genE0ELNS1_11target_archE4294967295ELNS1_3gpuE0ELNS1_3repE0EEENS1_30default_config_static_selectorELNS0_4arch9wavefront6targetE0EEEvT1_
                                        ; -- End function
	.set _ZN7rocprim17ROCPRIM_400000_NS6detail17trampoline_kernelINS0_14default_configENS1_35adjacent_difference_config_selectorILb0ElEEZNS1_24adjacent_difference_implIS3_Lb0ELb0EPlS7_ZN2at6native12_GLOBAL__N_124unique_dim_cuda_templateIbEESt5tupleIJNS8_6TensorESD_SD_EERKSD_lbbbEUlllE1_EE10hipError_tPvRmT2_T3_mT4_P12ihipStream_tbEUlT_E_NS1_11comp_targetILNS1_3genE0ELNS1_11target_archE4294967295ELNS1_3gpuE0ELNS1_3repE0EEENS1_30default_config_static_selectorELNS0_4arch9wavefront6targetE0EEEvT1_.num_vgpr, 12
	.set _ZN7rocprim17ROCPRIM_400000_NS6detail17trampoline_kernelINS0_14default_configENS1_35adjacent_difference_config_selectorILb0ElEEZNS1_24adjacent_difference_implIS3_Lb0ELb0EPlS7_ZN2at6native12_GLOBAL__N_124unique_dim_cuda_templateIbEESt5tupleIJNS8_6TensorESD_SD_EERKSD_lbbbEUlllE1_EE10hipError_tPvRmT2_T3_mT4_P12ihipStream_tbEUlT_E_NS1_11comp_targetILNS1_3genE0ELNS1_11target_archE4294967295ELNS1_3gpuE0ELNS1_3repE0EEENS1_30default_config_static_selectorELNS0_4arch9wavefront6targetE0EEEvT1_.num_agpr, 0
	.set _ZN7rocprim17ROCPRIM_400000_NS6detail17trampoline_kernelINS0_14default_configENS1_35adjacent_difference_config_selectorILb0ElEEZNS1_24adjacent_difference_implIS3_Lb0ELb0EPlS7_ZN2at6native12_GLOBAL__N_124unique_dim_cuda_templateIbEESt5tupleIJNS8_6TensorESD_SD_EERKSD_lbbbEUlllE1_EE10hipError_tPvRmT2_T3_mT4_P12ihipStream_tbEUlT_E_NS1_11comp_targetILNS1_3genE0ELNS1_11target_archE4294967295ELNS1_3gpuE0ELNS1_3repE0EEENS1_30default_config_static_selectorELNS0_4arch9wavefront6targetE0EEEvT1_.numbered_sgpr, 24
	.set _ZN7rocprim17ROCPRIM_400000_NS6detail17trampoline_kernelINS0_14default_configENS1_35adjacent_difference_config_selectorILb0ElEEZNS1_24adjacent_difference_implIS3_Lb0ELb0EPlS7_ZN2at6native12_GLOBAL__N_124unique_dim_cuda_templateIbEESt5tupleIJNS8_6TensorESD_SD_EERKSD_lbbbEUlllE1_EE10hipError_tPvRmT2_T3_mT4_P12ihipStream_tbEUlT_E_NS1_11comp_targetILNS1_3genE0ELNS1_11target_archE4294967295ELNS1_3gpuE0ELNS1_3repE0EEENS1_30default_config_static_selectorELNS0_4arch9wavefront6targetE0EEEvT1_.num_named_barrier, 0
	.set _ZN7rocprim17ROCPRIM_400000_NS6detail17trampoline_kernelINS0_14default_configENS1_35adjacent_difference_config_selectorILb0ElEEZNS1_24adjacent_difference_implIS3_Lb0ELb0EPlS7_ZN2at6native12_GLOBAL__N_124unique_dim_cuda_templateIbEESt5tupleIJNS8_6TensorESD_SD_EERKSD_lbbbEUlllE1_EE10hipError_tPvRmT2_T3_mT4_P12ihipStream_tbEUlT_E_NS1_11comp_targetILNS1_3genE0ELNS1_11target_archE4294967295ELNS1_3gpuE0ELNS1_3repE0EEENS1_30default_config_static_selectorELNS0_4arch9wavefront6targetE0EEEvT1_.private_seg_size, 0
	.set _ZN7rocprim17ROCPRIM_400000_NS6detail17trampoline_kernelINS0_14default_configENS1_35adjacent_difference_config_selectorILb0ElEEZNS1_24adjacent_difference_implIS3_Lb0ELb0EPlS7_ZN2at6native12_GLOBAL__N_124unique_dim_cuda_templateIbEESt5tupleIJNS8_6TensorESD_SD_EERKSD_lbbbEUlllE1_EE10hipError_tPvRmT2_T3_mT4_P12ihipStream_tbEUlT_E_NS1_11comp_targetILNS1_3genE0ELNS1_11target_archE4294967295ELNS1_3gpuE0ELNS1_3repE0EEENS1_30default_config_static_selectorELNS0_4arch9wavefront6targetE0EEEvT1_.uses_vcc, 1
	.set _ZN7rocprim17ROCPRIM_400000_NS6detail17trampoline_kernelINS0_14default_configENS1_35adjacent_difference_config_selectorILb0ElEEZNS1_24adjacent_difference_implIS3_Lb0ELb0EPlS7_ZN2at6native12_GLOBAL__N_124unique_dim_cuda_templateIbEESt5tupleIJNS8_6TensorESD_SD_EERKSD_lbbbEUlllE1_EE10hipError_tPvRmT2_T3_mT4_P12ihipStream_tbEUlT_E_NS1_11comp_targetILNS1_3genE0ELNS1_11target_archE4294967295ELNS1_3gpuE0ELNS1_3repE0EEENS1_30default_config_static_selectorELNS0_4arch9wavefront6targetE0EEEvT1_.uses_flat_scratch, 0
	.set _ZN7rocprim17ROCPRIM_400000_NS6detail17trampoline_kernelINS0_14default_configENS1_35adjacent_difference_config_selectorILb0ElEEZNS1_24adjacent_difference_implIS3_Lb0ELb0EPlS7_ZN2at6native12_GLOBAL__N_124unique_dim_cuda_templateIbEESt5tupleIJNS8_6TensorESD_SD_EERKSD_lbbbEUlllE1_EE10hipError_tPvRmT2_T3_mT4_P12ihipStream_tbEUlT_E_NS1_11comp_targetILNS1_3genE0ELNS1_11target_archE4294967295ELNS1_3gpuE0ELNS1_3repE0EEENS1_30default_config_static_selectorELNS0_4arch9wavefront6targetE0EEEvT1_.has_dyn_sized_stack, 0
	.set _ZN7rocprim17ROCPRIM_400000_NS6detail17trampoline_kernelINS0_14default_configENS1_35adjacent_difference_config_selectorILb0ElEEZNS1_24adjacent_difference_implIS3_Lb0ELb0EPlS7_ZN2at6native12_GLOBAL__N_124unique_dim_cuda_templateIbEESt5tupleIJNS8_6TensorESD_SD_EERKSD_lbbbEUlllE1_EE10hipError_tPvRmT2_T3_mT4_P12ihipStream_tbEUlT_E_NS1_11comp_targetILNS1_3genE0ELNS1_11target_archE4294967295ELNS1_3gpuE0ELNS1_3repE0EEENS1_30default_config_static_selectorELNS0_4arch9wavefront6targetE0EEEvT1_.has_recursion, 0
	.set _ZN7rocprim17ROCPRIM_400000_NS6detail17trampoline_kernelINS0_14default_configENS1_35adjacent_difference_config_selectorILb0ElEEZNS1_24adjacent_difference_implIS3_Lb0ELb0EPlS7_ZN2at6native12_GLOBAL__N_124unique_dim_cuda_templateIbEESt5tupleIJNS8_6TensorESD_SD_EERKSD_lbbbEUlllE1_EE10hipError_tPvRmT2_T3_mT4_P12ihipStream_tbEUlT_E_NS1_11comp_targetILNS1_3genE0ELNS1_11target_archE4294967295ELNS1_3gpuE0ELNS1_3repE0EEENS1_30default_config_static_selectorELNS0_4arch9wavefront6targetE0EEEvT1_.has_indirect_call, 0
	.section	.AMDGPU.csdata,"",@progbits
; Kernel info:
; codeLenInByte = 1920
; TotalNumSgprs: 26
; NumVgprs: 12
; ScratchSize: 0
; MemoryBound: 0
; FloatMode: 240
; IeeeMode: 1
; LDSByteSize: 2048 bytes/workgroup (compile time only)
; SGPRBlocks: 0
; VGPRBlocks: 0
; NumSGPRsForWavesPerEU: 26
; NumVGPRsForWavesPerEU: 12
; NamedBarCnt: 0
; Occupancy: 16
; WaveLimiterHint : 0
; COMPUTE_PGM_RSRC2:SCRATCH_EN: 0
; COMPUTE_PGM_RSRC2:USER_SGPR: 2
; COMPUTE_PGM_RSRC2:TRAP_HANDLER: 0
; COMPUTE_PGM_RSRC2:TGID_X_EN: 1
; COMPUTE_PGM_RSRC2:TGID_Y_EN: 0
; COMPUTE_PGM_RSRC2:TGID_Z_EN: 0
; COMPUTE_PGM_RSRC2:TIDIG_COMP_CNT: 0
	.section	.text._ZN7rocprim17ROCPRIM_400000_NS6detail17trampoline_kernelINS0_14default_configENS1_35adjacent_difference_config_selectorILb0ElEEZNS1_24adjacent_difference_implIS3_Lb0ELb0EPlS7_ZN2at6native12_GLOBAL__N_124unique_dim_cuda_templateIbEESt5tupleIJNS8_6TensorESD_SD_EERKSD_lbbbEUlllE1_EE10hipError_tPvRmT2_T3_mT4_P12ihipStream_tbEUlT_E_NS1_11comp_targetILNS1_3genE10ELNS1_11target_archE1201ELNS1_3gpuE5ELNS1_3repE0EEENS1_30default_config_static_selectorELNS0_4arch9wavefront6targetE0EEEvT1_,"axG",@progbits,_ZN7rocprim17ROCPRIM_400000_NS6detail17trampoline_kernelINS0_14default_configENS1_35adjacent_difference_config_selectorILb0ElEEZNS1_24adjacent_difference_implIS3_Lb0ELb0EPlS7_ZN2at6native12_GLOBAL__N_124unique_dim_cuda_templateIbEESt5tupleIJNS8_6TensorESD_SD_EERKSD_lbbbEUlllE1_EE10hipError_tPvRmT2_T3_mT4_P12ihipStream_tbEUlT_E_NS1_11comp_targetILNS1_3genE10ELNS1_11target_archE1201ELNS1_3gpuE5ELNS1_3repE0EEENS1_30default_config_static_selectorELNS0_4arch9wavefront6targetE0EEEvT1_,comdat
	.globl	_ZN7rocprim17ROCPRIM_400000_NS6detail17trampoline_kernelINS0_14default_configENS1_35adjacent_difference_config_selectorILb0ElEEZNS1_24adjacent_difference_implIS3_Lb0ELb0EPlS7_ZN2at6native12_GLOBAL__N_124unique_dim_cuda_templateIbEESt5tupleIJNS8_6TensorESD_SD_EERKSD_lbbbEUlllE1_EE10hipError_tPvRmT2_T3_mT4_P12ihipStream_tbEUlT_E_NS1_11comp_targetILNS1_3genE10ELNS1_11target_archE1201ELNS1_3gpuE5ELNS1_3repE0EEENS1_30default_config_static_selectorELNS0_4arch9wavefront6targetE0EEEvT1_ ; -- Begin function _ZN7rocprim17ROCPRIM_400000_NS6detail17trampoline_kernelINS0_14default_configENS1_35adjacent_difference_config_selectorILb0ElEEZNS1_24adjacent_difference_implIS3_Lb0ELb0EPlS7_ZN2at6native12_GLOBAL__N_124unique_dim_cuda_templateIbEESt5tupleIJNS8_6TensorESD_SD_EERKSD_lbbbEUlllE1_EE10hipError_tPvRmT2_T3_mT4_P12ihipStream_tbEUlT_E_NS1_11comp_targetILNS1_3genE10ELNS1_11target_archE1201ELNS1_3gpuE5ELNS1_3repE0EEENS1_30default_config_static_selectorELNS0_4arch9wavefront6targetE0EEEvT1_
	.p2align	8
	.type	_ZN7rocprim17ROCPRIM_400000_NS6detail17trampoline_kernelINS0_14default_configENS1_35adjacent_difference_config_selectorILb0ElEEZNS1_24adjacent_difference_implIS3_Lb0ELb0EPlS7_ZN2at6native12_GLOBAL__N_124unique_dim_cuda_templateIbEESt5tupleIJNS8_6TensorESD_SD_EERKSD_lbbbEUlllE1_EE10hipError_tPvRmT2_T3_mT4_P12ihipStream_tbEUlT_E_NS1_11comp_targetILNS1_3genE10ELNS1_11target_archE1201ELNS1_3gpuE5ELNS1_3repE0EEENS1_30default_config_static_selectorELNS0_4arch9wavefront6targetE0EEEvT1_,@function
_ZN7rocprim17ROCPRIM_400000_NS6detail17trampoline_kernelINS0_14default_configENS1_35adjacent_difference_config_selectorILb0ElEEZNS1_24adjacent_difference_implIS3_Lb0ELb0EPlS7_ZN2at6native12_GLOBAL__N_124unique_dim_cuda_templateIbEESt5tupleIJNS8_6TensorESD_SD_EERKSD_lbbbEUlllE1_EE10hipError_tPvRmT2_T3_mT4_P12ihipStream_tbEUlT_E_NS1_11comp_targetILNS1_3genE10ELNS1_11target_archE1201ELNS1_3gpuE5ELNS1_3repE0EEENS1_30default_config_static_selectorELNS0_4arch9wavefront6targetE0EEEvT1_: ; @_ZN7rocprim17ROCPRIM_400000_NS6detail17trampoline_kernelINS0_14default_configENS1_35adjacent_difference_config_selectorILb0ElEEZNS1_24adjacent_difference_implIS3_Lb0ELb0EPlS7_ZN2at6native12_GLOBAL__N_124unique_dim_cuda_templateIbEESt5tupleIJNS8_6TensorESD_SD_EERKSD_lbbbEUlllE1_EE10hipError_tPvRmT2_T3_mT4_P12ihipStream_tbEUlT_E_NS1_11comp_targetILNS1_3genE10ELNS1_11target_archE1201ELNS1_3gpuE5ELNS1_3repE0EEENS1_30default_config_static_selectorELNS0_4arch9wavefront6targetE0EEEvT1_
; %bb.0:
	.section	.rodata,"a",@progbits
	.p2align	6, 0x0
	.amdhsa_kernel _ZN7rocprim17ROCPRIM_400000_NS6detail17trampoline_kernelINS0_14default_configENS1_35adjacent_difference_config_selectorILb0ElEEZNS1_24adjacent_difference_implIS3_Lb0ELb0EPlS7_ZN2at6native12_GLOBAL__N_124unique_dim_cuda_templateIbEESt5tupleIJNS8_6TensorESD_SD_EERKSD_lbbbEUlllE1_EE10hipError_tPvRmT2_T3_mT4_P12ihipStream_tbEUlT_E_NS1_11comp_targetILNS1_3genE10ELNS1_11target_archE1201ELNS1_3gpuE5ELNS1_3repE0EEENS1_30default_config_static_selectorELNS0_4arch9wavefront6targetE0EEEvT1_
		.amdhsa_group_segment_fixed_size 0
		.amdhsa_private_segment_fixed_size 0
		.amdhsa_kernarg_size 64
		.amdhsa_user_sgpr_count 2
		.amdhsa_user_sgpr_dispatch_ptr 0
		.amdhsa_user_sgpr_queue_ptr 0
		.amdhsa_user_sgpr_kernarg_segment_ptr 1
		.amdhsa_user_sgpr_dispatch_id 0
		.amdhsa_user_sgpr_kernarg_preload_length 0
		.amdhsa_user_sgpr_kernarg_preload_offset 0
		.amdhsa_user_sgpr_private_segment_size 0
		.amdhsa_wavefront_size32 1
		.amdhsa_uses_dynamic_stack 0
		.amdhsa_enable_private_segment 0
		.amdhsa_system_sgpr_workgroup_id_x 1
		.amdhsa_system_sgpr_workgroup_id_y 0
		.amdhsa_system_sgpr_workgroup_id_z 0
		.amdhsa_system_sgpr_workgroup_info 0
		.amdhsa_system_vgpr_workitem_id 0
		.amdhsa_next_free_vgpr 1
		.amdhsa_next_free_sgpr 1
		.amdhsa_named_barrier_count 0
		.amdhsa_reserve_vcc 0
		.amdhsa_float_round_mode_32 0
		.amdhsa_float_round_mode_16_64 0
		.amdhsa_float_denorm_mode_32 3
		.amdhsa_float_denorm_mode_16_64 3
		.amdhsa_fp16_overflow 0
		.amdhsa_memory_ordered 1
		.amdhsa_forward_progress 1
		.amdhsa_inst_pref_size 0
		.amdhsa_round_robin_scheduling 0
		.amdhsa_exception_fp_ieee_invalid_op 0
		.amdhsa_exception_fp_denorm_src 0
		.amdhsa_exception_fp_ieee_div_zero 0
		.amdhsa_exception_fp_ieee_overflow 0
		.amdhsa_exception_fp_ieee_underflow 0
		.amdhsa_exception_fp_ieee_inexact 0
		.amdhsa_exception_int_div_zero 0
	.end_amdhsa_kernel
	.section	.text._ZN7rocprim17ROCPRIM_400000_NS6detail17trampoline_kernelINS0_14default_configENS1_35adjacent_difference_config_selectorILb0ElEEZNS1_24adjacent_difference_implIS3_Lb0ELb0EPlS7_ZN2at6native12_GLOBAL__N_124unique_dim_cuda_templateIbEESt5tupleIJNS8_6TensorESD_SD_EERKSD_lbbbEUlllE1_EE10hipError_tPvRmT2_T3_mT4_P12ihipStream_tbEUlT_E_NS1_11comp_targetILNS1_3genE10ELNS1_11target_archE1201ELNS1_3gpuE5ELNS1_3repE0EEENS1_30default_config_static_selectorELNS0_4arch9wavefront6targetE0EEEvT1_,"axG",@progbits,_ZN7rocprim17ROCPRIM_400000_NS6detail17trampoline_kernelINS0_14default_configENS1_35adjacent_difference_config_selectorILb0ElEEZNS1_24adjacent_difference_implIS3_Lb0ELb0EPlS7_ZN2at6native12_GLOBAL__N_124unique_dim_cuda_templateIbEESt5tupleIJNS8_6TensorESD_SD_EERKSD_lbbbEUlllE1_EE10hipError_tPvRmT2_T3_mT4_P12ihipStream_tbEUlT_E_NS1_11comp_targetILNS1_3genE10ELNS1_11target_archE1201ELNS1_3gpuE5ELNS1_3repE0EEENS1_30default_config_static_selectorELNS0_4arch9wavefront6targetE0EEEvT1_,comdat
.Lfunc_end1027:
	.size	_ZN7rocprim17ROCPRIM_400000_NS6detail17trampoline_kernelINS0_14default_configENS1_35adjacent_difference_config_selectorILb0ElEEZNS1_24adjacent_difference_implIS3_Lb0ELb0EPlS7_ZN2at6native12_GLOBAL__N_124unique_dim_cuda_templateIbEESt5tupleIJNS8_6TensorESD_SD_EERKSD_lbbbEUlllE1_EE10hipError_tPvRmT2_T3_mT4_P12ihipStream_tbEUlT_E_NS1_11comp_targetILNS1_3genE10ELNS1_11target_archE1201ELNS1_3gpuE5ELNS1_3repE0EEENS1_30default_config_static_selectorELNS0_4arch9wavefront6targetE0EEEvT1_, .Lfunc_end1027-_ZN7rocprim17ROCPRIM_400000_NS6detail17trampoline_kernelINS0_14default_configENS1_35adjacent_difference_config_selectorILb0ElEEZNS1_24adjacent_difference_implIS3_Lb0ELb0EPlS7_ZN2at6native12_GLOBAL__N_124unique_dim_cuda_templateIbEESt5tupleIJNS8_6TensorESD_SD_EERKSD_lbbbEUlllE1_EE10hipError_tPvRmT2_T3_mT4_P12ihipStream_tbEUlT_E_NS1_11comp_targetILNS1_3genE10ELNS1_11target_archE1201ELNS1_3gpuE5ELNS1_3repE0EEENS1_30default_config_static_selectorELNS0_4arch9wavefront6targetE0EEEvT1_
                                        ; -- End function
	.set _ZN7rocprim17ROCPRIM_400000_NS6detail17trampoline_kernelINS0_14default_configENS1_35adjacent_difference_config_selectorILb0ElEEZNS1_24adjacent_difference_implIS3_Lb0ELb0EPlS7_ZN2at6native12_GLOBAL__N_124unique_dim_cuda_templateIbEESt5tupleIJNS8_6TensorESD_SD_EERKSD_lbbbEUlllE1_EE10hipError_tPvRmT2_T3_mT4_P12ihipStream_tbEUlT_E_NS1_11comp_targetILNS1_3genE10ELNS1_11target_archE1201ELNS1_3gpuE5ELNS1_3repE0EEENS1_30default_config_static_selectorELNS0_4arch9wavefront6targetE0EEEvT1_.num_vgpr, 0
	.set _ZN7rocprim17ROCPRIM_400000_NS6detail17trampoline_kernelINS0_14default_configENS1_35adjacent_difference_config_selectorILb0ElEEZNS1_24adjacent_difference_implIS3_Lb0ELb0EPlS7_ZN2at6native12_GLOBAL__N_124unique_dim_cuda_templateIbEESt5tupleIJNS8_6TensorESD_SD_EERKSD_lbbbEUlllE1_EE10hipError_tPvRmT2_T3_mT4_P12ihipStream_tbEUlT_E_NS1_11comp_targetILNS1_3genE10ELNS1_11target_archE1201ELNS1_3gpuE5ELNS1_3repE0EEENS1_30default_config_static_selectorELNS0_4arch9wavefront6targetE0EEEvT1_.num_agpr, 0
	.set _ZN7rocprim17ROCPRIM_400000_NS6detail17trampoline_kernelINS0_14default_configENS1_35adjacent_difference_config_selectorILb0ElEEZNS1_24adjacent_difference_implIS3_Lb0ELb0EPlS7_ZN2at6native12_GLOBAL__N_124unique_dim_cuda_templateIbEESt5tupleIJNS8_6TensorESD_SD_EERKSD_lbbbEUlllE1_EE10hipError_tPvRmT2_T3_mT4_P12ihipStream_tbEUlT_E_NS1_11comp_targetILNS1_3genE10ELNS1_11target_archE1201ELNS1_3gpuE5ELNS1_3repE0EEENS1_30default_config_static_selectorELNS0_4arch9wavefront6targetE0EEEvT1_.numbered_sgpr, 0
	.set _ZN7rocprim17ROCPRIM_400000_NS6detail17trampoline_kernelINS0_14default_configENS1_35adjacent_difference_config_selectorILb0ElEEZNS1_24adjacent_difference_implIS3_Lb0ELb0EPlS7_ZN2at6native12_GLOBAL__N_124unique_dim_cuda_templateIbEESt5tupleIJNS8_6TensorESD_SD_EERKSD_lbbbEUlllE1_EE10hipError_tPvRmT2_T3_mT4_P12ihipStream_tbEUlT_E_NS1_11comp_targetILNS1_3genE10ELNS1_11target_archE1201ELNS1_3gpuE5ELNS1_3repE0EEENS1_30default_config_static_selectorELNS0_4arch9wavefront6targetE0EEEvT1_.num_named_barrier, 0
	.set _ZN7rocprim17ROCPRIM_400000_NS6detail17trampoline_kernelINS0_14default_configENS1_35adjacent_difference_config_selectorILb0ElEEZNS1_24adjacent_difference_implIS3_Lb0ELb0EPlS7_ZN2at6native12_GLOBAL__N_124unique_dim_cuda_templateIbEESt5tupleIJNS8_6TensorESD_SD_EERKSD_lbbbEUlllE1_EE10hipError_tPvRmT2_T3_mT4_P12ihipStream_tbEUlT_E_NS1_11comp_targetILNS1_3genE10ELNS1_11target_archE1201ELNS1_3gpuE5ELNS1_3repE0EEENS1_30default_config_static_selectorELNS0_4arch9wavefront6targetE0EEEvT1_.private_seg_size, 0
	.set _ZN7rocprim17ROCPRIM_400000_NS6detail17trampoline_kernelINS0_14default_configENS1_35adjacent_difference_config_selectorILb0ElEEZNS1_24adjacent_difference_implIS3_Lb0ELb0EPlS7_ZN2at6native12_GLOBAL__N_124unique_dim_cuda_templateIbEESt5tupleIJNS8_6TensorESD_SD_EERKSD_lbbbEUlllE1_EE10hipError_tPvRmT2_T3_mT4_P12ihipStream_tbEUlT_E_NS1_11comp_targetILNS1_3genE10ELNS1_11target_archE1201ELNS1_3gpuE5ELNS1_3repE0EEENS1_30default_config_static_selectorELNS0_4arch9wavefront6targetE0EEEvT1_.uses_vcc, 0
	.set _ZN7rocprim17ROCPRIM_400000_NS6detail17trampoline_kernelINS0_14default_configENS1_35adjacent_difference_config_selectorILb0ElEEZNS1_24adjacent_difference_implIS3_Lb0ELb0EPlS7_ZN2at6native12_GLOBAL__N_124unique_dim_cuda_templateIbEESt5tupleIJNS8_6TensorESD_SD_EERKSD_lbbbEUlllE1_EE10hipError_tPvRmT2_T3_mT4_P12ihipStream_tbEUlT_E_NS1_11comp_targetILNS1_3genE10ELNS1_11target_archE1201ELNS1_3gpuE5ELNS1_3repE0EEENS1_30default_config_static_selectorELNS0_4arch9wavefront6targetE0EEEvT1_.uses_flat_scratch, 0
	.set _ZN7rocprim17ROCPRIM_400000_NS6detail17trampoline_kernelINS0_14default_configENS1_35adjacent_difference_config_selectorILb0ElEEZNS1_24adjacent_difference_implIS3_Lb0ELb0EPlS7_ZN2at6native12_GLOBAL__N_124unique_dim_cuda_templateIbEESt5tupleIJNS8_6TensorESD_SD_EERKSD_lbbbEUlllE1_EE10hipError_tPvRmT2_T3_mT4_P12ihipStream_tbEUlT_E_NS1_11comp_targetILNS1_3genE10ELNS1_11target_archE1201ELNS1_3gpuE5ELNS1_3repE0EEENS1_30default_config_static_selectorELNS0_4arch9wavefront6targetE0EEEvT1_.has_dyn_sized_stack, 0
	.set _ZN7rocprim17ROCPRIM_400000_NS6detail17trampoline_kernelINS0_14default_configENS1_35adjacent_difference_config_selectorILb0ElEEZNS1_24adjacent_difference_implIS3_Lb0ELb0EPlS7_ZN2at6native12_GLOBAL__N_124unique_dim_cuda_templateIbEESt5tupleIJNS8_6TensorESD_SD_EERKSD_lbbbEUlllE1_EE10hipError_tPvRmT2_T3_mT4_P12ihipStream_tbEUlT_E_NS1_11comp_targetILNS1_3genE10ELNS1_11target_archE1201ELNS1_3gpuE5ELNS1_3repE0EEENS1_30default_config_static_selectorELNS0_4arch9wavefront6targetE0EEEvT1_.has_recursion, 0
	.set _ZN7rocprim17ROCPRIM_400000_NS6detail17trampoline_kernelINS0_14default_configENS1_35adjacent_difference_config_selectorILb0ElEEZNS1_24adjacent_difference_implIS3_Lb0ELb0EPlS7_ZN2at6native12_GLOBAL__N_124unique_dim_cuda_templateIbEESt5tupleIJNS8_6TensorESD_SD_EERKSD_lbbbEUlllE1_EE10hipError_tPvRmT2_T3_mT4_P12ihipStream_tbEUlT_E_NS1_11comp_targetILNS1_3genE10ELNS1_11target_archE1201ELNS1_3gpuE5ELNS1_3repE0EEENS1_30default_config_static_selectorELNS0_4arch9wavefront6targetE0EEEvT1_.has_indirect_call, 0
	.section	.AMDGPU.csdata,"",@progbits
; Kernel info:
; codeLenInByte = 0
; TotalNumSgprs: 0
; NumVgprs: 0
; ScratchSize: 0
; MemoryBound: 0
; FloatMode: 240
; IeeeMode: 1
; LDSByteSize: 0 bytes/workgroup (compile time only)
; SGPRBlocks: 0
; VGPRBlocks: 0
; NumSGPRsForWavesPerEU: 1
; NumVGPRsForWavesPerEU: 1
; NamedBarCnt: 0
; Occupancy: 16
; WaveLimiterHint : 0
; COMPUTE_PGM_RSRC2:SCRATCH_EN: 0
; COMPUTE_PGM_RSRC2:USER_SGPR: 2
; COMPUTE_PGM_RSRC2:TRAP_HANDLER: 0
; COMPUTE_PGM_RSRC2:TGID_X_EN: 1
; COMPUTE_PGM_RSRC2:TGID_Y_EN: 0
; COMPUTE_PGM_RSRC2:TGID_Z_EN: 0
; COMPUTE_PGM_RSRC2:TIDIG_COMP_CNT: 0
	.section	.text._ZN7rocprim17ROCPRIM_400000_NS6detail17trampoline_kernelINS0_14default_configENS1_35adjacent_difference_config_selectorILb0ElEEZNS1_24adjacent_difference_implIS3_Lb0ELb0EPlS7_ZN2at6native12_GLOBAL__N_124unique_dim_cuda_templateIbEESt5tupleIJNS8_6TensorESD_SD_EERKSD_lbbbEUlllE1_EE10hipError_tPvRmT2_T3_mT4_P12ihipStream_tbEUlT_E_NS1_11comp_targetILNS1_3genE5ELNS1_11target_archE942ELNS1_3gpuE9ELNS1_3repE0EEENS1_30default_config_static_selectorELNS0_4arch9wavefront6targetE0EEEvT1_,"axG",@progbits,_ZN7rocprim17ROCPRIM_400000_NS6detail17trampoline_kernelINS0_14default_configENS1_35adjacent_difference_config_selectorILb0ElEEZNS1_24adjacent_difference_implIS3_Lb0ELb0EPlS7_ZN2at6native12_GLOBAL__N_124unique_dim_cuda_templateIbEESt5tupleIJNS8_6TensorESD_SD_EERKSD_lbbbEUlllE1_EE10hipError_tPvRmT2_T3_mT4_P12ihipStream_tbEUlT_E_NS1_11comp_targetILNS1_3genE5ELNS1_11target_archE942ELNS1_3gpuE9ELNS1_3repE0EEENS1_30default_config_static_selectorELNS0_4arch9wavefront6targetE0EEEvT1_,comdat
	.globl	_ZN7rocprim17ROCPRIM_400000_NS6detail17trampoline_kernelINS0_14default_configENS1_35adjacent_difference_config_selectorILb0ElEEZNS1_24adjacent_difference_implIS3_Lb0ELb0EPlS7_ZN2at6native12_GLOBAL__N_124unique_dim_cuda_templateIbEESt5tupleIJNS8_6TensorESD_SD_EERKSD_lbbbEUlllE1_EE10hipError_tPvRmT2_T3_mT4_P12ihipStream_tbEUlT_E_NS1_11comp_targetILNS1_3genE5ELNS1_11target_archE942ELNS1_3gpuE9ELNS1_3repE0EEENS1_30default_config_static_selectorELNS0_4arch9wavefront6targetE0EEEvT1_ ; -- Begin function _ZN7rocprim17ROCPRIM_400000_NS6detail17trampoline_kernelINS0_14default_configENS1_35adjacent_difference_config_selectorILb0ElEEZNS1_24adjacent_difference_implIS3_Lb0ELb0EPlS7_ZN2at6native12_GLOBAL__N_124unique_dim_cuda_templateIbEESt5tupleIJNS8_6TensorESD_SD_EERKSD_lbbbEUlllE1_EE10hipError_tPvRmT2_T3_mT4_P12ihipStream_tbEUlT_E_NS1_11comp_targetILNS1_3genE5ELNS1_11target_archE942ELNS1_3gpuE9ELNS1_3repE0EEENS1_30default_config_static_selectorELNS0_4arch9wavefront6targetE0EEEvT1_
	.p2align	8
	.type	_ZN7rocprim17ROCPRIM_400000_NS6detail17trampoline_kernelINS0_14default_configENS1_35adjacent_difference_config_selectorILb0ElEEZNS1_24adjacent_difference_implIS3_Lb0ELb0EPlS7_ZN2at6native12_GLOBAL__N_124unique_dim_cuda_templateIbEESt5tupleIJNS8_6TensorESD_SD_EERKSD_lbbbEUlllE1_EE10hipError_tPvRmT2_T3_mT4_P12ihipStream_tbEUlT_E_NS1_11comp_targetILNS1_3genE5ELNS1_11target_archE942ELNS1_3gpuE9ELNS1_3repE0EEENS1_30default_config_static_selectorELNS0_4arch9wavefront6targetE0EEEvT1_,@function
_ZN7rocprim17ROCPRIM_400000_NS6detail17trampoline_kernelINS0_14default_configENS1_35adjacent_difference_config_selectorILb0ElEEZNS1_24adjacent_difference_implIS3_Lb0ELb0EPlS7_ZN2at6native12_GLOBAL__N_124unique_dim_cuda_templateIbEESt5tupleIJNS8_6TensorESD_SD_EERKSD_lbbbEUlllE1_EE10hipError_tPvRmT2_T3_mT4_P12ihipStream_tbEUlT_E_NS1_11comp_targetILNS1_3genE5ELNS1_11target_archE942ELNS1_3gpuE9ELNS1_3repE0EEENS1_30default_config_static_selectorELNS0_4arch9wavefront6targetE0EEEvT1_: ; @_ZN7rocprim17ROCPRIM_400000_NS6detail17trampoline_kernelINS0_14default_configENS1_35adjacent_difference_config_selectorILb0ElEEZNS1_24adjacent_difference_implIS3_Lb0ELb0EPlS7_ZN2at6native12_GLOBAL__N_124unique_dim_cuda_templateIbEESt5tupleIJNS8_6TensorESD_SD_EERKSD_lbbbEUlllE1_EE10hipError_tPvRmT2_T3_mT4_P12ihipStream_tbEUlT_E_NS1_11comp_targetILNS1_3genE5ELNS1_11target_archE942ELNS1_3gpuE9ELNS1_3repE0EEENS1_30default_config_static_selectorELNS0_4arch9wavefront6targetE0EEEvT1_
; %bb.0:
	.section	.rodata,"a",@progbits
	.p2align	6, 0x0
	.amdhsa_kernel _ZN7rocprim17ROCPRIM_400000_NS6detail17trampoline_kernelINS0_14default_configENS1_35adjacent_difference_config_selectorILb0ElEEZNS1_24adjacent_difference_implIS3_Lb0ELb0EPlS7_ZN2at6native12_GLOBAL__N_124unique_dim_cuda_templateIbEESt5tupleIJNS8_6TensorESD_SD_EERKSD_lbbbEUlllE1_EE10hipError_tPvRmT2_T3_mT4_P12ihipStream_tbEUlT_E_NS1_11comp_targetILNS1_3genE5ELNS1_11target_archE942ELNS1_3gpuE9ELNS1_3repE0EEENS1_30default_config_static_selectorELNS0_4arch9wavefront6targetE0EEEvT1_
		.amdhsa_group_segment_fixed_size 0
		.amdhsa_private_segment_fixed_size 0
		.amdhsa_kernarg_size 64
		.amdhsa_user_sgpr_count 2
		.amdhsa_user_sgpr_dispatch_ptr 0
		.amdhsa_user_sgpr_queue_ptr 0
		.amdhsa_user_sgpr_kernarg_segment_ptr 1
		.amdhsa_user_sgpr_dispatch_id 0
		.amdhsa_user_sgpr_kernarg_preload_length 0
		.amdhsa_user_sgpr_kernarg_preload_offset 0
		.amdhsa_user_sgpr_private_segment_size 0
		.amdhsa_wavefront_size32 1
		.amdhsa_uses_dynamic_stack 0
		.amdhsa_enable_private_segment 0
		.amdhsa_system_sgpr_workgroup_id_x 1
		.amdhsa_system_sgpr_workgroup_id_y 0
		.amdhsa_system_sgpr_workgroup_id_z 0
		.amdhsa_system_sgpr_workgroup_info 0
		.amdhsa_system_vgpr_workitem_id 0
		.amdhsa_next_free_vgpr 1
		.amdhsa_next_free_sgpr 1
		.amdhsa_named_barrier_count 0
		.amdhsa_reserve_vcc 0
		.amdhsa_float_round_mode_32 0
		.amdhsa_float_round_mode_16_64 0
		.amdhsa_float_denorm_mode_32 3
		.amdhsa_float_denorm_mode_16_64 3
		.amdhsa_fp16_overflow 0
		.amdhsa_memory_ordered 1
		.amdhsa_forward_progress 1
		.amdhsa_inst_pref_size 0
		.amdhsa_round_robin_scheduling 0
		.amdhsa_exception_fp_ieee_invalid_op 0
		.amdhsa_exception_fp_denorm_src 0
		.amdhsa_exception_fp_ieee_div_zero 0
		.amdhsa_exception_fp_ieee_overflow 0
		.amdhsa_exception_fp_ieee_underflow 0
		.amdhsa_exception_fp_ieee_inexact 0
		.amdhsa_exception_int_div_zero 0
	.end_amdhsa_kernel
	.section	.text._ZN7rocprim17ROCPRIM_400000_NS6detail17trampoline_kernelINS0_14default_configENS1_35adjacent_difference_config_selectorILb0ElEEZNS1_24adjacent_difference_implIS3_Lb0ELb0EPlS7_ZN2at6native12_GLOBAL__N_124unique_dim_cuda_templateIbEESt5tupleIJNS8_6TensorESD_SD_EERKSD_lbbbEUlllE1_EE10hipError_tPvRmT2_T3_mT4_P12ihipStream_tbEUlT_E_NS1_11comp_targetILNS1_3genE5ELNS1_11target_archE942ELNS1_3gpuE9ELNS1_3repE0EEENS1_30default_config_static_selectorELNS0_4arch9wavefront6targetE0EEEvT1_,"axG",@progbits,_ZN7rocprim17ROCPRIM_400000_NS6detail17trampoline_kernelINS0_14default_configENS1_35adjacent_difference_config_selectorILb0ElEEZNS1_24adjacent_difference_implIS3_Lb0ELb0EPlS7_ZN2at6native12_GLOBAL__N_124unique_dim_cuda_templateIbEESt5tupleIJNS8_6TensorESD_SD_EERKSD_lbbbEUlllE1_EE10hipError_tPvRmT2_T3_mT4_P12ihipStream_tbEUlT_E_NS1_11comp_targetILNS1_3genE5ELNS1_11target_archE942ELNS1_3gpuE9ELNS1_3repE0EEENS1_30default_config_static_selectorELNS0_4arch9wavefront6targetE0EEEvT1_,comdat
.Lfunc_end1028:
	.size	_ZN7rocprim17ROCPRIM_400000_NS6detail17trampoline_kernelINS0_14default_configENS1_35adjacent_difference_config_selectorILb0ElEEZNS1_24adjacent_difference_implIS3_Lb0ELb0EPlS7_ZN2at6native12_GLOBAL__N_124unique_dim_cuda_templateIbEESt5tupleIJNS8_6TensorESD_SD_EERKSD_lbbbEUlllE1_EE10hipError_tPvRmT2_T3_mT4_P12ihipStream_tbEUlT_E_NS1_11comp_targetILNS1_3genE5ELNS1_11target_archE942ELNS1_3gpuE9ELNS1_3repE0EEENS1_30default_config_static_selectorELNS0_4arch9wavefront6targetE0EEEvT1_, .Lfunc_end1028-_ZN7rocprim17ROCPRIM_400000_NS6detail17trampoline_kernelINS0_14default_configENS1_35adjacent_difference_config_selectorILb0ElEEZNS1_24adjacent_difference_implIS3_Lb0ELb0EPlS7_ZN2at6native12_GLOBAL__N_124unique_dim_cuda_templateIbEESt5tupleIJNS8_6TensorESD_SD_EERKSD_lbbbEUlllE1_EE10hipError_tPvRmT2_T3_mT4_P12ihipStream_tbEUlT_E_NS1_11comp_targetILNS1_3genE5ELNS1_11target_archE942ELNS1_3gpuE9ELNS1_3repE0EEENS1_30default_config_static_selectorELNS0_4arch9wavefront6targetE0EEEvT1_
                                        ; -- End function
	.set _ZN7rocprim17ROCPRIM_400000_NS6detail17trampoline_kernelINS0_14default_configENS1_35adjacent_difference_config_selectorILb0ElEEZNS1_24adjacent_difference_implIS3_Lb0ELb0EPlS7_ZN2at6native12_GLOBAL__N_124unique_dim_cuda_templateIbEESt5tupleIJNS8_6TensorESD_SD_EERKSD_lbbbEUlllE1_EE10hipError_tPvRmT2_T3_mT4_P12ihipStream_tbEUlT_E_NS1_11comp_targetILNS1_3genE5ELNS1_11target_archE942ELNS1_3gpuE9ELNS1_3repE0EEENS1_30default_config_static_selectorELNS0_4arch9wavefront6targetE0EEEvT1_.num_vgpr, 0
	.set _ZN7rocprim17ROCPRIM_400000_NS6detail17trampoline_kernelINS0_14default_configENS1_35adjacent_difference_config_selectorILb0ElEEZNS1_24adjacent_difference_implIS3_Lb0ELb0EPlS7_ZN2at6native12_GLOBAL__N_124unique_dim_cuda_templateIbEESt5tupleIJNS8_6TensorESD_SD_EERKSD_lbbbEUlllE1_EE10hipError_tPvRmT2_T3_mT4_P12ihipStream_tbEUlT_E_NS1_11comp_targetILNS1_3genE5ELNS1_11target_archE942ELNS1_3gpuE9ELNS1_3repE0EEENS1_30default_config_static_selectorELNS0_4arch9wavefront6targetE0EEEvT1_.num_agpr, 0
	.set _ZN7rocprim17ROCPRIM_400000_NS6detail17trampoline_kernelINS0_14default_configENS1_35adjacent_difference_config_selectorILb0ElEEZNS1_24adjacent_difference_implIS3_Lb0ELb0EPlS7_ZN2at6native12_GLOBAL__N_124unique_dim_cuda_templateIbEESt5tupleIJNS8_6TensorESD_SD_EERKSD_lbbbEUlllE1_EE10hipError_tPvRmT2_T3_mT4_P12ihipStream_tbEUlT_E_NS1_11comp_targetILNS1_3genE5ELNS1_11target_archE942ELNS1_3gpuE9ELNS1_3repE0EEENS1_30default_config_static_selectorELNS0_4arch9wavefront6targetE0EEEvT1_.numbered_sgpr, 0
	.set _ZN7rocprim17ROCPRIM_400000_NS6detail17trampoline_kernelINS0_14default_configENS1_35adjacent_difference_config_selectorILb0ElEEZNS1_24adjacent_difference_implIS3_Lb0ELb0EPlS7_ZN2at6native12_GLOBAL__N_124unique_dim_cuda_templateIbEESt5tupleIJNS8_6TensorESD_SD_EERKSD_lbbbEUlllE1_EE10hipError_tPvRmT2_T3_mT4_P12ihipStream_tbEUlT_E_NS1_11comp_targetILNS1_3genE5ELNS1_11target_archE942ELNS1_3gpuE9ELNS1_3repE0EEENS1_30default_config_static_selectorELNS0_4arch9wavefront6targetE0EEEvT1_.num_named_barrier, 0
	.set _ZN7rocprim17ROCPRIM_400000_NS6detail17trampoline_kernelINS0_14default_configENS1_35adjacent_difference_config_selectorILb0ElEEZNS1_24adjacent_difference_implIS3_Lb0ELb0EPlS7_ZN2at6native12_GLOBAL__N_124unique_dim_cuda_templateIbEESt5tupleIJNS8_6TensorESD_SD_EERKSD_lbbbEUlllE1_EE10hipError_tPvRmT2_T3_mT4_P12ihipStream_tbEUlT_E_NS1_11comp_targetILNS1_3genE5ELNS1_11target_archE942ELNS1_3gpuE9ELNS1_3repE0EEENS1_30default_config_static_selectorELNS0_4arch9wavefront6targetE0EEEvT1_.private_seg_size, 0
	.set _ZN7rocprim17ROCPRIM_400000_NS6detail17trampoline_kernelINS0_14default_configENS1_35adjacent_difference_config_selectorILb0ElEEZNS1_24adjacent_difference_implIS3_Lb0ELb0EPlS7_ZN2at6native12_GLOBAL__N_124unique_dim_cuda_templateIbEESt5tupleIJNS8_6TensorESD_SD_EERKSD_lbbbEUlllE1_EE10hipError_tPvRmT2_T3_mT4_P12ihipStream_tbEUlT_E_NS1_11comp_targetILNS1_3genE5ELNS1_11target_archE942ELNS1_3gpuE9ELNS1_3repE0EEENS1_30default_config_static_selectorELNS0_4arch9wavefront6targetE0EEEvT1_.uses_vcc, 0
	.set _ZN7rocprim17ROCPRIM_400000_NS6detail17trampoline_kernelINS0_14default_configENS1_35adjacent_difference_config_selectorILb0ElEEZNS1_24adjacent_difference_implIS3_Lb0ELb0EPlS7_ZN2at6native12_GLOBAL__N_124unique_dim_cuda_templateIbEESt5tupleIJNS8_6TensorESD_SD_EERKSD_lbbbEUlllE1_EE10hipError_tPvRmT2_T3_mT4_P12ihipStream_tbEUlT_E_NS1_11comp_targetILNS1_3genE5ELNS1_11target_archE942ELNS1_3gpuE9ELNS1_3repE0EEENS1_30default_config_static_selectorELNS0_4arch9wavefront6targetE0EEEvT1_.uses_flat_scratch, 0
	.set _ZN7rocprim17ROCPRIM_400000_NS6detail17trampoline_kernelINS0_14default_configENS1_35adjacent_difference_config_selectorILb0ElEEZNS1_24adjacent_difference_implIS3_Lb0ELb0EPlS7_ZN2at6native12_GLOBAL__N_124unique_dim_cuda_templateIbEESt5tupleIJNS8_6TensorESD_SD_EERKSD_lbbbEUlllE1_EE10hipError_tPvRmT2_T3_mT4_P12ihipStream_tbEUlT_E_NS1_11comp_targetILNS1_3genE5ELNS1_11target_archE942ELNS1_3gpuE9ELNS1_3repE0EEENS1_30default_config_static_selectorELNS0_4arch9wavefront6targetE0EEEvT1_.has_dyn_sized_stack, 0
	.set _ZN7rocprim17ROCPRIM_400000_NS6detail17trampoline_kernelINS0_14default_configENS1_35adjacent_difference_config_selectorILb0ElEEZNS1_24adjacent_difference_implIS3_Lb0ELb0EPlS7_ZN2at6native12_GLOBAL__N_124unique_dim_cuda_templateIbEESt5tupleIJNS8_6TensorESD_SD_EERKSD_lbbbEUlllE1_EE10hipError_tPvRmT2_T3_mT4_P12ihipStream_tbEUlT_E_NS1_11comp_targetILNS1_3genE5ELNS1_11target_archE942ELNS1_3gpuE9ELNS1_3repE0EEENS1_30default_config_static_selectorELNS0_4arch9wavefront6targetE0EEEvT1_.has_recursion, 0
	.set _ZN7rocprim17ROCPRIM_400000_NS6detail17trampoline_kernelINS0_14default_configENS1_35adjacent_difference_config_selectorILb0ElEEZNS1_24adjacent_difference_implIS3_Lb0ELb0EPlS7_ZN2at6native12_GLOBAL__N_124unique_dim_cuda_templateIbEESt5tupleIJNS8_6TensorESD_SD_EERKSD_lbbbEUlllE1_EE10hipError_tPvRmT2_T3_mT4_P12ihipStream_tbEUlT_E_NS1_11comp_targetILNS1_3genE5ELNS1_11target_archE942ELNS1_3gpuE9ELNS1_3repE0EEENS1_30default_config_static_selectorELNS0_4arch9wavefront6targetE0EEEvT1_.has_indirect_call, 0
	.section	.AMDGPU.csdata,"",@progbits
; Kernel info:
; codeLenInByte = 0
; TotalNumSgprs: 0
; NumVgprs: 0
; ScratchSize: 0
; MemoryBound: 0
; FloatMode: 240
; IeeeMode: 1
; LDSByteSize: 0 bytes/workgroup (compile time only)
; SGPRBlocks: 0
; VGPRBlocks: 0
; NumSGPRsForWavesPerEU: 1
; NumVGPRsForWavesPerEU: 1
; NamedBarCnt: 0
; Occupancy: 16
; WaveLimiterHint : 0
; COMPUTE_PGM_RSRC2:SCRATCH_EN: 0
; COMPUTE_PGM_RSRC2:USER_SGPR: 2
; COMPUTE_PGM_RSRC2:TRAP_HANDLER: 0
; COMPUTE_PGM_RSRC2:TGID_X_EN: 1
; COMPUTE_PGM_RSRC2:TGID_Y_EN: 0
; COMPUTE_PGM_RSRC2:TGID_Z_EN: 0
; COMPUTE_PGM_RSRC2:TIDIG_COMP_CNT: 0
	.section	.text._ZN7rocprim17ROCPRIM_400000_NS6detail17trampoline_kernelINS0_14default_configENS1_35adjacent_difference_config_selectorILb0ElEEZNS1_24adjacent_difference_implIS3_Lb0ELb0EPlS7_ZN2at6native12_GLOBAL__N_124unique_dim_cuda_templateIbEESt5tupleIJNS8_6TensorESD_SD_EERKSD_lbbbEUlllE1_EE10hipError_tPvRmT2_T3_mT4_P12ihipStream_tbEUlT_E_NS1_11comp_targetILNS1_3genE4ELNS1_11target_archE910ELNS1_3gpuE8ELNS1_3repE0EEENS1_30default_config_static_selectorELNS0_4arch9wavefront6targetE0EEEvT1_,"axG",@progbits,_ZN7rocprim17ROCPRIM_400000_NS6detail17trampoline_kernelINS0_14default_configENS1_35adjacent_difference_config_selectorILb0ElEEZNS1_24adjacent_difference_implIS3_Lb0ELb0EPlS7_ZN2at6native12_GLOBAL__N_124unique_dim_cuda_templateIbEESt5tupleIJNS8_6TensorESD_SD_EERKSD_lbbbEUlllE1_EE10hipError_tPvRmT2_T3_mT4_P12ihipStream_tbEUlT_E_NS1_11comp_targetILNS1_3genE4ELNS1_11target_archE910ELNS1_3gpuE8ELNS1_3repE0EEENS1_30default_config_static_selectorELNS0_4arch9wavefront6targetE0EEEvT1_,comdat
	.globl	_ZN7rocprim17ROCPRIM_400000_NS6detail17trampoline_kernelINS0_14default_configENS1_35adjacent_difference_config_selectorILb0ElEEZNS1_24adjacent_difference_implIS3_Lb0ELb0EPlS7_ZN2at6native12_GLOBAL__N_124unique_dim_cuda_templateIbEESt5tupleIJNS8_6TensorESD_SD_EERKSD_lbbbEUlllE1_EE10hipError_tPvRmT2_T3_mT4_P12ihipStream_tbEUlT_E_NS1_11comp_targetILNS1_3genE4ELNS1_11target_archE910ELNS1_3gpuE8ELNS1_3repE0EEENS1_30default_config_static_selectorELNS0_4arch9wavefront6targetE0EEEvT1_ ; -- Begin function _ZN7rocprim17ROCPRIM_400000_NS6detail17trampoline_kernelINS0_14default_configENS1_35adjacent_difference_config_selectorILb0ElEEZNS1_24adjacent_difference_implIS3_Lb0ELb0EPlS7_ZN2at6native12_GLOBAL__N_124unique_dim_cuda_templateIbEESt5tupleIJNS8_6TensorESD_SD_EERKSD_lbbbEUlllE1_EE10hipError_tPvRmT2_T3_mT4_P12ihipStream_tbEUlT_E_NS1_11comp_targetILNS1_3genE4ELNS1_11target_archE910ELNS1_3gpuE8ELNS1_3repE0EEENS1_30default_config_static_selectorELNS0_4arch9wavefront6targetE0EEEvT1_
	.p2align	8
	.type	_ZN7rocprim17ROCPRIM_400000_NS6detail17trampoline_kernelINS0_14default_configENS1_35adjacent_difference_config_selectorILb0ElEEZNS1_24adjacent_difference_implIS3_Lb0ELb0EPlS7_ZN2at6native12_GLOBAL__N_124unique_dim_cuda_templateIbEESt5tupleIJNS8_6TensorESD_SD_EERKSD_lbbbEUlllE1_EE10hipError_tPvRmT2_T3_mT4_P12ihipStream_tbEUlT_E_NS1_11comp_targetILNS1_3genE4ELNS1_11target_archE910ELNS1_3gpuE8ELNS1_3repE0EEENS1_30default_config_static_selectorELNS0_4arch9wavefront6targetE0EEEvT1_,@function
_ZN7rocprim17ROCPRIM_400000_NS6detail17trampoline_kernelINS0_14default_configENS1_35adjacent_difference_config_selectorILb0ElEEZNS1_24adjacent_difference_implIS3_Lb0ELb0EPlS7_ZN2at6native12_GLOBAL__N_124unique_dim_cuda_templateIbEESt5tupleIJNS8_6TensorESD_SD_EERKSD_lbbbEUlllE1_EE10hipError_tPvRmT2_T3_mT4_P12ihipStream_tbEUlT_E_NS1_11comp_targetILNS1_3genE4ELNS1_11target_archE910ELNS1_3gpuE8ELNS1_3repE0EEENS1_30default_config_static_selectorELNS0_4arch9wavefront6targetE0EEEvT1_: ; @_ZN7rocprim17ROCPRIM_400000_NS6detail17trampoline_kernelINS0_14default_configENS1_35adjacent_difference_config_selectorILb0ElEEZNS1_24adjacent_difference_implIS3_Lb0ELb0EPlS7_ZN2at6native12_GLOBAL__N_124unique_dim_cuda_templateIbEESt5tupleIJNS8_6TensorESD_SD_EERKSD_lbbbEUlllE1_EE10hipError_tPvRmT2_T3_mT4_P12ihipStream_tbEUlT_E_NS1_11comp_targetILNS1_3genE4ELNS1_11target_archE910ELNS1_3gpuE8ELNS1_3repE0EEENS1_30default_config_static_selectorELNS0_4arch9wavefront6targetE0EEEvT1_
; %bb.0:
	.section	.rodata,"a",@progbits
	.p2align	6, 0x0
	.amdhsa_kernel _ZN7rocprim17ROCPRIM_400000_NS6detail17trampoline_kernelINS0_14default_configENS1_35adjacent_difference_config_selectorILb0ElEEZNS1_24adjacent_difference_implIS3_Lb0ELb0EPlS7_ZN2at6native12_GLOBAL__N_124unique_dim_cuda_templateIbEESt5tupleIJNS8_6TensorESD_SD_EERKSD_lbbbEUlllE1_EE10hipError_tPvRmT2_T3_mT4_P12ihipStream_tbEUlT_E_NS1_11comp_targetILNS1_3genE4ELNS1_11target_archE910ELNS1_3gpuE8ELNS1_3repE0EEENS1_30default_config_static_selectorELNS0_4arch9wavefront6targetE0EEEvT1_
		.amdhsa_group_segment_fixed_size 0
		.amdhsa_private_segment_fixed_size 0
		.amdhsa_kernarg_size 64
		.amdhsa_user_sgpr_count 2
		.amdhsa_user_sgpr_dispatch_ptr 0
		.amdhsa_user_sgpr_queue_ptr 0
		.amdhsa_user_sgpr_kernarg_segment_ptr 1
		.amdhsa_user_sgpr_dispatch_id 0
		.amdhsa_user_sgpr_kernarg_preload_length 0
		.amdhsa_user_sgpr_kernarg_preload_offset 0
		.amdhsa_user_sgpr_private_segment_size 0
		.amdhsa_wavefront_size32 1
		.amdhsa_uses_dynamic_stack 0
		.amdhsa_enable_private_segment 0
		.amdhsa_system_sgpr_workgroup_id_x 1
		.amdhsa_system_sgpr_workgroup_id_y 0
		.amdhsa_system_sgpr_workgroup_id_z 0
		.amdhsa_system_sgpr_workgroup_info 0
		.amdhsa_system_vgpr_workitem_id 0
		.amdhsa_next_free_vgpr 1
		.amdhsa_next_free_sgpr 1
		.amdhsa_named_barrier_count 0
		.amdhsa_reserve_vcc 0
		.amdhsa_float_round_mode_32 0
		.amdhsa_float_round_mode_16_64 0
		.amdhsa_float_denorm_mode_32 3
		.amdhsa_float_denorm_mode_16_64 3
		.amdhsa_fp16_overflow 0
		.amdhsa_memory_ordered 1
		.amdhsa_forward_progress 1
		.amdhsa_inst_pref_size 0
		.amdhsa_round_robin_scheduling 0
		.amdhsa_exception_fp_ieee_invalid_op 0
		.amdhsa_exception_fp_denorm_src 0
		.amdhsa_exception_fp_ieee_div_zero 0
		.amdhsa_exception_fp_ieee_overflow 0
		.amdhsa_exception_fp_ieee_underflow 0
		.amdhsa_exception_fp_ieee_inexact 0
		.amdhsa_exception_int_div_zero 0
	.end_amdhsa_kernel
	.section	.text._ZN7rocprim17ROCPRIM_400000_NS6detail17trampoline_kernelINS0_14default_configENS1_35adjacent_difference_config_selectorILb0ElEEZNS1_24adjacent_difference_implIS3_Lb0ELb0EPlS7_ZN2at6native12_GLOBAL__N_124unique_dim_cuda_templateIbEESt5tupleIJNS8_6TensorESD_SD_EERKSD_lbbbEUlllE1_EE10hipError_tPvRmT2_T3_mT4_P12ihipStream_tbEUlT_E_NS1_11comp_targetILNS1_3genE4ELNS1_11target_archE910ELNS1_3gpuE8ELNS1_3repE0EEENS1_30default_config_static_selectorELNS0_4arch9wavefront6targetE0EEEvT1_,"axG",@progbits,_ZN7rocprim17ROCPRIM_400000_NS6detail17trampoline_kernelINS0_14default_configENS1_35adjacent_difference_config_selectorILb0ElEEZNS1_24adjacent_difference_implIS3_Lb0ELb0EPlS7_ZN2at6native12_GLOBAL__N_124unique_dim_cuda_templateIbEESt5tupleIJNS8_6TensorESD_SD_EERKSD_lbbbEUlllE1_EE10hipError_tPvRmT2_T3_mT4_P12ihipStream_tbEUlT_E_NS1_11comp_targetILNS1_3genE4ELNS1_11target_archE910ELNS1_3gpuE8ELNS1_3repE0EEENS1_30default_config_static_selectorELNS0_4arch9wavefront6targetE0EEEvT1_,comdat
.Lfunc_end1029:
	.size	_ZN7rocprim17ROCPRIM_400000_NS6detail17trampoline_kernelINS0_14default_configENS1_35adjacent_difference_config_selectorILb0ElEEZNS1_24adjacent_difference_implIS3_Lb0ELb0EPlS7_ZN2at6native12_GLOBAL__N_124unique_dim_cuda_templateIbEESt5tupleIJNS8_6TensorESD_SD_EERKSD_lbbbEUlllE1_EE10hipError_tPvRmT2_T3_mT4_P12ihipStream_tbEUlT_E_NS1_11comp_targetILNS1_3genE4ELNS1_11target_archE910ELNS1_3gpuE8ELNS1_3repE0EEENS1_30default_config_static_selectorELNS0_4arch9wavefront6targetE0EEEvT1_, .Lfunc_end1029-_ZN7rocprim17ROCPRIM_400000_NS6detail17trampoline_kernelINS0_14default_configENS1_35adjacent_difference_config_selectorILb0ElEEZNS1_24adjacent_difference_implIS3_Lb0ELb0EPlS7_ZN2at6native12_GLOBAL__N_124unique_dim_cuda_templateIbEESt5tupleIJNS8_6TensorESD_SD_EERKSD_lbbbEUlllE1_EE10hipError_tPvRmT2_T3_mT4_P12ihipStream_tbEUlT_E_NS1_11comp_targetILNS1_3genE4ELNS1_11target_archE910ELNS1_3gpuE8ELNS1_3repE0EEENS1_30default_config_static_selectorELNS0_4arch9wavefront6targetE0EEEvT1_
                                        ; -- End function
	.set _ZN7rocprim17ROCPRIM_400000_NS6detail17trampoline_kernelINS0_14default_configENS1_35adjacent_difference_config_selectorILb0ElEEZNS1_24adjacent_difference_implIS3_Lb0ELb0EPlS7_ZN2at6native12_GLOBAL__N_124unique_dim_cuda_templateIbEESt5tupleIJNS8_6TensorESD_SD_EERKSD_lbbbEUlllE1_EE10hipError_tPvRmT2_T3_mT4_P12ihipStream_tbEUlT_E_NS1_11comp_targetILNS1_3genE4ELNS1_11target_archE910ELNS1_3gpuE8ELNS1_3repE0EEENS1_30default_config_static_selectorELNS0_4arch9wavefront6targetE0EEEvT1_.num_vgpr, 0
	.set _ZN7rocprim17ROCPRIM_400000_NS6detail17trampoline_kernelINS0_14default_configENS1_35adjacent_difference_config_selectorILb0ElEEZNS1_24adjacent_difference_implIS3_Lb0ELb0EPlS7_ZN2at6native12_GLOBAL__N_124unique_dim_cuda_templateIbEESt5tupleIJNS8_6TensorESD_SD_EERKSD_lbbbEUlllE1_EE10hipError_tPvRmT2_T3_mT4_P12ihipStream_tbEUlT_E_NS1_11comp_targetILNS1_3genE4ELNS1_11target_archE910ELNS1_3gpuE8ELNS1_3repE0EEENS1_30default_config_static_selectorELNS0_4arch9wavefront6targetE0EEEvT1_.num_agpr, 0
	.set _ZN7rocprim17ROCPRIM_400000_NS6detail17trampoline_kernelINS0_14default_configENS1_35adjacent_difference_config_selectorILb0ElEEZNS1_24adjacent_difference_implIS3_Lb0ELb0EPlS7_ZN2at6native12_GLOBAL__N_124unique_dim_cuda_templateIbEESt5tupleIJNS8_6TensorESD_SD_EERKSD_lbbbEUlllE1_EE10hipError_tPvRmT2_T3_mT4_P12ihipStream_tbEUlT_E_NS1_11comp_targetILNS1_3genE4ELNS1_11target_archE910ELNS1_3gpuE8ELNS1_3repE0EEENS1_30default_config_static_selectorELNS0_4arch9wavefront6targetE0EEEvT1_.numbered_sgpr, 0
	.set _ZN7rocprim17ROCPRIM_400000_NS6detail17trampoline_kernelINS0_14default_configENS1_35adjacent_difference_config_selectorILb0ElEEZNS1_24adjacent_difference_implIS3_Lb0ELb0EPlS7_ZN2at6native12_GLOBAL__N_124unique_dim_cuda_templateIbEESt5tupleIJNS8_6TensorESD_SD_EERKSD_lbbbEUlllE1_EE10hipError_tPvRmT2_T3_mT4_P12ihipStream_tbEUlT_E_NS1_11comp_targetILNS1_3genE4ELNS1_11target_archE910ELNS1_3gpuE8ELNS1_3repE0EEENS1_30default_config_static_selectorELNS0_4arch9wavefront6targetE0EEEvT1_.num_named_barrier, 0
	.set _ZN7rocprim17ROCPRIM_400000_NS6detail17trampoline_kernelINS0_14default_configENS1_35adjacent_difference_config_selectorILb0ElEEZNS1_24adjacent_difference_implIS3_Lb0ELb0EPlS7_ZN2at6native12_GLOBAL__N_124unique_dim_cuda_templateIbEESt5tupleIJNS8_6TensorESD_SD_EERKSD_lbbbEUlllE1_EE10hipError_tPvRmT2_T3_mT4_P12ihipStream_tbEUlT_E_NS1_11comp_targetILNS1_3genE4ELNS1_11target_archE910ELNS1_3gpuE8ELNS1_3repE0EEENS1_30default_config_static_selectorELNS0_4arch9wavefront6targetE0EEEvT1_.private_seg_size, 0
	.set _ZN7rocprim17ROCPRIM_400000_NS6detail17trampoline_kernelINS0_14default_configENS1_35adjacent_difference_config_selectorILb0ElEEZNS1_24adjacent_difference_implIS3_Lb0ELb0EPlS7_ZN2at6native12_GLOBAL__N_124unique_dim_cuda_templateIbEESt5tupleIJNS8_6TensorESD_SD_EERKSD_lbbbEUlllE1_EE10hipError_tPvRmT2_T3_mT4_P12ihipStream_tbEUlT_E_NS1_11comp_targetILNS1_3genE4ELNS1_11target_archE910ELNS1_3gpuE8ELNS1_3repE0EEENS1_30default_config_static_selectorELNS0_4arch9wavefront6targetE0EEEvT1_.uses_vcc, 0
	.set _ZN7rocprim17ROCPRIM_400000_NS6detail17trampoline_kernelINS0_14default_configENS1_35adjacent_difference_config_selectorILb0ElEEZNS1_24adjacent_difference_implIS3_Lb0ELb0EPlS7_ZN2at6native12_GLOBAL__N_124unique_dim_cuda_templateIbEESt5tupleIJNS8_6TensorESD_SD_EERKSD_lbbbEUlllE1_EE10hipError_tPvRmT2_T3_mT4_P12ihipStream_tbEUlT_E_NS1_11comp_targetILNS1_3genE4ELNS1_11target_archE910ELNS1_3gpuE8ELNS1_3repE0EEENS1_30default_config_static_selectorELNS0_4arch9wavefront6targetE0EEEvT1_.uses_flat_scratch, 0
	.set _ZN7rocprim17ROCPRIM_400000_NS6detail17trampoline_kernelINS0_14default_configENS1_35adjacent_difference_config_selectorILb0ElEEZNS1_24adjacent_difference_implIS3_Lb0ELb0EPlS7_ZN2at6native12_GLOBAL__N_124unique_dim_cuda_templateIbEESt5tupleIJNS8_6TensorESD_SD_EERKSD_lbbbEUlllE1_EE10hipError_tPvRmT2_T3_mT4_P12ihipStream_tbEUlT_E_NS1_11comp_targetILNS1_3genE4ELNS1_11target_archE910ELNS1_3gpuE8ELNS1_3repE0EEENS1_30default_config_static_selectorELNS0_4arch9wavefront6targetE0EEEvT1_.has_dyn_sized_stack, 0
	.set _ZN7rocprim17ROCPRIM_400000_NS6detail17trampoline_kernelINS0_14default_configENS1_35adjacent_difference_config_selectorILb0ElEEZNS1_24adjacent_difference_implIS3_Lb0ELb0EPlS7_ZN2at6native12_GLOBAL__N_124unique_dim_cuda_templateIbEESt5tupleIJNS8_6TensorESD_SD_EERKSD_lbbbEUlllE1_EE10hipError_tPvRmT2_T3_mT4_P12ihipStream_tbEUlT_E_NS1_11comp_targetILNS1_3genE4ELNS1_11target_archE910ELNS1_3gpuE8ELNS1_3repE0EEENS1_30default_config_static_selectorELNS0_4arch9wavefront6targetE0EEEvT1_.has_recursion, 0
	.set _ZN7rocprim17ROCPRIM_400000_NS6detail17trampoline_kernelINS0_14default_configENS1_35adjacent_difference_config_selectorILb0ElEEZNS1_24adjacent_difference_implIS3_Lb0ELb0EPlS7_ZN2at6native12_GLOBAL__N_124unique_dim_cuda_templateIbEESt5tupleIJNS8_6TensorESD_SD_EERKSD_lbbbEUlllE1_EE10hipError_tPvRmT2_T3_mT4_P12ihipStream_tbEUlT_E_NS1_11comp_targetILNS1_3genE4ELNS1_11target_archE910ELNS1_3gpuE8ELNS1_3repE0EEENS1_30default_config_static_selectorELNS0_4arch9wavefront6targetE0EEEvT1_.has_indirect_call, 0
	.section	.AMDGPU.csdata,"",@progbits
; Kernel info:
; codeLenInByte = 0
; TotalNumSgprs: 0
; NumVgprs: 0
; ScratchSize: 0
; MemoryBound: 0
; FloatMode: 240
; IeeeMode: 1
; LDSByteSize: 0 bytes/workgroup (compile time only)
; SGPRBlocks: 0
; VGPRBlocks: 0
; NumSGPRsForWavesPerEU: 1
; NumVGPRsForWavesPerEU: 1
; NamedBarCnt: 0
; Occupancy: 16
; WaveLimiterHint : 0
; COMPUTE_PGM_RSRC2:SCRATCH_EN: 0
; COMPUTE_PGM_RSRC2:USER_SGPR: 2
; COMPUTE_PGM_RSRC2:TRAP_HANDLER: 0
; COMPUTE_PGM_RSRC2:TGID_X_EN: 1
; COMPUTE_PGM_RSRC2:TGID_Y_EN: 0
; COMPUTE_PGM_RSRC2:TGID_Z_EN: 0
; COMPUTE_PGM_RSRC2:TIDIG_COMP_CNT: 0
	.section	.text._ZN7rocprim17ROCPRIM_400000_NS6detail17trampoline_kernelINS0_14default_configENS1_35adjacent_difference_config_selectorILb0ElEEZNS1_24adjacent_difference_implIS3_Lb0ELb0EPlS7_ZN2at6native12_GLOBAL__N_124unique_dim_cuda_templateIbEESt5tupleIJNS8_6TensorESD_SD_EERKSD_lbbbEUlllE1_EE10hipError_tPvRmT2_T3_mT4_P12ihipStream_tbEUlT_E_NS1_11comp_targetILNS1_3genE3ELNS1_11target_archE908ELNS1_3gpuE7ELNS1_3repE0EEENS1_30default_config_static_selectorELNS0_4arch9wavefront6targetE0EEEvT1_,"axG",@progbits,_ZN7rocprim17ROCPRIM_400000_NS6detail17trampoline_kernelINS0_14default_configENS1_35adjacent_difference_config_selectorILb0ElEEZNS1_24adjacent_difference_implIS3_Lb0ELb0EPlS7_ZN2at6native12_GLOBAL__N_124unique_dim_cuda_templateIbEESt5tupleIJNS8_6TensorESD_SD_EERKSD_lbbbEUlllE1_EE10hipError_tPvRmT2_T3_mT4_P12ihipStream_tbEUlT_E_NS1_11comp_targetILNS1_3genE3ELNS1_11target_archE908ELNS1_3gpuE7ELNS1_3repE0EEENS1_30default_config_static_selectorELNS0_4arch9wavefront6targetE0EEEvT1_,comdat
	.globl	_ZN7rocprim17ROCPRIM_400000_NS6detail17trampoline_kernelINS0_14default_configENS1_35adjacent_difference_config_selectorILb0ElEEZNS1_24adjacent_difference_implIS3_Lb0ELb0EPlS7_ZN2at6native12_GLOBAL__N_124unique_dim_cuda_templateIbEESt5tupleIJNS8_6TensorESD_SD_EERKSD_lbbbEUlllE1_EE10hipError_tPvRmT2_T3_mT4_P12ihipStream_tbEUlT_E_NS1_11comp_targetILNS1_3genE3ELNS1_11target_archE908ELNS1_3gpuE7ELNS1_3repE0EEENS1_30default_config_static_selectorELNS0_4arch9wavefront6targetE0EEEvT1_ ; -- Begin function _ZN7rocprim17ROCPRIM_400000_NS6detail17trampoline_kernelINS0_14default_configENS1_35adjacent_difference_config_selectorILb0ElEEZNS1_24adjacent_difference_implIS3_Lb0ELb0EPlS7_ZN2at6native12_GLOBAL__N_124unique_dim_cuda_templateIbEESt5tupleIJNS8_6TensorESD_SD_EERKSD_lbbbEUlllE1_EE10hipError_tPvRmT2_T3_mT4_P12ihipStream_tbEUlT_E_NS1_11comp_targetILNS1_3genE3ELNS1_11target_archE908ELNS1_3gpuE7ELNS1_3repE0EEENS1_30default_config_static_selectorELNS0_4arch9wavefront6targetE0EEEvT1_
	.p2align	8
	.type	_ZN7rocprim17ROCPRIM_400000_NS6detail17trampoline_kernelINS0_14default_configENS1_35adjacent_difference_config_selectorILb0ElEEZNS1_24adjacent_difference_implIS3_Lb0ELb0EPlS7_ZN2at6native12_GLOBAL__N_124unique_dim_cuda_templateIbEESt5tupleIJNS8_6TensorESD_SD_EERKSD_lbbbEUlllE1_EE10hipError_tPvRmT2_T3_mT4_P12ihipStream_tbEUlT_E_NS1_11comp_targetILNS1_3genE3ELNS1_11target_archE908ELNS1_3gpuE7ELNS1_3repE0EEENS1_30default_config_static_selectorELNS0_4arch9wavefront6targetE0EEEvT1_,@function
_ZN7rocprim17ROCPRIM_400000_NS6detail17trampoline_kernelINS0_14default_configENS1_35adjacent_difference_config_selectorILb0ElEEZNS1_24adjacent_difference_implIS3_Lb0ELb0EPlS7_ZN2at6native12_GLOBAL__N_124unique_dim_cuda_templateIbEESt5tupleIJNS8_6TensorESD_SD_EERKSD_lbbbEUlllE1_EE10hipError_tPvRmT2_T3_mT4_P12ihipStream_tbEUlT_E_NS1_11comp_targetILNS1_3genE3ELNS1_11target_archE908ELNS1_3gpuE7ELNS1_3repE0EEENS1_30default_config_static_selectorELNS0_4arch9wavefront6targetE0EEEvT1_: ; @_ZN7rocprim17ROCPRIM_400000_NS6detail17trampoline_kernelINS0_14default_configENS1_35adjacent_difference_config_selectorILb0ElEEZNS1_24adjacent_difference_implIS3_Lb0ELb0EPlS7_ZN2at6native12_GLOBAL__N_124unique_dim_cuda_templateIbEESt5tupleIJNS8_6TensorESD_SD_EERKSD_lbbbEUlllE1_EE10hipError_tPvRmT2_T3_mT4_P12ihipStream_tbEUlT_E_NS1_11comp_targetILNS1_3genE3ELNS1_11target_archE908ELNS1_3gpuE7ELNS1_3repE0EEENS1_30default_config_static_selectorELNS0_4arch9wavefront6targetE0EEEvT1_
; %bb.0:
	.section	.rodata,"a",@progbits
	.p2align	6, 0x0
	.amdhsa_kernel _ZN7rocprim17ROCPRIM_400000_NS6detail17trampoline_kernelINS0_14default_configENS1_35adjacent_difference_config_selectorILb0ElEEZNS1_24adjacent_difference_implIS3_Lb0ELb0EPlS7_ZN2at6native12_GLOBAL__N_124unique_dim_cuda_templateIbEESt5tupleIJNS8_6TensorESD_SD_EERKSD_lbbbEUlllE1_EE10hipError_tPvRmT2_T3_mT4_P12ihipStream_tbEUlT_E_NS1_11comp_targetILNS1_3genE3ELNS1_11target_archE908ELNS1_3gpuE7ELNS1_3repE0EEENS1_30default_config_static_selectorELNS0_4arch9wavefront6targetE0EEEvT1_
		.amdhsa_group_segment_fixed_size 0
		.amdhsa_private_segment_fixed_size 0
		.amdhsa_kernarg_size 64
		.amdhsa_user_sgpr_count 2
		.amdhsa_user_sgpr_dispatch_ptr 0
		.amdhsa_user_sgpr_queue_ptr 0
		.amdhsa_user_sgpr_kernarg_segment_ptr 1
		.amdhsa_user_sgpr_dispatch_id 0
		.amdhsa_user_sgpr_kernarg_preload_length 0
		.amdhsa_user_sgpr_kernarg_preload_offset 0
		.amdhsa_user_sgpr_private_segment_size 0
		.amdhsa_wavefront_size32 1
		.amdhsa_uses_dynamic_stack 0
		.amdhsa_enable_private_segment 0
		.amdhsa_system_sgpr_workgroup_id_x 1
		.amdhsa_system_sgpr_workgroup_id_y 0
		.amdhsa_system_sgpr_workgroup_id_z 0
		.amdhsa_system_sgpr_workgroup_info 0
		.amdhsa_system_vgpr_workitem_id 0
		.amdhsa_next_free_vgpr 1
		.amdhsa_next_free_sgpr 1
		.amdhsa_named_barrier_count 0
		.amdhsa_reserve_vcc 0
		.amdhsa_float_round_mode_32 0
		.amdhsa_float_round_mode_16_64 0
		.amdhsa_float_denorm_mode_32 3
		.amdhsa_float_denorm_mode_16_64 3
		.amdhsa_fp16_overflow 0
		.amdhsa_memory_ordered 1
		.amdhsa_forward_progress 1
		.amdhsa_inst_pref_size 0
		.amdhsa_round_robin_scheduling 0
		.amdhsa_exception_fp_ieee_invalid_op 0
		.amdhsa_exception_fp_denorm_src 0
		.amdhsa_exception_fp_ieee_div_zero 0
		.amdhsa_exception_fp_ieee_overflow 0
		.amdhsa_exception_fp_ieee_underflow 0
		.amdhsa_exception_fp_ieee_inexact 0
		.amdhsa_exception_int_div_zero 0
	.end_amdhsa_kernel
	.section	.text._ZN7rocprim17ROCPRIM_400000_NS6detail17trampoline_kernelINS0_14default_configENS1_35adjacent_difference_config_selectorILb0ElEEZNS1_24adjacent_difference_implIS3_Lb0ELb0EPlS7_ZN2at6native12_GLOBAL__N_124unique_dim_cuda_templateIbEESt5tupleIJNS8_6TensorESD_SD_EERKSD_lbbbEUlllE1_EE10hipError_tPvRmT2_T3_mT4_P12ihipStream_tbEUlT_E_NS1_11comp_targetILNS1_3genE3ELNS1_11target_archE908ELNS1_3gpuE7ELNS1_3repE0EEENS1_30default_config_static_selectorELNS0_4arch9wavefront6targetE0EEEvT1_,"axG",@progbits,_ZN7rocprim17ROCPRIM_400000_NS6detail17trampoline_kernelINS0_14default_configENS1_35adjacent_difference_config_selectorILb0ElEEZNS1_24adjacent_difference_implIS3_Lb0ELb0EPlS7_ZN2at6native12_GLOBAL__N_124unique_dim_cuda_templateIbEESt5tupleIJNS8_6TensorESD_SD_EERKSD_lbbbEUlllE1_EE10hipError_tPvRmT2_T3_mT4_P12ihipStream_tbEUlT_E_NS1_11comp_targetILNS1_3genE3ELNS1_11target_archE908ELNS1_3gpuE7ELNS1_3repE0EEENS1_30default_config_static_selectorELNS0_4arch9wavefront6targetE0EEEvT1_,comdat
.Lfunc_end1030:
	.size	_ZN7rocprim17ROCPRIM_400000_NS6detail17trampoline_kernelINS0_14default_configENS1_35adjacent_difference_config_selectorILb0ElEEZNS1_24adjacent_difference_implIS3_Lb0ELb0EPlS7_ZN2at6native12_GLOBAL__N_124unique_dim_cuda_templateIbEESt5tupleIJNS8_6TensorESD_SD_EERKSD_lbbbEUlllE1_EE10hipError_tPvRmT2_T3_mT4_P12ihipStream_tbEUlT_E_NS1_11comp_targetILNS1_3genE3ELNS1_11target_archE908ELNS1_3gpuE7ELNS1_3repE0EEENS1_30default_config_static_selectorELNS0_4arch9wavefront6targetE0EEEvT1_, .Lfunc_end1030-_ZN7rocprim17ROCPRIM_400000_NS6detail17trampoline_kernelINS0_14default_configENS1_35adjacent_difference_config_selectorILb0ElEEZNS1_24adjacent_difference_implIS3_Lb0ELb0EPlS7_ZN2at6native12_GLOBAL__N_124unique_dim_cuda_templateIbEESt5tupleIJNS8_6TensorESD_SD_EERKSD_lbbbEUlllE1_EE10hipError_tPvRmT2_T3_mT4_P12ihipStream_tbEUlT_E_NS1_11comp_targetILNS1_3genE3ELNS1_11target_archE908ELNS1_3gpuE7ELNS1_3repE0EEENS1_30default_config_static_selectorELNS0_4arch9wavefront6targetE0EEEvT1_
                                        ; -- End function
	.set _ZN7rocprim17ROCPRIM_400000_NS6detail17trampoline_kernelINS0_14default_configENS1_35adjacent_difference_config_selectorILb0ElEEZNS1_24adjacent_difference_implIS3_Lb0ELb0EPlS7_ZN2at6native12_GLOBAL__N_124unique_dim_cuda_templateIbEESt5tupleIJNS8_6TensorESD_SD_EERKSD_lbbbEUlllE1_EE10hipError_tPvRmT2_T3_mT4_P12ihipStream_tbEUlT_E_NS1_11comp_targetILNS1_3genE3ELNS1_11target_archE908ELNS1_3gpuE7ELNS1_3repE0EEENS1_30default_config_static_selectorELNS0_4arch9wavefront6targetE0EEEvT1_.num_vgpr, 0
	.set _ZN7rocprim17ROCPRIM_400000_NS6detail17trampoline_kernelINS0_14default_configENS1_35adjacent_difference_config_selectorILb0ElEEZNS1_24adjacent_difference_implIS3_Lb0ELb0EPlS7_ZN2at6native12_GLOBAL__N_124unique_dim_cuda_templateIbEESt5tupleIJNS8_6TensorESD_SD_EERKSD_lbbbEUlllE1_EE10hipError_tPvRmT2_T3_mT4_P12ihipStream_tbEUlT_E_NS1_11comp_targetILNS1_3genE3ELNS1_11target_archE908ELNS1_3gpuE7ELNS1_3repE0EEENS1_30default_config_static_selectorELNS0_4arch9wavefront6targetE0EEEvT1_.num_agpr, 0
	.set _ZN7rocprim17ROCPRIM_400000_NS6detail17trampoline_kernelINS0_14default_configENS1_35adjacent_difference_config_selectorILb0ElEEZNS1_24adjacent_difference_implIS3_Lb0ELb0EPlS7_ZN2at6native12_GLOBAL__N_124unique_dim_cuda_templateIbEESt5tupleIJNS8_6TensorESD_SD_EERKSD_lbbbEUlllE1_EE10hipError_tPvRmT2_T3_mT4_P12ihipStream_tbEUlT_E_NS1_11comp_targetILNS1_3genE3ELNS1_11target_archE908ELNS1_3gpuE7ELNS1_3repE0EEENS1_30default_config_static_selectorELNS0_4arch9wavefront6targetE0EEEvT1_.numbered_sgpr, 0
	.set _ZN7rocprim17ROCPRIM_400000_NS6detail17trampoline_kernelINS0_14default_configENS1_35adjacent_difference_config_selectorILb0ElEEZNS1_24adjacent_difference_implIS3_Lb0ELb0EPlS7_ZN2at6native12_GLOBAL__N_124unique_dim_cuda_templateIbEESt5tupleIJNS8_6TensorESD_SD_EERKSD_lbbbEUlllE1_EE10hipError_tPvRmT2_T3_mT4_P12ihipStream_tbEUlT_E_NS1_11comp_targetILNS1_3genE3ELNS1_11target_archE908ELNS1_3gpuE7ELNS1_3repE0EEENS1_30default_config_static_selectorELNS0_4arch9wavefront6targetE0EEEvT1_.num_named_barrier, 0
	.set _ZN7rocprim17ROCPRIM_400000_NS6detail17trampoline_kernelINS0_14default_configENS1_35adjacent_difference_config_selectorILb0ElEEZNS1_24adjacent_difference_implIS3_Lb0ELb0EPlS7_ZN2at6native12_GLOBAL__N_124unique_dim_cuda_templateIbEESt5tupleIJNS8_6TensorESD_SD_EERKSD_lbbbEUlllE1_EE10hipError_tPvRmT2_T3_mT4_P12ihipStream_tbEUlT_E_NS1_11comp_targetILNS1_3genE3ELNS1_11target_archE908ELNS1_3gpuE7ELNS1_3repE0EEENS1_30default_config_static_selectorELNS0_4arch9wavefront6targetE0EEEvT1_.private_seg_size, 0
	.set _ZN7rocprim17ROCPRIM_400000_NS6detail17trampoline_kernelINS0_14default_configENS1_35adjacent_difference_config_selectorILb0ElEEZNS1_24adjacent_difference_implIS3_Lb0ELb0EPlS7_ZN2at6native12_GLOBAL__N_124unique_dim_cuda_templateIbEESt5tupleIJNS8_6TensorESD_SD_EERKSD_lbbbEUlllE1_EE10hipError_tPvRmT2_T3_mT4_P12ihipStream_tbEUlT_E_NS1_11comp_targetILNS1_3genE3ELNS1_11target_archE908ELNS1_3gpuE7ELNS1_3repE0EEENS1_30default_config_static_selectorELNS0_4arch9wavefront6targetE0EEEvT1_.uses_vcc, 0
	.set _ZN7rocprim17ROCPRIM_400000_NS6detail17trampoline_kernelINS0_14default_configENS1_35adjacent_difference_config_selectorILb0ElEEZNS1_24adjacent_difference_implIS3_Lb0ELb0EPlS7_ZN2at6native12_GLOBAL__N_124unique_dim_cuda_templateIbEESt5tupleIJNS8_6TensorESD_SD_EERKSD_lbbbEUlllE1_EE10hipError_tPvRmT2_T3_mT4_P12ihipStream_tbEUlT_E_NS1_11comp_targetILNS1_3genE3ELNS1_11target_archE908ELNS1_3gpuE7ELNS1_3repE0EEENS1_30default_config_static_selectorELNS0_4arch9wavefront6targetE0EEEvT1_.uses_flat_scratch, 0
	.set _ZN7rocprim17ROCPRIM_400000_NS6detail17trampoline_kernelINS0_14default_configENS1_35adjacent_difference_config_selectorILb0ElEEZNS1_24adjacent_difference_implIS3_Lb0ELb0EPlS7_ZN2at6native12_GLOBAL__N_124unique_dim_cuda_templateIbEESt5tupleIJNS8_6TensorESD_SD_EERKSD_lbbbEUlllE1_EE10hipError_tPvRmT2_T3_mT4_P12ihipStream_tbEUlT_E_NS1_11comp_targetILNS1_3genE3ELNS1_11target_archE908ELNS1_3gpuE7ELNS1_3repE0EEENS1_30default_config_static_selectorELNS0_4arch9wavefront6targetE0EEEvT1_.has_dyn_sized_stack, 0
	.set _ZN7rocprim17ROCPRIM_400000_NS6detail17trampoline_kernelINS0_14default_configENS1_35adjacent_difference_config_selectorILb0ElEEZNS1_24adjacent_difference_implIS3_Lb0ELb0EPlS7_ZN2at6native12_GLOBAL__N_124unique_dim_cuda_templateIbEESt5tupleIJNS8_6TensorESD_SD_EERKSD_lbbbEUlllE1_EE10hipError_tPvRmT2_T3_mT4_P12ihipStream_tbEUlT_E_NS1_11comp_targetILNS1_3genE3ELNS1_11target_archE908ELNS1_3gpuE7ELNS1_3repE0EEENS1_30default_config_static_selectorELNS0_4arch9wavefront6targetE0EEEvT1_.has_recursion, 0
	.set _ZN7rocprim17ROCPRIM_400000_NS6detail17trampoline_kernelINS0_14default_configENS1_35adjacent_difference_config_selectorILb0ElEEZNS1_24adjacent_difference_implIS3_Lb0ELb0EPlS7_ZN2at6native12_GLOBAL__N_124unique_dim_cuda_templateIbEESt5tupleIJNS8_6TensorESD_SD_EERKSD_lbbbEUlllE1_EE10hipError_tPvRmT2_T3_mT4_P12ihipStream_tbEUlT_E_NS1_11comp_targetILNS1_3genE3ELNS1_11target_archE908ELNS1_3gpuE7ELNS1_3repE0EEENS1_30default_config_static_selectorELNS0_4arch9wavefront6targetE0EEEvT1_.has_indirect_call, 0
	.section	.AMDGPU.csdata,"",@progbits
; Kernel info:
; codeLenInByte = 0
; TotalNumSgprs: 0
; NumVgprs: 0
; ScratchSize: 0
; MemoryBound: 0
; FloatMode: 240
; IeeeMode: 1
; LDSByteSize: 0 bytes/workgroup (compile time only)
; SGPRBlocks: 0
; VGPRBlocks: 0
; NumSGPRsForWavesPerEU: 1
; NumVGPRsForWavesPerEU: 1
; NamedBarCnt: 0
; Occupancy: 16
; WaveLimiterHint : 0
; COMPUTE_PGM_RSRC2:SCRATCH_EN: 0
; COMPUTE_PGM_RSRC2:USER_SGPR: 2
; COMPUTE_PGM_RSRC2:TRAP_HANDLER: 0
; COMPUTE_PGM_RSRC2:TGID_X_EN: 1
; COMPUTE_PGM_RSRC2:TGID_Y_EN: 0
; COMPUTE_PGM_RSRC2:TGID_Z_EN: 0
; COMPUTE_PGM_RSRC2:TIDIG_COMP_CNT: 0
	.section	.text._ZN7rocprim17ROCPRIM_400000_NS6detail17trampoline_kernelINS0_14default_configENS1_35adjacent_difference_config_selectorILb0ElEEZNS1_24adjacent_difference_implIS3_Lb0ELb0EPlS7_ZN2at6native12_GLOBAL__N_124unique_dim_cuda_templateIbEESt5tupleIJNS8_6TensorESD_SD_EERKSD_lbbbEUlllE1_EE10hipError_tPvRmT2_T3_mT4_P12ihipStream_tbEUlT_E_NS1_11comp_targetILNS1_3genE2ELNS1_11target_archE906ELNS1_3gpuE6ELNS1_3repE0EEENS1_30default_config_static_selectorELNS0_4arch9wavefront6targetE0EEEvT1_,"axG",@progbits,_ZN7rocprim17ROCPRIM_400000_NS6detail17trampoline_kernelINS0_14default_configENS1_35adjacent_difference_config_selectorILb0ElEEZNS1_24adjacent_difference_implIS3_Lb0ELb0EPlS7_ZN2at6native12_GLOBAL__N_124unique_dim_cuda_templateIbEESt5tupleIJNS8_6TensorESD_SD_EERKSD_lbbbEUlllE1_EE10hipError_tPvRmT2_T3_mT4_P12ihipStream_tbEUlT_E_NS1_11comp_targetILNS1_3genE2ELNS1_11target_archE906ELNS1_3gpuE6ELNS1_3repE0EEENS1_30default_config_static_selectorELNS0_4arch9wavefront6targetE0EEEvT1_,comdat
	.globl	_ZN7rocprim17ROCPRIM_400000_NS6detail17trampoline_kernelINS0_14default_configENS1_35adjacent_difference_config_selectorILb0ElEEZNS1_24adjacent_difference_implIS3_Lb0ELb0EPlS7_ZN2at6native12_GLOBAL__N_124unique_dim_cuda_templateIbEESt5tupleIJNS8_6TensorESD_SD_EERKSD_lbbbEUlllE1_EE10hipError_tPvRmT2_T3_mT4_P12ihipStream_tbEUlT_E_NS1_11comp_targetILNS1_3genE2ELNS1_11target_archE906ELNS1_3gpuE6ELNS1_3repE0EEENS1_30default_config_static_selectorELNS0_4arch9wavefront6targetE0EEEvT1_ ; -- Begin function _ZN7rocprim17ROCPRIM_400000_NS6detail17trampoline_kernelINS0_14default_configENS1_35adjacent_difference_config_selectorILb0ElEEZNS1_24adjacent_difference_implIS3_Lb0ELb0EPlS7_ZN2at6native12_GLOBAL__N_124unique_dim_cuda_templateIbEESt5tupleIJNS8_6TensorESD_SD_EERKSD_lbbbEUlllE1_EE10hipError_tPvRmT2_T3_mT4_P12ihipStream_tbEUlT_E_NS1_11comp_targetILNS1_3genE2ELNS1_11target_archE906ELNS1_3gpuE6ELNS1_3repE0EEENS1_30default_config_static_selectorELNS0_4arch9wavefront6targetE0EEEvT1_
	.p2align	8
	.type	_ZN7rocprim17ROCPRIM_400000_NS6detail17trampoline_kernelINS0_14default_configENS1_35adjacent_difference_config_selectorILb0ElEEZNS1_24adjacent_difference_implIS3_Lb0ELb0EPlS7_ZN2at6native12_GLOBAL__N_124unique_dim_cuda_templateIbEESt5tupleIJNS8_6TensorESD_SD_EERKSD_lbbbEUlllE1_EE10hipError_tPvRmT2_T3_mT4_P12ihipStream_tbEUlT_E_NS1_11comp_targetILNS1_3genE2ELNS1_11target_archE906ELNS1_3gpuE6ELNS1_3repE0EEENS1_30default_config_static_selectorELNS0_4arch9wavefront6targetE0EEEvT1_,@function
_ZN7rocprim17ROCPRIM_400000_NS6detail17trampoline_kernelINS0_14default_configENS1_35adjacent_difference_config_selectorILb0ElEEZNS1_24adjacent_difference_implIS3_Lb0ELb0EPlS7_ZN2at6native12_GLOBAL__N_124unique_dim_cuda_templateIbEESt5tupleIJNS8_6TensorESD_SD_EERKSD_lbbbEUlllE1_EE10hipError_tPvRmT2_T3_mT4_P12ihipStream_tbEUlT_E_NS1_11comp_targetILNS1_3genE2ELNS1_11target_archE906ELNS1_3gpuE6ELNS1_3repE0EEENS1_30default_config_static_selectorELNS0_4arch9wavefront6targetE0EEEvT1_: ; @_ZN7rocprim17ROCPRIM_400000_NS6detail17trampoline_kernelINS0_14default_configENS1_35adjacent_difference_config_selectorILb0ElEEZNS1_24adjacent_difference_implIS3_Lb0ELb0EPlS7_ZN2at6native12_GLOBAL__N_124unique_dim_cuda_templateIbEESt5tupleIJNS8_6TensorESD_SD_EERKSD_lbbbEUlllE1_EE10hipError_tPvRmT2_T3_mT4_P12ihipStream_tbEUlT_E_NS1_11comp_targetILNS1_3genE2ELNS1_11target_archE906ELNS1_3gpuE6ELNS1_3repE0EEENS1_30default_config_static_selectorELNS0_4arch9wavefront6targetE0EEEvT1_
; %bb.0:
	.section	.rodata,"a",@progbits
	.p2align	6, 0x0
	.amdhsa_kernel _ZN7rocprim17ROCPRIM_400000_NS6detail17trampoline_kernelINS0_14default_configENS1_35adjacent_difference_config_selectorILb0ElEEZNS1_24adjacent_difference_implIS3_Lb0ELb0EPlS7_ZN2at6native12_GLOBAL__N_124unique_dim_cuda_templateIbEESt5tupleIJNS8_6TensorESD_SD_EERKSD_lbbbEUlllE1_EE10hipError_tPvRmT2_T3_mT4_P12ihipStream_tbEUlT_E_NS1_11comp_targetILNS1_3genE2ELNS1_11target_archE906ELNS1_3gpuE6ELNS1_3repE0EEENS1_30default_config_static_selectorELNS0_4arch9wavefront6targetE0EEEvT1_
		.amdhsa_group_segment_fixed_size 0
		.amdhsa_private_segment_fixed_size 0
		.amdhsa_kernarg_size 64
		.amdhsa_user_sgpr_count 2
		.amdhsa_user_sgpr_dispatch_ptr 0
		.amdhsa_user_sgpr_queue_ptr 0
		.amdhsa_user_sgpr_kernarg_segment_ptr 1
		.amdhsa_user_sgpr_dispatch_id 0
		.amdhsa_user_sgpr_kernarg_preload_length 0
		.amdhsa_user_sgpr_kernarg_preload_offset 0
		.amdhsa_user_sgpr_private_segment_size 0
		.amdhsa_wavefront_size32 1
		.amdhsa_uses_dynamic_stack 0
		.amdhsa_enable_private_segment 0
		.amdhsa_system_sgpr_workgroup_id_x 1
		.amdhsa_system_sgpr_workgroup_id_y 0
		.amdhsa_system_sgpr_workgroup_id_z 0
		.amdhsa_system_sgpr_workgroup_info 0
		.amdhsa_system_vgpr_workitem_id 0
		.amdhsa_next_free_vgpr 1
		.amdhsa_next_free_sgpr 1
		.amdhsa_named_barrier_count 0
		.amdhsa_reserve_vcc 0
		.amdhsa_float_round_mode_32 0
		.amdhsa_float_round_mode_16_64 0
		.amdhsa_float_denorm_mode_32 3
		.amdhsa_float_denorm_mode_16_64 3
		.amdhsa_fp16_overflow 0
		.amdhsa_memory_ordered 1
		.amdhsa_forward_progress 1
		.amdhsa_inst_pref_size 0
		.amdhsa_round_robin_scheduling 0
		.amdhsa_exception_fp_ieee_invalid_op 0
		.amdhsa_exception_fp_denorm_src 0
		.amdhsa_exception_fp_ieee_div_zero 0
		.amdhsa_exception_fp_ieee_overflow 0
		.amdhsa_exception_fp_ieee_underflow 0
		.amdhsa_exception_fp_ieee_inexact 0
		.amdhsa_exception_int_div_zero 0
	.end_amdhsa_kernel
	.section	.text._ZN7rocprim17ROCPRIM_400000_NS6detail17trampoline_kernelINS0_14default_configENS1_35adjacent_difference_config_selectorILb0ElEEZNS1_24adjacent_difference_implIS3_Lb0ELb0EPlS7_ZN2at6native12_GLOBAL__N_124unique_dim_cuda_templateIbEESt5tupleIJNS8_6TensorESD_SD_EERKSD_lbbbEUlllE1_EE10hipError_tPvRmT2_T3_mT4_P12ihipStream_tbEUlT_E_NS1_11comp_targetILNS1_3genE2ELNS1_11target_archE906ELNS1_3gpuE6ELNS1_3repE0EEENS1_30default_config_static_selectorELNS0_4arch9wavefront6targetE0EEEvT1_,"axG",@progbits,_ZN7rocprim17ROCPRIM_400000_NS6detail17trampoline_kernelINS0_14default_configENS1_35adjacent_difference_config_selectorILb0ElEEZNS1_24adjacent_difference_implIS3_Lb0ELb0EPlS7_ZN2at6native12_GLOBAL__N_124unique_dim_cuda_templateIbEESt5tupleIJNS8_6TensorESD_SD_EERKSD_lbbbEUlllE1_EE10hipError_tPvRmT2_T3_mT4_P12ihipStream_tbEUlT_E_NS1_11comp_targetILNS1_3genE2ELNS1_11target_archE906ELNS1_3gpuE6ELNS1_3repE0EEENS1_30default_config_static_selectorELNS0_4arch9wavefront6targetE0EEEvT1_,comdat
.Lfunc_end1031:
	.size	_ZN7rocprim17ROCPRIM_400000_NS6detail17trampoline_kernelINS0_14default_configENS1_35adjacent_difference_config_selectorILb0ElEEZNS1_24adjacent_difference_implIS3_Lb0ELb0EPlS7_ZN2at6native12_GLOBAL__N_124unique_dim_cuda_templateIbEESt5tupleIJNS8_6TensorESD_SD_EERKSD_lbbbEUlllE1_EE10hipError_tPvRmT2_T3_mT4_P12ihipStream_tbEUlT_E_NS1_11comp_targetILNS1_3genE2ELNS1_11target_archE906ELNS1_3gpuE6ELNS1_3repE0EEENS1_30default_config_static_selectorELNS0_4arch9wavefront6targetE0EEEvT1_, .Lfunc_end1031-_ZN7rocprim17ROCPRIM_400000_NS6detail17trampoline_kernelINS0_14default_configENS1_35adjacent_difference_config_selectorILb0ElEEZNS1_24adjacent_difference_implIS3_Lb0ELb0EPlS7_ZN2at6native12_GLOBAL__N_124unique_dim_cuda_templateIbEESt5tupleIJNS8_6TensorESD_SD_EERKSD_lbbbEUlllE1_EE10hipError_tPvRmT2_T3_mT4_P12ihipStream_tbEUlT_E_NS1_11comp_targetILNS1_3genE2ELNS1_11target_archE906ELNS1_3gpuE6ELNS1_3repE0EEENS1_30default_config_static_selectorELNS0_4arch9wavefront6targetE0EEEvT1_
                                        ; -- End function
	.set _ZN7rocprim17ROCPRIM_400000_NS6detail17trampoline_kernelINS0_14default_configENS1_35adjacent_difference_config_selectorILb0ElEEZNS1_24adjacent_difference_implIS3_Lb0ELb0EPlS7_ZN2at6native12_GLOBAL__N_124unique_dim_cuda_templateIbEESt5tupleIJNS8_6TensorESD_SD_EERKSD_lbbbEUlllE1_EE10hipError_tPvRmT2_T3_mT4_P12ihipStream_tbEUlT_E_NS1_11comp_targetILNS1_3genE2ELNS1_11target_archE906ELNS1_3gpuE6ELNS1_3repE0EEENS1_30default_config_static_selectorELNS0_4arch9wavefront6targetE0EEEvT1_.num_vgpr, 0
	.set _ZN7rocprim17ROCPRIM_400000_NS6detail17trampoline_kernelINS0_14default_configENS1_35adjacent_difference_config_selectorILb0ElEEZNS1_24adjacent_difference_implIS3_Lb0ELb0EPlS7_ZN2at6native12_GLOBAL__N_124unique_dim_cuda_templateIbEESt5tupleIJNS8_6TensorESD_SD_EERKSD_lbbbEUlllE1_EE10hipError_tPvRmT2_T3_mT4_P12ihipStream_tbEUlT_E_NS1_11comp_targetILNS1_3genE2ELNS1_11target_archE906ELNS1_3gpuE6ELNS1_3repE0EEENS1_30default_config_static_selectorELNS0_4arch9wavefront6targetE0EEEvT1_.num_agpr, 0
	.set _ZN7rocprim17ROCPRIM_400000_NS6detail17trampoline_kernelINS0_14default_configENS1_35adjacent_difference_config_selectorILb0ElEEZNS1_24adjacent_difference_implIS3_Lb0ELb0EPlS7_ZN2at6native12_GLOBAL__N_124unique_dim_cuda_templateIbEESt5tupleIJNS8_6TensorESD_SD_EERKSD_lbbbEUlllE1_EE10hipError_tPvRmT2_T3_mT4_P12ihipStream_tbEUlT_E_NS1_11comp_targetILNS1_3genE2ELNS1_11target_archE906ELNS1_3gpuE6ELNS1_3repE0EEENS1_30default_config_static_selectorELNS0_4arch9wavefront6targetE0EEEvT1_.numbered_sgpr, 0
	.set _ZN7rocprim17ROCPRIM_400000_NS6detail17trampoline_kernelINS0_14default_configENS1_35adjacent_difference_config_selectorILb0ElEEZNS1_24adjacent_difference_implIS3_Lb0ELb0EPlS7_ZN2at6native12_GLOBAL__N_124unique_dim_cuda_templateIbEESt5tupleIJNS8_6TensorESD_SD_EERKSD_lbbbEUlllE1_EE10hipError_tPvRmT2_T3_mT4_P12ihipStream_tbEUlT_E_NS1_11comp_targetILNS1_3genE2ELNS1_11target_archE906ELNS1_3gpuE6ELNS1_3repE0EEENS1_30default_config_static_selectorELNS0_4arch9wavefront6targetE0EEEvT1_.num_named_barrier, 0
	.set _ZN7rocprim17ROCPRIM_400000_NS6detail17trampoline_kernelINS0_14default_configENS1_35adjacent_difference_config_selectorILb0ElEEZNS1_24adjacent_difference_implIS3_Lb0ELb0EPlS7_ZN2at6native12_GLOBAL__N_124unique_dim_cuda_templateIbEESt5tupleIJNS8_6TensorESD_SD_EERKSD_lbbbEUlllE1_EE10hipError_tPvRmT2_T3_mT4_P12ihipStream_tbEUlT_E_NS1_11comp_targetILNS1_3genE2ELNS1_11target_archE906ELNS1_3gpuE6ELNS1_3repE0EEENS1_30default_config_static_selectorELNS0_4arch9wavefront6targetE0EEEvT1_.private_seg_size, 0
	.set _ZN7rocprim17ROCPRIM_400000_NS6detail17trampoline_kernelINS0_14default_configENS1_35adjacent_difference_config_selectorILb0ElEEZNS1_24adjacent_difference_implIS3_Lb0ELb0EPlS7_ZN2at6native12_GLOBAL__N_124unique_dim_cuda_templateIbEESt5tupleIJNS8_6TensorESD_SD_EERKSD_lbbbEUlllE1_EE10hipError_tPvRmT2_T3_mT4_P12ihipStream_tbEUlT_E_NS1_11comp_targetILNS1_3genE2ELNS1_11target_archE906ELNS1_3gpuE6ELNS1_3repE0EEENS1_30default_config_static_selectorELNS0_4arch9wavefront6targetE0EEEvT1_.uses_vcc, 0
	.set _ZN7rocprim17ROCPRIM_400000_NS6detail17trampoline_kernelINS0_14default_configENS1_35adjacent_difference_config_selectorILb0ElEEZNS1_24adjacent_difference_implIS3_Lb0ELb0EPlS7_ZN2at6native12_GLOBAL__N_124unique_dim_cuda_templateIbEESt5tupleIJNS8_6TensorESD_SD_EERKSD_lbbbEUlllE1_EE10hipError_tPvRmT2_T3_mT4_P12ihipStream_tbEUlT_E_NS1_11comp_targetILNS1_3genE2ELNS1_11target_archE906ELNS1_3gpuE6ELNS1_3repE0EEENS1_30default_config_static_selectorELNS0_4arch9wavefront6targetE0EEEvT1_.uses_flat_scratch, 0
	.set _ZN7rocprim17ROCPRIM_400000_NS6detail17trampoline_kernelINS0_14default_configENS1_35adjacent_difference_config_selectorILb0ElEEZNS1_24adjacent_difference_implIS3_Lb0ELb0EPlS7_ZN2at6native12_GLOBAL__N_124unique_dim_cuda_templateIbEESt5tupleIJNS8_6TensorESD_SD_EERKSD_lbbbEUlllE1_EE10hipError_tPvRmT2_T3_mT4_P12ihipStream_tbEUlT_E_NS1_11comp_targetILNS1_3genE2ELNS1_11target_archE906ELNS1_3gpuE6ELNS1_3repE0EEENS1_30default_config_static_selectorELNS0_4arch9wavefront6targetE0EEEvT1_.has_dyn_sized_stack, 0
	.set _ZN7rocprim17ROCPRIM_400000_NS6detail17trampoline_kernelINS0_14default_configENS1_35adjacent_difference_config_selectorILb0ElEEZNS1_24adjacent_difference_implIS3_Lb0ELb0EPlS7_ZN2at6native12_GLOBAL__N_124unique_dim_cuda_templateIbEESt5tupleIJNS8_6TensorESD_SD_EERKSD_lbbbEUlllE1_EE10hipError_tPvRmT2_T3_mT4_P12ihipStream_tbEUlT_E_NS1_11comp_targetILNS1_3genE2ELNS1_11target_archE906ELNS1_3gpuE6ELNS1_3repE0EEENS1_30default_config_static_selectorELNS0_4arch9wavefront6targetE0EEEvT1_.has_recursion, 0
	.set _ZN7rocprim17ROCPRIM_400000_NS6detail17trampoline_kernelINS0_14default_configENS1_35adjacent_difference_config_selectorILb0ElEEZNS1_24adjacent_difference_implIS3_Lb0ELb0EPlS7_ZN2at6native12_GLOBAL__N_124unique_dim_cuda_templateIbEESt5tupleIJNS8_6TensorESD_SD_EERKSD_lbbbEUlllE1_EE10hipError_tPvRmT2_T3_mT4_P12ihipStream_tbEUlT_E_NS1_11comp_targetILNS1_3genE2ELNS1_11target_archE906ELNS1_3gpuE6ELNS1_3repE0EEENS1_30default_config_static_selectorELNS0_4arch9wavefront6targetE0EEEvT1_.has_indirect_call, 0
	.section	.AMDGPU.csdata,"",@progbits
; Kernel info:
; codeLenInByte = 0
; TotalNumSgprs: 0
; NumVgprs: 0
; ScratchSize: 0
; MemoryBound: 0
; FloatMode: 240
; IeeeMode: 1
; LDSByteSize: 0 bytes/workgroup (compile time only)
; SGPRBlocks: 0
; VGPRBlocks: 0
; NumSGPRsForWavesPerEU: 1
; NumVGPRsForWavesPerEU: 1
; NamedBarCnt: 0
; Occupancy: 16
; WaveLimiterHint : 0
; COMPUTE_PGM_RSRC2:SCRATCH_EN: 0
; COMPUTE_PGM_RSRC2:USER_SGPR: 2
; COMPUTE_PGM_RSRC2:TRAP_HANDLER: 0
; COMPUTE_PGM_RSRC2:TGID_X_EN: 1
; COMPUTE_PGM_RSRC2:TGID_Y_EN: 0
; COMPUTE_PGM_RSRC2:TGID_Z_EN: 0
; COMPUTE_PGM_RSRC2:TIDIG_COMP_CNT: 0
	.section	.text._ZN7rocprim17ROCPRIM_400000_NS6detail17trampoline_kernelINS0_14default_configENS1_35adjacent_difference_config_selectorILb0ElEEZNS1_24adjacent_difference_implIS3_Lb0ELb0EPlS7_ZN2at6native12_GLOBAL__N_124unique_dim_cuda_templateIbEESt5tupleIJNS8_6TensorESD_SD_EERKSD_lbbbEUlllE1_EE10hipError_tPvRmT2_T3_mT4_P12ihipStream_tbEUlT_E_NS1_11comp_targetILNS1_3genE9ELNS1_11target_archE1100ELNS1_3gpuE3ELNS1_3repE0EEENS1_30default_config_static_selectorELNS0_4arch9wavefront6targetE0EEEvT1_,"axG",@progbits,_ZN7rocprim17ROCPRIM_400000_NS6detail17trampoline_kernelINS0_14default_configENS1_35adjacent_difference_config_selectorILb0ElEEZNS1_24adjacent_difference_implIS3_Lb0ELb0EPlS7_ZN2at6native12_GLOBAL__N_124unique_dim_cuda_templateIbEESt5tupleIJNS8_6TensorESD_SD_EERKSD_lbbbEUlllE1_EE10hipError_tPvRmT2_T3_mT4_P12ihipStream_tbEUlT_E_NS1_11comp_targetILNS1_3genE9ELNS1_11target_archE1100ELNS1_3gpuE3ELNS1_3repE0EEENS1_30default_config_static_selectorELNS0_4arch9wavefront6targetE0EEEvT1_,comdat
	.globl	_ZN7rocprim17ROCPRIM_400000_NS6detail17trampoline_kernelINS0_14default_configENS1_35adjacent_difference_config_selectorILb0ElEEZNS1_24adjacent_difference_implIS3_Lb0ELb0EPlS7_ZN2at6native12_GLOBAL__N_124unique_dim_cuda_templateIbEESt5tupleIJNS8_6TensorESD_SD_EERKSD_lbbbEUlllE1_EE10hipError_tPvRmT2_T3_mT4_P12ihipStream_tbEUlT_E_NS1_11comp_targetILNS1_3genE9ELNS1_11target_archE1100ELNS1_3gpuE3ELNS1_3repE0EEENS1_30default_config_static_selectorELNS0_4arch9wavefront6targetE0EEEvT1_ ; -- Begin function _ZN7rocprim17ROCPRIM_400000_NS6detail17trampoline_kernelINS0_14default_configENS1_35adjacent_difference_config_selectorILb0ElEEZNS1_24adjacent_difference_implIS3_Lb0ELb0EPlS7_ZN2at6native12_GLOBAL__N_124unique_dim_cuda_templateIbEESt5tupleIJNS8_6TensorESD_SD_EERKSD_lbbbEUlllE1_EE10hipError_tPvRmT2_T3_mT4_P12ihipStream_tbEUlT_E_NS1_11comp_targetILNS1_3genE9ELNS1_11target_archE1100ELNS1_3gpuE3ELNS1_3repE0EEENS1_30default_config_static_selectorELNS0_4arch9wavefront6targetE0EEEvT1_
	.p2align	8
	.type	_ZN7rocprim17ROCPRIM_400000_NS6detail17trampoline_kernelINS0_14default_configENS1_35adjacent_difference_config_selectorILb0ElEEZNS1_24adjacent_difference_implIS3_Lb0ELb0EPlS7_ZN2at6native12_GLOBAL__N_124unique_dim_cuda_templateIbEESt5tupleIJNS8_6TensorESD_SD_EERKSD_lbbbEUlllE1_EE10hipError_tPvRmT2_T3_mT4_P12ihipStream_tbEUlT_E_NS1_11comp_targetILNS1_3genE9ELNS1_11target_archE1100ELNS1_3gpuE3ELNS1_3repE0EEENS1_30default_config_static_selectorELNS0_4arch9wavefront6targetE0EEEvT1_,@function
_ZN7rocprim17ROCPRIM_400000_NS6detail17trampoline_kernelINS0_14default_configENS1_35adjacent_difference_config_selectorILb0ElEEZNS1_24adjacent_difference_implIS3_Lb0ELb0EPlS7_ZN2at6native12_GLOBAL__N_124unique_dim_cuda_templateIbEESt5tupleIJNS8_6TensorESD_SD_EERKSD_lbbbEUlllE1_EE10hipError_tPvRmT2_T3_mT4_P12ihipStream_tbEUlT_E_NS1_11comp_targetILNS1_3genE9ELNS1_11target_archE1100ELNS1_3gpuE3ELNS1_3repE0EEENS1_30default_config_static_selectorELNS0_4arch9wavefront6targetE0EEEvT1_: ; @_ZN7rocprim17ROCPRIM_400000_NS6detail17trampoline_kernelINS0_14default_configENS1_35adjacent_difference_config_selectorILb0ElEEZNS1_24adjacent_difference_implIS3_Lb0ELb0EPlS7_ZN2at6native12_GLOBAL__N_124unique_dim_cuda_templateIbEESt5tupleIJNS8_6TensorESD_SD_EERKSD_lbbbEUlllE1_EE10hipError_tPvRmT2_T3_mT4_P12ihipStream_tbEUlT_E_NS1_11comp_targetILNS1_3genE9ELNS1_11target_archE1100ELNS1_3gpuE3ELNS1_3repE0EEENS1_30default_config_static_selectorELNS0_4arch9wavefront6targetE0EEEvT1_
; %bb.0:
	.section	.rodata,"a",@progbits
	.p2align	6, 0x0
	.amdhsa_kernel _ZN7rocprim17ROCPRIM_400000_NS6detail17trampoline_kernelINS0_14default_configENS1_35adjacent_difference_config_selectorILb0ElEEZNS1_24adjacent_difference_implIS3_Lb0ELb0EPlS7_ZN2at6native12_GLOBAL__N_124unique_dim_cuda_templateIbEESt5tupleIJNS8_6TensorESD_SD_EERKSD_lbbbEUlllE1_EE10hipError_tPvRmT2_T3_mT4_P12ihipStream_tbEUlT_E_NS1_11comp_targetILNS1_3genE9ELNS1_11target_archE1100ELNS1_3gpuE3ELNS1_3repE0EEENS1_30default_config_static_selectorELNS0_4arch9wavefront6targetE0EEEvT1_
		.amdhsa_group_segment_fixed_size 0
		.amdhsa_private_segment_fixed_size 0
		.amdhsa_kernarg_size 64
		.amdhsa_user_sgpr_count 2
		.amdhsa_user_sgpr_dispatch_ptr 0
		.amdhsa_user_sgpr_queue_ptr 0
		.amdhsa_user_sgpr_kernarg_segment_ptr 1
		.amdhsa_user_sgpr_dispatch_id 0
		.amdhsa_user_sgpr_kernarg_preload_length 0
		.amdhsa_user_sgpr_kernarg_preload_offset 0
		.amdhsa_user_sgpr_private_segment_size 0
		.amdhsa_wavefront_size32 1
		.amdhsa_uses_dynamic_stack 0
		.amdhsa_enable_private_segment 0
		.amdhsa_system_sgpr_workgroup_id_x 1
		.amdhsa_system_sgpr_workgroup_id_y 0
		.amdhsa_system_sgpr_workgroup_id_z 0
		.amdhsa_system_sgpr_workgroup_info 0
		.amdhsa_system_vgpr_workitem_id 0
		.amdhsa_next_free_vgpr 1
		.amdhsa_next_free_sgpr 1
		.amdhsa_named_barrier_count 0
		.amdhsa_reserve_vcc 0
		.amdhsa_float_round_mode_32 0
		.amdhsa_float_round_mode_16_64 0
		.amdhsa_float_denorm_mode_32 3
		.amdhsa_float_denorm_mode_16_64 3
		.amdhsa_fp16_overflow 0
		.amdhsa_memory_ordered 1
		.amdhsa_forward_progress 1
		.amdhsa_inst_pref_size 0
		.amdhsa_round_robin_scheduling 0
		.amdhsa_exception_fp_ieee_invalid_op 0
		.amdhsa_exception_fp_denorm_src 0
		.amdhsa_exception_fp_ieee_div_zero 0
		.amdhsa_exception_fp_ieee_overflow 0
		.amdhsa_exception_fp_ieee_underflow 0
		.amdhsa_exception_fp_ieee_inexact 0
		.amdhsa_exception_int_div_zero 0
	.end_amdhsa_kernel
	.section	.text._ZN7rocprim17ROCPRIM_400000_NS6detail17trampoline_kernelINS0_14default_configENS1_35adjacent_difference_config_selectorILb0ElEEZNS1_24adjacent_difference_implIS3_Lb0ELb0EPlS7_ZN2at6native12_GLOBAL__N_124unique_dim_cuda_templateIbEESt5tupleIJNS8_6TensorESD_SD_EERKSD_lbbbEUlllE1_EE10hipError_tPvRmT2_T3_mT4_P12ihipStream_tbEUlT_E_NS1_11comp_targetILNS1_3genE9ELNS1_11target_archE1100ELNS1_3gpuE3ELNS1_3repE0EEENS1_30default_config_static_selectorELNS0_4arch9wavefront6targetE0EEEvT1_,"axG",@progbits,_ZN7rocprim17ROCPRIM_400000_NS6detail17trampoline_kernelINS0_14default_configENS1_35adjacent_difference_config_selectorILb0ElEEZNS1_24adjacent_difference_implIS3_Lb0ELb0EPlS7_ZN2at6native12_GLOBAL__N_124unique_dim_cuda_templateIbEESt5tupleIJNS8_6TensorESD_SD_EERKSD_lbbbEUlllE1_EE10hipError_tPvRmT2_T3_mT4_P12ihipStream_tbEUlT_E_NS1_11comp_targetILNS1_3genE9ELNS1_11target_archE1100ELNS1_3gpuE3ELNS1_3repE0EEENS1_30default_config_static_selectorELNS0_4arch9wavefront6targetE0EEEvT1_,comdat
.Lfunc_end1032:
	.size	_ZN7rocprim17ROCPRIM_400000_NS6detail17trampoline_kernelINS0_14default_configENS1_35adjacent_difference_config_selectorILb0ElEEZNS1_24adjacent_difference_implIS3_Lb0ELb0EPlS7_ZN2at6native12_GLOBAL__N_124unique_dim_cuda_templateIbEESt5tupleIJNS8_6TensorESD_SD_EERKSD_lbbbEUlllE1_EE10hipError_tPvRmT2_T3_mT4_P12ihipStream_tbEUlT_E_NS1_11comp_targetILNS1_3genE9ELNS1_11target_archE1100ELNS1_3gpuE3ELNS1_3repE0EEENS1_30default_config_static_selectorELNS0_4arch9wavefront6targetE0EEEvT1_, .Lfunc_end1032-_ZN7rocprim17ROCPRIM_400000_NS6detail17trampoline_kernelINS0_14default_configENS1_35adjacent_difference_config_selectorILb0ElEEZNS1_24adjacent_difference_implIS3_Lb0ELb0EPlS7_ZN2at6native12_GLOBAL__N_124unique_dim_cuda_templateIbEESt5tupleIJNS8_6TensorESD_SD_EERKSD_lbbbEUlllE1_EE10hipError_tPvRmT2_T3_mT4_P12ihipStream_tbEUlT_E_NS1_11comp_targetILNS1_3genE9ELNS1_11target_archE1100ELNS1_3gpuE3ELNS1_3repE0EEENS1_30default_config_static_selectorELNS0_4arch9wavefront6targetE0EEEvT1_
                                        ; -- End function
	.set _ZN7rocprim17ROCPRIM_400000_NS6detail17trampoline_kernelINS0_14default_configENS1_35adjacent_difference_config_selectorILb0ElEEZNS1_24adjacent_difference_implIS3_Lb0ELb0EPlS7_ZN2at6native12_GLOBAL__N_124unique_dim_cuda_templateIbEESt5tupleIJNS8_6TensorESD_SD_EERKSD_lbbbEUlllE1_EE10hipError_tPvRmT2_T3_mT4_P12ihipStream_tbEUlT_E_NS1_11comp_targetILNS1_3genE9ELNS1_11target_archE1100ELNS1_3gpuE3ELNS1_3repE0EEENS1_30default_config_static_selectorELNS0_4arch9wavefront6targetE0EEEvT1_.num_vgpr, 0
	.set _ZN7rocprim17ROCPRIM_400000_NS6detail17trampoline_kernelINS0_14default_configENS1_35adjacent_difference_config_selectorILb0ElEEZNS1_24adjacent_difference_implIS3_Lb0ELb0EPlS7_ZN2at6native12_GLOBAL__N_124unique_dim_cuda_templateIbEESt5tupleIJNS8_6TensorESD_SD_EERKSD_lbbbEUlllE1_EE10hipError_tPvRmT2_T3_mT4_P12ihipStream_tbEUlT_E_NS1_11comp_targetILNS1_3genE9ELNS1_11target_archE1100ELNS1_3gpuE3ELNS1_3repE0EEENS1_30default_config_static_selectorELNS0_4arch9wavefront6targetE0EEEvT1_.num_agpr, 0
	.set _ZN7rocprim17ROCPRIM_400000_NS6detail17trampoline_kernelINS0_14default_configENS1_35adjacent_difference_config_selectorILb0ElEEZNS1_24adjacent_difference_implIS3_Lb0ELb0EPlS7_ZN2at6native12_GLOBAL__N_124unique_dim_cuda_templateIbEESt5tupleIJNS8_6TensorESD_SD_EERKSD_lbbbEUlllE1_EE10hipError_tPvRmT2_T3_mT4_P12ihipStream_tbEUlT_E_NS1_11comp_targetILNS1_3genE9ELNS1_11target_archE1100ELNS1_3gpuE3ELNS1_3repE0EEENS1_30default_config_static_selectorELNS0_4arch9wavefront6targetE0EEEvT1_.numbered_sgpr, 0
	.set _ZN7rocprim17ROCPRIM_400000_NS6detail17trampoline_kernelINS0_14default_configENS1_35adjacent_difference_config_selectorILb0ElEEZNS1_24adjacent_difference_implIS3_Lb0ELb0EPlS7_ZN2at6native12_GLOBAL__N_124unique_dim_cuda_templateIbEESt5tupleIJNS8_6TensorESD_SD_EERKSD_lbbbEUlllE1_EE10hipError_tPvRmT2_T3_mT4_P12ihipStream_tbEUlT_E_NS1_11comp_targetILNS1_3genE9ELNS1_11target_archE1100ELNS1_3gpuE3ELNS1_3repE0EEENS1_30default_config_static_selectorELNS0_4arch9wavefront6targetE0EEEvT1_.num_named_barrier, 0
	.set _ZN7rocprim17ROCPRIM_400000_NS6detail17trampoline_kernelINS0_14default_configENS1_35adjacent_difference_config_selectorILb0ElEEZNS1_24adjacent_difference_implIS3_Lb0ELb0EPlS7_ZN2at6native12_GLOBAL__N_124unique_dim_cuda_templateIbEESt5tupleIJNS8_6TensorESD_SD_EERKSD_lbbbEUlllE1_EE10hipError_tPvRmT2_T3_mT4_P12ihipStream_tbEUlT_E_NS1_11comp_targetILNS1_3genE9ELNS1_11target_archE1100ELNS1_3gpuE3ELNS1_3repE0EEENS1_30default_config_static_selectorELNS0_4arch9wavefront6targetE0EEEvT1_.private_seg_size, 0
	.set _ZN7rocprim17ROCPRIM_400000_NS6detail17trampoline_kernelINS0_14default_configENS1_35adjacent_difference_config_selectorILb0ElEEZNS1_24adjacent_difference_implIS3_Lb0ELb0EPlS7_ZN2at6native12_GLOBAL__N_124unique_dim_cuda_templateIbEESt5tupleIJNS8_6TensorESD_SD_EERKSD_lbbbEUlllE1_EE10hipError_tPvRmT2_T3_mT4_P12ihipStream_tbEUlT_E_NS1_11comp_targetILNS1_3genE9ELNS1_11target_archE1100ELNS1_3gpuE3ELNS1_3repE0EEENS1_30default_config_static_selectorELNS0_4arch9wavefront6targetE0EEEvT1_.uses_vcc, 0
	.set _ZN7rocprim17ROCPRIM_400000_NS6detail17trampoline_kernelINS0_14default_configENS1_35adjacent_difference_config_selectorILb0ElEEZNS1_24adjacent_difference_implIS3_Lb0ELb0EPlS7_ZN2at6native12_GLOBAL__N_124unique_dim_cuda_templateIbEESt5tupleIJNS8_6TensorESD_SD_EERKSD_lbbbEUlllE1_EE10hipError_tPvRmT2_T3_mT4_P12ihipStream_tbEUlT_E_NS1_11comp_targetILNS1_3genE9ELNS1_11target_archE1100ELNS1_3gpuE3ELNS1_3repE0EEENS1_30default_config_static_selectorELNS0_4arch9wavefront6targetE0EEEvT1_.uses_flat_scratch, 0
	.set _ZN7rocprim17ROCPRIM_400000_NS6detail17trampoline_kernelINS0_14default_configENS1_35adjacent_difference_config_selectorILb0ElEEZNS1_24adjacent_difference_implIS3_Lb0ELb0EPlS7_ZN2at6native12_GLOBAL__N_124unique_dim_cuda_templateIbEESt5tupleIJNS8_6TensorESD_SD_EERKSD_lbbbEUlllE1_EE10hipError_tPvRmT2_T3_mT4_P12ihipStream_tbEUlT_E_NS1_11comp_targetILNS1_3genE9ELNS1_11target_archE1100ELNS1_3gpuE3ELNS1_3repE0EEENS1_30default_config_static_selectorELNS0_4arch9wavefront6targetE0EEEvT1_.has_dyn_sized_stack, 0
	.set _ZN7rocprim17ROCPRIM_400000_NS6detail17trampoline_kernelINS0_14default_configENS1_35adjacent_difference_config_selectorILb0ElEEZNS1_24adjacent_difference_implIS3_Lb0ELb0EPlS7_ZN2at6native12_GLOBAL__N_124unique_dim_cuda_templateIbEESt5tupleIJNS8_6TensorESD_SD_EERKSD_lbbbEUlllE1_EE10hipError_tPvRmT2_T3_mT4_P12ihipStream_tbEUlT_E_NS1_11comp_targetILNS1_3genE9ELNS1_11target_archE1100ELNS1_3gpuE3ELNS1_3repE0EEENS1_30default_config_static_selectorELNS0_4arch9wavefront6targetE0EEEvT1_.has_recursion, 0
	.set _ZN7rocprim17ROCPRIM_400000_NS6detail17trampoline_kernelINS0_14default_configENS1_35adjacent_difference_config_selectorILb0ElEEZNS1_24adjacent_difference_implIS3_Lb0ELb0EPlS7_ZN2at6native12_GLOBAL__N_124unique_dim_cuda_templateIbEESt5tupleIJNS8_6TensorESD_SD_EERKSD_lbbbEUlllE1_EE10hipError_tPvRmT2_T3_mT4_P12ihipStream_tbEUlT_E_NS1_11comp_targetILNS1_3genE9ELNS1_11target_archE1100ELNS1_3gpuE3ELNS1_3repE0EEENS1_30default_config_static_selectorELNS0_4arch9wavefront6targetE0EEEvT1_.has_indirect_call, 0
	.section	.AMDGPU.csdata,"",@progbits
; Kernel info:
; codeLenInByte = 0
; TotalNumSgprs: 0
; NumVgprs: 0
; ScratchSize: 0
; MemoryBound: 0
; FloatMode: 240
; IeeeMode: 1
; LDSByteSize: 0 bytes/workgroup (compile time only)
; SGPRBlocks: 0
; VGPRBlocks: 0
; NumSGPRsForWavesPerEU: 1
; NumVGPRsForWavesPerEU: 1
; NamedBarCnt: 0
; Occupancy: 16
; WaveLimiterHint : 0
; COMPUTE_PGM_RSRC2:SCRATCH_EN: 0
; COMPUTE_PGM_RSRC2:USER_SGPR: 2
; COMPUTE_PGM_RSRC2:TRAP_HANDLER: 0
; COMPUTE_PGM_RSRC2:TGID_X_EN: 1
; COMPUTE_PGM_RSRC2:TGID_Y_EN: 0
; COMPUTE_PGM_RSRC2:TGID_Z_EN: 0
; COMPUTE_PGM_RSRC2:TIDIG_COMP_CNT: 0
	.section	.text._ZN7rocprim17ROCPRIM_400000_NS6detail17trampoline_kernelINS0_14default_configENS1_35adjacent_difference_config_selectorILb0ElEEZNS1_24adjacent_difference_implIS3_Lb0ELb0EPlS7_ZN2at6native12_GLOBAL__N_124unique_dim_cuda_templateIbEESt5tupleIJNS8_6TensorESD_SD_EERKSD_lbbbEUlllE1_EE10hipError_tPvRmT2_T3_mT4_P12ihipStream_tbEUlT_E_NS1_11comp_targetILNS1_3genE8ELNS1_11target_archE1030ELNS1_3gpuE2ELNS1_3repE0EEENS1_30default_config_static_selectorELNS0_4arch9wavefront6targetE0EEEvT1_,"axG",@progbits,_ZN7rocprim17ROCPRIM_400000_NS6detail17trampoline_kernelINS0_14default_configENS1_35adjacent_difference_config_selectorILb0ElEEZNS1_24adjacent_difference_implIS3_Lb0ELb0EPlS7_ZN2at6native12_GLOBAL__N_124unique_dim_cuda_templateIbEESt5tupleIJNS8_6TensorESD_SD_EERKSD_lbbbEUlllE1_EE10hipError_tPvRmT2_T3_mT4_P12ihipStream_tbEUlT_E_NS1_11comp_targetILNS1_3genE8ELNS1_11target_archE1030ELNS1_3gpuE2ELNS1_3repE0EEENS1_30default_config_static_selectorELNS0_4arch9wavefront6targetE0EEEvT1_,comdat
	.globl	_ZN7rocprim17ROCPRIM_400000_NS6detail17trampoline_kernelINS0_14default_configENS1_35adjacent_difference_config_selectorILb0ElEEZNS1_24adjacent_difference_implIS3_Lb0ELb0EPlS7_ZN2at6native12_GLOBAL__N_124unique_dim_cuda_templateIbEESt5tupleIJNS8_6TensorESD_SD_EERKSD_lbbbEUlllE1_EE10hipError_tPvRmT2_T3_mT4_P12ihipStream_tbEUlT_E_NS1_11comp_targetILNS1_3genE8ELNS1_11target_archE1030ELNS1_3gpuE2ELNS1_3repE0EEENS1_30default_config_static_selectorELNS0_4arch9wavefront6targetE0EEEvT1_ ; -- Begin function _ZN7rocprim17ROCPRIM_400000_NS6detail17trampoline_kernelINS0_14default_configENS1_35adjacent_difference_config_selectorILb0ElEEZNS1_24adjacent_difference_implIS3_Lb0ELb0EPlS7_ZN2at6native12_GLOBAL__N_124unique_dim_cuda_templateIbEESt5tupleIJNS8_6TensorESD_SD_EERKSD_lbbbEUlllE1_EE10hipError_tPvRmT2_T3_mT4_P12ihipStream_tbEUlT_E_NS1_11comp_targetILNS1_3genE8ELNS1_11target_archE1030ELNS1_3gpuE2ELNS1_3repE0EEENS1_30default_config_static_selectorELNS0_4arch9wavefront6targetE0EEEvT1_
	.p2align	8
	.type	_ZN7rocprim17ROCPRIM_400000_NS6detail17trampoline_kernelINS0_14default_configENS1_35adjacent_difference_config_selectorILb0ElEEZNS1_24adjacent_difference_implIS3_Lb0ELb0EPlS7_ZN2at6native12_GLOBAL__N_124unique_dim_cuda_templateIbEESt5tupleIJNS8_6TensorESD_SD_EERKSD_lbbbEUlllE1_EE10hipError_tPvRmT2_T3_mT4_P12ihipStream_tbEUlT_E_NS1_11comp_targetILNS1_3genE8ELNS1_11target_archE1030ELNS1_3gpuE2ELNS1_3repE0EEENS1_30default_config_static_selectorELNS0_4arch9wavefront6targetE0EEEvT1_,@function
_ZN7rocprim17ROCPRIM_400000_NS6detail17trampoline_kernelINS0_14default_configENS1_35adjacent_difference_config_selectorILb0ElEEZNS1_24adjacent_difference_implIS3_Lb0ELb0EPlS7_ZN2at6native12_GLOBAL__N_124unique_dim_cuda_templateIbEESt5tupleIJNS8_6TensorESD_SD_EERKSD_lbbbEUlllE1_EE10hipError_tPvRmT2_T3_mT4_P12ihipStream_tbEUlT_E_NS1_11comp_targetILNS1_3genE8ELNS1_11target_archE1030ELNS1_3gpuE2ELNS1_3repE0EEENS1_30default_config_static_selectorELNS0_4arch9wavefront6targetE0EEEvT1_: ; @_ZN7rocprim17ROCPRIM_400000_NS6detail17trampoline_kernelINS0_14default_configENS1_35adjacent_difference_config_selectorILb0ElEEZNS1_24adjacent_difference_implIS3_Lb0ELb0EPlS7_ZN2at6native12_GLOBAL__N_124unique_dim_cuda_templateIbEESt5tupleIJNS8_6TensorESD_SD_EERKSD_lbbbEUlllE1_EE10hipError_tPvRmT2_T3_mT4_P12ihipStream_tbEUlT_E_NS1_11comp_targetILNS1_3genE8ELNS1_11target_archE1030ELNS1_3gpuE2ELNS1_3repE0EEENS1_30default_config_static_selectorELNS0_4arch9wavefront6targetE0EEEvT1_
; %bb.0:
	.section	.rodata,"a",@progbits
	.p2align	6, 0x0
	.amdhsa_kernel _ZN7rocprim17ROCPRIM_400000_NS6detail17trampoline_kernelINS0_14default_configENS1_35adjacent_difference_config_selectorILb0ElEEZNS1_24adjacent_difference_implIS3_Lb0ELb0EPlS7_ZN2at6native12_GLOBAL__N_124unique_dim_cuda_templateIbEESt5tupleIJNS8_6TensorESD_SD_EERKSD_lbbbEUlllE1_EE10hipError_tPvRmT2_T3_mT4_P12ihipStream_tbEUlT_E_NS1_11comp_targetILNS1_3genE8ELNS1_11target_archE1030ELNS1_3gpuE2ELNS1_3repE0EEENS1_30default_config_static_selectorELNS0_4arch9wavefront6targetE0EEEvT1_
		.amdhsa_group_segment_fixed_size 0
		.amdhsa_private_segment_fixed_size 0
		.amdhsa_kernarg_size 64
		.amdhsa_user_sgpr_count 2
		.amdhsa_user_sgpr_dispatch_ptr 0
		.amdhsa_user_sgpr_queue_ptr 0
		.amdhsa_user_sgpr_kernarg_segment_ptr 1
		.amdhsa_user_sgpr_dispatch_id 0
		.amdhsa_user_sgpr_kernarg_preload_length 0
		.amdhsa_user_sgpr_kernarg_preload_offset 0
		.amdhsa_user_sgpr_private_segment_size 0
		.amdhsa_wavefront_size32 1
		.amdhsa_uses_dynamic_stack 0
		.amdhsa_enable_private_segment 0
		.amdhsa_system_sgpr_workgroup_id_x 1
		.amdhsa_system_sgpr_workgroup_id_y 0
		.amdhsa_system_sgpr_workgroup_id_z 0
		.amdhsa_system_sgpr_workgroup_info 0
		.amdhsa_system_vgpr_workitem_id 0
		.amdhsa_next_free_vgpr 1
		.amdhsa_next_free_sgpr 1
		.amdhsa_named_barrier_count 0
		.amdhsa_reserve_vcc 0
		.amdhsa_float_round_mode_32 0
		.amdhsa_float_round_mode_16_64 0
		.amdhsa_float_denorm_mode_32 3
		.amdhsa_float_denorm_mode_16_64 3
		.amdhsa_fp16_overflow 0
		.amdhsa_memory_ordered 1
		.amdhsa_forward_progress 1
		.amdhsa_inst_pref_size 0
		.amdhsa_round_robin_scheduling 0
		.amdhsa_exception_fp_ieee_invalid_op 0
		.amdhsa_exception_fp_denorm_src 0
		.amdhsa_exception_fp_ieee_div_zero 0
		.amdhsa_exception_fp_ieee_overflow 0
		.amdhsa_exception_fp_ieee_underflow 0
		.amdhsa_exception_fp_ieee_inexact 0
		.amdhsa_exception_int_div_zero 0
	.end_amdhsa_kernel
	.section	.text._ZN7rocprim17ROCPRIM_400000_NS6detail17trampoline_kernelINS0_14default_configENS1_35adjacent_difference_config_selectorILb0ElEEZNS1_24adjacent_difference_implIS3_Lb0ELb0EPlS7_ZN2at6native12_GLOBAL__N_124unique_dim_cuda_templateIbEESt5tupleIJNS8_6TensorESD_SD_EERKSD_lbbbEUlllE1_EE10hipError_tPvRmT2_T3_mT4_P12ihipStream_tbEUlT_E_NS1_11comp_targetILNS1_3genE8ELNS1_11target_archE1030ELNS1_3gpuE2ELNS1_3repE0EEENS1_30default_config_static_selectorELNS0_4arch9wavefront6targetE0EEEvT1_,"axG",@progbits,_ZN7rocprim17ROCPRIM_400000_NS6detail17trampoline_kernelINS0_14default_configENS1_35adjacent_difference_config_selectorILb0ElEEZNS1_24adjacent_difference_implIS3_Lb0ELb0EPlS7_ZN2at6native12_GLOBAL__N_124unique_dim_cuda_templateIbEESt5tupleIJNS8_6TensorESD_SD_EERKSD_lbbbEUlllE1_EE10hipError_tPvRmT2_T3_mT4_P12ihipStream_tbEUlT_E_NS1_11comp_targetILNS1_3genE8ELNS1_11target_archE1030ELNS1_3gpuE2ELNS1_3repE0EEENS1_30default_config_static_selectorELNS0_4arch9wavefront6targetE0EEEvT1_,comdat
.Lfunc_end1033:
	.size	_ZN7rocprim17ROCPRIM_400000_NS6detail17trampoline_kernelINS0_14default_configENS1_35adjacent_difference_config_selectorILb0ElEEZNS1_24adjacent_difference_implIS3_Lb0ELb0EPlS7_ZN2at6native12_GLOBAL__N_124unique_dim_cuda_templateIbEESt5tupleIJNS8_6TensorESD_SD_EERKSD_lbbbEUlllE1_EE10hipError_tPvRmT2_T3_mT4_P12ihipStream_tbEUlT_E_NS1_11comp_targetILNS1_3genE8ELNS1_11target_archE1030ELNS1_3gpuE2ELNS1_3repE0EEENS1_30default_config_static_selectorELNS0_4arch9wavefront6targetE0EEEvT1_, .Lfunc_end1033-_ZN7rocprim17ROCPRIM_400000_NS6detail17trampoline_kernelINS0_14default_configENS1_35adjacent_difference_config_selectorILb0ElEEZNS1_24adjacent_difference_implIS3_Lb0ELb0EPlS7_ZN2at6native12_GLOBAL__N_124unique_dim_cuda_templateIbEESt5tupleIJNS8_6TensorESD_SD_EERKSD_lbbbEUlllE1_EE10hipError_tPvRmT2_T3_mT4_P12ihipStream_tbEUlT_E_NS1_11comp_targetILNS1_3genE8ELNS1_11target_archE1030ELNS1_3gpuE2ELNS1_3repE0EEENS1_30default_config_static_selectorELNS0_4arch9wavefront6targetE0EEEvT1_
                                        ; -- End function
	.set _ZN7rocprim17ROCPRIM_400000_NS6detail17trampoline_kernelINS0_14default_configENS1_35adjacent_difference_config_selectorILb0ElEEZNS1_24adjacent_difference_implIS3_Lb0ELb0EPlS7_ZN2at6native12_GLOBAL__N_124unique_dim_cuda_templateIbEESt5tupleIJNS8_6TensorESD_SD_EERKSD_lbbbEUlllE1_EE10hipError_tPvRmT2_T3_mT4_P12ihipStream_tbEUlT_E_NS1_11comp_targetILNS1_3genE8ELNS1_11target_archE1030ELNS1_3gpuE2ELNS1_3repE0EEENS1_30default_config_static_selectorELNS0_4arch9wavefront6targetE0EEEvT1_.num_vgpr, 0
	.set _ZN7rocprim17ROCPRIM_400000_NS6detail17trampoline_kernelINS0_14default_configENS1_35adjacent_difference_config_selectorILb0ElEEZNS1_24adjacent_difference_implIS3_Lb0ELb0EPlS7_ZN2at6native12_GLOBAL__N_124unique_dim_cuda_templateIbEESt5tupleIJNS8_6TensorESD_SD_EERKSD_lbbbEUlllE1_EE10hipError_tPvRmT2_T3_mT4_P12ihipStream_tbEUlT_E_NS1_11comp_targetILNS1_3genE8ELNS1_11target_archE1030ELNS1_3gpuE2ELNS1_3repE0EEENS1_30default_config_static_selectorELNS0_4arch9wavefront6targetE0EEEvT1_.num_agpr, 0
	.set _ZN7rocprim17ROCPRIM_400000_NS6detail17trampoline_kernelINS0_14default_configENS1_35adjacent_difference_config_selectorILb0ElEEZNS1_24adjacent_difference_implIS3_Lb0ELb0EPlS7_ZN2at6native12_GLOBAL__N_124unique_dim_cuda_templateIbEESt5tupleIJNS8_6TensorESD_SD_EERKSD_lbbbEUlllE1_EE10hipError_tPvRmT2_T3_mT4_P12ihipStream_tbEUlT_E_NS1_11comp_targetILNS1_3genE8ELNS1_11target_archE1030ELNS1_3gpuE2ELNS1_3repE0EEENS1_30default_config_static_selectorELNS0_4arch9wavefront6targetE0EEEvT1_.numbered_sgpr, 0
	.set _ZN7rocprim17ROCPRIM_400000_NS6detail17trampoline_kernelINS0_14default_configENS1_35adjacent_difference_config_selectorILb0ElEEZNS1_24adjacent_difference_implIS3_Lb0ELb0EPlS7_ZN2at6native12_GLOBAL__N_124unique_dim_cuda_templateIbEESt5tupleIJNS8_6TensorESD_SD_EERKSD_lbbbEUlllE1_EE10hipError_tPvRmT2_T3_mT4_P12ihipStream_tbEUlT_E_NS1_11comp_targetILNS1_3genE8ELNS1_11target_archE1030ELNS1_3gpuE2ELNS1_3repE0EEENS1_30default_config_static_selectorELNS0_4arch9wavefront6targetE0EEEvT1_.num_named_barrier, 0
	.set _ZN7rocprim17ROCPRIM_400000_NS6detail17trampoline_kernelINS0_14default_configENS1_35adjacent_difference_config_selectorILb0ElEEZNS1_24adjacent_difference_implIS3_Lb0ELb0EPlS7_ZN2at6native12_GLOBAL__N_124unique_dim_cuda_templateIbEESt5tupleIJNS8_6TensorESD_SD_EERKSD_lbbbEUlllE1_EE10hipError_tPvRmT2_T3_mT4_P12ihipStream_tbEUlT_E_NS1_11comp_targetILNS1_3genE8ELNS1_11target_archE1030ELNS1_3gpuE2ELNS1_3repE0EEENS1_30default_config_static_selectorELNS0_4arch9wavefront6targetE0EEEvT1_.private_seg_size, 0
	.set _ZN7rocprim17ROCPRIM_400000_NS6detail17trampoline_kernelINS0_14default_configENS1_35adjacent_difference_config_selectorILb0ElEEZNS1_24adjacent_difference_implIS3_Lb0ELb0EPlS7_ZN2at6native12_GLOBAL__N_124unique_dim_cuda_templateIbEESt5tupleIJNS8_6TensorESD_SD_EERKSD_lbbbEUlllE1_EE10hipError_tPvRmT2_T3_mT4_P12ihipStream_tbEUlT_E_NS1_11comp_targetILNS1_3genE8ELNS1_11target_archE1030ELNS1_3gpuE2ELNS1_3repE0EEENS1_30default_config_static_selectorELNS0_4arch9wavefront6targetE0EEEvT1_.uses_vcc, 0
	.set _ZN7rocprim17ROCPRIM_400000_NS6detail17trampoline_kernelINS0_14default_configENS1_35adjacent_difference_config_selectorILb0ElEEZNS1_24adjacent_difference_implIS3_Lb0ELb0EPlS7_ZN2at6native12_GLOBAL__N_124unique_dim_cuda_templateIbEESt5tupleIJNS8_6TensorESD_SD_EERKSD_lbbbEUlllE1_EE10hipError_tPvRmT2_T3_mT4_P12ihipStream_tbEUlT_E_NS1_11comp_targetILNS1_3genE8ELNS1_11target_archE1030ELNS1_3gpuE2ELNS1_3repE0EEENS1_30default_config_static_selectorELNS0_4arch9wavefront6targetE0EEEvT1_.uses_flat_scratch, 0
	.set _ZN7rocprim17ROCPRIM_400000_NS6detail17trampoline_kernelINS0_14default_configENS1_35adjacent_difference_config_selectorILb0ElEEZNS1_24adjacent_difference_implIS3_Lb0ELb0EPlS7_ZN2at6native12_GLOBAL__N_124unique_dim_cuda_templateIbEESt5tupleIJNS8_6TensorESD_SD_EERKSD_lbbbEUlllE1_EE10hipError_tPvRmT2_T3_mT4_P12ihipStream_tbEUlT_E_NS1_11comp_targetILNS1_3genE8ELNS1_11target_archE1030ELNS1_3gpuE2ELNS1_3repE0EEENS1_30default_config_static_selectorELNS0_4arch9wavefront6targetE0EEEvT1_.has_dyn_sized_stack, 0
	.set _ZN7rocprim17ROCPRIM_400000_NS6detail17trampoline_kernelINS0_14default_configENS1_35adjacent_difference_config_selectorILb0ElEEZNS1_24adjacent_difference_implIS3_Lb0ELb0EPlS7_ZN2at6native12_GLOBAL__N_124unique_dim_cuda_templateIbEESt5tupleIJNS8_6TensorESD_SD_EERKSD_lbbbEUlllE1_EE10hipError_tPvRmT2_T3_mT4_P12ihipStream_tbEUlT_E_NS1_11comp_targetILNS1_3genE8ELNS1_11target_archE1030ELNS1_3gpuE2ELNS1_3repE0EEENS1_30default_config_static_selectorELNS0_4arch9wavefront6targetE0EEEvT1_.has_recursion, 0
	.set _ZN7rocprim17ROCPRIM_400000_NS6detail17trampoline_kernelINS0_14default_configENS1_35adjacent_difference_config_selectorILb0ElEEZNS1_24adjacent_difference_implIS3_Lb0ELb0EPlS7_ZN2at6native12_GLOBAL__N_124unique_dim_cuda_templateIbEESt5tupleIJNS8_6TensorESD_SD_EERKSD_lbbbEUlllE1_EE10hipError_tPvRmT2_T3_mT4_P12ihipStream_tbEUlT_E_NS1_11comp_targetILNS1_3genE8ELNS1_11target_archE1030ELNS1_3gpuE2ELNS1_3repE0EEENS1_30default_config_static_selectorELNS0_4arch9wavefront6targetE0EEEvT1_.has_indirect_call, 0
	.section	.AMDGPU.csdata,"",@progbits
; Kernel info:
; codeLenInByte = 0
; TotalNumSgprs: 0
; NumVgprs: 0
; ScratchSize: 0
; MemoryBound: 0
; FloatMode: 240
; IeeeMode: 1
; LDSByteSize: 0 bytes/workgroup (compile time only)
; SGPRBlocks: 0
; VGPRBlocks: 0
; NumSGPRsForWavesPerEU: 1
; NumVGPRsForWavesPerEU: 1
; NamedBarCnt: 0
; Occupancy: 16
; WaveLimiterHint : 0
; COMPUTE_PGM_RSRC2:SCRATCH_EN: 0
; COMPUTE_PGM_RSRC2:USER_SGPR: 2
; COMPUTE_PGM_RSRC2:TRAP_HANDLER: 0
; COMPUTE_PGM_RSRC2:TGID_X_EN: 1
; COMPUTE_PGM_RSRC2:TGID_Y_EN: 0
; COMPUTE_PGM_RSRC2:TGID_Z_EN: 0
; COMPUTE_PGM_RSRC2:TIDIG_COMP_CNT: 0
	.section	.text._ZN7rocprim17ROCPRIM_400000_NS6detail17trampoline_kernelINS0_14default_configENS1_25transform_config_selectorIlLb0EEEZNS1_14transform_implILb0ES3_S5_NS0_18transform_iteratorINS0_17counting_iteratorImlEEZNS1_24adjacent_difference_implIS3_Lb1ELb0EPlSB_ZN2at6native12_GLOBAL__N_124unique_dim_cuda_templateIbEESt5tupleIJNSC_6TensorESH_SH_EERKSH_lbbbEUlllE1_EE10hipError_tPvRmT2_T3_mT4_P12ihipStream_tbEUlmE_lEESB_NS0_8identityIvEEEESM_SP_SQ_mSR_ST_bEUlT_E_NS1_11comp_targetILNS1_3genE0ELNS1_11target_archE4294967295ELNS1_3gpuE0ELNS1_3repE0EEENS1_30default_config_static_selectorELNS0_4arch9wavefront6targetE0EEEvT1_,"axG",@progbits,_ZN7rocprim17ROCPRIM_400000_NS6detail17trampoline_kernelINS0_14default_configENS1_25transform_config_selectorIlLb0EEEZNS1_14transform_implILb0ES3_S5_NS0_18transform_iteratorINS0_17counting_iteratorImlEEZNS1_24adjacent_difference_implIS3_Lb1ELb0EPlSB_ZN2at6native12_GLOBAL__N_124unique_dim_cuda_templateIbEESt5tupleIJNSC_6TensorESH_SH_EERKSH_lbbbEUlllE1_EE10hipError_tPvRmT2_T3_mT4_P12ihipStream_tbEUlmE_lEESB_NS0_8identityIvEEEESM_SP_SQ_mSR_ST_bEUlT_E_NS1_11comp_targetILNS1_3genE0ELNS1_11target_archE4294967295ELNS1_3gpuE0ELNS1_3repE0EEENS1_30default_config_static_selectorELNS0_4arch9wavefront6targetE0EEEvT1_,comdat
	.globl	_ZN7rocprim17ROCPRIM_400000_NS6detail17trampoline_kernelINS0_14default_configENS1_25transform_config_selectorIlLb0EEEZNS1_14transform_implILb0ES3_S5_NS0_18transform_iteratorINS0_17counting_iteratorImlEEZNS1_24adjacent_difference_implIS3_Lb1ELb0EPlSB_ZN2at6native12_GLOBAL__N_124unique_dim_cuda_templateIbEESt5tupleIJNSC_6TensorESH_SH_EERKSH_lbbbEUlllE1_EE10hipError_tPvRmT2_T3_mT4_P12ihipStream_tbEUlmE_lEESB_NS0_8identityIvEEEESM_SP_SQ_mSR_ST_bEUlT_E_NS1_11comp_targetILNS1_3genE0ELNS1_11target_archE4294967295ELNS1_3gpuE0ELNS1_3repE0EEENS1_30default_config_static_selectorELNS0_4arch9wavefront6targetE0EEEvT1_ ; -- Begin function _ZN7rocprim17ROCPRIM_400000_NS6detail17trampoline_kernelINS0_14default_configENS1_25transform_config_selectorIlLb0EEEZNS1_14transform_implILb0ES3_S5_NS0_18transform_iteratorINS0_17counting_iteratorImlEEZNS1_24adjacent_difference_implIS3_Lb1ELb0EPlSB_ZN2at6native12_GLOBAL__N_124unique_dim_cuda_templateIbEESt5tupleIJNSC_6TensorESH_SH_EERKSH_lbbbEUlllE1_EE10hipError_tPvRmT2_T3_mT4_P12ihipStream_tbEUlmE_lEESB_NS0_8identityIvEEEESM_SP_SQ_mSR_ST_bEUlT_E_NS1_11comp_targetILNS1_3genE0ELNS1_11target_archE4294967295ELNS1_3gpuE0ELNS1_3repE0EEENS1_30default_config_static_selectorELNS0_4arch9wavefront6targetE0EEEvT1_
	.p2align	8
	.type	_ZN7rocprim17ROCPRIM_400000_NS6detail17trampoline_kernelINS0_14default_configENS1_25transform_config_selectorIlLb0EEEZNS1_14transform_implILb0ES3_S5_NS0_18transform_iteratorINS0_17counting_iteratorImlEEZNS1_24adjacent_difference_implIS3_Lb1ELb0EPlSB_ZN2at6native12_GLOBAL__N_124unique_dim_cuda_templateIbEESt5tupleIJNSC_6TensorESH_SH_EERKSH_lbbbEUlllE1_EE10hipError_tPvRmT2_T3_mT4_P12ihipStream_tbEUlmE_lEESB_NS0_8identityIvEEEESM_SP_SQ_mSR_ST_bEUlT_E_NS1_11comp_targetILNS1_3genE0ELNS1_11target_archE4294967295ELNS1_3gpuE0ELNS1_3repE0EEENS1_30default_config_static_selectorELNS0_4arch9wavefront6targetE0EEEvT1_,@function
_ZN7rocprim17ROCPRIM_400000_NS6detail17trampoline_kernelINS0_14default_configENS1_25transform_config_selectorIlLb0EEEZNS1_14transform_implILb0ES3_S5_NS0_18transform_iteratorINS0_17counting_iteratorImlEEZNS1_24adjacent_difference_implIS3_Lb1ELb0EPlSB_ZN2at6native12_GLOBAL__N_124unique_dim_cuda_templateIbEESt5tupleIJNSC_6TensorESH_SH_EERKSH_lbbbEUlllE1_EE10hipError_tPvRmT2_T3_mT4_P12ihipStream_tbEUlmE_lEESB_NS0_8identityIvEEEESM_SP_SQ_mSR_ST_bEUlT_E_NS1_11comp_targetILNS1_3genE0ELNS1_11target_archE4294967295ELNS1_3gpuE0ELNS1_3repE0EEENS1_30default_config_static_selectorELNS0_4arch9wavefront6targetE0EEEvT1_: ; @_ZN7rocprim17ROCPRIM_400000_NS6detail17trampoline_kernelINS0_14default_configENS1_25transform_config_selectorIlLb0EEEZNS1_14transform_implILb0ES3_S5_NS0_18transform_iteratorINS0_17counting_iteratorImlEEZNS1_24adjacent_difference_implIS3_Lb1ELb0EPlSB_ZN2at6native12_GLOBAL__N_124unique_dim_cuda_templateIbEESt5tupleIJNSC_6TensorESH_SH_EERKSH_lbbbEUlllE1_EE10hipError_tPvRmT2_T3_mT4_P12ihipStream_tbEUlmE_lEESB_NS0_8identityIvEEEESM_SP_SQ_mSR_ST_bEUlT_E_NS1_11comp_targetILNS1_3genE0ELNS1_11target_archE4294967295ELNS1_3gpuE0ELNS1_3repE0EEENS1_30default_config_static_selectorELNS0_4arch9wavefront6targetE0EEEvT1_
; %bb.0:
	s_clause 0x1
	s_load_b32 s2, s[0:1], 0x38
	s_load_b32 s3, s[0:1], 0x20
	s_bfe_u32 s4, ttmp6, 0x4000c
	s_and_b32 s5, ttmp6, 15
	s_add_co_i32 s4, s4, 1
	s_getreg_b32 s6, hwreg(HW_REG_IB_STS2, 6, 4)
	s_mul_i32 s4, ttmp9, s4
	s_delay_alu instid0(SALU_CYCLE_1)
	s_add_co_i32 s5, s5, s4
	s_cmp_eq_u32 s6, 0
	s_cselect_b32 s4, ttmp9, s5
	s_wait_kmcnt 0x0
	s_add_co_i32 s5, s2, -1
	s_lshl_b32 s2, s4, 7
	s_cmp_lg_u32 s4, s5
	s_cselect_b32 s4, -1, 0
	s_sub_co_i32 s3, s3, s2
	s_delay_alu instid0(SALU_CYCLE_1) | instskip(SKIP_2) | instid1(SALU_CYCLE_1)
	v_cmp_gt_u32_e32 vcc_lo, s3, v0
	s_mov_b32 s3, 0
	s_or_b32 s4, s4, vcc_lo
	s_and_saveexec_b32 s5, s4
	s_cbranch_execz .LBB1034_2
; %bb.1:
	s_clause 0x3
	s_load_b64 s[8:9], s[0:1], 0x18
	s_load_b128 s[4:7], s[0:1], 0x0
	s_load_b32 s10, s[0:1], 0x10
	s_load_b64 s[12:13], s[0:1], 0x28
	v_mov_b32_e32 v1, 0
	s_mov_b32 s11, s3
	s_wait_kmcnt 0x0
	s_add_nc_u64 s[0:1], s[4:5], s[8:9]
	s_delay_alu instid0(SALU_CYCLE_1) | instskip(SKIP_3) | instid1(SALU_CYCLE_1)
	s_add_nc_u64 s[0:1], s[0:1], s[2:3]
	s_lshl_b64 s[2:3], s[2:3], 3
	v_add_nc_u64_e32 v[2:3], s[0:1], v[0:1]
	s_lshl_b64 s[0:1], s[8:9], 3
	s_add_nc_u64 s[0:1], s[12:13], s[0:1]
	s_delay_alu instid0(SALU_CYCLE_1) | instskip(NEXT) | instid1(VALU_DEP_1)
	s_add_nc_u64 s[0:1], s[0:1], s[2:3]
	v_mul_u64_e32 v[2:3], s[10:11], v[2:3]
	s_delay_alu instid0(VALU_DEP_1)
	v_lshl_add_u64 v[2:3], v[2:3], 3, s[6:7]
	global_load_b64 v[2:3], v[2:3], off
	s_wait_loadcnt 0x0
	global_store_b64 v0, v[2:3], s[0:1] scale_offset
.LBB1034_2:
	s_endpgm
	.section	.rodata,"a",@progbits
	.p2align	6, 0x0
	.amdhsa_kernel _ZN7rocprim17ROCPRIM_400000_NS6detail17trampoline_kernelINS0_14default_configENS1_25transform_config_selectorIlLb0EEEZNS1_14transform_implILb0ES3_S5_NS0_18transform_iteratorINS0_17counting_iteratorImlEEZNS1_24adjacent_difference_implIS3_Lb1ELb0EPlSB_ZN2at6native12_GLOBAL__N_124unique_dim_cuda_templateIbEESt5tupleIJNSC_6TensorESH_SH_EERKSH_lbbbEUlllE1_EE10hipError_tPvRmT2_T3_mT4_P12ihipStream_tbEUlmE_lEESB_NS0_8identityIvEEEESM_SP_SQ_mSR_ST_bEUlT_E_NS1_11comp_targetILNS1_3genE0ELNS1_11target_archE4294967295ELNS1_3gpuE0ELNS1_3repE0EEENS1_30default_config_static_selectorELNS0_4arch9wavefront6targetE0EEEvT1_
		.amdhsa_group_segment_fixed_size 0
		.amdhsa_private_segment_fixed_size 0
		.amdhsa_kernarg_size 312
		.amdhsa_user_sgpr_count 2
		.amdhsa_user_sgpr_dispatch_ptr 0
		.amdhsa_user_sgpr_queue_ptr 0
		.amdhsa_user_sgpr_kernarg_segment_ptr 1
		.amdhsa_user_sgpr_dispatch_id 0
		.amdhsa_user_sgpr_kernarg_preload_length 0
		.amdhsa_user_sgpr_kernarg_preload_offset 0
		.amdhsa_user_sgpr_private_segment_size 0
		.amdhsa_wavefront_size32 1
		.amdhsa_uses_dynamic_stack 0
		.amdhsa_enable_private_segment 0
		.amdhsa_system_sgpr_workgroup_id_x 1
		.amdhsa_system_sgpr_workgroup_id_y 0
		.amdhsa_system_sgpr_workgroup_id_z 0
		.amdhsa_system_sgpr_workgroup_info 0
		.amdhsa_system_vgpr_workitem_id 0
		.amdhsa_next_free_vgpr 4
		.amdhsa_next_free_sgpr 14
		.amdhsa_named_barrier_count 0
		.amdhsa_reserve_vcc 1
		.amdhsa_float_round_mode_32 0
		.amdhsa_float_round_mode_16_64 0
		.amdhsa_float_denorm_mode_32 3
		.amdhsa_float_denorm_mode_16_64 3
		.amdhsa_fp16_overflow 0
		.amdhsa_memory_ordered 1
		.amdhsa_forward_progress 1
		.amdhsa_inst_pref_size 2
		.amdhsa_round_robin_scheduling 0
		.amdhsa_exception_fp_ieee_invalid_op 0
		.amdhsa_exception_fp_denorm_src 0
		.amdhsa_exception_fp_ieee_div_zero 0
		.amdhsa_exception_fp_ieee_overflow 0
		.amdhsa_exception_fp_ieee_underflow 0
		.amdhsa_exception_fp_ieee_inexact 0
		.amdhsa_exception_int_div_zero 0
	.end_amdhsa_kernel
	.section	.text._ZN7rocprim17ROCPRIM_400000_NS6detail17trampoline_kernelINS0_14default_configENS1_25transform_config_selectorIlLb0EEEZNS1_14transform_implILb0ES3_S5_NS0_18transform_iteratorINS0_17counting_iteratorImlEEZNS1_24adjacent_difference_implIS3_Lb1ELb0EPlSB_ZN2at6native12_GLOBAL__N_124unique_dim_cuda_templateIbEESt5tupleIJNSC_6TensorESH_SH_EERKSH_lbbbEUlllE1_EE10hipError_tPvRmT2_T3_mT4_P12ihipStream_tbEUlmE_lEESB_NS0_8identityIvEEEESM_SP_SQ_mSR_ST_bEUlT_E_NS1_11comp_targetILNS1_3genE0ELNS1_11target_archE4294967295ELNS1_3gpuE0ELNS1_3repE0EEENS1_30default_config_static_selectorELNS0_4arch9wavefront6targetE0EEEvT1_,"axG",@progbits,_ZN7rocprim17ROCPRIM_400000_NS6detail17trampoline_kernelINS0_14default_configENS1_25transform_config_selectorIlLb0EEEZNS1_14transform_implILb0ES3_S5_NS0_18transform_iteratorINS0_17counting_iteratorImlEEZNS1_24adjacent_difference_implIS3_Lb1ELb0EPlSB_ZN2at6native12_GLOBAL__N_124unique_dim_cuda_templateIbEESt5tupleIJNSC_6TensorESH_SH_EERKSH_lbbbEUlllE1_EE10hipError_tPvRmT2_T3_mT4_P12ihipStream_tbEUlmE_lEESB_NS0_8identityIvEEEESM_SP_SQ_mSR_ST_bEUlT_E_NS1_11comp_targetILNS1_3genE0ELNS1_11target_archE4294967295ELNS1_3gpuE0ELNS1_3repE0EEENS1_30default_config_static_selectorELNS0_4arch9wavefront6targetE0EEEvT1_,comdat
.Lfunc_end1034:
	.size	_ZN7rocprim17ROCPRIM_400000_NS6detail17trampoline_kernelINS0_14default_configENS1_25transform_config_selectorIlLb0EEEZNS1_14transform_implILb0ES3_S5_NS0_18transform_iteratorINS0_17counting_iteratorImlEEZNS1_24adjacent_difference_implIS3_Lb1ELb0EPlSB_ZN2at6native12_GLOBAL__N_124unique_dim_cuda_templateIbEESt5tupleIJNSC_6TensorESH_SH_EERKSH_lbbbEUlllE1_EE10hipError_tPvRmT2_T3_mT4_P12ihipStream_tbEUlmE_lEESB_NS0_8identityIvEEEESM_SP_SQ_mSR_ST_bEUlT_E_NS1_11comp_targetILNS1_3genE0ELNS1_11target_archE4294967295ELNS1_3gpuE0ELNS1_3repE0EEENS1_30default_config_static_selectorELNS0_4arch9wavefront6targetE0EEEvT1_, .Lfunc_end1034-_ZN7rocprim17ROCPRIM_400000_NS6detail17trampoline_kernelINS0_14default_configENS1_25transform_config_selectorIlLb0EEEZNS1_14transform_implILb0ES3_S5_NS0_18transform_iteratorINS0_17counting_iteratorImlEEZNS1_24adjacent_difference_implIS3_Lb1ELb0EPlSB_ZN2at6native12_GLOBAL__N_124unique_dim_cuda_templateIbEESt5tupleIJNSC_6TensorESH_SH_EERKSH_lbbbEUlllE1_EE10hipError_tPvRmT2_T3_mT4_P12ihipStream_tbEUlmE_lEESB_NS0_8identityIvEEEESM_SP_SQ_mSR_ST_bEUlT_E_NS1_11comp_targetILNS1_3genE0ELNS1_11target_archE4294967295ELNS1_3gpuE0ELNS1_3repE0EEENS1_30default_config_static_selectorELNS0_4arch9wavefront6targetE0EEEvT1_
                                        ; -- End function
	.set _ZN7rocprim17ROCPRIM_400000_NS6detail17trampoline_kernelINS0_14default_configENS1_25transform_config_selectorIlLb0EEEZNS1_14transform_implILb0ES3_S5_NS0_18transform_iteratorINS0_17counting_iteratorImlEEZNS1_24adjacent_difference_implIS3_Lb1ELb0EPlSB_ZN2at6native12_GLOBAL__N_124unique_dim_cuda_templateIbEESt5tupleIJNSC_6TensorESH_SH_EERKSH_lbbbEUlllE1_EE10hipError_tPvRmT2_T3_mT4_P12ihipStream_tbEUlmE_lEESB_NS0_8identityIvEEEESM_SP_SQ_mSR_ST_bEUlT_E_NS1_11comp_targetILNS1_3genE0ELNS1_11target_archE4294967295ELNS1_3gpuE0ELNS1_3repE0EEENS1_30default_config_static_selectorELNS0_4arch9wavefront6targetE0EEEvT1_.num_vgpr, 4
	.set _ZN7rocprim17ROCPRIM_400000_NS6detail17trampoline_kernelINS0_14default_configENS1_25transform_config_selectorIlLb0EEEZNS1_14transform_implILb0ES3_S5_NS0_18transform_iteratorINS0_17counting_iteratorImlEEZNS1_24adjacent_difference_implIS3_Lb1ELb0EPlSB_ZN2at6native12_GLOBAL__N_124unique_dim_cuda_templateIbEESt5tupleIJNSC_6TensorESH_SH_EERKSH_lbbbEUlllE1_EE10hipError_tPvRmT2_T3_mT4_P12ihipStream_tbEUlmE_lEESB_NS0_8identityIvEEEESM_SP_SQ_mSR_ST_bEUlT_E_NS1_11comp_targetILNS1_3genE0ELNS1_11target_archE4294967295ELNS1_3gpuE0ELNS1_3repE0EEENS1_30default_config_static_selectorELNS0_4arch9wavefront6targetE0EEEvT1_.num_agpr, 0
	.set _ZN7rocprim17ROCPRIM_400000_NS6detail17trampoline_kernelINS0_14default_configENS1_25transform_config_selectorIlLb0EEEZNS1_14transform_implILb0ES3_S5_NS0_18transform_iteratorINS0_17counting_iteratorImlEEZNS1_24adjacent_difference_implIS3_Lb1ELb0EPlSB_ZN2at6native12_GLOBAL__N_124unique_dim_cuda_templateIbEESt5tupleIJNSC_6TensorESH_SH_EERKSH_lbbbEUlllE1_EE10hipError_tPvRmT2_T3_mT4_P12ihipStream_tbEUlmE_lEESB_NS0_8identityIvEEEESM_SP_SQ_mSR_ST_bEUlT_E_NS1_11comp_targetILNS1_3genE0ELNS1_11target_archE4294967295ELNS1_3gpuE0ELNS1_3repE0EEENS1_30default_config_static_selectorELNS0_4arch9wavefront6targetE0EEEvT1_.numbered_sgpr, 14
	.set _ZN7rocprim17ROCPRIM_400000_NS6detail17trampoline_kernelINS0_14default_configENS1_25transform_config_selectorIlLb0EEEZNS1_14transform_implILb0ES3_S5_NS0_18transform_iteratorINS0_17counting_iteratorImlEEZNS1_24adjacent_difference_implIS3_Lb1ELb0EPlSB_ZN2at6native12_GLOBAL__N_124unique_dim_cuda_templateIbEESt5tupleIJNSC_6TensorESH_SH_EERKSH_lbbbEUlllE1_EE10hipError_tPvRmT2_T3_mT4_P12ihipStream_tbEUlmE_lEESB_NS0_8identityIvEEEESM_SP_SQ_mSR_ST_bEUlT_E_NS1_11comp_targetILNS1_3genE0ELNS1_11target_archE4294967295ELNS1_3gpuE0ELNS1_3repE0EEENS1_30default_config_static_selectorELNS0_4arch9wavefront6targetE0EEEvT1_.num_named_barrier, 0
	.set _ZN7rocprim17ROCPRIM_400000_NS6detail17trampoline_kernelINS0_14default_configENS1_25transform_config_selectorIlLb0EEEZNS1_14transform_implILb0ES3_S5_NS0_18transform_iteratorINS0_17counting_iteratorImlEEZNS1_24adjacent_difference_implIS3_Lb1ELb0EPlSB_ZN2at6native12_GLOBAL__N_124unique_dim_cuda_templateIbEESt5tupleIJNSC_6TensorESH_SH_EERKSH_lbbbEUlllE1_EE10hipError_tPvRmT2_T3_mT4_P12ihipStream_tbEUlmE_lEESB_NS0_8identityIvEEEESM_SP_SQ_mSR_ST_bEUlT_E_NS1_11comp_targetILNS1_3genE0ELNS1_11target_archE4294967295ELNS1_3gpuE0ELNS1_3repE0EEENS1_30default_config_static_selectorELNS0_4arch9wavefront6targetE0EEEvT1_.private_seg_size, 0
	.set _ZN7rocprim17ROCPRIM_400000_NS6detail17trampoline_kernelINS0_14default_configENS1_25transform_config_selectorIlLb0EEEZNS1_14transform_implILb0ES3_S5_NS0_18transform_iteratorINS0_17counting_iteratorImlEEZNS1_24adjacent_difference_implIS3_Lb1ELb0EPlSB_ZN2at6native12_GLOBAL__N_124unique_dim_cuda_templateIbEESt5tupleIJNSC_6TensorESH_SH_EERKSH_lbbbEUlllE1_EE10hipError_tPvRmT2_T3_mT4_P12ihipStream_tbEUlmE_lEESB_NS0_8identityIvEEEESM_SP_SQ_mSR_ST_bEUlT_E_NS1_11comp_targetILNS1_3genE0ELNS1_11target_archE4294967295ELNS1_3gpuE0ELNS1_3repE0EEENS1_30default_config_static_selectorELNS0_4arch9wavefront6targetE0EEEvT1_.uses_vcc, 1
	.set _ZN7rocprim17ROCPRIM_400000_NS6detail17trampoline_kernelINS0_14default_configENS1_25transform_config_selectorIlLb0EEEZNS1_14transform_implILb0ES3_S5_NS0_18transform_iteratorINS0_17counting_iteratorImlEEZNS1_24adjacent_difference_implIS3_Lb1ELb0EPlSB_ZN2at6native12_GLOBAL__N_124unique_dim_cuda_templateIbEESt5tupleIJNSC_6TensorESH_SH_EERKSH_lbbbEUlllE1_EE10hipError_tPvRmT2_T3_mT4_P12ihipStream_tbEUlmE_lEESB_NS0_8identityIvEEEESM_SP_SQ_mSR_ST_bEUlT_E_NS1_11comp_targetILNS1_3genE0ELNS1_11target_archE4294967295ELNS1_3gpuE0ELNS1_3repE0EEENS1_30default_config_static_selectorELNS0_4arch9wavefront6targetE0EEEvT1_.uses_flat_scratch, 0
	.set _ZN7rocprim17ROCPRIM_400000_NS6detail17trampoline_kernelINS0_14default_configENS1_25transform_config_selectorIlLb0EEEZNS1_14transform_implILb0ES3_S5_NS0_18transform_iteratorINS0_17counting_iteratorImlEEZNS1_24adjacent_difference_implIS3_Lb1ELb0EPlSB_ZN2at6native12_GLOBAL__N_124unique_dim_cuda_templateIbEESt5tupleIJNSC_6TensorESH_SH_EERKSH_lbbbEUlllE1_EE10hipError_tPvRmT2_T3_mT4_P12ihipStream_tbEUlmE_lEESB_NS0_8identityIvEEEESM_SP_SQ_mSR_ST_bEUlT_E_NS1_11comp_targetILNS1_3genE0ELNS1_11target_archE4294967295ELNS1_3gpuE0ELNS1_3repE0EEENS1_30default_config_static_selectorELNS0_4arch9wavefront6targetE0EEEvT1_.has_dyn_sized_stack, 0
	.set _ZN7rocprim17ROCPRIM_400000_NS6detail17trampoline_kernelINS0_14default_configENS1_25transform_config_selectorIlLb0EEEZNS1_14transform_implILb0ES3_S5_NS0_18transform_iteratorINS0_17counting_iteratorImlEEZNS1_24adjacent_difference_implIS3_Lb1ELb0EPlSB_ZN2at6native12_GLOBAL__N_124unique_dim_cuda_templateIbEESt5tupleIJNSC_6TensorESH_SH_EERKSH_lbbbEUlllE1_EE10hipError_tPvRmT2_T3_mT4_P12ihipStream_tbEUlmE_lEESB_NS0_8identityIvEEEESM_SP_SQ_mSR_ST_bEUlT_E_NS1_11comp_targetILNS1_3genE0ELNS1_11target_archE4294967295ELNS1_3gpuE0ELNS1_3repE0EEENS1_30default_config_static_selectorELNS0_4arch9wavefront6targetE0EEEvT1_.has_recursion, 0
	.set _ZN7rocprim17ROCPRIM_400000_NS6detail17trampoline_kernelINS0_14default_configENS1_25transform_config_selectorIlLb0EEEZNS1_14transform_implILb0ES3_S5_NS0_18transform_iteratorINS0_17counting_iteratorImlEEZNS1_24adjacent_difference_implIS3_Lb1ELb0EPlSB_ZN2at6native12_GLOBAL__N_124unique_dim_cuda_templateIbEESt5tupleIJNSC_6TensorESH_SH_EERKSH_lbbbEUlllE1_EE10hipError_tPvRmT2_T3_mT4_P12ihipStream_tbEUlmE_lEESB_NS0_8identityIvEEEESM_SP_SQ_mSR_ST_bEUlT_E_NS1_11comp_targetILNS1_3genE0ELNS1_11target_archE4294967295ELNS1_3gpuE0ELNS1_3repE0EEENS1_30default_config_static_selectorELNS0_4arch9wavefront6targetE0EEEvT1_.has_indirect_call, 0
	.section	.AMDGPU.csdata,"",@progbits
; Kernel info:
; codeLenInByte = 240
; TotalNumSgprs: 16
; NumVgprs: 4
; ScratchSize: 0
; MemoryBound: 0
; FloatMode: 240
; IeeeMode: 1
; LDSByteSize: 0 bytes/workgroup (compile time only)
; SGPRBlocks: 0
; VGPRBlocks: 0
; NumSGPRsForWavesPerEU: 16
; NumVGPRsForWavesPerEU: 4
; NamedBarCnt: 0
; Occupancy: 16
; WaveLimiterHint : 0
; COMPUTE_PGM_RSRC2:SCRATCH_EN: 0
; COMPUTE_PGM_RSRC2:USER_SGPR: 2
; COMPUTE_PGM_RSRC2:TRAP_HANDLER: 0
; COMPUTE_PGM_RSRC2:TGID_X_EN: 1
; COMPUTE_PGM_RSRC2:TGID_Y_EN: 0
; COMPUTE_PGM_RSRC2:TGID_Z_EN: 0
; COMPUTE_PGM_RSRC2:TIDIG_COMP_CNT: 0
	.section	.text._ZN7rocprim17ROCPRIM_400000_NS6detail17trampoline_kernelINS0_14default_configENS1_25transform_config_selectorIlLb0EEEZNS1_14transform_implILb0ES3_S5_NS0_18transform_iteratorINS0_17counting_iteratorImlEEZNS1_24adjacent_difference_implIS3_Lb1ELb0EPlSB_ZN2at6native12_GLOBAL__N_124unique_dim_cuda_templateIbEESt5tupleIJNSC_6TensorESH_SH_EERKSH_lbbbEUlllE1_EE10hipError_tPvRmT2_T3_mT4_P12ihipStream_tbEUlmE_lEESB_NS0_8identityIvEEEESM_SP_SQ_mSR_ST_bEUlT_E_NS1_11comp_targetILNS1_3genE5ELNS1_11target_archE942ELNS1_3gpuE9ELNS1_3repE0EEENS1_30default_config_static_selectorELNS0_4arch9wavefront6targetE0EEEvT1_,"axG",@progbits,_ZN7rocprim17ROCPRIM_400000_NS6detail17trampoline_kernelINS0_14default_configENS1_25transform_config_selectorIlLb0EEEZNS1_14transform_implILb0ES3_S5_NS0_18transform_iteratorINS0_17counting_iteratorImlEEZNS1_24adjacent_difference_implIS3_Lb1ELb0EPlSB_ZN2at6native12_GLOBAL__N_124unique_dim_cuda_templateIbEESt5tupleIJNSC_6TensorESH_SH_EERKSH_lbbbEUlllE1_EE10hipError_tPvRmT2_T3_mT4_P12ihipStream_tbEUlmE_lEESB_NS0_8identityIvEEEESM_SP_SQ_mSR_ST_bEUlT_E_NS1_11comp_targetILNS1_3genE5ELNS1_11target_archE942ELNS1_3gpuE9ELNS1_3repE0EEENS1_30default_config_static_selectorELNS0_4arch9wavefront6targetE0EEEvT1_,comdat
	.globl	_ZN7rocprim17ROCPRIM_400000_NS6detail17trampoline_kernelINS0_14default_configENS1_25transform_config_selectorIlLb0EEEZNS1_14transform_implILb0ES3_S5_NS0_18transform_iteratorINS0_17counting_iteratorImlEEZNS1_24adjacent_difference_implIS3_Lb1ELb0EPlSB_ZN2at6native12_GLOBAL__N_124unique_dim_cuda_templateIbEESt5tupleIJNSC_6TensorESH_SH_EERKSH_lbbbEUlllE1_EE10hipError_tPvRmT2_T3_mT4_P12ihipStream_tbEUlmE_lEESB_NS0_8identityIvEEEESM_SP_SQ_mSR_ST_bEUlT_E_NS1_11comp_targetILNS1_3genE5ELNS1_11target_archE942ELNS1_3gpuE9ELNS1_3repE0EEENS1_30default_config_static_selectorELNS0_4arch9wavefront6targetE0EEEvT1_ ; -- Begin function _ZN7rocprim17ROCPRIM_400000_NS6detail17trampoline_kernelINS0_14default_configENS1_25transform_config_selectorIlLb0EEEZNS1_14transform_implILb0ES3_S5_NS0_18transform_iteratorINS0_17counting_iteratorImlEEZNS1_24adjacent_difference_implIS3_Lb1ELb0EPlSB_ZN2at6native12_GLOBAL__N_124unique_dim_cuda_templateIbEESt5tupleIJNSC_6TensorESH_SH_EERKSH_lbbbEUlllE1_EE10hipError_tPvRmT2_T3_mT4_P12ihipStream_tbEUlmE_lEESB_NS0_8identityIvEEEESM_SP_SQ_mSR_ST_bEUlT_E_NS1_11comp_targetILNS1_3genE5ELNS1_11target_archE942ELNS1_3gpuE9ELNS1_3repE0EEENS1_30default_config_static_selectorELNS0_4arch9wavefront6targetE0EEEvT1_
	.p2align	8
	.type	_ZN7rocprim17ROCPRIM_400000_NS6detail17trampoline_kernelINS0_14default_configENS1_25transform_config_selectorIlLb0EEEZNS1_14transform_implILb0ES3_S5_NS0_18transform_iteratorINS0_17counting_iteratorImlEEZNS1_24adjacent_difference_implIS3_Lb1ELb0EPlSB_ZN2at6native12_GLOBAL__N_124unique_dim_cuda_templateIbEESt5tupleIJNSC_6TensorESH_SH_EERKSH_lbbbEUlllE1_EE10hipError_tPvRmT2_T3_mT4_P12ihipStream_tbEUlmE_lEESB_NS0_8identityIvEEEESM_SP_SQ_mSR_ST_bEUlT_E_NS1_11comp_targetILNS1_3genE5ELNS1_11target_archE942ELNS1_3gpuE9ELNS1_3repE0EEENS1_30default_config_static_selectorELNS0_4arch9wavefront6targetE0EEEvT1_,@function
_ZN7rocprim17ROCPRIM_400000_NS6detail17trampoline_kernelINS0_14default_configENS1_25transform_config_selectorIlLb0EEEZNS1_14transform_implILb0ES3_S5_NS0_18transform_iteratorINS0_17counting_iteratorImlEEZNS1_24adjacent_difference_implIS3_Lb1ELb0EPlSB_ZN2at6native12_GLOBAL__N_124unique_dim_cuda_templateIbEESt5tupleIJNSC_6TensorESH_SH_EERKSH_lbbbEUlllE1_EE10hipError_tPvRmT2_T3_mT4_P12ihipStream_tbEUlmE_lEESB_NS0_8identityIvEEEESM_SP_SQ_mSR_ST_bEUlT_E_NS1_11comp_targetILNS1_3genE5ELNS1_11target_archE942ELNS1_3gpuE9ELNS1_3repE0EEENS1_30default_config_static_selectorELNS0_4arch9wavefront6targetE0EEEvT1_: ; @_ZN7rocprim17ROCPRIM_400000_NS6detail17trampoline_kernelINS0_14default_configENS1_25transform_config_selectorIlLb0EEEZNS1_14transform_implILb0ES3_S5_NS0_18transform_iteratorINS0_17counting_iteratorImlEEZNS1_24adjacent_difference_implIS3_Lb1ELb0EPlSB_ZN2at6native12_GLOBAL__N_124unique_dim_cuda_templateIbEESt5tupleIJNSC_6TensorESH_SH_EERKSH_lbbbEUlllE1_EE10hipError_tPvRmT2_T3_mT4_P12ihipStream_tbEUlmE_lEESB_NS0_8identityIvEEEESM_SP_SQ_mSR_ST_bEUlT_E_NS1_11comp_targetILNS1_3genE5ELNS1_11target_archE942ELNS1_3gpuE9ELNS1_3repE0EEENS1_30default_config_static_selectorELNS0_4arch9wavefront6targetE0EEEvT1_
; %bb.0:
	.section	.rodata,"a",@progbits
	.p2align	6, 0x0
	.amdhsa_kernel _ZN7rocprim17ROCPRIM_400000_NS6detail17trampoline_kernelINS0_14default_configENS1_25transform_config_selectorIlLb0EEEZNS1_14transform_implILb0ES3_S5_NS0_18transform_iteratorINS0_17counting_iteratorImlEEZNS1_24adjacent_difference_implIS3_Lb1ELb0EPlSB_ZN2at6native12_GLOBAL__N_124unique_dim_cuda_templateIbEESt5tupleIJNSC_6TensorESH_SH_EERKSH_lbbbEUlllE1_EE10hipError_tPvRmT2_T3_mT4_P12ihipStream_tbEUlmE_lEESB_NS0_8identityIvEEEESM_SP_SQ_mSR_ST_bEUlT_E_NS1_11comp_targetILNS1_3genE5ELNS1_11target_archE942ELNS1_3gpuE9ELNS1_3repE0EEENS1_30default_config_static_selectorELNS0_4arch9wavefront6targetE0EEEvT1_
		.amdhsa_group_segment_fixed_size 0
		.amdhsa_private_segment_fixed_size 0
		.amdhsa_kernarg_size 56
		.amdhsa_user_sgpr_count 2
		.amdhsa_user_sgpr_dispatch_ptr 0
		.amdhsa_user_sgpr_queue_ptr 0
		.amdhsa_user_sgpr_kernarg_segment_ptr 1
		.amdhsa_user_sgpr_dispatch_id 0
		.amdhsa_user_sgpr_kernarg_preload_length 0
		.amdhsa_user_sgpr_kernarg_preload_offset 0
		.amdhsa_user_sgpr_private_segment_size 0
		.amdhsa_wavefront_size32 1
		.amdhsa_uses_dynamic_stack 0
		.amdhsa_enable_private_segment 0
		.amdhsa_system_sgpr_workgroup_id_x 1
		.amdhsa_system_sgpr_workgroup_id_y 0
		.amdhsa_system_sgpr_workgroup_id_z 0
		.amdhsa_system_sgpr_workgroup_info 0
		.amdhsa_system_vgpr_workitem_id 0
		.amdhsa_next_free_vgpr 1
		.amdhsa_next_free_sgpr 1
		.amdhsa_named_barrier_count 0
		.amdhsa_reserve_vcc 0
		.amdhsa_float_round_mode_32 0
		.amdhsa_float_round_mode_16_64 0
		.amdhsa_float_denorm_mode_32 3
		.amdhsa_float_denorm_mode_16_64 3
		.amdhsa_fp16_overflow 0
		.amdhsa_memory_ordered 1
		.amdhsa_forward_progress 1
		.amdhsa_inst_pref_size 0
		.amdhsa_round_robin_scheduling 0
		.amdhsa_exception_fp_ieee_invalid_op 0
		.amdhsa_exception_fp_denorm_src 0
		.amdhsa_exception_fp_ieee_div_zero 0
		.amdhsa_exception_fp_ieee_overflow 0
		.amdhsa_exception_fp_ieee_underflow 0
		.amdhsa_exception_fp_ieee_inexact 0
		.amdhsa_exception_int_div_zero 0
	.end_amdhsa_kernel
	.section	.text._ZN7rocprim17ROCPRIM_400000_NS6detail17trampoline_kernelINS0_14default_configENS1_25transform_config_selectorIlLb0EEEZNS1_14transform_implILb0ES3_S5_NS0_18transform_iteratorINS0_17counting_iteratorImlEEZNS1_24adjacent_difference_implIS3_Lb1ELb0EPlSB_ZN2at6native12_GLOBAL__N_124unique_dim_cuda_templateIbEESt5tupleIJNSC_6TensorESH_SH_EERKSH_lbbbEUlllE1_EE10hipError_tPvRmT2_T3_mT4_P12ihipStream_tbEUlmE_lEESB_NS0_8identityIvEEEESM_SP_SQ_mSR_ST_bEUlT_E_NS1_11comp_targetILNS1_3genE5ELNS1_11target_archE942ELNS1_3gpuE9ELNS1_3repE0EEENS1_30default_config_static_selectorELNS0_4arch9wavefront6targetE0EEEvT1_,"axG",@progbits,_ZN7rocprim17ROCPRIM_400000_NS6detail17trampoline_kernelINS0_14default_configENS1_25transform_config_selectorIlLb0EEEZNS1_14transform_implILb0ES3_S5_NS0_18transform_iteratorINS0_17counting_iteratorImlEEZNS1_24adjacent_difference_implIS3_Lb1ELb0EPlSB_ZN2at6native12_GLOBAL__N_124unique_dim_cuda_templateIbEESt5tupleIJNSC_6TensorESH_SH_EERKSH_lbbbEUlllE1_EE10hipError_tPvRmT2_T3_mT4_P12ihipStream_tbEUlmE_lEESB_NS0_8identityIvEEEESM_SP_SQ_mSR_ST_bEUlT_E_NS1_11comp_targetILNS1_3genE5ELNS1_11target_archE942ELNS1_3gpuE9ELNS1_3repE0EEENS1_30default_config_static_selectorELNS0_4arch9wavefront6targetE0EEEvT1_,comdat
.Lfunc_end1035:
	.size	_ZN7rocprim17ROCPRIM_400000_NS6detail17trampoline_kernelINS0_14default_configENS1_25transform_config_selectorIlLb0EEEZNS1_14transform_implILb0ES3_S5_NS0_18transform_iteratorINS0_17counting_iteratorImlEEZNS1_24adjacent_difference_implIS3_Lb1ELb0EPlSB_ZN2at6native12_GLOBAL__N_124unique_dim_cuda_templateIbEESt5tupleIJNSC_6TensorESH_SH_EERKSH_lbbbEUlllE1_EE10hipError_tPvRmT2_T3_mT4_P12ihipStream_tbEUlmE_lEESB_NS0_8identityIvEEEESM_SP_SQ_mSR_ST_bEUlT_E_NS1_11comp_targetILNS1_3genE5ELNS1_11target_archE942ELNS1_3gpuE9ELNS1_3repE0EEENS1_30default_config_static_selectorELNS0_4arch9wavefront6targetE0EEEvT1_, .Lfunc_end1035-_ZN7rocprim17ROCPRIM_400000_NS6detail17trampoline_kernelINS0_14default_configENS1_25transform_config_selectorIlLb0EEEZNS1_14transform_implILb0ES3_S5_NS0_18transform_iteratorINS0_17counting_iteratorImlEEZNS1_24adjacent_difference_implIS3_Lb1ELb0EPlSB_ZN2at6native12_GLOBAL__N_124unique_dim_cuda_templateIbEESt5tupleIJNSC_6TensorESH_SH_EERKSH_lbbbEUlllE1_EE10hipError_tPvRmT2_T3_mT4_P12ihipStream_tbEUlmE_lEESB_NS0_8identityIvEEEESM_SP_SQ_mSR_ST_bEUlT_E_NS1_11comp_targetILNS1_3genE5ELNS1_11target_archE942ELNS1_3gpuE9ELNS1_3repE0EEENS1_30default_config_static_selectorELNS0_4arch9wavefront6targetE0EEEvT1_
                                        ; -- End function
	.set _ZN7rocprim17ROCPRIM_400000_NS6detail17trampoline_kernelINS0_14default_configENS1_25transform_config_selectorIlLb0EEEZNS1_14transform_implILb0ES3_S5_NS0_18transform_iteratorINS0_17counting_iteratorImlEEZNS1_24adjacent_difference_implIS3_Lb1ELb0EPlSB_ZN2at6native12_GLOBAL__N_124unique_dim_cuda_templateIbEESt5tupleIJNSC_6TensorESH_SH_EERKSH_lbbbEUlllE1_EE10hipError_tPvRmT2_T3_mT4_P12ihipStream_tbEUlmE_lEESB_NS0_8identityIvEEEESM_SP_SQ_mSR_ST_bEUlT_E_NS1_11comp_targetILNS1_3genE5ELNS1_11target_archE942ELNS1_3gpuE9ELNS1_3repE0EEENS1_30default_config_static_selectorELNS0_4arch9wavefront6targetE0EEEvT1_.num_vgpr, 0
	.set _ZN7rocprim17ROCPRIM_400000_NS6detail17trampoline_kernelINS0_14default_configENS1_25transform_config_selectorIlLb0EEEZNS1_14transform_implILb0ES3_S5_NS0_18transform_iteratorINS0_17counting_iteratorImlEEZNS1_24adjacent_difference_implIS3_Lb1ELb0EPlSB_ZN2at6native12_GLOBAL__N_124unique_dim_cuda_templateIbEESt5tupleIJNSC_6TensorESH_SH_EERKSH_lbbbEUlllE1_EE10hipError_tPvRmT2_T3_mT4_P12ihipStream_tbEUlmE_lEESB_NS0_8identityIvEEEESM_SP_SQ_mSR_ST_bEUlT_E_NS1_11comp_targetILNS1_3genE5ELNS1_11target_archE942ELNS1_3gpuE9ELNS1_3repE0EEENS1_30default_config_static_selectorELNS0_4arch9wavefront6targetE0EEEvT1_.num_agpr, 0
	.set _ZN7rocprim17ROCPRIM_400000_NS6detail17trampoline_kernelINS0_14default_configENS1_25transform_config_selectorIlLb0EEEZNS1_14transform_implILb0ES3_S5_NS0_18transform_iteratorINS0_17counting_iteratorImlEEZNS1_24adjacent_difference_implIS3_Lb1ELb0EPlSB_ZN2at6native12_GLOBAL__N_124unique_dim_cuda_templateIbEESt5tupleIJNSC_6TensorESH_SH_EERKSH_lbbbEUlllE1_EE10hipError_tPvRmT2_T3_mT4_P12ihipStream_tbEUlmE_lEESB_NS0_8identityIvEEEESM_SP_SQ_mSR_ST_bEUlT_E_NS1_11comp_targetILNS1_3genE5ELNS1_11target_archE942ELNS1_3gpuE9ELNS1_3repE0EEENS1_30default_config_static_selectorELNS0_4arch9wavefront6targetE0EEEvT1_.numbered_sgpr, 0
	.set _ZN7rocprim17ROCPRIM_400000_NS6detail17trampoline_kernelINS0_14default_configENS1_25transform_config_selectorIlLb0EEEZNS1_14transform_implILb0ES3_S5_NS0_18transform_iteratorINS0_17counting_iteratorImlEEZNS1_24adjacent_difference_implIS3_Lb1ELb0EPlSB_ZN2at6native12_GLOBAL__N_124unique_dim_cuda_templateIbEESt5tupleIJNSC_6TensorESH_SH_EERKSH_lbbbEUlllE1_EE10hipError_tPvRmT2_T3_mT4_P12ihipStream_tbEUlmE_lEESB_NS0_8identityIvEEEESM_SP_SQ_mSR_ST_bEUlT_E_NS1_11comp_targetILNS1_3genE5ELNS1_11target_archE942ELNS1_3gpuE9ELNS1_3repE0EEENS1_30default_config_static_selectorELNS0_4arch9wavefront6targetE0EEEvT1_.num_named_barrier, 0
	.set _ZN7rocprim17ROCPRIM_400000_NS6detail17trampoline_kernelINS0_14default_configENS1_25transform_config_selectorIlLb0EEEZNS1_14transform_implILb0ES3_S5_NS0_18transform_iteratorINS0_17counting_iteratorImlEEZNS1_24adjacent_difference_implIS3_Lb1ELb0EPlSB_ZN2at6native12_GLOBAL__N_124unique_dim_cuda_templateIbEESt5tupleIJNSC_6TensorESH_SH_EERKSH_lbbbEUlllE1_EE10hipError_tPvRmT2_T3_mT4_P12ihipStream_tbEUlmE_lEESB_NS0_8identityIvEEEESM_SP_SQ_mSR_ST_bEUlT_E_NS1_11comp_targetILNS1_3genE5ELNS1_11target_archE942ELNS1_3gpuE9ELNS1_3repE0EEENS1_30default_config_static_selectorELNS0_4arch9wavefront6targetE0EEEvT1_.private_seg_size, 0
	.set _ZN7rocprim17ROCPRIM_400000_NS6detail17trampoline_kernelINS0_14default_configENS1_25transform_config_selectorIlLb0EEEZNS1_14transform_implILb0ES3_S5_NS0_18transform_iteratorINS0_17counting_iteratorImlEEZNS1_24adjacent_difference_implIS3_Lb1ELb0EPlSB_ZN2at6native12_GLOBAL__N_124unique_dim_cuda_templateIbEESt5tupleIJNSC_6TensorESH_SH_EERKSH_lbbbEUlllE1_EE10hipError_tPvRmT2_T3_mT4_P12ihipStream_tbEUlmE_lEESB_NS0_8identityIvEEEESM_SP_SQ_mSR_ST_bEUlT_E_NS1_11comp_targetILNS1_3genE5ELNS1_11target_archE942ELNS1_3gpuE9ELNS1_3repE0EEENS1_30default_config_static_selectorELNS0_4arch9wavefront6targetE0EEEvT1_.uses_vcc, 0
	.set _ZN7rocprim17ROCPRIM_400000_NS6detail17trampoline_kernelINS0_14default_configENS1_25transform_config_selectorIlLb0EEEZNS1_14transform_implILb0ES3_S5_NS0_18transform_iteratorINS0_17counting_iteratorImlEEZNS1_24adjacent_difference_implIS3_Lb1ELb0EPlSB_ZN2at6native12_GLOBAL__N_124unique_dim_cuda_templateIbEESt5tupleIJNSC_6TensorESH_SH_EERKSH_lbbbEUlllE1_EE10hipError_tPvRmT2_T3_mT4_P12ihipStream_tbEUlmE_lEESB_NS0_8identityIvEEEESM_SP_SQ_mSR_ST_bEUlT_E_NS1_11comp_targetILNS1_3genE5ELNS1_11target_archE942ELNS1_3gpuE9ELNS1_3repE0EEENS1_30default_config_static_selectorELNS0_4arch9wavefront6targetE0EEEvT1_.uses_flat_scratch, 0
	.set _ZN7rocprim17ROCPRIM_400000_NS6detail17trampoline_kernelINS0_14default_configENS1_25transform_config_selectorIlLb0EEEZNS1_14transform_implILb0ES3_S5_NS0_18transform_iteratorINS0_17counting_iteratorImlEEZNS1_24adjacent_difference_implIS3_Lb1ELb0EPlSB_ZN2at6native12_GLOBAL__N_124unique_dim_cuda_templateIbEESt5tupleIJNSC_6TensorESH_SH_EERKSH_lbbbEUlllE1_EE10hipError_tPvRmT2_T3_mT4_P12ihipStream_tbEUlmE_lEESB_NS0_8identityIvEEEESM_SP_SQ_mSR_ST_bEUlT_E_NS1_11comp_targetILNS1_3genE5ELNS1_11target_archE942ELNS1_3gpuE9ELNS1_3repE0EEENS1_30default_config_static_selectorELNS0_4arch9wavefront6targetE0EEEvT1_.has_dyn_sized_stack, 0
	.set _ZN7rocprim17ROCPRIM_400000_NS6detail17trampoline_kernelINS0_14default_configENS1_25transform_config_selectorIlLb0EEEZNS1_14transform_implILb0ES3_S5_NS0_18transform_iteratorINS0_17counting_iteratorImlEEZNS1_24adjacent_difference_implIS3_Lb1ELb0EPlSB_ZN2at6native12_GLOBAL__N_124unique_dim_cuda_templateIbEESt5tupleIJNSC_6TensorESH_SH_EERKSH_lbbbEUlllE1_EE10hipError_tPvRmT2_T3_mT4_P12ihipStream_tbEUlmE_lEESB_NS0_8identityIvEEEESM_SP_SQ_mSR_ST_bEUlT_E_NS1_11comp_targetILNS1_3genE5ELNS1_11target_archE942ELNS1_3gpuE9ELNS1_3repE0EEENS1_30default_config_static_selectorELNS0_4arch9wavefront6targetE0EEEvT1_.has_recursion, 0
	.set _ZN7rocprim17ROCPRIM_400000_NS6detail17trampoline_kernelINS0_14default_configENS1_25transform_config_selectorIlLb0EEEZNS1_14transform_implILb0ES3_S5_NS0_18transform_iteratorINS0_17counting_iteratorImlEEZNS1_24adjacent_difference_implIS3_Lb1ELb0EPlSB_ZN2at6native12_GLOBAL__N_124unique_dim_cuda_templateIbEESt5tupleIJNSC_6TensorESH_SH_EERKSH_lbbbEUlllE1_EE10hipError_tPvRmT2_T3_mT4_P12ihipStream_tbEUlmE_lEESB_NS0_8identityIvEEEESM_SP_SQ_mSR_ST_bEUlT_E_NS1_11comp_targetILNS1_3genE5ELNS1_11target_archE942ELNS1_3gpuE9ELNS1_3repE0EEENS1_30default_config_static_selectorELNS0_4arch9wavefront6targetE0EEEvT1_.has_indirect_call, 0
	.section	.AMDGPU.csdata,"",@progbits
; Kernel info:
; codeLenInByte = 0
; TotalNumSgprs: 0
; NumVgprs: 0
; ScratchSize: 0
; MemoryBound: 0
; FloatMode: 240
; IeeeMode: 1
; LDSByteSize: 0 bytes/workgroup (compile time only)
; SGPRBlocks: 0
; VGPRBlocks: 0
; NumSGPRsForWavesPerEU: 1
; NumVGPRsForWavesPerEU: 1
; NamedBarCnt: 0
; Occupancy: 16
; WaveLimiterHint : 0
; COMPUTE_PGM_RSRC2:SCRATCH_EN: 0
; COMPUTE_PGM_RSRC2:USER_SGPR: 2
; COMPUTE_PGM_RSRC2:TRAP_HANDLER: 0
; COMPUTE_PGM_RSRC2:TGID_X_EN: 1
; COMPUTE_PGM_RSRC2:TGID_Y_EN: 0
; COMPUTE_PGM_RSRC2:TGID_Z_EN: 0
; COMPUTE_PGM_RSRC2:TIDIG_COMP_CNT: 0
	.section	.text._ZN7rocprim17ROCPRIM_400000_NS6detail17trampoline_kernelINS0_14default_configENS1_25transform_config_selectorIlLb0EEEZNS1_14transform_implILb0ES3_S5_NS0_18transform_iteratorINS0_17counting_iteratorImlEEZNS1_24adjacent_difference_implIS3_Lb1ELb0EPlSB_ZN2at6native12_GLOBAL__N_124unique_dim_cuda_templateIbEESt5tupleIJNSC_6TensorESH_SH_EERKSH_lbbbEUlllE1_EE10hipError_tPvRmT2_T3_mT4_P12ihipStream_tbEUlmE_lEESB_NS0_8identityIvEEEESM_SP_SQ_mSR_ST_bEUlT_E_NS1_11comp_targetILNS1_3genE4ELNS1_11target_archE910ELNS1_3gpuE8ELNS1_3repE0EEENS1_30default_config_static_selectorELNS0_4arch9wavefront6targetE0EEEvT1_,"axG",@progbits,_ZN7rocprim17ROCPRIM_400000_NS6detail17trampoline_kernelINS0_14default_configENS1_25transform_config_selectorIlLb0EEEZNS1_14transform_implILb0ES3_S5_NS0_18transform_iteratorINS0_17counting_iteratorImlEEZNS1_24adjacent_difference_implIS3_Lb1ELb0EPlSB_ZN2at6native12_GLOBAL__N_124unique_dim_cuda_templateIbEESt5tupleIJNSC_6TensorESH_SH_EERKSH_lbbbEUlllE1_EE10hipError_tPvRmT2_T3_mT4_P12ihipStream_tbEUlmE_lEESB_NS0_8identityIvEEEESM_SP_SQ_mSR_ST_bEUlT_E_NS1_11comp_targetILNS1_3genE4ELNS1_11target_archE910ELNS1_3gpuE8ELNS1_3repE0EEENS1_30default_config_static_selectorELNS0_4arch9wavefront6targetE0EEEvT1_,comdat
	.globl	_ZN7rocprim17ROCPRIM_400000_NS6detail17trampoline_kernelINS0_14default_configENS1_25transform_config_selectorIlLb0EEEZNS1_14transform_implILb0ES3_S5_NS0_18transform_iteratorINS0_17counting_iteratorImlEEZNS1_24adjacent_difference_implIS3_Lb1ELb0EPlSB_ZN2at6native12_GLOBAL__N_124unique_dim_cuda_templateIbEESt5tupleIJNSC_6TensorESH_SH_EERKSH_lbbbEUlllE1_EE10hipError_tPvRmT2_T3_mT4_P12ihipStream_tbEUlmE_lEESB_NS0_8identityIvEEEESM_SP_SQ_mSR_ST_bEUlT_E_NS1_11comp_targetILNS1_3genE4ELNS1_11target_archE910ELNS1_3gpuE8ELNS1_3repE0EEENS1_30default_config_static_selectorELNS0_4arch9wavefront6targetE0EEEvT1_ ; -- Begin function _ZN7rocprim17ROCPRIM_400000_NS6detail17trampoline_kernelINS0_14default_configENS1_25transform_config_selectorIlLb0EEEZNS1_14transform_implILb0ES3_S5_NS0_18transform_iteratorINS0_17counting_iteratorImlEEZNS1_24adjacent_difference_implIS3_Lb1ELb0EPlSB_ZN2at6native12_GLOBAL__N_124unique_dim_cuda_templateIbEESt5tupleIJNSC_6TensorESH_SH_EERKSH_lbbbEUlllE1_EE10hipError_tPvRmT2_T3_mT4_P12ihipStream_tbEUlmE_lEESB_NS0_8identityIvEEEESM_SP_SQ_mSR_ST_bEUlT_E_NS1_11comp_targetILNS1_3genE4ELNS1_11target_archE910ELNS1_3gpuE8ELNS1_3repE0EEENS1_30default_config_static_selectorELNS0_4arch9wavefront6targetE0EEEvT1_
	.p2align	8
	.type	_ZN7rocprim17ROCPRIM_400000_NS6detail17trampoline_kernelINS0_14default_configENS1_25transform_config_selectorIlLb0EEEZNS1_14transform_implILb0ES3_S5_NS0_18transform_iteratorINS0_17counting_iteratorImlEEZNS1_24adjacent_difference_implIS3_Lb1ELb0EPlSB_ZN2at6native12_GLOBAL__N_124unique_dim_cuda_templateIbEESt5tupleIJNSC_6TensorESH_SH_EERKSH_lbbbEUlllE1_EE10hipError_tPvRmT2_T3_mT4_P12ihipStream_tbEUlmE_lEESB_NS0_8identityIvEEEESM_SP_SQ_mSR_ST_bEUlT_E_NS1_11comp_targetILNS1_3genE4ELNS1_11target_archE910ELNS1_3gpuE8ELNS1_3repE0EEENS1_30default_config_static_selectorELNS0_4arch9wavefront6targetE0EEEvT1_,@function
_ZN7rocprim17ROCPRIM_400000_NS6detail17trampoline_kernelINS0_14default_configENS1_25transform_config_selectorIlLb0EEEZNS1_14transform_implILb0ES3_S5_NS0_18transform_iteratorINS0_17counting_iteratorImlEEZNS1_24adjacent_difference_implIS3_Lb1ELb0EPlSB_ZN2at6native12_GLOBAL__N_124unique_dim_cuda_templateIbEESt5tupleIJNSC_6TensorESH_SH_EERKSH_lbbbEUlllE1_EE10hipError_tPvRmT2_T3_mT4_P12ihipStream_tbEUlmE_lEESB_NS0_8identityIvEEEESM_SP_SQ_mSR_ST_bEUlT_E_NS1_11comp_targetILNS1_3genE4ELNS1_11target_archE910ELNS1_3gpuE8ELNS1_3repE0EEENS1_30default_config_static_selectorELNS0_4arch9wavefront6targetE0EEEvT1_: ; @_ZN7rocprim17ROCPRIM_400000_NS6detail17trampoline_kernelINS0_14default_configENS1_25transform_config_selectorIlLb0EEEZNS1_14transform_implILb0ES3_S5_NS0_18transform_iteratorINS0_17counting_iteratorImlEEZNS1_24adjacent_difference_implIS3_Lb1ELb0EPlSB_ZN2at6native12_GLOBAL__N_124unique_dim_cuda_templateIbEESt5tupleIJNSC_6TensorESH_SH_EERKSH_lbbbEUlllE1_EE10hipError_tPvRmT2_T3_mT4_P12ihipStream_tbEUlmE_lEESB_NS0_8identityIvEEEESM_SP_SQ_mSR_ST_bEUlT_E_NS1_11comp_targetILNS1_3genE4ELNS1_11target_archE910ELNS1_3gpuE8ELNS1_3repE0EEENS1_30default_config_static_selectorELNS0_4arch9wavefront6targetE0EEEvT1_
; %bb.0:
	.section	.rodata,"a",@progbits
	.p2align	6, 0x0
	.amdhsa_kernel _ZN7rocprim17ROCPRIM_400000_NS6detail17trampoline_kernelINS0_14default_configENS1_25transform_config_selectorIlLb0EEEZNS1_14transform_implILb0ES3_S5_NS0_18transform_iteratorINS0_17counting_iteratorImlEEZNS1_24adjacent_difference_implIS3_Lb1ELb0EPlSB_ZN2at6native12_GLOBAL__N_124unique_dim_cuda_templateIbEESt5tupleIJNSC_6TensorESH_SH_EERKSH_lbbbEUlllE1_EE10hipError_tPvRmT2_T3_mT4_P12ihipStream_tbEUlmE_lEESB_NS0_8identityIvEEEESM_SP_SQ_mSR_ST_bEUlT_E_NS1_11comp_targetILNS1_3genE4ELNS1_11target_archE910ELNS1_3gpuE8ELNS1_3repE0EEENS1_30default_config_static_selectorELNS0_4arch9wavefront6targetE0EEEvT1_
		.amdhsa_group_segment_fixed_size 0
		.amdhsa_private_segment_fixed_size 0
		.amdhsa_kernarg_size 56
		.amdhsa_user_sgpr_count 2
		.amdhsa_user_sgpr_dispatch_ptr 0
		.amdhsa_user_sgpr_queue_ptr 0
		.amdhsa_user_sgpr_kernarg_segment_ptr 1
		.amdhsa_user_sgpr_dispatch_id 0
		.amdhsa_user_sgpr_kernarg_preload_length 0
		.amdhsa_user_sgpr_kernarg_preload_offset 0
		.amdhsa_user_sgpr_private_segment_size 0
		.amdhsa_wavefront_size32 1
		.amdhsa_uses_dynamic_stack 0
		.amdhsa_enable_private_segment 0
		.amdhsa_system_sgpr_workgroup_id_x 1
		.amdhsa_system_sgpr_workgroup_id_y 0
		.amdhsa_system_sgpr_workgroup_id_z 0
		.amdhsa_system_sgpr_workgroup_info 0
		.amdhsa_system_vgpr_workitem_id 0
		.amdhsa_next_free_vgpr 1
		.amdhsa_next_free_sgpr 1
		.amdhsa_named_barrier_count 0
		.amdhsa_reserve_vcc 0
		.amdhsa_float_round_mode_32 0
		.amdhsa_float_round_mode_16_64 0
		.amdhsa_float_denorm_mode_32 3
		.amdhsa_float_denorm_mode_16_64 3
		.amdhsa_fp16_overflow 0
		.amdhsa_memory_ordered 1
		.amdhsa_forward_progress 1
		.amdhsa_inst_pref_size 0
		.amdhsa_round_robin_scheduling 0
		.amdhsa_exception_fp_ieee_invalid_op 0
		.amdhsa_exception_fp_denorm_src 0
		.amdhsa_exception_fp_ieee_div_zero 0
		.amdhsa_exception_fp_ieee_overflow 0
		.amdhsa_exception_fp_ieee_underflow 0
		.amdhsa_exception_fp_ieee_inexact 0
		.amdhsa_exception_int_div_zero 0
	.end_amdhsa_kernel
	.section	.text._ZN7rocprim17ROCPRIM_400000_NS6detail17trampoline_kernelINS0_14default_configENS1_25transform_config_selectorIlLb0EEEZNS1_14transform_implILb0ES3_S5_NS0_18transform_iteratorINS0_17counting_iteratorImlEEZNS1_24adjacent_difference_implIS3_Lb1ELb0EPlSB_ZN2at6native12_GLOBAL__N_124unique_dim_cuda_templateIbEESt5tupleIJNSC_6TensorESH_SH_EERKSH_lbbbEUlllE1_EE10hipError_tPvRmT2_T3_mT4_P12ihipStream_tbEUlmE_lEESB_NS0_8identityIvEEEESM_SP_SQ_mSR_ST_bEUlT_E_NS1_11comp_targetILNS1_3genE4ELNS1_11target_archE910ELNS1_3gpuE8ELNS1_3repE0EEENS1_30default_config_static_selectorELNS0_4arch9wavefront6targetE0EEEvT1_,"axG",@progbits,_ZN7rocprim17ROCPRIM_400000_NS6detail17trampoline_kernelINS0_14default_configENS1_25transform_config_selectorIlLb0EEEZNS1_14transform_implILb0ES3_S5_NS0_18transform_iteratorINS0_17counting_iteratorImlEEZNS1_24adjacent_difference_implIS3_Lb1ELb0EPlSB_ZN2at6native12_GLOBAL__N_124unique_dim_cuda_templateIbEESt5tupleIJNSC_6TensorESH_SH_EERKSH_lbbbEUlllE1_EE10hipError_tPvRmT2_T3_mT4_P12ihipStream_tbEUlmE_lEESB_NS0_8identityIvEEEESM_SP_SQ_mSR_ST_bEUlT_E_NS1_11comp_targetILNS1_3genE4ELNS1_11target_archE910ELNS1_3gpuE8ELNS1_3repE0EEENS1_30default_config_static_selectorELNS0_4arch9wavefront6targetE0EEEvT1_,comdat
.Lfunc_end1036:
	.size	_ZN7rocprim17ROCPRIM_400000_NS6detail17trampoline_kernelINS0_14default_configENS1_25transform_config_selectorIlLb0EEEZNS1_14transform_implILb0ES3_S5_NS0_18transform_iteratorINS0_17counting_iteratorImlEEZNS1_24adjacent_difference_implIS3_Lb1ELb0EPlSB_ZN2at6native12_GLOBAL__N_124unique_dim_cuda_templateIbEESt5tupleIJNSC_6TensorESH_SH_EERKSH_lbbbEUlllE1_EE10hipError_tPvRmT2_T3_mT4_P12ihipStream_tbEUlmE_lEESB_NS0_8identityIvEEEESM_SP_SQ_mSR_ST_bEUlT_E_NS1_11comp_targetILNS1_3genE4ELNS1_11target_archE910ELNS1_3gpuE8ELNS1_3repE0EEENS1_30default_config_static_selectorELNS0_4arch9wavefront6targetE0EEEvT1_, .Lfunc_end1036-_ZN7rocprim17ROCPRIM_400000_NS6detail17trampoline_kernelINS0_14default_configENS1_25transform_config_selectorIlLb0EEEZNS1_14transform_implILb0ES3_S5_NS0_18transform_iteratorINS0_17counting_iteratorImlEEZNS1_24adjacent_difference_implIS3_Lb1ELb0EPlSB_ZN2at6native12_GLOBAL__N_124unique_dim_cuda_templateIbEESt5tupleIJNSC_6TensorESH_SH_EERKSH_lbbbEUlllE1_EE10hipError_tPvRmT2_T3_mT4_P12ihipStream_tbEUlmE_lEESB_NS0_8identityIvEEEESM_SP_SQ_mSR_ST_bEUlT_E_NS1_11comp_targetILNS1_3genE4ELNS1_11target_archE910ELNS1_3gpuE8ELNS1_3repE0EEENS1_30default_config_static_selectorELNS0_4arch9wavefront6targetE0EEEvT1_
                                        ; -- End function
	.set _ZN7rocprim17ROCPRIM_400000_NS6detail17trampoline_kernelINS0_14default_configENS1_25transform_config_selectorIlLb0EEEZNS1_14transform_implILb0ES3_S5_NS0_18transform_iteratorINS0_17counting_iteratorImlEEZNS1_24adjacent_difference_implIS3_Lb1ELb0EPlSB_ZN2at6native12_GLOBAL__N_124unique_dim_cuda_templateIbEESt5tupleIJNSC_6TensorESH_SH_EERKSH_lbbbEUlllE1_EE10hipError_tPvRmT2_T3_mT4_P12ihipStream_tbEUlmE_lEESB_NS0_8identityIvEEEESM_SP_SQ_mSR_ST_bEUlT_E_NS1_11comp_targetILNS1_3genE4ELNS1_11target_archE910ELNS1_3gpuE8ELNS1_3repE0EEENS1_30default_config_static_selectorELNS0_4arch9wavefront6targetE0EEEvT1_.num_vgpr, 0
	.set _ZN7rocprim17ROCPRIM_400000_NS6detail17trampoline_kernelINS0_14default_configENS1_25transform_config_selectorIlLb0EEEZNS1_14transform_implILb0ES3_S5_NS0_18transform_iteratorINS0_17counting_iteratorImlEEZNS1_24adjacent_difference_implIS3_Lb1ELb0EPlSB_ZN2at6native12_GLOBAL__N_124unique_dim_cuda_templateIbEESt5tupleIJNSC_6TensorESH_SH_EERKSH_lbbbEUlllE1_EE10hipError_tPvRmT2_T3_mT4_P12ihipStream_tbEUlmE_lEESB_NS0_8identityIvEEEESM_SP_SQ_mSR_ST_bEUlT_E_NS1_11comp_targetILNS1_3genE4ELNS1_11target_archE910ELNS1_3gpuE8ELNS1_3repE0EEENS1_30default_config_static_selectorELNS0_4arch9wavefront6targetE0EEEvT1_.num_agpr, 0
	.set _ZN7rocprim17ROCPRIM_400000_NS6detail17trampoline_kernelINS0_14default_configENS1_25transform_config_selectorIlLb0EEEZNS1_14transform_implILb0ES3_S5_NS0_18transform_iteratorINS0_17counting_iteratorImlEEZNS1_24adjacent_difference_implIS3_Lb1ELb0EPlSB_ZN2at6native12_GLOBAL__N_124unique_dim_cuda_templateIbEESt5tupleIJNSC_6TensorESH_SH_EERKSH_lbbbEUlllE1_EE10hipError_tPvRmT2_T3_mT4_P12ihipStream_tbEUlmE_lEESB_NS0_8identityIvEEEESM_SP_SQ_mSR_ST_bEUlT_E_NS1_11comp_targetILNS1_3genE4ELNS1_11target_archE910ELNS1_3gpuE8ELNS1_3repE0EEENS1_30default_config_static_selectorELNS0_4arch9wavefront6targetE0EEEvT1_.numbered_sgpr, 0
	.set _ZN7rocprim17ROCPRIM_400000_NS6detail17trampoline_kernelINS0_14default_configENS1_25transform_config_selectorIlLb0EEEZNS1_14transform_implILb0ES3_S5_NS0_18transform_iteratorINS0_17counting_iteratorImlEEZNS1_24adjacent_difference_implIS3_Lb1ELb0EPlSB_ZN2at6native12_GLOBAL__N_124unique_dim_cuda_templateIbEESt5tupleIJNSC_6TensorESH_SH_EERKSH_lbbbEUlllE1_EE10hipError_tPvRmT2_T3_mT4_P12ihipStream_tbEUlmE_lEESB_NS0_8identityIvEEEESM_SP_SQ_mSR_ST_bEUlT_E_NS1_11comp_targetILNS1_3genE4ELNS1_11target_archE910ELNS1_3gpuE8ELNS1_3repE0EEENS1_30default_config_static_selectorELNS0_4arch9wavefront6targetE0EEEvT1_.num_named_barrier, 0
	.set _ZN7rocprim17ROCPRIM_400000_NS6detail17trampoline_kernelINS0_14default_configENS1_25transform_config_selectorIlLb0EEEZNS1_14transform_implILb0ES3_S5_NS0_18transform_iteratorINS0_17counting_iteratorImlEEZNS1_24adjacent_difference_implIS3_Lb1ELb0EPlSB_ZN2at6native12_GLOBAL__N_124unique_dim_cuda_templateIbEESt5tupleIJNSC_6TensorESH_SH_EERKSH_lbbbEUlllE1_EE10hipError_tPvRmT2_T3_mT4_P12ihipStream_tbEUlmE_lEESB_NS0_8identityIvEEEESM_SP_SQ_mSR_ST_bEUlT_E_NS1_11comp_targetILNS1_3genE4ELNS1_11target_archE910ELNS1_3gpuE8ELNS1_3repE0EEENS1_30default_config_static_selectorELNS0_4arch9wavefront6targetE0EEEvT1_.private_seg_size, 0
	.set _ZN7rocprim17ROCPRIM_400000_NS6detail17trampoline_kernelINS0_14default_configENS1_25transform_config_selectorIlLb0EEEZNS1_14transform_implILb0ES3_S5_NS0_18transform_iteratorINS0_17counting_iteratorImlEEZNS1_24adjacent_difference_implIS3_Lb1ELb0EPlSB_ZN2at6native12_GLOBAL__N_124unique_dim_cuda_templateIbEESt5tupleIJNSC_6TensorESH_SH_EERKSH_lbbbEUlllE1_EE10hipError_tPvRmT2_T3_mT4_P12ihipStream_tbEUlmE_lEESB_NS0_8identityIvEEEESM_SP_SQ_mSR_ST_bEUlT_E_NS1_11comp_targetILNS1_3genE4ELNS1_11target_archE910ELNS1_3gpuE8ELNS1_3repE0EEENS1_30default_config_static_selectorELNS0_4arch9wavefront6targetE0EEEvT1_.uses_vcc, 0
	.set _ZN7rocprim17ROCPRIM_400000_NS6detail17trampoline_kernelINS0_14default_configENS1_25transform_config_selectorIlLb0EEEZNS1_14transform_implILb0ES3_S5_NS0_18transform_iteratorINS0_17counting_iteratorImlEEZNS1_24adjacent_difference_implIS3_Lb1ELb0EPlSB_ZN2at6native12_GLOBAL__N_124unique_dim_cuda_templateIbEESt5tupleIJNSC_6TensorESH_SH_EERKSH_lbbbEUlllE1_EE10hipError_tPvRmT2_T3_mT4_P12ihipStream_tbEUlmE_lEESB_NS0_8identityIvEEEESM_SP_SQ_mSR_ST_bEUlT_E_NS1_11comp_targetILNS1_3genE4ELNS1_11target_archE910ELNS1_3gpuE8ELNS1_3repE0EEENS1_30default_config_static_selectorELNS0_4arch9wavefront6targetE0EEEvT1_.uses_flat_scratch, 0
	.set _ZN7rocprim17ROCPRIM_400000_NS6detail17trampoline_kernelINS0_14default_configENS1_25transform_config_selectorIlLb0EEEZNS1_14transform_implILb0ES3_S5_NS0_18transform_iteratorINS0_17counting_iteratorImlEEZNS1_24adjacent_difference_implIS3_Lb1ELb0EPlSB_ZN2at6native12_GLOBAL__N_124unique_dim_cuda_templateIbEESt5tupleIJNSC_6TensorESH_SH_EERKSH_lbbbEUlllE1_EE10hipError_tPvRmT2_T3_mT4_P12ihipStream_tbEUlmE_lEESB_NS0_8identityIvEEEESM_SP_SQ_mSR_ST_bEUlT_E_NS1_11comp_targetILNS1_3genE4ELNS1_11target_archE910ELNS1_3gpuE8ELNS1_3repE0EEENS1_30default_config_static_selectorELNS0_4arch9wavefront6targetE0EEEvT1_.has_dyn_sized_stack, 0
	.set _ZN7rocprim17ROCPRIM_400000_NS6detail17trampoline_kernelINS0_14default_configENS1_25transform_config_selectorIlLb0EEEZNS1_14transform_implILb0ES3_S5_NS0_18transform_iteratorINS0_17counting_iteratorImlEEZNS1_24adjacent_difference_implIS3_Lb1ELb0EPlSB_ZN2at6native12_GLOBAL__N_124unique_dim_cuda_templateIbEESt5tupleIJNSC_6TensorESH_SH_EERKSH_lbbbEUlllE1_EE10hipError_tPvRmT2_T3_mT4_P12ihipStream_tbEUlmE_lEESB_NS0_8identityIvEEEESM_SP_SQ_mSR_ST_bEUlT_E_NS1_11comp_targetILNS1_3genE4ELNS1_11target_archE910ELNS1_3gpuE8ELNS1_3repE0EEENS1_30default_config_static_selectorELNS0_4arch9wavefront6targetE0EEEvT1_.has_recursion, 0
	.set _ZN7rocprim17ROCPRIM_400000_NS6detail17trampoline_kernelINS0_14default_configENS1_25transform_config_selectorIlLb0EEEZNS1_14transform_implILb0ES3_S5_NS0_18transform_iteratorINS0_17counting_iteratorImlEEZNS1_24adjacent_difference_implIS3_Lb1ELb0EPlSB_ZN2at6native12_GLOBAL__N_124unique_dim_cuda_templateIbEESt5tupleIJNSC_6TensorESH_SH_EERKSH_lbbbEUlllE1_EE10hipError_tPvRmT2_T3_mT4_P12ihipStream_tbEUlmE_lEESB_NS0_8identityIvEEEESM_SP_SQ_mSR_ST_bEUlT_E_NS1_11comp_targetILNS1_3genE4ELNS1_11target_archE910ELNS1_3gpuE8ELNS1_3repE0EEENS1_30default_config_static_selectorELNS0_4arch9wavefront6targetE0EEEvT1_.has_indirect_call, 0
	.section	.AMDGPU.csdata,"",@progbits
; Kernel info:
; codeLenInByte = 0
; TotalNumSgprs: 0
; NumVgprs: 0
; ScratchSize: 0
; MemoryBound: 0
; FloatMode: 240
; IeeeMode: 1
; LDSByteSize: 0 bytes/workgroup (compile time only)
; SGPRBlocks: 0
; VGPRBlocks: 0
; NumSGPRsForWavesPerEU: 1
; NumVGPRsForWavesPerEU: 1
; NamedBarCnt: 0
; Occupancy: 16
; WaveLimiterHint : 0
; COMPUTE_PGM_RSRC2:SCRATCH_EN: 0
; COMPUTE_PGM_RSRC2:USER_SGPR: 2
; COMPUTE_PGM_RSRC2:TRAP_HANDLER: 0
; COMPUTE_PGM_RSRC2:TGID_X_EN: 1
; COMPUTE_PGM_RSRC2:TGID_Y_EN: 0
; COMPUTE_PGM_RSRC2:TGID_Z_EN: 0
; COMPUTE_PGM_RSRC2:TIDIG_COMP_CNT: 0
	.section	.text._ZN7rocprim17ROCPRIM_400000_NS6detail17trampoline_kernelINS0_14default_configENS1_25transform_config_selectorIlLb0EEEZNS1_14transform_implILb0ES3_S5_NS0_18transform_iteratorINS0_17counting_iteratorImlEEZNS1_24adjacent_difference_implIS3_Lb1ELb0EPlSB_ZN2at6native12_GLOBAL__N_124unique_dim_cuda_templateIbEESt5tupleIJNSC_6TensorESH_SH_EERKSH_lbbbEUlllE1_EE10hipError_tPvRmT2_T3_mT4_P12ihipStream_tbEUlmE_lEESB_NS0_8identityIvEEEESM_SP_SQ_mSR_ST_bEUlT_E_NS1_11comp_targetILNS1_3genE3ELNS1_11target_archE908ELNS1_3gpuE7ELNS1_3repE0EEENS1_30default_config_static_selectorELNS0_4arch9wavefront6targetE0EEEvT1_,"axG",@progbits,_ZN7rocprim17ROCPRIM_400000_NS6detail17trampoline_kernelINS0_14default_configENS1_25transform_config_selectorIlLb0EEEZNS1_14transform_implILb0ES3_S5_NS0_18transform_iteratorINS0_17counting_iteratorImlEEZNS1_24adjacent_difference_implIS3_Lb1ELb0EPlSB_ZN2at6native12_GLOBAL__N_124unique_dim_cuda_templateIbEESt5tupleIJNSC_6TensorESH_SH_EERKSH_lbbbEUlllE1_EE10hipError_tPvRmT2_T3_mT4_P12ihipStream_tbEUlmE_lEESB_NS0_8identityIvEEEESM_SP_SQ_mSR_ST_bEUlT_E_NS1_11comp_targetILNS1_3genE3ELNS1_11target_archE908ELNS1_3gpuE7ELNS1_3repE0EEENS1_30default_config_static_selectorELNS0_4arch9wavefront6targetE0EEEvT1_,comdat
	.globl	_ZN7rocprim17ROCPRIM_400000_NS6detail17trampoline_kernelINS0_14default_configENS1_25transform_config_selectorIlLb0EEEZNS1_14transform_implILb0ES3_S5_NS0_18transform_iteratorINS0_17counting_iteratorImlEEZNS1_24adjacent_difference_implIS3_Lb1ELb0EPlSB_ZN2at6native12_GLOBAL__N_124unique_dim_cuda_templateIbEESt5tupleIJNSC_6TensorESH_SH_EERKSH_lbbbEUlllE1_EE10hipError_tPvRmT2_T3_mT4_P12ihipStream_tbEUlmE_lEESB_NS0_8identityIvEEEESM_SP_SQ_mSR_ST_bEUlT_E_NS1_11comp_targetILNS1_3genE3ELNS1_11target_archE908ELNS1_3gpuE7ELNS1_3repE0EEENS1_30default_config_static_selectorELNS0_4arch9wavefront6targetE0EEEvT1_ ; -- Begin function _ZN7rocprim17ROCPRIM_400000_NS6detail17trampoline_kernelINS0_14default_configENS1_25transform_config_selectorIlLb0EEEZNS1_14transform_implILb0ES3_S5_NS0_18transform_iteratorINS0_17counting_iteratorImlEEZNS1_24adjacent_difference_implIS3_Lb1ELb0EPlSB_ZN2at6native12_GLOBAL__N_124unique_dim_cuda_templateIbEESt5tupleIJNSC_6TensorESH_SH_EERKSH_lbbbEUlllE1_EE10hipError_tPvRmT2_T3_mT4_P12ihipStream_tbEUlmE_lEESB_NS0_8identityIvEEEESM_SP_SQ_mSR_ST_bEUlT_E_NS1_11comp_targetILNS1_3genE3ELNS1_11target_archE908ELNS1_3gpuE7ELNS1_3repE0EEENS1_30default_config_static_selectorELNS0_4arch9wavefront6targetE0EEEvT1_
	.p2align	8
	.type	_ZN7rocprim17ROCPRIM_400000_NS6detail17trampoline_kernelINS0_14default_configENS1_25transform_config_selectorIlLb0EEEZNS1_14transform_implILb0ES3_S5_NS0_18transform_iteratorINS0_17counting_iteratorImlEEZNS1_24adjacent_difference_implIS3_Lb1ELb0EPlSB_ZN2at6native12_GLOBAL__N_124unique_dim_cuda_templateIbEESt5tupleIJNSC_6TensorESH_SH_EERKSH_lbbbEUlllE1_EE10hipError_tPvRmT2_T3_mT4_P12ihipStream_tbEUlmE_lEESB_NS0_8identityIvEEEESM_SP_SQ_mSR_ST_bEUlT_E_NS1_11comp_targetILNS1_3genE3ELNS1_11target_archE908ELNS1_3gpuE7ELNS1_3repE0EEENS1_30default_config_static_selectorELNS0_4arch9wavefront6targetE0EEEvT1_,@function
_ZN7rocprim17ROCPRIM_400000_NS6detail17trampoline_kernelINS0_14default_configENS1_25transform_config_selectorIlLb0EEEZNS1_14transform_implILb0ES3_S5_NS0_18transform_iteratorINS0_17counting_iteratorImlEEZNS1_24adjacent_difference_implIS3_Lb1ELb0EPlSB_ZN2at6native12_GLOBAL__N_124unique_dim_cuda_templateIbEESt5tupleIJNSC_6TensorESH_SH_EERKSH_lbbbEUlllE1_EE10hipError_tPvRmT2_T3_mT4_P12ihipStream_tbEUlmE_lEESB_NS0_8identityIvEEEESM_SP_SQ_mSR_ST_bEUlT_E_NS1_11comp_targetILNS1_3genE3ELNS1_11target_archE908ELNS1_3gpuE7ELNS1_3repE0EEENS1_30default_config_static_selectorELNS0_4arch9wavefront6targetE0EEEvT1_: ; @_ZN7rocprim17ROCPRIM_400000_NS6detail17trampoline_kernelINS0_14default_configENS1_25transform_config_selectorIlLb0EEEZNS1_14transform_implILb0ES3_S5_NS0_18transform_iteratorINS0_17counting_iteratorImlEEZNS1_24adjacent_difference_implIS3_Lb1ELb0EPlSB_ZN2at6native12_GLOBAL__N_124unique_dim_cuda_templateIbEESt5tupleIJNSC_6TensorESH_SH_EERKSH_lbbbEUlllE1_EE10hipError_tPvRmT2_T3_mT4_P12ihipStream_tbEUlmE_lEESB_NS0_8identityIvEEEESM_SP_SQ_mSR_ST_bEUlT_E_NS1_11comp_targetILNS1_3genE3ELNS1_11target_archE908ELNS1_3gpuE7ELNS1_3repE0EEENS1_30default_config_static_selectorELNS0_4arch9wavefront6targetE0EEEvT1_
; %bb.0:
	.section	.rodata,"a",@progbits
	.p2align	6, 0x0
	.amdhsa_kernel _ZN7rocprim17ROCPRIM_400000_NS6detail17trampoline_kernelINS0_14default_configENS1_25transform_config_selectorIlLb0EEEZNS1_14transform_implILb0ES3_S5_NS0_18transform_iteratorINS0_17counting_iteratorImlEEZNS1_24adjacent_difference_implIS3_Lb1ELb0EPlSB_ZN2at6native12_GLOBAL__N_124unique_dim_cuda_templateIbEESt5tupleIJNSC_6TensorESH_SH_EERKSH_lbbbEUlllE1_EE10hipError_tPvRmT2_T3_mT4_P12ihipStream_tbEUlmE_lEESB_NS0_8identityIvEEEESM_SP_SQ_mSR_ST_bEUlT_E_NS1_11comp_targetILNS1_3genE3ELNS1_11target_archE908ELNS1_3gpuE7ELNS1_3repE0EEENS1_30default_config_static_selectorELNS0_4arch9wavefront6targetE0EEEvT1_
		.amdhsa_group_segment_fixed_size 0
		.amdhsa_private_segment_fixed_size 0
		.amdhsa_kernarg_size 56
		.amdhsa_user_sgpr_count 2
		.amdhsa_user_sgpr_dispatch_ptr 0
		.amdhsa_user_sgpr_queue_ptr 0
		.amdhsa_user_sgpr_kernarg_segment_ptr 1
		.amdhsa_user_sgpr_dispatch_id 0
		.amdhsa_user_sgpr_kernarg_preload_length 0
		.amdhsa_user_sgpr_kernarg_preload_offset 0
		.amdhsa_user_sgpr_private_segment_size 0
		.amdhsa_wavefront_size32 1
		.amdhsa_uses_dynamic_stack 0
		.amdhsa_enable_private_segment 0
		.amdhsa_system_sgpr_workgroup_id_x 1
		.amdhsa_system_sgpr_workgroup_id_y 0
		.amdhsa_system_sgpr_workgroup_id_z 0
		.amdhsa_system_sgpr_workgroup_info 0
		.amdhsa_system_vgpr_workitem_id 0
		.amdhsa_next_free_vgpr 1
		.amdhsa_next_free_sgpr 1
		.amdhsa_named_barrier_count 0
		.amdhsa_reserve_vcc 0
		.amdhsa_float_round_mode_32 0
		.amdhsa_float_round_mode_16_64 0
		.amdhsa_float_denorm_mode_32 3
		.amdhsa_float_denorm_mode_16_64 3
		.amdhsa_fp16_overflow 0
		.amdhsa_memory_ordered 1
		.amdhsa_forward_progress 1
		.amdhsa_inst_pref_size 0
		.amdhsa_round_robin_scheduling 0
		.amdhsa_exception_fp_ieee_invalid_op 0
		.amdhsa_exception_fp_denorm_src 0
		.amdhsa_exception_fp_ieee_div_zero 0
		.amdhsa_exception_fp_ieee_overflow 0
		.amdhsa_exception_fp_ieee_underflow 0
		.amdhsa_exception_fp_ieee_inexact 0
		.amdhsa_exception_int_div_zero 0
	.end_amdhsa_kernel
	.section	.text._ZN7rocprim17ROCPRIM_400000_NS6detail17trampoline_kernelINS0_14default_configENS1_25transform_config_selectorIlLb0EEEZNS1_14transform_implILb0ES3_S5_NS0_18transform_iteratorINS0_17counting_iteratorImlEEZNS1_24adjacent_difference_implIS3_Lb1ELb0EPlSB_ZN2at6native12_GLOBAL__N_124unique_dim_cuda_templateIbEESt5tupleIJNSC_6TensorESH_SH_EERKSH_lbbbEUlllE1_EE10hipError_tPvRmT2_T3_mT4_P12ihipStream_tbEUlmE_lEESB_NS0_8identityIvEEEESM_SP_SQ_mSR_ST_bEUlT_E_NS1_11comp_targetILNS1_3genE3ELNS1_11target_archE908ELNS1_3gpuE7ELNS1_3repE0EEENS1_30default_config_static_selectorELNS0_4arch9wavefront6targetE0EEEvT1_,"axG",@progbits,_ZN7rocprim17ROCPRIM_400000_NS6detail17trampoline_kernelINS0_14default_configENS1_25transform_config_selectorIlLb0EEEZNS1_14transform_implILb0ES3_S5_NS0_18transform_iteratorINS0_17counting_iteratorImlEEZNS1_24adjacent_difference_implIS3_Lb1ELb0EPlSB_ZN2at6native12_GLOBAL__N_124unique_dim_cuda_templateIbEESt5tupleIJNSC_6TensorESH_SH_EERKSH_lbbbEUlllE1_EE10hipError_tPvRmT2_T3_mT4_P12ihipStream_tbEUlmE_lEESB_NS0_8identityIvEEEESM_SP_SQ_mSR_ST_bEUlT_E_NS1_11comp_targetILNS1_3genE3ELNS1_11target_archE908ELNS1_3gpuE7ELNS1_3repE0EEENS1_30default_config_static_selectorELNS0_4arch9wavefront6targetE0EEEvT1_,comdat
.Lfunc_end1037:
	.size	_ZN7rocprim17ROCPRIM_400000_NS6detail17trampoline_kernelINS0_14default_configENS1_25transform_config_selectorIlLb0EEEZNS1_14transform_implILb0ES3_S5_NS0_18transform_iteratorINS0_17counting_iteratorImlEEZNS1_24adjacent_difference_implIS3_Lb1ELb0EPlSB_ZN2at6native12_GLOBAL__N_124unique_dim_cuda_templateIbEESt5tupleIJNSC_6TensorESH_SH_EERKSH_lbbbEUlllE1_EE10hipError_tPvRmT2_T3_mT4_P12ihipStream_tbEUlmE_lEESB_NS0_8identityIvEEEESM_SP_SQ_mSR_ST_bEUlT_E_NS1_11comp_targetILNS1_3genE3ELNS1_11target_archE908ELNS1_3gpuE7ELNS1_3repE0EEENS1_30default_config_static_selectorELNS0_4arch9wavefront6targetE0EEEvT1_, .Lfunc_end1037-_ZN7rocprim17ROCPRIM_400000_NS6detail17trampoline_kernelINS0_14default_configENS1_25transform_config_selectorIlLb0EEEZNS1_14transform_implILb0ES3_S5_NS0_18transform_iteratorINS0_17counting_iteratorImlEEZNS1_24adjacent_difference_implIS3_Lb1ELb0EPlSB_ZN2at6native12_GLOBAL__N_124unique_dim_cuda_templateIbEESt5tupleIJNSC_6TensorESH_SH_EERKSH_lbbbEUlllE1_EE10hipError_tPvRmT2_T3_mT4_P12ihipStream_tbEUlmE_lEESB_NS0_8identityIvEEEESM_SP_SQ_mSR_ST_bEUlT_E_NS1_11comp_targetILNS1_3genE3ELNS1_11target_archE908ELNS1_3gpuE7ELNS1_3repE0EEENS1_30default_config_static_selectorELNS0_4arch9wavefront6targetE0EEEvT1_
                                        ; -- End function
	.set _ZN7rocprim17ROCPRIM_400000_NS6detail17trampoline_kernelINS0_14default_configENS1_25transform_config_selectorIlLb0EEEZNS1_14transform_implILb0ES3_S5_NS0_18transform_iteratorINS0_17counting_iteratorImlEEZNS1_24adjacent_difference_implIS3_Lb1ELb0EPlSB_ZN2at6native12_GLOBAL__N_124unique_dim_cuda_templateIbEESt5tupleIJNSC_6TensorESH_SH_EERKSH_lbbbEUlllE1_EE10hipError_tPvRmT2_T3_mT4_P12ihipStream_tbEUlmE_lEESB_NS0_8identityIvEEEESM_SP_SQ_mSR_ST_bEUlT_E_NS1_11comp_targetILNS1_3genE3ELNS1_11target_archE908ELNS1_3gpuE7ELNS1_3repE0EEENS1_30default_config_static_selectorELNS0_4arch9wavefront6targetE0EEEvT1_.num_vgpr, 0
	.set _ZN7rocprim17ROCPRIM_400000_NS6detail17trampoline_kernelINS0_14default_configENS1_25transform_config_selectorIlLb0EEEZNS1_14transform_implILb0ES3_S5_NS0_18transform_iteratorINS0_17counting_iteratorImlEEZNS1_24adjacent_difference_implIS3_Lb1ELb0EPlSB_ZN2at6native12_GLOBAL__N_124unique_dim_cuda_templateIbEESt5tupleIJNSC_6TensorESH_SH_EERKSH_lbbbEUlllE1_EE10hipError_tPvRmT2_T3_mT4_P12ihipStream_tbEUlmE_lEESB_NS0_8identityIvEEEESM_SP_SQ_mSR_ST_bEUlT_E_NS1_11comp_targetILNS1_3genE3ELNS1_11target_archE908ELNS1_3gpuE7ELNS1_3repE0EEENS1_30default_config_static_selectorELNS0_4arch9wavefront6targetE0EEEvT1_.num_agpr, 0
	.set _ZN7rocprim17ROCPRIM_400000_NS6detail17trampoline_kernelINS0_14default_configENS1_25transform_config_selectorIlLb0EEEZNS1_14transform_implILb0ES3_S5_NS0_18transform_iteratorINS0_17counting_iteratorImlEEZNS1_24adjacent_difference_implIS3_Lb1ELb0EPlSB_ZN2at6native12_GLOBAL__N_124unique_dim_cuda_templateIbEESt5tupleIJNSC_6TensorESH_SH_EERKSH_lbbbEUlllE1_EE10hipError_tPvRmT2_T3_mT4_P12ihipStream_tbEUlmE_lEESB_NS0_8identityIvEEEESM_SP_SQ_mSR_ST_bEUlT_E_NS1_11comp_targetILNS1_3genE3ELNS1_11target_archE908ELNS1_3gpuE7ELNS1_3repE0EEENS1_30default_config_static_selectorELNS0_4arch9wavefront6targetE0EEEvT1_.numbered_sgpr, 0
	.set _ZN7rocprim17ROCPRIM_400000_NS6detail17trampoline_kernelINS0_14default_configENS1_25transform_config_selectorIlLb0EEEZNS1_14transform_implILb0ES3_S5_NS0_18transform_iteratorINS0_17counting_iteratorImlEEZNS1_24adjacent_difference_implIS3_Lb1ELb0EPlSB_ZN2at6native12_GLOBAL__N_124unique_dim_cuda_templateIbEESt5tupleIJNSC_6TensorESH_SH_EERKSH_lbbbEUlllE1_EE10hipError_tPvRmT2_T3_mT4_P12ihipStream_tbEUlmE_lEESB_NS0_8identityIvEEEESM_SP_SQ_mSR_ST_bEUlT_E_NS1_11comp_targetILNS1_3genE3ELNS1_11target_archE908ELNS1_3gpuE7ELNS1_3repE0EEENS1_30default_config_static_selectorELNS0_4arch9wavefront6targetE0EEEvT1_.num_named_barrier, 0
	.set _ZN7rocprim17ROCPRIM_400000_NS6detail17trampoline_kernelINS0_14default_configENS1_25transform_config_selectorIlLb0EEEZNS1_14transform_implILb0ES3_S5_NS0_18transform_iteratorINS0_17counting_iteratorImlEEZNS1_24adjacent_difference_implIS3_Lb1ELb0EPlSB_ZN2at6native12_GLOBAL__N_124unique_dim_cuda_templateIbEESt5tupleIJNSC_6TensorESH_SH_EERKSH_lbbbEUlllE1_EE10hipError_tPvRmT2_T3_mT4_P12ihipStream_tbEUlmE_lEESB_NS0_8identityIvEEEESM_SP_SQ_mSR_ST_bEUlT_E_NS1_11comp_targetILNS1_3genE3ELNS1_11target_archE908ELNS1_3gpuE7ELNS1_3repE0EEENS1_30default_config_static_selectorELNS0_4arch9wavefront6targetE0EEEvT1_.private_seg_size, 0
	.set _ZN7rocprim17ROCPRIM_400000_NS6detail17trampoline_kernelINS0_14default_configENS1_25transform_config_selectorIlLb0EEEZNS1_14transform_implILb0ES3_S5_NS0_18transform_iteratorINS0_17counting_iteratorImlEEZNS1_24adjacent_difference_implIS3_Lb1ELb0EPlSB_ZN2at6native12_GLOBAL__N_124unique_dim_cuda_templateIbEESt5tupleIJNSC_6TensorESH_SH_EERKSH_lbbbEUlllE1_EE10hipError_tPvRmT2_T3_mT4_P12ihipStream_tbEUlmE_lEESB_NS0_8identityIvEEEESM_SP_SQ_mSR_ST_bEUlT_E_NS1_11comp_targetILNS1_3genE3ELNS1_11target_archE908ELNS1_3gpuE7ELNS1_3repE0EEENS1_30default_config_static_selectorELNS0_4arch9wavefront6targetE0EEEvT1_.uses_vcc, 0
	.set _ZN7rocprim17ROCPRIM_400000_NS6detail17trampoline_kernelINS0_14default_configENS1_25transform_config_selectorIlLb0EEEZNS1_14transform_implILb0ES3_S5_NS0_18transform_iteratorINS0_17counting_iteratorImlEEZNS1_24adjacent_difference_implIS3_Lb1ELb0EPlSB_ZN2at6native12_GLOBAL__N_124unique_dim_cuda_templateIbEESt5tupleIJNSC_6TensorESH_SH_EERKSH_lbbbEUlllE1_EE10hipError_tPvRmT2_T3_mT4_P12ihipStream_tbEUlmE_lEESB_NS0_8identityIvEEEESM_SP_SQ_mSR_ST_bEUlT_E_NS1_11comp_targetILNS1_3genE3ELNS1_11target_archE908ELNS1_3gpuE7ELNS1_3repE0EEENS1_30default_config_static_selectorELNS0_4arch9wavefront6targetE0EEEvT1_.uses_flat_scratch, 0
	.set _ZN7rocprim17ROCPRIM_400000_NS6detail17trampoline_kernelINS0_14default_configENS1_25transform_config_selectorIlLb0EEEZNS1_14transform_implILb0ES3_S5_NS0_18transform_iteratorINS0_17counting_iteratorImlEEZNS1_24adjacent_difference_implIS3_Lb1ELb0EPlSB_ZN2at6native12_GLOBAL__N_124unique_dim_cuda_templateIbEESt5tupleIJNSC_6TensorESH_SH_EERKSH_lbbbEUlllE1_EE10hipError_tPvRmT2_T3_mT4_P12ihipStream_tbEUlmE_lEESB_NS0_8identityIvEEEESM_SP_SQ_mSR_ST_bEUlT_E_NS1_11comp_targetILNS1_3genE3ELNS1_11target_archE908ELNS1_3gpuE7ELNS1_3repE0EEENS1_30default_config_static_selectorELNS0_4arch9wavefront6targetE0EEEvT1_.has_dyn_sized_stack, 0
	.set _ZN7rocprim17ROCPRIM_400000_NS6detail17trampoline_kernelINS0_14default_configENS1_25transform_config_selectorIlLb0EEEZNS1_14transform_implILb0ES3_S5_NS0_18transform_iteratorINS0_17counting_iteratorImlEEZNS1_24adjacent_difference_implIS3_Lb1ELb0EPlSB_ZN2at6native12_GLOBAL__N_124unique_dim_cuda_templateIbEESt5tupleIJNSC_6TensorESH_SH_EERKSH_lbbbEUlllE1_EE10hipError_tPvRmT2_T3_mT4_P12ihipStream_tbEUlmE_lEESB_NS0_8identityIvEEEESM_SP_SQ_mSR_ST_bEUlT_E_NS1_11comp_targetILNS1_3genE3ELNS1_11target_archE908ELNS1_3gpuE7ELNS1_3repE0EEENS1_30default_config_static_selectorELNS0_4arch9wavefront6targetE0EEEvT1_.has_recursion, 0
	.set _ZN7rocprim17ROCPRIM_400000_NS6detail17trampoline_kernelINS0_14default_configENS1_25transform_config_selectorIlLb0EEEZNS1_14transform_implILb0ES3_S5_NS0_18transform_iteratorINS0_17counting_iteratorImlEEZNS1_24adjacent_difference_implIS3_Lb1ELb0EPlSB_ZN2at6native12_GLOBAL__N_124unique_dim_cuda_templateIbEESt5tupleIJNSC_6TensorESH_SH_EERKSH_lbbbEUlllE1_EE10hipError_tPvRmT2_T3_mT4_P12ihipStream_tbEUlmE_lEESB_NS0_8identityIvEEEESM_SP_SQ_mSR_ST_bEUlT_E_NS1_11comp_targetILNS1_3genE3ELNS1_11target_archE908ELNS1_3gpuE7ELNS1_3repE0EEENS1_30default_config_static_selectorELNS0_4arch9wavefront6targetE0EEEvT1_.has_indirect_call, 0
	.section	.AMDGPU.csdata,"",@progbits
; Kernel info:
; codeLenInByte = 0
; TotalNumSgprs: 0
; NumVgprs: 0
; ScratchSize: 0
; MemoryBound: 0
; FloatMode: 240
; IeeeMode: 1
; LDSByteSize: 0 bytes/workgroup (compile time only)
; SGPRBlocks: 0
; VGPRBlocks: 0
; NumSGPRsForWavesPerEU: 1
; NumVGPRsForWavesPerEU: 1
; NamedBarCnt: 0
; Occupancy: 16
; WaveLimiterHint : 0
; COMPUTE_PGM_RSRC2:SCRATCH_EN: 0
; COMPUTE_PGM_RSRC2:USER_SGPR: 2
; COMPUTE_PGM_RSRC2:TRAP_HANDLER: 0
; COMPUTE_PGM_RSRC2:TGID_X_EN: 1
; COMPUTE_PGM_RSRC2:TGID_Y_EN: 0
; COMPUTE_PGM_RSRC2:TGID_Z_EN: 0
; COMPUTE_PGM_RSRC2:TIDIG_COMP_CNT: 0
	.section	.text._ZN7rocprim17ROCPRIM_400000_NS6detail17trampoline_kernelINS0_14default_configENS1_25transform_config_selectorIlLb0EEEZNS1_14transform_implILb0ES3_S5_NS0_18transform_iteratorINS0_17counting_iteratorImlEEZNS1_24adjacent_difference_implIS3_Lb1ELb0EPlSB_ZN2at6native12_GLOBAL__N_124unique_dim_cuda_templateIbEESt5tupleIJNSC_6TensorESH_SH_EERKSH_lbbbEUlllE1_EE10hipError_tPvRmT2_T3_mT4_P12ihipStream_tbEUlmE_lEESB_NS0_8identityIvEEEESM_SP_SQ_mSR_ST_bEUlT_E_NS1_11comp_targetILNS1_3genE2ELNS1_11target_archE906ELNS1_3gpuE6ELNS1_3repE0EEENS1_30default_config_static_selectorELNS0_4arch9wavefront6targetE0EEEvT1_,"axG",@progbits,_ZN7rocprim17ROCPRIM_400000_NS6detail17trampoline_kernelINS0_14default_configENS1_25transform_config_selectorIlLb0EEEZNS1_14transform_implILb0ES3_S5_NS0_18transform_iteratorINS0_17counting_iteratorImlEEZNS1_24adjacent_difference_implIS3_Lb1ELb0EPlSB_ZN2at6native12_GLOBAL__N_124unique_dim_cuda_templateIbEESt5tupleIJNSC_6TensorESH_SH_EERKSH_lbbbEUlllE1_EE10hipError_tPvRmT2_T3_mT4_P12ihipStream_tbEUlmE_lEESB_NS0_8identityIvEEEESM_SP_SQ_mSR_ST_bEUlT_E_NS1_11comp_targetILNS1_3genE2ELNS1_11target_archE906ELNS1_3gpuE6ELNS1_3repE0EEENS1_30default_config_static_selectorELNS0_4arch9wavefront6targetE0EEEvT1_,comdat
	.globl	_ZN7rocprim17ROCPRIM_400000_NS6detail17trampoline_kernelINS0_14default_configENS1_25transform_config_selectorIlLb0EEEZNS1_14transform_implILb0ES3_S5_NS0_18transform_iteratorINS0_17counting_iteratorImlEEZNS1_24adjacent_difference_implIS3_Lb1ELb0EPlSB_ZN2at6native12_GLOBAL__N_124unique_dim_cuda_templateIbEESt5tupleIJNSC_6TensorESH_SH_EERKSH_lbbbEUlllE1_EE10hipError_tPvRmT2_T3_mT4_P12ihipStream_tbEUlmE_lEESB_NS0_8identityIvEEEESM_SP_SQ_mSR_ST_bEUlT_E_NS1_11comp_targetILNS1_3genE2ELNS1_11target_archE906ELNS1_3gpuE6ELNS1_3repE0EEENS1_30default_config_static_selectorELNS0_4arch9wavefront6targetE0EEEvT1_ ; -- Begin function _ZN7rocprim17ROCPRIM_400000_NS6detail17trampoline_kernelINS0_14default_configENS1_25transform_config_selectorIlLb0EEEZNS1_14transform_implILb0ES3_S5_NS0_18transform_iteratorINS0_17counting_iteratorImlEEZNS1_24adjacent_difference_implIS3_Lb1ELb0EPlSB_ZN2at6native12_GLOBAL__N_124unique_dim_cuda_templateIbEESt5tupleIJNSC_6TensorESH_SH_EERKSH_lbbbEUlllE1_EE10hipError_tPvRmT2_T3_mT4_P12ihipStream_tbEUlmE_lEESB_NS0_8identityIvEEEESM_SP_SQ_mSR_ST_bEUlT_E_NS1_11comp_targetILNS1_3genE2ELNS1_11target_archE906ELNS1_3gpuE6ELNS1_3repE0EEENS1_30default_config_static_selectorELNS0_4arch9wavefront6targetE0EEEvT1_
	.p2align	8
	.type	_ZN7rocprim17ROCPRIM_400000_NS6detail17trampoline_kernelINS0_14default_configENS1_25transform_config_selectorIlLb0EEEZNS1_14transform_implILb0ES3_S5_NS0_18transform_iteratorINS0_17counting_iteratorImlEEZNS1_24adjacent_difference_implIS3_Lb1ELb0EPlSB_ZN2at6native12_GLOBAL__N_124unique_dim_cuda_templateIbEESt5tupleIJNSC_6TensorESH_SH_EERKSH_lbbbEUlllE1_EE10hipError_tPvRmT2_T3_mT4_P12ihipStream_tbEUlmE_lEESB_NS0_8identityIvEEEESM_SP_SQ_mSR_ST_bEUlT_E_NS1_11comp_targetILNS1_3genE2ELNS1_11target_archE906ELNS1_3gpuE6ELNS1_3repE0EEENS1_30default_config_static_selectorELNS0_4arch9wavefront6targetE0EEEvT1_,@function
_ZN7rocprim17ROCPRIM_400000_NS6detail17trampoline_kernelINS0_14default_configENS1_25transform_config_selectorIlLb0EEEZNS1_14transform_implILb0ES3_S5_NS0_18transform_iteratorINS0_17counting_iteratorImlEEZNS1_24adjacent_difference_implIS3_Lb1ELb0EPlSB_ZN2at6native12_GLOBAL__N_124unique_dim_cuda_templateIbEESt5tupleIJNSC_6TensorESH_SH_EERKSH_lbbbEUlllE1_EE10hipError_tPvRmT2_T3_mT4_P12ihipStream_tbEUlmE_lEESB_NS0_8identityIvEEEESM_SP_SQ_mSR_ST_bEUlT_E_NS1_11comp_targetILNS1_3genE2ELNS1_11target_archE906ELNS1_3gpuE6ELNS1_3repE0EEENS1_30default_config_static_selectorELNS0_4arch9wavefront6targetE0EEEvT1_: ; @_ZN7rocprim17ROCPRIM_400000_NS6detail17trampoline_kernelINS0_14default_configENS1_25transform_config_selectorIlLb0EEEZNS1_14transform_implILb0ES3_S5_NS0_18transform_iteratorINS0_17counting_iteratorImlEEZNS1_24adjacent_difference_implIS3_Lb1ELb0EPlSB_ZN2at6native12_GLOBAL__N_124unique_dim_cuda_templateIbEESt5tupleIJNSC_6TensorESH_SH_EERKSH_lbbbEUlllE1_EE10hipError_tPvRmT2_T3_mT4_P12ihipStream_tbEUlmE_lEESB_NS0_8identityIvEEEESM_SP_SQ_mSR_ST_bEUlT_E_NS1_11comp_targetILNS1_3genE2ELNS1_11target_archE906ELNS1_3gpuE6ELNS1_3repE0EEENS1_30default_config_static_selectorELNS0_4arch9wavefront6targetE0EEEvT1_
; %bb.0:
	.section	.rodata,"a",@progbits
	.p2align	6, 0x0
	.amdhsa_kernel _ZN7rocprim17ROCPRIM_400000_NS6detail17trampoline_kernelINS0_14default_configENS1_25transform_config_selectorIlLb0EEEZNS1_14transform_implILb0ES3_S5_NS0_18transform_iteratorINS0_17counting_iteratorImlEEZNS1_24adjacent_difference_implIS3_Lb1ELb0EPlSB_ZN2at6native12_GLOBAL__N_124unique_dim_cuda_templateIbEESt5tupleIJNSC_6TensorESH_SH_EERKSH_lbbbEUlllE1_EE10hipError_tPvRmT2_T3_mT4_P12ihipStream_tbEUlmE_lEESB_NS0_8identityIvEEEESM_SP_SQ_mSR_ST_bEUlT_E_NS1_11comp_targetILNS1_3genE2ELNS1_11target_archE906ELNS1_3gpuE6ELNS1_3repE0EEENS1_30default_config_static_selectorELNS0_4arch9wavefront6targetE0EEEvT1_
		.amdhsa_group_segment_fixed_size 0
		.amdhsa_private_segment_fixed_size 0
		.amdhsa_kernarg_size 56
		.amdhsa_user_sgpr_count 2
		.amdhsa_user_sgpr_dispatch_ptr 0
		.amdhsa_user_sgpr_queue_ptr 0
		.amdhsa_user_sgpr_kernarg_segment_ptr 1
		.amdhsa_user_sgpr_dispatch_id 0
		.amdhsa_user_sgpr_kernarg_preload_length 0
		.amdhsa_user_sgpr_kernarg_preload_offset 0
		.amdhsa_user_sgpr_private_segment_size 0
		.amdhsa_wavefront_size32 1
		.amdhsa_uses_dynamic_stack 0
		.amdhsa_enable_private_segment 0
		.amdhsa_system_sgpr_workgroup_id_x 1
		.amdhsa_system_sgpr_workgroup_id_y 0
		.amdhsa_system_sgpr_workgroup_id_z 0
		.amdhsa_system_sgpr_workgroup_info 0
		.amdhsa_system_vgpr_workitem_id 0
		.amdhsa_next_free_vgpr 1
		.amdhsa_next_free_sgpr 1
		.amdhsa_named_barrier_count 0
		.amdhsa_reserve_vcc 0
		.amdhsa_float_round_mode_32 0
		.amdhsa_float_round_mode_16_64 0
		.amdhsa_float_denorm_mode_32 3
		.amdhsa_float_denorm_mode_16_64 3
		.amdhsa_fp16_overflow 0
		.amdhsa_memory_ordered 1
		.amdhsa_forward_progress 1
		.amdhsa_inst_pref_size 0
		.amdhsa_round_robin_scheduling 0
		.amdhsa_exception_fp_ieee_invalid_op 0
		.amdhsa_exception_fp_denorm_src 0
		.amdhsa_exception_fp_ieee_div_zero 0
		.amdhsa_exception_fp_ieee_overflow 0
		.amdhsa_exception_fp_ieee_underflow 0
		.amdhsa_exception_fp_ieee_inexact 0
		.amdhsa_exception_int_div_zero 0
	.end_amdhsa_kernel
	.section	.text._ZN7rocprim17ROCPRIM_400000_NS6detail17trampoline_kernelINS0_14default_configENS1_25transform_config_selectorIlLb0EEEZNS1_14transform_implILb0ES3_S5_NS0_18transform_iteratorINS0_17counting_iteratorImlEEZNS1_24adjacent_difference_implIS3_Lb1ELb0EPlSB_ZN2at6native12_GLOBAL__N_124unique_dim_cuda_templateIbEESt5tupleIJNSC_6TensorESH_SH_EERKSH_lbbbEUlllE1_EE10hipError_tPvRmT2_T3_mT4_P12ihipStream_tbEUlmE_lEESB_NS0_8identityIvEEEESM_SP_SQ_mSR_ST_bEUlT_E_NS1_11comp_targetILNS1_3genE2ELNS1_11target_archE906ELNS1_3gpuE6ELNS1_3repE0EEENS1_30default_config_static_selectorELNS0_4arch9wavefront6targetE0EEEvT1_,"axG",@progbits,_ZN7rocprim17ROCPRIM_400000_NS6detail17trampoline_kernelINS0_14default_configENS1_25transform_config_selectorIlLb0EEEZNS1_14transform_implILb0ES3_S5_NS0_18transform_iteratorINS0_17counting_iteratorImlEEZNS1_24adjacent_difference_implIS3_Lb1ELb0EPlSB_ZN2at6native12_GLOBAL__N_124unique_dim_cuda_templateIbEESt5tupleIJNSC_6TensorESH_SH_EERKSH_lbbbEUlllE1_EE10hipError_tPvRmT2_T3_mT4_P12ihipStream_tbEUlmE_lEESB_NS0_8identityIvEEEESM_SP_SQ_mSR_ST_bEUlT_E_NS1_11comp_targetILNS1_3genE2ELNS1_11target_archE906ELNS1_3gpuE6ELNS1_3repE0EEENS1_30default_config_static_selectorELNS0_4arch9wavefront6targetE0EEEvT1_,comdat
.Lfunc_end1038:
	.size	_ZN7rocprim17ROCPRIM_400000_NS6detail17trampoline_kernelINS0_14default_configENS1_25transform_config_selectorIlLb0EEEZNS1_14transform_implILb0ES3_S5_NS0_18transform_iteratorINS0_17counting_iteratorImlEEZNS1_24adjacent_difference_implIS3_Lb1ELb0EPlSB_ZN2at6native12_GLOBAL__N_124unique_dim_cuda_templateIbEESt5tupleIJNSC_6TensorESH_SH_EERKSH_lbbbEUlllE1_EE10hipError_tPvRmT2_T3_mT4_P12ihipStream_tbEUlmE_lEESB_NS0_8identityIvEEEESM_SP_SQ_mSR_ST_bEUlT_E_NS1_11comp_targetILNS1_3genE2ELNS1_11target_archE906ELNS1_3gpuE6ELNS1_3repE0EEENS1_30default_config_static_selectorELNS0_4arch9wavefront6targetE0EEEvT1_, .Lfunc_end1038-_ZN7rocprim17ROCPRIM_400000_NS6detail17trampoline_kernelINS0_14default_configENS1_25transform_config_selectorIlLb0EEEZNS1_14transform_implILb0ES3_S5_NS0_18transform_iteratorINS0_17counting_iteratorImlEEZNS1_24adjacent_difference_implIS3_Lb1ELb0EPlSB_ZN2at6native12_GLOBAL__N_124unique_dim_cuda_templateIbEESt5tupleIJNSC_6TensorESH_SH_EERKSH_lbbbEUlllE1_EE10hipError_tPvRmT2_T3_mT4_P12ihipStream_tbEUlmE_lEESB_NS0_8identityIvEEEESM_SP_SQ_mSR_ST_bEUlT_E_NS1_11comp_targetILNS1_3genE2ELNS1_11target_archE906ELNS1_3gpuE6ELNS1_3repE0EEENS1_30default_config_static_selectorELNS0_4arch9wavefront6targetE0EEEvT1_
                                        ; -- End function
	.set _ZN7rocprim17ROCPRIM_400000_NS6detail17trampoline_kernelINS0_14default_configENS1_25transform_config_selectorIlLb0EEEZNS1_14transform_implILb0ES3_S5_NS0_18transform_iteratorINS0_17counting_iteratorImlEEZNS1_24adjacent_difference_implIS3_Lb1ELb0EPlSB_ZN2at6native12_GLOBAL__N_124unique_dim_cuda_templateIbEESt5tupleIJNSC_6TensorESH_SH_EERKSH_lbbbEUlllE1_EE10hipError_tPvRmT2_T3_mT4_P12ihipStream_tbEUlmE_lEESB_NS0_8identityIvEEEESM_SP_SQ_mSR_ST_bEUlT_E_NS1_11comp_targetILNS1_3genE2ELNS1_11target_archE906ELNS1_3gpuE6ELNS1_3repE0EEENS1_30default_config_static_selectorELNS0_4arch9wavefront6targetE0EEEvT1_.num_vgpr, 0
	.set _ZN7rocprim17ROCPRIM_400000_NS6detail17trampoline_kernelINS0_14default_configENS1_25transform_config_selectorIlLb0EEEZNS1_14transform_implILb0ES3_S5_NS0_18transform_iteratorINS0_17counting_iteratorImlEEZNS1_24adjacent_difference_implIS3_Lb1ELb0EPlSB_ZN2at6native12_GLOBAL__N_124unique_dim_cuda_templateIbEESt5tupleIJNSC_6TensorESH_SH_EERKSH_lbbbEUlllE1_EE10hipError_tPvRmT2_T3_mT4_P12ihipStream_tbEUlmE_lEESB_NS0_8identityIvEEEESM_SP_SQ_mSR_ST_bEUlT_E_NS1_11comp_targetILNS1_3genE2ELNS1_11target_archE906ELNS1_3gpuE6ELNS1_3repE0EEENS1_30default_config_static_selectorELNS0_4arch9wavefront6targetE0EEEvT1_.num_agpr, 0
	.set _ZN7rocprim17ROCPRIM_400000_NS6detail17trampoline_kernelINS0_14default_configENS1_25transform_config_selectorIlLb0EEEZNS1_14transform_implILb0ES3_S5_NS0_18transform_iteratorINS0_17counting_iteratorImlEEZNS1_24adjacent_difference_implIS3_Lb1ELb0EPlSB_ZN2at6native12_GLOBAL__N_124unique_dim_cuda_templateIbEESt5tupleIJNSC_6TensorESH_SH_EERKSH_lbbbEUlllE1_EE10hipError_tPvRmT2_T3_mT4_P12ihipStream_tbEUlmE_lEESB_NS0_8identityIvEEEESM_SP_SQ_mSR_ST_bEUlT_E_NS1_11comp_targetILNS1_3genE2ELNS1_11target_archE906ELNS1_3gpuE6ELNS1_3repE0EEENS1_30default_config_static_selectorELNS0_4arch9wavefront6targetE0EEEvT1_.numbered_sgpr, 0
	.set _ZN7rocprim17ROCPRIM_400000_NS6detail17trampoline_kernelINS0_14default_configENS1_25transform_config_selectorIlLb0EEEZNS1_14transform_implILb0ES3_S5_NS0_18transform_iteratorINS0_17counting_iteratorImlEEZNS1_24adjacent_difference_implIS3_Lb1ELb0EPlSB_ZN2at6native12_GLOBAL__N_124unique_dim_cuda_templateIbEESt5tupleIJNSC_6TensorESH_SH_EERKSH_lbbbEUlllE1_EE10hipError_tPvRmT2_T3_mT4_P12ihipStream_tbEUlmE_lEESB_NS0_8identityIvEEEESM_SP_SQ_mSR_ST_bEUlT_E_NS1_11comp_targetILNS1_3genE2ELNS1_11target_archE906ELNS1_3gpuE6ELNS1_3repE0EEENS1_30default_config_static_selectorELNS0_4arch9wavefront6targetE0EEEvT1_.num_named_barrier, 0
	.set _ZN7rocprim17ROCPRIM_400000_NS6detail17trampoline_kernelINS0_14default_configENS1_25transform_config_selectorIlLb0EEEZNS1_14transform_implILb0ES3_S5_NS0_18transform_iteratorINS0_17counting_iteratorImlEEZNS1_24adjacent_difference_implIS3_Lb1ELb0EPlSB_ZN2at6native12_GLOBAL__N_124unique_dim_cuda_templateIbEESt5tupleIJNSC_6TensorESH_SH_EERKSH_lbbbEUlllE1_EE10hipError_tPvRmT2_T3_mT4_P12ihipStream_tbEUlmE_lEESB_NS0_8identityIvEEEESM_SP_SQ_mSR_ST_bEUlT_E_NS1_11comp_targetILNS1_3genE2ELNS1_11target_archE906ELNS1_3gpuE6ELNS1_3repE0EEENS1_30default_config_static_selectorELNS0_4arch9wavefront6targetE0EEEvT1_.private_seg_size, 0
	.set _ZN7rocprim17ROCPRIM_400000_NS6detail17trampoline_kernelINS0_14default_configENS1_25transform_config_selectorIlLb0EEEZNS1_14transform_implILb0ES3_S5_NS0_18transform_iteratorINS0_17counting_iteratorImlEEZNS1_24adjacent_difference_implIS3_Lb1ELb0EPlSB_ZN2at6native12_GLOBAL__N_124unique_dim_cuda_templateIbEESt5tupleIJNSC_6TensorESH_SH_EERKSH_lbbbEUlllE1_EE10hipError_tPvRmT2_T3_mT4_P12ihipStream_tbEUlmE_lEESB_NS0_8identityIvEEEESM_SP_SQ_mSR_ST_bEUlT_E_NS1_11comp_targetILNS1_3genE2ELNS1_11target_archE906ELNS1_3gpuE6ELNS1_3repE0EEENS1_30default_config_static_selectorELNS0_4arch9wavefront6targetE0EEEvT1_.uses_vcc, 0
	.set _ZN7rocprim17ROCPRIM_400000_NS6detail17trampoline_kernelINS0_14default_configENS1_25transform_config_selectorIlLb0EEEZNS1_14transform_implILb0ES3_S5_NS0_18transform_iteratorINS0_17counting_iteratorImlEEZNS1_24adjacent_difference_implIS3_Lb1ELb0EPlSB_ZN2at6native12_GLOBAL__N_124unique_dim_cuda_templateIbEESt5tupleIJNSC_6TensorESH_SH_EERKSH_lbbbEUlllE1_EE10hipError_tPvRmT2_T3_mT4_P12ihipStream_tbEUlmE_lEESB_NS0_8identityIvEEEESM_SP_SQ_mSR_ST_bEUlT_E_NS1_11comp_targetILNS1_3genE2ELNS1_11target_archE906ELNS1_3gpuE6ELNS1_3repE0EEENS1_30default_config_static_selectorELNS0_4arch9wavefront6targetE0EEEvT1_.uses_flat_scratch, 0
	.set _ZN7rocprim17ROCPRIM_400000_NS6detail17trampoline_kernelINS0_14default_configENS1_25transform_config_selectorIlLb0EEEZNS1_14transform_implILb0ES3_S5_NS0_18transform_iteratorINS0_17counting_iteratorImlEEZNS1_24adjacent_difference_implIS3_Lb1ELb0EPlSB_ZN2at6native12_GLOBAL__N_124unique_dim_cuda_templateIbEESt5tupleIJNSC_6TensorESH_SH_EERKSH_lbbbEUlllE1_EE10hipError_tPvRmT2_T3_mT4_P12ihipStream_tbEUlmE_lEESB_NS0_8identityIvEEEESM_SP_SQ_mSR_ST_bEUlT_E_NS1_11comp_targetILNS1_3genE2ELNS1_11target_archE906ELNS1_3gpuE6ELNS1_3repE0EEENS1_30default_config_static_selectorELNS0_4arch9wavefront6targetE0EEEvT1_.has_dyn_sized_stack, 0
	.set _ZN7rocprim17ROCPRIM_400000_NS6detail17trampoline_kernelINS0_14default_configENS1_25transform_config_selectorIlLb0EEEZNS1_14transform_implILb0ES3_S5_NS0_18transform_iteratorINS0_17counting_iteratorImlEEZNS1_24adjacent_difference_implIS3_Lb1ELb0EPlSB_ZN2at6native12_GLOBAL__N_124unique_dim_cuda_templateIbEESt5tupleIJNSC_6TensorESH_SH_EERKSH_lbbbEUlllE1_EE10hipError_tPvRmT2_T3_mT4_P12ihipStream_tbEUlmE_lEESB_NS0_8identityIvEEEESM_SP_SQ_mSR_ST_bEUlT_E_NS1_11comp_targetILNS1_3genE2ELNS1_11target_archE906ELNS1_3gpuE6ELNS1_3repE0EEENS1_30default_config_static_selectorELNS0_4arch9wavefront6targetE0EEEvT1_.has_recursion, 0
	.set _ZN7rocprim17ROCPRIM_400000_NS6detail17trampoline_kernelINS0_14default_configENS1_25transform_config_selectorIlLb0EEEZNS1_14transform_implILb0ES3_S5_NS0_18transform_iteratorINS0_17counting_iteratorImlEEZNS1_24adjacent_difference_implIS3_Lb1ELb0EPlSB_ZN2at6native12_GLOBAL__N_124unique_dim_cuda_templateIbEESt5tupleIJNSC_6TensorESH_SH_EERKSH_lbbbEUlllE1_EE10hipError_tPvRmT2_T3_mT4_P12ihipStream_tbEUlmE_lEESB_NS0_8identityIvEEEESM_SP_SQ_mSR_ST_bEUlT_E_NS1_11comp_targetILNS1_3genE2ELNS1_11target_archE906ELNS1_3gpuE6ELNS1_3repE0EEENS1_30default_config_static_selectorELNS0_4arch9wavefront6targetE0EEEvT1_.has_indirect_call, 0
	.section	.AMDGPU.csdata,"",@progbits
; Kernel info:
; codeLenInByte = 0
; TotalNumSgprs: 0
; NumVgprs: 0
; ScratchSize: 0
; MemoryBound: 0
; FloatMode: 240
; IeeeMode: 1
; LDSByteSize: 0 bytes/workgroup (compile time only)
; SGPRBlocks: 0
; VGPRBlocks: 0
; NumSGPRsForWavesPerEU: 1
; NumVGPRsForWavesPerEU: 1
; NamedBarCnt: 0
; Occupancy: 16
; WaveLimiterHint : 0
; COMPUTE_PGM_RSRC2:SCRATCH_EN: 0
; COMPUTE_PGM_RSRC2:USER_SGPR: 2
; COMPUTE_PGM_RSRC2:TRAP_HANDLER: 0
; COMPUTE_PGM_RSRC2:TGID_X_EN: 1
; COMPUTE_PGM_RSRC2:TGID_Y_EN: 0
; COMPUTE_PGM_RSRC2:TGID_Z_EN: 0
; COMPUTE_PGM_RSRC2:TIDIG_COMP_CNT: 0
	.section	.text._ZN7rocprim17ROCPRIM_400000_NS6detail17trampoline_kernelINS0_14default_configENS1_25transform_config_selectorIlLb0EEEZNS1_14transform_implILb0ES3_S5_NS0_18transform_iteratorINS0_17counting_iteratorImlEEZNS1_24adjacent_difference_implIS3_Lb1ELb0EPlSB_ZN2at6native12_GLOBAL__N_124unique_dim_cuda_templateIbEESt5tupleIJNSC_6TensorESH_SH_EERKSH_lbbbEUlllE1_EE10hipError_tPvRmT2_T3_mT4_P12ihipStream_tbEUlmE_lEESB_NS0_8identityIvEEEESM_SP_SQ_mSR_ST_bEUlT_E_NS1_11comp_targetILNS1_3genE10ELNS1_11target_archE1201ELNS1_3gpuE5ELNS1_3repE0EEENS1_30default_config_static_selectorELNS0_4arch9wavefront6targetE0EEEvT1_,"axG",@progbits,_ZN7rocprim17ROCPRIM_400000_NS6detail17trampoline_kernelINS0_14default_configENS1_25transform_config_selectorIlLb0EEEZNS1_14transform_implILb0ES3_S5_NS0_18transform_iteratorINS0_17counting_iteratorImlEEZNS1_24adjacent_difference_implIS3_Lb1ELb0EPlSB_ZN2at6native12_GLOBAL__N_124unique_dim_cuda_templateIbEESt5tupleIJNSC_6TensorESH_SH_EERKSH_lbbbEUlllE1_EE10hipError_tPvRmT2_T3_mT4_P12ihipStream_tbEUlmE_lEESB_NS0_8identityIvEEEESM_SP_SQ_mSR_ST_bEUlT_E_NS1_11comp_targetILNS1_3genE10ELNS1_11target_archE1201ELNS1_3gpuE5ELNS1_3repE0EEENS1_30default_config_static_selectorELNS0_4arch9wavefront6targetE0EEEvT1_,comdat
	.globl	_ZN7rocprim17ROCPRIM_400000_NS6detail17trampoline_kernelINS0_14default_configENS1_25transform_config_selectorIlLb0EEEZNS1_14transform_implILb0ES3_S5_NS0_18transform_iteratorINS0_17counting_iteratorImlEEZNS1_24adjacent_difference_implIS3_Lb1ELb0EPlSB_ZN2at6native12_GLOBAL__N_124unique_dim_cuda_templateIbEESt5tupleIJNSC_6TensorESH_SH_EERKSH_lbbbEUlllE1_EE10hipError_tPvRmT2_T3_mT4_P12ihipStream_tbEUlmE_lEESB_NS0_8identityIvEEEESM_SP_SQ_mSR_ST_bEUlT_E_NS1_11comp_targetILNS1_3genE10ELNS1_11target_archE1201ELNS1_3gpuE5ELNS1_3repE0EEENS1_30default_config_static_selectorELNS0_4arch9wavefront6targetE0EEEvT1_ ; -- Begin function _ZN7rocprim17ROCPRIM_400000_NS6detail17trampoline_kernelINS0_14default_configENS1_25transform_config_selectorIlLb0EEEZNS1_14transform_implILb0ES3_S5_NS0_18transform_iteratorINS0_17counting_iteratorImlEEZNS1_24adjacent_difference_implIS3_Lb1ELb0EPlSB_ZN2at6native12_GLOBAL__N_124unique_dim_cuda_templateIbEESt5tupleIJNSC_6TensorESH_SH_EERKSH_lbbbEUlllE1_EE10hipError_tPvRmT2_T3_mT4_P12ihipStream_tbEUlmE_lEESB_NS0_8identityIvEEEESM_SP_SQ_mSR_ST_bEUlT_E_NS1_11comp_targetILNS1_3genE10ELNS1_11target_archE1201ELNS1_3gpuE5ELNS1_3repE0EEENS1_30default_config_static_selectorELNS0_4arch9wavefront6targetE0EEEvT1_
	.p2align	8
	.type	_ZN7rocprim17ROCPRIM_400000_NS6detail17trampoline_kernelINS0_14default_configENS1_25transform_config_selectorIlLb0EEEZNS1_14transform_implILb0ES3_S5_NS0_18transform_iteratorINS0_17counting_iteratorImlEEZNS1_24adjacent_difference_implIS3_Lb1ELb0EPlSB_ZN2at6native12_GLOBAL__N_124unique_dim_cuda_templateIbEESt5tupleIJNSC_6TensorESH_SH_EERKSH_lbbbEUlllE1_EE10hipError_tPvRmT2_T3_mT4_P12ihipStream_tbEUlmE_lEESB_NS0_8identityIvEEEESM_SP_SQ_mSR_ST_bEUlT_E_NS1_11comp_targetILNS1_3genE10ELNS1_11target_archE1201ELNS1_3gpuE5ELNS1_3repE0EEENS1_30default_config_static_selectorELNS0_4arch9wavefront6targetE0EEEvT1_,@function
_ZN7rocprim17ROCPRIM_400000_NS6detail17trampoline_kernelINS0_14default_configENS1_25transform_config_selectorIlLb0EEEZNS1_14transform_implILb0ES3_S5_NS0_18transform_iteratorINS0_17counting_iteratorImlEEZNS1_24adjacent_difference_implIS3_Lb1ELb0EPlSB_ZN2at6native12_GLOBAL__N_124unique_dim_cuda_templateIbEESt5tupleIJNSC_6TensorESH_SH_EERKSH_lbbbEUlllE1_EE10hipError_tPvRmT2_T3_mT4_P12ihipStream_tbEUlmE_lEESB_NS0_8identityIvEEEESM_SP_SQ_mSR_ST_bEUlT_E_NS1_11comp_targetILNS1_3genE10ELNS1_11target_archE1201ELNS1_3gpuE5ELNS1_3repE0EEENS1_30default_config_static_selectorELNS0_4arch9wavefront6targetE0EEEvT1_: ; @_ZN7rocprim17ROCPRIM_400000_NS6detail17trampoline_kernelINS0_14default_configENS1_25transform_config_selectorIlLb0EEEZNS1_14transform_implILb0ES3_S5_NS0_18transform_iteratorINS0_17counting_iteratorImlEEZNS1_24adjacent_difference_implIS3_Lb1ELb0EPlSB_ZN2at6native12_GLOBAL__N_124unique_dim_cuda_templateIbEESt5tupleIJNSC_6TensorESH_SH_EERKSH_lbbbEUlllE1_EE10hipError_tPvRmT2_T3_mT4_P12ihipStream_tbEUlmE_lEESB_NS0_8identityIvEEEESM_SP_SQ_mSR_ST_bEUlT_E_NS1_11comp_targetILNS1_3genE10ELNS1_11target_archE1201ELNS1_3gpuE5ELNS1_3repE0EEENS1_30default_config_static_selectorELNS0_4arch9wavefront6targetE0EEEvT1_
; %bb.0:
	.section	.rodata,"a",@progbits
	.p2align	6, 0x0
	.amdhsa_kernel _ZN7rocprim17ROCPRIM_400000_NS6detail17trampoline_kernelINS0_14default_configENS1_25transform_config_selectorIlLb0EEEZNS1_14transform_implILb0ES3_S5_NS0_18transform_iteratorINS0_17counting_iteratorImlEEZNS1_24adjacent_difference_implIS3_Lb1ELb0EPlSB_ZN2at6native12_GLOBAL__N_124unique_dim_cuda_templateIbEESt5tupleIJNSC_6TensorESH_SH_EERKSH_lbbbEUlllE1_EE10hipError_tPvRmT2_T3_mT4_P12ihipStream_tbEUlmE_lEESB_NS0_8identityIvEEEESM_SP_SQ_mSR_ST_bEUlT_E_NS1_11comp_targetILNS1_3genE10ELNS1_11target_archE1201ELNS1_3gpuE5ELNS1_3repE0EEENS1_30default_config_static_selectorELNS0_4arch9wavefront6targetE0EEEvT1_
		.amdhsa_group_segment_fixed_size 0
		.amdhsa_private_segment_fixed_size 0
		.amdhsa_kernarg_size 56
		.amdhsa_user_sgpr_count 2
		.amdhsa_user_sgpr_dispatch_ptr 0
		.amdhsa_user_sgpr_queue_ptr 0
		.amdhsa_user_sgpr_kernarg_segment_ptr 1
		.amdhsa_user_sgpr_dispatch_id 0
		.amdhsa_user_sgpr_kernarg_preload_length 0
		.amdhsa_user_sgpr_kernarg_preload_offset 0
		.amdhsa_user_sgpr_private_segment_size 0
		.amdhsa_wavefront_size32 1
		.amdhsa_uses_dynamic_stack 0
		.amdhsa_enable_private_segment 0
		.amdhsa_system_sgpr_workgroup_id_x 1
		.amdhsa_system_sgpr_workgroup_id_y 0
		.amdhsa_system_sgpr_workgroup_id_z 0
		.amdhsa_system_sgpr_workgroup_info 0
		.amdhsa_system_vgpr_workitem_id 0
		.amdhsa_next_free_vgpr 1
		.amdhsa_next_free_sgpr 1
		.amdhsa_named_barrier_count 0
		.amdhsa_reserve_vcc 0
		.amdhsa_float_round_mode_32 0
		.amdhsa_float_round_mode_16_64 0
		.amdhsa_float_denorm_mode_32 3
		.amdhsa_float_denorm_mode_16_64 3
		.amdhsa_fp16_overflow 0
		.amdhsa_memory_ordered 1
		.amdhsa_forward_progress 1
		.amdhsa_inst_pref_size 0
		.amdhsa_round_robin_scheduling 0
		.amdhsa_exception_fp_ieee_invalid_op 0
		.amdhsa_exception_fp_denorm_src 0
		.amdhsa_exception_fp_ieee_div_zero 0
		.amdhsa_exception_fp_ieee_overflow 0
		.amdhsa_exception_fp_ieee_underflow 0
		.amdhsa_exception_fp_ieee_inexact 0
		.amdhsa_exception_int_div_zero 0
	.end_amdhsa_kernel
	.section	.text._ZN7rocprim17ROCPRIM_400000_NS6detail17trampoline_kernelINS0_14default_configENS1_25transform_config_selectorIlLb0EEEZNS1_14transform_implILb0ES3_S5_NS0_18transform_iteratorINS0_17counting_iteratorImlEEZNS1_24adjacent_difference_implIS3_Lb1ELb0EPlSB_ZN2at6native12_GLOBAL__N_124unique_dim_cuda_templateIbEESt5tupleIJNSC_6TensorESH_SH_EERKSH_lbbbEUlllE1_EE10hipError_tPvRmT2_T3_mT4_P12ihipStream_tbEUlmE_lEESB_NS0_8identityIvEEEESM_SP_SQ_mSR_ST_bEUlT_E_NS1_11comp_targetILNS1_3genE10ELNS1_11target_archE1201ELNS1_3gpuE5ELNS1_3repE0EEENS1_30default_config_static_selectorELNS0_4arch9wavefront6targetE0EEEvT1_,"axG",@progbits,_ZN7rocprim17ROCPRIM_400000_NS6detail17trampoline_kernelINS0_14default_configENS1_25transform_config_selectorIlLb0EEEZNS1_14transform_implILb0ES3_S5_NS0_18transform_iteratorINS0_17counting_iteratorImlEEZNS1_24adjacent_difference_implIS3_Lb1ELb0EPlSB_ZN2at6native12_GLOBAL__N_124unique_dim_cuda_templateIbEESt5tupleIJNSC_6TensorESH_SH_EERKSH_lbbbEUlllE1_EE10hipError_tPvRmT2_T3_mT4_P12ihipStream_tbEUlmE_lEESB_NS0_8identityIvEEEESM_SP_SQ_mSR_ST_bEUlT_E_NS1_11comp_targetILNS1_3genE10ELNS1_11target_archE1201ELNS1_3gpuE5ELNS1_3repE0EEENS1_30default_config_static_selectorELNS0_4arch9wavefront6targetE0EEEvT1_,comdat
.Lfunc_end1039:
	.size	_ZN7rocprim17ROCPRIM_400000_NS6detail17trampoline_kernelINS0_14default_configENS1_25transform_config_selectorIlLb0EEEZNS1_14transform_implILb0ES3_S5_NS0_18transform_iteratorINS0_17counting_iteratorImlEEZNS1_24adjacent_difference_implIS3_Lb1ELb0EPlSB_ZN2at6native12_GLOBAL__N_124unique_dim_cuda_templateIbEESt5tupleIJNSC_6TensorESH_SH_EERKSH_lbbbEUlllE1_EE10hipError_tPvRmT2_T3_mT4_P12ihipStream_tbEUlmE_lEESB_NS0_8identityIvEEEESM_SP_SQ_mSR_ST_bEUlT_E_NS1_11comp_targetILNS1_3genE10ELNS1_11target_archE1201ELNS1_3gpuE5ELNS1_3repE0EEENS1_30default_config_static_selectorELNS0_4arch9wavefront6targetE0EEEvT1_, .Lfunc_end1039-_ZN7rocprim17ROCPRIM_400000_NS6detail17trampoline_kernelINS0_14default_configENS1_25transform_config_selectorIlLb0EEEZNS1_14transform_implILb0ES3_S5_NS0_18transform_iteratorINS0_17counting_iteratorImlEEZNS1_24adjacent_difference_implIS3_Lb1ELb0EPlSB_ZN2at6native12_GLOBAL__N_124unique_dim_cuda_templateIbEESt5tupleIJNSC_6TensorESH_SH_EERKSH_lbbbEUlllE1_EE10hipError_tPvRmT2_T3_mT4_P12ihipStream_tbEUlmE_lEESB_NS0_8identityIvEEEESM_SP_SQ_mSR_ST_bEUlT_E_NS1_11comp_targetILNS1_3genE10ELNS1_11target_archE1201ELNS1_3gpuE5ELNS1_3repE0EEENS1_30default_config_static_selectorELNS0_4arch9wavefront6targetE0EEEvT1_
                                        ; -- End function
	.set _ZN7rocprim17ROCPRIM_400000_NS6detail17trampoline_kernelINS0_14default_configENS1_25transform_config_selectorIlLb0EEEZNS1_14transform_implILb0ES3_S5_NS0_18transform_iteratorINS0_17counting_iteratorImlEEZNS1_24adjacent_difference_implIS3_Lb1ELb0EPlSB_ZN2at6native12_GLOBAL__N_124unique_dim_cuda_templateIbEESt5tupleIJNSC_6TensorESH_SH_EERKSH_lbbbEUlllE1_EE10hipError_tPvRmT2_T3_mT4_P12ihipStream_tbEUlmE_lEESB_NS0_8identityIvEEEESM_SP_SQ_mSR_ST_bEUlT_E_NS1_11comp_targetILNS1_3genE10ELNS1_11target_archE1201ELNS1_3gpuE5ELNS1_3repE0EEENS1_30default_config_static_selectorELNS0_4arch9wavefront6targetE0EEEvT1_.num_vgpr, 0
	.set _ZN7rocprim17ROCPRIM_400000_NS6detail17trampoline_kernelINS0_14default_configENS1_25transform_config_selectorIlLb0EEEZNS1_14transform_implILb0ES3_S5_NS0_18transform_iteratorINS0_17counting_iteratorImlEEZNS1_24adjacent_difference_implIS3_Lb1ELb0EPlSB_ZN2at6native12_GLOBAL__N_124unique_dim_cuda_templateIbEESt5tupleIJNSC_6TensorESH_SH_EERKSH_lbbbEUlllE1_EE10hipError_tPvRmT2_T3_mT4_P12ihipStream_tbEUlmE_lEESB_NS0_8identityIvEEEESM_SP_SQ_mSR_ST_bEUlT_E_NS1_11comp_targetILNS1_3genE10ELNS1_11target_archE1201ELNS1_3gpuE5ELNS1_3repE0EEENS1_30default_config_static_selectorELNS0_4arch9wavefront6targetE0EEEvT1_.num_agpr, 0
	.set _ZN7rocprim17ROCPRIM_400000_NS6detail17trampoline_kernelINS0_14default_configENS1_25transform_config_selectorIlLb0EEEZNS1_14transform_implILb0ES3_S5_NS0_18transform_iteratorINS0_17counting_iteratorImlEEZNS1_24adjacent_difference_implIS3_Lb1ELb0EPlSB_ZN2at6native12_GLOBAL__N_124unique_dim_cuda_templateIbEESt5tupleIJNSC_6TensorESH_SH_EERKSH_lbbbEUlllE1_EE10hipError_tPvRmT2_T3_mT4_P12ihipStream_tbEUlmE_lEESB_NS0_8identityIvEEEESM_SP_SQ_mSR_ST_bEUlT_E_NS1_11comp_targetILNS1_3genE10ELNS1_11target_archE1201ELNS1_3gpuE5ELNS1_3repE0EEENS1_30default_config_static_selectorELNS0_4arch9wavefront6targetE0EEEvT1_.numbered_sgpr, 0
	.set _ZN7rocprim17ROCPRIM_400000_NS6detail17trampoline_kernelINS0_14default_configENS1_25transform_config_selectorIlLb0EEEZNS1_14transform_implILb0ES3_S5_NS0_18transform_iteratorINS0_17counting_iteratorImlEEZNS1_24adjacent_difference_implIS3_Lb1ELb0EPlSB_ZN2at6native12_GLOBAL__N_124unique_dim_cuda_templateIbEESt5tupleIJNSC_6TensorESH_SH_EERKSH_lbbbEUlllE1_EE10hipError_tPvRmT2_T3_mT4_P12ihipStream_tbEUlmE_lEESB_NS0_8identityIvEEEESM_SP_SQ_mSR_ST_bEUlT_E_NS1_11comp_targetILNS1_3genE10ELNS1_11target_archE1201ELNS1_3gpuE5ELNS1_3repE0EEENS1_30default_config_static_selectorELNS0_4arch9wavefront6targetE0EEEvT1_.num_named_barrier, 0
	.set _ZN7rocprim17ROCPRIM_400000_NS6detail17trampoline_kernelINS0_14default_configENS1_25transform_config_selectorIlLb0EEEZNS1_14transform_implILb0ES3_S5_NS0_18transform_iteratorINS0_17counting_iteratorImlEEZNS1_24adjacent_difference_implIS3_Lb1ELb0EPlSB_ZN2at6native12_GLOBAL__N_124unique_dim_cuda_templateIbEESt5tupleIJNSC_6TensorESH_SH_EERKSH_lbbbEUlllE1_EE10hipError_tPvRmT2_T3_mT4_P12ihipStream_tbEUlmE_lEESB_NS0_8identityIvEEEESM_SP_SQ_mSR_ST_bEUlT_E_NS1_11comp_targetILNS1_3genE10ELNS1_11target_archE1201ELNS1_3gpuE5ELNS1_3repE0EEENS1_30default_config_static_selectorELNS0_4arch9wavefront6targetE0EEEvT1_.private_seg_size, 0
	.set _ZN7rocprim17ROCPRIM_400000_NS6detail17trampoline_kernelINS0_14default_configENS1_25transform_config_selectorIlLb0EEEZNS1_14transform_implILb0ES3_S5_NS0_18transform_iteratorINS0_17counting_iteratorImlEEZNS1_24adjacent_difference_implIS3_Lb1ELb0EPlSB_ZN2at6native12_GLOBAL__N_124unique_dim_cuda_templateIbEESt5tupleIJNSC_6TensorESH_SH_EERKSH_lbbbEUlllE1_EE10hipError_tPvRmT2_T3_mT4_P12ihipStream_tbEUlmE_lEESB_NS0_8identityIvEEEESM_SP_SQ_mSR_ST_bEUlT_E_NS1_11comp_targetILNS1_3genE10ELNS1_11target_archE1201ELNS1_3gpuE5ELNS1_3repE0EEENS1_30default_config_static_selectorELNS0_4arch9wavefront6targetE0EEEvT1_.uses_vcc, 0
	.set _ZN7rocprim17ROCPRIM_400000_NS6detail17trampoline_kernelINS0_14default_configENS1_25transform_config_selectorIlLb0EEEZNS1_14transform_implILb0ES3_S5_NS0_18transform_iteratorINS0_17counting_iteratorImlEEZNS1_24adjacent_difference_implIS3_Lb1ELb0EPlSB_ZN2at6native12_GLOBAL__N_124unique_dim_cuda_templateIbEESt5tupleIJNSC_6TensorESH_SH_EERKSH_lbbbEUlllE1_EE10hipError_tPvRmT2_T3_mT4_P12ihipStream_tbEUlmE_lEESB_NS0_8identityIvEEEESM_SP_SQ_mSR_ST_bEUlT_E_NS1_11comp_targetILNS1_3genE10ELNS1_11target_archE1201ELNS1_3gpuE5ELNS1_3repE0EEENS1_30default_config_static_selectorELNS0_4arch9wavefront6targetE0EEEvT1_.uses_flat_scratch, 0
	.set _ZN7rocprim17ROCPRIM_400000_NS6detail17trampoline_kernelINS0_14default_configENS1_25transform_config_selectorIlLb0EEEZNS1_14transform_implILb0ES3_S5_NS0_18transform_iteratorINS0_17counting_iteratorImlEEZNS1_24adjacent_difference_implIS3_Lb1ELb0EPlSB_ZN2at6native12_GLOBAL__N_124unique_dim_cuda_templateIbEESt5tupleIJNSC_6TensorESH_SH_EERKSH_lbbbEUlllE1_EE10hipError_tPvRmT2_T3_mT4_P12ihipStream_tbEUlmE_lEESB_NS0_8identityIvEEEESM_SP_SQ_mSR_ST_bEUlT_E_NS1_11comp_targetILNS1_3genE10ELNS1_11target_archE1201ELNS1_3gpuE5ELNS1_3repE0EEENS1_30default_config_static_selectorELNS0_4arch9wavefront6targetE0EEEvT1_.has_dyn_sized_stack, 0
	.set _ZN7rocprim17ROCPRIM_400000_NS6detail17trampoline_kernelINS0_14default_configENS1_25transform_config_selectorIlLb0EEEZNS1_14transform_implILb0ES3_S5_NS0_18transform_iteratorINS0_17counting_iteratorImlEEZNS1_24adjacent_difference_implIS3_Lb1ELb0EPlSB_ZN2at6native12_GLOBAL__N_124unique_dim_cuda_templateIbEESt5tupleIJNSC_6TensorESH_SH_EERKSH_lbbbEUlllE1_EE10hipError_tPvRmT2_T3_mT4_P12ihipStream_tbEUlmE_lEESB_NS0_8identityIvEEEESM_SP_SQ_mSR_ST_bEUlT_E_NS1_11comp_targetILNS1_3genE10ELNS1_11target_archE1201ELNS1_3gpuE5ELNS1_3repE0EEENS1_30default_config_static_selectorELNS0_4arch9wavefront6targetE0EEEvT1_.has_recursion, 0
	.set _ZN7rocprim17ROCPRIM_400000_NS6detail17trampoline_kernelINS0_14default_configENS1_25transform_config_selectorIlLb0EEEZNS1_14transform_implILb0ES3_S5_NS0_18transform_iteratorINS0_17counting_iteratorImlEEZNS1_24adjacent_difference_implIS3_Lb1ELb0EPlSB_ZN2at6native12_GLOBAL__N_124unique_dim_cuda_templateIbEESt5tupleIJNSC_6TensorESH_SH_EERKSH_lbbbEUlllE1_EE10hipError_tPvRmT2_T3_mT4_P12ihipStream_tbEUlmE_lEESB_NS0_8identityIvEEEESM_SP_SQ_mSR_ST_bEUlT_E_NS1_11comp_targetILNS1_3genE10ELNS1_11target_archE1201ELNS1_3gpuE5ELNS1_3repE0EEENS1_30default_config_static_selectorELNS0_4arch9wavefront6targetE0EEEvT1_.has_indirect_call, 0
	.section	.AMDGPU.csdata,"",@progbits
; Kernel info:
; codeLenInByte = 0
; TotalNumSgprs: 0
; NumVgprs: 0
; ScratchSize: 0
; MemoryBound: 0
; FloatMode: 240
; IeeeMode: 1
; LDSByteSize: 0 bytes/workgroup (compile time only)
; SGPRBlocks: 0
; VGPRBlocks: 0
; NumSGPRsForWavesPerEU: 1
; NumVGPRsForWavesPerEU: 1
; NamedBarCnt: 0
; Occupancy: 16
; WaveLimiterHint : 0
; COMPUTE_PGM_RSRC2:SCRATCH_EN: 0
; COMPUTE_PGM_RSRC2:USER_SGPR: 2
; COMPUTE_PGM_RSRC2:TRAP_HANDLER: 0
; COMPUTE_PGM_RSRC2:TGID_X_EN: 1
; COMPUTE_PGM_RSRC2:TGID_Y_EN: 0
; COMPUTE_PGM_RSRC2:TGID_Z_EN: 0
; COMPUTE_PGM_RSRC2:TIDIG_COMP_CNT: 0
	.section	.text._ZN7rocprim17ROCPRIM_400000_NS6detail17trampoline_kernelINS0_14default_configENS1_25transform_config_selectorIlLb0EEEZNS1_14transform_implILb0ES3_S5_NS0_18transform_iteratorINS0_17counting_iteratorImlEEZNS1_24adjacent_difference_implIS3_Lb1ELb0EPlSB_ZN2at6native12_GLOBAL__N_124unique_dim_cuda_templateIbEESt5tupleIJNSC_6TensorESH_SH_EERKSH_lbbbEUlllE1_EE10hipError_tPvRmT2_T3_mT4_P12ihipStream_tbEUlmE_lEESB_NS0_8identityIvEEEESM_SP_SQ_mSR_ST_bEUlT_E_NS1_11comp_targetILNS1_3genE10ELNS1_11target_archE1200ELNS1_3gpuE4ELNS1_3repE0EEENS1_30default_config_static_selectorELNS0_4arch9wavefront6targetE0EEEvT1_,"axG",@progbits,_ZN7rocprim17ROCPRIM_400000_NS6detail17trampoline_kernelINS0_14default_configENS1_25transform_config_selectorIlLb0EEEZNS1_14transform_implILb0ES3_S5_NS0_18transform_iteratorINS0_17counting_iteratorImlEEZNS1_24adjacent_difference_implIS3_Lb1ELb0EPlSB_ZN2at6native12_GLOBAL__N_124unique_dim_cuda_templateIbEESt5tupleIJNSC_6TensorESH_SH_EERKSH_lbbbEUlllE1_EE10hipError_tPvRmT2_T3_mT4_P12ihipStream_tbEUlmE_lEESB_NS0_8identityIvEEEESM_SP_SQ_mSR_ST_bEUlT_E_NS1_11comp_targetILNS1_3genE10ELNS1_11target_archE1200ELNS1_3gpuE4ELNS1_3repE0EEENS1_30default_config_static_selectorELNS0_4arch9wavefront6targetE0EEEvT1_,comdat
	.globl	_ZN7rocprim17ROCPRIM_400000_NS6detail17trampoline_kernelINS0_14default_configENS1_25transform_config_selectorIlLb0EEEZNS1_14transform_implILb0ES3_S5_NS0_18transform_iteratorINS0_17counting_iteratorImlEEZNS1_24adjacent_difference_implIS3_Lb1ELb0EPlSB_ZN2at6native12_GLOBAL__N_124unique_dim_cuda_templateIbEESt5tupleIJNSC_6TensorESH_SH_EERKSH_lbbbEUlllE1_EE10hipError_tPvRmT2_T3_mT4_P12ihipStream_tbEUlmE_lEESB_NS0_8identityIvEEEESM_SP_SQ_mSR_ST_bEUlT_E_NS1_11comp_targetILNS1_3genE10ELNS1_11target_archE1200ELNS1_3gpuE4ELNS1_3repE0EEENS1_30default_config_static_selectorELNS0_4arch9wavefront6targetE0EEEvT1_ ; -- Begin function _ZN7rocprim17ROCPRIM_400000_NS6detail17trampoline_kernelINS0_14default_configENS1_25transform_config_selectorIlLb0EEEZNS1_14transform_implILb0ES3_S5_NS0_18transform_iteratorINS0_17counting_iteratorImlEEZNS1_24adjacent_difference_implIS3_Lb1ELb0EPlSB_ZN2at6native12_GLOBAL__N_124unique_dim_cuda_templateIbEESt5tupleIJNSC_6TensorESH_SH_EERKSH_lbbbEUlllE1_EE10hipError_tPvRmT2_T3_mT4_P12ihipStream_tbEUlmE_lEESB_NS0_8identityIvEEEESM_SP_SQ_mSR_ST_bEUlT_E_NS1_11comp_targetILNS1_3genE10ELNS1_11target_archE1200ELNS1_3gpuE4ELNS1_3repE0EEENS1_30default_config_static_selectorELNS0_4arch9wavefront6targetE0EEEvT1_
	.p2align	8
	.type	_ZN7rocprim17ROCPRIM_400000_NS6detail17trampoline_kernelINS0_14default_configENS1_25transform_config_selectorIlLb0EEEZNS1_14transform_implILb0ES3_S5_NS0_18transform_iteratorINS0_17counting_iteratorImlEEZNS1_24adjacent_difference_implIS3_Lb1ELb0EPlSB_ZN2at6native12_GLOBAL__N_124unique_dim_cuda_templateIbEESt5tupleIJNSC_6TensorESH_SH_EERKSH_lbbbEUlllE1_EE10hipError_tPvRmT2_T3_mT4_P12ihipStream_tbEUlmE_lEESB_NS0_8identityIvEEEESM_SP_SQ_mSR_ST_bEUlT_E_NS1_11comp_targetILNS1_3genE10ELNS1_11target_archE1200ELNS1_3gpuE4ELNS1_3repE0EEENS1_30default_config_static_selectorELNS0_4arch9wavefront6targetE0EEEvT1_,@function
_ZN7rocprim17ROCPRIM_400000_NS6detail17trampoline_kernelINS0_14default_configENS1_25transform_config_selectorIlLb0EEEZNS1_14transform_implILb0ES3_S5_NS0_18transform_iteratorINS0_17counting_iteratorImlEEZNS1_24adjacent_difference_implIS3_Lb1ELb0EPlSB_ZN2at6native12_GLOBAL__N_124unique_dim_cuda_templateIbEESt5tupleIJNSC_6TensorESH_SH_EERKSH_lbbbEUlllE1_EE10hipError_tPvRmT2_T3_mT4_P12ihipStream_tbEUlmE_lEESB_NS0_8identityIvEEEESM_SP_SQ_mSR_ST_bEUlT_E_NS1_11comp_targetILNS1_3genE10ELNS1_11target_archE1200ELNS1_3gpuE4ELNS1_3repE0EEENS1_30default_config_static_selectorELNS0_4arch9wavefront6targetE0EEEvT1_: ; @_ZN7rocprim17ROCPRIM_400000_NS6detail17trampoline_kernelINS0_14default_configENS1_25transform_config_selectorIlLb0EEEZNS1_14transform_implILb0ES3_S5_NS0_18transform_iteratorINS0_17counting_iteratorImlEEZNS1_24adjacent_difference_implIS3_Lb1ELb0EPlSB_ZN2at6native12_GLOBAL__N_124unique_dim_cuda_templateIbEESt5tupleIJNSC_6TensorESH_SH_EERKSH_lbbbEUlllE1_EE10hipError_tPvRmT2_T3_mT4_P12ihipStream_tbEUlmE_lEESB_NS0_8identityIvEEEESM_SP_SQ_mSR_ST_bEUlT_E_NS1_11comp_targetILNS1_3genE10ELNS1_11target_archE1200ELNS1_3gpuE4ELNS1_3repE0EEENS1_30default_config_static_selectorELNS0_4arch9wavefront6targetE0EEEvT1_
; %bb.0:
	.section	.rodata,"a",@progbits
	.p2align	6, 0x0
	.amdhsa_kernel _ZN7rocprim17ROCPRIM_400000_NS6detail17trampoline_kernelINS0_14default_configENS1_25transform_config_selectorIlLb0EEEZNS1_14transform_implILb0ES3_S5_NS0_18transform_iteratorINS0_17counting_iteratorImlEEZNS1_24adjacent_difference_implIS3_Lb1ELb0EPlSB_ZN2at6native12_GLOBAL__N_124unique_dim_cuda_templateIbEESt5tupleIJNSC_6TensorESH_SH_EERKSH_lbbbEUlllE1_EE10hipError_tPvRmT2_T3_mT4_P12ihipStream_tbEUlmE_lEESB_NS0_8identityIvEEEESM_SP_SQ_mSR_ST_bEUlT_E_NS1_11comp_targetILNS1_3genE10ELNS1_11target_archE1200ELNS1_3gpuE4ELNS1_3repE0EEENS1_30default_config_static_selectorELNS0_4arch9wavefront6targetE0EEEvT1_
		.amdhsa_group_segment_fixed_size 0
		.amdhsa_private_segment_fixed_size 0
		.amdhsa_kernarg_size 56
		.amdhsa_user_sgpr_count 2
		.amdhsa_user_sgpr_dispatch_ptr 0
		.amdhsa_user_sgpr_queue_ptr 0
		.amdhsa_user_sgpr_kernarg_segment_ptr 1
		.amdhsa_user_sgpr_dispatch_id 0
		.amdhsa_user_sgpr_kernarg_preload_length 0
		.amdhsa_user_sgpr_kernarg_preload_offset 0
		.amdhsa_user_sgpr_private_segment_size 0
		.amdhsa_wavefront_size32 1
		.amdhsa_uses_dynamic_stack 0
		.amdhsa_enable_private_segment 0
		.amdhsa_system_sgpr_workgroup_id_x 1
		.amdhsa_system_sgpr_workgroup_id_y 0
		.amdhsa_system_sgpr_workgroup_id_z 0
		.amdhsa_system_sgpr_workgroup_info 0
		.amdhsa_system_vgpr_workitem_id 0
		.amdhsa_next_free_vgpr 1
		.amdhsa_next_free_sgpr 1
		.amdhsa_named_barrier_count 0
		.amdhsa_reserve_vcc 0
		.amdhsa_float_round_mode_32 0
		.amdhsa_float_round_mode_16_64 0
		.amdhsa_float_denorm_mode_32 3
		.amdhsa_float_denorm_mode_16_64 3
		.amdhsa_fp16_overflow 0
		.amdhsa_memory_ordered 1
		.amdhsa_forward_progress 1
		.amdhsa_inst_pref_size 0
		.amdhsa_round_robin_scheduling 0
		.amdhsa_exception_fp_ieee_invalid_op 0
		.amdhsa_exception_fp_denorm_src 0
		.amdhsa_exception_fp_ieee_div_zero 0
		.amdhsa_exception_fp_ieee_overflow 0
		.amdhsa_exception_fp_ieee_underflow 0
		.amdhsa_exception_fp_ieee_inexact 0
		.amdhsa_exception_int_div_zero 0
	.end_amdhsa_kernel
	.section	.text._ZN7rocprim17ROCPRIM_400000_NS6detail17trampoline_kernelINS0_14default_configENS1_25transform_config_selectorIlLb0EEEZNS1_14transform_implILb0ES3_S5_NS0_18transform_iteratorINS0_17counting_iteratorImlEEZNS1_24adjacent_difference_implIS3_Lb1ELb0EPlSB_ZN2at6native12_GLOBAL__N_124unique_dim_cuda_templateIbEESt5tupleIJNSC_6TensorESH_SH_EERKSH_lbbbEUlllE1_EE10hipError_tPvRmT2_T3_mT4_P12ihipStream_tbEUlmE_lEESB_NS0_8identityIvEEEESM_SP_SQ_mSR_ST_bEUlT_E_NS1_11comp_targetILNS1_3genE10ELNS1_11target_archE1200ELNS1_3gpuE4ELNS1_3repE0EEENS1_30default_config_static_selectorELNS0_4arch9wavefront6targetE0EEEvT1_,"axG",@progbits,_ZN7rocprim17ROCPRIM_400000_NS6detail17trampoline_kernelINS0_14default_configENS1_25transform_config_selectorIlLb0EEEZNS1_14transform_implILb0ES3_S5_NS0_18transform_iteratorINS0_17counting_iteratorImlEEZNS1_24adjacent_difference_implIS3_Lb1ELb0EPlSB_ZN2at6native12_GLOBAL__N_124unique_dim_cuda_templateIbEESt5tupleIJNSC_6TensorESH_SH_EERKSH_lbbbEUlllE1_EE10hipError_tPvRmT2_T3_mT4_P12ihipStream_tbEUlmE_lEESB_NS0_8identityIvEEEESM_SP_SQ_mSR_ST_bEUlT_E_NS1_11comp_targetILNS1_3genE10ELNS1_11target_archE1200ELNS1_3gpuE4ELNS1_3repE0EEENS1_30default_config_static_selectorELNS0_4arch9wavefront6targetE0EEEvT1_,comdat
.Lfunc_end1040:
	.size	_ZN7rocprim17ROCPRIM_400000_NS6detail17trampoline_kernelINS0_14default_configENS1_25transform_config_selectorIlLb0EEEZNS1_14transform_implILb0ES3_S5_NS0_18transform_iteratorINS0_17counting_iteratorImlEEZNS1_24adjacent_difference_implIS3_Lb1ELb0EPlSB_ZN2at6native12_GLOBAL__N_124unique_dim_cuda_templateIbEESt5tupleIJNSC_6TensorESH_SH_EERKSH_lbbbEUlllE1_EE10hipError_tPvRmT2_T3_mT4_P12ihipStream_tbEUlmE_lEESB_NS0_8identityIvEEEESM_SP_SQ_mSR_ST_bEUlT_E_NS1_11comp_targetILNS1_3genE10ELNS1_11target_archE1200ELNS1_3gpuE4ELNS1_3repE0EEENS1_30default_config_static_selectorELNS0_4arch9wavefront6targetE0EEEvT1_, .Lfunc_end1040-_ZN7rocprim17ROCPRIM_400000_NS6detail17trampoline_kernelINS0_14default_configENS1_25transform_config_selectorIlLb0EEEZNS1_14transform_implILb0ES3_S5_NS0_18transform_iteratorINS0_17counting_iteratorImlEEZNS1_24adjacent_difference_implIS3_Lb1ELb0EPlSB_ZN2at6native12_GLOBAL__N_124unique_dim_cuda_templateIbEESt5tupleIJNSC_6TensorESH_SH_EERKSH_lbbbEUlllE1_EE10hipError_tPvRmT2_T3_mT4_P12ihipStream_tbEUlmE_lEESB_NS0_8identityIvEEEESM_SP_SQ_mSR_ST_bEUlT_E_NS1_11comp_targetILNS1_3genE10ELNS1_11target_archE1200ELNS1_3gpuE4ELNS1_3repE0EEENS1_30default_config_static_selectorELNS0_4arch9wavefront6targetE0EEEvT1_
                                        ; -- End function
	.set _ZN7rocprim17ROCPRIM_400000_NS6detail17trampoline_kernelINS0_14default_configENS1_25transform_config_selectorIlLb0EEEZNS1_14transform_implILb0ES3_S5_NS0_18transform_iteratorINS0_17counting_iteratorImlEEZNS1_24adjacent_difference_implIS3_Lb1ELb0EPlSB_ZN2at6native12_GLOBAL__N_124unique_dim_cuda_templateIbEESt5tupleIJNSC_6TensorESH_SH_EERKSH_lbbbEUlllE1_EE10hipError_tPvRmT2_T3_mT4_P12ihipStream_tbEUlmE_lEESB_NS0_8identityIvEEEESM_SP_SQ_mSR_ST_bEUlT_E_NS1_11comp_targetILNS1_3genE10ELNS1_11target_archE1200ELNS1_3gpuE4ELNS1_3repE0EEENS1_30default_config_static_selectorELNS0_4arch9wavefront6targetE0EEEvT1_.num_vgpr, 0
	.set _ZN7rocprim17ROCPRIM_400000_NS6detail17trampoline_kernelINS0_14default_configENS1_25transform_config_selectorIlLb0EEEZNS1_14transform_implILb0ES3_S5_NS0_18transform_iteratorINS0_17counting_iteratorImlEEZNS1_24adjacent_difference_implIS3_Lb1ELb0EPlSB_ZN2at6native12_GLOBAL__N_124unique_dim_cuda_templateIbEESt5tupleIJNSC_6TensorESH_SH_EERKSH_lbbbEUlllE1_EE10hipError_tPvRmT2_T3_mT4_P12ihipStream_tbEUlmE_lEESB_NS0_8identityIvEEEESM_SP_SQ_mSR_ST_bEUlT_E_NS1_11comp_targetILNS1_3genE10ELNS1_11target_archE1200ELNS1_3gpuE4ELNS1_3repE0EEENS1_30default_config_static_selectorELNS0_4arch9wavefront6targetE0EEEvT1_.num_agpr, 0
	.set _ZN7rocprim17ROCPRIM_400000_NS6detail17trampoline_kernelINS0_14default_configENS1_25transform_config_selectorIlLb0EEEZNS1_14transform_implILb0ES3_S5_NS0_18transform_iteratorINS0_17counting_iteratorImlEEZNS1_24adjacent_difference_implIS3_Lb1ELb0EPlSB_ZN2at6native12_GLOBAL__N_124unique_dim_cuda_templateIbEESt5tupleIJNSC_6TensorESH_SH_EERKSH_lbbbEUlllE1_EE10hipError_tPvRmT2_T3_mT4_P12ihipStream_tbEUlmE_lEESB_NS0_8identityIvEEEESM_SP_SQ_mSR_ST_bEUlT_E_NS1_11comp_targetILNS1_3genE10ELNS1_11target_archE1200ELNS1_3gpuE4ELNS1_3repE0EEENS1_30default_config_static_selectorELNS0_4arch9wavefront6targetE0EEEvT1_.numbered_sgpr, 0
	.set _ZN7rocprim17ROCPRIM_400000_NS6detail17trampoline_kernelINS0_14default_configENS1_25transform_config_selectorIlLb0EEEZNS1_14transform_implILb0ES3_S5_NS0_18transform_iteratorINS0_17counting_iteratorImlEEZNS1_24adjacent_difference_implIS3_Lb1ELb0EPlSB_ZN2at6native12_GLOBAL__N_124unique_dim_cuda_templateIbEESt5tupleIJNSC_6TensorESH_SH_EERKSH_lbbbEUlllE1_EE10hipError_tPvRmT2_T3_mT4_P12ihipStream_tbEUlmE_lEESB_NS0_8identityIvEEEESM_SP_SQ_mSR_ST_bEUlT_E_NS1_11comp_targetILNS1_3genE10ELNS1_11target_archE1200ELNS1_3gpuE4ELNS1_3repE0EEENS1_30default_config_static_selectorELNS0_4arch9wavefront6targetE0EEEvT1_.num_named_barrier, 0
	.set _ZN7rocprim17ROCPRIM_400000_NS6detail17trampoline_kernelINS0_14default_configENS1_25transform_config_selectorIlLb0EEEZNS1_14transform_implILb0ES3_S5_NS0_18transform_iteratorINS0_17counting_iteratorImlEEZNS1_24adjacent_difference_implIS3_Lb1ELb0EPlSB_ZN2at6native12_GLOBAL__N_124unique_dim_cuda_templateIbEESt5tupleIJNSC_6TensorESH_SH_EERKSH_lbbbEUlllE1_EE10hipError_tPvRmT2_T3_mT4_P12ihipStream_tbEUlmE_lEESB_NS0_8identityIvEEEESM_SP_SQ_mSR_ST_bEUlT_E_NS1_11comp_targetILNS1_3genE10ELNS1_11target_archE1200ELNS1_3gpuE4ELNS1_3repE0EEENS1_30default_config_static_selectorELNS0_4arch9wavefront6targetE0EEEvT1_.private_seg_size, 0
	.set _ZN7rocprim17ROCPRIM_400000_NS6detail17trampoline_kernelINS0_14default_configENS1_25transform_config_selectorIlLb0EEEZNS1_14transform_implILb0ES3_S5_NS0_18transform_iteratorINS0_17counting_iteratorImlEEZNS1_24adjacent_difference_implIS3_Lb1ELb0EPlSB_ZN2at6native12_GLOBAL__N_124unique_dim_cuda_templateIbEESt5tupleIJNSC_6TensorESH_SH_EERKSH_lbbbEUlllE1_EE10hipError_tPvRmT2_T3_mT4_P12ihipStream_tbEUlmE_lEESB_NS0_8identityIvEEEESM_SP_SQ_mSR_ST_bEUlT_E_NS1_11comp_targetILNS1_3genE10ELNS1_11target_archE1200ELNS1_3gpuE4ELNS1_3repE0EEENS1_30default_config_static_selectorELNS0_4arch9wavefront6targetE0EEEvT1_.uses_vcc, 0
	.set _ZN7rocprim17ROCPRIM_400000_NS6detail17trampoline_kernelINS0_14default_configENS1_25transform_config_selectorIlLb0EEEZNS1_14transform_implILb0ES3_S5_NS0_18transform_iteratorINS0_17counting_iteratorImlEEZNS1_24adjacent_difference_implIS3_Lb1ELb0EPlSB_ZN2at6native12_GLOBAL__N_124unique_dim_cuda_templateIbEESt5tupleIJNSC_6TensorESH_SH_EERKSH_lbbbEUlllE1_EE10hipError_tPvRmT2_T3_mT4_P12ihipStream_tbEUlmE_lEESB_NS0_8identityIvEEEESM_SP_SQ_mSR_ST_bEUlT_E_NS1_11comp_targetILNS1_3genE10ELNS1_11target_archE1200ELNS1_3gpuE4ELNS1_3repE0EEENS1_30default_config_static_selectorELNS0_4arch9wavefront6targetE0EEEvT1_.uses_flat_scratch, 0
	.set _ZN7rocprim17ROCPRIM_400000_NS6detail17trampoline_kernelINS0_14default_configENS1_25transform_config_selectorIlLb0EEEZNS1_14transform_implILb0ES3_S5_NS0_18transform_iteratorINS0_17counting_iteratorImlEEZNS1_24adjacent_difference_implIS3_Lb1ELb0EPlSB_ZN2at6native12_GLOBAL__N_124unique_dim_cuda_templateIbEESt5tupleIJNSC_6TensorESH_SH_EERKSH_lbbbEUlllE1_EE10hipError_tPvRmT2_T3_mT4_P12ihipStream_tbEUlmE_lEESB_NS0_8identityIvEEEESM_SP_SQ_mSR_ST_bEUlT_E_NS1_11comp_targetILNS1_3genE10ELNS1_11target_archE1200ELNS1_3gpuE4ELNS1_3repE0EEENS1_30default_config_static_selectorELNS0_4arch9wavefront6targetE0EEEvT1_.has_dyn_sized_stack, 0
	.set _ZN7rocprim17ROCPRIM_400000_NS6detail17trampoline_kernelINS0_14default_configENS1_25transform_config_selectorIlLb0EEEZNS1_14transform_implILb0ES3_S5_NS0_18transform_iteratorINS0_17counting_iteratorImlEEZNS1_24adjacent_difference_implIS3_Lb1ELb0EPlSB_ZN2at6native12_GLOBAL__N_124unique_dim_cuda_templateIbEESt5tupleIJNSC_6TensorESH_SH_EERKSH_lbbbEUlllE1_EE10hipError_tPvRmT2_T3_mT4_P12ihipStream_tbEUlmE_lEESB_NS0_8identityIvEEEESM_SP_SQ_mSR_ST_bEUlT_E_NS1_11comp_targetILNS1_3genE10ELNS1_11target_archE1200ELNS1_3gpuE4ELNS1_3repE0EEENS1_30default_config_static_selectorELNS0_4arch9wavefront6targetE0EEEvT1_.has_recursion, 0
	.set _ZN7rocprim17ROCPRIM_400000_NS6detail17trampoline_kernelINS0_14default_configENS1_25transform_config_selectorIlLb0EEEZNS1_14transform_implILb0ES3_S5_NS0_18transform_iteratorINS0_17counting_iteratorImlEEZNS1_24adjacent_difference_implIS3_Lb1ELb0EPlSB_ZN2at6native12_GLOBAL__N_124unique_dim_cuda_templateIbEESt5tupleIJNSC_6TensorESH_SH_EERKSH_lbbbEUlllE1_EE10hipError_tPvRmT2_T3_mT4_P12ihipStream_tbEUlmE_lEESB_NS0_8identityIvEEEESM_SP_SQ_mSR_ST_bEUlT_E_NS1_11comp_targetILNS1_3genE10ELNS1_11target_archE1200ELNS1_3gpuE4ELNS1_3repE0EEENS1_30default_config_static_selectorELNS0_4arch9wavefront6targetE0EEEvT1_.has_indirect_call, 0
	.section	.AMDGPU.csdata,"",@progbits
; Kernel info:
; codeLenInByte = 0
; TotalNumSgprs: 0
; NumVgprs: 0
; ScratchSize: 0
; MemoryBound: 0
; FloatMode: 240
; IeeeMode: 1
; LDSByteSize: 0 bytes/workgroup (compile time only)
; SGPRBlocks: 0
; VGPRBlocks: 0
; NumSGPRsForWavesPerEU: 1
; NumVGPRsForWavesPerEU: 1
; NamedBarCnt: 0
; Occupancy: 16
; WaveLimiterHint : 0
; COMPUTE_PGM_RSRC2:SCRATCH_EN: 0
; COMPUTE_PGM_RSRC2:USER_SGPR: 2
; COMPUTE_PGM_RSRC2:TRAP_HANDLER: 0
; COMPUTE_PGM_RSRC2:TGID_X_EN: 1
; COMPUTE_PGM_RSRC2:TGID_Y_EN: 0
; COMPUTE_PGM_RSRC2:TGID_Z_EN: 0
; COMPUTE_PGM_RSRC2:TIDIG_COMP_CNT: 0
	.section	.text._ZN7rocprim17ROCPRIM_400000_NS6detail17trampoline_kernelINS0_14default_configENS1_25transform_config_selectorIlLb0EEEZNS1_14transform_implILb0ES3_S5_NS0_18transform_iteratorINS0_17counting_iteratorImlEEZNS1_24adjacent_difference_implIS3_Lb1ELb0EPlSB_ZN2at6native12_GLOBAL__N_124unique_dim_cuda_templateIbEESt5tupleIJNSC_6TensorESH_SH_EERKSH_lbbbEUlllE1_EE10hipError_tPvRmT2_T3_mT4_P12ihipStream_tbEUlmE_lEESB_NS0_8identityIvEEEESM_SP_SQ_mSR_ST_bEUlT_E_NS1_11comp_targetILNS1_3genE9ELNS1_11target_archE1100ELNS1_3gpuE3ELNS1_3repE0EEENS1_30default_config_static_selectorELNS0_4arch9wavefront6targetE0EEEvT1_,"axG",@progbits,_ZN7rocprim17ROCPRIM_400000_NS6detail17trampoline_kernelINS0_14default_configENS1_25transform_config_selectorIlLb0EEEZNS1_14transform_implILb0ES3_S5_NS0_18transform_iteratorINS0_17counting_iteratorImlEEZNS1_24adjacent_difference_implIS3_Lb1ELb0EPlSB_ZN2at6native12_GLOBAL__N_124unique_dim_cuda_templateIbEESt5tupleIJNSC_6TensorESH_SH_EERKSH_lbbbEUlllE1_EE10hipError_tPvRmT2_T3_mT4_P12ihipStream_tbEUlmE_lEESB_NS0_8identityIvEEEESM_SP_SQ_mSR_ST_bEUlT_E_NS1_11comp_targetILNS1_3genE9ELNS1_11target_archE1100ELNS1_3gpuE3ELNS1_3repE0EEENS1_30default_config_static_selectorELNS0_4arch9wavefront6targetE0EEEvT1_,comdat
	.globl	_ZN7rocprim17ROCPRIM_400000_NS6detail17trampoline_kernelINS0_14default_configENS1_25transform_config_selectorIlLb0EEEZNS1_14transform_implILb0ES3_S5_NS0_18transform_iteratorINS0_17counting_iteratorImlEEZNS1_24adjacent_difference_implIS3_Lb1ELb0EPlSB_ZN2at6native12_GLOBAL__N_124unique_dim_cuda_templateIbEESt5tupleIJNSC_6TensorESH_SH_EERKSH_lbbbEUlllE1_EE10hipError_tPvRmT2_T3_mT4_P12ihipStream_tbEUlmE_lEESB_NS0_8identityIvEEEESM_SP_SQ_mSR_ST_bEUlT_E_NS1_11comp_targetILNS1_3genE9ELNS1_11target_archE1100ELNS1_3gpuE3ELNS1_3repE0EEENS1_30default_config_static_selectorELNS0_4arch9wavefront6targetE0EEEvT1_ ; -- Begin function _ZN7rocprim17ROCPRIM_400000_NS6detail17trampoline_kernelINS0_14default_configENS1_25transform_config_selectorIlLb0EEEZNS1_14transform_implILb0ES3_S5_NS0_18transform_iteratorINS0_17counting_iteratorImlEEZNS1_24adjacent_difference_implIS3_Lb1ELb0EPlSB_ZN2at6native12_GLOBAL__N_124unique_dim_cuda_templateIbEESt5tupleIJNSC_6TensorESH_SH_EERKSH_lbbbEUlllE1_EE10hipError_tPvRmT2_T3_mT4_P12ihipStream_tbEUlmE_lEESB_NS0_8identityIvEEEESM_SP_SQ_mSR_ST_bEUlT_E_NS1_11comp_targetILNS1_3genE9ELNS1_11target_archE1100ELNS1_3gpuE3ELNS1_3repE0EEENS1_30default_config_static_selectorELNS0_4arch9wavefront6targetE0EEEvT1_
	.p2align	8
	.type	_ZN7rocprim17ROCPRIM_400000_NS6detail17trampoline_kernelINS0_14default_configENS1_25transform_config_selectorIlLb0EEEZNS1_14transform_implILb0ES3_S5_NS0_18transform_iteratorINS0_17counting_iteratorImlEEZNS1_24adjacent_difference_implIS3_Lb1ELb0EPlSB_ZN2at6native12_GLOBAL__N_124unique_dim_cuda_templateIbEESt5tupleIJNSC_6TensorESH_SH_EERKSH_lbbbEUlllE1_EE10hipError_tPvRmT2_T3_mT4_P12ihipStream_tbEUlmE_lEESB_NS0_8identityIvEEEESM_SP_SQ_mSR_ST_bEUlT_E_NS1_11comp_targetILNS1_3genE9ELNS1_11target_archE1100ELNS1_3gpuE3ELNS1_3repE0EEENS1_30default_config_static_selectorELNS0_4arch9wavefront6targetE0EEEvT1_,@function
_ZN7rocprim17ROCPRIM_400000_NS6detail17trampoline_kernelINS0_14default_configENS1_25transform_config_selectorIlLb0EEEZNS1_14transform_implILb0ES3_S5_NS0_18transform_iteratorINS0_17counting_iteratorImlEEZNS1_24adjacent_difference_implIS3_Lb1ELb0EPlSB_ZN2at6native12_GLOBAL__N_124unique_dim_cuda_templateIbEESt5tupleIJNSC_6TensorESH_SH_EERKSH_lbbbEUlllE1_EE10hipError_tPvRmT2_T3_mT4_P12ihipStream_tbEUlmE_lEESB_NS0_8identityIvEEEESM_SP_SQ_mSR_ST_bEUlT_E_NS1_11comp_targetILNS1_3genE9ELNS1_11target_archE1100ELNS1_3gpuE3ELNS1_3repE0EEENS1_30default_config_static_selectorELNS0_4arch9wavefront6targetE0EEEvT1_: ; @_ZN7rocprim17ROCPRIM_400000_NS6detail17trampoline_kernelINS0_14default_configENS1_25transform_config_selectorIlLb0EEEZNS1_14transform_implILb0ES3_S5_NS0_18transform_iteratorINS0_17counting_iteratorImlEEZNS1_24adjacent_difference_implIS3_Lb1ELb0EPlSB_ZN2at6native12_GLOBAL__N_124unique_dim_cuda_templateIbEESt5tupleIJNSC_6TensorESH_SH_EERKSH_lbbbEUlllE1_EE10hipError_tPvRmT2_T3_mT4_P12ihipStream_tbEUlmE_lEESB_NS0_8identityIvEEEESM_SP_SQ_mSR_ST_bEUlT_E_NS1_11comp_targetILNS1_3genE9ELNS1_11target_archE1100ELNS1_3gpuE3ELNS1_3repE0EEENS1_30default_config_static_selectorELNS0_4arch9wavefront6targetE0EEEvT1_
; %bb.0:
	.section	.rodata,"a",@progbits
	.p2align	6, 0x0
	.amdhsa_kernel _ZN7rocprim17ROCPRIM_400000_NS6detail17trampoline_kernelINS0_14default_configENS1_25transform_config_selectorIlLb0EEEZNS1_14transform_implILb0ES3_S5_NS0_18transform_iteratorINS0_17counting_iteratorImlEEZNS1_24adjacent_difference_implIS3_Lb1ELb0EPlSB_ZN2at6native12_GLOBAL__N_124unique_dim_cuda_templateIbEESt5tupleIJNSC_6TensorESH_SH_EERKSH_lbbbEUlllE1_EE10hipError_tPvRmT2_T3_mT4_P12ihipStream_tbEUlmE_lEESB_NS0_8identityIvEEEESM_SP_SQ_mSR_ST_bEUlT_E_NS1_11comp_targetILNS1_3genE9ELNS1_11target_archE1100ELNS1_3gpuE3ELNS1_3repE0EEENS1_30default_config_static_selectorELNS0_4arch9wavefront6targetE0EEEvT1_
		.amdhsa_group_segment_fixed_size 0
		.amdhsa_private_segment_fixed_size 0
		.amdhsa_kernarg_size 56
		.amdhsa_user_sgpr_count 2
		.amdhsa_user_sgpr_dispatch_ptr 0
		.amdhsa_user_sgpr_queue_ptr 0
		.amdhsa_user_sgpr_kernarg_segment_ptr 1
		.amdhsa_user_sgpr_dispatch_id 0
		.amdhsa_user_sgpr_kernarg_preload_length 0
		.amdhsa_user_sgpr_kernarg_preload_offset 0
		.amdhsa_user_sgpr_private_segment_size 0
		.amdhsa_wavefront_size32 1
		.amdhsa_uses_dynamic_stack 0
		.amdhsa_enable_private_segment 0
		.amdhsa_system_sgpr_workgroup_id_x 1
		.amdhsa_system_sgpr_workgroup_id_y 0
		.amdhsa_system_sgpr_workgroup_id_z 0
		.amdhsa_system_sgpr_workgroup_info 0
		.amdhsa_system_vgpr_workitem_id 0
		.amdhsa_next_free_vgpr 1
		.amdhsa_next_free_sgpr 1
		.amdhsa_named_barrier_count 0
		.amdhsa_reserve_vcc 0
		.amdhsa_float_round_mode_32 0
		.amdhsa_float_round_mode_16_64 0
		.amdhsa_float_denorm_mode_32 3
		.amdhsa_float_denorm_mode_16_64 3
		.amdhsa_fp16_overflow 0
		.amdhsa_memory_ordered 1
		.amdhsa_forward_progress 1
		.amdhsa_inst_pref_size 0
		.amdhsa_round_robin_scheduling 0
		.amdhsa_exception_fp_ieee_invalid_op 0
		.amdhsa_exception_fp_denorm_src 0
		.amdhsa_exception_fp_ieee_div_zero 0
		.amdhsa_exception_fp_ieee_overflow 0
		.amdhsa_exception_fp_ieee_underflow 0
		.amdhsa_exception_fp_ieee_inexact 0
		.amdhsa_exception_int_div_zero 0
	.end_amdhsa_kernel
	.section	.text._ZN7rocprim17ROCPRIM_400000_NS6detail17trampoline_kernelINS0_14default_configENS1_25transform_config_selectorIlLb0EEEZNS1_14transform_implILb0ES3_S5_NS0_18transform_iteratorINS0_17counting_iteratorImlEEZNS1_24adjacent_difference_implIS3_Lb1ELb0EPlSB_ZN2at6native12_GLOBAL__N_124unique_dim_cuda_templateIbEESt5tupleIJNSC_6TensorESH_SH_EERKSH_lbbbEUlllE1_EE10hipError_tPvRmT2_T3_mT4_P12ihipStream_tbEUlmE_lEESB_NS0_8identityIvEEEESM_SP_SQ_mSR_ST_bEUlT_E_NS1_11comp_targetILNS1_3genE9ELNS1_11target_archE1100ELNS1_3gpuE3ELNS1_3repE0EEENS1_30default_config_static_selectorELNS0_4arch9wavefront6targetE0EEEvT1_,"axG",@progbits,_ZN7rocprim17ROCPRIM_400000_NS6detail17trampoline_kernelINS0_14default_configENS1_25transform_config_selectorIlLb0EEEZNS1_14transform_implILb0ES3_S5_NS0_18transform_iteratorINS0_17counting_iteratorImlEEZNS1_24adjacent_difference_implIS3_Lb1ELb0EPlSB_ZN2at6native12_GLOBAL__N_124unique_dim_cuda_templateIbEESt5tupleIJNSC_6TensorESH_SH_EERKSH_lbbbEUlllE1_EE10hipError_tPvRmT2_T3_mT4_P12ihipStream_tbEUlmE_lEESB_NS0_8identityIvEEEESM_SP_SQ_mSR_ST_bEUlT_E_NS1_11comp_targetILNS1_3genE9ELNS1_11target_archE1100ELNS1_3gpuE3ELNS1_3repE0EEENS1_30default_config_static_selectorELNS0_4arch9wavefront6targetE0EEEvT1_,comdat
.Lfunc_end1041:
	.size	_ZN7rocprim17ROCPRIM_400000_NS6detail17trampoline_kernelINS0_14default_configENS1_25transform_config_selectorIlLb0EEEZNS1_14transform_implILb0ES3_S5_NS0_18transform_iteratorINS0_17counting_iteratorImlEEZNS1_24adjacent_difference_implIS3_Lb1ELb0EPlSB_ZN2at6native12_GLOBAL__N_124unique_dim_cuda_templateIbEESt5tupleIJNSC_6TensorESH_SH_EERKSH_lbbbEUlllE1_EE10hipError_tPvRmT2_T3_mT4_P12ihipStream_tbEUlmE_lEESB_NS0_8identityIvEEEESM_SP_SQ_mSR_ST_bEUlT_E_NS1_11comp_targetILNS1_3genE9ELNS1_11target_archE1100ELNS1_3gpuE3ELNS1_3repE0EEENS1_30default_config_static_selectorELNS0_4arch9wavefront6targetE0EEEvT1_, .Lfunc_end1041-_ZN7rocprim17ROCPRIM_400000_NS6detail17trampoline_kernelINS0_14default_configENS1_25transform_config_selectorIlLb0EEEZNS1_14transform_implILb0ES3_S5_NS0_18transform_iteratorINS0_17counting_iteratorImlEEZNS1_24adjacent_difference_implIS3_Lb1ELb0EPlSB_ZN2at6native12_GLOBAL__N_124unique_dim_cuda_templateIbEESt5tupleIJNSC_6TensorESH_SH_EERKSH_lbbbEUlllE1_EE10hipError_tPvRmT2_T3_mT4_P12ihipStream_tbEUlmE_lEESB_NS0_8identityIvEEEESM_SP_SQ_mSR_ST_bEUlT_E_NS1_11comp_targetILNS1_3genE9ELNS1_11target_archE1100ELNS1_3gpuE3ELNS1_3repE0EEENS1_30default_config_static_selectorELNS0_4arch9wavefront6targetE0EEEvT1_
                                        ; -- End function
	.set _ZN7rocprim17ROCPRIM_400000_NS6detail17trampoline_kernelINS0_14default_configENS1_25transform_config_selectorIlLb0EEEZNS1_14transform_implILb0ES3_S5_NS0_18transform_iteratorINS0_17counting_iteratorImlEEZNS1_24adjacent_difference_implIS3_Lb1ELb0EPlSB_ZN2at6native12_GLOBAL__N_124unique_dim_cuda_templateIbEESt5tupleIJNSC_6TensorESH_SH_EERKSH_lbbbEUlllE1_EE10hipError_tPvRmT2_T3_mT4_P12ihipStream_tbEUlmE_lEESB_NS0_8identityIvEEEESM_SP_SQ_mSR_ST_bEUlT_E_NS1_11comp_targetILNS1_3genE9ELNS1_11target_archE1100ELNS1_3gpuE3ELNS1_3repE0EEENS1_30default_config_static_selectorELNS0_4arch9wavefront6targetE0EEEvT1_.num_vgpr, 0
	.set _ZN7rocprim17ROCPRIM_400000_NS6detail17trampoline_kernelINS0_14default_configENS1_25transform_config_selectorIlLb0EEEZNS1_14transform_implILb0ES3_S5_NS0_18transform_iteratorINS0_17counting_iteratorImlEEZNS1_24adjacent_difference_implIS3_Lb1ELb0EPlSB_ZN2at6native12_GLOBAL__N_124unique_dim_cuda_templateIbEESt5tupleIJNSC_6TensorESH_SH_EERKSH_lbbbEUlllE1_EE10hipError_tPvRmT2_T3_mT4_P12ihipStream_tbEUlmE_lEESB_NS0_8identityIvEEEESM_SP_SQ_mSR_ST_bEUlT_E_NS1_11comp_targetILNS1_3genE9ELNS1_11target_archE1100ELNS1_3gpuE3ELNS1_3repE0EEENS1_30default_config_static_selectorELNS0_4arch9wavefront6targetE0EEEvT1_.num_agpr, 0
	.set _ZN7rocprim17ROCPRIM_400000_NS6detail17trampoline_kernelINS0_14default_configENS1_25transform_config_selectorIlLb0EEEZNS1_14transform_implILb0ES3_S5_NS0_18transform_iteratorINS0_17counting_iteratorImlEEZNS1_24adjacent_difference_implIS3_Lb1ELb0EPlSB_ZN2at6native12_GLOBAL__N_124unique_dim_cuda_templateIbEESt5tupleIJNSC_6TensorESH_SH_EERKSH_lbbbEUlllE1_EE10hipError_tPvRmT2_T3_mT4_P12ihipStream_tbEUlmE_lEESB_NS0_8identityIvEEEESM_SP_SQ_mSR_ST_bEUlT_E_NS1_11comp_targetILNS1_3genE9ELNS1_11target_archE1100ELNS1_3gpuE3ELNS1_3repE0EEENS1_30default_config_static_selectorELNS0_4arch9wavefront6targetE0EEEvT1_.numbered_sgpr, 0
	.set _ZN7rocprim17ROCPRIM_400000_NS6detail17trampoline_kernelINS0_14default_configENS1_25transform_config_selectorIlLb0EEEZNS1_14transform_implILb0ES3_S5_NS0_18transform_iteratorINS0_17counting_iteratorImlEEZNS1_24adjacent_difference_implIS3_Lb1ELb0EPlSB_ZN2at6native12_GLOBAL__N_124unique_dim_cuda_templateIbEESt5tupleIJNSC_6TensorESH_SH_EERKSH_lbbbEUlllE1_EE10hipError_tPvRmT2_T3_mT4_P12ihipStream_tbEUlmE_lEESB_NS0_8identityIvEEEESM_SP_SQ_mSR_ST_bEUlT_E_NS1_11comp_targetILNS1_3genE9ELNS1_11target_archE1100ELNS1_3gpuE3ELNS1_3repE0EEENS1_30default_config_static_selectorELNS0_4arch9wavefront6targetE0EEEvT1_.num_named_barrier, 0
	.set _ZN7rocprim17ROCPRIM_400000_NS6detail17trampoline_kernelINS0_14default_configENS1_25transform_config_selectorIlLb0EEEZNS1_14transform_implILb0ES3_S5_NS0_18transform_iteratorINS0_17counting_iteratorImlEEZNS1_24adjacent_difference_implIS3_Lb1ELb0EPlSB_ZN2at6native12_GLOBAL__N_124unique_dim_cuda_templateIbEESt5tupleIJNSC_6TensorESH_SH_EERKSH_lbbbEUlllE1_EE10hipError_tPvRmT2_T3_mT4_P12ihipStream_tbEUlmE_lEESB_NS0_8identityIvEEEESM_SP_SQ_mSR_ST_bEUlT_E_NS1_11comp_targetILNS1_3genE9ELNS1_11target_archE1100ELNS1_3gpuE3ELNS1_3repE0EEENS1_30default_config_static_selectorELNS0_4arch9wavefront6targetE0EEEvT1_.private_seg_size, 0
	.set _ZN7rocprim17ROCPRIM_400000_NS6detail17trampoline_kernelINS0_14default_configENS1_25transform_config_selectorIlLb0EEEZNS1_14transform_implILb0ES3_S5_NS0_18transform_iteratorINS0_17counting_iteratorImlEEZNS1_24adjacent_difference_implIS3_Lb1ELb0EPlSB_ZN2at6native12_GLOBAL__N_124unique_dim_cuda_templateIbEESt5tupleIJNSC_6TensorESH_SH_EERKSH_lbbbEUlllE1_EE10hipError_tPvRmT2_T3_mT4_P12ihipStream_tbEUlmE_lEESB_NS0_8identityIvEEEESM_SP_SQ_mSR_ST_bEUlT_E_NS1_11comp_targetILNS1_3genE9ELNS1_11target_archE1100ELNS1_3gpuE3ELNS1_3repE0EEENS1_30default_config_static_selectorELNS0_4arch9wavefront6targetE0EEEvT1_.uses_vcc, 0
	.set _ZN7rocprim17ROCPRIM_400000_NS6detail17trampoline_kernelINS0_14default_configENS1_25transform_config_selectorIlLb0EEEZNS1_14transform_implILb0ES3_S5_NS0_18transform_iteratorINS0_17counting_iteratorImlEEZNS1_24adjacent_difference_implIS3_Lb1ELb0EPlSB_ZN2at6native12_GLOBAL__N_124unique_dim_cuda_templateIbEESt5tupleIJNSC_6TensorESH_SH_EERKSH_lbbbEUlllE1_EE10hipError_tPvRmT2_T3_mT4_P12ihipStream_tbEUlmE_lEESB_NS0_8identityIvEEEESM_SP_SQ_mSR_ST_bEUlT_E_NS1_11comp_targetILNS1_3genE9ELNS1_11target_archE1100ELNS1_3gpuE3ELNS1_3repE0EEENS1_30default_config_static_selectorELNS0_4arch9wavefront6targetE0EEEvT1_.uses_flat_scratch, 0
	.set _ZN7rocprim17ROCPRIM_400000_NS6detail17trampoline_kernelINS0_14default_configENS1_25transform_config_selectorIlLb0EEEZNS1_14transform_implILb0ES3_S5_NS0_18transform_iteratorINS0_17counting_iteratorImlEEZNS1_24adjacent_difference_implIS3_Lb1ELb0EPlSB_ZN2at6native12_GLOBAL__N_124unique_dim_cuda_templateIbEESt5tupleIJNSC_6TensorESH_SH_EERKSH_lbbbEUlllE1_EE10hipError_tPvRmT2_T3_mT4_P12ihipStream_tbEUlmE_lEESB_NS0_8identityIvEEEESM_SP_SQ_mSR_ST_bEUlT_E_NS1_11comp_targetILNS1_3genE9ELNS1_11target_archE1100ELNS1_3gpuE3ELNS1_3repE0EEENS1_30default_config_static_selectorELNS0_4arch9wavefront6targetE0EEEvT1_.has_dyn_sized_stack, 0
	.set _ZN7rocprim17ROCPRIM_400000_NS6detail17trampoline_kernelINS0_14default_configENS1_25transform_config_selectorIlLb0EEEZNS1_14transform_implILb0ES3_S5_NS0_18transform_iteratorINS0_17counting_iteratorImlEEZNS1_24adjacent_difference_implIS3_Lb1ELb0EPlSB_ZN2at6native12_GLOBAL__N_124unique_dim_cuda_templateIbEESt5tupleIJNSC_6TensorESH_SH_EERKSH_lbbbEUlllE1_EE10hipError_tPvRmT2_T3_mT4_P12ihipStream_tbEUlmE_lEESB_NS0_8identityIvEEEESM_SP_SQ_mSR_ST_bEUlT_E_NS1_11comp_targetILNS1_3genE9ELNS1_11target_archE1100ELNS1_3gpuE3ELNS1_3repE0EEENS1_30default_config_static_selectorELNS0_4arch9wavefront6targetE0EEEvT1_.has_recursion, 0
	.set _ZN7rocprim17ROCPRIM_400000_NS6detail17trampoline_kernelINS0_14default_configENS1_25transform_config_selectorIlLb0EEEZNS1_14transform_implILb0ES3_S5_NS0_18transform_iteratorINS0_17counting_iteratorImlEEZNS1_24adjacent_difference_implIS3_Lb1ELb0EPlSB_ZN2at6native12_GLOBAL__N_124unique_dim_cuda_templateIbEESt5tupleIJNSC_6TensorESH_SH_EERKSH_lbbbEUlllE1_EE10hipError_tPvRmT2_T3_mT4_P12ihipStream_tbEUlmE_lEESB_NS0_8identityIvEEEESM_SP_SQ_mSR_ST_bEUlT_E_NS1_11comp_targetILNS1_3genE9ELNS1_11target_archE1100ELNS1_3gpuE3ELNS1_3repE0EEENS1_30default_config_static_selectorELNS0_4arch9wavefront6targetE0EEEvT1_.has_indirect_call, 0
	.section	.AMDGPU.csdata,"",@progbits
; Kernel info:
; codeLenInByte = 0
; TotalNumSgprs: 0
; NumVgprs: 0
; ScratchSize: 0
; MemoryBound: 0
; FloatMode: 240
; IeeeMode: 1
; LDSByteSize: 0 bytes/workgroup (compile time only)
; SGPRBlocks: 0
; VGPRBlocks: 0
; NumSGPRsForWavesPerEU: 1
; NumVGPRsForWavesPerEU: 1
; NamedBarCnt: 0
; Occupancy: 16
; WaveLimiterHint : 0
; COMPUTE_PGM_RSRC2:SCRATCH_EN: 0
; COMPUTE_PGM_RSRC2:USER_SGPR: 2
; COMPUTE_PGM_RSRC2:TRAP_HANDLER: 0
; COMPUTE_PGM_RSRC2:TGID_X_EN: 1
; COMPUTE_PGM_RSRC2:TGID_Y_EN: 0
; COMPUTE_PGM_RSRC2:TGID_Z_EN: 0
; COMPUTE_PGM_RSRC2:TIDIG_COMP_CNT: 0
	.section	.text._ZN7rocprim17ROCPRIM_400000_NS6detail17trampoline_kernelINS0_14default_configENS1_25transform_config_selectorIlLb0EEEZNS1_14transform_implILb0ES3_S5_NS0_18transform_iteratorINS0_17counting_iteratorImlEEZNS1_24adjacent_difference_implIS3_Lb1ELb0EPlSB_ZN2at6native12_GLOBAL__N_124unique_dim_cuda_templateIbEESt5tupleIJNSC_6TensorESH_SH_EERKSH_lbbbEUlllE1_EE10hipError_tPvRmT2_T3_mT4_P12ihipStream_tbEUlmE_lEESB_NS0_8identityIvEEEESM_SP_SQ_mSR_ST_bEUlT_E_NS1_11comp_targetILNS1_3genE8ELNS1_11target_archE1030ELNS1_3gpuE2ELNS1_3repE0EEENS1_30default_config_static_selectorELNS0_4arch9wavefront6targetE0EEEvT1_,"axG",@progbits,_ZN7rocprim17ROCPRIM_400000_NS6detail17trampoline_kernelINS0_14default_configENS1_25transform_config_selectorIlLb0EEEZNS1_14transform_implILb0ES3_S5_NS0_18transform_iteratorINS0_17counting_iteratorImlEEZNS1_24adjacent_difference_implIS3_Lb1ELb0EPlSB_ZN2at6native12_GLOBAL__N_124unique_dim_cuda_templateIbEESt5tupleIJNSC_6TensorESH_SH_EERKSH_lbbbEUlllE1_EE10hipError_tPvRmT2_T3_mT4_P12ihipStream_tbEUlmE_lEESB_NS0_8identityIvEEEESM_SP_SQ_mSR_ST_bEUlT_E_NS1_11comp_targetILNS1_3genE8ELNS1_11target_archE1030ELNS1_3gpuE2ELNS1_3repE0EEENS1_30default_config_static_selectorELNS0_4arch9wavefront6targetE0EEEvT1_,comdat
	.globl	_ZN7rocprim17ROCPRIM_400000_NS6detail17trampoline_kernelINS0_14default_configENS1_25transform_config_selectorIlLb0EEEZNS1_14transform_implILb0ES3_S5_NS0_18transform_iteratorINS0_17counting_iteratorImlEEZNS1_24adjacent_difference_implIS3_Lb1ELb0EPlSB_ZN2at6native12_GLOBAL__N_124unique_dim_cuda_templateIbEESt5tupleIJNSC_6TensorESH_SH_EERKSH_lbbbEUlllE1_EE10hipError_tPvRmT2_T3_mT4_P12ihipStream_tbEUlmE_lEESB_NS0_8identityIvEEEESM_SP_SQ_mSR_ST_bEUlT_E_NS1_11comp_targetILNS1_3genE8ELNS1_11target_archE1030ELNS1_3gpuE2ELNS1_3repE0EEENS1_30default_config_static_selectorELNS0_4arch9wavefront6targetE0EEEvT1_ ; -- Begin function _ZN7rocprim17ROCPRIM_400000_NS6detail17trampoline_kernelINS0_14default_configENS1_25transform_config_selectorIlLb0EEEZNS1_14transform_implILb0ES3_S5_NS0_18transform_iteratorINS0_17counting_iteratorImlEEZNS1_24adjacent_difference_implIS3_Lb1ELb0EPlSB_ZN2at6native12_GLOBAL__N_124unique_dim_cuda_templateIbEESt5tupleIJNSC_6TensorESH_SH_EERKSH_lbbbEUlllE1_EE10hipError_tPvRmT2_T3_mT4_P12ihipStream_tbEUlmE_lEESB_NS0_8identityIvEEEESM_SP_SQ_mSR_ST_bEUlT_E_NS1_11comp_targetILNS1_3genE8ELNS1_11target_archE1030ELNS1_3gpuE2ELNS1_3repE0EEENS1_30default_config_static_selectorELNS0_4arch9wavefront6targetE0EEEvT1_
	.p2align	8
	.type	_ZN7rocprim17ROCPRIM_400000_NS6detail17trampoline_kernelINS0_14default_configENS1_25transform_config_selectorIlLb0EEEZNS1_14transform_implILb0ES3_S5_NS0_18transform_iteratorINS0_17counting_iteratorImlEEZNS1_24adjacent_difference_implIS3_Lb1ELb0EPlSB_ZN2at6native12_GLOBAL__N_124unique_dim_cuda_templateIbEESt5tupleIJNSC_6TensorESH_SH_EERKSH_lbbbEUlllE1_EE10hipError_tPvRmT2_T3_mT4_P12ihipStream_tbEUlmE_lEESB_NS0_8identityIvEEEESM_SP_SQ_mSR_ST_bEUlT_E_NS1_11comp_targetILNS1_3genE8ELNS1_11target_archE1030ELNS1_3gpuE2ELNS1_3repE0EEENS1_30default_config_static_selectorELNS0_4arch9wavefront6targetE0EEEvT1_,@function
_ZN7rocprim17ROCPRIM_400000_NS6detail17trampoline_kernelINS0_14default_configENS1_25transform_config_selectorIlLb0EEEZNS1_14transform_implILb0ES3_S5_NS0_18transform_iteratorINS0_17counting_iteratorImlEEZNS1_24adjacent_difference_implIS3_Lb1ELb0EPlSB_ZN2at6native12_GLOBAL__N_124unique_dim_cuda_templateIbEESt5tupleIJNSC_6TensorESH_SH_EERKSH_lbbbEUlllE1_EE10hipError_tPvRmT2_T3_mT4_P12ihipStream_tbEUlmE_lEESB_NS0_8identityIvEEEESM_SP_SQ_mSR_ST_bEUlT_E_NS1_11comp_targetILNS1_3genE8ELNS1_11target_archE1030ELNS1_3gpuE2ELNS1_3repE0EEENS1_30default_config_static_selectorELNS0_4arch9wavefront6targetE0EEEvT1_: ; @_ZN7rocprim17ROCPRIM_400000_NS6detail17trampoline_kernelINS0_14default_configENS1_25transform_config_selectorIlLb0EEEZNS1_14transform_implILb0ES3_S5_NS0_18transform_iteratorINS0_17counting_iteratorImlEEZNS1_24adjacent_difference_implIS3_Lb1ELb0EPlSB_ZN2at6native12_GLOBAL__N_124unique_dim_cuda_templateIbEESt5tupleIJNSC_6TensorESH_SH_EERKSH_lbbbEUlllE1_EE10hipError_tPvRmT2_T3_mT4_P12ihipStream_tbEUlmE_lEESB_NS0_8identityIvEEEESM_SP_SQ_mSR_ST_bEUlT_E_NS1_11comp_targetILNS1_3genE8ELNS1_11target_archE1030ELNS1_3gpuE2ELNS1_3repE0EEENS1_30default_config_static_selectorELNS0_4arch9wavefront6targetE0EEEvT1_
; %bb.0:
	.section	.rodata,"a",@progbits
	.p2align	6, 0x0
	.amdhsa_kernel _ZN7rocprim17ROCPRIM_400000_NS6detail17trampoline_kernelINS0_14default_configENS1_25transform_config_selectorIlLb0EEEZNS1_14transform_implILb0ES3_S5_NS0_18transform_iteratorINS0_17counting_iteratorImlEEZNS1_24adjacent_difference_implIS3_Lb1ELb0EPlSB_ZN2at6native12_GLOBAL__N_124unique_dim_cuda_templateIbEESt5tupleIJNSC_6TensorESH_SH_EERKSH_lbbbEUlllE1_EE10hipError_tPvRmT2_T3_mT4_P12ihipStream_tbEUlmE_lEESB_NS0_8identityIvEEEESM_SP_SQ_mSR_ST_bEUlT_E_NS1_11comp_targetILNS1_3genE8ELNS1_11target_archE1030ELNS1_3gpuE2ELNS1_3repE0EEENS1_30default_config_static_selectorELNS0_4arch9wavefront6targetE0EEEvT1_
		.amdhsa_group_segment_fixed_size 0
		.amdhsa_private_segment_fixed_size 0
		.amdhsa_kernarg_size 56
		.amdhsa_user_sgpr_count 2
		.amdhsa_user_sgpr_dispatch_ptr 0
		.amdhsa_user_sgpr_queue_ptr 0
		.amdhsa_user_sgpr_kernarg_segment_ptr 1
		.amdhsa_user_sgpr_dispatch_id 0
		.amdhsa_user_sgpr_kernarg_preload_length 0
		.amdhsa_user_sgpr_kernarg_preload_offset 0
		.amdhsa_user_sgpr_private_segment_size 0
		.amdhsa_wavefront_size32 1
		.amdhsa_uses_dynamic_stack 0
		.amdhsa_enable_private_segment 0
		.amdhsa_system_sgpr_workgroup_id_x 1
		.amdhsa_system_sgpr_workgroup_id_y 0
		.amdhsa_system_sgpr_workgroup_id_z 0
		.amdhsa_system_sgpr_workgroup_info 0
		.amdhsa_system_vgpr_workitem_id 0
		.amdhsa_next_free_vgpr 1
		.amdhsa_next_free_sgpr 1
		.amdhsa_named_barrier_count 0
		.amdhsa_reserve_vcc 0
		.amdhsa_float_round_mode_32 0
		.amdhsa_float_round_mode_16_64 0
		.amdhsa_float_denorm_mode_32 3
		.amdhsa_float_denorm_mode_16_64 3
		.amdhsa_fp16_overflow 0
		.amdhsa_memory_ordered 1
		.amdhsa_forward_progress 1
		.amdhsa_inst_pref_size 0
		.amdhsa_round_robin_scheduling 0
		.amdhsa_exception_fp_ieee_invalid_op 0
		.amdhsa_exception_fp_denorm_src 0
		.amdhsa_exception_fp_ieee_div_zero 0
		.amdhsa_exception_fp_ieee_overflow 0
		.amdhsa_exception_fp_ieee_underflow 0
		.amdhsa_exception_fp_ieee_inexact 0
		.amdhsa_exception_int_div_zero 0
	.end_amdhsa_kernel
	.section	.text._ZN7rocprim17ROCPRIM_400000_NS6detail17trampoline_kernelINS0_14default_configENS1_25transform_config_selectorIlLb0EEEZNS1_14transform_implILb0ES3_S5_NS0_18transform_iteratorINS0_17counting_iteratorImlEEZNS1_24adjacent_difference_implIS3_Lb1ELb0EPlSB_ZN2at6native12_GLOBAL__N_124unique_dim_cuda_templateIbEESt5tupleIJNSC_6TensorESH_SH_EERKSH_lbbbEUlllE1_EE10hipError_tPvRmT2_T3_mT4_P12ihipStream_tbEUlmE_lEESB_NS0_8identityIvEEEESM_SP_SQ_mSR_ST_bEUlT_E_NS1_11comp_targetILNS1_3genE8ELNS1_11target_archE1030ELNS1_3gpuE2ELNS1_3repE0EEENS1_30default_config_static_selectorELNS0_4arch9wavefront6targetE0EEEvT1_,"axG",@progbits,_ZN7rocprim17ROCPRIM_400000_NS6detail17trampoline_kernelINS0_14default_configENS1_25transform_config_selectorIlLb0EEEZNS1_14transform_implILb0ES3_S5_NS0_18transform_iteratorINS0_17counting_iteratorImlEEZNS1_24adjacent_difference_implIS3_Lb1ELb0EPlSB_ZN2at6native12_GLOBAL__N_124unique_dim_cuda_templateIbEESt5tupleIJNSC_6TensorESH_SH_EERKSH_lbbbEUlllE1_EE10hipError_tPvRmT2_T3_mT4_P12ihipStream_tbEUlmE_lEESB_NS0_8identityIvEEEESM_SP_SQ_mSR_ST_bEUlT_E_NS1_11comp_targetILNS1_3genE8ELNS1_11target_archE1030ELNS1_3gpuE2ELNS1_3repE0EEENS1_30default_config_static_selectorELNS0_4arch9wavefront6targetE0EEEvT1_,comdat
.Lfunc_end1042:
	.size	_ZN7rocprim17ROCPRIM_400000_NS6detail17trampoline_kernelINS0_14default_configENS1_25transform_config_selectorIlLb0EEEZNS1_14transform_implILb0ES3_S5_NS0_18transform_iteratorINS0_17counting_iteratorImlEEZNS1_24adjacent_difference_implIS3_Lb1ELb0EPlSB_ZN2at6native12_GLOBAL__N_124unique_dim_cuda_templateIbEESt5tupleIJNSC_6TensorESH_SH_EERKSH_lbbbEUlllE1_EE10hipError_tPvRmT2_T3_mT4_P12ihipStream_tbEUlmE_lEESB_NS0_8identityIvEEEESM_SP_SQ_mSR_ST_bEUlT_E_NS1_11comp_targetILNS1_3genE8ELNS1_11target_archE1030ELNS1_3gpuE2ELNS1_3repE0EEENS1_30default_config_static_selectorELNS0_4arch9wavefront6targetE0EEEvT1_, .Lfunc_end1042-_ZN7rocprim17ROCPRIM_400000_NS6detail17trampoline_kernelINS0_14default_configENS1_25transform_config_selectorIlLb0EEEZNS1_14transform_implILb0ES3_S5_NS0_18transform_iteratorINS0_17counting_iteratorImlEEZNS1_24adjacent_difference_implIS3_Lb1ELb0EPlSB_ZN2at6native12_GLOBAL__N_124unique_dim_cuda_templateIbEESt5tupleIJNSC_6TensorESH_SH_EERKSH_lbbbEUlllE1_EE10hipError_tPvRmT2_T3_mT4_P12ihipStream_tbEUlmE_lEESB_NS0_8identityIvEEEESM_SP_SQ_mSR_ST_bEUlT_E_NS1_11comp_targetILNS1_3genE8ELNS1_11target_archE1030ELNS1_3gpuE2ELNS1_3repE0EEENS1_30default_config_static_selectorELNS0_4arch9wavefront6targetE0EEEvT1_
                                        ; -- End function
	.set _ZN7rocprim17ROCPRIM_400000_NS6detail17trampoline_kernelINS0_14default_configENS1_25transform_config_selectorIlLb0EEEZNS1_14transform_implILb0ES3_S5_NS0_18transform_iteratorINS0_17counting_iteratorImlEEZNS1_24adjacent_difference_implIS3_Lb1ELb0EPlSB_ZN2at6native12_GLOBAL__N_124unique_dim_cuda_templateIbEESt5tupleIJNSC_6TensorESH_SH_EERKSH_lbbbEUlllE1_EE10hipError_tPvRmT2_T3_mT4_P12ihipStream_tbEUlmE_lEESB_NS0_8identityIvEEEESM_SP_SQ_mSR_ST_bEUlT_E_NS1_11comp_targetILNS1_3genE8ELNS1_11target_archE1030ELNS1_3gpuE2ELNS1_3repE0EEENS1_30default_config_static_selectorELNS0_4arch9wavefront6targetE0EEEvT1_.num_vgpr, 0
	.set _ZN7rocprim17ROCPRIM_400000_NS6detail17trampoline_kernelINS0_14default_configENS1_25transform_config_selectorIlLb0EEEZNS1_14transform_implILb0ES3_S5_NS0_18transform_iteratorINS0_17counting_iteratorImlEEZNS1_24adjacent_difference_implIS3_Lb1ELb0EPlSB_ZN2at6native12_GLOBAL__N_124unique_dim_cuda_templateIbEESt5tupleIJNSC_6TensorESH_SH_EERKSH_lbbbEUlllE1_EE10hipError_tPvRmT2_T3_mT4_P12ihipStream_tbEUlmE_lEESB_NS0_8identityIvEEEESM_SP_SQ_mSR_ST_bEUlT_E_NS1_11comp_targetILNS1_3genE8ELNS1_11target_archE1030ELNS1_3gpuE2ELNS1_3repE0EEENS1_30default_config_static_selectorELNS0_4arch9wavefront6targetE0EEEvT1_.num_agpr, 0
	.set _ZN7rocprim17ROCPRIM_400000_NS6detail17trampoline_kernelINS0_14default_configENS1_25transform_config_selectorIlLb0EEEZNS1_14transform_implILb0ES3_S5_NS0_18transform_iteratorINS0_17counting_iteratorImlEEZNS1_24adjacent_difference_implIS3_Lb1ELb0EPlSB_ZN2at6native12_GLOBAL__N_124unique_dim_cuda_templateIbEESt5tupleIJNSC_6TensorESH_SH_EERKSH_lbbbEUlllE1_EE10hipError_tPvRmT2_T3_mT4_P12ihipStream_tbEUlmE_lEESB_NS0_8identityIvEEEESM_SP_SQ_mSR_ST_bEUlT_E_NS1_11comp_targetILNS1_3genE8ELNS1_11target_archE1030ELNS1_3gpuE2ELNS1_3repE0EEENS1_30default_config_static_selectorELNS0_4arch9wavefront6targetE0EEEvT1_.numbered_sgpr, 0
	.set _ZN7rocprim17ROCPRIM_400000_NS6detail17trampoline_kernelINS0_14default_configENS1_25transform_config_selectorIlLb0EEEZNS1_14transform_implILb0ES3_S5_NS0_18transform_iteratorINS0_17counting_iteratorImlEEZNS1_24adjacent_difference_implIS3_Lb1ELb0EPlSB_ZN2at6native12_GLOBAL__N_124unique_dim_cuda_templateIbEESt5tupleIJNSC_6TensorESH_SH_EERKSH_lbbbEUlllE1_EE10hipError_tPvRmT2_T3_mT4_P12ihipStream_tbEUlmE_lEESB_NS0_8identityIvEEEESM_SP_SQ_mSR_ST_bEUlT_E_NS1_11comp_targetILNS1_3genE8ELNS1_11target_archE1030ELNS1_3gpuE2ELNS1_3repE0EEENS1_30default_config_static_selectorELNS0_4arch9wavefront6targetE0EEEvT1_.num_named_barrier, 0
	.set _ZN7rocprim17ROCPRIM_400000_NS6detail17trampoline_kernelINS0_14default_configENS1_25transform_config_selectorIlLb0EEEZNS1_14transform_implILb0ES3_S5_NS0_18transform_iteratorINS0_17counting_iteratorImlEEZNS1_24adjacent_difference_implIS3_Lb1ELb0EPlSB_ZN2at6native12_GLOBAL__N_124unique_dim_cuda_templateIbEESt5tupleIJNSC_6TensorESH_SH_EERKSH_lbbbEUlllE1_EE10hipError_tPvRmT2_T3_mT4_P12ihipStream_tbEUlmE_lEESB_NS0_8identityIvEEEESM_SP_SQ_mSR_ST_bEUlT_E_NS1_11comp_targetILNS1_3genE8ELNS1_11target_archE1030ELNS1_3gpuE2ELNS1_3repE0EEENS1_30default_config_static_selectorELNS0_4arch9wavefront6targetE0EEEvT1_.private_seg_size, 0
	.set _ZN7rocprim17ROCPRIM_400000_NS6detail17trampoline_kernelINS0_14default_configENS1_25transform_config_selectorIlLb0EEEZNS1_14transform_implILb0ES3_S5_NS0_18transform_iteratorINS0_17counting_iteratorImlEEZNS1_24adjacent_difference_implIS3_Lb1ELb0EPlSB_ZN2at6native12_GLOBAL__N_124unique_dim_cuda_templateIbEESt5tupleIJNSC_6TensorESH_SH_EERKSH_lbbbEUlllE1_EE10hipError_tPvRmT2_T3_mT4_P12ihipStream_tbEUlmE_lEESB_NS0_8identityIvEEEESM_SP_SQ_mSR_ST_bEUlT_E_NS1_11comp_targetILNS1_3genE8ELNS1_11target_archE1030ELNS1_3gpuE2ELNS1_3repE0EEENS1_30default_config_static_selectorELNS0_4arch9wavefront6targetE0EEEvT1_.uses_vcc, 0
	.set _ZN7rocprim17ROCPRIM_400000_NS6detail17trampoline_kernelINS0_14default_configENS1_25transform_config_selectorIlLb0EEEZNS1_14transform_implILb0ES3_S5_NS0_18transform_iteratorINS0_17counting_iteratorImlEEZNS1_24adjacent_difference_implIS3_Lb1ELb0EPlSB_ZN2at6native12_GLOBAL__N_124unique_dim_cuda_templateIbEESt5tupleIJNSC_6TensorESH_SH_EERKSH_lbbbEUlllE1_EE10hipError_tPvRmT2_T3_mT4_P12ihipStream_tbEUlmE_lEESB_NS0_8identityIvEEEESM_SP_SQ_mSR_ST_bEUlT_E_NS1_11comp_targetILNS1_3genE8ELNS1_11target_archE1030ELNS1_3gpuE2ELNS1_3repE0EEENS1_30default_config_static_selectorELNS0_4arch9wavefront6targetE0EEEvT1_.uses_flat_scratch, 0
	.set _ZN7rocprim17ROCPRIM_400000_NS6detail17trampoline_kernelINS0_14default_configENS1_25transform_config_selectorIlLb0EEEZNS1_14transform_implILb0ES3_S5_NS0_18transform_iteratorINS0_17counting_iteratorImlEEZNS1_24adjacent_difference_implIS3_Lb1ELb0EPlSB_ZN2at6native12_GLOBAL__N_124unique_dim_cuda_templateIbEESt5tupleIJNSC_6TensorESH_SH_EERKSH_lbbbEUlllE1_EE10hipError_tPvRmT2_T3_mT4_P12ihipStream_tbEUlmE_lEESB_NS0_8identityIvEEEESM_SP_SQ_mSR_ST_bEUlT_E_NS1_11comp_targetILNS1_3genE8ELNS1_11target_archE1030ELNS1_3gpuE2ELNS1_3repE0EEENS1_30default_config_static_selectorELNS0_4arch9wavefront6targetE0EEEvT1_.has_dyn_sized_stack, 0
	.set _ZN7rocprim17ROCPRIM_400000_NS6detail17trampoline_kernelINS0_14default_configENS1_25transform_config_selectorIlLb0EEEZNS1_14transform_implILb0ES3_S5_NS0_18transform_iteratorINS0_17counting_iteratorImlEEZNS1_24adjacent_difference_implIS3_Lb1ELb0EPlSB_ZN2at6native12_GLOBAL__N_124unique_dim_cuda_templateIbEESt5tupleIJNSC_6TensorESH_SH_EERKSH_lbbbEUlllE1_EE10hipError_tPvRmT2_T3_mT4_P12ihipStream_tbEUlmE_lEESB_NS0_8identityIvEEEESM_SP_SQ_mSR_ST_bEUlT_E_NS1_11comp_targetILNS1_3genE8ELNS1_11target_archE1030ELNS1_3gpuE2ELNS1_3repE0EEENS1_30default_config_static_selectorELNS0_4arch9wavefront6targetE0EEEvT1_.has_recursion, 0
	.set _ZN7rocprim17ROCPRIM_400000_NS6detail17trampoline_kernelINS0_14default_configENS1_25transform_config_selectorIlLb0EEEZNS1_14transform_implILb0ES3_S5_NS0_18transform_iteratorINS0_17counting_iteratorImlEEZNS1_24adjacent_difference_implIS3_Lb1ELb0EPlSB_ZN2at6native12_GLOBAL__N_124unique_dim_cuda_templateIbEESt5tupleIJNSC_6TensorESH_SH_EERKSH_lbbbEUlllE1_EE10hipError_tPvRmT2_T3_mT4_P12ihipStream_tbEUlmE_lEESB_NS0_8identityIvEEEESM_SP_SQ_mSR_ST_bEUlT_E_NS1_11comp_targetILNS1_3genE8ELNS1_11target_archE1030ELNS1_3gpuE2ELNS1_3repE0EEENS1_30default_config_static_selectorELNS0_4arch9wavefront6targetE0EEEvT1_.has_indirect_call, 0
	.section	.AMDGPU.csdata,"",@progbits
; Kernel info:
; codeLenInByte = 0
; TotalNumSgprs: 0
; NumVgprs: 0
; ScratchSize: 0
; MemoryBound: 0
; FloatMode: 240
; IeeeMode: 1
; LDSByteSize: 0 bytes/workgroup (compile time only)
; SGPRBlocks: 0
; VGPRBlocks: 0
; NumSGPRsForWavesPerEU: 1
; NumVGPRsForWavesPerEU: 1
; NamedBarCnt: 0
; Occupancy: 16
; WaveLimiterHint : 0
; COMPUTE_PGM_RSRC2:SCRATCH_EN: 0
; COMPUTE_PGM_RSRC2:USER_SGPR: 2
; COMPUTE_PGM_RSRC2:TRAP_HANDLER: 0
; COMPUTE_PGM_RSRC2:TGID_X_EN: 1
; COMPUTE_PGM_RSRC2:TGID_Y_EN: 0
; COMPUTE_PGM_RSRC2:TGID_Z_EN: 0
; COMPUTE_PGM_RSRC2:TIDIG_COMP_CNT: 0
	.section	.text._ZN7rocprim17ROCPRIM_400000_NS6detail17trampoline_kernelINS0_14default_configENS1_35adjacent_difference_config_selectorILb1ElEEZNS1_24adjacent_difference_implIS3_Lb1ELb0EPlS7_ZN2at6native12_GLOBAL__N_124unique_dim_cuda_templateIbEESt5tupleIJNS8_6TensorESD_SD_EERKSD_lbbbEUlllE1_EE10hipError_tPvRmT2_T3_mT4_P12ihipStream_tbEUlT_E_NS1_11comp_targetILNS1_3genE0ELNS1_11target_archE4294967295ELNS1_3gpuE0ELNS1_3repE0EEENS1_30default_config_static_selectorELNS0_4arch9wavefront6targetE0EEEvT1_,"axG",@progbits,_ZN7rocprim17ROCPRIM_400000_NS6detail17trampoline_kernelINS0_14default_configENS1_35adjacent_difference_config_selectorILb1ElEEZNS1_24adjacent_difference_implIS3_Lb1ELb0EPlS7_ZN2at6native12_GLOBAL__N_124unique_dim_cuda_templateIbEESt5tupleIJNS8_6TensorESD_SD_EERKSD_lbbbEUlllE1_EE10hipError_tPvRmT2_T3_mT4_P12ihipStream_tbEUlT_E_NS1_11comp_targetILNS1_3genE0ELNS1_11target_archE4294967295ELNS1_3gpuE0ELNS1_3repE0EEENS1_30default_config_static_selectorELNS0_4arch9wavefront6targetE0EEEvT1_,comdat
	.globl	_ZN7rocprim17ROCPRIM_400000_NS6detail17trampoline_kernelINS0_14default_configENS1_35adjacent_difference_config_selectorILb1ElEEZNS1_24adjacent_difference_implIS3_Lb1ELb0EPlS7_ZN2at6native12_GLOBAL__N_124unique_dim_cuda_templateIbEESt5tupleIJNS8_6TensorESD_SD_EERKSD_lbbbEUlllE1_EE10hipError_tPvRmT2_T3_mT4_P12ihipStream_tbEUlT_E_NS1_11comp_targetILNS1_3genE0ELNS1_11target_archE4294967295ELNS1_3gpuE0ELNS1_3repE0EEENS1_30default_config_static_selectorELNS0_4arch9wavefront6targetE0EEEvT1_ ; -- Begin function _ZN7rocprim17ROCPRIM_400000_NS6detail17trampoline_kernelINS0_14default_configENS1_35adjacent_difference_config_selectorILb1ElEEZNS1_24adjacent_difference_implIS3_Lb1ELb0EPlS7_ZN2at6native12_GLOBAL__N_124unique_dim_cuda_templateIbEESt5tupleIJNS8_6TensorESD_SD_EERKSD_lbbbEUlllE1_EE10hipError_tPvRmT2_T3_mT4_P12ihipStream_tbEUlT_E_NS1_11comp_targetILNS1_3genE0ELNS1_11target_archE4294967295ELNS1_3gpuE0ELNS1_3repE0EEENS1_30default_config_static_selectorELNS0_4arch9wavefront6targetE0EEEvT1_
	.p2align	8
	.type	_ZN7rocprim17ROCPRIM_400000_NS6detail17trampoline_kernelINS0_14default_configENS1_35adjacent_difference_config_selectorILb1ElEEZNS1_24adjacent_difference_implIS3_Lb1ELb0EPlS7_ZN2at6native12_GLOBAL__N_124unique_dim_cuda_templateIbEESt5tupleIJNS8_6TensorESD_SD_EERKSD_lbbbEUlllE1_EE10hipError_tPvRmT2_T3_mT4_P12ihipStream_tbEUlT_E_NS1_11comp_targetILNS1_3genE0ELNS1_11target_archE4294967295ELNS1_3gpuE0ELNS1_3repE0EEENS1_30default_config_static_selectorELNS0_4arch9wavefront6targetE0EEEvT1_,@function
_ZN7rocprim17ROCPRIM_400000_NS6detail17trampoline_kernelINS0_14default_configENS1_35adjacent_difference_config_selectorILb1ElEEZNS1_24adjacent_difference_implIS3_Lb1ELb0EPlS7_ZN2at6native12_GLOBAL__N_124unique_dim_cuda_templateIbEESt5tupleIJNS8_6TensorESD_SD_EERKSD_lbbbEUlllE1_EE10hipError_tPvRmT2_T3_mT4_P12ihipStream_tbEUlT_E_NS1_11comp_targetILNS1_3genE0ELNS1_11target_archE4294967295ELNS1_3gpuE0ELNS1_3repE0EEENS1_30default_config_static_selectorELNS0_4arch9wavefront6targetE0EEEvT1_: ; @_ZN7rocprim17ROCPRIM_400000_NS6detail17trampoline_kernelINS0_14default_configENS1_35adjacent_difference_config_selectorILb1ElEEZNS1_24adjacent_difference_implIS3_Lb1ELb0EPlS7_ZN2at6native12_GLOBAL__N_124unique_dim_cuda_templateIbEESt5tupleIJNS8_6TensorESD_SD_EERKSD_lbbbEUlllE1_EE10hipError_tPvRmT2_T3_mT4_P12ihipStream_tbEUlT_E_NS1_11comp_targetILNS1_3genE0ELNS1_11target_archE4294967295ELNS1_3gpuE0ELNS1_3repE0EEENS1_30default_config_static_selectorELNS0_4arch9wavefront6targetE0EEEvT1_
; %bb.0:
	s_load_b512 s[4:19], s[0:1], 0x0
	s_wait_xcnt 0x0
	s_bfe_u32 s0, ttmp6, 0x4000c
	s_and_b32 s1, ttmp6, 15
	s_add_co_i32 s0, s0, 1
	s_getreg_b32 s2, hwreg(HW_REG_IB_STS2, 6, 4)
	s_mul_i32 s0, ttmp9, s0
	s_delay_alu instid0(SALU_CYCLE_1)
	s_add_co_i32 s1, s1, s0
	s_wait_kmcnt 0x0
	s_lshl_b64 s[20:21], s[6:7], 3
	s_cmp_eq_u32 s2, 0
	s_add_nc_u64 s[4:5], s[4:5], s[20:21]
	s_cselect_b32 s3, ttmp9, s1
	s_and_b64 s[0:1], s[10:11], 0x3ff
	s_lshr_b64 s[6:7], s[10:11], 10
	s_lshl_b32 s2, s3, 10
	s_cmp_lg_u64 s[0:1], 0
	s_mov_b32 s1, 0
	s_cselect_b32 s0, -1, 0
	s_delay_alu instid0(SALU_CYCLE_1) | instskip(NEXT) | instid1(VALU_DEP_1)
	v_cndmask_b32_e64 v1, 0, 1, s0
	v_readfirstlane_b32 s0, v1
	s_add_nc_u64 s[22:23], s[6:7], s[0:1]
	s_mov_b32 s0, s3
	s_add_nc_u64 s[6:7], s[22:23], -1
	s_add_nc_u64 s[24:25], s[18:19], s[0:1]
	s_mov_b32 s3, -1
	v_cmp_ge_u64_e64 s11, s[24:25], s[6:7]
	s_and_b32 vcc_lo, exec_lo, s11
	s_cbranch_vccz .LBB1043_6
; %bb.1:
	v_mov_b32_e32 v2, 0
	s_lshl_b32 s3, s6, 10
	s_delay_alu instid0(SALU_CYCLE_1) | instskip(SKIP_1) | instid1(VALU_DEP_1)
	s_sub_co_i32 s28, s10, s3
	s_mov_b32 s3, s1
	v_dual_mov_b32 v3, v2 :: v_dual_mov_b32 v4, v2
	v_mov_b32_e32 v5, v2
	s_lshl_b64 s[26:27], s[2:3], 3
	s_mov_b32 s3, exec_lo
	s_add_nc_u64 s[26:27], s[4:5], s[26:27]
	v_cmpx_gt_u32_e64 s28, v0
	s_cbranch_execz .LBB1043_3
; %bb.2:
	global_load_b64 v[4:5], v0, s[26:27] scale_offset
	v_dual_mov_b32 v6, v2 :: v_dual_mov_b32 v7, v2
	s_wait_loadcnt 0x0
	v_mov_b64_e32 v[2:3], v[4:5]
	s_delay_alu instid0(VALU_DEP_2)
	v_mov_b64_e32 v[4:5], v[6:7]
.LBB1043_3:
	s_or_b32 exec_lo, exec_lo, s3
	v_or_b32_e32 v1, 0x200, v0
	s_mov_b32 s3, exec_lo
	s_delay_alu instid0(VALU_DEP_1)
	v_cmpx_gt_u32_e64 s28, v1
	s_cbranch_execz .LBB1043_5
; %bb.4:
	global_load_b64 v[4:5], v0, s[26:27] offset:4096 scale_offset
.LBB1043_5:
	s_wait_xcnt 0x0
	s_or_b32 exec_lo, exec_lo, s3
	v_dual_lshrrev_b32 v6, 2, v0 :: v_dual_lshrrev_b32 v1, 2, v1
	v_lshlrev_b32_e32 v7, 3, v0
	s_mov_b32 s3, 0
	s_delay_alu instid0(VALU_DEP_2) | instskip(NEXT) | instid1(VALU_DEP_3)
	v_and_b32_e32 v6, 0x78, v6
	v_and_b32_e32 v1, 0xf8, v1
	s_delay_alu instid0(VALU_DEP_1)
	v_dual_add_nc_u32 v6, v6, v7 :: v_dual_add_nc_u32 v1, v1, v7
	ds_store_b64 v6, v[2:3]
	s_wait_loadcnt 0x0
	ds_store_b64 v1, v[4:5] offset:4096
	s_wait_dscnt 0x0
	s_barrier_signal -1
	s_barrier_wait -1
.LBB1043_6:
	s_and_b32 vcc_lo, exec_lo, s3
	s_cbranch_vccz .LBB1043_8
; %bb.7:
	s_mov_b32 s3, 0
	v_or_b32_e32 v1, 0x200, v0
	s_lshl_b64 s[26:27], s[2:3], 3
	v_lshrrev_b32_e32 v6, 2, v0
	s_add_nc_u64 s[4:5], s[4:5], s[26:27]
	v_lshlrev_b32_e32 v7, 3, v0
	s_clause 0x1
	global_load_b64 v[2:3], v0, s[4:5] scale_offset
	global_load_b64 v[4:5], v0, s[4:5] offset:4096 scale_offset
	v_lshrrev_b32_e32 v1, 2, v1
	v_and_b32_e32 v6, 0x78, v6
	s_delay_alu instid0(VALU_DEP_2) | instskip(NEXT) | instid1(VALU_DEP_1)
	v_and_b32_e32 v1, 0xf8, v1
	v_dual_add_nc_u32 v6, v6, v7 :: v_dual_add_nc_u32 v1, v1, v7
	s_wait_loadcnt 0x1
	ds_store_b64 v6, v[2:3]
	s_wait_loadcnt 0x0
	ds_store_b64 v1, v[4:5] offset:4096
	s_wait_dscnt 0x0
	s_barrier_signal -1
	s_barrier_wait -1
.LBB1043_8:
	v_lshrrev_b32_e32 v1, 1, v0
	s_cmp_eq_u64 s[24:25], 0
	s_delay_alu instid0(VALU_DEP_1) | instskip(NEXT) | instid1(VALU_DEP_1)
	v_and_b32_e32 v1, 0xf8, v1
	v_lshl_add_u32 v1, v0, 4, v1
	ds_load_2addr_b64 v[2:5], v1 offset1:1
	s_wait_dscnt 0x0
	s_barrier_signal -1
	s_barrier_wait -1
	s_cbranch_scc1 .LBB1043_15
; %bb.9:
	s_lshl_b64 s[4:5], s[18:19], 3
	s_lshl_b64 s[0:1], s[0:1], 3
	s_add_nc_u64 s[4:5], s[16:17], s[4:5]
	s_cmp_eq_u64 s[24:25], s[6:7]
	s_add_nc_u64 s[0:1], s[4:5], s[0:1]
	s_delay_alu instid0(SALU_CYCLE_1)
	s_add_nc_u64 s[0:1], s[0:1], -8
	s_load_b64 s[4:5], s[0:1], 0x0
	s_cbranch_scc1 .LBB1043_16
; %bb.10:
	s_wait_xcnt 0x0
	v_cmp_lt_i64_e64 s0, s[12:13], 1
	v_mov_b64_e32 v[8:9], 0
	v_cmp_gt_i64_e64 s1, s[12:13], 0
	v_lshlrev_b32_e32 v12, 3, v0
	s_and_b32 vcc_lo, exec_lo, s0
	ds_store_b64 v12, v[4:5]
	s_cbranch_vccnz .LBB1043_18
; %bb.11:
	v_mad_nc_u64_u32 v[6:7], v4, s12, s[14:15]
	v_mad_nc_u64_u32 v[10:11], v2, s12, s[14:15]
	s_mov_b32 s3, 0
	s_mov_b64 s[16:17], s[12:13]
                                        ; implicit-def: $sgpr7
	s_delay_alu instid0(VALU_DEP_2) | instskip(NEXT) | instid1(VALU_DEP_2)
	v_mad_u32 v7, v5, s12, v7
	v_mad_u32 v8, v3, s12, v11
	s_delay_alu instid0(VALU_DEP_2) | instskip(NEXT) | instid1(VALU_DEP_2)
	v_mad_u32 v7, v4, s13, v7
	v_mad_u32 v11, v2, s13, v8
	s_branch .LBB1043_13
.LBB1043_12:                            ;   in Loop: Header=BB1043_13 Depth=1
	s_or_b32 exec_lo, exec_lo, s0
	s_delay_alu instid0(SALU_CYCLE_1) | instskip(NEXT) | instid1(SALU_CYCLE_1)
	s_and_b32 s0, exec_lo, s7
	s_or_b32 s3, s0, s3
	s_delay_alu instid0(SALU_CYCLE_1)
	s_and_not1_b32 exec_lo, exec_lo, s3
	s_cbranch_execz .LBB1043_17
.LBB1043_13:                            ; =>This Inner Loop Header: Depth=1
	global_load_u8 v8, v[6:7], off
	global_load_u8 v9, v[10:11], off
	s_or_b32 s7, s7, exec_lo
	s_wait_loadcnt 0x1
	v_cmp_ne_u16_e32 vcc_lo, 0, v8
	s_wait_loadcnt 0x0
	v_cmp_ne_u16_e64 s0, 0, v9
	v_mov_b64_e32 v[8:9], 1
	s_xor_b32 s0, vcc_lo, s0
	s_delay_alu instid0(SALU_CYCLE_1) | instskip(NEXT) | instid1(SALU_CYCLE_1)
	s_xor_b32 s18, s0, -1
	s_and_saveexec_b32 s0, s18
	s_cbranch_execz .LBB1043_12
; %bb.14:                               ;   in Loop: Header=BB1043_13 Depth=1
	s_add_nc_u64 s[16:17], s[16:17], -1
	v_add_nc_u64_e32 v[6:7], 1, v[6:7]
	s_cmp_eq_u64 s[16:17], 0
	v_add_nc_u64_e32 v[10:11], 1, v[10:11]
	v_mov_b64_e32 v[8:9], 0
	s_cselect_b32 s18, -1, 0
	s_and_not1_b32 s7, s7, exec_lo
	s_and_b32 s18, s18, exec_lo
	s_delay_alu instid0(SALU_CYCLE_1)
	s_or_b32 s7, s7, s18
	s_branch .LBB1043_12
.LBB1043_15:
                                        ; implicit-def: $vgpr8_vgpr9
                                        ; implicit-def: $vgpr6_vgpr7
	s_branch .LBB1043_47
.LBB1043_16:
	s_wait_xcnt 0x0
                                        ; implicit-def: $vgpr8_vgpr9
                                        ; implicit-def: $vgpr6_vgpr7
	s_cbranch_execnz .LBB1043_27
	s_branch .LBB1043_46
.LBB1043_17:
	s_or_b32 exec_lo, exec_lo, s3
.LBB1043_18:
	s_wait_kmcnt 0x0
	v_mov_b64_e32 v[6:7], s[4:5]
	s_mov_b32 s0, exec_lo
	s_wait_dscnt 0x0
	s_barrier_signal -1
	s_barrier_wait -1
	v_cmpx_ne_u32_e32 0, v0
; %bb.19:
	v_add_nc_u32_e32 v6, -8, v12
	ds_load_b64 v[6:7], v6
; %bb.20:
	s_or_b32 exec_lo, exec_lo, s0
	s_delay_alu instid0(SALU_CYCLE_1)
	s_and_not1_b32 vcc_lo, exec_lo, s1
	s_cbranch_vccnz .LBB1043_26
; %bb.21:
	v_mad_nc_u64_u32 v[10:11], v2, s12, s[14:15]
	s_wait_dscnt 0x0
	v_mad_nc_u64_u32 v[12:13], v6, s12, s[14:15]
	s_mov_b32 s1, 0
	s_mov_b64 s[16:17], s[12:13]
                                        ; implicit-def: $sgpr3
	s_delay_alu instid0(VALU_DEP_2) | instskip(NEXT) | instid1(VALU_DEP_2)
	v_mad_u32 v11, v3, s12, v11
	v_mad_u32 v7, v7, s12, v13
	s_delay_alu instid0(VALU_DEP_2) | instskip(NEXT) | instid1(VALU_DEP_2)
	v_mad_u32 v11, v2, s13, v11
	v_mad_u32 v13, v6, s13, v7
	s_branch .LBB1043_23
.LBB1043_22:                            ;   in Loop: Header=BB1043_23 Depth=1
	s_or_b32 exec_lo, exec_lo, s0
	s_delay_alu instid0(SALU_CYCLE_1) | instskip(NEXT) | instid1(SALU_CYCLE_1)
	s_and_b32 s0, exec_lo, s3
	s_or_b32 s1, s0, s1
	s_delay_alu instid0(SALU_CYCLE_1)
	s_and_not1_b32 exec_lo, exec_lo, s1
	s_cbranch_execz .LBB1043_25
.LBB1043_23:                            ; =>This Inner Loop Header: Depth=1
	global_load_u8 v6, v[10:11], off
	global_load_u8 v7, v[12:13], off
	s_or_b32 s3, s3, exec_lo
	s_wait_loadcnt 0x1
	v_cmp_ne_u16_e32 vcc_lo, 0, v6
	s_wait_loadcnt 0x0
	v_cmp_ne_u16_e64 s0, 0, v7
	v_mov_b64_e32 v[6:7], 1
	s_xor_b32 s0, vcc_lo, s0
	s_delay_alu instid0(SALU_CYCLE_1) | instskip(NEXT) | instid1(SALU_CYCLE_1)
	s_xor_b32 s7, s0, -1
	s_and_saveexec_b32 s0, s7
	s_cbranch_execz .LBB1043_22
; %bb.24:                               ;   in Loop: Header=BB1043_23 Depth=1
	s_add_nc_u64 s[16:17], s[16:17], -1
	v_add_nc_u64_e32 v[10:11], 1, v[10:11]
	s_cmp_eq_u64 s[16:17], 0
	v_add_nc_u64_e32 v[12:13], 1, v[12:13]
	v_mov_b64_e32 v[6:7], 0
	s_cselect_b32 s7, -1, 0
	s_and_not1_b32 s3, s3, exec_lo
	s_and_b32 s7, s7, exec_lo
	s_delay_alu instid0(SALU_CYCLE_1)
	s_or_b32 s3, s3, s7
	s_branch .LBB1043_22
.LBB1043_25:
	s_or_b32 exec_lo, exec_lo, s1
	s_branch .LBB1043_46
.LBB1043_26:
	s_wait_dscnt 0x0
	v_mov_b64_e32 v[6:7], 0
	s_branch .LBB1043_46
.LBB1043_27:
	v_dual_lshlrev_b32 v12, 1, v0 :: v_dual_lshlrev_b32 v13, 3, v0
	v_mov_b64_e32 v[8:9], v[4:5]
	s_lshl_b32 s0, s24, 10
	s_mov_b32 s3, exec_lo
	s_delay_alu instid0(VALU_DEP_2)
	v_or_b32_e32 v10, 1, v12
	s_sub_co_i32 s1, s10, s0
	v_mov_b64_e32 v[6:7], v[2:3]
	ds_store_b64 v13, v[4:5]
	v_cmpx_gt_u32_e64 s1, v10
	s_cbranch_execz .LBB1043_35
; %bb.28:
	v_cmp_lt_i64_e64 s0, s[12:13], 1
	s_and_b32 vcc_lo, exec_lo, s0
	s_cbranch_vccnz .LBB1043_34
; %bb.29:
	v_mad_nc_u64_u32 v[6:7], v4, s12, s[14:15]
	v_mad_nc_u64_u32 v[10:11], v2, s12, s[14:15]
	s_mov_b32 s7, 0
	s_mov_b64 s[16:17], s[12:13]
                                        ; implicit-def: $sgpr18
	s_delay_alu instid0(VALU_DEP_2) | instskip(NEXT) | instid1(VALU_DEP_2)
	v_mad_u32 v7, v5, s12, v7
	v_mad_u32 v8, v3, s12, v11
	s_delay_alu instid0(VALU_DEP_2) | instskip(NEXT) | instid1(VALU_DEP_2)
	v_mad_u32 v7, v4, s13, v7
	v_mad_u32 v11, v2, s13, v8
	s_branch .LBB1043_31
.LBB1043_30:                            ;   in Loop: Header=BB1043_31 Depth=1
	s_or_b32 exec_lo, exec_lo, s0
	s_delay_alu instid0(SALU_CYCLE_1) | instskip(NEXT) | instid1(SALU_CYCLE_1)
	s_and_b32 s0, exec_lo, s18
	s_or_b32 s7, s0, s7
	s_delay_alu instid0(SALU_CYCLE_1)
	s_and_not1_b32 exec_lo, exec_lo, s7
	s_cbranch_execz .LBB1043_33
.LBB1043_31:                            ; =>This Inner Loop Header: Depth=1
	global_load_u8 v8, v[6:7], off
	global_load_u8 v9, v[10:11], off
	s_or_b32 s18, s18, exec_lo
	s_wait_loadcnt 0x1
	v_cmp_ne_u16_e32 vcc_lo, 0, v8
	s_wait_loadcnt 0x0
	v_cmp_ne_u16_e64 s0, 0, v9
	v_mov_b64_e32 v[8:9], 1
	s_xor_b32 s0, vcc_lo, s0
	s_delay_alu instid0(SALU_CYCLE_1) | instskip(NEXT) | instid1(SALU_CYCLE_1)
	s_xor_b32 s19, s0, -1
	s_and_saveexec_b32 s0, s19
	s_cbranch_execz .LBB1043_30
; %bb.32:                               ;   in Loop: Header=BB1043_31 Depth=1
	s_add_nc_u64 s[16:17], s[16:17], -1
	v_add_nc_u64_e32 v[6:7], 1, v[6:7]
	s_cmp_eq_u64 s[16:17], 0
	v_add_nc_u64_e32 v[10:11], 1, v[10:11]
	s_cselect_b32 s19, -1, 0
	s_and_not1_b32 s18, s18, exec_lo
	s_and_b32 s19, s19, exec_lo
	v_mov_b64_e32 v[8:9], 0
	s_or_b32 s18, s18, s19
	s_branch .LBB1043_30
.LBB1043_33:
	s_or_b32 exec_lo, exec_lo, s7
	s_branch .LBB1043_35
.LBB1043_34:
	v_mov_b64_e32 v[8:9], 0
.LBB1043_35:
	s_or_b32 exec_lo, exec_lo, s3
	s_wait_kmcnt 0x0
	v_mov_b64_e32 v[14:15], s[4:5]
	s_mov_b32 s0, exec_lo
	s_wait_dscnt 0x0
	s_barrier_signal -1
	s_barrier_wait -1
	v_cmpx_ne_u32_e32 0, v0
; %bb.36:
	v_add_nc_u32_e32 v6, -8, v13
	ds_load_b64 v[14:15], v6
; %bb.37:
	s_or_b32 exec_lo, exec_lo, s0
	v_mov_b64_e32 v[6:7], v[2:3]
	v_cmp_gt_u32_e32 vcc_lo, s1, v12
	s_and_saveexec_b32 s1, vcc_lo
	s_cbranch_execz .LBB1043_45
; %bb.38:
	v_cmp_lt_i64_e64 s0, s[12:13], 1
	s_and_b32 vcc_lo, exec_lo, s0
	s_cbranch_vccnz .LBB1043_44
; %bb.39:
	v_mad_nc_u64_u32 v[10:11], v2, s12, s[14:15]
	s_wait_dscnt 0x0
	v_mad_nc_u64_u32 v[12:13], v14, s12, s[14:15]
	s_mov_b32 s3, 0
	s_mov_b64 s[4:5], s[12:13]
                                        ; implicit-def: $sgpr7
	s_delay_alu instid0(VALU_DEP_2) | instskip(NEXT) | instid1(VALU_DEP_2)
	v_mad_u32 v6, v3, s12, v11
	v_mad_u32 v7, v15, s12, v13
	s_delay_alu instid0(VALU_DEP_2) | instskip(NEXT) | instid1(VALU_DEP_2)
	v_mad_u32 v11, v2, s13, v6
	v_mad_u32 v13, v14, s13, v7
	s_branch .LBB1043_41
.LBB1043_40:                            ;   in Loop: Header=BB1043_41 Depth=1
	s_or_b32 exec_lo, exec_lo, s0
	s_delay_alu instid0(SALU_CYCLE_1) | instskip(NEXT) | instid1(SALU_CYCLE_1)
	s_and_b32 s0, exec_lo, s7
	s_or_b32 s3, s0, s3
	s_delay_alu instid0(SALU_CYCLE_1)
	s_and_not1_b32 exec_lo, exec_lo, s3
	s_cbranch_execz .LBB1043_43
.LBB1043_41:                            ; =>This Inner Loop Header: Depth=1
	global_load_u8 v6, v[10:11], off
	global_load_u8 v7, v[12:13], off
	s_or_b32 s7, s7, exec_lo
	s_wait_loadcnt 0x1
	v_cmp_ne_u16_e32 vcc_lo, 0, v6
	s_wait_loadcnt 0x0
	v_cmp_ne_u16_e64 s0, 0, v7
	v_mov_b64_e32 v[6:7], 1
	s_xor_b32 s0, vcc_lo, s0
	s_delay_alu instid0(SALU_CYCLE_1) | instskip(NEXT) | instid1(SALU_CYCLE_1)
	s_xor_b32 s16, s0, -1
	s_and_saveexec_b32 s0, s16
	s_cbranch_execz .LBB1043_40
; %bb.42:                               ;   in Loop: Header=BB1043_41 Depth=1
	s_add_nc_u64 s[4:5], s[4:5], -1
	v_add_nc_u64_e32 v[10:11], 1, v[10:11]
	s_cmp_eq_u64 s[4:5], 0
	v_add_nc_u64_e32 v[12:13], 1, v[12:13]
	v_mov_b64_e32 v[6:7], 0
	s_cselect_b32 s16, -1, 0
	s_and_not1_b32 s7, s7, exec_lo
	s_and_b32 s16, s16, exec_lo
	s_delay_alu instid0(SALU_CYCLE_1)
	s_or_b32 s7, s7, s16
	s_branch .LBB1043_40
.LBB1043_43:
	s_or_b32 exec_lo, exec_lo, s3
	s_branch .LBB1043_45
.LBB1043_44:
	v_mov_b64_e32 v[6:7], 0
.LBB1043_45:
	s_or_b32 exec_lo, exec_lo, s1
.LBB1043_46:
	s_cbranch_execnz .LBB1043_81
.LBB1043_47:
	s_cmp_eq_u64 s[22:23], 1
	s_cbranch_scc1 .LBB1043_53
; %bb.48:
	v_cmp_lt_i64_e64 s0, s[12:13], 1
	v_mov_b64_e32 v[8:9], 0
	v_cmp_gt_i64_e64 s3, s[12:13], 0
	v_lshlrev_b32_e32 v12, 3, v0
	s_and_b32 vcc_lo, exec_lo, s0
	ds_store_b64 v12, v[4:5]
	s_cbranch_vccnz .LBB1043_55
; %bb.49:
	v_mad_nc_u64_u32 v[6:7], v4, s12, s[14:15]
	v_mad_nc_u64_u32 v[10:11], v2, s12, s[14:15]
	s_mov_b32 s1, 0
	s_wait_kmcnt 0x0
	s_mov_b64 s[4:5], s[12:13]
                                        ; implicit-def: $sgpr7
	s_delay_alu instid0(VALU_DEP_2) | instskip(NEXT) | instid1(VALU_DEP_2)
	v_mad_u32 v7, v5, s12, v7
	v_mad_u32 v8, v3, s12, v11
	s_delay_alu instid0(VALU_DEP_2) | instskip(NEXT) | instid1(VALU_DEP_2)
	v_mad_u32 v7, v4, s13, v7
	v_mad_u32 v11, v2, s13, v8
	s_branch .LBB1043_51
.LBB1043_50:                            ;   in Loop: Header=BB1043_51 Depth=1
	s_or_b32 exec_lo, exec_lo, s0
	s_delay_alu instid0(SALU_CYCLE_1) | instskip(NEXT) | instid1(SALU_CYCLE_1)
	s_and_b32 s0, exec_lo, s7
	s_or_b32 s1, s0, s1
	s_delay_alu instid0(SALU_CYCLE_1)
	s_and_not1_b32 exec_lo, exec_lo, s1
	s_cbranch_execz .LBB1043_54
.LBB1043_51:                            ; =>This Inner Loop Header: Depth=1
	global_load_u8 v8, v[6:7], off
	global_load_u8 v9, v[10:11], off
	s_or_b32 s7, s7, exec_lo
	s_wait_loadcnt 0x1
	v_cmp_ne_u16_e32 vcc_lo, 0, v8
	s_wait_loadcnt 0x0
	v_cmp_ne_u16_e64 s0, 0, v9
	v_mov_b64_e32 v[8:9], 1
	s_xor_b32 s0, vcc_lo, s0
	s_delay_alu instid0(SALU_CYCLE_1) | instskip(NEXT) | instid1(SALU_CYCLE_1)
	s_xor_b32 s16, s0, -1
	s_and_saveexec_b32 s0, s16
	s_cbranch_execz .LBB1043_50
; %bb.52:                               ;   in Loop: Header=BB1043_51 Depth=1
	s_add_nc_u64 s[4:5], s[4:5], -1
	v_add_nc_u64_e32 v[6:7], 1, v[6:7]
	s_cmp_eq_u64 s[4:5], 0
	v_add_nc_u64_e32 v[10:11], 1, v[10:11]
	v_mov_b64_e32 v[8:9], 0
	s_cselect_b32 s16, -1, 0
	s_and_not1_b32 s7, s7, exec_lo
	s_and_b32 s16, s16, exec_lo
	s_delay_alu instid0(SALU_CYCLE_1)
	s_or_b32 s7, s7, s16
	s_branch .LBB1043_50
.LBB1043_53:
                                        ; implicit-def: $vgpr8_vgpr9
                                        ; implicit-def: $vgpr6_vgpr7
	s_cbranch_execnz .LBB1043_63
	s_branch .LBB1043_81
.LBB1043_54:
	s_or_b32 exec_lo, exec_lo, s1
.LBB1043_55:
	v_mov_b64_e32 v[6:7], v[2:3]
	s_mov_b32 s1, 0
	s_mov_b32 s7, exec_lo
	s_wait_dscnt 0x0
	s_barrier_signal -1
	s_barrier_wait -1
	v_cmpx_ne_u32_e32 0, v0
	s_cbranch_execz .LBB1043_62
; %bb.56:
	s_and_not1_b32 vcc_lo, exec_lo, s3
	s_cbranch_vccnz .LBB1043_70
; %bb.57:
	v_add_nc_u32_e32 v6, -8, v12
	v_mad_nc_u64_u32 v[10:11], v2, s12, s[14:15]
	s_mov_b32 s3, 0
	s_wait_kmcnt 0x0
	s_mov_b64 s[4:5], s[12:13]
                                        ; implicit-def: $sgpr16
	ds_load_b64 v[6:7], v6
	v_mad_u32 v11, v3, s12, v11
	s_delay_alu instid0(VALU_DEP_1) | instskip(SKIP_2) | instid1(VALU_DEP_1)
	v_mad_u32 v11, v2, s13, v11
	s_wait_dscnt 0x0
	v_mad_nc_u64_u32 v[12:13], v6, s12, s[14:15]
	v_mad_u32 v7, v7, s12, v13
	s_delay_alu instid0(VALU_DEP_1)
	v_mad_u32 v13, v6, s13, v7
	s_branch .LBB1043_59
.LBB1043_58:                            ;   in Loop: Header=BB1043_59 Depth=1
	s_or_b32 exec_lo, exec_lo, s0
	s_delay_alu instid0(SALU_CYCLE_1) | instskip(NEXT) | instid1(SALU_CYCLE_1)
	s_and_b32 s0, exec_lo, s16
	s_or_b32 s3, s0, s3
	s_delay_alu instid0(SALU_CYCLE_1)
	s_and_not1_b32 exec_lo, exec_lo, s3
	s_cbranch_execz .LBB1043_61
.LBB1043_59:                            ; =>This Inner Loop Header: Depth=1
	global_load_u8 v6, v[10:11], off
	global_load_u8 v7, v[12:13], off
	s_or_b32 s16, s16, exec_lo
	s_wait_loadcnt 0x1
	v_cmp_ne_u16_e32 vcc_lo, 0, v6
	s_wait_loadcnt 0x0
	v_cmp_ne_u16_e64 s0, 0, v7
	v_mov_b64_e32 v[6:7], 1
	s_xor_b32 s0, vcc_lo, s0
	s_delay_alu instid0(SALU_CYCLE_1) | instskip(NEXT) | instid1(SALU_CYCLE_1)
	s_xor_b32 s17, s0, -1
	s_and_saveexec_b32 s0, s17
	s_cbranch_execz .LBB1043_58
; %bb.60:                               ;   in Loop: Header=BB1043_59 Depth=1
	s_add_nc_u64 s[4:5], s[4:5], -1
	v_add_nc_u64_e32 v[10:11], 1, v[10:11]
	s_cmp_eq_u64 s[4:5], 0
	v_add_nc_u64_e32 v[12:13], 1, v[12:13]
	v_mov_b64_e32 v[6:7], 0
	s_cselect_b32 s17, -1, 0
	s_and_not1_b32 s16, s16, exec_lo
	s_and_b32 s17, s17, exec_lo
	s_delay_alu instid0(SALU_CYCLE_1)
	s_or_b32 s16, s16, s17
	s_branch .LBB1043_58
.LBB1043_61:
	s_or_b32 exec_lo, exec_lo, s3
.LBB1043_62:
	s_delay_alu instid0(SALU_CYCLE_1) | instskip(NEXT) | instid1(SALU_CYCLE_1)
	s_or_b32 exec_lo, exec_lo, s7
	s_and_b32 vcc_lo, exec_lo, s1
	s_cbranch_vccz .LBB1043_81
.LBB1043_63:
	v_dual_lshlrev_b32 v13, 1, v0 :: v_dual_lshlrev_b32 v12, 3, v0
	v_mov_b64_e32 v[8:9], v[4:5]
	s_mov_b32 s1, exec_lo
	v_mov_b64_e32 v[6:7], v[2:3]
	s_delay_alu instid0(VALU_DEP_3)
	v_or_b32_e32 v10, 1, v13
	ds_store_b64 v12, v[4:5]
	v_cmpx_gt_u32_e64 s10, v10
	s_cbranch_execz .LBB1043_72
; %bb.64:
	v_cmp_lt_i64_e64 s0, s[12:13], 1
	s_and_b32 vcc_lo, exec_lo, s0
	s_cbranch_vccnz .LBB1043_71
; %bb.65:
	v_mad_nc_u64_u32 v[6:7], v4, s12, s[14:15]
	v_mad_nc_u64_u32 v[10:11], v2, s12, s[14:15]
	s_mov_b32 s3, 0
	s_wait_kmcnt 0x0
	s_mov_b64 s[4:5], s[12:13]
                                        ; implicit-def: $sgpr7
	s_delay_alu instid0(VALU_DEP_2) | instskip(NEXT) | instid1(VALU_DEP_2)
	v_mad_u32 v5, v5, s12, v7
	v_mad_u32 v8, v3, s12, v11
	s_delay_alu instid0(VALU_DEP_2) | instskip(NEXT) | instid1(VALU_DEP_2)
	v_mad_u32 v7, v4, s13, v5
	v_mad_u32 v11, v2, s13, v8
	s_branch .LBB1043_67
.LBB1043_66:                            ;   in Loop: Header=BB1043_67 Depth=1
	s_or_b32 exec_lo, exec_lo, s0
	s_delay_alu instid0(SALU_CYCLE_1) | instskip(NEXT) | instid1(SALU_CYCLE_1)
	s_and_b32 s0, exec_lo, s7
	s_or_b32 s3, s0, s3
	s_delay_alu instid0(SALU_CYCLE_1)
	s_and_not1_b32 exec_lo, exec_lo, s3
	s_cbranch_execz .LBB1043_69
.LBB1043_67:                            ; =>This Inner Loop Header: Depth=1
	global_load_u8 v4, v[6:7], off
	global_load_u8 v5, v[10:11], off
	v_mov_b64_e32 v[8:9], 1
	s_or_b32 s7, s7, exec_lo
	s_wait_loadcnt 0x1
	v_cmp_ne_u16_e32 vcc_lo, 0, v4
	s_wait_loadcnt 0x0
	v_cmp_ne_u16_e64 s0, 0, v5
	s_xor_b32 s0, vcc_lo, s0
	s_delay_alu instid0(SALU_CYCLE_1) | instskip(NEXT) | instid1(SALU_CYCLE_1)
	s_xor_b32 s16, s0, -1
	s_and_saveexec_b32 s0, s16
	s_cbranch_execz .LBB1043_66
; %bb.68:                               ;   in Loop: Header=BB1043_67 Depth=1
	s_add_nc_u64 s[4:5], s[4:5], -1
	v_add_nc_u64_e32 v[6:7], 1, v[6:7]
	s_cmp_eq_u64 s[4:5], 0
	v_add_nc_u64_e32 v[10:11], 1, v[10:11]
	s_cselect_b32 s16, -1, 0
	s_and_not1_b32 s7, s7, exec_lo
	s_and_b32 s16, s16, exec_lo
	v_mov_b64_e32 v[8:9], 0
	s_or_b32 s7, s7, s16
	s_branch .LBB1043_66
.LBB1043_69:
	s_or_b32 exec_lo, exec_lo, s3
	s_branch .LBB1043_72
.LBB1043_70:
	v_mov_b64_e32 v[6:7], 0
	s_or_b32 exec_lo, exec_lo, s7
	s_delay_alu instid0(SALU_CYCLE_1)
	s_and_b32 vcc_lo, exec_lo, s1
	s_cbranch_vccnz .LBB1043_63
	s_branch .LBB1043_81
.LBB1043_71:
	v_mov_b64_e32 v[8:9], 0
.LBB1043_72:
	s_or_b32 exec_lo, exec_lo, s1
	v_cmp_ne_u32_e32 vcc_lo, 0, v0
	v_cmp_gt_u32_e64 s0, s10, v13
	s_wait_dscnt 0x0
	s_barrier_signal -1
	s_barrier_wait -1
	s_and_b32 s0, vcc_lo, s0
	s_delay_alu instid0(SALU_CYCLE_1)
	s_and_saveexec_b32 s1, s0
	s_cbranch_execz .LBB1043_80
; %bb.73:
	v_cmp_lt_i64_e64 s0, s[12:13], 1
	s_and_b32 vcc_lo, exec_lo, s0
	s_cbranch_vccnz .LBB1043_79
; %bb.74:
	v_add_nc_u32_e32 v4, -8, v12
	s_mov_b32 s3, 0
                                        ; implicit-def: $sgpr4
	ds_load_b64 v[10:11], v4
	v_mad_nc_u64_u32 v[4:5], v2, s12, s[14:15]
	s_delay_alu instid0(VALU_DEP_1) | instskip(SKIP_2) | instid1(VALU_DEP_2)
	v_mad_u32 v3, v3, s12, v5
	s_wait_dscnt 0x0
	v_mad_nc_u64_u32 v[6:7], v10, s12, s[14:15]
	v_mad_u32 v5, v2, s13, v3
	s_delay_alu instid0(VALU_DEP_2) | instskip(NEXT) | instid1(VALU_DEP_1)
	v_mad_u32 v7, v11, s12, v7
	v_mad_u32 v7, v10, s13, v7
	s_branch .LBB1043_76
.LBB1043_75:                            ;   in Loop: Header=BB1043_76 Depth=1
	s_or_b32 exec_lo, exec_lo, s0
	s_delay_alu instid0(SALU_CYCLE_1) | instskip(NEXT) | instid1(SALU_CYCLE_1)
	s_and_b32 s0, exec_lo, s4
	s_or_b32 s3, s0, s3
	s_delay_alu instid0(SALU_CYCLE_1)
	s_and_not1_b32 exec_lo, exec_lo, s3
	s_cbranch_execz .LBB1043_78
.LBB1043_76:                            ; =>This Inner Loop Header: Depth=1
	global_load_u8 v2, v[4:5], off
	global_load_u8 v3, v[6:7], off
	s_wait_kmcnt 0x0
	s_or_b32 s4, s4, exec_lo
	s_wait_loadcnt 0x1
	v_cmp_ne_u16_e32 vcc_lo, 0, v2
	s_wait_loadcnt 0x0
	v_cmp_ne_u16_e64 s0, 0, v3
	v_mov_b64_e32 v[2:3], 1
	s_xor_b32 s0, vcc_lo, s0
	s_delay_alu instid0(SALU_CYCLE_1) | instskip(NEXT) | instid1(SALU_CYCLE_1)
	s_xor_b32 s5, s0, -1
	s_and_saveexec_b32 s0, s5
	s_cbranch_execz .LBB1043_75
; %bb.77:                               ;   in Loop: Header=BB1043_76 Depth=1
	s_add_nc_u64 s[12:13], s[12:13], -1
	v_add_nc_u64_e32 v[4:5], 1, v[4:5]
	s_cmp_eq_u64 s[12:13], 0
	v_add_nc_u64_e32 v[6:7], 1, v[6:7]
	v_mov_b64_e32 v[2:3], 0
	s_cselect_b32 s5, -1, 0
	s_and_not1_b32 s4, s4, exec_lo
	s_and_b32 s5, s5, exec_lo
	s_delay_alu instid0(SALU_CYCLE_1)
	s_or_b32 s4, s4, s5
	s_branch .LBB1043_75
.LBB1043_78:
	s_or_b32 exec_lo, exec_lo, s3
	s_branch .LBB1043_80
.LBB1043_79:
	v_mov_b64_e32 v[2:3], 0
.LBB1043_80:
	s_or_b32 exec_lo, exec_lo, s1
	s_delay_alu instid0(VALU_DEP_1)
	v_mov_b64_e32 v[6:7], v[2:3]
.LBB1043_81:
	s_add_nc_u64 s[0:1], s[8:9], s[20:21]
	s_and_b32 vcc_lo, exec_lo, s11
	s_wait_dscnt 0x0
	s_barrier_signal -1
	s_barrier_wait -1
	s_cbranch_vccz .LBB1043_85
; %bb.82:
	v_or_b32_e32 v10, 0x200, v0
	ds_store_2addr_b64 v1, v[6:7], v[8:9] offset1:1
	s_wait_dscnt 0x0
	s_barrier_signal -1
	s_barrier_wait -1
	v_dual_lshrrev_b32 v2, 2, v10 :: v_dual_lshlrev_b32 v4, 3, v0
	s_mov_b32 s3, 0
	s_lshl_b32 s8, s6, 10
	s_delay_alu instid0(VALU_DEP_1)
	v_and_b32_e32 v2, 0xf8, v2
	s_wait_kmcnt 0x0
	s_lshl_b64 s[4:5], s[2:3], 3
	v_mov_b32_e32 v5, 0
	s_add_nc_u64 s[6:7], s[0:1], s[4:5]
	s_sub_co_i32 s4, s10, s8
	v_add_nc_u32_e32 v2, v2, v4
	s_mov_b32 s5, exec_lo
	v_add_nc_u64_e32 v[4:5], s[6:7], v[4:5]
	ds_load_b64 v[2:3], v2 offset:4096
	v_cmpx_gt_u32_e64 s4, v0
	s_cbranch_execz .LBB1043_84
; %bb.83:
	v_lshrrev_b32_e32 v11, 2, v0
	s_delay_alu instid0(VALU_DEP_1) | instskip(NEXT) | instid1(VALU_DEP_1)
	v_and_b32_e32 v11, 0x78, v11
	v_lshl_add_u32 v11, v0, 3, v11
	ds_load_b64 v[12:13], v11
	s_wait_dscnt 0x0
	global_store_b64 v[4:5], v[12:13], off
.LBB1043_84:
	s_wait_xcnt 0x0
	s_or_b32 exec_lo, exec_lo, s5
	v_cmp_gt_u32_e64 s4, s4, v10
	s_and_b32 vcc_lo, exec_lo, s3
	s_cbranch_vccnz .LBB1043_86
	s_branch .LBB1043_87
.LBB1043_85:
	s_wait_kmcnt 0x0
	s_mov_b32 s4, 0
                                        ; implicit-def: $vgpr2_vgpr3
                                        ; implicit-def: $vgpr4_vgpr5
	s_cbranch_execz .LBB1043_87
.LBB1043_86:
	s_wait_dscnt 0x0
	v_or_b32_e32 v2, 0x200, v0
	v_dual_lshrrev_b32 v3, 2, v0 :: v_dual_lshlrev_b32 v4, 3, v0
	v_mov_b32_e32 v5, 0
	ds_store_2addr_b64 v1, v[6:7], v[8:9] offset1:1
	v_lshrrev_b32_e32 v2, 2, v2
	v_and_b32_e32 v3, 0x78, v3
	s_wait_storecnt_dscnt 0x0
	s_barrier_signal -1
	s_barrier_wait -1
	v_and_b32_e32 v2, 0xf8, v2
	v_add_nc_u32_e32 v1, v3, v4
	s_mov_b32 s3, 0
	s_or_b32 s4, s4, exec_lo
	s_delay_alu instid0(VALU_DEP_2) | instskip(SKIP_4) | instid1(SALU_CYCLE_1)
	v_add_nc_u32_e32 v2, v2, v4
	s_lshl_b64 s[2:3], s[2:3], 3
	ds_load_b64 v[6:7], v1
	ds_load_b64 v[2:3], v2 offset:4096
	s_add_nc_u64 s[0:1], s[0:1], s[2:3]
	v_add_nc_u64_e32 v[4:5], s[0:1], v[4:5]
	s_wait_dscnt 0x1
	global_store_b64 v0, v[6:7], s[0:1] scale_offset
.LBB1043_87:
	s_wait_xcnt 0x0
	s_and_saveexec_b32 s0, s4
	s_cbranch_execnz .LBB1043_89
; %bb.88:
	s_endpgm
.LBB1043_89:
	s_wait_dscnt 0x0
	global_store_b64 v[4:5], v[2:3], off offset:4096
	s_endpgm
	.section	.rodata,"a",@progbits
	.p2align	6, 0x0
	.amdhsa_kernel _ZN7rocprim17ROCPRIM_400000_NS6detail17trampoline_kernelINS0_14default_configENS1_35adjacent_difference_config_selectorILb1ElEEZNS1_24adjacent_difference_implIS3_Lb1ELb0EPlS7_ZN2at6native12_GLOBAL__N_124unique_dim_cuda_templateIbEESt5tupleIJNS8_6TensorESD_SD_EERKSD_lbbbEUlllE1_EE10hipError_tPvRmT2_T3_mT4_P12ihipStream_tbEUlT_E_NS1_11comp_targetILNS1_3genE0ELNS1_11target_archE4294967295ELNS1_3gpuE0ELNS1_3repE0EEENS1_30default_config_static_selectorELNS0_4arch9wavefront6targetE0EEEvT1_
		.amdhsa_group_segment_fixed_size 8448
		.amdhsa_private_segment_fixed_size 0
		.amdhsa_kernarg_size 64
		.amdhsa_user_sgpr_count 2
		.amdhsa_user_sgpr_dispatch_ptr 0
		.amdhsa_user_sgpr_queue_ptr 0
		.amdhsa_user_sgpr_kernarg_segment_ptr 1
		.amdhsa_user_sgpr_dispatch_id 0
		.amdhsa_user_sgpr_kernarg_preload_length 0
		.amdhsa_user_sgpr_kernarg_preload_offset 0
		.amdhsa_user_sgpr_private_segment_size 0
		.amdhsa_wavefront_size32 1
		.amdhsa_uses_dynamic_stack 0
		.amdhsa_enable_private_segment 0
		.amdhsa_system_sgpr_workgroup_id_x 1
		.amdhsa_system_sgpr_workgroup_id_y 0
		.amdhsa_system_sgpr_workgroup_id_z 0
		.amdhsa_system_sgpr_workgroup_info 0
		.amdhsa_system_vgpr_workitem_id 0
		.amdhsa_next_free_vgpr 16
		.amdhsa_next_free_sgpr 29
		.amdhsa_named_barrier_count 0
		.amdhsa_reserve_vcc 1
		.amdhsa_float_round_mode_32 0
		.amdhsa_float_round_mode_16_64 0
		.amdhsa_float_denorm_mode_32 3
		.amdhsa_float_denorm_mode_16_64 3
		.amdhsa_fp16_overflow 0
		.amdhsa_memory_ordered 1
		.amdhsa_forward_progress 1
		.amdhsa_inst_pref_size 27
		.amdhsa_round_robin_scheduling 0
		.amdhsa_exception_fp_ieee_invalid_op 0
		.amdhsa_exception_fp_denorm_src 0
		.amdhsa_exception_fp_ieee_div_zero 0
		.amdhsa_exception_fp_ieee_overflow 0
		.amdhsa_exception_fp_ieee_underflow 0
		.amdhsa_exception_fp_ieee_inexact 0
		.amdhsa_exception_int_div_zero 0
	.end_amdhsa_kernel
	.section	.text._ZN7rocprim17ROCPRIM_400000_NS6detail17trampoline_kernelINS0_14default_configENS1_35adjacent_difference_config_selectorILb1ElEEZNS1_24adjacent_difference_implIS3_Lb1ELb0EPlS7_ZN2at6native12_GLOBAL__N_124unique_dim_cuda_templateIbEESt5tupleIJNS8_6TensorESD_SD_EERKSD_lbbbEUlllE1_EE10hipError_tPvRmT2_T3_mT4_P12ihipStream_tbEUlT_E_NS1_11comp_targetILNS1_3genE0ELNS1_11target_archE4294967295ELNS1_3gpuE0ELNS1_3repE0EEENS1_30default_config_static_selectorELNS0_4arch9wavefront6targetE0EEEvT1_,"axG",@progbits,_ZN7rocprim17ROCPRIM_400000_NS6detail17trampoline_kernelINS0_14default_configENS1_35adjacent_difference_config_selectorILb1ElEEZNS1_24adjacent_difference_implIS3_Lb1ELb0EPlS7_ZN2at6native12_GLOBAL__N_124unique_dim_cuda_templateIbEESt5tupleIJNS8_6TensorESD_SD_EERKSD_lbbbEUlllE1_EE10hipError_tPvRmT2_T3_mT4_P12ihipStream_tbEUlT_E_NS1_11comp_targetILNS1_3genE0ELNS1_11target_archE4294967295ELNS1_3gpuE0ELNS1_3repE0EEENS1_30default_config_static_selectorELNS0_4arch9wavefront6targetE0EEEvT1_,comdat
.Lfunc_end1043:
	.size	_ZN7rocprim17ROCPRIM_400000_NS6detail17trampoline_kernelINS0_14default_configENS1_35adjacent_difference_config_selectorILb1ElEEZNS1_24adjacent_difference_implIS3_Lb1ELb0EPlS7_ZN2at6native12_GLOBAL__N_124unique_dim_cuda_templateIbEESt5tupleIJNS8_6TensorESD_SD_EERKSD_lbbbEUlllE1_EE10hipError_tPvRmT2_T3_mT4_P12ihipStream_tbEUlT_E_NS1_11comp_targetILNS1_3genE0ELNS1_11target_archE4294967295ELNS1_3gpuE0ELNS1_3repE0EEENS1_30default_config_static_selectorELNS0_4arch9wavefront6targetE0EEEvT1_, .Lfunc_end1043-_ZN7rocprim17ROCPRIM_400000_NS6detail17trampoline_kernelINS0_14default_configENS1_35adjacent_difference_config_selectorILb1ElEEZNS1_24adjacent_difference_implIS3_Lb1ELb0EPlS7_ZN2at6native12_GLOBAL__N_124unique_dim_cuda_templateIbEESt5tupleIJNS8_6TensorESD_SD_EERKSD_lbbbEUlllE1_EE10hipError_tPvRmT2_T3_mT4_P12ihipStream_tbEUlT_E_NS1_11comp_targetILNS1_3genE0ELNS1_11target_archE4294967295ELNS1_3gpuE0ELNS1_3repE0EEENS1_30default_config_static_selectorELNS0_4arch9wavefront6targetE0EEEvT1_
                                        ; -- End function
	.set _ZN7rocprim17ROCPRIM_400000_NS6detail17trampoline_kernelINS0_14default_configENS1_35adjacent_difference_config_selectorILb1ElEEZNS1_24adjacent_difference_implIS3_Lb1ELb0EPlS7_ZN2at6native12_GLOBAL__N_124unique_dim_cuda_templateIbEESt5tupleIJNS8_6TensorESD_SD_EERKSD_lbbbEUlllE1_EE10hipError_tPvRmT2_T3_mT4_P12ihipStream_tbEUlT_E_NS1_11comp_targetILNS1_3genE0ELNS1_11target_archE4294967295ELNS1_3gpuE0ELNS1_3repE0EEENS1_30default_config_static_selectorELNS0_4arch9wavefront6targetE0EEEvT1_.num_vgpr, 16
	.set _ZN7rocprim17ROCPRIM_400000_NS6detail17trampoline_kernelINS0_14default_configENS1_35adjacent_difference_config_selectorILb1ElEEZNS1_24adjacent_difference_implIS3_Lb1ELb0EPlS7_ZN2at6native12_GLOBAL__N_124unique_dim_cuda_templateIbEESt5tupleIJNS8_6TensorESD_SD_EERKSD_lbbbEUlllE1_EE10hipError_tPvRmT2_T3_mT4_P12ihipStream_tbEUlT_E_NS1_11comp_targetILNS1_3genE0ELNS1_11target_archE4294967295ELNS1_3gpuE0ELNS1_3repE0EEENS1_30default_config_static_selectorELNS0_4arch9wavefront6targetE0EEEvT1_.num_agpr, 0
	.set _ZN7rocprim17ROCPRIM_400000_NS6detail17trampoline_kernelINS0_14default_configENS1_35adjacent_difference_config_selectorILb1ElEEZNS1_24adjacent_difference_implIS3_Lb1ELb0EPlS7_ZN2at6native12_GLOBAL__N_124unique_dim_cuda_templateIbEESt5tupleIJNS8_6TensorESD_SD_EERKSD_lbbbEUlllE1_EE10hipError_tPvRmT2_T3_mT4_P12ihipStream_tbEUlT_E_NS1_11comp_targetILNS1_3genE0ELNS1_11target_archE4294967295ELNS1_3gpuE0ELNS1_3repE0EEENS1_30default_config_static_selectorELNS0_4arch9wavefront6targetE0EEEvT1_.numbered_sgpr, 29
	.set _ZN7rocprim17ROCPRIM_400000_NS6detail17trampoline_kernelINS0_14default_configENS1_35adjacent_difference_config_selectorILb1ElEEZNS1_24adjacent_difference_implIS3_Lb1ELb0EPlS7_ZN2at6native12_GLOBAL__N_124unique_dim_cuda_templateIbEESt5tupleIJNS8_6TensorESD_SD_EERKSD_lbbbEUlllE1_EE10hipError_tPvRmT2_T3_mT4_P12ihipStream_tbEUlT_E_NS1_11comp_targetILNS1_3genE0ELNS1_11target_archE4294967295ELNS1_3gpuE0ELNS1_3repE0EEENS1_30default_config_static_selectorELNS0_4arch9wavefront6targetE0EEEvT1_.num_named_barrier, 0
	.set _ZN7rocprim17ROCPRIM_400000_NS6detail17trampoline_kernelINS0_14default_configENS1_35adjacent_difference_config_selectorILb1ElEEZNS1_24adjacent_difference_implIS3_Lb1ELb0EPlS7_ZN2at6native12_GLOBAL__N_124unique_dim_cuda_templateIbEESt5tupleIJNS8_6TensorESD_SD_EERKSD_lbbbEUlllE1_EE10hipError_tPvRmT2_T3_mT4_P12ihipStream_tbEUlT_E_NS1_11comp_targetILNS1_3genE0ELNS1_11target_archE4294967295ELNS1_3gpuE0ELNS1_3repE0EEENS1_30default_config_static_selectorELNS0_4arch9wavefront6targetE0EEEvT1_.private_seg_size, 0
	.set _ZN7rocprim17ROCPRIM_400000_NS6detail17trampoline_kernelINS0_14default_configENS1_35adjacent_difference_config_selectorILb1ElEEZNS1_24adjacent_difference_implIS3_Lb1ELb0EPlS7_ZN2at6native12_GLOBAL__N_124unique_dim_cuda_templateIbEESt5tupleIJNS8_6TensorESD_SD_EERKSD_lbbbEUlllE1_EE10hipError_tPvRmT2_T3_mT4_P12ihipStream_tbEUlT_E_NS1_11comp_targetILNS1_3genE0ELNS1_11target_archE4294967295ELNS1_3gpuE0ELNS1_3repE0EEENS1_30default_config_static_selectorELNS0_4arch9wavefront6targetE0EEEvT1_.uses_vcc, 1
	.set _ZN7rocprim17ROCPRIM_400000_NS6detail17trampoline_kernelINS0_14default_configENS1_35adjacent_difference_config_selectorILb1ElEEZNS1_24adjacent_difference_implIS3_Lb1ELb0EPlS7_ZN2at6native12_GLOBAL__N_124unique_dim_cuda_templateIbEESt5tupleIJNS8_6TensorESD_SD_EERKSD_lbbbEUlllE1_EE10hipError_tPvRmT2_T3_mT4_P12ihipStream_tbEUlT_E_NS1_11comp_targetILNS1_3genE0ELNS1_11target_archE4294967295ELNS1_3gpuE0ELNS1_3repE0EEENS1_30default_config_static_selectorELNS0_4arch9wavefront6targetE0EEEvT1_.uses_flat_scratch, 0
	.set _ZN7rocprim17ROCPRIM_400000_NS6detail17trampoline_kernelINS0_14default_configENS1_35adjacent_difference_config_selectorILb1ElEEZNS1_24adjacent_difference_implIS3_Lb1ELb0EPlS7_ZN2at6native12_GLOBAL__N_124unique_dim_cuda_templateIbEESt5tupleIJNS8_6TensorESD_SD_EERKSD_lbbbEUlllE1_EE10hipError_tPvRmT2_T3_mT4_P12ihipStream_tbEUlT_E_NS1_11comp_targetILNS1_3genE0ELNS1_11target_archE4294967295ELNS1_3gpuE0ELNS1_3repE0EEENS1_30default_config_static_selectorELNS0_4arch9wavefront6targetE0EEEvT1_.has_dyn_sized_stack, 0
	.set _ZN7rocprim17ROCPRIM_400000_NS6detail17trampoline_kernelINS0_14default_configENS1_35adjacent_difference_config_selectorILb1ElEEZNS1_24adjacent_difference_implIS3_Lb1ELb0EPlS7_ZN2at6native12_GLOBAL__N_124unique_dim_cuda_templateIbEESt5tupleIJNS8_6TensorESD_SD_EERKSD_lbbbEUlllE1_EE10hipError_tPvRmT2_T3_mT4_P12ihipStream_tbEUlT_E_NS1_11comp_targetILNS1_3genE0ELNS1_11target_archE4294967295ELNS1_3gpuE0ELNS1_3repE0EEENS1_30default_config_static_selectorELNS0_4arch9wavefront6targetE0EEEvT1_.has_recursion, 0
	.set _ZN7rocprim17ROCPRIM_400000_NS6detail17trampoline_kernelINS0_14default_configENS1_35adjacent_difference_config_selectorILb1ElEEZNS1_24adjacent_difference_implIS3_Lb1ELb0EPlS7_ZN2at6native12_GLOBAL__N_124unique_dim_cuda_templateIbEESt5tupleIJNS8_6TensorESD_SD_EERKSD_lbbbEUlllE1_EE10hipError_tPvRmT2_T3_mT4_P12ihipStream_tbEUlT_E_NS1_11comp_targetILNS1_3genE0ELNS1_11target_archE4294967295ELNS1_3gpuE0ELNS1_3repE0EEENS1_30default_config_static_selectorELNS0_4arch9wavefront6targetE0EEEvT1_.has_indirect_call, 0
	.section	.AMDGPU.csdata,"",@progbits
; Kernel info:
; codeLenInByte = 3372
; TotalNumSgprs: 31
; NumVgprs: 16
; ScratchSize: 0
; MemoryBound: 0
; FloatMode: 240
; IeeeMode: 1
; LDSByteSize: 8448 bytes/workgroup (compile time only)
; SGPRBlocks: 0
; VGPRBlocks: 0
; NumSGPRsForWavesPerEU: 31
; NumVGPRsForWavesPerEU: 16
; NamedBarCnt: 0
; Occupancy: 16
; WaveLimiterHint : 1
; COMPUTE_PGM_RSRC2:SCRATCH_EN: 0
; COMPUTE_PGM_RSRC2:USER_SGPR: 2
; COMPUTE_PGM_RSRC2:TRAP_HANDLER: 0
; COMPUTE_PGM_RSRC2:TGID_X_EN: 1
; COMPUTE_PGM_RSRC2:TGID_Y_EN: 0
; COMPUTE_PGM_RSRC2:TGID_Z_EN: 0
; COMPUTE_PGM_RSRC2:TIDIG_COMP_CNT: 0
	.section	.text._ZN7rocprim17ROCPRIM_400000_NS6detail17trampoline_kernelINS0_14default_configENS1_35adjacent_difference_config_selectorILb1ElEEZNS1_24adjacent_difference_implIS3_Lb1ELb0EPlS7_ZN2at6native12_GLOBAL__N_124unique_dim_cuda_templateIbEESt5tupleIJNS8_6TensorESD_SD_EERKSD_lbbbEUlllE1_EE10hipError_tPvRmT2_T3_mT4_P12ihipStream_tbEUlT_E_NS1_11comp_targetILNS1_3genE10ELNS1_11target_archE1201ELNS1_3gpuE5ELNS1_3repE0EEENS1_30default_config_static_selectorELNS0_4arch9wavefront6targetE0EEEvT1_,"axG",@progbits,_ZN7rocprim17ROCPRIM_400000_NS6detail17trampoline_kernelINS0_14default_configENS1_35adjacent_difference_config_selectorILb1ElEEZNS1_24adjacent_difference_implIS3_Lb1ELb0EPlS7_ZN2at6native12_GLOBAL__N_124unique_dim_cuda_templateIbEESt5tupleIJNS8_6TensorESD_SD_EERKSD_lbbbEUlllE1_EE10hipError_tPvRmT2_T3_mT4_P12ihipStream_tbEUlT_E_NS1_11comp_targetILNS1_3genE10ELNS1_11target_archE1201ELNS1_3gpuE5ELNS1_3repE0EEENS1_30default_config_static_selectorELNS0_4arch9wavefront6targetE0EEEvT1_,comdat
	.globl	_ZN7rocprim17ROCPRIM_400000_NS6detail17trampoline_kernelINS0_14default_configENS1_35adjacent_difference_config_selectorILb1ElEEZNS1_24adjacent_difference_implIS3_Lb1ELb0EPlS7_ZN2at6native12_GLOBAL__N_124unique_dim_cuda_templateIbEESt5tupleIJNS8_6TensorESD_SD_EERKSD_lbbbEUlllE1_EE10hipError_tPvRmT2_T3_mT4_P12ihipStream_tbEUlT_E_NS1_11comp_targetILNS1_3genE10ELNS1_11target_archE1201ELNS1_3gpuE5ELNS1_3repE0EEENS1_30default_config_static_selectorELNS0_4arch9wavefront6targetE0EEEvT1_ ; -- Begin function _ZN7rocprim17ROCPRIM_400000_NS6detail17trampoline_kernelINS0_14default_configENS1_35adjacent_difference_config_selectorILb1ElEEZNS1_24adjacent_difference_implIS3_Lb1ELb0EPlS7_ZN2at6native12_GLOBAL__N_124unique_dim_cuda_templateIbEESt5tupleIJNS8_6TensorESD_SD_EERKSD_lbbbEUlllE1_EE10hipError_tPvRmT2_T3_mT4_P12ihipStream_tbEUlT_E_NS1_11comp_targetILNS1_3genE10ELNS1_11target_archE1201ELNS1_3gpuE5ELNS1_3repE0EEENS1_30default_config_static_selectorELNS0_4arch9wavefront6targetE0EEEvT1_
	.p2align	8
	.type	_ZN7rocprim17ROCPRIM_400000_NS6detail17trampoline_kernelINS0_14default_configENS1_35adjacent_difference_config_selectorILb1ElEEZNS1_24adjacent_difference_implIS3_Lb1ELb0EPlS7_ZN2at6native12_GLOBAL__N_124unique_dim_cuda_templateIbEESt5tupleIJNS8_6TensorESD_SD_EERKSD_lbbbEUlllE1_EE10hipError_tPvRmT2_T3_mT4_P12ihipStream_tbEUlT_E_NS1_11comp_targetILNS1_3genE10ELNS1_11target_archE1201ELNS1_3gpuE5ELNS1_3repE0EEENS1_30default_config_static_selectorELNS0_4arch9wavefront6targetE0EEEvT1_,@function
_ZN7rocprim17ROCPRIM_400000_NS6detail17trampoline_kernelINS0_14default_configENS1_35adjacent_difference_config_selectorILb1ElEEZNS1_24adjacent_difference_implIS3_Lb1ELb0EPlS7_ZN2at6native12_GLOBAL__N_124unique_dim_cuda_templateIbEESt5tupleIJNS8_6TensorESD_SD_EERKSD_lbbbEUlllE1_EE10hipError_tPvRmT2_T3_mT4_P12ihipStream_tbEUlT_E_NS1_11comp_targetILNS1_3genE10ELNS1_11target_archE1201ELNS1_3gpuE5ELNS1_3repE0EEENS1_30default_config_static_selectorELNS0_4arch9wavefront6targetE0EEEvT1_: ; @_ZN7rocprim17ROCPRIM_400000_NS6detail17trampoline_kernelINS0_14default_configENS1_35adjacent_difference_config_selectorILb1ElEEZNS1_24adjacent_difference_implIS3_Lb1ELb0EPlS7_ZN2at6native12_GLOBAL__N_124unique_dim_cuda_templateIbEESt5tupleIJNS8_6TensorESD_SD_EERKSD_lbbbEUlllE1_EE10hipError_tPvRmT2_T3_mT4_P12ihipStream_tbEUlT_E_NS1_11comp_targetILNS1_3genE10ELNS1_11target_archE1201ELNS1_3gpuE5ELNS1_3repE0EEENS1_30default_config_static_selectorELNS0_4arch9wavefront6targetE0EEEvT1_
; %bb.0:
	.section	.rodata,"a",@progbits
	.p2align	6, 0x0
	.amdhsa_kernel _ZN7rocprim17ROCPRIM_400000_NS6detail17trampoline_kernelINS0_14default_configENS1_35adjacent_difference_config_selectorILb1ElEEZNS1_24adjacent_difference_implIS3_Lb1ELb0EPlS7_ZN2at6native12_GLOBAL__N_124unique_dim_cuda_templateIbEESt5tupleIJNS8_6TensorESD_SD_EERKSD_lbbbEUlllE1_EE10hipError_tPvRmT2_T3_mT4_P12ihipStream_tbEUlT_E_NS1_11comp_targetILNS1_3genE10ELNS1_11target_archE1201ELNS1_3gpuE5ELNS1_3repE0EEENS1_30default_config_static_selectorELNS0_4arch9wavefront6targetE0EEEvT1_
		.amdhsa_group_segment_fixed_size 0
		.amdhsa_private_segment_fixed_size 0
		.amdhsa_kernarg_size 64
		.amdhsa_user_sgpr_count 2
		.amdhsa_user_sgpr_dispatch_ptr 0
		.amdhsa_user_sgpr_queue_ptr 0
		.amdhsa_user_sgpr_kernarg_segment_ptr 1
		.amdhsa_user_sgpr_dispatch_id 0
		.amdhsa_user_sgpr_kernarg_preload_length 0
		.amdhsa_user_sgpr_kernarg_preload_offset 0
		.amdhsa_user_sgpr_private_segment_size 0
		.amdhsa_wavefront_size32 1
		.amdhsa_uses_dynamic_stack 0
		.amdhsa_enable_private_segment 0
		.amdhsa_system_sgpr_workgroup_id_x 1
		.amdhsa_system_sgpr_workgroup_id_y 0
		.amdhsa_system_sgpr_workgroup_id_z 0
		.amdhsa_system_sgpr_workgroup_info 0
		.amdhsa_system_vgpr_workitem_id 0
		.amdhsa_next_free_vgpr 1
		.amdhsa_next_free_sgpr 1
		.amdhsa_named_barrier_count 0
		.amdhsa_reserve_vcc 0
		.amdhsa_float_round_mode_32 0
		.amdhsa_float_round_mode_16_64 0
		.amdhsa_float_denorm_mode_32 3
		.amdhsa_float_denorm_mode_16_64 3
		.amdhsa_fp16_overflow 0
		.amdhsa_memory_ordered 1
		.amdhsa_forward_progress 1
		.amdhsa_inst_pref_size 0
		.amdhsa_round_robin_scheduling 0
		.amdhsa_exception_fp_ieee_invalid_op 0
		.amdhsa_exception_fp_denorm_src 0
		.amdhsa_exception_fp_ieee_div_zero 0
		.amdhsa_exception_fp_ieee_overflow 0
		.amdhsa_exception_fp_ieee_underflow 0
		.amdhsa_exception_fp_ieee_inexact 0
		.amdhsa_exception_int_div_zero 0
	.end_amdhsa_kernel
	.section	.text._ZN7rocprim17ROCPRIM_400000_NS6detail17trampoline_kernelINS0_14default_configENS1_35adjacent_difference_config_selectorILb1ElEEZNS1_24adjacent_difference_implIS3_Lb1ELb0EPlS7_ZN2at6native12_GLOBAL__N_124unique_dim_cuda_templateIbEESt5tupleIJNS8_6TensorESD_SD_EERKSD_lbbbEUlllE1_EE10hipError_tPvRmT2_T3_mT4_P12ihipStream_tbEUlT_E_NS1_11comp_targetILNS1_3genE10ELNS1_11target_archE1201ELNS1_3gpuE5ELNS1_3repE0EEENS1_30default_config_static_selectorELNS0_4arch9wavefront6targetE0EEEvT1_,"axG",@progbits,_ZN7rocprim17ROCPRIM_400000_NS6detail17trampoline_kernelINS0_14default_configENS1_35adjacent_difference_config_selectorILb1ElEEZNS1_24adjacent_difference_implIS3_Lb1ELb0EPlS7_ZN2at6native12_GLOBAL__N_124unique_dim_cuda_templateIbEESt5tupleIJNS8_6TensorESD_SD_EERKSD_lbbbEUlllE1_EE10hipError_tPvRmT2_T3_mT4_P12ihipStream_tbEUlT_E_NS1_11comp_targetILNS1_3genE10ELNS1_11target_archE1201ELNS1_3gpuE5ELNS1_3repE0EEENS1_30default_config_static_selectorELNS0_4arch9wavefront6targetE0EEEvT1_,comdat
.Lfunc_end1044:
	.size	_ZN7rocprim17ROCPRIM_400000_NS6detail17trampoline_kernelINS0_14default_configENS1_35adjacent_difference_config_selectorILb1ElEEZNS1_24adjacent_difference_implIS3_Lb1ELb0EPlS7_ZN2at6native12_GLOBAL__N_124unique_dim_cuda_templateIbEESt5tupleIJNS8_6TensorESD_SD_EERKSD_lbbbEUlllE1_EE10hipError_tPvRmT2_T3_mT4_P12ihipStream_tbEUlT_E_NS1_11comp_targetILNS1_3genE10ELNS1_11target_archE1201ELNS1_3gpuE5ELNS1_3repE0EEENS1_30default_config_static_selectorELNS0_4arch9wavefront6targetE0EEEvT1_, .Lfunc_end1044-_ZN7rocprim17ROCPRIM_400000_NS6detail17trampoline_kernelINS0_14default_configENS1_35adjacent_difference_config_selectorILb1ElEEZNS1_24adjacent_difference_implIS3_Lb1ELb0EPlS7_ZN2at6native12_GLOBAL__N_124unique_dim_cuda_templateIbEESt5tupleIJNS8_6TensorESD_SD_EERKSD_lbbbEUlllE1_EE10hipError_tPvRmT2_T3_mT4_P12ihipStream_tbEUlT_E_NS1_11comp_targetILNS1_3genE10ELNS1_11target_archE1201ELNS1_3gpuE5ELNS1_3repE0EEENS1_30default_config_static_selectorELNS0_4arch9wavefront6targetE0EEEvT1_
                                        ; -- End function
	.set _ZN7rocprim17ROCPRIM_400000_NS6detail17trampoline_kernelINS0_14default_configENS1_35adjacent_difference_config_selectorILb1ElEEZNS1_24adjacent_difference_implIS3_Lb1ELb0EPlS7_ZN2at6native12_GLOBAL__N_124unique_dim_cuda_templateIbEESt5tupleIJNS8_6TensorESD_SD_EERKSD_lbbbEUlllE1_EE10hipError_tPvRmT2_T3_mT4_P12ihipStream_tbEUlT_E_NS1_11comp_targetILNS1_3genE10ELNS1_11target_archE1201ELNS1_3gpuE5ELNS1_3repE0EEENS1_30default_config_static_selectorELNS0_4arch9wavefront6targetE0EEEvT1_.num_vgpr, 0
	.set _ZN7rocprim17ROCPRIM_400000_NS6detail17trampoline_kernelINS0_14default_configENS1_35adjacent_difference_config_selectorILb1ElEEZNS1_24adjacent_difference_implIS3_Lb1ELb0EPlS7_ZN2at6native12_GLOBAL__N_124unique_dim_cuda_templateIbEESt5tupleIJNS8_6TensorESD_SD_EERKSD_lbbbEUlllE1_EE10hipError_tPvRmT2_T3_mT4_P12ihipStream_tbEUlT_E_NS1_11comp_targetILNS1_3genE10ELNS1_11target_archE1201ELNS1_3gpuE5ELNS1_3repE0EEENS1_30default_config_static_selectorELNS0_4arch9wavefront6targetE0EEEvT1_.num_agpr, 0
	.set _ZN7rocprim17ROCPRIM_400000_NS6detail17trampoline_kernelINS0_14default_configENS1_35adjacent_difference_config_selectorILb1ElEEZNS1_24adjacent_difference_implIS3_Lb1ELb0EPlS7_ZN2at6native12_GLOBAL__N_124unique_dim_cuda_templateIbEESt5tupleIJNS8_6TensorESD_SD_EERKSD_lbbbEUlllE1_EE10hipError_tPvRmT2_T3_mT4_P12ihipStream_tbEUlT_E_NS1_11comp_targetILNS1_3genE10ELNS1_11target_archE1201ELNS1_3gpuE5ELNS1_3repE0EEENS1_30default_config_static_selectorELNS0_4arch9wavefront6targetE0EEEvT1_.numbered_sgpr, 0
	.set _ZN7rocprim17ROCPRIM_400000_NS6detail17trampoline_kernelINS0_14default_configENS1_35adjacent_difference_config_selectorILb1ElEEZNS1_24adjacent_difference_implIS3_Lb1ELb0EPlS7_ZN2at6native12_GLOBAL__N_124unique_dim_cuda_templateIbEESt5tupleIJNS8_6TensorESD_SD_EERKSD_lbbbEUlllE1_EE10hipError_tPvRmT2_T3_mT4_P12ihipStream_tbEUlT_E_NS1_11comp_targetILNS1_3genE10ELNS1_11target_archE1201ELNS1_3gpuE5ELNS1_3repE0EEENS1_30default_config_static_selectorELNS0_4arch9wavefront6targetE0EEEvT1_.num_named_barrier, 0
	.set _ZN7rocprim17ROCPRIM_400000_NS6detail17trampoline_kernelINS0_14default_configENS1_35adjacent_difference_config_selectorILb1ElEEZNS1_24adjacent_difference_implIS3_Lb1ELb0EPlS7_ZN2at6native12_GLOBAL__N_124unique_dim_cuda_templateIbEESt5tupleIJNS8_6TensorESD_SD_EERKSD_lbbbEUlllE1_EE10hipError_tPvRmT2_T3_mT4_P12ihipStream_tbEUlT_E_NS1_11comp_targetILNS1_3genE10ELNS1_11target_archE1201ELNS1_3gpuE5ELNS1_3repE0EEENS1_30default_config_static_selectorELNS0_4arch9wavefront6targetE0EEEvT1_.private_seg_size, 0
	.set _ZN7rocprim17ROCPRIM_400000_NS6detail17trampoline_kernelINS0_14default_configENS1_35adjacent_difference_config_selectorILb1ElEEZNS1_24adjacent_difference_implIS3_Lb1ELb0EPlS7_ZN2at6native12_GLOBAL__N_124unique_dim_cuda_templateIbEESt5tupleIJNS8_6TensorESD_SD_EERKSD_lbbbEUlllE1_EE10hipError_tPvRmT2_T3_mT4_P12ihipStream_tbEUlT_E_NS1_11comp_targetILNS1_3genE10ELNS1_11target_archE1201ELNS1_3gpuE5ELNS1_3repE0EEENS1_30default_config_static_selectorELNS0_4arch9wavefront6targetE0EEEvT1_.uses_vcc, 0
	.set _ZN7rocprim17ROCPRIM_400000_NS6detail17trampoline_kernelINS0_14default_configENS1_35adjacent_difference_config_selectorILb1ElEEZNS1_24adjacent_difference_implIS3_Lb1ELb0EPlS7_ZN2at6native12_GLOBAL__N_124unique_dim_cuda_templateIbEESt5tupleIJNS8_6TensorESD_SD_EERKSD_lbbbEUlllE1_EE10hipError_tPvRmT2_T3_mT4_P12ihipStream_tbEUlT_E_NS1_11comp_targetILNS1_3genE10ELNS1_11target_archE1201ELNS1_3gpuE5ELNS1_3repE0EEENS1_30default_config_static_selectorELNS0_4arch9wavefront6targetE0EEEvT1_.uses_flat_scratch, 0
	.set _ZN7rocprim17ROCPRIM_400000_NS6detail17trampoline_kernelINS0_14default_configENS1_35adjacent_difference_config_selectorILb1ElEEZNS1_24adjacent_difference_implIS3_Lb1ELb0EPlS7_ZN2at6native12_GLOBAL__N_124unique_dim_cuda_templateIbEESt5tupleIJNS8_6TensorESD_SD_EERKSD_lbbbEUlllE1_EE10hipError_tPvRmT2_T3_mT4_P12ihipStream_tbEUlT_E_NS1_11comp_targetILNS1_3genE10ELNS1_11target_archE1201ELNS1_3gpuE5ELNS1_3repE0EEENS1_30default_config_static_selectorELNS0_4arch9wavefront6targetE0EEEvT1_.has_dyn_sized_stack, 0
	.set _ZN7rocprim17ROCPRIM_400000_NS6detail17trampoline_kernelINS0_14default_configENS1_35adjacent_difference_config_selectorILb1ElEEZNS1_24adjacent_difference_implIS3_Lb1ELb0EPlS7_ZN2at6native12_GLOBAL__N_124unique_dim_cuda_templateIbEESt5tupleIJNS8_6TensorESD_SD_EERKSD_lbbbEUlllE1_EE10hipError_tPvRmT2_T3_mT4_P12ihipStream_tbEUlT_E_NS1_11comp_targetILNS1_3genE10ELNS1_11target_archE1201ELNS1_3gpuE5ELNS1_3repE0EEENS1_30default_config_static_selectorELNS0_4arch9wavefront6targetE0EEEvT1_.has_recursion, 0
	.set _ZN7rocprim17ROCPRIM_400000_NS6detail17trampoline_kernelINS0_14default_configENS1_35adjacent_difference_config_selectorILb1ElEEZNS1_24adjacent_difference_implIS3_Lb1ELb0EPlS7_ZN2at6native12_GLOBAL__N_124unique_dim_cuda_templateIbEESt5tupleIJNS8_6TensorESD_SD_EERKSD_lbbbEUlllE1_EE10hipError_tPvRmT2_T3_mT4_P12ihipStream_tbEUlT_E_NS1_11comp_targetILNS1_3genE10ELNS1_11target_archE1201ELNS1_3gpuE5ELNS1_3repE0EEENS1_30default_config_static_selectorELNS0_4arch9wavefront6targetE0EEEvT1_.has_indirect_call, 0
	.section	.AMDGPU.csdata,"",@progbits
; Kernel info:
; codeLenInByte = 0
; TotalNumSgprs: 0
; NumVgprs: 0
; ScratchSize: 0
; MemoryBound: 0
; FloatMode: 240
; IeeeMode: 1
; LDSByteSize: 0 bytes/workgroup (compile time only)
; SGPRBlocks: 0
; VGPRBlocks: 0
; NumSGPRsForWavesPerEU: 1
; NumVGPRsForWavesPerEU: 1
; NamedBarCnt: 0
; Occupancy: 16
; WaveLimiterHint : 0
; COMPUTE_PGM_RSRC2:SCRATCH_EN: 0
; COMPUTE_PGM_RSRC2:USER_SGPR: 2
; COMPUTE_PGM_RSRC2:TRAP_HANDLER: 0
; COMPUTE_PGM_RSRC2:TGID_X_EN: 1
; COMPUTE_PGM_RSRC2:TGID_Y_EN: 0
; COMPUTE_PGM_RSRC2:TGID_Z_EN: 0
; COMPUTE_PGM_RSRC2:TIDIG_COMP_CNT: 0
	.section	.text._ZN7rocprim17ROCPRIM_400000_NS6detail17trampoline_kernelINS0_14default_configENS1_35adjacent_difference_config_selectorILb1ElEEZNS1_24adjacent_difference_implIS3_Lb1ELb0EPlS7_ZN2at6native12_GLOBAL__N_124unique_dim_cuda_templateIbEESt5tupleIJNS8_6TensorESD_SD_EERKSD_lbbbEUlllE1_EE10hipError_tPvRmT2_T3_mT4_P12ihipStream_tbEUlT_E_NS1_11comp_targetILNS1_3genE5ELNS1_11target_archE942ELNS1_3gpuE9ELNS1_3repE0EEENS1_30default_config_static_selectorELNS0_4arch9wavefront6targetE0EEEvT1_,"axG",@progbits,_ZN7rocprim17ROCPRIM_400000_NS6detail17trampoline_kernelINS0_14default_configENS1_35adjacent_difference_config_selectorILb1ElEEZNS1_24adjacent_difference_implIS3_Lb1ELb0EPlS7_ZN2at6native12_GLOBAL__N_124unique_dim_cuda_templateIbEESt5tupleIJNS8_6TensorESD_SD_EERKSD_lbbbEUlllE1_EE10hipError_tPvRmT2_T3_mT4_P12ihipStream_tbEUlT_E_NS1_11comp_targetILNS1_3genE5ELNS1_11target_archE942ELNS1_3gpuE9ELNS1_3repE0EEENS1_30default_config_static_selectorELNS0_4arch9wavefront6targetE0EEEvT1_,comdat
	.globl	_ZN7rocprim17ROCPRIM_400000_NS6detail17trampoline_kernelINS0_14default_configENS1_35adjacent_difference_config_selectorILb1ElEEZNS1_24adjacent_difference_implIS3_Lb1ELb0EPlS7_ZN2at6native12_GLOBAL__N_124unique_dim_cuda_templateIbEESt5tupleIJNS8_6TensorESD_SD_EERKSD_lbbbEUlllE1_EE10hipError_tPvRmT2_T3_mT4_P12ihipStream_tbEUlT_E_NS1_11comp_targetILNS1_3genE5ELNS1_11target_archE942ELNS1_3gpuE9ELNS1_3repE0EEENS1_30default_config_static_selectorELNS0_4arch9wavefront6targetE0EEEvT1_ ; -- Begin function _ZN7rocprim17ROCPRIM_400000_NS6detail17trampoline_kernelINS0_14default_configENS1_35adjacent_difference_config_selectorILb1ElEEZNS1_24adjacent_difference_implIS3_Lb1ELb0EPlS7_ZN2at6native12_GLOBAL__N_124unique_dim_cuda_templateIbEESt5tupleIJNS8_6TensorESD_SD_EERKSD_lbbbEUlllE1_EE10hipError_tPvRmT2_T3_mT4_P12ihipStream_tbEUlT_E_NS1_11comp_targetILNS1_3genE5ELNS1_11target_archE942ELNS1_3gpuE9ELNS1_3repE0EEENS1_30default_config_static_selectorELNS0_4arch9wavefront6targetE0EEEvT1_
	.p2align	8
	.type	_ZN7rocprim17ROCPRIM_400000_NS6detail17trampoline_kernelINS0_14default_configENS1_35adjacent_difference_config_selectorILb1ElEEZNS1_24adjacent_difference_implIS3_Lb1ELb0EPlS7_ZN2at6native12_GLOBAL__N_124unique_dim_cuda_templateIbEESt5tupleIJNS8_6TensorESD_SD_EERKSD_lbbbEUlllE1_EE10hipError_tPvRmT2_T3_mT4_P12ihipStream_tbEUlT_E_NS1_11comp_targetILNS1_3genE5ELNS1_11target_archE942ELNS1_3gpuE9ELNS1_3repE0EEENS1_30default_config_static_selectorELNS0_4arch9wavefront6targetE0EEEvT1_,@function
_ZN7rocprim17ROCPRIM_400000_NS6detail17trampoline_kernelINS0_14default_configENS1_35adjacent_difference_config_selectorILb1ElEEZNS1_24adjacent_difference_implIS3_Lb1ELb0EPlS7_ZN2at6native12_GLOBAL__N_124unique_dim_cuda_templateIbEESt5tupleIJNS8_6TensorESD_SD_EERKSD_lbbbEUlllE1_EE10hipError_tPvRmT2_T3_mT4_P12ihipStream_tbEUlT_E_NS1_11comp_targetILNS1_3genE5ELNS1_11target_archE942ELNS1_3gpuE9ELNS1_3repE0EEENS1_30default_config_static_selectorELNS0_4arch9wavefront6targetE0EEEvT1_: ; @_ZN7rocprim17ROCPRIM_400000_NS6detail17trampoline_kernelINS0_14default_configENS1_35adjacent_difference_config_selectorILb1ElEEZNS1_24adjacent_difference_implIS3_Lb1ELb0EPlS7_ZN2at6native12_GLOBAL__N_124unique_dim_cuda_templateIbEESt5tupleIJNS8_6TensorESD_SD_EERKSD_lbbbEUlllE1_EE10hipError_tPvRmT2_T3_mT4_P12ihipStream_tbEUlT_E_NS1_11comp_targetILNS1_3genE5ELNS1_11target_archE942ELNS1_3gpuE9ELNS1_3repE0EEENS1_30default_config_static_selectorELNS0_4arch9wavefront6targetE0EEEvT1_
; %bb.0:
	.section	.rodata,"a",@progbits
	.p2align	6, 0x0
	.amdhsa_kernel _ZN7rocprim17ROCPRIM_400000_NS6detail17trampoline_kernelINS0_14default_configENS1_35adjacent_difference_config_selectorILb1ElEEZNS1_24adjacent_difference_implIS3_Lb1ELb0EPlS7_ZN2at6native12_GLOBAL__N_124unique_dim_cuda_templateIbEESt5tupleIJNS8_6TensorESD_SD_EERKSD_lbbbEUlllE1_EE10hipError_tPvRmT2_T3_mT4_P12ihipStream_tbEUlT_E_NS1_11comp_targetILNS1_3genE5ELNS1_11target_archE942ELNS1_3gpuE9ELNS1_3repE0EEENS1_30default_config_static_selectorELNS0_4arch9wavefront6targetE0EEEvT1_
		.amdhsa_group_segment_fixed_size 0
		.amdhsa_private_segment_fixed_size 0
		.amdhsa_kernarg_size 64
		.amdhsa_user_sgpr_count 2
		.amdhsa_user_sgpr_dispatch_ptr 0
		.amdhsa_user_sgpr_queue_ptr 0
		.amdhsa_user_sgpr_kernarg_segment_ptr 1
		.amdhsa_user_sgpr_dispatch_id 0
		.amdhsa_user_sgpr_kernarg_preload_length 0
		.amdhsa_user_sgpr_kernarg_preload_offset 0
		.amdhsa_user_sgpr_private_segment_size 0
		.amdhsa_wavefront_size32 1
		.amdhsa_uses_dynamic_stack 0
		.amdhsa_enable_private_segment 0
		.amdhsa_system_sgpr_workgroup_id_x 1
		.amdhsa_system_sgpr_workgroup_id_y 0
		.amdhsa_system_sgpr_workgroup_id_z 0
		.amdhsa_system_sgpr_workgroup_info 0
		.amdhsa_system_vgpr_workitem_id 0
		.amdhsa_next_free_vgpr 1
		.amdhsa_next_free_sgpr 1
		.amdhsa_named_barrier_count 0
		.amdhsa_reserve_vcc 0
		.amdhsa_float_round_mode_32 0
		.amdhsa_float_round_mode_16_64 0
		.amdhsa_float_denorm_mode_32 3
		.amdhsa_float_denorm_mode_16_64 3
		.amdhsa_fp16_overflow 0
		.amdhsa_memory_ordered 1
		.amdhsa_forward_progress 1
		.amdhsa_inst_pref_size 0
		.amdhsa_round_robin_scheduling 0
		.amdhsa_exception_fp_ieee_invalid_op 0
		.amdhsa_exception_fp_denorm_src 0
		.amdhsa_exception_fp_ieee_div_zero 0
		.amdhsa_exception_fp_ieee_overflow 0
		.amdhsa_exception_fp_ieee_underflow 0
		.amdhsa_exception_fp_ieee_inexact 0
		.amdhsa_exception_int_div_zero 0
	.end_amdhsa_kernel
	.section	.text._ZN7rocprim17ROCPRIM_400000_NS6detail17trampoline_kernelINS0_14default_configENS1_35adjacent_difference_config_selectorILb1ElEEZNS1_24adjacent_difference_implIS3_Lb1ELb0EPlS7_ZN2at6native12_GLOBAL__N_124unique_dim_cuda_templateIbEESt5tupleIJNS8_6TensorESD_SD_EERKSD_lbbbEUlllE1_EE10hipError_tPvRmT2_T3_mT4_P12ihipStream_tbEUlT_E_NS1_11comp_targetILNS1_3genE5ELNS1_11target_archE942ELNS1_3gpuE9ELNS1_3repE0EEENS1_30default_config_static_selectorELNS0_4arch9wavefront6targetE0EEEvT1_,"axG",@progbits,_ZN7rocprim17ROCPRIM_400000_NS6detail17trampoline_kernelINS0_14default_configENS1_35adjacent_difference_config_selectorILb1ElEEZNS1_24adjacent_difference_implIS3_Lb1ELb0EPlS7_ZN2at6native12_GLOBAL__N_124unique_dim_cuda_templateIbEESt5tupleIJNS8_6TensorESD_SD_EERKSD_lbbbEUlllE1_EE10hipError_tPvRmT2_T3_mT4_P12ihipStream_tbEUlT_E_NS1_11comp_targetILNS1_3genE5ELNS1_11target_archE942ELNS1_3gpuE9ELNS1_3repE0EEENS1_30default_config_static_selectorELNS0_4arch9wavefront6targetE0EEEvT1_,comdat
.Lfunc_end1045:
	.size	_ZN7rocprim17ROCPRIM_400000_NS6detail17trampoline_kernelINS0_14default_configENS1_35adjacent_difference_config_selectorILb1ElEEZNS1_24adjacent_difference_implIS3_Lb1ELb0EPlS7_ZN2at6native12_GLOBAL__N_124unique_dim_cuda_templateIbEESt5tupleIJNS8_6TensorESD_SD_EERKSD_lbbbEUlllE1_EE10hipError_tPvRmT2_T3_mT4_P12ihipStream_tbEUlT_E_NS1_11comp_targetILNS1_3genE5ELNS1_11target_archE942ELNS1_3gpuE9ELNS1_3repE0EEENS1_30default_config_static_selectorELNS0_4arch9wavefront6targetE0EEEvT1_, .Lfunc_end1045-_ZN7rocprim17ROCPRIM_400000_NS6detail17trampoline_kernelINS0_14default_configENS1_35adjacent_difference_config_selectorILb1ElEEZNS1_24adjacent_difference_implIS3_Lb1ELb0EPlS7_ZN2at6native12_GLOBAL__N_124unique_dim_cuda_templateIbEESt5tupleIJNS8_6TensorESD_SD_EERKSD_lbbbEUlllE1_EE10hipError_tPvRmT2_T3_mT4_P12ihipStream_tbEUlT_E_NS1_11comp_targetILNS1_3genE5ELNS1_11target_archE942ELNS1_3gpuE9ELNS1_3repE0EEENS1_30default_config_static_selectorELNS0_4arch9wavefront6targetE0EEEvT1_
                                        ; -- End function
	.set _ZN7rocprim17ROCPRIM_400000_NS6detail17trampoline_kernelINS0_14default_configENS1_35adjacent_difference_config_selectorILb1ElEEZNS1_24adjacent_difference_implIS3_Lb1ELb0EPlS7_ZN2at6native12_GLOBAL__N_124unique_dim_cuda_templateIbEESt5tupleIJNS8_6TensorESD_SD_EERKSD_lbbbEUlllE1_EE10hipError_tPvRmT2_T3_mT4_P12ihipStream_tbEUlT_E_NS1_11comp_targetILNS1_3genE5ELNS1_11target_archE942ELNS1_3gpuE9ELNS1_3repE0EEENS1_30default_config_static_selectorELNS0_4arch9wavefront6targetE0EEEvT1_.num_vgpr, 0
	.set _ZN7rocprim17ROCPRIM_400000_NS6detail17trampoline_kernelINS0_14default_configENS1_35adjacent_difference_config_selectorILb1ElEEZNS1_24adjacent_difference_implIS3_Lb1ELb0EPlS7_ZN2at6native12_GLOBAL__N_124unique_dim_cuda_templateIbEESt5tupleIJNS8_6TensorESD_SD_EERKSD_lbbbEUlllE1_EE10hipError_tPvRmT2_T3_mT4_P12ihipStream_tbEUlT_E_NS1_11comp_targetILNS1_3genE5ELNS1_11target_archE942ELNS1_3gpuE9ELNS1_3repE0EEENS1_30default_config_static_selectorELNS0_4arch9wavefront6targetE0EEEvT1_.num_agpr, 0
	.set _ZN7rocprim17ROCPRIM_400000_NS6detail17trampoline_kernelINS0_14default_configENS1_35adjacent_difference_config_selectorILb1ElEEZNS1_24adjacent_difference_implIS3_Lb1ELb0EPlS7_ZN2at6native12_GLOBAL__N_124unique_dim_cuda_templateIbEESt5tupleIJNS8_6TensorESD_SD_EERKSD_lbbbEUlllE1_EE10hipError_tPvRmT2_T3_mT4_P12ihipStream_tbEUlT_E_NS1_11comp_targetILNS1_3genE5ELNS1_11target_archE942ELNS1_3gpuE9ELNS1_3repE0EEENS1_30default_config_static_selectorELNS0_4arch9wavefront6targetE0EEEvT1_.numbered_sgpr, 0
	.set _ZN7rocprim17ROCPRIM_400000_NS6detail17trampoline_kernelINS0_14default_configENS1_35adjacent_difference_config_selectorILb1ElEEZNS1_24adjacent_difference_implIS3_Lb1ELb0EPlS7_ZN2at6native12_GLOBAL__N_124unique_dim_cuda_templateIbEESt5tupleIJNS8_6TensorESD_SD_EERKSD_lbbbEUlllE1_EE10hipError_tPvRmT2_T3_mT4_P12ihipStream_tbEUlT_E_NS1_11comp_targetILNS1_3genE5ELNS1_11target_archE942ELNS1_3gpuE9ELNS1_3repE0EEENS1_30default_config_static_selectorELNS0_4arch9wavefront6targetE0EEEvT1_.num_named_barrier, 0
	.set _ZN7rocprim17ROCPRIM_400000_NS6detail17trampoline_kernelINS0_14default_configENS1_35adjacent_difference_config_selectorILb1ElEEZNS1_24adjacent_difference_implIS3_Lb1ELb0EPlS7_ZN2at6native12_GLOBAL__N_124unique_dim_cuda_templateIbEESt5tupleIJNS8_6TensorESD_SD_EERKSD_lbbbEUlllE1_EE10hipError_tPvRmT2_T3_mT4_P12ihipStream_tbEUlT_E_NS1_11comp_targetILNS1_3genE5ELNS1_11target_archE942ELNS1_3gpuE9ELNS1_3repE0EEENS1_30default_config_static_selectorELNS0_4arch9wavefront6targetE0EEEvT1_.private_seg_size, 0
	.set _ZN7rocprim17ROCPRIM_400000_NS6detail17trampoline_kernelINS0_14default_configENS1_35adjacent_difference_config_selectorILb1ElEEZNS1_24adjacent_difference_implIS3_Lb1ELb0EPlS7_ZN2at6native12_GLOBAL__N_124unique_dim_cuda_templateIbEESt5tupleIJNS8_6TensorESD_SD_EERKSD_lbbbEUlllE1_EE10hipError_tPvRmT2_T3_mT4_P12ihipStream_tbEUlT_E_NS1_11comp_targetILNS1_3genE5ELNS1_11target_archE942ELNS1_3gpuE9ELNS1_3repE0EEENS1_30default_config_static_selectorELNS0_4arch9wavefront6targetE0EEEvT1_.uses_vcc, 0
	.set _ZN7rocprim17ROCPRIM_400000_NS6detail17trampoline_kernelINS0_14default_configENS1_35adjacent_difference_config_selectorILb1ElEEZNS1_24adjacent_difference_implIS3_Lb1ELb0EPlS7_ZN2at6native12_GLOBAL__N_124unique_dim_cuda_templateIbEESt5tupleIJNS8_6TensorESD_SD_EERKSD_lbbbEUlllE1_EE10hipError_tPvRmT2_T3_mT4_P12ihipStream_tbEUlT_E_NS1_11comp_targetILNS1_3genE5ELNS1_11target_archE942ELNS1_3gpuE9ELNS1_3repE0EEENS1_30default_config_static_selectorELNS0_4arch9wavefront6targetE0EEEvT1_.uses_flat_scratch, 0
	.set _ZN7rocprim17ROCPRIM_400000_NS6detail17trampoline_kernelINS0_14default_configENS1_35adjacent_difference_config_selectorILb1ElEEZNS1_24adjacent_difference_implIS3_Lb1ELb0EPlS7_ZN2at6native12_GLOBAL__N_124unique_dim_cuda_templateIbEESt5tupleIJNS8_6TensorESD_SD_EERKSD_lbbbEUlllE1_EE10hipError_tPvRmT2_T3_mT4_P12ihipStream_tbEUlT_E_NS1_11comp_targetILNS1_3genE5ELNS1_11target_archE942ELNS1_3gpuE9ELNS1_3repE0EEENS1_30default_config_static_selectorELNS0_4arch9wavefront6targetE0EEEvT1_.has_dyn_sized_stack, 0
	.set _ZN7rocprim17ROCPRIM_400000_NS6detail17trampoline_kernelINS0_14default_configENS1_35adjacent_difference_config_selectorILb1ElEEZNS1_24adjacent_difference_implIS3_Lb1ELb0EPlS7_ZN2at6native12_GLOBAL__N_124unique_dim_cuda_templateIbEESt5tupleIJNS8_6TensorESD_SD_EERKSD_lbbbEUlllE1_EE10hipError_tPvRmT2_T3_mT4_P12ihipStream_tbEUlT_E_NS1_11comp_targetILNS1_3genE5ELNS1_11target_archE942ELNS1_3gpuE9ELNS1_3repE0EEENS1_30default_config_static_selectorELNS0_4arch9wavefront6targetE0EEEvT1_.has_recursion, 0
	.set _ZN7rocprim17ROCPRIM_400000_NS6detail17trampoline_kernelINS0_14default_configENS1_35adjacent_difference_config_selectorILb1ElEEZNS1_24adjacent_difference_implIS3_Lb1ELb0EPlS7_ZN2at6native12_GLOBAL__N_124unique_dim_cuda_templateIbEESt5tupleIJNS8_6TensorESD_SD_EERKSD_lbbbEUlllE1_EE10hipError_tPvRmT2_T3_mT4_P12ihipStream_tbEUlT_E_NS1_11comp_targetILNS1_3genE5ELNS1_11target_archE942ELNS1_3gpuE9ELNS1_3repE0EEENS1_30default_config_static_selectorELNS0_4arch9wavefront6targetE0EEEvT1_.has_indirect_call, 0
	.section	.AMDGPU.csdata,"",@progbits
; Kernel info:
; codeLenInByte = 0
; TotalNumSgprs: 0
; NumVgprs: 0
; ScratchSize: 0
; MemoryBound: 0
; FloatMode: 240
; IeeeMode: 1
; LDSByteSize: 0 bytes/workgroup (compile time only)
; SGPRBlocks: 0
; VGPRBlocks: 0
; NumSGPRsForWavesPerEU: 1
; NumVGPRsForWavesPerEU: 1
; NamedBarCnt: 0
; Occupancy: 16
; WaveLimiterHint : 0
; COMPUTE_PGM_RSRC2:SCRATCH_EN: 0
; COMPUTE_PGM_RSRC2:USER_SGPR: 2
; COMPUTE_PGM_RSRC2:TRAP_HANDLER: 0
; COMPUTE_PGM_RSRC2:TGID_X_EN: 1
; COMPUTE_PGM_RSRC2:TGID_Y_EN: 0
; COMPUTE_PGM_RSRC2:TGID_Z_EN: 0
; COMPUTE_PGM_RSRC2:TIDIG_COMP_CNT: 0
	.section	.text._ZN7rocprim17ROCPRIM_400000_NS6detail17trampoline_kernelINS0_14default_configENS1_35adjacent_difference_config_selectorILb1ElEEZNS1_24adjacent_difference_implIS3_Lb1ELb0EPlS7_ZN2at6native12_GLOBAL__N_124unique_dim_cuda_templateIbEESt5tupleIJNS8_6TensorESD_SD_EERKSD_lbbbEUlllE1_EE10hipError_tPvRmT2_T3_mT4_P12ihipStream_tbEUlT_E_NS1_11comp_targetILNS1_3genE4ELNS1_11target_archE910ELNS1_3gpuE8ELNS1_3repE0EEENS1_30default_config_static_selectorELNS0_4arch9wavefront6targetE0EEEvT1_,"axG",@progbits,_ZN7rocprim17ROCPRIM_400000_NS6detail17trampoline_kernelINS0_14default_configENS1_35adjacent_difference_config_selectorILb1ElEEZNS1_24adjacent_difference_implIS3_Lb1ELb0EPlS7_ZN2at6native12_GLOBAL__N_124unique_dim_cuda_templateIbEESt5tupleIJNS8_6TensorESD_SD_EERKSD_lbbbEUlllE1_EE10hipError_tPvRmT2_T3_mT4_P12ihipStream_tbEUlT_E_NS1_11comp_targetILNS1_3genE4ELNS1_11target_archE910ELNS1_3gpuE8ELNS1_3repE0EEENS1_30default_config_static_selectorELNS0_4arch9wavefront6targetE0EEEvT1_,comdat
	.globl	_ZN7rocprim17ROCPRIM_400000_NS6detail17trampoline_kernelINS0_14default_configENS1_35adjacent_difference_config_selectorILb1ElEEZNS1_24adjacent_difference_implIS3_Lb1ELb0EPlS7_ZN2at6native12_GLOBAL__N_124unique_dim_cuda_templateIbEESt5tupleIJNS8_6TensorESD_SD_EERKSD_lbbbEUlllE1_EE10hipError_tPvRmT2_T3_mT4_P12ihipStream_tbEUlT_E_NS1_11comp_targetILNS1_3genE4ELNS1_11target_archE910ELNS1_3gpuE8ELNS1_3repE0EEENS1_30default_config_static_selectorELNS0_4arch9wavefront6targetE0EEEvT1_ ; -- Begin function _ZN7rocprim17ROCPRIM_400000_NS6detail17trampoline_kernelINS0_14default_configENS1_35adjacent_difference_config_selectorILb1ElEEZNS1_24adjacent_difference_implIS3_Lb1ELb0EPlS7_ZN2at6native12_GLOBAL__N_124unique_dim_cuda_templateIbEESt5tupleIJNS8_6TensorESD_SD_EERKSD_lbbbEUlllE1_EE10hipError_tPvRmT2_T3_mT4_P12ihipStream_tbEUlT_E_NS1_11comp_targetILNS1_3genE4ELNS1_11target_archE910ELNS1_3gpuE8ELNS1_3repE0EEENS1_30default_config_static_selectorELNS0_4arch9wavefront6targetE0EEEvT1_
	.p2align	8
	.type	_ZN7rocprim17ROCPRIM_400000_NS6detail17trampoline_kernelINS0_14default_configENS1_35adjacent_difference_config_selectorILb1ElEEZNS1_24adjacent_difference_implIS3_Lb1ELb0EPlS7_ZN2at6native12_GLOBAL__N_124unique_dim_cuda_templateIbEESt5tupleIJNS8_6TensorESD_SD_EERKSD_lbbbEUlllE1_EE10hipError_tPvRmT2_T3_mT4_P12ihipStream_tbEUlT_E_NS1_11comp_targetILNS1_3genE4ELNS1_11target_archE910ELNS1_3gpuE8ELNS1_3repE0EEENS1_30default_config_static_selectorELNS0_4arch9wavefront6targetE0EEEvT1_,@function
_ZN7rocprim17ROCPRIM_400000_NS6detail17trampoline_kernelINS0_14default_configENS1_35adjacent_difference_config_selectorILb1ElEEZNS1_24adjacent_difference_implIS3_Lb1ELb0EPlS7_ZN2at6native12_GLOBAL__N_124unique_dim_cuda_templateIbEESt5tupleIJNS8_6TensorESD_SD_EERKSD_lbbbEUlllE1_EE10hipError_tPvRmT2_T3_mT4_P12ihipStream_tbEUlT_E_NS1_11comp_targetILNS1_3genE4ELNS1_11target_archE910ELNS1_3gpuE8ELNS1_3repE0EEENS1_30default_config_static_selectorELNS0_4arch9wavefront6targetE0EEEvT1_: ; @_ZN7rocprim17ROCPRIM_400000_NS6detail17trampoline_kernelINS0_14default_configENS1_35adjacent_difference_config_selectorILb1ElEEZNS1_24adjacent_difference_implIS3_Lb1ELb0EPlS7_ZN2at6native12_GLOBAL__N_124unique_dim_cuda_templateIbEESt5tupleIJNS8_6TensorESD_SD_EERKSD_lbbbEUlllE1_EE10hipError_tPvRmT2_T3_mT4_P12ihipStream_tbEUlT_E_NS1_11comp_targetILNS1_3genE4ELNS1_11target_archE910ELNS1_3gpuE8ELNS1_3repE0EEENS1_30default_config_static_selectorELNS0_4arch9wavefront6targetE0EEEvT1_
; %bb.0:
	.section	.rodata,"a",@progbits
	.p2align	6, 0x0
	.amdhsa_kernel _ZN7rocprim17ROCPRIM_400000_NS6detail17trampoline_kernelINS0_14default_configENS1_35adjacent_difference_config_selectorILb1ElEEZNS1_24adjacent_difference_implIS3_Lb1ELb0EPlS7_ZN2at6native12_GLOBAL__N_124unique_dim_cuda_templateIbEESt5tupleIJNS8_6TensorESD_SD_EERKSD_lbbbEUlllE1_EE10hipError_tPvRmT2_T3_mT4_P12ihipStream_tbEUlT_E_NS1_11comp_targetILNS1_3genE4ELNS1_11target_archE910ELNS1_3gpuE8ELNS1_3repE0EEENS1_30default_config_static_selectorELNS0_4arch9wavefront6targetE0EEEvT1_
		.amdhsa_group_segment_fixed_size 0
		.amdhsa_private_segment_fixed_size 0
		.amdhsa_kernarg_size 64
		.amdhsa_user_sgpr_count 2
		.amdhsa_user_sgpr_dispatch_ptr 0
		.amdhsa_user_sgpr_queue_ptr 0
		.amdhsa_user_sgpr_kernarg_segment_ptr 1
		.amdhsa_user_sgpr_dispatch_id 0
		.amdhsa_user_sgpr_kernarg_preload_length 0
		.amdhsa_user_sgpr_kernarg_preload_offset 0
		.amdhsa_user_sgpr_private_segment_size 0
		.amdhsa_wavefront_size32 1
		.amdhsa_uses_dynamic_stack 0
		.amdhsa_enable_private_segment 0
		.amdhsa_system_sgpr_workgroup_id_x 1
		.amdhsa_system_sgpr_workgroup_id_y 0
		.amdhsa_system_sgpr_workgroup_id_z 0
		.amdhsa_system_sgpr_workgroup_info 0
		.amdhsa_system_vgpr_workitem_id 0
		.amdhsa_next_free_vgpr 1
		.amdhsa_next_free_sgpr 1
		.amdhsa_named_barrier_count 0
		.amdhsa_reserve_vcc 0
		.amdhsa_float_round_mode_32 0
		.amdhsa_float_round_mode_16_64 0
		.amdhsa_float_denorm_mode_32 3
		.amdhsa_float_denorm_mode_16_64 3
		.amdhsa_fp16_overflow 0
		.amdhsa_memory_ordered 1
		.amdhsa_forward_progress 1
		.amdhsa_inst_pref_size 0
		.amdhsa_round_robin_scheduling 0
		.amdhsa_exception_fp_ieee_invalid_op 0
		.amdhsa_exception_fp_denorm_src 0
		.amdhsa_exception_fp_ieee_div_zero 0
		.amdhsa_exception_fp_ieee_overflow 0
		.amdhsa_exception_fp_ieee_underflow 0
		.amdhsa_exception_fp_ieee_inexact 0
		.amdhsa_exception_int_div_zero 0
	.end_amdhsa_kernel
	.section	.text._ZN7rocprim17ROCPRIM_400000_NS6detail17trampoline_kernelINS0_14default_configENS1_35adjacent_difference_config_selectorILb1ElEEZNS1_24adjacent_difference_implIS3_Lb1ELb0EPlS7_ZN2at6native12_GLOBAL__N_124unique_dim_cuda_templateIbEESt5tupleIJNS8_6TensorESD_SD_EERKSD_lbbbEUlllE1_EE10hipError_tPvRmT2_T3_mT4_P12ihipStream_tbEUlT_E_NS1_11comp_targetILNS1_3genE4ELNS1_11target_archE910ELNS1_3gpuE8ELNS1_3repE0EEENS1_30default_config_static_selectorELNS0_4arch9wavefront6targetE0EEEvT1_,"axG",@progbits,_ZN7rocprim17ROCPRIM_400000_NS6detail17trampoline_kernelINS0_14default_configENS1_35adjacent_difference_config_selectorILb1ElEEZNS1_24adjacent_difference_implIS3_Lb1ELb0EPlS7_ZN2at6native12_GLOBAL__N_124unique_dim_cuda_templateIbEESt5tupleIJNS8_6TensorESD_SD_EERKSD_lbbbEUlllE1_EE10hipError_tPvRmT2_T3_mT4_P12ihipStream_tbEUlT_E_NS1_11comp_targetILNS1_3genE4ELNS1_11target_archE910ELNS1_3gpuE8ELNS1_3repE0EEENS1_30default_config_static_selectorELNS0_4arch9wavefront6targetE0EEEvT1_,comdat
.Lfunc_end1046:
	.size	_ZN7rocprim17ROCPRIM_400000_NS6detail17trampoline_kernelINS0_14default_configENS1_35adjacent_difference_config_selectorILb1ElEEZNS1_24adjacent_difference_implIS3_Lb1ELb0EPlS7_ZN2at6native12_GLOBAL__N_124unique_dim_cuda_templateIbEESt5tupleIJNS8_6TensorESD_SD_EERKSD_lbbbEUlllE1_EE10hipError_tPvRmT2_T3_mT4_P12ihipStream_tbEUlT_E_NS1_11comp_targetILNS1_3genE4ELNS1_11target_archE910ELNS1_3gpuE8ELNS1_3repE0EEENS1_30default_config_static_selectorELNS0_4arch9wavefront6targetE0EEEvT1_, .Lfunc_end1046-_ZN7rocprim17ROCPRIM_400000_NS6detail17trampoline_kernelINS0_14default_configENS1_35adjacent_difference_config_selectorILb1ElEEZNS1_24adjacent_difference_implIS3_Lb1ELb0EPlS7_ZN2at6native12_GLOBAL__N_124unique_dim_cuda_templateIbEESt5tupleIJNS8_6TensorESD_SD_EERKSD_lbbbEUlllE1_EE10hipError_tPvRmT2_T3_mT4_P12ihipStream_tbEUlT_E_NS1_11comp_targetILNS1_3genE4ELNS1_11target_archE910ELNS1_3gpuE8ELNS1_3repE0EEENS1_30default_config_static_selectorELNS0_4arch9wavefront6targetE0EEEvT1_
                                        ; -- End function
	.set _ZN7rocprim17ROCPRIM_400000_NS6detail17trampoline_kernelINS0_14default_configENS1_35adjacent_difference_config_selectorILb1ElEEZNS1_24adjacent_difference_implIS3_Lb1ELb0EPlS7_ZN2at6native12_GLOBAL__N_124unique_dim_cuda_templateIbEESt5tupleIJNS8_6TensorESD_SD_EERKSD_lbbbEUlllE1_EE10hipError_tPvRmT2_T3_mT4_P12ihipStream_tbEUlT_E_NS1_11comp_targetILNS1_3genE4ELNS1_11target_archE910ELNS1_3gpuE8ELNS1_3repE0EEENS1_30default_config_static_selectorELNS0_4arch9wavefront6targetE0EEEvT1_.num_vgpr, 0
	.set _ZN7rocprim17ROCPRIM_400000_NS6detail17trampoline_kernelINS0_14default_configENS1_35adjacent_difference_config_selectorILb1ElEEZNS1_24adjacent_difference_implIS3_Lb1ELb0EPlS7_ZN2at6native12_GLOBAL__N_124unique_dim_cuda_templateIbEESt5tupleIJNS8_6TensorESD_SD_EERKSD_lbbbEUlllE1_EE10hipError_tPvRmT2_T3_mT4_P12ihipStream_tbEUlT_E_NS1_11comp_targetILNS1_3genE4ELNS1_11target_archE910ELNS1_3gpuE8ELNS1_3repE0EEENS1_30default_config_static_selectorELNS0_4arch9wavefront6targetE0EEEvT1_.num_agpr, 0
	.set _ZN7rocprim17ROCPRIM_400000_NS6detail17trampoline_kernelINS0_14default_configENS1_35adjacent_difference_config_selectorILb1ElEEZNS1_24adjacent_difference_implIS3_Lb1ELb0EPlS7_ZN2at6native12_GLOBAL__N_124unique_dim_cuda_templateIbEESt5tupleIJNS8_6TensorESD_SD_EERKSD_lbbbEUlllE1_EE10hipError_tPvRmT2_T3_mT4_P12ihipStream_tbEUlT_E_NS1_11comp_targetILNS1_3genE4ELNS1_11target_archE910ELNS1_3gpuE8ELNS1_3repE0EEENS1_30default_config_static_selectorELNS0_4arch9wavefront6targetE0EEEvT1_.numbered_sgpr, 0
	.set _ZN7rocprim17ROCPRIM_400000_NS6detail17trampoline_kernelINS0_14default_configENS1_35adjacent_difference_config_selectorILb1ElEEZNS1_24adjacent_difference_implIS3_Lb1ELb0EPlS7_ZN2at6native12_GLOBAL__N_124unique_dim_cuda_templateIbEESt5tupleIJNS8_6TensorESD_SD_EERKSD_lbbbEUlllE1_EE10hipError_tPvRmT2_T3_mT4_P12ihipStream_tbEUlT_E_NS1_11comp_targetILNS1_3genE4ELNS1_11target_archE910ELNS1_3gpuE8ELNS1_3repE0EEENS1_30default_config_static_selectorELNS0_4arch9wavefront6targetE0EEEvT1_.num_named_barrier, 0
	.set _ZN7rocprim17ROCPRIM_400000_NS6detail17trampoline_kernelINS0_14default_configENS1_35adjacent_difference_config_selectorILb1ElEEZNS1_24adjacent_difference_implIS3_Lb1ELb0EPlS7_ZN2at6native12_GLOBAL__N_124unique_dim_cuda_templateIbEESt5tupleIJNS8_6TensorESD_SD_EERKSD_lbbbEUlllE1_EE10hipError_tPvRmT2_T3_mT4_P12ihipStream_tbEUlT_E_NS1_11comp_targetILNS1_3genE4ELNS1_11target_archE910ELNS1_3gpuE8ELNS1_3repE0EEENS1_30default_config_static_selectorELNS0_4arch9wavefront6targetE0EEEvT1_.private_seg_size, 0
	.set _ZN7rocprim17ROCPRIM_400000_NS6detail17trampoline_kernelINS0_14default_configENS1_35adjacent_difference_config_selectorILb1ElEEZNS1_24adjacent_difference_implIS3_Lb1ELb0EPlS7_ZN2at6native12_GLOBAL__N_124unique_dim_cuda_templateIbEESt5tupleIJNS8_6TensorESD_SD_EERKSD_lbbbEUlllE1_EE10hipError_tPvRmT2_T3_mT4_P12ihipStream_tbEUlT_E_NS1_11comp_targetILNS1_3genE4ELNS1_11target_archE910ELNS1_3gpuE8ELNS1_3repE0EEENS1_30default_config_static_selectorELNS0_4arch9wavefront6targetE0EEEvT1_.uses_vcc, 0
	.set _ZN7rocprim17ROCPRIM_400000_NS6detail17trampoline_kernelINS0_14default_configENS1_35adjacent_difference_config_selectorILb1ElEEZNS1_24adjacent_difference_implIS3_Lb1ELb0EPlS7_ZN2at6native12_GLOBAL__N_124unique_dim_cuda_templateIbEESt5tupleIJNS8_6TensorESD_SD_EERKSD_lbbbEUlllE1_EE10hipError_tPvRmT2_T3_mT4_P12ihipStream_tbEUlT_E_NS1_11comp_targetILNS1_3genE4ELNS1_11target_archE910ELNS1_3gpuE8ELNS1_3repE0EEENS1_30default_config_static_selectorELNS0_4arch9wavefront6targetE0EEEvT1_.uses_flat_scratch, 0
	.set _ZN7rocprim17ROCPRIM_400000_NS6detail17trampoline_kernelINS0_14default_configENS1_35adjacent_difference_config_selectorILb1ElEEZNS1_24adjacent_difference_implIS3_Lb1ELb0EPlS7_ZN2at6native12_GLOBAL__N_124unique_dim_cuda_templateIbEESt5tupleIJNS8_6TensorESD_SD_EERKSD_lbbbEUlllE1_EE10hipError_tPvRmT2_T3_mT4_P12ihipStream_tbEUlT_E_NS1_11comp_targetILNS1_3genE4ELNS1_11target_archE910ELNS1_3gpuE8ELNS1_3repE0EEENS1_30default_config_static_selectorELNS0_4arch9wavefront6targetE0EEEvT1_.has_dyn_sized_stack, 0
	.set _ZN7rocprim17ROCPRIM_400000_NS6detail17trampoline_kernelINS0_14default_configENS1_35adjacent_difference_config_selectorILb1ElEEZNS1_24adjacent_difference_implIS3_Lb1ELb0EPlS7_ZN2at6native12_GLOBAL__N_124unique_dim_cuda_templateIbEESt5tupleIJNS8_6TensorESD_SD_EERKSD_lbbbEUlllE1_EE10hipError_tPvRmT2_T3_mT4_P12ihipStream_tbEUlT_E_NS1_11comp_targetILNS1_3genE4ELNS1_11target_archE910ELNS1_3gpuE8ELNS1_3repE0EEENS1_30default_config_static_selectorELNS0_4arch9wavefront6targetE0EEEvT1_.has_recursion, 0
	.set _ZN7rocprim17ROCPRIM_400000_NS6detail17trampoline_kernelINS0_14default_configENS1_35adjacent_difference_config_selectorILb1ElEEZNS1_24adjacent_difference_implIS3_Lb1ELb0EPlS7_ZN2at6native12_GLOBAL__N_124unique_dim_cuda_templateIbEESt5tupleIJNS8_6TensorESD_SD_EERKSD_lbbbEUlllE1_EE10hipError_tPvRmT2_T3_mT4_P12ihipStream_tbEUlT_E_NS1_11comp_targetILNS1_3genE4ELNS1_11target_archE910ELNS1_3gpuE8ELNS1_3repE0EEENS1_30default_config_static_selectorELNS0_4arch9wavefront6targetE0EEEvT1_.has_indirect_call, 0
	.section	.AMDGPU.csdata,"",@progbits
; Kernel info:
; codeLenInByte = 0
; TotalNumSgprs: 0
; NumVgprs: 0
; ScratchSize: 0
; MemoryBound: 0
; FloatMode: 240
; IeeeMode: 1
; LDSByteSize: 0 bytes/workgroup (compile time only)
; SGPRBlocks: 0
; VGPRBlocks: 0
; NumSGPRsForWavesPerEU: 1
; NumVGPRsForWavesPerEU: 1
; NamedBarCnt: 0
; Occupancy: 16
; WaveLimiterHint : 0
; COMPUTE_PGM_RSRC2:SCRATCH_EN: 0
; COMPUTE_PGM_RSRC2:USER_SGPR: 2
; COMPUTE_PGM_RSRC2:TRAP_HANDLER: 0
; COMPUTE_PGM_RSRC2:TGID_X_EN: 1
; COMPUTE_PGM_RSRC2:TGID_Y_EN: 0
; COMPUTE_PGM_RSRC2:TGID_Z_EN: 0
; COMPUTE_PGM_RSRC2:TIDIG_COMP_CNT: 0
	.section	.text._ZN7rocprim17ROCPRIM_400000_NS6detail17trampoline_kernelINS0_14default_configENS1_35adjacent_difference_config_selectorILb1ElEEZNS1_24adjacent_difference_implIS3_Lb1ELb0EPlS7_ZN2at6native12_GLOBAL__N_124unique_dim_cuda_templateIbEESt5tupleIJNS8_6TensorESD_SD_EERKSD_lbbbEUlllE1_EE10hipError_tPvRmT2_T3_mT4_P12ihipStream_tbEUlT_E_NS1_11comp_targetILNS1_3genE3ELNS1_11target_archE908ELNS1_3gpuE7ELNS1_3repE0EEENS1_30default_config_static_selectorELNS0_4arch9wavefront6targetE0EEEvT1_,"axG",@progbits,_ZN7rocprim17ROCPRIM_400000_NS6detail17trampoline_kernelINS0_14default_configENS1_35adjacent_difference_config_selectorILb1ElEEZNS1_24adjacent_difference_implIS3_Lb1ELb0EPlS7_ZN2at6native12_GLOBAL__N_124unique_dim_cuda_templateIbEESt5tupleIJNS8_6TensorESD_SD_EERKSD_lbbbEUlllE1_EE10hipError_tPvRmT2_T3_mT4_P12ihipStream_tbEUlT_E_NS1_11comp_targetILNS1_3genE3ELNS1_11target_archE908ELNS1_3gpuE7ELNS1_3repE0EEENS1_30default_config_static_selectorELNS0_4arch9wavefront6targetE0EEEvT1_,comdat
	.globl	_ZN7rocprim17ROCPRIM_400000_NS6detail17trampoline_kernelINS0_14default_configENS1_35adjacent_difference_config_selectorILb1ElEEZNS1_24adjacent_difference_implIS3_Lb1ELb0EPlS7_ZN2at6native12_GLOBAL__N_124unique_dim_cuda_templateIbEESt5tupleIJNS8_6TensorESD_SD_EERKSD_lbbbEUlllE1_EE10hipError_tPvRmT2_T3_mT4_P12ihipStream_tbEUlT_E_NS1_11comp_targetILNS1_3genE3ELNS1_11target_archE908ELNS1_3gpuE7ELNS1_3repE0EEENS1_30default_config_static_selectorELNS0_4arch9wavefront6targetE0EEEvT1_ ; -- Begin function _ZN7rocprim17ROCPRIM_400000_NS6detail17trampoline_kernelINS0_14default_configENS1_35adjacent_difference_config_selectorILb1ElEEZNS1_24adjacent_difference_implIS3_Lb1ELb0EPlS7_ZN2at6native12_GLOBAL__N_124unique_dim_cuda_templateIbEESt5tupleIJNS8_6TensorESD_SD_EERKSD_lbbbEUlllE1_EE10hipError_tPvRmT2_T3_mT4_P12ihipStream_tbEUlT_E_NS1_11comp_targetILNS1_3genE3ELNS1_11target_archE908ELNS1_3gpuE7ELNS1_3repE0EEENS1_30default_config_static_selectorELNS0_4arch9wavefront6targetE0EEEvT1_
	.p2align	8
	.type	_ZN7rocprim17ROCPRIM_400000_NS6detail17trampoline_kernelINS0_14default_configENS1_35adjacent_difference_config_selectorILb1ElEEZNS1_24adjacent_difference_implIS3_Lb1ELb0EPlS7_ZN2at6native12_GLOBAL__N_124unique_dim_cuda_templateIbEESt5tupleIJNS8_6TensorESD_SD_EERKSD_lbbbEUlllE1_EE10hipError_tPvRmT2_T3_mT4_P12ihipStream_tbEUlT_E_NS1_11comp_targetILNS1_3genE3ELNS1_11target_archE908ELNS1_3gpuE7ELNS1_3repE0EEENS1_30default_config_static_selectorELNS0_4arch9wavefront6targetE0EEEvT1_,@function
_ZN7rocprim17ROCPRIM_400000_NS6detail17trampoline_kernelINS0_14default_configENS1_35adjacent_difference_config_selectorILb1ElEEZNS1_24adjacent_difference_implIS3_Lb1ELb0EPlS7_ZN2at6native12_GLOBAL__N_124unique_dim_cuda_templateIbEESt5tupleIJNS8_6TensorESD_SD_EERKSD_lbbbEUlllE1_EE10hipError_tPvRmT2_T3_mT4_P12ihipStream_tbEUlT_E_NS1_11comp_targetILNS1_3genE3ELNS1_11target_archE908ELNS1_3gpuE7ELNS1_3repE0EEENS1_30default_config_static_selectorELNS0_4arch9wavefront6targetE0EEEvT1_: ; @_ZN7rocprim17ROCPRIM_400000_NS6detail17trampoline_kernelINS0_14default_configENS1_35adjacent_difference_config_selectorILb1ElEEZNS1_24adjacent_difference_implIS3_Lb1ELb0EPlS7_ZN2at6native12_GLOBAL__N_124unique_dim_cuda_templateIbEESt5tupleIJNS8_6TensorESD_SD_EERKSD_lbbbEUlllE1_EE10hipError_tPvRmT2_T3_mT4_P12ihipStream_tbEUlT_E_NS1_11comp_targetILNS1_3genE3ELNS1_11target_archE908ELNS1_3gpuE7ELNS1_3repE0EEENS1_30default_config_static_selectorELNS0_4arch9wavefront6targetE0EEEvT1_
; %bb.0:
	.section	.rodata,"a",@progbits
	.p2align	6, 0x0
	.amdhsa_kernel _ZN7rocprim17ROCPRIM_400000_NS6detail17trampoline_kernelINS0_14default_configENS1_35adjacent_difference_config_selectorILb1ElEEZNS1_24adjacent_difference_implIS3_Lb1ELb0EPlS7_ZN2at6native12_GLOBAL__N_124unique_dim_cuda_templateIbEESt5tupleIJNS8_6TensorESD_SD_EERKSD_lbbbEUlllE1_EE10hipError_tPvRmT2_T3_mT4_P12ihipStream_tbEUlT_E_NS1_11comp_targetILNS1_3genE3ELNS1_11target_archE908ELNS1_3gpuE7ELNS1_3repE0EEENS1_30default_config_static_selectorELNS0_4arch9wavefront6targetE0EEEvT1_
		.amdhsa_group_segment_fixed_size 0
		.amdhsa_private_segment_fixed_size 0
		.amdhsa_kernarg_size 64
		.amdhsa_user_sgpr_count 2
		.amdhsa_user_sgpr_dispatch_ptr 0
		.amdhsa_user_sgpr_queue_ptr 0
		.amdhsa_user_sgpr_kernarg_segment_ptr 1
		.amdhsa_user_sgpr_dispatch_id 0
		.amdhsa_user_sgpr_kernarg_preload_length 0
		.amdhsa_user_sgpr_kernarg_preload_offset 0
		.amdhsa_user_sgpr_private_segment_size 0
		.amdhsa_wavefront_size32 1
		.amdhsa_uses_dynamic_stack 0
		.amdhsa_enable_private_segment 0
		.amdhsa_system_sgpr_workgroup_id_x 1
		.amdhsa_system_sgpr_workgroup_id_y 0
		.amdhsa_system_sgpr_workgroup_id_z 0
		.amdhsa_system_sgpr_workgroup_info 0
		.amdhsa_system_vgpr_workitem_id 0
		.amdhsa_next_free_vgpr 1
		.amdhsa_next_free_sgpr 1
		.amdhsa_named_barrier_count 0
		.amdhsa_reserve_vcc 0
		.amdhsa_float_round_mode_32 0
		.amdhsa_float_round_mode_16_64 0
		.amdhsa_float_denorm_mode_32 3
		.amdhsa_float_denorm_mode_16_64 3
		.amdhsa_fp16_overflow 0
		.amdhsa_memory_ordered 1
		.amdhsa_forward_progress 1
		.amdhsa_inst_pref_size 0
		.amdhsa_round_robin_scheduling 0
		.amdhsa_exception_fp_ieee_invalid_op 0
		.amdhsa_exception_fp_denorm_src 0
		.amdhsa_exception_fp_ieee_div_zero 0
		.amdhsa_exception_fp_ieee_overflow 0
		.amdhsa_exception_fp_ieee_underflow 0
		.amdhsa_exception_fp_ieee_inexact 0
		.amdhsa_exception_int_div_zero 0
	.end_amdhsa_kernel
	.section	.text._ZN7rocprim17ROCPRIM_400000_NS6detail17trampoline_kernelINS0_14default_configENS1_35adjacent_difference_config_selectorILb1ElEEZNS1_24adjacent_difference_implIS3_Lb1ELb0EPlS7_ZN2at6native12_GLOBAL__N_124unique_dim_cuda_templateIbEESt5tupleIJNS8_6TensorESD_SD_EERKSD_lbbbEUlllE1_EE10hipError_tPvRmT2_T3_mT4_P12ihipStream_tbEUlT_E_NS1_11comp_targetILNS1_3genE3ELNS1_11target_archE908ELNS1_3gpuE7ELNS1_3repE0EEENS1_30default_config_static_selectorELNS0_4arch9wavefront6targetE0EEEvT1_,"axG",@progbits,_ZN7rocprim17ROCPRIM_400000_NS6detail17trampoline_kernelINS0_14default_configENS1_35adjacent_difference_config_selectorILb1ElEEZNS1_24adjacent_difference_implIS3_Lb1ELb0EPlS7_ZN2at6native12_GLOBAL__N_124unique_dim_cuda_templateIbEESt5tupleIJNS8_6TensorESD_SD_EERKSD_lbbbEUlllE1_EE10hipError_tPvRmT2_T3_mT4_P12ihipStream_tbEUlT_E_NS1_11comp_targetILNS1_3genE3ELNS1_11target_archE908ELNS1_3gpuE7ELNS1_3repE0EEENS1_30default_config_static_selectorELNS0_4arch9wavefront6targetE0EEEvT1_,comdat
.Lfunc_end1047:
	.size	_ZN7rocprim17ROCPRIM_400000_NS6detail17trampoline_kernelINS0_14default_configENS1_35adjacent_difference_config_selectorILb1ElEEZNS1_24adjacent_difference_implIS3_Lb1ELb0EPlS7_ZN2at6native12_GLOBAL__N_124unique_dim_cuda_templateIbEESt5tupleIJNS8_6TensorESD_SD_EERKSD_lbbbEUlllE1_EE10hipError_tPvRmT2_T3_mT4_P12ihipStream_tbEUlT_E_NS1_11comp_targetILNS1_3genE3ELNS1_11target_archE908ELNS1_3gpuE7ELNS1_3repE0EEENS1_30default_config_static_selectorELNS0_4arch9wavefront6targetE0EEEvT1_, .Lfunc_end1047-_ZN7rocprim17ROCPRIM_400000_NS6detail17trampoline_kernelINS0_14default_configENS1_35adjacent_difference_config_selectorILb1ElEEZNS1_24adjacent_difference_implIS3_Lb1ELb0EPlS7_ZN2at6native12_GLOBAL__N_124unique_dim_cuda_templateIbEESt5tupleIJNS8_6TensorESD_SD_EERKSD_lbbbEUlllE1_EE10hipError_tPvRmT2_T3_mT4_P12ihipStream_tbEUlT_E_NS1_11comp_targetILNS1_3genE3ELNS1_11target_archE908ELNS1_3gpuE7ELNS1_3repE0EEENS1_30default_config_static_selectorELNS0_4arch9wavefront6targetE0EEEvT1_
                                        ; -- End function
	.set _ZN7rocprim17ROCPRIM_400000_NS6detail17trampoline_kernelINS0_14default_configENS1_35adjacent_difference_config_selectorILb1ElEEZNS1_24adjacent_difference_implIS3_Lb1ELb0EPlS7_ZN2at6native12_GLOBAL__N_124unique_dim_cuda_templateIbEESt5tupleIJNS8_6TensorESD_SD_EERKSD_lbbbEUlllE1_EE10hipError_tPvRmT2_T3_mT4_P12ihipStream_tbEUlT_E_NS1_11comp_targetILNS1_3genE3ELNS1_11target_archE908ELNS1_3gpuE7ELNS1_3repE0EEENS1_30default_config_static_selectorELNS0_4arch9wavefront6targetE0EEEvT1_.num_vgpr, 0
	.set _ZN7rocprim17ROCPRIM_400000_NS6detail17trampoline_kernelINS0_14default_configENS1_35adjacent_difference_config_selectorILb1ElEEZNS1_24adjacent_difference_implIS3_Lb1ELb0EPlS7_ZN2at6native12_GLOBAL__N_124unique_dim_cuda_templateIbEESt5tupleIJNS8_6TensorESD_SD_EERKSD_lbbbEUlllE1_EE10hipError_tPvRmT2_T3_mT4_P12ihipStream_tbEUlT_E_NS1_11comp_targetILNS1_3genE3ELNS1_11target_archE908ELNS1_3gpuE7ELNS1_3repE0EEENS1_30default_config_static_selectorELNS0_4arch9wavefront6targetE0EEEvT1_.num_agpr, 0
	.set _ZN7rocprim17ROCPRIM_400000_NS6detail17trampoline_kernelINS0_14default_configENS1_35adjacent_difference_config_selectorILb1ElEEZNS1_24adjacent_difference_implIS3_Lb1ELb0EPlS7_ZN2at6native12_GLOBAL__N_124unique_dim_cuda_templateIbEESt5tupleIJNS8_6TensorESD_SD_EERKSD_lbbbEUlllE1_EE10hipError_tPvRmT2_T3_mT4_P12ihipStream_tbEUlT_E_NS1_11comp_targetILNS1_3genE3ELNS1_11target_archE908ELNS1_3gpuE7ELNS1_3repE0EEENS1_30default_config_static_selectorELNS0_4arch9wavefront6targetE0EEEvT1_.numbered_sgpr, 0
	.set _ZN7rocprim17ROCPRIM_400000_NS6detail17trampoline_kernelINS0_14default_configENS1_35adjacent_difference_config_selectorILb1ElEEZNS1_24adjacent_difference_implIS3_Lb1ELb0EPlS7_ZN2at6native12_GLOBAL__N_124unique_dim_cuda_templateIbEESt5tupleIJNS8_6TensorESD_SD_EERKSD_lbbbEUlllE1_EE10hipError_tPvRmT2_T3_mT4_P12ihipStream_tbEUlT_E_NS1_11comp_targetILNS1_3genE3ELNS1_11target_archE908ELNS1_3gpuE7ELNS1_3repE0EEENS1_30default_config_static_selectorELNS0_4arch9wavefront6targetE0EEEvT1_.num_named_barrier, 0
	.set _ZN7rocprim17ROCPRIM_400000_NS6detail17trampoline_kernelINS0_14default_configENS1_35adjacent_difference_config_selectorILb1ElEEZNS1_24adjacent_difference_implIS3_Lb1ELb0EPlS7_ZN2at6native12_GLOBAL__N_124unique_dim_cuda_templateIbEESt5tupleIJNS8_6TensorESD_SD_EERKSD_lbbbEUlllE1_EE10hipError_tPvRmT2_T3_mT4_P12ihipStream_tbEUlT_E_NS1_11comp_targetILNS1_3genE3ELNS1_11target_archE908ELNS1_3gpuE7ELNS1_3repE0EEENS1_30default_config_static_selectorELNS0_4arch9wavefront6targetE0EEEvT1_.private_seg_size, 0
	.set _ZN7rocprim17ROCPRIM_400000_NS6detail17trampoline_kernelINS0_14default_configENS1_35adjacent_difference_config_selectorILb1ElEEZNS1_24adjacent_difference_implIS3_Lb1ELb0EPlS7_ZN2at6native12_GLOBAL__N_124unique_dim_cuda_templateIbEESt5tupleIJNS8_6TensorESD_SD_EERKSD_lbbbEUlllE1_EE10hipError_tPvRmT2_T3_mT4_P12ihipStream_tbEUlT_E_NS1_11comp_targetILNS1_3genE3ELNS1_11target_archE908ELNS1_3gpuE7ELNS1_3repE0EEENS1_30default_config_static_selectorELNS0_4arch9wavefront6targetE0EEEvT1_.uses_vcc, 0
	.set _ZN7rocprim17ROCPRIM_400000_NS6detail17trampoline_kernelINS0_14default_configENS1_35adjacent_difference_config_selectorILb1ElEEZNS1_24adjacent_difference_implIS3_Lb1ELb0EPlS7_ZN2at6native12_GLOBAL__N_124unique_dim_cuda_templateIbEESt5tupleIJNS8_6TensorESD_SD_EERKSD_lbbbEUlllE1_EE10hipError_tPvRmT2_T3_mT4_P12ihipStream_tbEUlT_E_NS1_11comp_targetILNS1_3genE3ELNS1_11target_archE908ELNS1_3gpuE7ELNS1_3repE0EEENS1_30default_config_static_selectorELNS0_4arch9wavefront6targetE0EEEvT1_.uses_flat_scratch, 0
	.set _ZN7rocprim17ROCPRIM_400000_NS6detail17trampoline_kernelINS0_14default_configENS1_35adjacent_difference_config_selectorILb1ElEEZNS1_24adjacent_difference_implIS3_Lb1ELb0EPlS7_ZN2at6native12_GLOBAL__N_124unique_dim_cuda_templateIbEESt5tupleIJNS8_6TensorESD_SD_EERKSD_lbbbEUlllE1_EE10hipError_tPvRmT2_T3_mT4_P12ihipStream_tbEUlT_E_NS1_11comp_targetILNS1_3genE3ELNS1_11target_archE908ELNS1_3gpuE7ELNS1_3repE0EEENS1_30default_config_static_selectorELNS0_4arch9wavefront6targetE0EEEvT1_.has_dyn_sized_stack, 0
	.set _ZN7rocprim17ROCPRIM_400000_NS6detail17trampoline_kernelINS0_14default_configENS1_35adjacent_difference_config_selectorILb1ElEEZNS1_24adjacent_difference_implIS3_Lb1ELb0EPlS7_ZN2at6native12_GLOBAL__N_124unique_dim_cuda_templateIbEESt5tupleIJNS8_6TensorESD_SD_EERKSD_lbbbEUlllE1_EE10hipError_tPvRmT2_T3_mT4_P12ihipStream_tbEUlT_E_NS1_11comp_targetILNS1_3genE3ELNS1_11target_archE908ELNS1_3gpuE7ELNS1_3repE0EEENS1_30default_config_static_selectorELNS0_4arch9wavefront6targetE0EEEvT1_.has_recursion, 0
	.set _ZN7rocprim17ROCPRIM_400000_NS6detail17trampoline_kernelINS0_14default_configENS1_35adjacent_difference_config_selectorILb1ElEEZNS1_24adjacent_difference_implIS3_Lb1ELb0EPlS7_ZN2at6native12_GLOBAL__N_124unique_dim_cuda_templateIbEESt5tupleIJNS8_6TensorESD_SD_EERKSD_lbbbEUlllE1_EE10hipError_tPvRmT2_T3_mT4_P12ihipStream_tbEUlT_E_NS1_11comp_targetILNS1_3genE3ELNS1_11target_archE908ELNS1_3gpuE7ELNS1_3repE0EEENS1_30default_config_static_selectorELNS0_4arch9wavefront6targetE0EEEvT1_.has_indirect_call, 0
	.section	.AMDGPU.csdata,"",@progbits
; Kernel info:
; codeLenInByte = 0
; TotalNumSgprs: 0
; NumVgprs: 0
; ScratchSize: 0
; MemoryBound: 0
; FloatMode: 240
; IeeeMode: 1
; LDSByteSize: 0 bytes/workgroup (compile time only)
; SGPRBlocks: 0
; VGPRBlocks: 0
; NumSGPRsForWavesPerEU: 1
; NumVGPRsForWavesPerEU: 1
; NamedBarCnt: 0
; Occupancy: 16
; WaveLimiterHint : 0
; COMPUTE_PGM_RSRC2:SCRATCH_EN: 0
; COMPUTE_PGM_RSRC2:USER_SGPR: 2
; COMPUTE_PGM_RSRC2:TRAP_HANDLER: 0
; COMPUTE_PGM_RSRC2:TGID_X_EN: 1
; COMPUTE_PGM_RSRC2:TGID_Y_EN: 0
; COMPUTE_PGM_RSRC2:TGID_Z_EN: 0
; COMPUTE_PGM_RSRC2:TIDIG_COMP_CNT: 0
	.section	.text._ZN7rocprim17ROCPRIM_400000_NS6detail17trampoline_kernelINS0_14default_configENS1_35adjacent_difference_config_selectorILb1ElEEZNS1_24adjacent_difference_implIS3_Lb1ELb0EPlS7_ZN2at6native12_GLOBAL__N_124unique_dim_cuda_templateIbEESt5tupleIJNS8_6TensorESD_SD_EERKSD_lbbbEUlllE1_EE10hipError_tPvRmT2_T3_mT4_P12ihipStream_tbEUlT_E_NS1_11comp_targetILNS1_3genE2ELNS1_11target_archE906ELNS1_3gpuE6ELNS1_3repE0EEENS1_30default_config_static_selectorELNS0_4arch9wavefront6targetE0EEEvT1_,"axG",@progbits,_ZN7rocprim17ROCPRIM_400000_NS6detail17trampoline_kernelINS0_14default_configENS1_35adjacent_difference_config_selectorILb1ElEEZNS1_24adjacent_difference_implIS3_Lb1ELb0EPlS7_ZN2at6native12_GLOBAL__N_124unique_dim_cuda_templateIbEESt5tupleIJNS8_6TensorESD_SD_EERKSD_lbbbEUlllE1_EE10hipError_tPvRmT2_T3_mT4_P12ihipStream_tbEUlT_E_NS1_11comp_targetILNS1_3genE2ELNS1_11target_archE906ELNS1_3gpuE6ELNS1_3repE0EEENS1_30default_config_static_selectorELNS0_4arch9wavefront6targetE0EEEvT1_,comdat
	.globl	_ZN7rocprim17ROCPRIM_400000_NS6detail17trampoline_kernelINS0_14default_configENS1_35adjacent_difference_config_selectorILb1ElEEZNS1_24adjacent_difference_implIS3_Lb1ELb0EPlS7_ZN2at6native12_GLOBAL__N_124unique_dim_cuda_templateIbEESt5tupleIJNS8_6TensorESD_SD_EERKSD_lbbbEUlllE1_EE10hipError_tPvRmT2_T3_mT4_P12ihipStream_tbEUlT_E_NS1_11comp_targetILNS1_3genE2ELNS1_11target_archE906ELNS1_3gpuE6ELNS1_3repE0EEENS1_30default_config_static_selectorELNS0_4arch9wavefront6targetE0EEEvT1_ ; -- Begin function _ZN7rocprim17ROCPRIM_400000_NS6detail17trampoline_kernelINS0_14default_configENS1_35adjacent_difference_config_selectorILb1ElEEZNS1_24adjacent_difference_implIS3_Lb1ELb0EPlS7_ZN2at6native12_GLOBAL__N_124unique_dim_cuda_templateIbEESt5tupleIJNS8_6TensorESD_SD_EERKSD_lbbbEUlllE1_EE10hipError_tPvRmT2_T3_mT4_P12ihipStream_tbEUlT_E_NS1_11comp_targetILNS1_3genE2ELNS1_11target_archE906ELNS1_3gpuE6ELNS1_3repE0EEENS1_30default_config_static_selectorELNS0_4arch9wavefront6targetE0EEEvT1_
	.p2align	8
	.type	_ZN7rocprim17ROCPRIM_400000_NS6detail17trampoline_kernelINS0_14default_configENS1_35adjacent_difference_config_selectorILb1ElEEZNS1_24adjacent_difference_implIS3_Lb1ELb0EPlS7_ZN2at6native12_GLOBAL__N_124unique_dim_cuda_templateIbEESt5tupleIJNS8_6TensorESD_SD_EERKSD_lbbbEUlllE1_EE10hipError_tPvRmT2_T3_mT4_P12ihipStream_tbEUlT_E_NS1_11comp_targetILNS1_3genE2ELNS1_11target_archE906ELNS1_3gpuE6ELNS1_3repE0EEENS1_30default_config_static_selectorELNS0_4arch9wavefront6targetE0EEEvT1_,@function
_ZN7rocprim17ROCPRIM_400000_NS6detail17trampoline_kernelINS0_14default_configENS1_35adjacent_difference_config_selectorILb1ElEEZNS1_24adjacent_difference_implIS3_Lb1ELb0EPlS7_ZN2at6native12_GLOBAL__N_124unique_dim_cuda_templateIbEESt5tupleIJNS8_6TensorESD_SD_EERKSD_lbbbEUlllE1_EE10hipError_tPvRmT2_T3_mT4_P12ihipStream_tbEUlT_E_NS1_11comp_targetILNS1_3genE2ELNS1_11target_archE906ELNS1_3gpuE6ELNS1_3repE0EEENS1_30default_config_static_selectorELNS0_4arch9wavefront6targetE0EEEvT1_: ; @_ZN7rocprim17ROCPRIM_400000_NS6detail17trampoline_kernelINS0_14default_configENS1_35adjacent_difference_config_selectorILb1ElEEZNS1_24adjacent_difference_implIS3_Lb1ELb0EPlS7_ZN2at6native12_GLOBAL__N_124unique_dim_cuda_templateIbEESt5tupleIJNS8_6TensorESD_SD_EERKSD_lbbbEUlllE1_EE10hipError_tPvRmT2_T3_mT4_P12ihipStream_tbEUlT_E_NS1_11comp_targetILNS1_3genE2ELNS1_11target_archE906ELNS1_3gpuE6ELNS1_3repE0EEENS1_30default_config_static_selectorELNS0_4arch9wavefront6targetE0EEEvT1_
; %bb.0:
	.section	.rodata,"a",@progbits
	.p2align	6, 0x0
	.amdhsa_kernel _ZN7rocprim17ROCPRIM_400000_NS6detail17trampoline_kernelINS0_14default_configENS1_35adjacent_difference_config_selectorILb1ElEEZNS1_24adjacent_difference_implIS3_Lb1ELb0EPlS7_ZN2at6native12_GLOBAL__N_124unique_dim_cuda_templateIbEESt5tupleIJNS8_6TensorESD_SD_EERKSD_lbbbEUlllE1_EE10hipError_tPvRmT2_T3_mT4_P12ihipStream_tbEUlT_E_NS1_11comp_targetILNS1_3genE2ELNS1_11target_archE906ELNS1_3gpuE6ELNS1_3repE0EEENS1_30default_config_static_selectorELNS0_4arch9wavefront6targetE0EEEvT1_
		.amdhsa_group_segment_fixed_size 0
		.amdhsa_private_segment_fixed_size 0
		.amdhsa_kernarg_size 64
		.amdhsa_user_sgpr_count 2
		.amdhsa_user_sgpr_dispatch_ptr 0
		.amdhsa_user_sgpr_queue_ptr 0
		.amdhsa_user_sgpr_kernarg_segment_ptr 1
		.amdhsa_user_sgpr_dispatch_id 0
		.amdhsa_user_sgpr_kernarg_preload_length 0
		.amdhsa_user_sgpr_kernarg_preload_offset 0
		.amdhsa_user_sgpr_private_segment_size 0
		.amdhsa_wavefront_size32 1
		.amdhsa_uses_dynamic_stack 0
		.amdhsa_enable_private_segment 0
		.amdhsa_system_sgpr_workgroup_id_x 1
		.amdhsa_system_sgpr_workgroup_id_y 0
		.amdhsa_system_sgpr_workgroup_id_z 0
		.amdhsa_system_sgpr_workgroup_info 0
		.amdhsa_system_vgpr_workitem_id 0
		.amdhsa_next_free_vgpr 1
		.amdhsa_next_free_sgpr 1
		.amdhsa_named_barrier_count 0
		.amdhsa_reserve_vcc 0
		.amdhsa_float_round_mode_32 0
		.amdhsa_float_round_mode_16_64 0
		.amdhsa_float_denorm_mode_32 3
		.amdhsa_float_denorm_mode_16_64 3
		.amdhsa_fp16_overflow 0
		.amdhsa_memory_ordered 1
		.amdhsa_forward_progress 1
		.amdhsa_inst_pref_size 0
		.amdhsa_round_robin_scheduling 0
		.amdhsa_exception_fp_ieee_invalid_op 0
		.amdhsa_exception_fp_denorm_src 0
		.amdhsa_exception_fp_ieee_div_zero 0
		.amdhsa_exception_fp_ieee_overflow 0
		.amdhsa_exception_fp_ieee_underflow 0
		.amdhsa_exception_fp_ieee_inexact 0
		.amdhsa_exception_int_div_zero 0
	.end_amdhsa_kernel
	.section	.text._ZN7rocprim17ROCPRIM_400000_NS6detail17trampoline_kernelINS0_14default_configENS1_35adjacent_difference_config_selectorILb1ElEEZNS1_24adjacent_difference_implIS3_Lb1ELb0EPlS7_ZN2at6native12_GLOBAL__N_124unique_dim_cuda_templateIbEESt5tupleIJNS8_6TensorESD_SD_EERKSD_lbbbEUlllE1_EE10hipError_tPvRmT2_T3_mT4_P12ihipStream_tbEUlT_E_NS1_11comp_targetILNS1_3genE2ELNS1_11target_archE906ELNS1_3gpuE6ELNS1_3repE0EEENS1_30default_config_static_selectorELNS0_4arch9wavefront6targetE0EEEvT1_,"axG",@progbits,_ZN7rocprim17ROCPRIM_400000_NS6detail17trampoline_kernelINS0_14default_configENS1_35adjacent_difference_config_selectorILb1ElEEZNS1_24adjacent_difference_implIS3_Lb1ELb0EPlS7_ZN2at6native12_GLOBAL__N_124unique_dim_cuda_templateIbEESt5tupleIJNS8_6TensorESD_SD_EERKSD_lbbbEUlllE1_EE10hipError_tPvRmT2_T3_mT4_P12ihipStream_tbEUlT_E_NS1_11comp_targetILNS1_3genE2ELNS1_11target_archE906ELNS1_3gpuE6ELNS1_3repE0EEENS1_30default_config_static_selectorELNS0_4arch9wavefront6targetE0EEEvT1_,comdat
.Lfunc_end1048:
	.size	_ZN7rocprim17ROCPRIM_400000_NS6detail17trampoline_kernelINS0_14default_configENS1_35adjacent_difference_config_selectorILb1ElEEZNS1_24adjacent_difference_implIS3_Lb1ELb0EPlS7_ZN2at6native12_GLOBAL__N_124unique_dim_cuda_templateIbEESt5tupleIJNS8_6TensorESD_SD_EERKSD_lbbbEUlllE1_EE10hipError_tPvRmT2_T3_mT4_P12ihipStream_tbEUlT_E_NS1_11comp_targetILNS1_3genE2ELNS1_11target_archE906ELNS1_3gpuE6ELNS1_3repE0EEENS1_30default_config_static_selectorELNS0_4arch9wavefront6targetE0EEEvT1_, .Lfunc_end1048-_ZN7rocprim17ROCPRIM_400000_NS6detail17trampoline_kernelINS0_14default_configENS1_35adjacent_difference_config_selectorILb1ElEEZNS1_24adjacent_difference_implIS3_Lb1ELb0EPlS7_ZN2at6native12_GLOBAL__N_124unique_dim_cuda_templateIbEESt5tupleIJNS8_6TensorESD_SD_EERKSD_lbbbEUlllE1_EE10hipError_tPvRmT2_T3_mT4_P12ihipStream_tbEUlT_E_NS1_11comp_targetILNS1_3genE2ELNS1_11target_archE906ELNS1_3gpuE6ELNS1_3repE0EEENS1_30default_config_static_selectorELNS0_4arch9wavefront6targetE0EEEvT1_
                                        ; -- End function
	.set _ZN7rocprim17ROCPRIM_400000_NS6detail17trampoline_kernelINS0_14default_configENS1_35adjacent_difference_config_selectorILb1ElEEZNS1_24adjacent_difference_implIS3_Lb1ELb0EPlS7_ZN2at6native12_GLOBAL__N_124unique_dim_cuda_templateIbEESt5tupleIJNS8_6TensorESD_SD_EERKSD_lbbbEUlllE1_EE10hipError_tPvRmT2_T3_mT4_P12ihipStream_tbEUlT_E_NS1_11comp_targetILNS1_3genE2ELNS1_11target_archE906ELNS1_3gpuE6ELNS1_3repE0EEENS1_30default_config_static_selectorELNS0_4arch9wavefront6targetE0EEEvT1_.num_vgpr, 0
	.set _ZN7rocprim17ROCPRIM_400000_NS6detail17trampoline_kernelINS0_14default_configENS1_35adjacent_difference_config_selectorILb1ElEEZNS1_24adjacent_difference_implIS3_Lb1ELb0EPlS7_ZN2at6native12_GLOBAL__N_124unique_dim_cuda_templateIbEESt5tupleIJNS8_6TensorESD_SD_EERKSD_lbbbEUlllE1_EE10hipError_tPvRmT2_T3_mT4_P12ihipStream_tbEUlT_E_NS1_11comp_targetILNS1_3genE2ELNS1_11target_archE906ELNS1_3gpuE6ELNS1_3repE0EEENS1_30default_config_static_selectorELNS0_4arch9wavefront6targetE0EEEvT1_.num_agpr, 0
	.set _ZN7rocprim17ROCPRIM_400000_NS6detail17trampoline_kernelINS0_14default_configENS1_35adjacent_difference_config_selectorILb1ElEEZNS1_24adjacent_difference_implIS3_Lb1ELb0EPlS7_ZN2at6native12_GLOBAL__N_124unique_dim_cuda_templateIbEESt5tupleIJNS8_6TensorESD_SD_EERKSD_lbbbEUlllE1_EE10hipError_tPvRmT2_T3_mT4_P12ihipStream_tbEUlT_E_NS1_11comp_targetILNS1_3genE2ELNS1_11target_archE906ELNS1_3gpuE6ELNS1_3repE0EEENS1_30default_config_static_selectorELNS0_4arch9wavefront6targetE0EEEvT1_.numbered_sgpr, 0
	.set _ZN7rocprim17ROCPRIM_400000_NS6detail17trampoline_kernelINS0_14default_configENS1_35adjacent_difference_config_selectorILb1ElEEZNS1_24adjacent_difference_implIS3_Lb1ELb0EPlS7_ZN2at6native12_GLOBAL__N_124unique_dim_cuda_templateIbEESt5tupleIJNS8_6TensorESD_SD_EERKSD_lbbbEUlllE1_EE10hipError_tPvRmT2_T3_mT4_P12ihipStream_tbEUlT_E_NS1_11comp_targetILNS1_3genE2ELNS1_11target_archE906ELNS1_3gpuE6ELNS1_3repE0EEENS1_30default_config_static_selectorELNS0_4arch9wavefront6targetE0EEEvT1_.num_named_barrier, 0
	.set _ZN7rocprim17ROCPRIM_400000_NS6detail17trampoline_kernelINS0_14default_configENS1_35adjacent_difference_config_selectorILb1ElEEZNS1_24adjacent_difference_implIS3_Lb1ELb0EPlS7_ZN2at6native12_GLOBAL__N_124unique_dim_cuda_templateIbEESt5tupleIJNS8_6TensorESD_SD_EERKSD_lbbbEUlllE1_EE10hipError_tPvRmT2_T3_mT4_P12ihipStream_tbEUlT_E_NS1_11comp_targetILNS1_3genE2ELNS1_11target_archE906ELNS1_3gpuE6ELNS1_3repE0EEENS1_30default_config_static_selectorELNS0_4arch9wavefront6targetE0EEEvT1_.private_seg_size, 0
	.set _ZN7rocprim17ROCPRIM_400000_NS6detail17trampoline_kernelINS0_14default_configENS1_35adjacent_difference_config_selectorILb1ElEEZNS1_24adjacent_difference_implIS3_Lb1ELb0EPlS7_ZN2at6native12_GLOBAL__N_124unique_dim_cuda_templateIbEESt5tupleIJNS8_6TensorESD_SD_EERKSD_lbbbEUlllE1_EE10hipError_tPvRmT2_T3_mT4_P12ihipStream_tbEUlT_E_NS1_11comp_targetILNS1_3genE2ELNS1_11target_archE906ELNS1_3gpuE6ELNS1_3repE0EEENS1_30default_config_static_selectorELNS0_4arch9wavefront6targetE0EEEvT1_.uses_vcc, 0
	.set _ZN7rocprim17ROCPRIM_400000_NS6detail17trampoline_kernelINS0_14default_configENS1_35adjacent_difference_config_selectorILb1ElEEZNS1_24adjacent_difference_implIS3_Lb1ELb0EPlS7_ZN2at6native12_GLOBAL__N_124unique_dim_cuda_templateIbEESt5tupleIJNS8_6TensorESD_SD_EERKSD_lbbbEUlllE1_EE10hipError_tPvRmT2_T3_mT4_P12ihipStream_tbEUlT_E_NS1_11comp_targetILNS1_3genE2ELNS1_11target_archE906ELNS1_3gpuE6ELNS1_3repE0EEENS1_30default_config_static_selectorELNS0_4arch9wavefront6targetE0EEEvT1_.uses_flat_scratch, 0
	.set _ZN7rocprim17ROCPRIM_400000_NS6detail17trampoline_kernelINS0_14default_configENS1_35adjacent_difference_config_selectorILb1ElEEZNS1_24adjacent_difference_implIS3_Lb1ELb0EPlS7_ZN2at6native12_GLOBAL__N_124unique_dim_cuda_templateIbEESt5tupleIJNS8_6TensorESD_SD_EERKSD_lbbbEUlllE1_EE10hipError_tPvRmT2_T3_mT4_P12ihipStream_tbEUlT_E_NS1_11comp_targetILNS1_3genE2ELNS1_11target_archE906ELNS1_3gpuE6ELNS1_3repE0EEENS1_30default_config_static_selectorELNS0_4arch9wavefront6targetE0EEEvT1_.has_dyn_sized_stack, 0
	.set _ZN7rocprim17ROCPRIM_400000_NS6detail17trampoline_kernelINS0_14default_configENS1_35adjacent_difference_config_selectorILb1ElEEZNS1_24adjacent_difference_implIS3_Lb1ELb0EPlS7_ZN2at6native12_GLOBAL__N_124unique_dim_cuda_templateIbEESt5tupleIJNS8_6TensorESD_SD_EERKSD_lbbbEUlllE1_EE10hipError_tPvRmT2_T3_mT4_P12ihipStream_tbEUlT_E_NS1_11comp_targetILNS1_3genE2ELNS1_11target_archE906ELNS1_3gpuE6ELNS1_3repE0EEENS1_30default_config_static_selectorELNS0_4arch9wavefront6targetE0EEEvT1_.has_recursion, 0
	.set _ZN7rocprim17ROCPRIM_400000_NS6detail17trampoline_kernelINS0_14default_configENS1_35adjacent_difference_config_selectorILb1ElEEZNS1_24adjacent_difference_implIS3_Lb1ELb0EPlS7_ZN2at6native12_GLOBAL__N_124unique_dim_cuda_templateIbEESt5tupleIJNS8_6TensorESD_SD_EERKSD_lbbbEUlllE1_EE10hipError_tPvRmT2_T3_mT4_P12ihipStream_tbEUlT_E_NS1_11comp_targetILNS1_3genE2ELNS1_11target_archE906ELNS1_3gpuE6ELNS1_3repE0EEENS1_30default_config_static_selectorELNS0_4arch9wavefront6targetE0EEEvT1_.has_indirect_call, 0
	.section	.AMDGPU.csdata,"",@progbits
; Kernel info:
; codeLenInByte = 0
; TotalNumSgprs: 0
; NumVgprs: 0
; ScratchSize: 0
; MemoryBound: 0
; FloatMode: 240
; IeeeMode: 1
; LDSByteSize: 0 bytes/workgroup (compile time only)
; SGPRBlocks: 0
; VGPRBlocks: 0
; NumSGPRsForWavesPerEU: 1
; NumVGPRsForWavesPerEU: 1
; NamedBarCnt: 0
; Occupancy: 16
; WaveLimiterHint : 0
; COMPUTE_PGM_RSRC2:SCRATCH_EN: 0
; COMPUTE_PGM_RSRC2:USER_SGPR: 2
; COMPUTE_PGM_RSRC2:TRAP_HANDLER: 0
; COMPUTE_PGM_RSRC2:TGID_X_EN: 1
; COMPUTE_PGM_RSRC2:TGID_Y_EN: 0
; COMPUTE_PGM_RSRC2:TGID_Z_EN: 0
; COMPUTE_PGM_RSRC2:TIDIG_COMP_CNT: 0
	.section	.text._ZN7rocprim17ROCPRIM_400000_NS6detail17trampoline_kernelINS0_14default_configENS1_35adjacent_difference_config_selectorILb1ElEEZNS1_24adjacent_difference_implIS3_Lb1ELb0EPlS7_ZN2at6native12_GLOBAL__N_124unique_dim_cuda_templateIbEESt5tupleIJNS8_6TensorESD_SD_EERKSD_lbbbEUlllE1_EE10hipError_tPvRmT2_T3_mT4_P12ihipStream_tbEUlT_E_NS1_11comp_targetILNS1_3genE9ELNS1_11target_archE1100ELNS1_3gpuE3ELNS1_3repE0EEENS1_30default_config_static_selectorELNS0_4arch9wavefront6targetE0EEEvT1_,"axG",@progbits,_ZN7rocprim17ROCPRIM_400000_NS6detail17trampoline_kernelINS0_14default_configENS1_35adjacent_difference_config_selectorILb1ElEEZNS1_24adjacent_difference_implIS3_Lb1ELb0EPlS7_ZN2at6native12_GLOBAL__N_124unique_dim_cuda_templateIbEESt5tupleIJNS8_6TensorESD_SD_EERKSD_lbbbEUlllE1_EE10hipError_tPvRmT2_T3_mT4_P12ihipStream_tbEUlT_E_NS1_11comp_targetILNS1_3genE9ELNS1_11target_archE1100ELNS1_3gpuE3ELNS1_3repE0EEENS1_30default_config_static_selectorELNS0_4arch9wavefront6targetE0EEEvT1_,comdat
	.globl	_ZN7rocprim17ROCPRIM_400000_NS6detail17trampoline_kernelINS0_14default_configENS1_35adjacent_difference_config_selectorILb1ElEEZNS1_24adjacent_difference_implIS3_Lb1ELb0EPlS7_ZN2at6native12_GLOBAL__N_124unique_dim_cuda_templateIbEESt5tupleIJNS8_6TensorESD_SD_EERKSD_lbbbEUlllE1_EE10hipError_tPvRmT2_T3_mT4_P12ihipStream_tbEUlT_E_NS1_11comp_targetILNS1_3genE9ELNS1_11target_archE1100ELNS1_3gpuE3ELNS1_3repE0EEENS1_30default_config_static_selectorELNS0_4arch9wavefront6targetE0EEEvT1_ ; -- Begin function _ZN7rocprim17ROCPRIM_400000_NS6detail17trampoline_kernelINS0_14default_configENS1_35adjacent_difference_config_selectorILb1ElEEZNS1_24adjacent_difference_implIS3_Lb1ELb0EPlS7_ZN2at6native12_GLOBAL__N_124unique_dim_cuda_templateIbEESt5tupleIJNS8_6TensorESD_SD_EERKSD_lbbbEUlllE1_EE10hipError_tPvRmT2_T3_mT4_P12ihipStream_tbEUlT_E_NS1_11comp_targetILNS1_3genE9ELNS1_11target_archE1100ELNS1_3gpuE3ELNS1_3repE0EEENS1_30default_config_static_selectorELNS0_4arch9wavefront6targetE0EEEvT1_
	.p2align	8
	.type	_ZN7rocprim17ROCPRIM_400000_NS6detail17trampoline_kernelINS0_14default_configENS1_35adjacent_difference_config_selectorILb1ElEEZNS1_24adjacent_difference_implIS3_Lb1ELb0EPlS7_ZN2at6native12_GLOBAL__N_124unique_dim_cuda_templateIbEESt5tupleIJNS8_6TensorESD_SD_EERKSD_lbbbEUlllE1_EE10hipError_tPvRmT2_T3_mT4_P12ihipStream_tbEUlT_E_NS1_11comp_targetILNS1_3genE9ELNS1_11target_archE1100ELNS1_3gpuE3ELNS1_3repE0EEENS1_30default_config_static_selectorELNS0_4arch9wavefront6targetE0EEEvT1_,@function
_ZN7rocprim17ROCPRIM_400000_NS6detail17trampoline_kernelINS0_14default_configENS1_35adjacent_difference_config_selectorILb1ElEEZNS1_24adjacent_difference_implIS3_Lb1ELb0EPlS7_ZN2at6native12_GLOBAL__N_124unique_dim_cuda_templateIbEESt5tupleIJNS8_6TensorESD_SD_EERKSD_lbbbEUlllE1_EE10hipError_tPvRmT2_T3_mT4_P12ihipStream_tbEUlT_E_NS1_11comp_targetILNS1_3genE9ELNS1_11target_archE1100ELNS1_3gpuE3ELNS1_3repE0EEENS1_30default_config_static_selectorELNS0_4arch9wavefront6targetE0EEEvT1_: ; @_ZN7rocprim17ROCPRIM_400000_NS6detail17trampoline_kernelINS0_14default_configENS1_35adjacent_difference_config_selectorILb1ElEEZNS1_24adjacent_difference_implIS3_Lb1ELb0EPlS7_ZN2at6native12_GLOBAL__N_124unique_dim_cuda_templateIbEESt5tupleIJNS8_6TensorESD_SD_EERKSD_lbbbEUlllE1_EE10hipError_tPvRmT2_T3_mT4_P12ihipStream_tbEUlT_E_NS1_11comp_targetILNS1_3genE9ELNS1_11target_archE1100ELNS1_3gpuE3ELNS1_3repE0EEENS1_30default_config_static_selectorELNS0_4arch9wavefront6targetE0EEEvT1_
; %bb.0:
	.section	.rodata,"a",@progbits
	.p2align	6, 0x0
	.amdhsa_kernel _ZN7rocprim17ROCPRIM_400000_NS6detail17trampoline_kernelINS0_14default_configENS1_35adjacent_difference_config_selectorILb1ElEEZNS1_24adjacent_difference_implIS3_Lb1ELb0EPlS7_ZN2at6native12_GLOBAL__N_124unique_dim_cuda_templateIbEESt5tupleIJNS8_6TensorESD_SD_EERKSD_lbbbEUlllE1_EE10hipError_tPvRmT2_T3_mT4_P12ihipStream_tbEUlT_E_NS1_11comp_targetILNS1_3genE9ELNS1_11target_archE1100ELNS1_3gpuE3ELNS1_3repE0EEENS1_30default_config_static_selectorELNS0_4arch9wavefront6targetE0EEEvT1_
		.amdhsa_group_segment_fixed_size 0
		.amdhsa_private_segment_fixed_size 0
		.amdhsa_kernarg_size 64
		.amdhsa_user_sgpr_count 2
		.amdhsa_user_sgpr_dispatch_ptr 0
		.amdhsa_user_sgpr_queue_ptr 0
		.amdhsa_user_sgpr_kernarg_segment_ptr 1
		.amdhsa_user_sgpr_dispatch_id 0
		.amdhsa_user_sgpr_kernarg_preload_length 0
		.amdhsa_user_sgpr_kernarg_preload_offset 0
		.amdhsa_user_sgpr_private_segment_size 0
		.amdhsa_wavefront_size32 1
		.amdhsa_uses_dynamic_stack 0
		.amdhsa_enable_private_segment 0
		.amdhsa_system_sgpr_workgroup_id_x 1
		.amdhsa_system_sgpr_workgroup_id_y 0
		.amdhsa_system_sgpr_workgroup_id_z 0
		.amdhsa_system_sgpr_workgroup_info 0
		.amdhsa_system_vgpr_workitem_id 0
		.amdhsa_next_free_vgpr 1
		.amdhsa_next_free_sgpr 1
		.amdhsa_named_barrier_count 0
		.amdhsa_reserve_vcc 0
		.amdhsa_float_round_mode_32 0
		.amdhsa_float_round_mode_16_64 0
		.amdhsa_float_denorm_mode_32 3
		.amdhsa_float_denorm_mode_16_64 3
		.amdhsa_fp16_overflow 0
		.amdhsa_memory_ordered 1
		.amdhsa_forward_progress 1
		.amdhsa_inst_pref_size 0
		.amdhsa_round_robin_scheduling 0
		.amdhsa_exception_fp_ieee_invalid_op 0
		.amdhsa_exception_fp_denorm_src 0
		.amdhsa_exception_fp_ieee_div_zero 0
		.amdhsa_exception_fp_ieee_overflow 0
		.amdhsa_exception_fp_ieee_underflow 0
		.amdhsa_exception_fp_ieee_inexact 0
		.amdhsa_exception_int_div_zero 0
	.end_amdhsa_kernel
	.section	.text._ZN7rocprim17ROCPRIM_400000_NS6detail17trampoline_kernelINS0_14default_configENS1_35adjacent_difference_config_selectorILb1ElEEZNS1_24adjacent_difference_implIS3_Lb1ELb0EPlS7_ZN2at6native12_GLOBAL__N_124unique_dim_cuda_templateIbEESt5tupleIJNS8_6TensorESD_SD_EERKSD_lbbbEUlllE1_EE10hipError_tPvRmT2_T3_mT4_P12ihipStream_tbEUlT_E_NS1_11comp_targetILNS1_3genE9ELNS1_11target_archE1100ELNS1_3gpuE3ELNS1_3repE0EEENS1_30default_config_static_selectorELNS0_4arch9wavefront6targetE0EEEvT1_,"axG",@progbits,_ZN7rocprim17ROCPRIM_400000_NS6detail17trampoline_kernelINS0_14default_configENS1_35adjacent_difference_config_selectorILb1ElEEZNS1_24adjacent_difference_implIS3_Lb1ELb0EPlS7_ZN2at6native12_GLOBAL__N_124unique_dim_cuda_templateIbEESt5tupleIJNS8_6TensorESD_SD_EERKSD_lbbbEUlllE1_EE10hipError_tPvRmT2_T3_mT4_P12ihipStream_tbEUlT_E_NS1_11comp_targetILNS1_3genE9ELNS1_11target_archE1100ELNS1_3gpuE3ELNS1_3repE0EEENS1_30default_config_static_selectorELNS0_4arch9wavefront6targetE0EEEvT1_,comdat
.Lfunc_end1049:
	.size	_ZN7rocprim17ROCPRIM_400000_NS6detail17trampoline_kernelINS0_14default_configENS1_35adjacent_difference_config_selectorILb1ElEEZNS1_24adjacent_difference_implIS3_Lb1ELb0EPlS7_ZN2at6native12_GLOBAL__N_124unique_dim_cuda_templateIbEESt5tupleIJNS8_6TensorESD_SD_EERKSD_lbbbEUlllE1_EE10hipError_tPvRmT2_T3_mT4_P12ihipStream_tbEUlT_E_NS1_11comp_targetILNS1_3genE9ELNS1_11target_archE1100ELNS1_3gpuE3ELNS1_3repE0EEENS1_30default_config_static_selectorELNS0_4arch9wavefront6targetE0EEEvT1_, .Lfunc_end1049-_ZN7rocprim17ROCPRIM_400000_NS6detail17trampoline_kernelINS0_14default_configENS1_35adjacent_difference_config_selectorILb1ElEEZNS1_24adjacent_difference_implIS3_Lb1ELb0EPlS7_ZN2at6native12_GLOBAL__N_124unique_dim_cuda_templateIbEESt5tupleIJNS8_6TensorESD_SD_EERKSD_lbbbEUlllE1_EE10hipError_tPvRmT2_T3_mT4_P12ihipStream_tbEUlT_E_NS1_11comp_targetILNS1_3genE9ELNS1_11target_archE1100ELNS1_3gpuE3ELNS1_3repE0EEENS1_30default_config_static_selectorELNS0_4arch9wavefront6targetE0EEEvT1_
                                        ; -- End function
	.set _ZN7rocprim17ROCPRIM_400000_NS6detail17trampoline_kernelINS0_14default_configENS1_35adjacent_difference_config_selectorILb1ElEEZNS1_24adjacent_difference_implIS3_Lb1ELb0EPlS7_ZN2at6native12_GLOBAL__N_124unique_dim_cuda_templateIbEESt5tupleIJNS8_6TensorESD_SD_EERKSD_lbbbEUlllE1_EE10hipError_tPvRmT2_T3_mT4_P12ihipStream_tbEUlT_E_NS1_11comp_targetILNS1_3genE9ELNS1_11target_archE1100ELNS1_3gpuE3ELNS1_3repE0EEENS1_30default_config_static_selectorELNS0_4arch9wavefront6targetE0EEEvT1_.num_vgpr, 0
	.set _ZN7rocprim17ROCPRIM_400000_NS6detail17trampoline_kernelINS0_14default_configENS1_35adjacent_difference_config_selectorILb1ElEEZNS1_24adjacent_difference_implIS3_Lb1ELb0EPlS7_ZN2at6native12_GLOBAL__N_124unique_dim_cuda_templateIbEESt5tupleIJNS8_6TensorESD_SD_EERKSD_lbbbEUlllE1_EE10hipError_tPvRmT2_T3_mT4_P12ihipStream_tbEUlT_E_NS1_11comp_targetILNS1_3genE9ELNS1_11target_archE1100ELNS1_3gpuE3ELNS1_3repE0EEENS1_30default_config_static_selectorELNS0_4arch9wavefront6targetE0EEEvT1_.num_agpr, 0
	.set _ZN7rocprim17ROCPRIM_400000_NS6detail17trampoline_kernelINS0_14default_configENS1_35adjacent_difference_config_selectorILb1ElEEZNS1_24adjacent_difference_implIS3_Lb1ELb0EPlS7_ZN2at6native12_GLOBAL__N_124unique_dim_cuda_templateIbEESt5tupleIJNS8_6TensorESD_SD_EERKSD_lbbbEUlllE1_EE10hipError_tPvRmT2_T3_mT4_P12ihipStream_tbEUlT_E_NS1_11comp_targetILNS1_3genE9ELNS1_11target_archE1100ELNS1_3gpuE3ELNS1_3repE0EEENS1_30default_config_static_selectorELNS0_4arch9wavefront6targetE0EEEvT1_.numbered_sgpr, 0
	.set _ZN7rocprim17ROCPRIM_400000_NS6detail17trampoline_kernelINS0_14default_configENS1_35adjacent_difference_config_selectorILb1ElEEZNS1_24adjacent_difference_implIS3_Lb1ELb0EPlS7_ZN2at6native12_GLOBAL__N_124unique_dim_cuda_templateIbEESt5tupleIJNS8_6TensorESD_SD_EERKSD_lbbbEUlllE1_EE10hipError_tPvRmT2_T3_mT4_P12ihipStream_tbEUlT_E_NS1_11comp_targetILNS1_3genE9ELNS1_11target_archE1100ELNS1_3gpuE3ELNS1_3repE0EEENS1_30default_config_static_selectorELNS0_4arch9wavefront6targetE0EEEvT1_.num_named_barrier, 0
	.set _ZN7rocprim17ROCPRIM_400000_NS6detail17trampoline_kernelINS0_14default_configENS1_35adjacent_difference_config_selectorILb1ElEEZNS1_24adjacent_difference_implIS3_Lb1ELb0EPlS7_ZN2at6native12_GLOBAL__N_124unique_dim_cuda_templateIbEESt5tupleIJNS8_6TensorESD_SD_EERKSD_lbbbEUlllE1_EE10hipError_tPvRmT2_T3_mT4_P12ihipStream_tbEUlT_E_NS1_11comp_targetILNS1_3genE9ELNS1_11target_archE1100ELNS1_3gpuE3ELNS1_3repE0EEENS1_30default_config_static_selectorELNS0_4arch9wavefront6targetE0EEEvT1_.private_seg_size, 0
	.set _ZN7rocprim17ROCPRIM_400000_NS6detail17trampoline_kernelINS0_14default_configENS1_35adjacent_difference_config_selectorILb1ElEEZNS1_24adjacent_difference_implIS3_Lb1ELb0EPlS7_ZN2at6native12_GLOBAL__N_124unique_dim_cuda_templateIbEESt5tupleIJNS8_6TensorESD_SD_EERKSD_lbbbEUlllE1_EE10hipError_tPvRmT2_T3_mT4_P12ihipStream_tbEUlT_E_NS1_11comp_targetILNS1_3genE9ELNS1_11target_archE1100ELNS1_3gpuE3ELNS1_3repE0EEENS1_30default_config_static_selectorELNS0_4arch9wavefront6targetE0EEEvT1_.uses_vcc, 0
	.set _ZN7rocprim17ROCPRIM_400000_NS6detail17trampoline_kernelINS0_14default_configENS1_35adjacent_difference_config_selectorILb1ElEEZNS1_24adjacent_difference_implIS3_Lb1ELb0EPlS7_ZN2at6native12_GLOBAL__N_124unique_dim_cuda_templateIbEESt5tupleIJNS8_6TensorESD_SD_EERKSD_lbbbEUlllE1_EE10hipError_tPvRmT2_T3_mT4_P12ihipStream_tbEUlT_E_NS1_11comp_targetILNS1_3genE9ELNS1_11target_archE1100ELNS1_3gpuE3ELNS1_3repE0EEENS1_30default_config_static_selectorELNS0_4arch9wavefront6targetE0EEEvT1_.uses_flat_scratch, 0
	.set _ZN7rocprim17ROCPRIM_400000_NS6detail17trampoline_kernelINS0_14default_configENS1_35adjacent_difference_config_selectorILb1ElEEZNS1_24adjacent_difference_implIS3_Lb1ELb0EPlS7_ZN2at6native12_GLOBAL__N_124unique_dim_cuda_templateIbEESt5tupleIJNS8_6TensorESD_SD_EERKSD_lbbbEUlllE1_EE10hipError_tPvRmT2_T3_mT4_P12ihipStream_tbEUlT_E_NS1_11comp_targetILNS1_3genE9ELNS1_11target_archE1100ELNS1_3gpuE3ELNS1_3repE0EEENS1_30default_config_static_selectorELNS0_4arch9wavefront6targetE0EEEvT1_.has_dyn_sized_stack, 0
	.set _ZN7rocprim17ROCPRIM_400000_NS6detail17trampoline_kernelINS0_14default_configENS1_35adjacent_difference_config_selectorILb1ElEEZNS1_24adjacent_difference_implIS3_Lb1ELb0EPlS7_ZN2at6native12_GLOBAL__N_124unique_dim_cuda_templateIbEESt5tupleIJNS8_6TensorESD_SD_EERKSD_lbbbEUlllE1_EE10hipError_tPvRmT2_T3_mT4_P12ihipStream_tbEUlT_E_NS1_11comp_targetILNS1_3genE9ELNS1_11target_archE1100ELNS1_3gpuE3ELNS1_3repE0EEENS1_30default_config_static_selectorELNS0_4arch9wavefront6targetE0EEEvT1_.has_recursion, 0
	.set _ZN7rocprim17ROCPRIM_400000_NS6detail17trampoline_kernelINS0_14default_configENS1_35adjacent_difference_config_selectorILb1ElEEZNS1_24adjacent_difference_implIS3_Lb1ELb0EPlS7_ZN2at6native12_GLOBAL__N_124unique_dim_cuda_templateIbEESt5tupleIJNS8_6TensorESD_SD_EERKSD_lbbbEUlllE1_EE10hipError_tPvRmT2_T3_mT4_P12ihipStream_tbEUlT_E_NS1_11comp_targetILNS1_3genE9ELNS1_11target_archE1100ELNS1_3gpuE3ELNS1_3repE0EEENS1_30default_config_static_selectorELNS0_4arch9wavefront6targetE0EEEvT1_.has_indirect_call, 0
	.section	.AMDGPU.csdata,"",@progbits
; Kernel info:
; codeLenInByte = 0
; TotalNumSgprs: 0
; NumVgprs: 0
; ScratchSize: 0
; MemoryBound: 0
; FloatMode: 240
; IeeeMode: 1
; LDSByteSize: 0 bytes/workgroup (compile time only)
; SGPRBlocks: 0
; VGPRBlocks: 0
; NumSGPRsForWavesPerEU: 1
; NumVGPRsForWavesPerEU: 1
; NamedBarCnt: 0
; Occupancy: 16
; WaveLimiterHint : 0
; COMPUTE_PGM_RSRC2:SCRATCH_EN: 0
; COMPUTE_PGM_RSRC2:USER_SGPR: 2
; COMPUTE_PGM_RSRC2:TRAP_HANDLER: 0
; COMPUTE_PGM_RSRC2:TGID_X_EN: 1
; COMPUTE_PGM_RSRC2:TGID_Y_EN: 0
; COMPUTE_PGM_RSRC2:TGID_Z_EN: 0
; COMPUTE_PGM_RSRC2:TIDIG_COMP_CNT: 0
	.section	.text._ZN7rocprim17ROCPRIM_400000_NS6detail17trampoline_kernelINS0_14default_configENS1_35adjacent_difference_config_selectorILb1ElEEZNS1_24adjacent_difference_implIS3_Lb1ELb0EPlS7_ZN2at6native12_GLOBAL__N_124unique_dim_cuda_templateIbEESt5tupleIJNS8_6TensorESD_SD_EERKSD_lbbbEUlllE1_EE10hipError_tPvRmT2_T3_mT4_P12ihipStream_tbEUlT_E_NS1_11comp_targetILNS1_3genE8ELNS1_11target_archE1030ELNS1_3gpuE2ELNS1_3repE0EEENS1_30default_config_static_selectorELNS0_4arch9wavefront6targetE0EEEvT1_,"axG",@progbits,_ZN7rocprim17ROCPRIM_400000_NS6detail17trampoline_kernelINS0_14default_configENS1_35adjacent_difference_config_selectorILb1ElEEZNS1_24adjacent_difference_implIS3_Lb1ELb0EPlS7_ZN2at6native12_GLOBAL__N_124unique_dim_cuda_templateIbEESt5tupleIJNS8_6TensorESD_SD_EERKSD_lbbbEUlllE1_EE10hipError_tPvRmT2_T3_mT4_P12ihipStream_tbEUlT_E_NS1_11comp_targetILNS1_3genE8ELNS1_11target_archE1030ELNS1_3gpuE2ELNS1_3repE0EEENS1_30default_config_static_selectorELNS0_4arch9wavefront6targetE0EEEvT1_,comdat
	.globl	_ZN7rocprim17ROCPRIM_400000_NS6detail17trampoline_kernelINS0_14default_configENS1_35adjacent_difference_config_selectorILb1ElEEZNS1_24adjacent_difference_implIS3_Lb1ELb0EPlS7_ZN2at6native12_GLOBAL__N_124unique_dim_cuda_templateIbEESt5tupleIJNS8_6TensorESD_SD_EERKSD_lbbbEUlllE1_EE10hipError_tPvRmT2_T3_mT4_P12ihipStream_tbEUlT_E_NS1_11comp_targetILNS1_3genE8ELNS1_11target_archE1030ELNS1_3gpuE2ELNS1_3repE0EEENS1_30default_config_static_selectorELNS0_4arch9wavefront6targetE0EEEvT1_ ; -- Begin function _ZN7rocprim17ROCPRIM_400000_NS6detail17trampoline_kernelINS0_14default_configENS1_35adjacent_difference_config_selectorILb1ElEEZNS1_24adjacent_difference_implIS3_Lb1ELb0EPlS7_ZN2at6native12_GLOBAL__N_124unique_dim_cuda_templateIbEESt5tupleIJNS8_6TensorESD_SD_EERKSD_lbbbEUlllE1_EE10hipError_tPvRmT2_T3_mT4_P12ihipStream_tbEUlT_E_NS1_11comp_targetILNS1_3genE8ELNS1_11target_archE1030ELNS1_3gpuE2ELNS1_3repE0EEENS1_30default_config_static_selectorELNS0_4arch9wavefront6targetE0EEEvT1_
	.p2align	8
	.type	_ZN7rocprim17ROCPRIM_400000_NS6detail17trampoline_kernelINS0_14default_configENS1_35adjacent_difference_config_selectorILb1ElEEZNS1_24adjacent_difference_implIS3_Lb1ELb0EPlS7_ZN2at6native12_GLOBAL__N_124unique_dim_cuda_templateIbEESt5tupleIJNS8_6TensorESD_SD_EERKSD_lbbbEUlllE1_EE10hipError_tPvRmT2_T3_mT4_P12ihipStream_tbEUlT_E_NS1_11comp_targetILNS1_3genE8ELNS1_11target_archE1030ELNS1_3gpuE2ELNS1_3repE0EEENS1_30default_config_static_selectorELNS0_4arch9wavefront6targetE0EEEvT1_,@function
_ZN7rocprim17ROCPRIM_400000_NS6detail17trampoline_kernelINS0_14default_configENS1_35adjacent_difference_config_selectorILb1ElEEZNS1_24adjacent_difference_implIS3_Lb1ELb0EPlS7_ZN2at6native12_GLOBAL__N_124unique_dim_cuda_templateIbEESt5tupleIJNS8_6TensorESD_SD_EERKSD_lbbbEUlllE1_EE10hipError_tPvRmT2_T3_mT4_P12ihipStream_tbEUlT_E_NS1_11comp_targetILNS1_3genE8ELNS1_11target_archE1030ELNS1_3gpuE2ELNS1_3repE0EEENS1_30default_config_static_selectorELNS0_4arch9wavefront6targetE0EEEvT1_: ; @_ZN7rocprim17ROCPRIM_400000_NS6detail17trampoline_kernelINS0_14default_configENS1_35adjacent_difference_config_selectorILb1ElEEZNS1_24adjacent_difference_implIS3_Lb1ELb0EPlS7_ZN2at6native12_GLOBAL__N_124unique_dim_cuda_templateIbEESt5tupleIJNS8_6TensorESD_SD_EERKSD_lbbbEUlllE1_EE10hipError_tPvRmT2_T3_mT4_P12ihipStream_tbEUlT_E_NS1_11comp_targetILNS1_3genE8ELNS1_11target_archE1030ELNS1_3gpuE2ELNS1_3repE0EEENS1_30default_config_static_selectorELNS0_4arch9wavefront6targetE0EEEvT1_
; %bb.0:
	.section	.rodata,"a",@progbits
	.p2align	6, 0x0
	.amdhsa_kernel _ZN7rocprim17ROCPRIM_400000_NS6detail17trampoline_kernelINS0_14default_configENS1_35adjacent_difference_config_selectorILb1ElEEZNS1_24adjacent_difference_implIS3_Lb1ELb0EPlS7_ZN2at6native12_GLOBAL__N_124unique_dim_cuda_templateIbEESt5tupleIJNS8_6TensorESD_SD_EERKSD_lbbbEUlllE1_EE10hipError_tPvRmT2_T3_mT4_P12ihipStream_tbEUlT_E_NS1_11comp_targetILNS1_3genE8ELNS1_11target_archE1030ELNS1_3gpuE2ELNS1_3repE0EEENS1_30default_config_static_selectorELNS0_4arch9wavefront6targetE0EEEvT1_
		.amdhsa_group_segment_fixed_size 0
		.amdhsa_private_segment_fixed_size 0
		.amdhsa_kernarg_size 64
		.amdhsa_user_sgpr_count 2
		.amdhsa_user_sgpr_dispatch_ptr 0
		.amdhsa_user_sgpr_queue_ptr 0
		.amdhsa_user_sgpr_kernarg_segment_ptr 1
		.amdhsa_user_sgpr_dispatch_id 0
		.amdhsa_user_sgpr_kernarg_preload_length 0
		.amdhsa_user_sgpr_kernarg_preload_offset 0
		.amdhsa_user_sgpr_private_segment_size 0
		.amdhsa_wavefront_size32 1
		.amdhsa_uses_dynamic_stack 0
		.amdhsa_enable_private_segment 0
		.amdhsa_system_sgpr_workgroup_id_x 1
		.amdhsa_system_sgpr_workgroup_id_y 0
		.amdhsa_system_sgpr_workgroup_id_z 0
		.amdhsa_system_sgpr_workgroup_info 0
		.amdhsa_system_vgpr_workitem_id 0
		.amdhsa_next_free_vgpr 1
		.amdhsa_next_free_sgpr 1
		.amdhsa_named_barrier_count 0
		.amdhsa_reserve_vcc 0
		.amdhsa_float_round_mode_32 0
		.amdhsa_float_round_mode_16_64 0
		.amdhsa_float_denorm_mode_32 3
		.amdhsa_float_denorm_mode_16_64 3
		.amdhsa_fp16_overflow 0
		.amdhsa_memory_ordered 1
		.amdhsa_forward_progress 1
		.amdhsa_inst_pref_size 0
		.amdhsa_round_robin_scheduling 0
		.amdhsa_exception_fp_ieee_invalid_op 0
		.amdhsa_exception_fp_denorm_src 0
		.amdhsa_exception_fp_ieee_div_zero 0
		.amdhsa_exception_fp_ieee_overflow 0
		.amdhsa_exception_fp_ieee_underflow 0
		.amdhsa_exception_fp_ieee_inexact 0
		.amdhsa_exception_int_div_zero 0
	.end_amdhsa_kernel
	.section	.text._ZN7rocprim17ROCPRIM_400000_NS6detail17trampoline_kernelINS0_14default_configENS1_35adjacent_difference_config_selectorILb1ElEEZNS1_24adjacent_difference_implIS3_Lb1ELb0EPlS7_ZN2at6native12_GLOBAL__N_124unique_dim_cuda_templateIbEESt5tupleIJNS8_6TensorESD_SD_EERKSD_lbbbEUlllE1_EE10hipError_tPvRmT2_T3_mT4_P12ihipStream_tbEUlT_E_NS1_11comp_targetILNS1_3genE8ELNS1_11target_archE1030ELNS1_3gpuE2ELNS1_3repE0EEENS1_30default_config_static_selectorELNS0_4arch9wavefront6targetE0EEEvT1_,"axG",@progbits,_ZN7rocprim17ROCPRIM_400000_NS6detail17trampoline_kernelINS0_14default_configENS1_35adjacent_difference_config_selectorILb1ElEEZNS1_24adjacent_difference_implIS3_Lb1ELb0EPlS7_ZN2at6native12_GLOBAL__N_124unique_dim_cuda_templateIbEESt5tupleIJNS8_6TensorESD_SD_EERKSD_lbbbEUlllE1_EE10hipError_tPvRmT2_T3_mT4_P12ihipStream_tbEUlT_E_NS1_11comp_targetILNS1_3genE8ELNS1_11target_archE1030ELNS1_3gpuE2ELNS1_3repE0EEENS1_30default_config_static_selectorELNS0_4arch9wavefront6targetE0EEEvT1_,comdat
.Lfunc_end1050:
	.size	_ZN7rocprim17ROCPRIM_400000_NS6detail17trampoline_kernelINS0_14default_configENS1_35adjacent_difference_config_selectorILb1ElEEZNS1_24adjacent_difference_implIS3_Lb1ELb0EPlS7_ZN2at6native12_GLOBAL__N_124unique_dim_cuda_templateIbEESt5tupleIJNS8_6TensorESD_SD_EERKSD_lbbbEUlllE1_EE10hipError_tPvRmT2_T3_mT4_P12ihipStream_tbEUlT_E_NS1_11comp_targetILNS1_3genE8ELNS1_11target_archE1030ELNS1_3gpuE2ELNS1_3repE0EEENS1_30default_config_static_selectorELNS0_4arch9wavefront6targetE0EEEvT1_, .Lfunc_end1050-_ZN7rocprim17ROCPRIM_400000_NS6detail17trampoline_kernelINS0_14default_configENS1_35adjacent_difference_config_selectorILb1ElEEZNS1_24adjacent_difference_implIS3_Lb1ELb0EPlS7_ZN2at6native12_GLOBAL__N_124unique_dim_cuda_templateIbEESt5tupleIJNS8_6TensorESD_SD_EERKSD_lbbbEUlllE1_EE10hipError_tPvRmT2_T3_mT4_P12ihipStream_tbEUlT_E_NS1_11comp_targetILNS1_3genE8ELNS1_11target_archE1030ELNS1_3gpuE2ELNS1_3repE0EEENS1_30default_config_static_selectorELNS0_4arch9wavefront6targetE0EEEvT1_
                                        ; -- End function
	.set _ZN7rocprim17ROCPRIM_400000_NS6detail17trampoline_kernelINS0_14default_configENS1_35adjacent_difference_config_selectorILb1ElEEZNS1_24adjacent_difference_implIS3_Lb1ELb0EPlS7_ZN2at6native12_GLOBAL__N_124unique_dim_cuda_templateIbEESt5tupleIJNS8_6TensorESD_SD_EERKSD_lbbbEUlllE1_EE10hipError_tPvRmT2_T3_mT4_P12ihipStream_tbEUlT_E_NS1_11comp_targetILNS1_3genE8ELNS1_11target_archE1030ELNS1_3gpuE2ELNS1_3repE0EEENS1_30default_config_static_selectorELNS0_4arch9wavefront6targetE0EEEvT1_.num_vgpr, 0
	.set _ZN7rocprim17ROCPRIM_400000_NS6detail17trampoline_kernelINS0_14default_configENS1_35adjacent_difference_config_selectorILb1ElEEZNS1_24adjacent_difference_implIS3_Lb1ELb0EPlS7_ZN2at6native12_GLOBAL__N_124unique_dim_cuda_templateIbEESt5tupleIJNS8_6TensorESD_SD_EERKSD_lbbbEUlllE1_EE10hipError_tPvRmT2_T3_mT4_P12ihipStream_tbEUlT_E_NS1_11comp_targetILNS1_3genE8ELNS1_11target_archE1030ELNS1_3gpuE2ELNS1_3repE0EEENS1_30default_config_static_selectorELNS0_4arch9wavefront6targetE0EEEvT1_.num_agpr, 0
	.set _ZN7rocprim17ROCPRIM_400000_NS6detail17trampoline_kernelINS0_14default_configENS1_35adjacent_difference_config_selectorILb1ElEEZNS1_24adjacent_difference_implIS3_Lb1ELb0EPlS7_ZN2at6native12_GLOBAL__N_124unique_dim_cuda_templateIbEESt5tupleIJNS8_6TensorESD_SD_EERKSD_lbbbEUlllE1_EE10hipError_tPvRmT2_T3_mT4_P12ihipStream_tbEUlT_E_NS1_11comp_targetILNS1_3genE8ELNS1_11target_archE1030ELNS1_3gpuE2ELNS1_3repE0EEENS1_30default_config_static_selectorELNS0_4arch9wavefront6targetE0EEEvT1_.numbered_sgpr, 0
	.set _ZN7rocprim17ROCPRIM_400000_NS6detail17trampoline_kernelINS0_14default_configENS1_35adjacent_difference_config_selectorILb1ElEEZNS1_24adjacent_difference_implIS3_Lb1ELb0EPlS7_ZN2at6native12_GLOBAL__N_124unique_dim_cuda_templateIbEESt5tupleIJNS8_6TensorESD_SD_EERKSD_lbbbEUlllE1_EE10hipError_tPvRmT2_T3_mT4_P12ihipStream_tbEUlT_E_NS1_11comp_targetILNS1_3genE8ELNS1_11target_archE1030ELNS1_3gpuE2ELNS1_3repE0EEENS1_30default_config_static_selectorELNS0_4arch9wavefront6targetE0EEEvT1_.num_named_barrier, 0
	.set _ZN7rocprim17ROCPRIM_400000_NS6detail17trampoline_kernelINS0_14default_configENS1_35adjacent_difference_config_selectorILb1ElEEZNS1_24adjacent_difference_implIS3_Lb1ELb0EPlS7_ZN2at6native12_GLOBAL__N_124unique_dim_cuda_templateIbEESt5tupleIJNS8_6TensorESD_SD_EERKSD_lbbbEUlllE1_EE10hipError_tPvRmT2_T3_mT4_P12ihipStream_tbEUlT_E_NS1_11comp_targetILNS1_3genE8ELNS1_11target_archE1030ELNS1_3gpuE2ELNS1_3repE0EEENS1_30default_config_static_selectorELNS0_4arch9wavefront6targetE0EEEvT1_.private_seg_size, 0
	.set _ZN7rocprim17ROCPRIM_400000_NS6detail17trampoline_kernelINS0_14default_configENS1_35adjacent_difference_config_selectorILb1ElEEZNS1_24adjacent_difference_implIS3_Lb1ELb0EPlS7_ZN2at6native12_GLOBAL__N_124unique_dim_cuda_templateIbEESt5tupleIJNS8_6TensorESD_SD_EERKSD_lbbbEUlllE1_EE10hipError_tPvRmT2_T3_mT4_P12ihipStream_tbEUlT_E_NS1_11comp_targetILNS1_3genE8ELNS1_11target_archE1030ELNS1_3gpuE2ELNS1_3repE0EEENS1_30default_config_static_selectorELNS0_4arch9wavefront6targetE0EEEvT1_.uses_vcc, 0
	.set _ZN7rocprim17ROCPRIM_400000_NS6detail17trampoline_kernelINS0_14default_configENS1_35adjacent_difference_config_selectorILb1ElEEZNS1_24adjacent_difference_implIS3_Lb1ELb0EPlS7_ZN2at6native12_GLOBAL__N_124unique_dim_cuda_templateIbEESt5tupleIJNS8_6TensorESD_SD_EERKSD_lbbbEUlllE1_EE10hipError_tPvRmT2_T3_mT4_P12ihipStream_tbEUlT_E_NS1_11comp_targetILNS1_3genE8ELNS1_11target_archE1030ELNS1_3gpuE2ELNS1_3repE0EEENS1_30default_config_static_selectorELNS0_4arch9wavefront6targetE0EEEvT1_.uses_flat_scratch, 0
	.set _ZN7rocprim17ROCPRIM_400000_NS6detail17trampoline_kernelINS0_14default_configENS1_35adjacent_difference_config_selectorILb1ElEEZNS1_24adjacent_difference_implIS3_Lb1ELb0EPlS7_ZN2at6native12_GLOBAL__N_124unique_dim_cuda_templateIbEESt5tupleIJNS8_6TensorESD_SD_EERKSD_lbbbEUlllE1_EE10hipError_tPvRmT2_T3_mT4_P12ihipStream_tbEUlT_E_NS1_11comp_targetILNS1_3genE8ELNS1_11target_archE1030ELNS1_3gpuE2ELNS1_3repE0EEENS1_30default_config_static_selectorELNS0_4arch9wavefront6targetE0EEEvT1_.has_dyn_sized_stack, 0
	.set _ZN7rocprim17ROCPRIM_400000_NS6detail17trampoline_kernelINS0_14default_configENS1_35adjacent_difference_config_selectorILb1ElEEZNS1_24adjacent_difference_implIS3_Lb1ELb0EPlS7_ZN2at6native12_GLOBAL__N_124unique_dim_cuda_templateIbEESt5tupleIJNS8_6TensorESD_SD_EERKSD_lbbbEUlllE1_EE10hipError_tPvRmT2_T3_mT4_P12ihipStream_tbEUlT_E_NS1_11comp_targetILNS1_3genE8ELNS1_11target_archE1030ELNS1_3gpuE2ELNS1_3repE0EEENS1_30default_config_static_selectorELNS0_4arch9wavefront6targetE0EEEvT1_.has_recursion, 0
	.set _ZN7rocprim17ROCPRIM_400000_NS6detail17trampoline_kernelINS0_14default_configENS1_35adjacent_difference_config_selectorILb1ElEEZNS1_24adjacent_difference_implIS3_Lb1ELb0EPlS7_ZN2at6native12_GLOBAL__N_124unique_dim_cuda_templateIbEESt5tupleIJNS8_6TensorESD_SD_EERKSD_lbbbEUlllE1_EE10hipError_tPvRmT2_T3_mT4_P12ihipStream_tbEUlT_E_NS1_11comp_targetILNS1_3genE8ELNS1_11target_archE1030ELNS1_3gpuE2ELNS1_3repE0EEENS1_30default_config_static_selectorELNS0_4arch9wavefront6targetE0EEEvT1_.has_indirect_call, 0
	.section	.AMDGPU.csdata,"",@progbits
; Kernel info:
; codeLenInByte = 0
; TotalNumSgprs: 0
; NumVgprs: 0
; ScratchSize: 0
; MemoryBound: 0
; FloatMode: 240
; IeeeMode: 1
; LDSByteSize: 0 bytes/workgroup (compile time only)
; SGPRBlocks: 0
; VGPRBlocks: 0
; NumSGPRsForWavesPerEU: 1
; NumVGPRsForWavesPerEU: 1
; NamedBarCnt: 0
; Occupancy: 16
; WaveLimiterHint : 0
; COMPUTE_PGM_RSRC2:SCRATCH_EN: 0
; COMPUTE_PGM_RSRC2:USER_SGPR: 2
; COMPUTE_PGM_RSRC2:TRAP_HANDLER: 0
; COMPUTE_PGM_RSRC2:TGID_X_EN: 1
; COMPUTE_PGM_RSRC2:TGID_Y_EN: 0
; COMPUTE_PGM_RSRC2:TGID_Z_EN: 0
; COMPUTE_PGM_RSRC2:TIDIG_COMP_CNT: 0
	.section	.text._ZN7rocprim17ROCPRIM_400000_NS6detail17trampoline_kernelINS0_14default_configENS1_25partition_config_selectorILNS1_17partition_subalgoE8ElNS0_10empty_typeEbEEZZNS1_14partition_implILS5_8ELb0ES3_jPlPS6_PKS6_NS0_5tupleIJS9_S6_EEENSD_IJSA_SA_EEENS0_18inequality_wrapperIZN2at6native12_GLOBAL__N_124unique_dim_cuda_templateIbEESt5tupleIJNSH_6TensorESM_SM_EERKSM_lbbbEUlllE0_EEPmJS6_EEE10hipError_tPvRmT3_T4_T5_T6_T7_T9_mT8_P12ihipStream_tbDpT10_ENKUlT_T0_E_clISt17integral_constantIbLb0EES1C_EEDaS17_S18_EUlS17_E_NS1_11comp_targetILNS1_3genE0ELNS1_11target_archE4294967295ELNS1_3gpuE0ELNS1_3repE0EEENS1_30default_config_static_selectorELNS0_4arch9wavefront6targetE0EEEvT1_,"axG",@progbits,_ZN7rocprim17ROCPRIM_400000_NS6detail17trampoline_kernelINS0_14default_configENS1_25partition_config_selectorILNS1_17partition_subalgoE8ElNS0_10empty_typeEbEEZZNS1_14partition_implILS5_8ELb0ES3_jPlPS6_PKS6_NS0_5tupleIJS9_S6_EEENSD_IJSA_SA_EEENS0_18inequality_wrapperIZN2at6native12_GLOBAL__N_124unique_dim_cuda_templateIbEESt5tupleIJNSH_6TensorESM_SM_EERKSM_lbbbEUlllE0_EEPmJS6_EEE10hipError_tPvRmT3_T4_T5_T6_T7_T9_mT8_P12ihipStream_tbDpT10_ENKUlT_T0_E_clISt17integral_constantIbLb0EES1C_EEDaS17_S18_EUlS17_E_NS1_11comp_targetILNS1_3genE0ELNS1_11target_archE4294967295ELNS1_3gpuE0ELNS1_3repE0EEENS1_30default_config_static_selectorELNS0_4arch9wavefront6targetE0EEEvT1_,comdat
	.globl	_ZN7rocprim17ROCPRIM_400000_NS6detail17trampoline_kernelINS0_14default_configENS1_25partition_config_selectorILNS1_17partition_subalgoE8ElNS0_10empty_typeEbEEZZNS1_14partition_implILS5_8ELb0ES3_jPlPS6_PKS6_NS0_5tupleIJS9_S6_EEENSD_IJSA_SA_EEENS0_18inequality_wrapperIZN2at6native12_GLOBAL__N_124unique_dim_cuda_templateIbEESt5tupleIJNSH_6TensorESM_SM_EERKSM_lbbbEUlllE0_EEPmJS6_EEE10hipError_tPvRmT3_T4_T5_T6_T7_T9_mT8_P12ihipStream_tbDpT10_ENKUlT_T0_E_clISt17integral_constantIbLb0EES1C_EEDaS17_S18_EUlS17_E_NS1_11comp_targetILNS1_3genE0ELNS1_11target_archE4294967295ELNS1_3gpuE0ELNS1_3repE0EEENS1_30default_config_static_selectorELNS0_4arch9wavefront6targetE0EEEvT1_ ; -- Begin function _ZN7rocprim17ROCPRIM_400000_NS6detail17trampoline_kernelINS0_14default_configENS1_25partition_config_selectorILNS1_17partition_subalgoE8ElNS0_10empty_typeEbEEZZNS1_14partition_implILS5_8ELb0ES3_jPlPS6_PKS6_NS0_5tupleIJS9_S6_EEENSD_IJSA_SA_EEENS0_18inequality_wrapperIZN2at6native12_GLOBAL__N_124unique_dim_cuda_templateIbEESt5tupleIJNSH_6TensorESM_SM_EERKSM_lbbbEUlllE0_EEPmJS6_EEE10hipError_tPvRmT3_T4_T5_T6_T7_T9_mT8_P12ihipStream_tbDpT10_ENKUlT_T0_E_clISt17integral_constantIbLb0EES1C_EEDaS17_S18_EUlS17_E_NS1_11comp_targetILNS1_3genE0ELNS1_11target_archE4294967295ELNS1_3gpuE0ELNS1_3repE0EEENS1_30default_config_static_selectorELNS0_4arch9wavefront6targetE0EEEvT1_
	.p2align	8
	.type	_ZN7rocprim17ROCPRIM_400000_NS6detail17trampoline_kernelINS0_14default_configENS1_25partition_config_selectorILNS1_17partition_subalgoE8ElNS0_10empty_typeEbEEZZNS1_14partition_implILS5_8ELb0ES3_jPlPS6_PKS6_NS0_5tupleIJS9_S6_EEENSD_IJSA_SA_EEENS0_18inequality_wrapperIZN2at6native12_GLOBAL__N_124unique_dim_cuda_templateIbEESt5tupleIJNSH_6TensorESM_SM_EERKSM_lbbbEUlllE0_EEPmJS6_EEE10hipError_tPvRmT3_T4_T5_T6_T7_T9_mT8_P12ihipStream_tbDpT10_ENKUlT_T0_E_clISt17integral_constantIbLb0EES1C_EEDaS17_S18_EUlS17_E_NS1_11comp_targetILNS1_3genE0ELNS1_11target_archE4294967295ELNS1_3gpuE0ELNS1_3repE0EEENS1_30default_config_static_selectorELNS0_4arch9wavefront6targetE0EEEvT1_,@function
_ZN7rocprim17ROCPRIM_400000_NS6detail17trampoline_kernelINS0_14default_configENS1_25partition_config_selectorILNS1_17partition_subalgoE8ElNS0_10empty_typeEbEEZZNS1_14partition_implILS5_8ELb0ES3_jPlPS6_PKS6_NS0_5tupleIJS9_S6_EEENSD_IJSA_SA_EEENS0_18inequality_wrapperIZN2at6native12_GLOBAL__N_124unique_dim_cuda_templateIbEESt5tupleIJNSH_6TensorESM_SM_EERKSM_lbbbEUlllE0_EEPmJS6_EEE10hipError_tPvRmT3_T4_T5_T6_T7_T9_mT8_P12ihipStream_tbDpT10_ENKUlT_T0_E_clISt17integral_constantIbLb0EES1C_EEDaS17_S18_EUlS17_E_NS1_11comp_targetILNS1_3genE0ELNS1_11target_archE4294967295ELNS1_3gpuE0ELNS1_3repE0EEENS1_30default_config_static_selectorELNS0_4arch9wavefront6targetE0EEEvT1_: ; @_ZN7rocprim17ROCPRIM_400000_NS6detail17trampoline_kernelINS0_14default_configENS1_25partition_config_selectorILNS1_17partition_subalgoE8ElNS0_10empty_typeEbEEZZNS1_14partition_implILS5_8ELb0ES3_jPlPS6_PKS6_NS0_5tupleIJS9_S6_EEENSD_IJSA_SA_EEENS0_18inequality_wrapperIZN2at6native12_GLOBAL__N_124unique_dim_cuda_templateIbEESt5tupleIJNSH_6TensorESM_SM_EERKSM_lbbbEUlllE0_EEPmJS6_EEE10hipError_tPvRmT3_T4_T5_T6_T7_T9_mT8_P12ihipStream_tbDpT10_ENKUlT_T0_E_clISt17integral_constantIbLb0EES1C_EEDaS17_S18_EUlS17_E_NS1_11comp_targetILNS1_3genE0ELNS1_11target_archE4294967295ELNS1_3gpuE0ELNS1_3repE0EEENS1_30default_config_static_selectorELNS0_4arch9wavefront6targetE0EEEvT1_
; %bb.0:
	s_clause 0x3
	s_load_b128 s[4:7], s[0:1], 0x8
	s_load_b256 s[12:19], s[0:1], 0x40
	s_load_b32 s26, s[0:1], 0x70
	s_load_b128 s[8:11], s[0:1], 0x60
	s_bfe_u32 s20, ttmp6, 0x4000c
	s_and_b32 s2, ttmp6, 15
	s_add_co_i32 s20, s20, 1
	s_mov_b32 s3, 0
	s_mul_i32 s20, ttmp9, s20
	s_getreg_b32 s21, hwreg(HW_REG_IB_STS2, 6, 4)
	s_add_co_i32 s22, s2, s20
	s_mov_b32 s27, s3
	v_dual_mov_b32 v1, v0 :: v_dual_lshlrev_b32 v18, 3, v0
	s_mov_b32 s23, -1
	s_wait_kmcnt 0x0
	s_lshl_b64 s[24:25], s[6:7], 3
	s_load_b64 s[14:15], s[14:15], 0x0
	s_mul_i32 s2, s26, 0xe00
	s_cmp_eq_u32 s21, 0
	s_add_nc_u64 s[20:21], s[6:7], s[2:3]
	s_cselect_b32 s22, ttmp9, s22
	s_add_co_i32 s2, s2, s6
	v_cmp_le_u64_e64 s17, s[16:17], s[20:21]
	s_add_co_i32 s26, s26, -1
	s_sub_co_i32 s16, s16, s2
	s_cmp_eq_u32 s22, s26
	s_add_nc_u64 s[2:3], s[4:5], s[24:25]
	s_cselect_b32 s20, -1, 0
	s_mul_i32 s26, s22, 0xe00
	s_and_b32 s24, s20, s17
	s_lshl_b64 s[4:5], s[26:27], 3
	s_xor_b32 s21, s24, -1
	s_add_nc_u64 s[2:3], s[2:3], s[4:5]
	s_and_b32 vcc_lo, exec_lo, s21
	s_cbranch_vccz .LBB1051_2
; %bb.1:
	s_clause 0x6
	global_load_b64 v[2:3], v0, s[2:3] scale_offset
	global_load_b64 v[4:5], v0, s[2:3] offset:4096 scale_offset
	global_load_b64 v[6:7], v0, s[2:3] offset:8192 scale_offset
	;; [unrolled: 1-line block ×6, first 2 shown]
	v_lshlrev_b32_e32 v16, 3, v0
	s_mov_b32 s23, 0
	s_wait_loadcnt 0x5
	ds_store_2addr_stride64_b64 v16, v[2:3], v[4:5] offset1:8
	s_wait_loadcnt 0x3
	ds_store_2addr_stride64_b64 v16, v[6:7], v[8:9] offset0:16 offset1:24
	s_wait_loadcnt 0x1
	ds_store_2addr_stride64_b64 v16, v[10:11], v[12:13] offset0:32 offset1:40
	s_wait_loadcnt 0x0
	ds_store_b64 v16, v[14:15] offset:24576
	s_wait_dscnt 0x0
	s_barrier_signal -1
	s_barrier_wait -1
.LBB1051_2:
	s_and_not1_b32 vcc_lo, exec_lo, s23
	s_add_co_i32 s23, s16, 0xe00
	s_cbranch_vccnz .LBB1051_18
; %bb.3:
	v_mov_b32_e32 v2, 0
	s_mov_b32 s4, exec_lo
	s_delay_alu instid0(VALU_DEP_1)
	v_dual_mov_b32 v3, v2 :: v_dual_mov_b32 v4, v2
	v_dual_mov_b32 v5, v2 :: v_dual_mov_b32 v6, v2
	;; [unrolled: 1-line block ×6, first 2 shown]
	v_mov_b32_e32 v15, v2
	v_cmpx_gt_u32_e64 s23, v0
	s_cbranch_execz .LBB1051_5
; %bb.4:
	global_load_b64 v[4:5], v0, s[2:3] scale_offset
	v_dual_mov_b32 v6, v2 :: v_dual_mov_b32 v7, v2
	v_dual_mov_b32 v8, v2 :: v_dual_mov_b32 v9, v2
	;; [unrolled: 1-line block ×6, first 2 shown]
	s_wait_loadcnt 0x0
	v_mov_b64_e32 v[2:3], v[4:5]
	v_mov_b64_e32 v[4:5], v[6:7]
	;; [unrolled: 1-line block ×8, first 2 shown]
.LBB1051_5:
	s_or_b32 exec_lo, exec_lo, s4
	v_or_b32_e32 v16, 0x200, v0
	s_mov_b32 s4, exec_lo
	s_delay_alu instid0(VALU_DEP_1)
	v_cmpx_gt_u32_e64 s23, v16
	s_cbranch_execz .LBB1051_7
; %bb.6:
	global_load_b64 v[4:5], v0, s[2:3] offset:4096 scale_offset
.LBB1051_7:
	s_wait_xcnt 0x0
	s_or_b32 exec_lo, exec_lo, s4
	v_or_b32_e32 v16, 0x400, v0
	s_mov_b32 s4, exec_lo
	s_delay_alu instid0(VALU_DEP_1)
	v_cmpx_gt_u32_e64 s23, v16
	s_cbranch_execz .LBB1051_9
; %bb.8:
	global_load_b64 v[6:7], v0, s[2:3] offset:8192 scale_offset
.LBB1051_9:
	s_wait_xcnt 0x0
	;; [unrolled: 10-line block ×6, first 2 shown]
	s_or_b32 exec_lo, exec_lo, s4
	v_lshlrev_b32_e32 v16, 3, v0
	s_wait_loadcnt 0x0
	ds_store_2addr_stride64_b64 v16, v[2:3], v[4:5] offset1:8
	ds_store_2addr_stride64_b64 v16, v[6:7], v[8:9] offset0:16 offset1:24
	ds_store_2addr_stride64_b64 v16, v[10:11], v[12:13] offset0:32 offset1:40
	ds_store_b64 v16, v[14:15] offset:24576
	s_wait_dscnt 0x0
	s_barrier_signal -1
	s_barrier_wait -1
.LBB1051_18:
	v_mul_u32_u24_e32 v19, 7, v0
	s_cmp_lg_u32 s22, 0
	v_cmp_lt_i64_e64 s26, s[18:19], 1
	s_cselect_b32 s25, -1, 0
	v_lshlrev_b32_e32 v26, 3, v19
	s_cmp_lg_u64 s[6:7], 0
	v_cmp_gt_i64_e64 s6, s[18:19], 0
	s_cselect_b32 s4, -1, 0
	s_mov_b32 s16, 0
	ds_load_2addr_b64 v[10:13], v26 offset1:1
	ds_load_2addr_b64 v[6:9], v26 offset0:2 offset1:3
	ds_load_2addr_b64 v[2:5], v26 offset0:4 offset1:5
	ds_load_b64 v[14:15], v26 offset:48
	s_or_b32 s4, s25, s4
	s_wait_dscnt 0x0
	s_and_b32 vcc_lo, exec_lo, s4
	s_barrier_signal -1
	s_barrier_wait -1
	s_cbranch_vccz .LBB1051_28
; %bb.19:
	s_add_nc_u64 s[2:3], s[2:3], -8
	v_lshlrev_b32_e32 v27, 3, v0
	s_load_b64 s[4:5], s[2:3], 0x0
	s_and_b32 vcc_lo, exec_lo, s21
	ds_store_b64 v27, v[14:15]
	s_cbranch_vccz .LBB1051_30
; %bb.20:
	v_cndmask_b32_e64 v28, 0, 1, s6
	s_and_not1_b32 vcc_lo, exec_lo, s6
	s_cbranch_vccnz .LBB1051_31
; %bb.21:
	v_mad_nc_u64_u32 v[16:17], v4, s18, s[8:9]
	v_mad_nc_u64_u32 v[20:21], v14, s18, s[8:9]
	s_add_nc_u64 s[6:7], s[18:19], -1
	s_wait_xcnt 0x0
	s_mov_b32 s3, 0
	s_mov_b64 s[16:17], s[6:7]
                                        ; implicit-def: $sgpr27
	s_delay_alu instid0(VALU_DEP_2) | instskip(NEXT) | instid1(VALU_DEP_2)
	v_mad_u32 v17, v5, s18, v17
	v_mad_u32 v21, v15, s18, v21
	s_delay_alu instid0(VALU_DEP_2) | instskip(NEXT) | instid1(VALU_DEP_2)
	v_mad_u32 v17, v4, s19, v17
	v_mad_u32 v21, v14, s19, v21
	s_delay_alu instid0(VALU_DEP_2)
	v_mov_b64_e32 v[22:23], v[16:17]
.LBB1051_22:                            ; =>This Inner Loop Header: Depth=1
	global_load_u8 v24, v[22:23], off
	global_load_u8 v25, v[20:21], off
	s_wait_xcnt 0x1
	v_add_nc_u64_e32 v[22:23], 1, v[22:23]
	s_wait_xcnt 0x0
	v_add_nc_u64_e32 v[20:21], 1, v[20:21]
	s_wait_loadcnt 0x1
	v_cmp_ne_u16_e32 vcc_lo, 0, v24
	s_wait_loadcnt 0x0
	v_cmp_ne_u16_e64 s2, 0, v25
	s_xor_b32 s2, vcc_lo, s2
	s_cmp_eq_u64 s[16:17], 0
	s_add_nc_u64 s[16:17], s[16:17], -1
	s_cselect_b32 s28, -1, 0
	s_delay_alu instid0(SALU_CYCLE_1) | instskip(NEXT) | instid1(SALU_CYCLE_1)
	s_or_b32 s28, s2, s28
	s_and_b32 s28, exec_lo, s28
	s_delay_alu instid0(SALU_CYCLE_1) | instskip(SKIP_2) | instid1(SALU_CYCLE_1)
	s_or_b32 s3, s28, s3
	s_and_not1_b32 s27, s27, exec_lo
	s_and_b32 s2, s2, exec_lo
	s_or_b32 s27, s27, s2
	s_and_not1_b32 exec_lo, exec_lo, s3
	s_cbranch_execnz .LBB1051_22
; %bb.23:
	s_or_b32 exec_lo, exec_lo, s3
	v_mad_nc_u64_u32 v[20:21], v2, s18, s[8:9]
	s_mov_b32 s16, 0
                                        ; implicit-def: $sgpr3
	s_delay_alu instid0(VALU_DEP_1) | instskip(NEXT) | instid1(VALU_DEP_1)
	v_mad_u32 v21, v3, s18, v21
	v_mad_u32 v21, v2, s19, v21
.LBB1051_24:                            ; =>This Inner Loop Header: Depth=1
	global_load_u8 v22, v[20:21], off
	global_load_u8 v23, v[16:17], off
	s_wait_xcnt 0x1
	v_add_nc_u64_e32 v[20:21], 1, v[20:21]
	s_wait_xcnt 0x0
	v_add_nc_u64_e32 v[16:17], 1, v[16:17]
	s_wait_loadcnt 0x1
	v_cmp_ne_u16_e32 vcc_lo, 0, v22
	s_wait_loadcnt 0x0
	v_cmp_ne_u16_e64 s2, 0, v23
	s_xor_b32 s2, vcc_lo, s2
	s_cmp_eq_u64 s[6:7], 0
	s_add_nc_u64 s[6:7], s[6:7], -1
	s_cselect_b32 s17, -1, 0
	s_delay_alu instid0(SALU_CYCLE_1) | instskip(NEXT) | instid1(SALU_CYCLE_1)
	s_or_b32 s17, s2, s17
	s_and_b32 s17, exec_lo, s17
	s_delay_alu instid0(SALU_CYCLE_1) | instskip(SKIP_2) | instid1(SALU_CYCLE_1)
	s_or_b32 s16, s17, s16
	s_and_not1_b32 s3, s3, exec_lo
	s_and_b32 s2, s2, exec_lo
	s_or_b32 s3, s3, s2
	s_and_not1_b32 exec_lo, exec_lo, s16
	s_cbranch_execnz .LBB1051_24
; %bb.25:
	s_or_b32 exec_lo, exec_lo, s16
	v_cndmask_b32_e64 v30, 0, 1, s27
	v_cmp_ne_u32_e32 vcc_lo, 1, v28
	s_cbranch_vccz .LBB1051_32
.LBB1051_26:
	v_mov_b32_e32 v17, 0
	s_mov_b32 s27, 0
	v_cmp_ne_u32_e32 vcc_lo, 1, v28
	s_cbranch_vccz .LBB1051_37
.LBB1051_27:
	v_mov_b32_e32 v16, 0
	s_mov_b32 s16, 0
	s_branch .LBB1051_42
.LBB1051_28:
                                        ; implicit-def: $sgpr17
                                        ; implicit-def: $vgpr30
                                        ; implicit-def: $vgpr21
                                        ; implicit-def: $vgpr17
                                        ; implicit-def: $vgpr22
	s_branch .LBB1051_81
.LBB1051_29:
                                        ; implicit-def: $vgpr32
                                        ; implicit-def: $vgpr31
                                        ; implicit-def: $vgpr20
	s_branch .LBB1051_140
.LBB1051_30:
	s_wait_xcnt 0x0
                                        ; implicit-def: $sgpr17
                                        ; implicit-def: $vgpr30
                                        ; implicit-def: $vgpr21
                                        ; implicit-def: $vgpr17
                                        ; implicit-def: $vgpr22
	s_cbranch_execnz .LBB1051_49
	s_branch .LBB1051_80
.LBB1051_31:
	v_mov_b32_e32 v30, 0
	s_wait_xcnt 0x0
	s_mov_b32 s3, 0
	v_cmp_ne_u32_e32 vcc_lo, 1, v28
	s_cbranch_vccnz .LBB1051_26
.LBB1051_32:
	v_mad_nc_u64_u32 v[16:17], v8, s18, s[8:9]
	v_mad_nc_u64_u32 v[20:21], v2, s18, s[8:9]
	s_add_nc_u64 s[6:7], s[18:19], -1
	s_mov_b32 s27, 0
	s_mov_b64 s[16:17], s[6:7]
                                        ; implicit-def: $sgpr28
	s_delay_alu instid0(VALU_DEP_2) | instskip(NEXT) | instid1(VALU_DEP_2)
	v_mad_u32 v17, v9, s18, v17
	v_mad_u32 v21, v3, s18, v21
	s_delay_alu instid0(VALU_DEP_2) | instskip(NEXT) | instid1(VALU_DEP_2)
	v_mad_u32 v17, v8, s19, v17
	v_mad_u32 v21, v2, s19, v21
	s_delay_alu instid0(VALU_DEP_2)
	v_mov_b64_e32 v[22:23], v[16:17]
.LBB1051_33:                            ; =>This Inner Loop Header: Depth=1
	global_load_u8 v24, v[22:23], off
	global_load_u8 v25, v[20:21], off
	s_wait_xcnt 0x1
	v_add_nc_u64_e32 v[22:23], 1, v[22:23]
	s_wait_xcnt 0x0
	v_add_nc_u64_e32 v[20:21], 1, v[20:21]
	s_wait_loadcnt 0x1
	v_cmp_ne_u16_e32 vcc_lo, 0, v24
	s_wait_loadcnt 0x0
	v_cmp_ne_u16_e64 s2, 0, v25
	s_xor_b32 s2, vcc_lo, s2
	s_cmp_eq_u64 s[16:17], 0
	s_add_nc_u64 s[16:17], s[16:17], -1
	s_cselect_b32 s29, -1, 0
	s_delay_alu instid0(SALU_CYCLE_1) | instskip(NEXT) | instid1(SALU_CYCLE_1)
	s_or_b32 s29, s2, s29
	s_and_b32 s29, exec_lo, s29
	s_delay_alu instid0(SALU_CYCLE_1) | instskip(SKIP_2) | instid1(SALU_CYCLE_1)
	s_or_b32 s27, s29, s27
	s_and_not1_b32 s28, s28, exec_lo
	s_and_b32 s2, s2, exec_lo
	s_or_b32 s28, s28, s2
	s_and_not1_b32 exec_lo, exec_lo, s27
	s_cbranch_execnz .LBB1051_33
; %bb.34:
	s_or_b32 exec_lo, exec_lo, s27
	v_mad_nc_u64_u32 v[20:21], v6, s18, s[8:9]
	s_mov_b32 s16, 0
                                        ; implicit-def: $sgpr27
	s_delay_alu instid0(VALU_DEP_1) | instskip(NEXT) | instid1(VALU_DEP_1)
	v_mad_u32 v21, v7, s18, v21
	v_mad_u32 v21, v6, s19, v21
.LBB1051_35:                            ; =>This Inner Loop Header: Depth=1
	global_load_u8 v22, v[20:21], off
	global_load_u8 v23, v[16:17], off
	s_wait_xcnt 0x1
	v_add_nc_u64_e32 v[20:21], 1, v[20:21]
	s_wait_xcnt 0x0
	v_add_nc_u64_e32 v[16:17], 1, v[16:17]
	s_wait_loadcnt 0x1
	v_cmp_ne_u16_e32 vcc_lo, 0, v22
	s_wait_loadcnt 0x0
	v_cmp_ne_u16_e64 s2, 0, v23
	s_xor_b32 s2, vcc_lo, s2
	s_cmp_eq_u64 s[6:7], 0
	s_add_nc_u64 s[6:7], s[6:7], -1
	s_cselect_b32 s17, -1, 0
	s_delay_alu instid0(SALU_CYCLE_1) | instskip(NEXT) | instid1(SALU_CYCLE_1)
	s_or_b32 s17, s2, s17
	s_and_b32 s17, exec_lo, s17
	s_delay_alu instid0(SALU_CYCLE_1) | instskip(SKIP_2) | instid1(SALU_CYCLE_1)
	s_or_b32 s16, s17, s16
	s_and_not1_b32 s17, s27, exec_lo
	s_and_b32 s2, s2, exec_lo
	s_or_b32 s27, s17, s2
	s_and_not1_b32 exec_lo, exec_lo, s16
	s_cbranch_execnz .LBB1051_35
; %bb.36:
	s_or_b32 exec_lo, exec_lo, s16
	v_cndmask_b32_e64 v17, 0, 1, s28
	v_cmp_ne_u32_e32 vcc_lo, 1, v28
	s_cbranch_vccnz .LBB1051_27
.LBB1051_37:
	v_mad_nc_u64_u32 v[20:21], v12, s18, s[8:9]
	v_mad_nc_u64_u32 v[22:23], v6, s18, s[8:9]
	s_add_nc_u64 s[6:7], s[18:19], -1
	s_mov_b32 s29, 0
	s_mov_b64 s[16:17], s[6:7]
                                        ; implicit-def: $sgpr28
	s_delay_alu instid0(VALU_DEP_2) | instskip(NEXT) | instid1(VALU_DEP_2)
	v_mad_u32 v16, v13, s18, v21
	v_mad_u32 v23, v7, s18, v23
	s_delay_alu instid0(VALU_DEP_2) | instskip(NEXT) | instid1(VALU_DEP_2)
	v_mad_u32 v21, v12, s19, v16
	v_mad_u32 v23, v6, s19, v23
	s_delay_alu instid0(VALU_DEP_2)
	v_mov_b64_e32 v[24:25], v[20:21]
.LBB1051_38:                            ; =>This Inner Loop Header: Depth=1
	global_load_u8 v16, v[24:25], off
	global_load_u8 v29, v[22:23], off
	s_wait_xcnt 0x1
	v_add_nc_u64_e32 v[24:25], 1, v[24:25]
	s_wait_xcnt 0x0
	v_add_nc_u64_e32 v[22:23], 1, v[22:23]
	s_wait_loadcnt 0x1
	v_cmp_ne_u16_e32 vcc_lo, 0, v16
	s_wait_loadcnt 0x0
	v_cmp_ne_u16_e64 s2, 0, v29
	s_xor_b32 s2, vcc_lo, s2
	s_cmp_eq_u64 s[16:17], 0
	s_add_nc_u64 s[16:17], s[16:17], -1
	s_cselect_b32 s30, -1, 0
	s_delay_alu instid0(SALU_CYCLE_1) | instskip(NEXT) | instid1(SALU_CYCLE_1)
	s_or_b32 s30, s2, s30
	s_and_b32 s30, exec_lo, s30
	s_delay_alu instid0(SALU_CYCLE_1) | instskip(SKIP_2) | instid1(SALU_CYCLE_1)
	s_or_b32 s29, s30, s29
	s_and_not1_b32 s28, s28, exec_lo
	s_and_b32 s2, s2, exec_lo
	s_or_b32 s28, s28, s2
	s_and_not1_b32 exec_lo, exec_lo, s29
	s_cbranch_execnz .LBB1051_38
; %bb.39:
	s_or_b32 exec_lo, exec_lo, s29
	v_mad_nc_u64_u32 v[22:23], v10, s18, s[8:9]
	s_mov_b32 s17, 0
                                        ; implicit-def: $sgpr16
	s_delay_alu instid0(VALU_DEP_1) | instskip(NEXT) | instid1(VALU_DEP_1)
	v_mad_u32 v16, v11, s18, v23
	v_mad_u32 v23, v10, s19, v16
.LBB1051_40:                            ; =>This Inner Loop Header: Depth=1
	global_load_u8 v16, v[22:23], off
	global_load_u8 v24, v[20:21], off
	s_wait_xcnt 0x1
	v_add_nc_u64_e32 v[22:23], 1, v[22:23]
	s_wait_xcnt 0x0
	v_add_nc_u64_e32 v[20:21], 1, v[20:21]
	s_wait_loadcnt 0x1
	v_cmp_ne_u16_e32 vcc_lo, 0, v16
	s_wait_loadcnt 0x0
	v_cmp_ne_u16_e64 s2, 0, v24
	s_xor_b32 s2, vcc_lo, s2
	s_cmp_eq_u64 s[6:7], 0
	s_add_nc_u64 s[6:7], s[6:7], -1
	s_cselect_b32 s29, -1, 0
	s_delay_alu instid0(SALU_CYCLE_1) | instskip(NEXT) | instid1(SALU_CYCLE_1)
	s_or_b32 s29, s2, s29
	s_and_b32 s29, exec_lo, s29
	s_delay_alu instid0(SALU_CYCLE_1) | instskip(SKIP_2) | instid1(SALU_CYCLE_1)
	s_or_b32 s17, s29, s17
	s_and_not1_b32 s16, s16, exec_lo
	s_and_b32 s2, s2, exec_lo
	s_or_b32 s16, s16, s2
	s_and_not1_b32 exec_lo, exec_lo, s17
	s_cbranch_execnz .LBB1051_40
; %bb.41:
	s_or_b32 exec_lo, exec_lo, s17
	v_cndmask_b32_e64 v16, 0, 1, s28
.LBB1051_42:
	s_wait_kmcnt 0x0
	v_mov_b64_e32 v[24:25], s[4:5]
	s_mov_b32 s17, 0
	s_mov_b32 s2, exec_lo
	s_wait_dscnt 0x0
	s_barrier_signal -1
	s_barrier_wait -1
	v_cmpx_ne_u32_e32 0, v0
; %bb.43:
	v_add_nc_u32_e32 v20, -8, v27
	ds_load_b64 v[24:25], v20
; %bb.44:
	s_or_b32 exec_lo, exec_lo, s2
	v_cndmask_b32_e64 v20, 0, 1, s27
	v_cndmask_b32_e64 v21, 0, 1, s16
	v_cmp_ne_u32_e32 vcc_lo, 1, v28
	s_delay_alu instid0(VALU_DEP_3) | instskip(NEXT) | instid1(VALU_DEP_3)
	v_lshlrev_b16 v20, 8, v20
	v_lshlrev_b16 v21, 8, v21
	s_delay_alu instid0(VALU_DEP_2) | instskip(NEXT) | instid1(VALU_DEP_2)
	v_or_b32_e32 v20, v16, v20
	v_and_b32_e32 v16, 0xffff, v21
	s_delay_alu instid0(VALU_DEP_2)
	v_lshlrev_b32_e32 v28, 16, v20
	s_cbranch_vccnz .LBB1051_48
; %bb.45:
	s_wait_dscnt 0x0
	v_mad_nc_u64_u32 v[20:21], v24, s18, s[8:9]
	v_mad_nc_u64_u32 v[22:23], v10, s18, s[8:9]
	s_add_nc_u64 s[6:7], s[18:19], -1
	s_mov_b32 s16, 0
                                        ; implicit-def: $sgpr17
	s_delay_alu instid0(VALU_DEP_2) | instskip(NEXT) | instid1(VALU_DEP_2)
	v_mad_u32 v21, v25, s18, v21
	v_mad_u32 v23, v11, s18, v23
	s_delay_alu instid0(VALU_DEP_2) | instskip(NEXT) | instid1(VALU_DEP_2)
	v_mad_u32 v21, v24, s19, v21
	v_mad_u32 v23, v10, s19, v23
.LBB1051_46:                            ; =>This Inner Loop Header: Depth=1
	global_load_u8 v24, v[20:21], off
	global_load_u8 v25, v[22:23], off
	s_wait_xcnt 0x1
	v_add_nc_u64_e32 v[20:21], 1, v[20:21]
	s_wait_xcnt 0x0
	v_add_nc_u64_e32 v[22:23], 1, v[22:23]
	s_wait_loadcnt 0x1
	v_cmp_ne_u16_e32 vcc_lo, 0, v24
	s_wait_loadcnt 0x0
	v_cmp_ne_u16_e64 s2, 0, v25
	s_xor_b32 s2, vcc_lo, s2
	s_cmp_eq_u64 s[6:7], 0
	s_add_nc_u64 s[6:7], s[6:7], -1
	s_cselect_b32 s27, -1, 0
	s_delay_alu instid0(SALU_CYCLE_1) | instskip(NEXT) | instid1(SALU_CYCLE_1)
	s_or_b32 s27, s2, s27
	s_and_b32 s27, exec_lo, s27
	s_delay_alu instid0(SALU_CYCLE_1) | instskip(SKIP_2) | instid1(SALU_CYCLE_1)
	s_or_b32 s16, s27, s16
	s_and_not1_b32 s17, s17, exec_lo
	s_and_b32 s2, s2, exec_lo
	s_or_b32 s17, s17, s2
	s_and_not1_b32 exec_lo, exec_lo, s16
	s_cbranch_execnz .LBB1051_46
; %bb.47:
	s_or_b32 exec_lo, exec_lo, s16
.LBB1051_48:
	v_cndmask_b32_e64 v21, 0, 1, s3
	s_delay_alu instid0(VALU_DEP_2)
	v_or_b32_e32 v22, v16, v28
	s_branch .LBB1051_80
.LBB1051_49:
	v_add_nc_u32_e32 v16, 6, v19
	s_xor_b32 s16, s26, -1
	s_mov_b32 s3, 0
	s_delay_alu instid0(VALU_DEP_1) | instskip(SKIP_1) | instid1(SALU_CYCLE_1)
	v_cmp_gt_u32_e32 vcc_lo, s23, v16
	s_and_b32 s2, vcc_lo, s16
	s_and_saveexec_b32 s17, s2
	s_cbranch_execz .LBB1051_53
; %bb.50:
	v_mad_nc_u64_u32 v[16:17], v4, s18, s[8:9]
	v_mad_nc_u64_u32 v[20:21], v14, s18, s[8:9]
	s_add_nc_u64 s[6:7], s[18:19], -1
                                        ; implicit-def: $sgpr26
	s_delay_alu instid0(VALU_DEP_2) | instskip(NEXT) | instid1(VALU_DEP_2)
	v_mad_u32 v17, v5, s18, v17
	v_mad_u32 v21, v15, s18, v21
	s_delay_alu instid0(VALU_DEP_2) | instskip(NEXT) | instid1(VALU_DEP_2)
	v_mad_u32 v17, v4, s19, v17
	v_mad_u32 v21, v14, s19, v21
.LBB1051_51:                            ; =>This Inner Loop Header: Depth=1
	global_load_u8 v22, v[16:17], off
	global_load_u8 v23, v[20:21], off
	s_wait_xcnt 0x1
	v_add_nc_u64_e32 v[16:17], 1, v[16:17]
	s_wait_xcnt 0x0
	v_add_nc_u64_e32 v[20:21], 1, v[20:21]
	s_wait_loadcnt 0x1
	v_cmp_ne_u16_e32 vcc_lo, 0, v22
	s_wait_loadcnt 0x0
	v_cmp_ne_u16_e64 s2, 0, v23
	s_xor_b32 s2, vcc_lo, s2
	s_cmp_eq_u64 s[6:7], 0
	s_add_nc_u64 s[6:7], s[6:7], -1
	s_cselect_b32 s27, -1, 0
	s_delay_alu instid0(SALU_CYCLE_1) | instskip(NEXT) | instid1(SALU_CYCLE_1)
	s_or_b32 s27, s2, s27
	s_and_b32 s27, exec_lo, s27
	s_delay_alu instid0(SALU_CYCLE_1) | instskip(SKIP_2) | instid1(SALU_CYCLE_1)
	s_or_b32 s3, s27, s3
	s_and_not1_b32 s26, s26, exec_lo
	s_and_b32 s2, s2, exec_lo
	s_or_b32 s26, s26, s2
	s_and_not1_b32 exec_lo, exec_lo, s3
	s_cbranch_execnz .LBB1051_51
; %bb.52:
	s_or_b32 exec_lo, exec_lo, s3
	s_delay_alu instid0(SALU_CYCLE_1)
	s_and_b32 s3, s26, exec_lo
.LBB1051_53:
	s_or_b32 exec_lo, exec_lo, s17
	v_add_nc_u32_e32 v16, 5, v19
	s_mov_b32 s26, 0
	s_delay_alu instid0(VALU_DEP_1) | instskip(SKIP_1) | instid1(SALU_CYCLE_1)
	v_cmp_gt_u32_e32 vcc_lo, s23, v16
	s_and_b32 s2, vcc_lo, s16
	s_and_saveexec_b32 s17, s2
	s_cbranch_execz .LBB1051_57
; %bb.54:
	v_mad_nc_u64_u32 v[16:17], v2, s18, s[8:9]
	v_mad_nc_u64_u32 v[20:21], v4, s18, s[8:9]
	s_add_nc_u64 s[6:7], s[18:19], -1
                                        ; implicit-def: $sgpr27
	s_delay_alu instid0(VALU_DEP_2) | instskip(NEXT) | instid1(VALU_DEP_2)
	v_mad_u32 v17, v3, s18, v17
	v_mad_u32 v21, v5, s18, v21
	s_delay_alu instid0(VALU_DEP_2) | instskip(NEXT) | instid1(VALU_DEP_2)
	v_mad_u32 v17, v2, s19, v17
	v_mad_u32 v21, v4, s19, v21
.LBB1051_55:                            ; =>This Inner Loop Header: Depth=1
	global_load_u8 v22, v[16:17], off
	global_load_u8 v23, v[20:21], off
	s_wait_xcnt 0x1
	v_add_nc_u64_e32 v[16:17], 1, v[16:17]
	s_wait_xcnt 0x0
	v_add_nc_u64_e32 v[20:21], 1, v[20:21]
	s_wait_loadcnt 0x1
	v_cmp_ne_u16_e32 vcc_lo, 0, v22
	s_wait_loadcnt 0x0
	v_cmp_ne_u16_e64 s2, 0, v23
	s_xor_b32 s2, vcc_lo, s2
	s_cmp_eq_u64 s[6:7], 0
	s_add_nc_u64 s[6:7], s[6:7], -1
	s_cselect_b32 s28, -1, 0
	s_delay_alu instid0(SALU_CYCLE_1) | instskip(NEXT) | instid1(SALU_CYCLE_1)
	s_or_b32 s28, s2, s28
	s_and_b32 s28, exec_lo, s28
	s_delay_alu instid0(SALU_CYCLE_1) | instskip(SKIP_2) | instid1(SALU_CYCLE_1)
	s_or_b32 s26, s28, s26
	s_and_not1_b32 s27, s27, exec_lo
	s_and_b32 s2, s2, exec_lo
	s_or_b32 s27, s27, s2
	s_and_not1_b32 exec_lo, exec_lo, s26
	s_cbranch_execnz .LBB1051_55
; %bb.56:
	s_or_b32 exec_lo, exec_lo, s26
	s_delay_alu instid0(SALU_CYCLE_1)
	s_and_b32 s26, s27, exec_lo
.LBB1051_57:
	s_or_b32 exec_lo, exec_lo, s17
	v_add_nc_u32_e32 v16, 4, v19
	s_mov_b32 s27, 0
	s_delay_alu instid0(VALU_DEP_1) | instskip(SKIP_1) | instid1(SALU_CYCLE_1)
	v_cmp_gt_u32_e32 vcc_lo, s23, v16
	s_and_b32 s2, vcc_lo, s16
	s_and_saveexec_b32 s17, s2
	s_cbranch_execz .LBB1051_61
; %bb.58:
	v_mad_nc_u64_u32 v[16:17], v8, s18, s[8:9]
	v_mad_nc_u64_u32 v[20:21], v2, s18, s[8:9]
	s_add_nc_u64 s[6:7], s[18:19], -1
                                        ; implicit-def: $sgpr28
	s_delay_alu instid0(VALU_DEP_2) | instskip(NEXT) | instid1(VALU_DEP_2)
	v_mad_u32 v17, v9, s18, v17
	v_mad_u32 v21, v3, s18, v21
	s_delay_alu instid0(VALU_DEP_2) | instskip(NEXT) | instid1(VALU_DEP_2)
	v_mad_u32 v17, v8, s19, v17
	v_mad_u32 v21, v2, s19, v21
.LBB1051_59:                            ; =>This Inner Loop Header: Depth=1
	global_load_u8 v22, v[16:17], off
	global_load_u8 v23, v[20:21], off
	s_wait_xcnt 0x1
	v_add_nc_u64_e32 v[16:17], 1, v[16:17]
	s_wait_xcnt 0x0
	v_add_nc_u64_e32 v[20:21], 1, v[20:21]
	s_wait_loadcnt 0x1
	v_cmp_ne_u16_e32 vcc_lo, 0, v22
	s_wait_loadcnt 0x0
	v_cmp_ne_u16_e64 s2, 0, v23
	s_xor_b32 s2, vcc_lo, s2
	s_cmp_eq_u64 s[6:7], 0
	s_add_nc_u64 s[6:7], s[6:7], -1
	s_cselect_b32 s29, -1, 0
	s_delay_alu instid0(SALU_CYCLE_1) | instskip(NEXT) | instid1(SALU_CYCLE_1)
	s_or_b32 s29, s2, s29
	s_and_b32 s29, exec_lo, s29
	s_delay_alu instid0(SALU_CYCLE_1) | instskip(SKIP_2) | instid1(SALU_CYCLE_1)
	s_or_b32 s27, s29, s27
	s_and_not1_b32 s28, s28, exec_lo
	s_and_b32 s2, s2, exec_lo
	s_or_b32 s28, s28, s2
	s_and_not1_b32 exec_lo, exec_lo, s27
	s_cbranch_execnz .LBB1051_59
; %bb.60:
	s_or_b32 exec_lo, exec_lo, s27
	s_delay_alu instid0(SALU_CYCLE_1)
	s_and_b32 s27, s28, exec_lo
.LBB1051_61:
	s_or_b32 exec_lo, exec_lo, s17
	v_add_nc_u32_e32 v16, 3, v19
	s_mov_b32 s28, 0
	s_delay_alu instid0(VALU_DEP_1) | instskip(SKIP_1) | instid1(SALU_CYCLE_1)
	v_cmp_gt_u32_e32 vcc_lo, s23, v16
	s_and_b32 s2, vcc_lo, s16
	s_and_saveexec_b32 s17, s2
	s_cbranch_execz .LBB1051_65
; %bb.62:
	v_mad_nc_u64_u32 v[16:17], v6, s18, s[8:9]
	v_mad_nc_u64_u32 v[20:21], v8, s18, s[8:9]
	s_add_nc_u64 s[6:7], s[18:19], -1
                                        ; implicit-def: $sgpr29
	s_delay_alu instid0(VALU_DEP_2) | instskip(NEXT) | instid1(VALU_DEP_2)
	v_mad_u32 v17, v7, s18, v17
	v_mad_u32 v21, v9, s18, v21
	s_delay_alu instid0(VALU_DEP_2) | instskip(NEXT) | instid1(VALU_DEP_2)
	v_mad_u32 v17, v6, s19, v17
	v_mad_u32 v21, v8, s19, v21
.LBB1051_63:                            ; =>This Inner Loop Header: Depth=1
	global_load_u8 v22, v[16:17], off
	global_load_u8 v23, v[20:21], off
	s_wait_xcnt 0x1
	v_add_nc_u64_e32 v[16:17], 1, v[16:17]
	s_wait_xcnt 0x0
	v_add_nc_u64_e32 v[20:21], 1, v[20:21]
	s_wait_loadcnt 0x1
	v_cmp_ne_u16_e32 vcc_lo, 0, v22
	s_wait_loadcnt 0x0
	v_cmp_ne_u16_e64 s2, 0, v23
	s_xor_b32 s2, vcc_lo, s2
	s_cmp_eq_u64 s[6:7], 0
	s_add_nc_u64 s[6:7], s[6:7], -1
	s_cselect_b32 s30, -1, 0
	s_delay_alu instid0(SALU_CYCLE_1) | instskip(NEXT) | instid1(SALU_CYCLE_1)
	s_or_b32 s30, s2, s30
	s_and_b32 s30, exec_lo, s30
	s_delay_alu instid0(SALU_CYCLE_1) | instskip(SKIP_2) | instid1(SALU_CYCLE_1)
	s_or_b32 s28, s30, s28
	s_and_not1_b32 s29, s29, exec_lo
	s_and_b32 s2, s2, exec_lo
	s_or_b32 s29, s29, s2
	s_and_not1_b32 exec_lo, exec_lo, s28
	s_cbranch_execnz .LBB1051_63
; %bb.64:
	s_or_b32 exec_lo, exec_lo, s28
	s_delay_alu instid0(SALU_CYCLE_1)
	s_and_b32 s28, s29, exec_lo
.LBB1051_65:
	s_or_b32 exec_lo, exec_lo, s17
	v_add_nc_u32_e32 v16, 2, v19
	s_mov_b32 s29, 0
	s_delay_alu instid0(VALU_DEP_1) | instskip(SKIP_1) | instid1(SALU_CYCLE_1)
	v_cmp_gt_u32_e32 vcc_lo, s23, v16
	s_and_b32 s2, vcc_lo, s16
	s_and_saveexec_b32 s17, s2
	s_cbranch_execz .LBB1051_69
; %bb.66:
	v_mad_nc_u64_u32 v[16:17], v12, s18, s[8:9]
	v_mad_nc_u64_u32 v[20:21], v6, s18, s[8:9]
	s_add_nc_u64 s[6:7], s[18:19], -1
                                        ; implicit-def: $sgpr30
	s_delay_alu instid0(VALU_DEP_2) | instskip(NEXT) | instid1(VALU_DEP_2)
	v_mad_u32 v17, v13, s18, v17
	v_mad_u32 v21, v7, s18, v21
	s_delay_alu instid0(VALU_DEP_2) | instskip(NEXT) | instid1(VALU_DEP_2)
	v_mad_u32 v17, v12, s19, v17
	v_mad_u32 v21, v6, s19, v21
.LBB1051_67:                            ; =>This Inner Loop Header: Depth=1
	global_load_u8 v22, v[16:17], off
	global_load_u8 v23, v[20:21], off
	s_wait_xcnt 0x1
	v_add_nc_u64_e32 v[16:17], 1, v[16:17]
	s_wait_xcnt 0x0
	v_add_nc_u64_e32 v[20:21], 1, v[20:21]
	s_wait_loadcnt 0x1
	v_cmp_ne_u16_e32 vcc_lo, 0, v22
	s_wait_loadcnt 0x0
	v_cmp_ne_u16_e64 s2, 0, v23
	s_xor_b32 s2, vcc_lo, s2
	s_cmp_eq_u64 s[6:7], 0
	s_add_nc_u64 s[6:7], s[6:7], -1
	s_cselect_b32 s31, -1, 0
	s_delay_alu instid0(SALU_CYCLE_1) | instskip(NEXT) | instid1(SALU_CYCLE_1)
	s_or_b32 s31, s2, s31
	s_and_b32 s31, exec_lo, s31
	s_delay_alu instid0(SALU_CYCLE_1) | instskip(SKIP_2) | instid1(SALU_CYCLE_1)
	s_or_b32 s29, s31, s29
	s_and_not1_b32 s30, s30, exec_lo
	s_and_b32 s2, s2, exec_lo
	s_or_b32 s30, s30, s2
	s_and_not1_b32 exec_lo, exec_lo, s29
	s_cbranch_execnz .LBB1051_67
; %bb.68:
	s_or_b32 exec_lo, exec_lo, s29
	s_delay_alu instid0(SALU_CYCLE_1)
	s_and_b32 s29, s30, exec_lo
.LBB1051_69:
	s_or_b32 exec_lo, exec_lo, s17
	v_add_nc_u32_e32 v16, 1, v19
	s_mov_b32 s2, 0
	s_delay_alu instid0(VALU_DEP_1) | instskip(SKIP_1) | instid1(SALU_CYCLE_1)
	v_cmp_gt_u32_e32 vcc_lo, s23, v16
	s_and_b32 s6, vcc_lo, s16
	s_and_saveexec_b32 s17, s6
	s_cbranch_execz .LBB1051_73
; %bb.70:
	v_mad_nc_u64_u32 v[16:17], v10, s18, s[8:9]
	v_mad_nc_u64_u32 v[20:21], v12, s18, s[8:9]
	s_add_nc_u64 s[6:7], s[18:19], -1
	s_mov_b32 s30, 0
                                        ; implicit-def: $sgpr31
	s_delay_alu instid0(VALU_DEP_2) | instskip(NEXT) | instid1(VALU_DEP_2)
	v_mad_u32 v17, v11, s18, v17
	v_mad_u32 v21, v13, s18, v21
	s_delay_alu instid0(VALU_DEP_2) | instskip(NEXT) | instid1(VALU_DEP_2)
	v_mad_u32 v17, v10, s19, v17
	v_mad_u32 v21, v12, s19, v21
.LBB1051_71:                            ; =>This Inner Loop Header: Depth=1
	global_load_u8 v22, v[16:17], off
	global_load_u8 v23, v[20:21], off
	s_wait_xcnt 0x1
	v_add_nc_u64_e32 v[16:17], 1, v[16:17]
	s_wait_xcnt 0x0
	v_add_nc_u64_e32 v[20:21], 1, v[20:21]
	s_wait_loadcnt 0x1
	v_cmp_ne_u16_e32 vcc_lo, 0, v22
	s_wait_loadcnt 0x0
	v_cmp_ne_u16_e64 s2, 0, v23
	s_xor_b32 s2, vcc_lo, s2
	s_cmp_eq_u64 s[6:7], 0
	s_add_nc_u64 s[6:7], s[6:7], -1
	s_cselect_b32 s33, -1, 0
	s_delay_alu instid0(SALU_CYCLE_1) | instskip(NEXT) | instid1(SALU_CYCLE_1)
	s_or_b32 s33, s2, s33
	s_and_b32 s33, exec_lo, s33
	s_delay_alu instid0(SALU_CYCLE_1) | instskip(SKIP_2) | instid1(SALU_CYCLE_1)
	s_or_b32 s30, s33, s30
	s_and_not1_b32 s31, s31, exec_lo
	s_and_b32 s2, s2, exec_lo
	s_or_b32 s31, s31, s2
	s_and_not1_b32 exec_lo, exec_lo, s30
	s_cbranch_execnz .LBB1051_71
; %bb.72:
	s_or_b32 exec_lo, exec_lo, s30
	s_delay_alu instid0(SALU_CYCLE_1)
	s_and_b32 s2, s31, exec_lo
.LBB1051_73:
	s_or_b32 exec_lo, exec_lo, s17
	s_wait_kmcnt 0x0
	v_mov_b64_e32 v[22:23], s[4:5]
	s_mov_b32 s17, 0
	s_mov_b32 s4, exec_lo
	s_wait_dscnt 0x0
	s_barrier_signal -1
	s_barrier_wait -1
	v_cmpx_ne_u32_e32 0, v0
; %bb.74:
	v_add_nc_u32_e32 v16, -8, v27
	ds_load_b64 v[22:23], v16
; %bb.75:
	s_or_b32 exec_lo, exec_lo, s4
	v_cndmask_b32_e64 v16, 0, 1, s28
	v_cndmask_b32_e64 v17, 0, 1, s29
	;; [unrolled: 1-line block ×3, first 2 shown]
	v_cmp_gt_u32_e32 vcc_lo, s23, v19
	s_delay_alu instid0(VALU_DEP_4) | instskip(NEXT) | instid1(VALU_DEP_3)
	v_lshlrev_b16 v16, 8, v16
	v_lshlrev_b16 v20, 8, v20
	s_and_b32 s2, vcc_lo, s16
	s_delay_alu instid0(VALU_DEP_2) | instskip(NEXT) | instid1(VALU_DEP_2)
	v_or_b32_e32 v16, v17, v16
	v_and_b32_e32 v24, 0xffff, v20
	s_delay_alu instid0(VALU_DEP_2)
	v_lshlrev_b32_e32 v25, 16, v16
	s_and_saveexec_b32 s6, s2
	s_cbranch_execz .LBB1051_79
; %bb.76:
	s_wait_dscnt 0x0
	v_mad_nc_u64_u32 v[16:17], v22, s18, s[8:9]
	v_mad_nc_u64_u32 v[20:21], v10, s18, s[8:9]
	s_add_nc_u64 s[4:5], s[18:19], -1
	s_mov_b32 s7, 0
                                        ; implicit-def: $sgpr16
	s_delay_alu instid0(VALU_DEP_2) | instskip(NEXT) | instid1(VALU_DEP_2)
	v_mad_u32 v17, v23, s18, v17
	v_mad_u32 v21, v11, s18, v21
	s_delay_alu instid0(VALU_DEP_2) | instskip(NEXT) | instid1(VALU_DEP_2)
	v_mad_u32 v17, v22, s19, v17
	v_mad_u32 v21, v10, s19, v21
.LBB1051_77:                            ; =>This Inner Loop Header: Depth=1
	global_load_u8 v22, v[16:17], off
	global_load_u8 v23, v[20:21], off
	s_wait_xcnt 0x1
	v_add_nc_u64_e32 v[16:17], 1, v[16:17]
	s_wait_xcnt 0x0
	v_add_nc_u64_e32 v[20:21], 1, v[20:21]
	s_wait_loadcnt 0x1
	v_cmp_ne_u16_e32 vcc_lo, 0, v22
	s_wait_loadcnt 0x0
	v_cmp_ne_u16_e64 s2, 0, v23
	s_xor_b32 s2, vcc_lo, s2
	s_cmp_eq_u64 s[4:5], 0
	s_add_nc_u64 s[4:5], s[4:5], -1
	s_cselect_b32 s17, -1, 0
	s_delay_alu instid0(SALU_CYCLE_1) | instskip(NEXT) | instid1(SALU_CYCLE_1)
	s_or_b32 s17, s2, s17
	s_and_b32 s17, exec_lo, s17
	s_delay_alu instid0(SALU_CYCLE_1) | instskip(SKIP_2) | instid1(SALU_CYCLE_1)
	s_or_b32 s7, s17, s7
	s_and_not1_b32 s16, s16, exec_lo
	s_and_b32 s2, s2, exec_lo
	s_or_b32 s16, s16, s2
	s_and_not1_b32 exec_lo, exec_lo, s7
	s_cbranch_execnz .LBB1051_77
; %bb.78:
	s_or_b32 exec_lo, exec_lo, s7
	s_delay_alu instid0(SALU_CYCLE_1)
	s_and_b32 s17, s16, exec_lo
.LBB1051_79:
	s_or_b32 exec_lo, exec_lo, s6
	v_cndmask_b32_e64 v17, 0, 1, s27
	v_cndmask_b32_e64 v21, 0, 1, s26
	;; [unrolled: 1-line block ×3, first 2 shown]
	s_wait_dscnt 0x0
	v_or_b32_e32 v22, v24, v25
.LBB1051_80:
	s_mov_b32 s16, -1
	s_cbranch_execnz .LBB1051_29
.LBB1051_81:
	v_cmp_lt_i64_e64 s3, s[18:19], 1
	v_cmp_gt_i64_e64 s2, s[18:19], 0
	v_mad_i32_i24 v26, 0xffffffd0, v0, v26
	s_and_b32 vcc_lo, exec_lo, s21
	ds_store_b64 v26, v[14:15]
	s_cbranch_vccz .LBB1051_90
; %bb.82:
	v_cndmask_b32_e64 v27, 0, 1, s2
	s_and_not1_b32 vcc_lo, exec_lo, s2
	s_cbranch_vccnz .LBB1051_91
; %bb.83:
	v_mad_nc_u64_u32 v[16:17], v4, s18, s[8:9]
	v_mad_nc_u64_u32 v[20:21], v14, s18, s[8:9]
	s_wait_kmcnt 0x0
	s_add_nc_u64 s[4:5], s[18:19], -1
	s_mov_b32 s17, 0
	s_mov_b64 s[6:7], s[4:5]
                                        ; implicit-def: $sgpr26
	s_delay_alu instid0(VALU_DEP_2) | instskip(NEXT) | instid1(VALU_DEP_2)
	v_mad_u32 v17, v5, s18, v17
	v_mad_u32 v21, v15, s18, v21
	s_delay_alu instid0(VALU_DEP_2) | instskip(NEXT) | instid1(VALU_DEP_2)
	v_mad_u32 v17, v4, s19, v17
	v_mad_u32 v21, v14, s19, v21
	s_delay_alu instid0(VALU_DEP_2)
	v_mov_b64_e32 v[22:23], v[16:17]
.LBB1051_84:                            ; =>This Inner Loop Header: Depth=1
	s_wait_dscnt 0x1
	global_load_u8 v24, v[22:23], off
	global_load_u8 v25, v[20:21], off
	s_wait_xcnt 0x1
	v_add_nc_u64_e32 v[22:23], 1, v[22:23]
	s_wait_xcnt 0x0
	v_add_nc_u64_e32 v[20:21], 1, v[20:21]
	s_wait_loadcnt 0x1
	v_cmp_ne_u16_e32 vcc_lo, 0, v24
	s_wait_loadcnt 0x0
	v_cmp_ne_u16_e64 s2, 0, v25
	s_xor_b32 s2, vcc_lo, s2
	s_cmp_eq_u64 s[6:7], 0
	s_add_nc_u64 s[6:7], s[6:7], -1
	s_cselect_b32 s27, -1, 0
	s_delay_alu instid0(SALU_CYCLE_1) | instskip(NEXT) | instid1(SALU_CYCLE_1)
	s_or_b32 s27, s2, s27
	s_and_b32 s27, exec_lo, s27
	s_delay_alu instid0(SALU_CYCLE_1) | instskip(SKIP_2) | instid1(SALU_CYCLE_1)
	s_or_b32 s17, s27, s17
	s_and_not1_b32 s26, s26, exec_lo
	s_and_b32 s2, s2, exec_lo
	s_or_b32 s26, s26, s2
	s_and_not1_b32 exec_lo, exec_lo, s17
	s_cbranch_execnz .LBB1051_84
; %bb.85:
	s_or_b32 exec_lo, exec_lo, s17
	v_mad_nc_u64_u32 v[20:21], v2, s18, s[8:9]
	s_mov_b32 s6, 0
                                        ; implicit-def: $sgpr17
	s_delay_alu instid0(VALU_DEP_1) | instskip(NEXT) | instid1(VALU_DEP_1)
	v_mad_u32 v21, v3, s18, v21
	v_mad_u32 v21, v2, s19, v21
.LBB1051_86:                            ; =>This Inner Loop Header: Depth=1
	global_load_u8 v22, v[20:21], off
	global_load_u8 v23, v[16:17], off
	s_wait_xcnt 0x1
	v_add_nc_u64_e32 v[20:21], 1, v[20:21]
	s_wait_xcnt 0x0
	v_add_nc_u64_e32 v[16:17], 1, v[16:17]
	s_wait_loadcnt 0x1
	v_cmp_ne_u16_e32 vcc_lo, 0, v22
	s_wait_loadcnt 0x0
	v_cmp_ne_u16_e64 s2, 0, v23
	s_xor_b32 s2, vcc_lo, s2
	s_cmp_eq_u64 s[4:5], 0
	s_add_nc_u64 s[4:5], s[4:5], -1
	s_cselect_b32 s7, -1, 0
	s_delay_alu instid0(SALU_CYCLE_1) | instskip(NEXT) | instid1(SALU_CYCLE_1)
	s_or_b32 s7, s2, s7
	s_and_b32 s7, exec_lo, s7
	s_delay_alu instid0(SALU_CYCLE_1) | instskip(SKIP_2) | instid1(SALU_CYCLE_1)
	s_or_b32 s6, s7, s6
	s_and_not1_b32 s7, s17, exec_lo
	s_and_b32 s2, s2, exec_lo
	s_or_b32 s17, s7, s2
	s_and_not1_b32 exec_lo, exec_lo, s6
	s_cbranch_execnz .LBB1051_86
; %bb.87:
	s_or_b32 exec_lo, exec_lo, s6
	v_cndmask_b32_e64 v30, 0, 1, s26
	v_cmp_ne_u32_e32 vcc_lo, 1, v27
	s_cbranch_vccz .LBB1051_92
.LBB1051_88:
	v_mov_b32_e32 v17, 0
	s_mov_b32 s26, 0
	v_cmp_ne_u32_e32 vcc_lo, 1, v27
	s_cbranch_vccz .LBB1051_97
.LBB1051_89:
	v_mov_b32_e32 v31, 0
	s_mov_b32 s6, 0
	s_branch .LBB1051_102
.LBB1051_90:
                                        ; implicit-def: $sgpr17
                                        ; implicit-def: $vgpr30
                                        ; implicit-def: $vgpr21
                                        ; implicit-def: $vgpr17
                                        ; implicit-def: $vgpr22
                                        ; implicit-def: $vgpr32
                                        ; implicit-def: $vgpr31
                                        ; implicit-def: $vgpr20
	s_cbranch_execnz .LBB1051_109
	s_branch .LBB1051_140
.LBB1051_91:
	v_mov_b32_e32 v30, 0
	s_mov_b32 s17, 0
	v_cmp_ne_u32_e32 vcc_lo, 1, v27
	s_cbranch_vccnz .LBB1051_88
.LBB1051_92:
	v_mad_nc_u64_u32 v[16:17], v8, s18, s[8:9]
	v_mad_nc_u64_u32 v[20:21], v2, s18, s[8:9]
	s_wait_kmcnt 0x0
	s_add_nc_u64 s[4:5], s[18:19], -1
	s_mov_b32 s26, 0
	s_mov_b64 s[6:7], s[4:5]
                                        ; implicit-def: $sgpr27
	s_delay_alu instid0(VALU_DEP_2) | instskip(NEXT) | instid1(VALU_DEP_2)
	v_mad_u32 v17, v9, s18, v17
	v_mad_u32 v21, v3, s18, v21
	s_delay_alu instid0(VALU_DEP_2) | instskip(NEXT) | instid1(VALU_DEP_2)
	v_mad_u32 v17, v8, s19, v17
	v_mad_u32 v21, v2, s19, v21
	s_delay_alu instid0(VALU_DEP_2)
	v_mov_b64_e32 v[22:23], v[16:17]
.LBB1051_93:                            ; =>This Inner Loop Header: Depth=1
	s_wait_dscnt 0x1
	global_load_u8 v24, v[22:23], off
	global_load_u8 v25, v[20:21], off
	s_wait_xcnt 0x1
	v_add_nc_u64_e32 v[22:23], 1, v[22:23]
	s_wait_xcnt 0x0
	v_add_nc_u64_e32 v[20:21], 1, v[20:21]
	s_wait_loadcnt 0x1
	v_cmp_ne_u16_e32 vcc_lo, 0, v24
	s_wait_loadcnt 0x0
	v_cmp_ne_u16_e64 s2, 0, v25
	s_xor_b32 s2, vcc_lo, s2
	s_cmp_eq_u64 s[6:7], 0
	s_add_nc_u64 s[6:7], s[6:7], -1
	s_cselect_b32 s28, -1, 0
	s_delay_alu instid0(SALU_CYCLE_1) | instskip(NEXT) | instid1(SALU_CYCLE_1)
	s_or_b32 s28, s2, s28
	s_and_b32 s28, exec_lo, s28
	s_delay_alu instid0(SALU_CYCLE_1) | instskip(SKIP_2) | instid1(SALU_CYCLE_1)
	s_or_b32 s26, s28, s26
	s_and_not1_b32 s27, s27, exec_lo
	s_and_b32 s2, s2, exec_lo
	s_or_b32 s27, s27, s2
	s_and_not1_b32 exec_lo, exec_lo, s26
	s_cbranch_execnz .LBB1051_93
; %bb.94:
	s_or_b32 exec_lo, exec_lo, s26
	v_mad_nc_u64_u32 v[20:21], v6, s18, s[8:9]
	s_mov_b32 s6, 0
                                        ; implicit-def: $sgpr26
	s_delay_alu instid0(VALU_DEP_1) | instskip(NEXT) | instid1(VALU_DEP_1)
	v_mad_u32 v21, v7, s18, v21
	v_mad_u32 v21, v6, s19, v21
.LBB1051_95:                            ; =>This Inner Loop Header: Depth=1
	global_load_u8 v22, v[20:21], off
	global_load_u8 v23, v[16:17], off
	s_wait_xcnt 0x1
	v_add_nc_u64_e32 v[20:21], 1, v[20:21]
	s_wait_xcnt 0x0
	v_add_nc_u64_e32 v[16:17], 1, v[16:17]
	s_wait_loadcnt 0x1
	v_cmp_ne_u16_e32 vcc_lo, 0, v22
	s_wait_loadcnt 0x0
	v_cmp_ne_u16_e64 s2, 0, v23
	s_xor_b32 s2, vcc_lo, s2
	s_cmp_eq_u64 s[4:5], 0
	s_add_nc_u64 s[4:5], s[4:5], -1
	s_cselect_b32 s7, -1, 0
	s_delay_alu instid0(SALU_CYCLE_1) | instskip(NEXT) | instid1(SALU_CYCLE_1)
	s_or_b32 s7, s2, s7
	s_and_b32 s7, exec_lo, s7
	s_delay_alu instid0(SALU_CYCLE_1) | instskip(SKIP_2) | instid1(SALU_CYCLE_1)
	s_or_b32 s6, s7, s6
	s_and_not1_b32 s7, s26, exec_lo
	s_and_b32 s2, s2, exec_lo
	s_or_b32 s26, s7, s2
	s_and_not1_b32 exec_lo, exec_lo, s6
	s_cbranch_execnz .LBB1051_95
; %bb.96:
	s_or_b32 exec_lo, exec_lo, s6
	v_cndmask_b32_e64 v17, 0, 1, s27
	v_cmp_ne_u32_e32 vcc_lo, 1, v27
	s_cbranch_vccnz .LBB1051_89
.LBB1051_97:
	v_mad_nc_u64_u32 v[20:21], v12, s18, s[8:9]
	v_mad_nc_u64_u32 v[22:23], v6, s18, s[8:9]
	s_wait_kmcnt 0x0
	s_add_nc_u64 s[4:5], s[18:19], -1
	s_mov_b32 s28, 0
	s_mov_b64 s[6:7], s[4:5]
                                        ; implicit-def: $sgpr27
	s_delay_alu instid0(VALU_DEP_2) | instskip(NEXT) | instid1(VALU_DEP_2)
	v_mad_u32 v16, v13, s18, v21
	v_mad_u32 v23, v7, s18, v23
	s_delay_alu instid0(VALU_DEP_2) | instskip(NEXT) | instid1(VALU_DEP_2)
	v_mad_u32 v21, v12, s19, v16
	v_mad_u32 v23, v6, s19, v23
	s_wait_dscnt 0x1
	s_delay_alu instid0(VALU_DEP_2)
	v_mov_b64_e32 v[24:25], v[20:21]
.LBB1051_98:                            ; =>This Inner Loop Header: Depth=1
	global_load_u8 v16, v[24:25], off
	global_load_u8 v28, v[22:23], off
	s_wait_xcnt 0x1
	v_add_nc_u64_e32 v[24:25], 1, v[24:25]
	s_wait_xcnt 0x0
	v_add_nc_u64_e32 v[22:23], 1, v[22:23]
	s_wait_loadcnt 0x1
	v_cmp_ne_u16_e32 vcc_lo, 0, v16
	s_wait_loadcnt 0x0
	v_cmp_ne_u16_e64 s2, 0, v28
	s_xor_b32 s2, vcc_lo, s2
	s_cmp_eq_u64 s[6:7], 0
	s_add_nc_u64 s[6:7], s[6:7], -1
	s_cselect_b32 s29, -1, 0
	s_delay_alu instid0(SALU_CYCLE_1) | instskip(NEXT) | instid1(SALU_CYCLE_1)
	s_or_b32 s29, s2, s29
	s_and_b32 s29, exec_lo, s29
	s_delay_alu instid0(SALU_CYCLE_1) | instskip(SKIP_2) | instid1(SALU_CYCLE_1)
	s_or_b32 s28, s29, s28
	s_and_not1_b32 s27, s27, exec_lo
	s_and_b32 s2, s2, exec_lo
	s_or_b32 s27, s27, s2
	s_and_not1_b32 exec_lo, exec_lo, s28
	s_cbranch_execnz .LBB1051_98
; %bb.99:
	s_or_b32 exec_lo, exec_lo, s28
	v_mad_nc_u64_u32 v[22:23], v10, s18, s[8:9]
	s_mov_b32 s7, 0
                                        ; implicit-def: $sgpr6
	s_delay_alu instid0(VALU_DEP_1) | instskip(NEXT) | instid1(VALU_DEP_1)
	v_mad_u32 v16, v11, s18, v23
	v_mad_u32 v23, v10, s19, v16
.LBB1051_100:                           ; =>This Inner Loop Header: Depth=1
	global_load_u8 v16, v[22:23], off
	global_load_u8 v24, v[20:21], off
	s_wait_xcnt 0x1
	v_add_nc_u64_e32 v[22:23], 1, v[22:23]
	s_wait_xcnt 0x0
	v_add_nc_u64_e32 v[20:21], 1, v[20:21]
	s_wait_loadcnt 0x1
	v_cmp_ne_u16_e32 vcc_lo, 0, v16
	s_wait_loadcnt 0x0
	v_cmp_ne_u16_e64 s2, 0, v24
	s_xor_b32 s2, vcc_lo, s2
	s_cmp_eq_u64 s[4:5], 0
	s_add_nc_u64 s[4:5], s[4:5], -1
	s_cselect_b32 s28, -1, 0
	s_delay_alu instid0(SALU_CYCLE_1) | instskip(NEXT) | instid1(SALU_CYCLE_1)
	s_or_b32 s28, s2, s28
	s_and_b32 s28, exec_lo, s28
	s_delay_alu instid0(SALU_CYCLE_1) | instskip(SKIP_2) | instid1(SALU_CYCLE_1)
	s_or_b32 s7, s28, s7
	s_and_not1_b32 s6, s6, exec_lo
	s_and_b32 s2, s2, exec_lo
	s_or_b32 s6, s6, s2
	s_and_not1_b32 exec_lo, exec_lo, s7
	s_cbranch_execnz .LBB1051_100
; %bb.101:
	s_or_b32 exec_lo, exec_lo, s7
	v_cndmask_b32_e64 v31, 0, 1, s27
.LBB1051_102:
	v_cndmask_b32_e64 v21, 0, 1, s17
	v_cndmask_b32_e64 v20, 0, 1, s26
	;; [unrolled: 1-line block ×3, first 2 shown]
	v_mov_b32_e32 v16, 1
	s_mov_b32 s6, 0
	s_wait_dscnt 0x0
	s_barrier_signal -1
	s_barrier_wait -1
                                        ; implicit-def: $sgpr17
                                        ; implicit-def: $vgpr22
	s_mov_b32 s2, exec_lo
	v_cmpx_ne_u32_e32 0, v0
	s_xor_b32 s7, exec_lo, s2
	s_cbranch_execz .LBB1051_108
; %bb.103:
	v_lshlrev_b16 v22, 8, v32
	v_lshlrev_b16 v23, 8, v20
	v_cmp_ne_u32_e32 vcc_lo, 1, v27
	s_mov_b32 s17, 0
	s_delay_alu instid0(VALU_DEP_2) | instskip(SKIP_1) | instid1(VALU_DEP_2)
	v_or_b32_e32 v23, v31, v23
	v_or_b32_e32 v22, 1, v22
	v_lshlrev_b32_e32 v23, 16, v23
	s_delay_alu instid0(VALU_DEP_2) | instskip(NEXT) | instid1(VALU_DEP_1)
	v_and_b32_e32 v22, 0xffff, v22
	v_or_b32_e32 v27, v22, v23
	s_cbranch_vccnz .LBB1051_107
; %bb.104:
	v_add_nc_u32_e32 v22, -8, v26
	v_mad_nc_u64_u32 v[24:25], v10, s18, s[8:9]
	s_wait_kmcnt 0x0
	s_add_nc_u64 s[4:5], s[18:19], -1
	s_mov_b32 s26, 0
                                        ; implicit-def: $sgpr17
	ds_load_b64 v[28:29], v22
	v_mad_u32 v25, v11, s18, v25
	s_delay_alu instid0(VALU_DEP_1) | instskip(SKIP_2) | instid1(VALU_DEP_1)
	v_mad_u32 v25, v10, s19, v25
	s_wait_dscnt 0x0
	v_mad_nc_u64_u32 v[22:23], v28, s18, s[8:9]
	v_mad_u32 v23, v29, s18, v23
	s_delay_alu instid0(VALU_DEP_1)
	v_mad_u32 v23, v28, s19, v23
.LBB1051_105:                           ; =>This Inner Loop Header: Depth=1
	global_load_u8 v28, v[22:23], off
	global_load_u8 v29, v[24:25], off
	s_wait_xcnt 0x1
	v_add_nc_u64_e32 v[22:23], 1, v[22:23]
	s_wait_xcnt 0x0
	v_add_nc_u64_e32 v[24:25], 1, v[24:25]
	s_wait_loadcnt 0x1
	v_cmp_ne_u16_e32 vcc_lo, 0, v28
	s_wait_loadcnt 0x0
	v_cmp_ne_u16_e64 s2, 0, v29
	s_xor_b32 s2, vcc_lo, s2
	s_cmp_eq_u64 s[4:5], 0
	s_add_nc_u64 s[4:5], s[4:5], -1
	s_cselect_b32 s27, -1, 0
	s_delay_alu instid0(SALU_CYCLE_1) | instskip(NEXT) | instid1(SALU_CYCLE_1)
	s_or_b32 s27, s2, s27
	s_and_b32 s27, exec_lo, s27
	s_delay_alu instid0(SALU_CYCLE_1) | instskip(SKIP_2) | instid1(SALU_CYCLE_1)
	s_or_b32 s26, s27, s26
	s_and_not1_b32 s17, s17, exec_lo
	s_and_b32 s2, s2, exec_lo
	s_or_b32 s17, s17, s2
	s_and_not1_b32 exec_lo, exec_lo, s26
	s_cbranch_execnz .LBB1051_105
; %bb.106:
	s_or_b32 exec_lo, exec_lo, s26
.LBB1051_107:
	s_delay_alu instid0(VALU_DEP_1)
	v_perm_b32 v22, v27, v27, 0x3020104
	s_or_b32 s16, s16, exec_lo
.LBB1051_108:
	s_or_b32 exec_lo, exec_lo, s7
	s_delay_alu instid0(SALU_CYCLE_1)
	s_and_b32 vcc_lo, exec_lo, s6
	s_cbranch_vccz .LBB1051_140
.LBB1051_109:
	v_add_nc_u32_e32 v20, 6, v19
	v_mad_nc_u64_u32 v[16:17], v4, s18, s[8:9]
	s_xor_b32 s3, s3, -1
	s_mov_b32 s6, 0
	s_delay_alu instid0(VALU_DEP_2) | instskip(SKIP_1) | instid1(SALU_CYCLE_1)
	v_cmp_gt_u32_e32 vcc_lo, s23, v20
	s_and_b32 s2, vcc_lo, s3
	s_and_saveexec_b32 s7, s2
	s_cbranch_execz .LBB1051_113
; %bb.110:
	v_mad_nc_u64_u32 v[20:21], v14, s18, s[8:9]
	s_delay_alu instid0(VALU_DEP_3) | instskip(SKIP_2) | instid1(VALU_DEP_2)
	v_mad_u32 v22, v5, s18, v17
	s_wait_kmcnt 0x0
	s_add_nc_u64 s[4:5], s[18:19], -1
                                        ; implicit-def: $sgpr17
	v_mad_u32 v21, v15, s18, v21
	s_delay_alu instid0(VALU_DEP_2) | instskip(SKIP_1) | instid1(VALU_DEP_3)
	v_mad_u32 v23, v4, s19, v22
	v_mov_b32_e32 v22, v16
	v_mad_u32 v21, v14, s19, v21
.LBB1051_111:                           ; =>This Inner Loop Header: Depth=1
	s_wait_dscnt 0x1
	global_load_u8 v24, v[22:23], off
	global_load_u8 v25, v[20:21], off
	s_wait_xcnt 0x1
	v_add_nc_u64_e32 v[22:23], 1, v[22:23]
	s_wait_xcnt 0x0
	v_add_nc_u64_e32 v[20:21], 1, v[20:21]
	s_wait_loadcnt 0x1
	v_cmp_ne_u16_e32 vcc_lo, 0, v24
	s_wait_loadcnt 0x0
	v_cmp_ne_u16_e64 s2, 0, v25
	s_xor_b32 s2, vcc_lo, s2
	s_cmp_eq_u64 s[4:5], 0
	s_add_nc_u64 s[4:5], s[4:5], -1
	s_cselect_b32 s26, -1, 0
	s_delay_alu instid0(SALU_CYCLE_1) | instskip(NEXT) | instid1(SALU_CYCLE_1)
	s_or_b32 s26, s2, s26
	s_and_b32 s26, exec_lo, s26
	s_delay_alu instid0(SALU_CYCLE_1) | instskip(SKIP_2) | instid1(SALU_CYCLE_1)
	s_or_b32 s6, s26, s6
	s_and_not1_b32 s17, s17, exec_lo
	s_and_b32 s2, s2, exec_lo
	s_or_b32 s17, s17, s2
	s_and_not1_b32 exec_lo, exec_lo, s6
	s_cbranch_execnz .LBB1051_111
; %bb.112:
	s_or_b32 exec_lo, exec_lo, s6
	s_delay_alu instid0(SALU_CYCLE_1)
	s_and_b32 s6, s17, exec_lo
.LBB1051_113:
	s_or_b32 exec_lo, exec_lo, s7
	v_add_nc_u32_e32 v22, 5, v19
	v_mad_nc_u64_u32 v[20:21], v2, s18, s[8:9]
	s_mov_b32 s7, 0
	s_delay_alu instid0(VALU_DEP_2) | instskip(SKIP_1) | instid1(SALU_CYCLE_1)
	v_cmp_gt_u32_e32 vcc_lo, s23, v22
	s_and_b32 s2, vcc_lo, s3
	s_and_saveexec_b32 s17, s2
	s_cbranch_execz .LBB1051_117
; %bb.114:
	s_delay_alu instid0(VALU_DEP_2) | instskip(SKIP_3) | instid1(VALU_DEP_2)
	v_mad_u32 v22, v3, s18, v21
	v_mad_u32 v17, v5, s18, v17
	s_wait_kmcnt 0x0
	s_add_nc_u64 s[4:5], s[18:19], -1
                                        ; implicit-def: $sgpr26
	v_mad_u32 v23, v2, s19, v22
	s_delay_alu instid0(VALU_DEP_2)
	v_mad_u32 v17, v4, s19, v17
	v_mov_b32_e32 v22, v20
.LBB1051_115:                           ; =>This Inner Loop Header: Depth=1
	s_wait_dscnt 0x1
	global_load_u8 v24, v[22:23], off
	global_load_u8 v25, v[16:17], off
	s_wait_xcnt 0x1
	v_add_nc_u64_e32 v[22:23], 1, v[22:23]
	s_wait_xcnt 0x0
	v_add_nc_u64_e32 v[16:17], 1, v[16:17]
	s_wait_loadcnt 0x1
	v_cmp_ne_u16_e32 vcc_lo, 0, v24
	s_wait_loadcnt 0x0
	v_cmp_ne_u16_e64 s2, 0, v25
	s_xor_b32 s2, vcc_lo, s2
	s_cmp_eq_u64 s[4:5], 0
	s_add_nc_u64 s[4:5], s[4:5], -1
	s_cselect_b32 s27, -1, 0
	s_delay_alu instid0(SALU_CYCLE_1) | instskip(NEXT) | instid1(SALU_CYCLE_1)
	s_or_b32 s27, s2, s27
	s_and_b32 s27, exec_lo, s27
	s_delay_alu instid0(SALU_CYCLE_1) | instskip(SKIP_2) | instid1(SALU_CYCLE_1)
	s_or_b32 s7, s27, s7
	s_and_not1_b32 s26, s26, exec_lo
	s_and_b32 s2, s2, exec_lo
	s_or_b32 s26, s26, s2
	s_and_not1_b32 exec_lo, exec_lo, s7
	s_cbranch_execnz .LBB1051_115
; %bb.116:
	s_or_b32 exec_lo, exec_lo, s7
	s_delay_alu instid0(SALU_CYCLE_1)
	s_and_b32 s7, s26, exec_lo
.LBB1051_117:
	s_or_b32 exec_lo, exec_lo, s17
	v_add_nc_u32_e32 v22, 4, v19
	v_mad_nc_u64_u32 v[16:17], v8, s18, s[8:9]
	s_mov_b32 s17, 0
	s_delay_alu instid0(VALU_DEP_2) | instskip(SKIP_1) | instid1(SALU_CYCLE_1)
	v_cmp_gt_u32_e32 vcc_lo, s23, v22
	s_and_b32 s2, vcc_lo, s3
	s_and_saveexec_b32 s26, s2
	s_cbranch_execz .LBB1051_121
; %bb.118:
	s_delay_alu instid0(VALU_DEP_2) | instskip(SKIP_3) | instid1(VALU_DEP_2)
	v_mad_u32 v22, v9, s18, v17
	v_mad_u32 v21, v3, s18, v21
	s_wait_kmcnt 0x0
	s_add_nc_u64 s[4:5], s[18:19], -1
                                        ; implicit-def: $sgpr27
	v_mad_u32 v23, v8, s19, v22
	s_delay_alu instid0(VALU_DEP_2)
	v_mad_u32 v21, v2, s19, v21
	v_mov_b32_e32 v22, v16
.LBB1051_119:                           ; =>This Inner Loop Header: Depth=1
	s_wait_dscnt 0x1
	global_load_u8 v24, v[22:23], off
	global_load_u8 v25, v[20:21], off
	s_wait_xcnt 0x1
	v_add_nc_u64_e32 v[22:23], 1, v[22:23]
	s_wait_xcnt 0x0
	v_add_nc_u64_e32 v[20:21], 1, v[20:21]
	s_wait_loadcnt 0x1
	v_cmp_ne_u16_e32 vcc_lo, 0, v24
	s_wait_loadcnt 0x0
	v_cmp_ne_u16_e64 s2, 0, v25
	s_xor_b32 s2, vcc_lo, s2
	s_cmp_eq_u64 s[4:5], 0
	s_add_nc_u64 s[4:5], s[4:5], -1
	s_cselect_b32 s28, -1, 0
	s_delay_alu instid0(SALU_CYCLE_1) | instskip(NEXT) | instid1(SALU_CYCLE_1)
	s_or_b32 s28, s2, s28
	s_and_b32 s28, exec_lo, s28
	s_delay_alu instid0(SALU_CYCLE_1) | instskip(SKIP_2) | instid1(SALU_CYCLE_1)
	s_or_b32 s17, s28, s17
	s_and_not1_b32 s27, s27, exec_lo
	s_and_b32 s2, s2, exec_lo
	s_or_b32 s27, s27, s2
	s_and_not1_b32 exec_lo, exec_lo, s17
	s_cbranch_execnz .LBB1051_119
; %bb.120:
	s_or_b32 exec_lo, exec_lo, s17
	s_delay_alu instid0(SALU_CYCLE_1)
	s_and_b32 s17, s27, exec_lo
.LBB1051_121:
	s_or_b32 exec_lo, exec_lo, s26
	v_add_nc_u32_e32 v22, 3, v19
	v_mad_nc_u64_u32 v[20:21], v6, s18, s[8:9]
	s_mov_b32 s26, 0
	s_delay_alu instid0(VALU_DEP_2) | instskip(SKIP_1) | instid1(SALU_CYCLE_1)
	v_cmp_gt_u32_e32 vcc_lo, s23, v22
	s_and_b32 s2, vcc_lo, s3
	s_and_saveexec_b32 s27, s2
	s_cbranch_execz .LBB1051_125
; %bb.122:
	s_delay_alu instid0(VALU_DEP_2) | instskip(SKIP_3) | instid1(VALU_DEP_2)
	v_mad_u32 v22, v7, s18, v21
	v_mad_u32 v17, v9, s18, v17
	s_wait_kmcnt 0x0
	s_add_nc_u64 s[4:5], s[18:19], -1
                                        ; implicit-def: $sgpr28
	v_mad_u32 v23, v6, s19, v22
	s_delay_alu instid0(VALU_DEP_2)
	v_mad_u32 v17, v8, s19, v17
	v_mov_b32_e32 v22, v20
.LBB1051_123:                           ; =>This Inner Loop Header: Depth=1
	s_wait_dscnt 0x1
	global_load_u8 v24, v[22:23], off
	global_load_u8 v25, v[16:17], off
	s_wait_xcnt 0x1
	v_add_nc_u64_e32 v[22:23], 1, v[22:23]
	s_wait_xcnt 0x0
	v_add_nc_u64_e32 v[16:17], 1, v[16:17]
	s_wait_loadcnt 0x1
	v_cmp_ne_u16_e32 vcc_lo, 0, v24
	s_wait_loadcnt 0x0
	v_cmp_ne_u16_e64 s2, 0, v25
	s_xor_b32 s2, vcc_lo, s2
	s_cmp_eq_u64 s[4:5], 0
	s_add_nc_u64 s[4:5], s[4:5], -1
	s_cselect_b32 s29, -1, 0
	s_delay_alu instid0(SALU_CYCLE_1) | instskip(NEXT) | instid1(SALU_CYCLE_1)
	s_or_b32 s29, s2, s29
	s_and_b32 s29, exec_lo, s29
	s_delay_alu instid0(SALU_CYCLE_1) | instskip(SKIP_2) | instid1(SALU_CYCLE_1)
	s_or_b32 s26, s29, s26
	s_and_not1_b32 s28, s28, exec_lo
	s_and_b32 s2, s2, exec_lo
	s_or_b32 s28, s28, s2
	s_and_not1_b32 exec_lo, exec_lo, s26
	s_cbranch_execnz .LBB1051_123
; %bb.124:
	s_or_b32 exec_lo, exec_lo, s26
	s_delay_alu instid0(SALU_CYCLE_1)
	s_and_b32 s26, s28, exec_lo
.LBB1051_125:
	s_or_b32 exec_lo, exec_lo, s27
	v_add_nc_u32_e32 v22, 2, v19
	v_mad_nc_u64_u32 v[16:17], v12, s18, s[8:9]
	s_mov_b32 s27, 0
	s_delay_alu instid0(VALU_DEP_2) | instskip(SKIP_1) | instid1(SALU_CYCLE_1)
	v_cmp_gt_u32_e32 vcc_lo, s23, v22
	s_and_b32 s2, vcc_lo, s3
	s_and_saveexec_b32 s28, s2
	s_cbranch_execz .LBB1051_129
; %bb.126:
	s_delay_alu instid0(VALU_DEP_2) | instskip(SKIP_3) | instid1(VALU_DEP_2)
	v_mad_u32 v22, v13, s18, v17
	v_mad_u32 v21, v7, s18, v21
	s_wait_kmcnt 0x0
	s_add_nc_u64 s[4:5], s[18:19], -1
                                        ; implicit-def: $sgpr29
	v_mad_u32 v23, v12, s19, v22
	s_delay_alu instid0(VALU_DEP_2)
	v_mad_u32 v21, v6, s19, v21
	v_mov_b32_e32 v22, v16
.LBB1051_127:                           ; =>This Inner Loop Header: Depth=1
	s_wait_dscnt 0x1
	global_load_u8 v24, v[22:23], off
	global_load_u8 v25, v[20:21], off
	s_wait_xcnt 0x1
	v_add_nc_u64_e32 v[22:23], 1, v[22:23]
	s_wait_xcnt 0x0
	v_add_nc_u64_e32 v[20:21], 1, v[20:21]
	s_wait_loadcnt 0x1
	v_cmp_ne_u16_e32 vcc_lo, 0, v24
	s_wait_loadcnt 0x0
	v_cmp_ne_u16_e64 s2, 0, v25
	s_xor_b32 s2, vcc_lo, s2
	s_cmp_eq_u64 s[4:5], 0
	s_add_nc_u64 s[4:5], s[4:5], -1
	s_cselect_b32 s30, -1, 0
	s_delay_alu instid0(SALU_CYCLE_1) | instskip(NEXT) | instid1(SALU_CYCLE_1)
	s_or_b32 s30, s2, s30
	s_and_b32 s30, exec_lo, s30
	s_delay_alu instid0(SALU_CYCLE_1) | instskip(SKIP_2) | instid1(SALU_CYCLE_1)
	s_or_b32 s27, s30, s27
	s_and_not1_b32 s29, s29, exec_lo
	s_and_b32 s2, s2, exec_lo
	s_or_b32 s29, s29, s2
	s_and_not1_b32 exec_lo, exec_lo, s27
	s_cbranch_execnz .LBB1051_127
; %bb.128:
	s_or_b32 exec_lo, exec_lo, s27
	s_delay_alu instid0(SALU_CYCLE_1)
	s_and_b32 s27, s29, exec_lo
.LBB1051_129:
	s_or_b32 exec_lo, exec_lo, s28
	v_add_nc_u32_e32 v20, 1, v19
	s_mov_b32 s2, 0
	s_delay_alu instid0(VALU_DEP_1) | instskip(SKIP_2) | instid1(SALU_CYCLE_1)
	v_cmp_gt_u32_e32 vcc_lo, s23, v20
	s_wait_kmcnt 0x0
	s_and_b32 s4, vcc_lo, s3
	s_and_saveexec_b32 s28, s4
	s_cbranch_execz .LBB1051_133
; %bb.130:
	v_mad_nc_u64_u32 v[20:21], v10, s18, s[8:9]
	v_mad_u32 v17, v13, s18, v17
	s_add_nc_u64 s[4:5], s[18:19], -1
	s_mov_b32 s29, 0
                                        ; implicit-def: $sgpr30
	s_delay_alu instid0(VALU_DEP_2) | instskip(NEXT) | instid1(VALU_DEP_2)
	v_mad_u32 v21, v11, s18, v21
	v_mad_u32 v17, v12, s19, v17
	s_delay_alu instid0(VALU_DEP_2)
	v_mad_u32 v21, v10, s19, v21
.LBB1051_131:                           ; =>This Inner Loop Header: Depth=1
	global_load_u8 v22, v[20:21], off
	global_load_u8 v23, v[16:17], off
	s_wait_xcnt 0x1
	v_add_nc_u64_e32 v[20:21], 1, v[20:21]
	s_wait_xcnt 0x0
	v_add_nc_u64_e32 v[16:17], 1, v[16:17]
	s_wait_loadcnt 0x1
	v_cmp_ne_u16_e32 vcc_lo, 0, v22
	s_wait_loadcnt 0x0
	v_cmp_ne_u16_e64 s2, 0, v23
	s_xor_b32 s2, vcc_lo, s2
	s_cmp_eq_u64 s[4:5], 0
	s_add_nc_u64 s[4:5], s[4:5], -1
	s_cselect_b32 s31, -1, 0
	s_delay_alu instid0(SALU_CYCLE_1) | instskip(NEXT) | instid1(SALU_CYCLE_1)
	s_or_b32 s31, s2, s31
	s_and_b32 s31, exec_lo, s31
	s_delay_alu instid0(SALU_CYCLE_1) | instskip(SKIP_2) | instid1(SALU_CYCLE_1)
	s_or_b32 s29, s31, s29
	s_and_not1_b32 s30, s30, exec_lo
	s_and_b32 s2, s2, exec_lo
	s_or_b32 s30, s30, s2
	s_and_not1_b32 exec_lo, exec_lo, s29
	s_cbranch_execnz .LBB1051_131
; %bb.132:
	s_or_b32 exec_lo, exec_lo, s29
	s_delay_alu instid0(SALU_CYCLE_1)
	s_and_b32 s2, s30, exec_lo
.LBB1051_133:
	s_or_b32 exec_lo, exec_lo, s28
	v_cndmask_b32_e64 v17, 0, 1, s17
	v_cndmask_b32_e64 v21, 0, 1, s7
	v_cndmask_b32_e64 v30, 0, 1, s6
	v_cndmask_b32_e64 v31, 0, 1, s27
	v_cndmask_b32_e64 v20, 0, 1, s26
	v_cndmask_b32_e64 v32, 0, 1, s2
	v_mov_b32_e32 v16, 1
	s_mov_b32 s17, 0
	s_mov_b32 s6, exec_lo
	s_wait_dscnt 0x0
	s_barrier_signal -1
	s_barrier_wait -1
                                        ; implicit-def: $vgpr22
	v_cmpx_ne_u32_e32 0, v0
	s_cbranch_execz .LBB1051_139
; %bb.134:
	v_lshlrev_b16 v22, 8, v32
	v_lshlrev_b16 v23, 8, v20
	v_cmp_gt_u32_e32 vcc_lo, s23, v19
	s_delay_alu instid0(VALU_DEP_2) | instskip(NEXT) | instid1(VALU_DEP_4)
	v_or_b32_e32 v23, v31, v23
	v_or_b32_e32 v22, 1, v22
	s_and_b32 s2, vcc_lo, s3
	s_delay_alu instid0(VALU_DEP_2) | instskip(NEXT) | instid1(VALU_DEP_2)
	v_lshlrev_b32_e32 v23, 16, v23
	v_and_b32_e32 v22, 0xffff, v22
	s_delay_alu instid0(VALU_DEP_1)
	v_or_b32_e32 v27, v22, v23
	s_and_saveexec_b32 s3, s2
	s_cbranch_execz .LBB1051_138
; %bb.135:
	v_add_nc_u32_e32 v22, -8, v26
	v_mad_nc_u64_u32 v[24:25], v10, s18, s[8:9]
	s_add_nc_u64 s[4:5], s[18:19], -1
	s_mov_b32 s7, 0
	ds_load_b64 v[28:29], v22
	v_mad_u32 v25, v11, s18, v25
	s_delay_alu instid0(VALU_DEP_1) | instskip(SKIP_2) | instid1(VALU_DEP_1)
	v_mad_u32 v25, v10, s19, v25
	s_wait_dscnt 0x0
	v_mad_nc_u64_u32 v[22:23], v28, s18, s[8:9]
                                        ; implicit-def: $sgpr8
	v_mad_u32 v23, v29, s18, v23
	s_delay_alu instid0(VALU_DEP_1)
	v_mad_u32 v23, v28, s19, v23
.LBB1051_136:                           ; =>This Inner Loop Header: Depth=1
	global_load_u8 v26, v[22:23], off
	global_load_u8 v28, v[24:25], off
	s_wait_xcnt 0x1
	v_add_nc_u64_e32 v[22:23], 1, v[22:23]
	s_wait_xcnt 0x0
	v_add_nc_u64_e32 v[24:25], 1, v[24:25]
	s_wait_loadcnt 0x1
	v_cmp_ne_u16_e32 vcc_lo, 0, v26
	s_wait_loadcnt 0x0
	v_cmp_ne_u16_e64 s2, 0, v28
	s_xor_b32 s2, vcc_lo, s2
	s_cmp_eq_u64 s[4:5], 0
	s_add_nc_u64 s[4:5], s[4:5], -1
	s_cselect_b32 s9, -1, 0
	s_delay_alu instid0(SALU_CYCLE_1) | instskip(NEXT) | instid1(SALU_CYCLE_1)
	s_or_b32 s9, s2, s9
	s_and_b32 s9, exec_lo, s9
	s_delay_alu instid0(SALU_CYCLE_1) | instskip(SKIP_2) | instid1(SALU_CYCLE_1)
	s_or_b32 s7, s9, s7
	s_and_not1_b32 s8, s8, exec_lo
	s_and_b32 s2, s2, exec_lo
	s_or_b32 s8, s8, s2
	s_and_not1_b32 exec_lo, exec_lo, s7
	s_cbranch_execnz .LBB1051_136
; %bb.137:
	s_or_b32 exec_lo, exec_lo, s7
	s_delay_alu instid0(SALU_CYCLE_1)
	s_and_b32 s17, s8, exec_lo
.LBB1051_138:
	s_or_b32 exec_lo, exec_lo, s3
	s_delay_alu instid0(VALU_DEP_1)
	v_perm_b32 v22, v27, v27, 0x3020104
	s_or_b32 s16, s16, exec_lo
.LBB1051_139:
	s_or_b32 exec_lo, exec_lo, s6
.LBB1051_140:
	s_and_saveexec_b32 s2, s16
; %bb.141:
	s_delay_alu instid0(VALU_DEP_1)
	v_dual_lshrrev_b32 v20, 24, v22 :: v_dual_lshrrev_b32 v31, 16, v22
	v_lshrrev_b32_e32 v32, 8, v22
	v_cndmask_b32_e64 v16, 0, 1, s17
; %bb.142:
	s_or_b32 exec_lo, exec_lo, s2
	s_delay_alu instid0(SALU_CYCLE_1)
	s_and_not1_b32 vcc_lo, exec_lo, s24
	s_cbranch_vccnz .LBB1051_146
; %bb.143:
	s_delay_alu instid0(VALU_DEP_1)
	v_perm_b32 v16, v16, v32, 0xc0c0004
	v_perm_b32 v20, v31, v20, 0xc0c0004
	v_cmp_gt_u32_e32 vcc_lo, s23, v19
	v_and_b32_e32 v23, 0xff, v30
	v_perm_b32 v17, v17, v21, 0xc0c0004
	v_add_nc_u32_e32 v22, 1, v19
	v_lshl_or_b32 v16, v20, 16, v16
	s_delay_alu instid0(VALU_DEP_4) | instskip(NEXT) | instid1(VALU_DEP_2)
	v_lshlrev_b32_e32 v21, 16, v23
	v_dual_cndmask_b32 v20, 0, v16 :: v_dual_add_nc_u32 v23, 4, v19
	s_delay_alu instid0(VALU_DEP_4) | instskip(SKIP_1) | instid1(VALU_DEP_3)
	v_cmp_gt_u32_e32 vcc_lo, s23, v22
	v_add_nc_u32_e32 v22, 2, v19
	v_and_b32_e32 v20, 0xff, v20
	s_delay_alu instid0(VALU_DEP_1) | instskip(NEXT) | instid1(VALU_DEP_3)
	v_cndmask_b32_e32 v20, v20, v16, vcc_lo
	v_cmp_gt_u32_e32 vcc_lo, s23, v22
	s_delay_alu instid0(VALU_DEP_2) | instskip(SKIP_3) | instid1(VALU_DEP_3)
	v_and_b32_e32 v20, 0xffff, v20
	s_wait_dscnt 0x0
	v_or_b32_e32 v24, v17, v21
	v_bitop3_b32 v17, v17, 0xffff00, v21 bitop3:0xc8
	v_dual_cndmask_b32 v20, v20, v16 :: v_dual_add_nc_u32 v21, 5, v19
	v_cmp_gt_u32_e32 vcc_lo, s23, v23
	s_delay_alu instid0(VALU_DEP_2) | instskip(NEXT) | instid1(VALU_DEP_3)
	v_cmp_gt_u32_e64 s2, s23, v21
	v_and_b32_e32 v20, 0xffffff, v20
	v_dual_cndmask_b32 v17, v17, v24 :: v_dual_add_nc_u32 v22, 3, v19
	s_or_b32 vcc_lo, s2, vcc_lo
	v_add_nc_u32_e32 v19, 6, v19
	s_delay_alu instid0(VALU_DEP_2) | instskip(NEXT) | instid1(VALU_DEP_3)
	v_cmp_gt_u32_e64 s3, s23, v22
	v_and_b32_e32 v17, 0xffff00ff, v17
	s_delay_alu instid0(VALU_DEP_2) | instskip(NEXT) | instid1(VALU_DEP_2)
	v_cndmask_b32_e64 v20, v20, v16, s3
	v_cndmask_b32_e64 v17, v17, v24, s2
	s_mov_b32 s2, exec_lo
	s_delay_alu instid0(VALU_DEP_1) | instskip(NEXT) | instid1(VALU_DEP_1)
	v_dual_cndmask_b32 v16, v20, v16, vcc_lo :: v_dual_lshrrev_b32 v30, 16, v17
	v_lshrrev_b64 v[20:21], 24, v[16:17]
	v_dual_lshrrev_b32 v31, 16, v16 :: v_dual_lshrrev_b32 v32, 8, v16
	v_lshrrev_b32_e32 v21, 8, v17
	v_cmpx_le_u32_e64 s23, v19
; %bb.144:
	v_mov_b32_e32 v30, 0
; %bb.145:
	s_or_b32 exec_lo, exec_lo, s2
.LBB1051_146:
	s_delay_alu instid0(VALU_DEP_1)
	v_and_b32_e32 v19, 0xff, v16
	v_and_b32_e32 v33, 0xff, v32
	;; [unrolled: 1-line block ×5, first 2 shown]
	v_mbcnt_lo_u32_b32 v38, -1, 0
	v_and_b32_e32 v37, 0xff, v21
	v_add3_u32 v22, v33, v19, v34
	v_and_b32_e32 v23, 0xff, v30
	s_wait_dscnt 0x0
	v_dual_lshrrev_b32 v39, 5, v0 :: v_dual_bitop2_b32 v24, 15, v38 bitop3:0x40
	s_and_b32 vcc_lo, exec_lo, s25
	v_add3_u32 v22, v22, v35, v36
	s_mov_b32 s8, -1
	s_delay_alu instid0(VALU_DEP_2)
	v_cmp_eq_u32_e64 s2, 0, v24
	s_wait_kmcnt 0x0
	v_cmp_lt_u32_e64 s4, 1, v24
	v_add3_u32 v40, v22, v37, v23
	v_and_b32_e32 v22, 16, v38
	v_or_b32_e32 v23, 31, v0
	v_cmp_lt_u32_e64 s5, 3, v24
	v_cmp_lt_u32_e64 s3, 7, v24
	s_barrier_signal -1
	v_cmp_eq_u32_e64 s7, 0, v22
	v_cmp_eq_u32_e64 s6, v0, v23
	s_barrier_wait -1
                                        ; implicit-def: $vgpr25
                                        ; implicit-def: $vgpr26
                                        ; implicit-def: $vgpr27
                                        ; implicit-def: $vgpr28
                                        ; implicit-def: $vgpr29
                                        ; implicit-def: $vgpr41
                                        ; implicit-def: $vgpr42
                                        ; implicit-def: $vgpr24
                                        ; implicit-def: $vgpr22
	s_cbranch_vccz .LBB1051_173
; %bb.147:
	v_mov_b32_dpp v22, v40 row_shr:1 row_mask:0xf bank_mask:0xf
	s_delay_alu instid0(VALU_DEP_1) | instskip(NEXT) | instid1(VALU_DEP_1)
	v_cndmask_b32_e64 v22, v22, 0, s2
	v_add_nc_u32_e32 v22, v22, v40
	s_delay_alu instid0(VALU_DEP_1) | instskip(NEXT) | instid1(VALU_DEP_1)
	v_mov_b32_dpp v23, v22 row_shr:2 row_mask:0xf bank_mask:0xf
	v_cndmask_b32_e64 v23, 0, v23, s4
	s_delay_alu instid0(VALU_DEP_1) | instskip(NEXT) | instid1(VALU_DEP_1)
	v_add_nc_u32_e32 v22, v22, v23
	v_mov_b32_dpp v23, v22 row_shr:4 row_mask:0xf bank_mask:0xf
	s_delay_alu instid0(VALU_DEP_1) | instskip(NEXT) | instid1(VALU_DEP_1)
	v_cndmask_b32_e64 v23, 0, v23, s5
	v_add_nc_u32_e32 v22, v22, v23
	s_delay_alu instid0(VALU_DEP_1) | instskip(NEXT) | instid1(VALU_DEP_1)
	v_mov_b32_dpp v23, v22 row_shr:8 row_mask:0xf bank_mask:0xf
	v_cndmask_b32_e64 v23, 0, v23, s3
	s_delay_alu instid0(VALU_DEP_1) | instskip(SKIP_3) | instid1(VALU_DEP_1)
	v_add_nc_u32_e32 v22, v22, v23
	ds_swizzle_b32 v23, v22 offset:swizzle(BROADCAST,32,15)
	s_wait_dscnt 0x0
	v_cndmask_b32_e64 v23, v23, 0, s7
	v_add_nc_u32_e32 v22, v22, v23
	s_and_saveexec_b32 s8, s6
; %bb.148:
	v_lshlrev_b32_e32 v23, 2, v39
	ds_store_b32 v23, v22
; %bb.149:
	s_or_b32 exec_lo, exec_lo, s8
	s_delay_alu instid0(SALU_CYCLE_1)
	s_mov_b32 s8, exec_lo
	s_wait_dscnt 0x0
	s_barrier_signal -1
	s_barrier_wait -1
	v_cmpx_gt_u32_e32 16, v0
	s_cbranch_execz .LBB1051_151
; %bb.150:
	v_lshlrev_b32_e32 v23, 2, v0
	ds_load_b32 v24, v23
	s_wait_dscnt 0x0
	v_mov_b32_dpp v25, v24 row_shr:1 row_mask:0xf bank_mask:0xf
	s_delay_alu instid0(VALU_DEP_1) | instskip(NEXT) | instid1(VALU_DEP_1)
	v_cndmask_b32_e64 v25, v25, 0, s2
	v_add_nc_u32_e32 v24, v25, v24
	s_delay_alu instid0(VALU_DEP_1) | instskip(NEXT) | instid1(VALU_DEP_1)
	v_mov_b32_dpp v25, v24 row_shr:2 row_mask:0xf bank_mask:0xf
	v_cndmask_b32_e64 v25, 0, v25, s4
	s_delay_alu instid0(VALU_DEP_1) | instskip(NEXT) | instid1(VALU_DEP_1)
	v_add_nc_u32_e32 v24, v24, v25
	v_mov_b32_dpp v25, v24 row_shr:4 row_mask:0xf bank_mask:0xf
	s_delay_alu instid0(VALU_DEP_1) | instskip(NEXT) | instid1(VALU_DEP_1)
	v_cndmask_b32_e64 v25, 0, v25, s5
	v_add_nc_u32_e32 v24, v24, v25
	s_delay_alu instid0(VALU_DEP_1) | instskip(NEXT) | instid1(VALU_DEP_1)
	v_mov_b32_dpp v25, v24 row_shr:8 row_mask:0xf bank_mask:0xf
	v_cndmask_b32_e64 v25, 0, v25, s3
	s_delay_alu instid0(VALU_DEP_1)
	v_add_nc_u32_e32 v24, v24, v25
	ds_store_b32 v23, v24
.LBB1051_151:
	s_or_b32 exec_lo, exec_lo, s8
	s_delay_alu instid0(SALU_CYCLE_1)
	s_mov_b32 s9, exec_lo
	v_cmp_gt_u32_e32 vcc_lo, 32, v0
	s_wait_dscnt 0x0
	s_barrier_signal -1
	s_barrier_wait -1
                                        ; implicit-def: $vgpr41
	v_cmpx_lt_u32_e32 31, v0
	s_cbranch_execz .LBB1051_153
; %bb.152:
	v_lshl_add_u32 v23, v39, 2, -4
	ds_load_b32 v41, v23
	s_wait_dscnt 0x0
	v_add_nc_u32_e32 v22, v41, v22
.LBB1051_153:
	s_or_b32 exec_lo, exec_lo, s9
	v_sub_co_u32 v23, s8, v38, 1
	s_delay_alu instid0(VALU_DEP_1) | instskip(NEXT) | instid1(VALU_DEP_1)
	v_cmp_gt_i32_e64 s9, 0, v23
	v_cndmask_b32_e64 v23, v23, v38, s9
	s_delay_alu instid0(VALU_DEP_1)
	v_lshlrev_b32_e32 v23, 2, v23
	ds_bpermute_b32 v42, v23, v22
	s_and_saveexec_b32 s9, vcc_lo
	s_cbranch_execz .LBB1051_172
; %bb.154:
	v_mov_b32_e32 v29, 0
	ds_load_b32 v22, v29 offset:60
	s_and_saveexec_b32 s16, s8
	s_cbranch_execz .LBB1051_156
; %bb.155:
	s_add_co_i32 s17, s22, 32
	s_delay_alu instid0(SALU_CYCLE_1)
	v_dual_mov_b32 v23, 1 :: v_dual_mov_b32 v24, s17
	s_wait_dscnt 0x0
	global_store_b64 v24, v[22:23], s[10:11] scale_offset scope:SCOPE_DEV
.LBB1051_156:
	s_wait_xcnt 0x0
	s_or_b32 exec_lo, exec_lo, s16
	v_xad_u32 v24, v38, -1, s22
	s_mov_b32 s17, 0
	s_mov_b32 s16, exec_lo
	s_delay_alu instid0(VALU_DEP_1) | instskip(SKIP_4) | instid1(VALU_DEP_1)
	v_add_nc_u32_e32 v28, 32, v24
	global_load_b64 v[26:27], v28, s[10:11] scale_offset scope:SCOPE_DEV
	s_wait_loadcnt 0x0
	v_and_b32_e32 v23, 0xff, v27
	s_wait_xcnt 0x0
	v_cmpx_eq_u16_e32 0, v23
	s_cbranch_execz .LBB1051_160
; %bb.157:
	v_lshl_add_u64 v[28:29], v[28:29], 3, s[10:11]
.LBB1051_158:                           ; =>This Inner Loop Header: Depth=1
	global_load_b64 v[26:27], v[28:29], off scope:SCOPE_DEV
	s_wait_loadcnt 0x0
	v_and_b32_e32 v23, 0xff, v27
	s_delay_alu instid0(VALU_DEP_1)
	v_cmp_ne_u16_e32 vcc_lo, 0, v23
	s_or_b32 s17, vcc_lo, s17
	s_wait_xcnt 0x0
	s_and_not1_b32 exec_lo, exec_lo, s17
	s_cbranch_execnz .LBB1051_158
; %bb.159:
	s_or_b32 exec_lo, exec_lo, s17
.LBB1051_160:
	s_delay_alu instid0(SALU_CYCLE_1)
	s_or_b32 exec_lo, exec_lo, s16
	v_cmp_ne_u32_e32 vcc_lo, 31, v38
	v_lshlrev_b32_e64 v44, v38, -1
	v_dual_add_nc_u32 v46, 2, v38 :: v_dual_add_nc_u32 v48, 4, v38
	v_dual_add_nc_u32 v50, 8, v38 :: v_dual_add_nc_u32 v52, 16, v38
	v_add_co_ci_u32_e64 v23, null, 0, v38, vcc_lo
	v_lshl_or_b32 v51, v38, 2, 64
	s_delay_alu instid0(VALU_DEP_2)
	v_lshlrev_b32_e32 v43, 2, v23
	v_and_b32_e32 v23, 0xff, v27
	ds_bpermute_b32 v25, v43, v26
	v_cmp_eq_u16_e32 vcc_lo, 2, v23
	v_and_or_b32 v23, vcc_lo, v44, 0x80000000
	v_cmp_gt_u32_e32 vcc_lo, 30, v38
	s_delay_alu instid0(VALU_DEP_2) | instskip(SKIP_1) | instid1(VALU_DEP_2)
	v_ctz_i32_b32_e32 v23, v23
	v_cndmask_b32_e64 v28, 0, 2, vcc_lo
	v_cmp_lt_u32_e32 vcc_lo, v38, v23
	s_delay_alu instid0(VALU_DEP_2)
	v_add_lshl_u32 v45, v28, v38, 2
	s_wait_dscnt 0x0
	v_cndmask_b32_e32 v25, 0, v25, vcc_lo
	v_cmp_gt_u32_e32 vcc_lo, 28, v38
	v_cndmask_b32_e64 v28, 0, 4, vcc_lo
	v_cmp_le_u32_e32 vcc_lo, v46, v23
	s_delay_alu instid0(VALU_DEP_4) | instskip(NEXT) | instid1(VALU_DEP_3)
	v_add_nc_u32_e32 v25, v25, v26
	v_add_lshl_u32 v47, v28, v38, 2
	ds_bpermute_b32 v26, v45, v25
	s_wait_dscnt 0x0
	v_cndmask_b32_e32 v26, 0, v26, vcc_lo
	v_cmp_gt_u32_e32 vcc_lo, 24, v38
	v_cndmask_b32_e64 v28, 0, 8, vcc_lo
	v_cmp_le_u32_e32 vcc_lo, v48, v23
	s_delay_alu instid0(VALU_DEP_4) | instskip(NEXT) | instid1(VALU_DEP_3)
	v_add_nc_u32_e32 v25, v25, v26
	v_add_lshl_u32 v49, v28, v38, 2
	ds_bpermute_b32 v26, v47, v25
	s_wait_dscnt 0x0
	v_cndmask_b32_e32 v26, 0, v26, vcc_lo
	v_cmp_le_u32_e32 vcc_lo, v50, v23
	s_delay_alu instid0(VALU_DEP_2) | instskip(SKIP_4) | instid1(VALU_DEP_2)
	v_add_nc_u32_e32 v25, v25, v26
	ds_bpermute_b32 v26, v49, v25
	s_wait_dscnt 0x0
	v_cndmask_b32_e32 v26, 0, v26, vcc_lo
	v_cmp_le_u32_e32 vcc_lo, v52, v23
	v_add_nc_u32_e32 v25, v25, v26
	ds_bpermute_b32 v26, v51, v25
	s_wait_dscnt 0x0
	v_cndmask_b32_e32 v23, 0, v26, vcc_lo
	s_delay_alu instid0(VALU_DEP_1)
	v_dual_mov_b32 v25, 0 :: v_dual_add_nc_u32 v26, v25, v23
	s_branch .LBB1051_163
.LBB1051_161:                           ;   in Loop: Header=BB1051_163 Depth=1
	s_or_b32 exec_lo, exec_lo, s16
	v_and_b32_e32 v28, 0xff, v27
	ds_bpermute_b32 v29, v43, v26
	v_subrev_nc_u32_e32 v24, 32, v24
	s_mov_b32 s16, 0
	v_cmp_eq_u16_e32 vcc_lo, 2, v28
	v_and_or_b32 v28, vcc_lo, v44, 0x80000000
	s_delay_alu instid0(VALU_DEP_1) | instskip(NEXT) | instid1(VALU_DEP_1)
	v_ctz_i32_b32_e32 v28, v28
	v_cmp_lt_u32_e32 vcc_lo, v38, v28
	s_wait_dscnt 0x0
	v_cndmask_b32_e32 v29, 0, v29, vcc_lo
	v_cmp_le_u32_e32 vcc_lo, v46, v28
	s_delay_alu instid0(VALU_DEP_2) | instskip(SKIP_4) | instid1(VALU_DEP_2)
	v_add_nc_u32_e32 v26, v29, v26
	ds_bpermute_b32 v29, v45, v26
	s_wait_dscnt 0x0
	v_cndmask_b32_e32 v29, 0, v29, vcc_lo
	v_cmp_le_u32_e32 vcc_lo, v48, v28
	v_add_nc_u32_e32 v26, v26, v29
	ds_bpermute_b32 v29, v47, v26
	s_wait_dscnt 0x0
	v_cndmask_b32_e32 v29, 0, v29, vcc_lo
	v_cmp_le_u32_e32 vcc_lo, v50, v28
	s_delay_alu instid0(VALU_DEP_2) | instskip(SKIP_4) | instid1(VALU_DEP_2)
	v_add_nc_u32_e32 v26, v26, v29
	ds_bpermute_b32 v29, v49, v26
	s_wait_dscnt 0x0
	v_cndmask_b32_e32 v29, 0, v29, vcc_lo
	v_cmp_le_u32_e32 vcc_lo, v52, v28
	v_add_nc_u32_e32 v26, v26, v29
	ds_bpermute_b32 v29, v51, v26
	s_wait_dscnt 0x0
	v_cndmask_b32_e32 v28, 0, v29, vcc_lo
	s_delay_alu instid0(VALU_DEP_1)
	v_add3_u32 v26, v28, v23, v26
.LBB1051_162:                           ;   in Loop: Header=BB1051_163 Depth=1
	s_and_b32 vcc_lo, exec_lo, s16
	s_cbranch_vccnz .LBB1051_168
.LBB1051_163:                           ; =>This Loop Header: Depth=1
                                        ;     Child Loop BB1051_166 Depth 2
	v_and_b32_e32 v23, 0xff, v27
	s_mov_b32 s16, -1
                                        ; implicit-def: $vgpr27
	s_delay_alu instid0(VALU_DEP_1)
	v_cmp_ne_u16_e32 vcc_lo, 2, v23
	v_mov_b32_e32 v23, v26
                                        ; implicit-def: $vgpr26
	s_cmp_lg_u32 vcc_lo, exec_lo
	s_cbranch_scc1 .LBB1051_162
; %bb.164:                              ;   in Loop: Header=BB1051_163 Depth=1
	global_load_b64 v[26:27], v24, s[10:11] scale_offset scope:SCOPE_DEV
	s_mov_b32 s16, exec_lo
	s_wait_loadcnt 0x0
	v_and_b32_e32 v28, 0xff, v27
	s_wait_xcnt 0x0
	s_delay_alu instid0(VALU_DEP_1)
	v_cmpx_eq_u16_e32 0, v28
	s_cbranch_execz .LBB1051_161
; %bb.165:                              ;   in Loop: Header=BB1051_163 Depth=1
	v_lshl_add_u64 v[28:29], v[24:25], 3, s[10:11]
	s_mov_b32 s17, 0
.LBB1051_166:                           ;   Parent Loop BB1051_163 Depth=1
                                        ; =>  This Inner Loop Header: Depth=2
	global_load_b64 v[26:27], v[28:29], off scope:SCOPE_DEV
	s_wait_loadcnt 0x0
	v_and_b32_e32 v53, 0xff, v27
	s_delay_alu instid0(VALU_DEP_1)
	v_cmp_ne_u16_e32 vcc_lo, 0, v53
	s_or_b32 s17, vcc_lo, s17
	s_wait_xcnt 0x0
	s_and_not1_b32 exec_lo, exec_lo, s17
	s_cbranch_execnz .LBB1051_166
; %bb.167:                              ;   in Loop: Header=BB1051_163 Depth=1
	s_or_b32 exec_lo, exec_lo, s17
	s_branch .LBB1051_161
.LBB1051_168:
	s_and_saveexec_b32 s16, s8
	s_cbranch_execz .LBB1051_170
; %bb.169:
	s_add_co_i32 s17, s22, 32
	v_dual_mov_b32 v25, 2 :: v_dual_add_nc_u32 v24, v23, v22
	v_dual_mov_b32 v26, s17 :: v_dual_mov_b32 v27, 0
	global_store_b64 v26, v[24:25], s[10:11] scale_offset scope:SCOPE_DEV
	ds_store_b64 v27, v[22:23] offset:28672
.LBB1051_170:
	s_wait_xcnt 0x0
	s_or_b32 exec_lo, exec_lo, s16
	v_cmp_eq_u32_e32 vcc_lo, 0, v0
	s_and_b32 exec_lo, exec_lo, vcc_lo
; %bb.171:
	v_mov_b32_e32 v22, 0
	ds_store_b32 v22, v23 offset:60
.LBB1051_172:
	s_or_b32 exec_lo, exec_lo, s9
	s_wait_dscnt 0x0
	v_dual_mov_b32 v22, 0 :: v_dual_cndmask_b32 v24, v42, v41, s8
	s_wait_storecnt 0x0
	s_barrier_signal -1
	s_barrier_wait -1
	ds_load_b32 v23, v22 offset:60
	v_cmp_ne_u32_e32 vcc_lo, 0, v0
	s_wait_dscnt 0x0
	s_barrier_signal -1
	s_barrier_wait -1
	v_cndmask_b32_e32 v24, 0, v24, vcc_lo
	s_mov_b32 s8, 0
	s_delay_alu instid0(VALU_DEP_1) | instskip(SKIP_2) | instid1(VALU_DEP_1)
	v_add_nc_u32_e32 v42, v23, v24
	ds_load_b64 v[22:23], v22 offset:28672
	v_add_nc_u32_e32 v41, v42, v19
	v_add_nc_u32_e32 v29, v41, v33
	s_delay_alu instid0(VALU_DEP_1) | instskip(SKIP_1) | instid1(VALU_DEP_1)
	v_add_nc_u32_e32 v28, v29, v34
	s_wait_dscnt 0x0
	v_dual_mov_b32 v24, v23 :: v_dual_add_nc_u32 v27, v28, v35
	s_delay_alu instid0(VALU_DEP_1) | instskip(NEXT) | instid1(VALU_DEP_1)
	v_add_nc_u32_e32 v26, v27, v36
	v_add_nc_u32_e32 v25, v26, v37
.LBB1051_173:
	s_and_b32 vcc_lo, exec_lo, s8
	s_cbranch_vccz .LBB1051_183
; %bb.174:
	v_mov_b32_dpp v22, v40 row_shr:1 row_mask:0xf bank_mask:0xf
	s_delay_alu instid0(VALU_DEP_1) | instskip(NEXT) | instid1(VALU_DEP_1)
	v_cndmask_b32_e64 v22, v22, 0, s2
	v_add_nc_u32_e32 v22, v22, v40
	s_delay_alu instid0(VALU_DEP_1) | instskip(NEXT) | instid1(VALU_DEP_1)
	v_mov_b32_dpp v23, v22 row_shr:2 row_mask:0xf bank_mask:0xf
	v_cndmask_b32_e64 v23, 0, v23, s4
	s_delay_alu instid0(VALU_DEP_1) | instskip(NEXT) | instid1(VALU_DEP_1)
	v_add_nc_u32_e32 v22, v22, v23
	v_mov_b32_dpp v23, v22 row_shr:4 row_mask:0xf bank_mask:0xf
	s_delay_alu instid0(VALU_DEP_1) | instskip(NEXT) | instid1(VALU_DEP_1)
	v_cndmask_b32_e64 v23, 0, v23, s5
	v_add_nc_u32_e32 v22, v22, v23
	s_delay_alu instid0(VALU_DEP_1) | instskip(NEXT) | instid1(VALU_DEP_1)
	v_mov_b32_dpp v23, v22 row_shr:8 row_mask:0xf bank_mask:0xf
	v_cndmask_b32_e64 v23, 0, v23, s3
	s_delay_alu instid0(VALU_DEP_1) | instskip(SKIP_3) | instid1(VALU_DEP_1)
	v_add_nc_u32_e32 v22, v22, v23
	ds_swizzle_b32 v23, v22 offset:swizzle(BROADCAST,32,15)
	s_wait_dscnt 0x0
	v_cndmask_b32_e64 v23, v23, 0, s7
	v_add_nc_u32_e32 v22, v22, v23
	s_and_saveexec_b32 s7, s6
; %bb.175:
	v_lshlrev_b32_e32 v23, 2, v39
	ds_store_b32 v23, v22
; %bb.176:
	s_or_b32 exec_lo, exec_lo, s7
	s_delay_alu instid0(SALU_CYCLE_1)
	s_mov_b32 s6, exec_lo
	s_wait_dscnt 0x0
	s_barrier_signal -1
	s_barrier_wait -1
	v_cmpx_gt_u32_e32 16, v0
	s_cbranch_execz .LBB1051_178
; %bb.177:
	v_lshlrev_b32_e32 v23, 2, v0
	ds_load_b32 v24, v23
	s_wait_dscnt 0x0
	v_mov_b32_dpp v25, v24 row_shr:1 row_mask:0xf bank_mask:0xf
	s_delay_alu instid0(VALU_DEP_1) | instskip(NEXT) | instid1(VALU_DEP_1)
	v_cndmask_b32_e64 v25, v25, 0, s2
	v_add_nc_u32_e32 v24, v25, v24
	s_delay_alu instid0(VALU_DEP_1) | instskip(NEXT) | instid1(VALU_DEP_1)
	v_mov_b32_dpp v25, v24 row_shr:2 row_mask:0xf bank_mask:0xf
	v_cndmask_b32_e64 v25, 0, v25, s4
	s_delay_alu instid0(VALU_DEP_1) | instskip(NEXT) | instid1(VALU_DEP_1)
	v_add_nc_u32_e32 v24, v24, v25
	v_mov_b32_dpp v25, v24 row_shr:4 row_mask:0xf bank_mask:0xf
	s_delay_alu instid0(VALU_DEP_1) | instskip(NEXT) | instid1(VALU_DEP_1)
	v_cndmask_b32_e64 v25, 0, v25, s5
	v_add_nc_u32_e32 v24, v24, v25
	s_delay_alu instid0(VALU_DEP_1) | instskip(NEXT) | instid1(VALU_DEP_1)
	v_mov_b32_dpp v25, v24 row_shr:8 row_mask:0xf bank_mask:0xf
	v_cndmask_b32_e64 v25, 0, v25, s3
	s_delay_alu instid0(VALU_DEP_1)
	v_add_nc_u32_e32 v24, v24, v25
	ds_store_b32 v23, v24
.LBB1051_178:
	s_or_b32 exec_lo, exec_lo, s6
	v_dual_mov_b32 v23, 0 :: v_dual_mov_b32 v24, 0
	s_mov_b32 s2, exec_lo
	s_wait_dscnt 0x0
	s_barrier_signal -1
	s_barrier_wait -1
	v_cmpx_lt_u32_e32 31, v0
; %bb.179:
	v_lshl_add_u32 v24, v39, 2, -4
	ds_load_b32 v24, v24
; %bb.180:
	s_or_b32 exec_lo, exec_lo, s2
	v_sub_co_u32 v25, vcc_lo, v38, 1
	s_delay_alu instid0(VALU_DEP_1) | instskip(NEXT) | instid1(VALU_DEP_1)
	v_cmp_gt_i32_e64 s2, 0, v25
	v_cndmask_b32_e64 v25, v25, v38, s2
	s_wait_dscnt 0x0
	v_add_nc_u32_e32 v22, v24, v22
	v_cmp_eq_u32_e64 s2, 0, v0
	s_delay_alu instid0(VALU_DEP_3)
	v_lshlrev_b32_e32 v25, 2, v25
	ds_bpermute_b32 v25, v25, v22
	ds_load_b32 v22, v23 offset:60
	s_and_saveexec_b32 s3, s2
	s_cbranch_execz .LBB1051_182
; %bb.181:
	v_dual_mov_b32 v26, 0 :: v_dual_mov_b32 v23, 2
	s_wait_dscnt 0x0
	global_store_b64 v26, v[22:23], s[10:11] offset:256 scope:SCOPE_DEV
.LBB1051_182:
	s_wait_xcnt 0x0
	s_or_b32 exec_lo, exec_lo, s3
	s_wait_dscnt 0x1
	v_cndmask_b32_e32 v23, v25, v24, vcc_lo
	s_wait_storecnt_dscnt 0x0
	s_barrier_signal -1
	s_barrier_wait -1
	s_delay_alu instid0(VALU_DEP_1) | instskip(NEXT) | instid1(VALU_DEP_1)
	v_cndmask_b32_e64 v42, v23, 0, s2
	v_dual_mov_b32 v24, 0 :: v_dual_add_nc_u32 v41, v42, v19
	s_delay_alu instid0(VALU_DEP_1) | instskip(NEXT) | instid1(VALU_DEP_1)
	v_add_nc_u32_e32 v29, v41, v33
	v_add_nc_u32_e32 v28, v29, v34
	s_delay_alu instid0(VALU_DEP_1) | instskip(NEXT) | instid1(VALU_DEP_1)
	v_add_nc_u32_e32 v27, v28, v35
	v_add_nc_u32_e32 v26, v27, v36
	s_delay_alu instid0(VALU_DEP_1)
	v_add_nc_u32_e32 v25, v26, v37
.LBB1051_183:
	s_load_b64 s[2:3], s[0:1], 0x28
	v_and_b32_e32 v16, 1, v16
	v_cmp_gt_u32_e32 vcc_lo, 0x201, v22
	s_wait_xcnt 0x0
	s_mov_b32 s1, -1
	s_delay_alu instid0(VALU_DEP_2)
	v_cmp_eq_u32_e64 s0, 1, v16
	s_cbranch_vccnz .LBB1051_187
; %bb.184:
	s_and_b32 vcc_lo, exec_lo, s1
	s_cbranch_vccnz .LBB1051_202
.LBB1051_185:
	v_cmp_eq_u32_e32 vcc_lo, 0, v0
	s_and_b32 s0, vcc_lo, s20
	s_delay_alu instid0(SALU_CYCLE_1)
	s_and_saveexec_b32 s1, s0
	s_cbranch_execnz .LBB1051_219
.LBB1051_186:
	s_endpgm
.LBB1051_187:
	v_add_nc_u32_e32 v19, v24, v22
	s_delay_alu instid0(VALU_DEP_1) | instskip(SKIP_1) | instid1(SALU_CYCLE_1)
	v_cmp_lt_u32_e32 vcc_lo, v42, v19
	s_or_b32 s1, s21, vcc_lo
	s_and_b32 s1, s1, s0
	s_delay_alu instid0(SALU_CYCLE_1)
	s_and_saveexec_b32 s0, s1
	s_cbranch_execz .LBB1051_189
; %bb.188:
	s_lshl_b64 s[4:5], s[14:15], 3
	s_wait_kmcnt 0x0
	s_add_nc_u64 s[4:5], s[2:3], s[4:5]
	global_store_b64 v42, v[10:11], s[4:5] scale_offset
.LBB1051_189:
	s_wait_xcnt 0x0
	s_or_b32 exec_lo, exec_lo, s0
	v_and_b32_e32 v23, 1, v32
	v_cmp_lt_u32_e32 vcc_lo, v41, v19
	s_delay_alu instid0(VALU_DEP_2) | instskip(SKIP_1) | instid1(SALU_CYCLE_1)
	v_cmp_eq_u32_e64 s0, 1, v23
	s_or_b32 s1, s21, vcc_lo
	s_and_b32 s1, s1, s0
	s_delay_alu instid0(SALU_CYCLE_1)
	s_and_saveexec_b32 s0, s1
	s_cbranch_execz .LBB1051_191
; %bb.190:
	s_lshl_b64 s[4:5], s[14:15], 3
	s_wait_kmcnt 0x0
	s_add_nc_u64 s[4:5], s[2:3], s[4:5]
	global_store_b64 v41, v[12:13], s[4:5] scale_offset
.LBB1051_191:
	s_wait_xcnt 0x0
	s_or_b32 exec_lo, exec_lo, s0
	v_and_b32_e32 v23, 1, v31
	v_cmp_lt_u32_e32 vcc_lo, v29, v19
	s_delay_alu instid0(VALU_DEP_2) | instskip(SKIP_1) | instid1(SALU_CYCLE_1)
	v_cmp_eq_u32_e64 s0, 1, v23
	;; [unrolled: 17-line block ×6, first 2 shown]
	s_or_b32 s1, s21, vcc_lo
	s_and_b32 s1, s1, s0
	s_delay_alu instid0(SALU_CYCLE_1)
	s_and_saveexec_b32 s0, s1
	s_cbranch_execz .LBB1051_201
; %bb.200:
	s_lshl_b64 s[4:5], s[14:15], 3
	s_wait_kmcnt 0x0
	s_add_nc_u64 s[4:5], s[2:3], s[4:5]
	global_store_b64 v25, v[14:15], s[4:5] scale_offset
.LBB1051_201:
	s_wait_xcnt 0x0
	s_or_b32 exec_lo, exec_lo, s0
	s_branch .LBB1051_185
.LBB1051_202:
	s_mov_b32 s0, exec_lo
	v_cmpx_eq_u32_e32 1, v16
; %bb.203:
	v_sub_nc_u32_e32 v16, v42, v24
	s_delay_alu instid0(VALU_DEP_1)
	v_lshlrev_b32_e32 v16, 3, v16
	ds_store_b64 v16, v[10:11]
; %bb.204:
	s_or_b32 exec_lo, exec_lo, s0
	v_and_b32_e32 v10, 1, v32
	s_mov_b32 s0, exec_lo
	s_delay_alu instid0(VALU_DEP_1)
	v_cmpx_eq_u32_e32 1, v10
; %bb.205:
	v_sub_nc_u32_e32 v10, v41, v24
	s_delay_alu instid0(VALU_DEP_1)
	v_lshlrev_b32_e32 v10, 3, v10
	ds_store_b64 v10, v[12:13]
; %bb.206:
	s_or_b32 exec_lo, exec_lo, s0
	v_and_b32_e32 v10, 1, v31
	s_mov_b32 s0, exec_lo
	s_delay_alu instid0(VALU_DEP_1)
	;; [unrolled: 11-line block ×6, first 2 shown]
	v_cmpx_eq_u32_e32 1, v2
; %bb.215:
	v_sub_nc_u32_e32 v2, v25, v24
	s_delay_alu instid0(VALU_DEP_1)
	v_lshlrev_b32_e32 v2, 3, v2
	ds_store_b64 v2, v[14:15]
; %bb.216:
	s_or_b32 exec_lo, exec_lo, s0
	v_mov_b32_e32 v25, 0
	s_lshl_b64 s[0:1], s[14:15], 3
	s_wait_storecnt_dscnt 0x0
	s_barrier_signal -1
	s_barrier_wait -1
	v_lshlrev_b64_e32 v[2:3], 3, v[24:25]
	v_mov_b32_e32 v19, v25
	s_delay_alu instid0(VALU_DEP_2) | instskip(SKIP_2) | instid1(VALU_DEP_1)
	v_add_nc_u64_e32 v[2:3], s[0:1], v[2:3]
	s_mov_b32 s0, 0
	s_wait_kmcnt 0x0
	v_add_nc_u64_e32 v[2:3], s[2:3], v[2:3]
	s_delay_alu instid0(VALU_DEP_1)
	v_add_nc_u64_e32 v[2:3], v[2:3], v[18:19]
.LBB1051_217:                           ; =>This Inner Loop Header: Depth=1
	ds_load_b64 v[4:5], v18
	v_add_nc_u32_e32 v1, 0x200, v1
	v_add_nc_u32_e32 v18, 0x1000, v18
	s_delay_alu instid0(VALU_DEP_2)
	v_cmp_ge_u32_e32 vcc_lo, v1, v22
	s_or_b32 s0, vcc_lo, s0
	s_wait_dscnt 0x0
	global_store_b64 v[2:3], v[4:5], off
	s_wait_xcnt 0x0
	v_add_nc_u64_e32 v[2:3], 0x1000, v[2:3]
	s_and_not1_b32 exec_lo, exec_lo, s0
	s_cbranch_execnz .LBB1051_217
; %bb.218:
	s_or_b32 exec_lo, exec_lo, s0
	v_cmp_eq_u32_e32 vcc_lo, 0, v0
	s_and_b32 s0, vcc_lo, s20
	s_delay_alu instid0(SALU_CYCLE_1)
	s_and_saveexec_b32 s1, s0
	s_cbranch_execz .LBB1051_186
.LBB1051_219:
	v_mov_b32_e32 v23, 0
	s_delay_alu instid0(VALU_DEP_1) | instskip(SKIP_1) | instid1(VALU_DEP_1)
	v_add_nc_u64_e32 v[0:1], s[14:15], v[22:23]
	v_mov_b32_e32 v25, v23
	v_add_nc_u64_e32 v[0:1], v[0:1], v[24:25]
	global_store_b64 v23, v[0:1], s[12:13]
	s_endpgm
	.section	.rodata,"a",@progbits
	.p2align	6, 0x0
	.amdhsa_kernel _ZN7rocprim17ROCPRIM_400000_NS6detail17trampoline_kernelINS0_14default_configENS1_25partition_config_selectorILNS1_17partition_subalgoE8ElNS0_10empty_typeEbEEZZNS1_14partition_implILS5_8ELb0ES3_jPlPS6_PKS6_NS0_5tupleIJS9_S6_EEENSD_IJSA_SA_EEENS0_18inequality_wrapperIZN2at6native12_GLOBAL__N_124unique_dim_cuda_templateIbEESt5tupleIJNSH_6TensorESM_SM_EERKSM_lbbbEUlllE0_EEPmJS6_EEE10hipError_tPvRmT3_T4_T5_T6_T7_T9_mT8_P12ihipStream_tbDpT10_ENKUlT_T0_E_clISt17integral_constantIbLb0EES1C_EEDaS17_S18_EUlS17_E_NS1_11comp_targetILNS1_3genE0ELNS1_11target_archE4294967295ELNS1_3gpuE0ELNS1_3repE0EEENS1_30default_config_static_selectorELNS0_4arch9wavefront6targetE0EEEvT1_
		.amdhsa_group_segment_fixed_size 28680
		.amdhsa_private_segment_fixed_size 0
		.amdhsa_kernarg_size 120
		.amdhsa_user_sgpr_count 2
		.amdhsa_user_sgpr_dispatch_ptr 0
		.amdhsa_user_sgpr_queue_ptr 0
		.amdhsa_user_sgpr_kernarg_segment_ptr 1
		.amdhsa_user_sgpr_dispatch_id 0
		.amdhsa_user_sgpr_kernarg_preload_length 0
		.amdhsa_user_sgpr_kernarg_preload_offset 0
		.amdhsa_user_sgpr_private_segment_size 0
		.amdhsa_wavefront_size32 1
		.amdhsa_uses_dynamic_stack 0
		.amdhsa_enable_private_segment 0
		.amdhsa_system_sgpr_workgroup_id_x 1
		.amdhsa_system_sgpr_workgroup_id_y 0
		.amdhsa_system_sgpr_workgroup_id_z 0
		.amdhsa_system_sgpr_workgroup_info 0
		.amdhsa_system_vgpr_workitem_id 0
		.amdhsa_next_free_vgpr 54
		.amdhsa_next_free_sgpr 34
		.amdhsa_named_barrier_count 0
		.amdhsa_reserve_vcc 1
		.amdhsa_float_round_mode_32 0
		.amdhsa_float_round_mode_16_64 0
		.amdhsa_float_denorm_mode_32 3
		.amdhsa_float_denorm_mode_16_64 3
		.amdhsa_fp16_overflow 0
		.amdhsa_memory_ordered 1
		.amdhsa_forward_progress 1
		.amdhsa_inst_pref_size 87
		.amdhsa_round_robin_scheduling 0
		.amdhsa_exception_fp_ieee_invalid_op 0
		.amdhsa_exception_fp_denorm_src 0
		.amdhsa_exception_fp_ieee_div_zero 0
		.amdhsa_exception_fp_ieee_overflow 0
		.amdhsa_exception_fp_ieee_underflow 0
		.amdhsa_exception_fp_ieee_inexact 0
		.amdhsa_exception_int_div_zero 0
	.end_amdhsa_kernel
	.section	.text._ZN7rocprim17ROCPRIM_400000_NS6detail17trampoline_kernelINS0_14default_configENS1_25partition_config_selectorILNS1_17partition_subalgoE8ElNS0_10empty_typeEbEEZZNS1_14partition_implILS5_8ELb0ES3_jPlPS6_PKS6_NS0_5tupleIJS9_S6_EEENSD_IJSA_SA_EEENS0_18inequality_wrapperIZN2at6native12_GLOBAL__N_124unique_dim_cuda_templateIbEESt5tupleIJNSH_6TensorESM_SM_EERKSM_lbbbEUlllE0_EEPmJS6_EEE10hipError_tPvRmT3_T4_T5_T6_T7_T9_mT8_P12ihipStream_tbDpT10_ENKUlT_T0_E_clISt17integral_constantIbLb0EES1C_EEDaS17_S18_EUlS17_E_NS1_11comp_targetILNS1_3genE0ELNS1_11target_archE4294967295ELNS1_3gpuE0ELNS1_3repE0EEENS1_30default_config_static_selectorELNS0_4arch9wavefront6targetE0EEEvT1_,"axG",@progbits,_ZN7rocprim17ROCPRIM_400000_NS6detail17trampoline_kernelINS0_14default_configENS1_25partition_config_selectorILNS1_17partition_subalgoE8ElNS0_10empty_typeEbEEZZNS1_14partition_implILS5_8ELb0ES3_jPlPS6_PKS6_NS0_5tupleIJS9_S6_EEENSD_IJSA_SA_EEENS0_18inequality_wrapperIZN2at6native12_GLOBAL__N_124unique_dim_cuda_templateIbEESt5tupleIJNSH_6TensorESM_SM_EERKSM_lbbbEUlllE0_EEPmJS6_EEE10hipError_tPvRmT3_T4_T5_T6_T7_T9_mT8_P12ihipStream_tbDpT10_ENKUlT_T0_E_clISt17integral_constantIbLb0EES1C_EEDaS17_S18_EUlS17_E_NS1_11comp_targetILNS1_3genE0ELNS1_11target_archE4294967295ELNS1_3gpuE0ELNS1_3repE0EEENS1_30default_config_static_selectorELNS0_4arch9wavefront6targetE0EEEvT1_,comdat
.Lfunc_end1051:
	.size	_ZN7rocprim17ROCPRIM_400000_NS6detail17trampoline_kernelINS0_14default_configENS1_25partition_config_selectorILNS1_17partition_subalgoE8ElNS0_10empty_typeEbEEZZNS1_14partition_implILS5_8ELb0ES3_jPlPS6_PKS6_NS0_5tupleIJS9_S6_EEENSD_IJSA_SA_EEENS0_18inequality_wrapperIZN2at6native12_GLOBAL__N_124unique_dim_cuda_templateIbEESt5tupleIJNSH_6TensorESM_SM_EERKSM_lbbbEUlllE0_EEPmJS6_EEE10hipError_tPvRmT3_T4_T5_T6_T7_T9_mT8_P12ihipStream_tbDpT10_ENKUlT_T0_E_clISt17integral_constantIbLb0EES1C_EEDaS17_S18_EUlS17_E_NS1_11comp_targetILNS1_3genE0ELNS1_11target_archE4294967295ELNS1_3gpuE0ELNS1_3repE0EEENS1_30default_config_static_selectorELNS0_4arch9wavefront6targetE0EEEvT1_, .Lfunc_end1051-_ZN7rocprim17ROCPRIM_400000_NS6detail17trampoline_kernelINS0_14default_configENS1_25partition_config_selectorILNS1_17partition_subalgoE8ElNS0_10empty_typeEbEEZZNS1_14partition_implILS5_8ELb0ES3_jPlPS6_PKS6_NS0_5tupleIJS9_S6_EEENSD_IJSA_SA_EEENS0_18inequality_wrapperIZN2at6native12_GLOBAL__N_124unique_dim_cuda_templateIbEESt5tupleIJNSH_6TensorESM_SM_EERKSM_lbbbEUlllE0_EEPmJS6_EEE10hipError_tPvRmT3_T4_T5_T6_T7_T9_mT8_P12ihipStream_tbDpT10_ENKUlT_T0_E_clISt17integral_constantIbLb0EES1C_EEDaS17_S18_EUlS17_E_NS1_11comp_targetILNS1_3genE0ELNS1_11target_archE4294967295ELNS1_3gpuE0ELNS1_3repE0EEENS1_30default_config_static_selectorELNS0_4arch9wavefront6targetE0EEEvT1_
                                        ; -- End function
	.set _ZN7rocprim17ROCPRIM_400000_NS6detail17trampoline_kernelINS0_14default_configENS1_25partition_config_selectorILNS1_17partition_subalgoE8ElNS0_10empty_typeEbEEZZNS1_14partition_implILS5_8ELb0ES3_jPlPS6_PKS6_NS0_5tupleIJS9_S6_EEENSD_IJSA_SA_EEENS0_18inequality_wrapperIZN2at6native12_GLOBAL__N_124unique_dim_cuda_templateIbEESt5tupleIJNSH_6TensorESM_SM_EERKSM_lbbbEUlllE0_EEPmJS6_EEE10hipError_tPvRmT3_T4_T5_T6_T7_T9_mT8_P12ihipStream_tbDpT10_ENKUlT_T0_E_clISt17integral_constantIbLb0EES1C_EEDaS17_S18_EUlS17_E_NS1_11comp_targetILNS1_3genE0ELNS1_11target_archE4294967295ELNS1_3gpuE0ELNS1_3repE0EEENS1_30default_config_static_selectorELNS0_4arch9wavefront6targetE0EEEvT1_.num_vgpr, 54
	.set _ZN7rocprim17ROCPRIM_400000_NS6detail17trampoline_kernelINS0_14default_configENS1_25partition_config_selectorILNS1_17partition_subalgoE8ElNS0_10empty_typeEbEEZZNS1_14partition_implILS5_8ELb0ES3_jPlPS6_PKS6_NS0_5tupleIJS9_S6_EEENSD_IJSA_SA_EEENS0_18inequality_wrapperIZN2at6native12_GLOBAL__N_124unique_dim_cuda_templateIbEESt5tupleIJNSH_6TensorESM_SM_EERKSM_lbbbEUlllE0_EEPmJS6_EEE10hipError_tPvRmT3_T4_T5_T6_T7_T9_mT8_P12ihipStream_tbDpT10_ENKUlT_T0_E_clISt17integral_constantIbLb0EES1C_EEDaS17_S18_EUlS17_E_NS1_11comp_targetILNS1_3genE0ELNS1_11target_archE4294967295ELNS1_3gpuE0ELNS1_3repE0EEENS1_30default_config_static_selectorELNS0_4arch9wavefront6targetE0EEEvT1_.num_agpr, 0
	.set _ZN7rocprim17ROCPRIM_400000_NS6detail17trampoline_kernelINS0_14default_configENS1_25partition_config_selectorILNS1_17partition_subalgoE8ElNS0_10empty_typeEbEEZZNS1_14partition_implILS5_8ELb0ES3_jPlPS6_PKS6_NS0_5tupleIJS9_S6_EEENSD_IJSA_SA_EEENS0_18inequality_wrapperIZN2at6native12_GLOBAL__N_124unique_dim_cuda_templateIbEESt5tupleIJNSH_6TensorESM_SM_EERKSM_lbbbEUlllE0_EEPmJS6_EEE10hipError_tPvRmT3_T4_T5_T6_T7_T9_mT8_P12ihipStream_tbDpT10_ENKUlT_T0_E_clISt17integral_constantIbLb0EES1C_EEDaS17_S18_EUlS17_E_NS1_11comp_targetILNS1_3genE0ELNS1_11target_archE4294967295ELNS1_3gpuE0ELNS1_3repE0EEENS1_30default_config_static_selectorELNS0_4arch9wavefront6targetE0EEEvT1_.numbered_sgpr, 34
	.set _ZN7rocprim17ROCPRIM_400000_NS6detail17trampoline_kernelINS0_14default_configENS1_25partition_config_selectorILNS1_17partition_subalgoE8ElNS0_10empty_typeEbEEZZNS1_14partition_implILS5_8ELb0ES3_jPlPS6_PKS6_NS0_5tupleIJS9_S6_EEENSD_IJSA_SA_EEENS0_18inequality_wrapperIZN2at6native12_GLOBAL__N_124unique_dim_cuda_templateIbEESt5tupleIJNSH_6TensorESM_SM_EERKSM_lbbbEUlllE0_EEPmJS6_EEE10hipError_tPvRmT3_T4_T5_T6_T7_T9_mT8_P12ihipStream_tbDpT10_ENKUlT_T0_E_clISt17integral_constantIbLb0EES1C_EEDaS17_S18_EUlS17_E_NS1_11comp_targetILNS1_3genE0ELNS1_11target_archE4294967295ELNS1_3gpuE0ELNS1_3repE0EEENS1_30default_config_static_selectorELNS0_4arch9wavefront6targetE0EEEvT1_.num_named_barrier, 0
	.set _ZN7rocprim17ROCPRIM_400000_NS6detail17trampoline_kernelINS0_14default_configENS1_25partition_config_selectorILNS1_17partition_subalgoE8ElNS0_10empty_typeEbEEZZNS1_14partition_implILS5_8ELb0ES3_jPlPS6_PKS6_NS0_5tupleIJS9_S6_EEENSD_IJSA_SA_EEENS0_18inequality_wrapperIZN2at6native12_GLOBAL__N_124unique_dim_cuda_templateIbEESt5tupleIJNSH_6TensorESM_SM_EERKSM_lbbbEUlllE0_EEPmJS6_EEE10hipError_tPvRmT3_T4_T5_T6_T7_T9_mT8_P12ihipStream_tbDpT10_ENKUlT_T0_E_clISt17integral_constantIbLb0EES1C_EEDaS17_S18_EUlS17_E_NS1_11comp_targetILNS1_3genE0ELNS1_11target_archE4294967295ELNS1_3gpuE0ELNS1_3repE0EEENS1_30default_config_static_selectorELNS0_4arch9wavefront6targetE0EEEvT1_.private_seg_size, 0
	.set _ZN7rocprim17ROCPRIM_400000_NS6detail17trampoline_kernelINS0_14default_configENS1_25partition_config_selectorILNS1_17partition_subalgoE8ElNS0_10empty_typeEbEEZZNS1_14partition_implILS5_8ELb0ES3_jPlPS6_PKS6_NS0_5tupleIJS9_S6_EEENSD_IJSA_SA_EEENS0_18inequality_wrapperIZN2at6native12_GLOBAL__N_124unique_dim_cuda_templateIbEESt5tupleIJNSH_6TensorESM_SM_EERKSM_lbbbEUlllE0_EEPmJS6_EEE10hipError_tPvRmT3_T4_T5_T6_T7_T9_mT8_P12ihipStream_tbDpT10_ENKUlT_T0_E_clISt17integral_constantIbLb0EES1C_EEDaS17_S18_EUlS17_E_NS1_11comp_targetILNS1_3genE0ELNS1_11target_archE4294967295ELNS1_3gpuE0ELNS1_3repE0EEENS1_30default_config_static_selectorELNS0_4arch9wavefront6targetE0EEEvT1_.uses_vcc, 1
	.set _ZN7rocprim17ROCPRIM_400000_NS6detail17trampoline_kernelINS0_14default_configENS1_25partition_config_selectorILNS1_17partition_subalgoE8ElNS0_10empty_typeEbEEZZNS1_14partition_implILS5_8ELb0ES3_jPlPS6_PKS6_NS0_5tupleIJS9_S6_EEENSD_IJSA_SA_EEENS0_18inequality_wrapperIZN2at6native12_GLOBAL__N_124unique_dim_cuda_templateIbEESt5tupleIJNSH_6TensorESM_SM_EERKSM_lbbbEUlllE0_EEPmJS6_EEE10hipError_tPvRmT3_T4_T5_T6_T7_T9_mT8_P12ihipStream_tbDpT10_ENKUlT_T0_E_clISt17integral_constantIbLb0EES1C_EEDaS17_S18_EUlS17_E_NS1_11comp_targetILNS1_3genE0ELNS1_11target_archE4294967295ELNS1_3gpuE0ELNS1_3repE0EEENS1_30default_config_static_selectorELNS0_4arch9wavefront6targetE0EEEvT1_.uses_flat_scratch, 0
	.set _ZN7rocprim17ROCPRIM_400000_NS6detail17trampoline_kernelINS0_14default_configENS1_25partition_config_selectorILNS1_17partition_subalgoE8ElNS0_10empty_typeEbEEZZNS1_14partition_implILS5_8ELb0ES3_jPlPS6_PKS6_NS0_5tupleIJS9_S6_EEENSD_IJSA_SA_EEENS0_18inequality_wrapperIZN2at6native12_GLOBAL__N_124unique_dim_cuda_templateIbEESt5tupleIJNSH_6TensorESM_SM_EERKSM_lbbbEUlllE0_EEPmJS6_EEE10hipError_tPvRmT3_T4_T5_T6_T7_T9_mT8_P12ihipStream_tbDpT10_ENKUlT_T0_E_clISt17integral_constantIbLb0EES1C_EEDaS17_S18_EUlS17_E_NS1_11comp_targetILNS1_3genE0ELNS1_11target_archE4294967295ELNS1_3gpuE0ELNS1_3repE0EEENS1_30default_config_static_selectorELNS0_4arch9wavefront6targetE0EEEvT1_.has_dyn_sized_stack, 0
	.set _ZN7rocprim17ROCPRIM_400000_NS6detail17trampoline_kernelINS0_14default_configENS1_25partition_config_selectorILNS1_17partition_subalgoE8ElNS0_10empty_typeEbEEZZNS1_14partition_implILS5_8ELb0ES3_jPlPS6_PKS6_NS0_5tupleIJS9_S6_EEENSD_IJSA_SA_EEENS0_18inequality_wrapperIZN2at6native12_GLOBAL__N_124unique_dim_cuda_templateIbEESt5tupleIJNSH_6TensorESM_SM_EERKSM_lbbbEUlllE0_EEPmJS6_EEE10hipError_tPvRmT3_T4_T5_T6_T7_T9_mT8_P12ihipStream_tbDpT10_ENKUlT_T0_E_clISt17integral_constantIbLb0EES1C_EEDaS17_S18_EUlS17_E_NS1_11comp_targetILNS1_3genE0ELNS1_11target_archE4294967295ELNS1_3gpuE0ELNS1_3repE0EEENS1_30default_config_static_selectorELNS0_4arch9wavefront6targetE0EEEvT1_.has_recursion, 0
	.set _ZN7rocprim17ROCPRIM_400000_NS6detail17trampoline_kernelINS0_14default_configENS1_25partition_config_selectorILNS1_17partition_subalgoE8ElNS0_10empty_typeEbEEZZNS1_14partition_implILS5_8ELb0ES3_jPlPS6_PKS6_NS0_5tupleIJS9_S6_EEENSD_IJSA_SA_EEENS0_18inequality_wrapperIZN2at6native12_GLOBAL__N_124unique_dim_cuda_templateIbEESt5tupleIJNSH_6TensorESM_SM_EERKSM_lbbbEUlllE0_EEPmJS6_EEE10hipError_tPvRmT3_T4_T5_T6_T7_T9_mT8_P12ihipStream_tbDpT10_ENKUlT_T0_E_clISt17integral_constantIbLb0EES1C_EEDaS17_S18_EUlS17_E_NS1_11comp_targetILNS1_3genE0ELNS1_11target_archE4294967295ELNS1_3gpuE0ELNS1_3repE0EEENS1_30default_config_static_selectorELNS0_4arch9wavefront6targetE0EEEvT1_.has_indirect_call, 0
	.section	.AMDGPU.csdata,"",@progbits
; Kernel info:
; codeLenInByte = 11064
; TotalNumSgprs: 36
; NumVgprs: 54
; ScratchSize: 0
; MemoryBound: 0
; FloatMode: 240
; IeeeMode: 1
; LDSByteSize: 28680 bytes/workgroup (compile time only)
; SGPRBlocks: 0
; VGPRBlocks: 3
; NumSGPRsForWavesPerEU: 36
; NumVGPRsForWavesPerEU: 54
; NamedBarCnt: 0
; Occupancy: 16
; WaveLimiterHint : 1
; COMPUTE_PGM_RSRC2:SCRATCH_EN: 0
; COMPUTE_PGM_RSRC2:USER_SGPR: 2
; COMPUTE_PGM_RSRC2:TRAP_HANDLER: 0
; COMPUTE_PGM_RSRC2:TGID_X_EN: 1
; COMPUTE_PGM_RSRC2:TGID_Y_EN: 0
; COMPUTE_PGM_RSRC2:TGID_Z_EN: 0
; COMPUTE_PGM_RSRC2:TIDIG_COMP_CNT: 0
	.section	.text._ZN7rocprim17ROCPRIM_400000_NS6detail17trampoline_kernelINS0_14default_configENS1_25partition_config_selectorILNS1_17partition_subalgoE8ElNS0_10empty_typeEbEEZZNS1_14partition_implILS5_8ELb0ES3_jPlPS6_PKS6_NS0_5tupleIJS9_S6_EEENSD_IJSA_SA_EEENS0_18inequality_wrapperIZN2at6native12_GLOBAL__N_124unique_dim_cuda_templateIbEESt5tupleIJNSH_6TensorESM_SM_EERKSM_lbbbEUlllE0_EEPmJS6_EEE10hipError_tPvRmT3_T4_T5_T6_T7_T9_mT8_P12ihipStream_tbDpT10_ENKUlT_T0_E_clISt17integral_constantIbLb0EES1C_EEDaS17_S18_EUlS17_E_NS1_11comp_targetILNS1_3genE5ELNS1_11target_archE942ELNS1_3gpuE9ELNS1_3repE0EEENS1_30default_config_static_selectorELNS0_4arch9wavefront6targetE0EEEvT1_,"axG",@progbits,_ZN7rocprim17ROCPRIM_400000_NS6detail17trampoline_kernelINS0_14default_configENS1_25partition_config_selectorILNS1_17partition_subalgoE8ElNS0_10empty_typeEbEEZZNS1_14partition_implILS5_8ELb0ES3_jPlPS6_PKS6_NS0_5tupleIJS9_S6_EEENSD_IJSA_SA_EEENS0_18inequality_wrapperIZN2at6native12_GLOBAL__N_124unique_dim_cuda_templateIbEESt5tupleIJNSH_6TensorESM_SM_EERKSM_lbbbEUlllE0_EEPmJS6_EEE10hipError_tPvRmT3_T4_T5_T6_T7_T9_mT8_P12ihipStream_tbDpT10_ENKUlT_T0_E_clISt17integral_constantIbLb0EES1C_EEDaS17_S18_EUlS17_E_NS1_11comp_targetILNS1_3genE5ELNS1_11target_archE942ELNS1_3gpuE9ELNS1_3repE0EEENS1_30default_config_static_selectorELNS0_4arch9wavefront6targetE0EEEvT1_,comdat
	.globl	_ZN7rocprim17ROCPRIM_400000_NS6detail17trampoline_kernelINS0_14default_configENS1_25partition_config_selectorILNS1_17partition_subalgoE8ElNS0_10empty_typeEbEEZZNS1_14partition_implILS5_8ELb0ES3_jPlPS6_PKS6_NS0_5tupleIJS9_S6_EEENSD_IJSA_SA_EEENS0_18inequality_wrapperIZN2at6native12_GLOBAL__N_124unique_dim_cuda_templateIbEESt5tupleIJNSH_6TensorESM_SM_EERKSM_lbbbEUlllE0_EEPmJS6_EEE10hipError_tPvRmT3_T4_T5_T6_T7_T9_mT8_P12ihipStream_tbDpT10_ENKUlT_T0_E_clISt17integral_constantIbLb0EES1C_EEDaS17_S18_EUlS17_E_NS1_11comp_targetILNS1_3genE5ELNS1_11target_archE942ELNS1_3gpuE9ELNS1_3repE0EEENS1_30default_config_static_selectorELNS0_4arch9wavefront6targetE0EEEvT1_ ; -- Begin function _ZN7rocprim17ROCPRIM_400000_NS6detail17trampoline_kernelINS0_14default_configENS1_25partition_config_selectorILNS1_17partition_subalgoE8ElNS0_10empty_typeEbEEZZNS1_14partition_implILS5_8ELb0ES3_jPlPS6_PKS6_NS0_5tupleIJS9_S6_EEENSD_IJSA_SA_EEENS0_18inequality_wrapperIZN2at6native12_GLOBAL__N_124unique_dim_cuda_templateIbEESt5tupleIJNSH_6TensorESM_SM_EERKSM_lbbbEUlllE0_EEPmJS6_EEE10hipError_tPvRmT3_T4_T5_T6_T7_T9_mT8_P12ihipStream_tbDpT10_ENKUlT_T0_E_clISt17integral_constantIbLb0EES1C_EEDaS17_S18_EUlS17_E_NS1_11comp_targetILNS1_3genE5ELNS1_11target_archE942ELNS1_3gpuE9ELNS1_3repE0EEENS1_30default_config_static_selectorELNS0_4arch9wavefront6targetE0EEEvT1_
	.p2align	8
	.type	_ZN7rocprim17ROCPRIM_400000_NS6detail17trampoline_kernelINS0_14default_configENS1_25partition_config_selectorILNS1_17partition_subalgoE8ElNS0_10empty_typeEbEEZZNS1_14partition_implILS5_8ELb0ES3_jPlPS6_PKS6_NS0_5tupleIJS9_S6_EEENSD_IJSA_SA_EEENS0_18inequality_wrapperIZN2at6native12_GLOBAL__N_124unique_dim_cuda_templateIbEESt5tupleIJNSH_6TensorESM_SM_EERKSM_lbbbEUlllE0_EEPmJS6_EEE10hipError_tPvRmT3_T4_T5_T6_T7_T9_mT8_P12ihipStream_tbDpT10_ENKUlT_T0_E_clISt17integral_constantIbLb0EES1C_EEDaS17_S18_EUlS17_E_NS1_11comp_targetILNS1_3genE5ELNS1_11target_archE942ELNS1_3gpuE9ELNS1_3repE0EEENS1_30default_config_static_selectorELNS0_4arch9wavefront6targetE0EEEvT1_,@function
_ZN7rocprim17ROCPRIM_400000_NS6detail17trampoline_kernelINS0_14default_configENS1_25partition_config_selectorILNS1_17partition_subalgoE8ElNS0_10empty_typeEbEEZZNS1_14partition_implILS5_8ELb0ES3_jPlPS6_PKS6_NS0_5tupleIJS9_S6_EEENSD_IJSA_SA_EEENS0_18inequality_wrapperIZN2at6native12_GLOBAL__N_124unique_dim_cuda_templateIbEESt5tupleIJNSH_6TensorESM_SM_EERKSM_lbbbEUlllE0_EEPmJS6_EEE10hipError_tPvRmT3_T4_T5_T6_T7_T9_mT8_P12ihipStream_tbDpT10_ENKUlT_T0_E_clISt17integral_constantIbLb0EES1C_EEDaS17_S18_EUlS17_E_NS1_11comp_targetILNS1_3genE5ELNS1_11target_archE942ELNS1_3gpuE9ELNS1_3repE0EEENS1_30default_config_static_selectorELNS0_4arch9wavefront6targetE0EEEvT1_: ; @_ZN7rocprim17ROCPRIM_400000_NS6detail17trampoline_kernelINS0_14default_configENS1_25partition_config_selectorILNS1_17partition_subalgoE8ElNS0_10empty_typeEbEEZZNS1_14partition_implILS5_8ELb0ES3_jPlPS6_PKS6_NS0_5tupleIJS9_S6_EEENSD_IJSA_SA_EEENS0_18inequality_wrapperIZN2at6native12_GLOBAL__N_124unique_dim_cuda_templateIbEESt5tupleIJNSH_6TensorESM_SM_EERKSM_lbbbEUlllE0_EEPmJS6_EEE10hipError_tPvRmT3_T4_T5_T6_T7_T9_mT8_P12ihipStream_tbDpT10_ENKUlT_T0_E_clISt17integral_constantIbLb0EES1C_EEDaS17_S18_EUlS17_E_NS1_11comp_targetILNS1_3genE5ELNS1_11target_archE942ELNS1_3gpuE9ELNS1_3repE0EEENS1_30default_config_static_selectorELNS0_4arch9wavefront6targetE0EEEvT1_
; %bb.0:
	.section	.rodata,"a",@progbits
	.p2align	6, 0x0
	.amdhsa_kernel _ZN7rocprim17ROCPRIM_400000_NS6detail17trampoline_kernelINS0_14default_configENS1_25partition_config_selectorILNS1_17partition_subalgoE8ElNS0_10empty_typeEbEEZZNS1_14partition_implILS5_8ELb0ES3_jPlPS6_PKS6_NS0_5tupleIJS9_S6_EEENSD_IJSA_SA_EEENS0_18inequality_wrapperIZN2at6native12_GLOBAL__N_124unique_dim_cuda_templateIbEESt5tupleIJNSH_6TensorESM_SM_EERKSM_lbbbEUlllE0_EEPmJS6_EEE10hipError_tPvRmT3_T4_T5_T6_T7_T9_mT8_P12ihipStream_tbDpT10_ENKUlT_T0_E_clISt17integral_constantIbLb0EES1C_EEDaS17_S18_EUlS17_E_NS1_11comp_targetILNS1_3genE5ELNS1_11target_archE942ELNS1_3gpuE9ELNS1_3repE0EEENS1_30default_config_static_selectorELNS0_4arch9wavefront6targetE0EEEvT1_
		.amdhsa_group_segment_fixed_size 0
		.amdhsa_private_segment_fixed_size 0
		.amdhsa_kernarg_size 120
		.amdhsa_user_sgpr_count 2
		.amdhsa_user_sgpr_dispatch_ptr 0
		.amdhsa_user_sgpr_queue_ptr 0
		.amdhsa_user_sgpr_kernarg_segment_ptr 1
		.amdhsa_user_sgpr_dispatch_id 0
		.amdhsa_user_sgpr_kernarg_preload_length 0
		.amdhsa_user_sgpr_kernarg_preload_offset 0
		.amdhsa_user_sgpr_private_segment_size 0
		.amdhsa_wavefront_size32 1
		.amdhsa_uses_dynamic_stack 0
		.amdhsa_enable_private_segment 0
		.amdhsa_system_sgpr_workgroup_id_x 1
		.amdhsa_system_sgpr_workgroup_id_y 0
		.amdhsa_system_sgpr_workgroup_id_z 0
		.amdhsa_system_sgpr_workgroup_info 0
		.amdhsa_system_vgpr_workitem_id 0
		.amdhsa_next_free_vgpr 1
		.amdhsa_next_free_sgpr 1
		.amdhsa_named_barrier_count 0
		.amdhsa_reserve_vcc 0
		.amdhsa_float_round_mode_32 0
		.amdhsa_float_round_mode_16_64 0
		.amdhsa_float_denorm_mode_32 3
		.amdhsa_float_denorm_mode_16_64 3
		.amdhsa_fp16_overflow 0
		.amdhsa_memory_ordered 1
		.amdhsa_forward_progress 1
		.amdhsa_inst_pref_size 0
		.amdhsa_round_robin_scheduling 0
		.amdhsa_exception_fp_ieee_invalid_op 0
		.amdhsa_exception_fp_denorm_src 0
		.amdhsa_exception_fp_ieee_div_zero 0
		.amdhsa_exception_fp_ieee_overflow 0
		.amdhsa_exception_fp_ieee_underflow 0
		.amdhsa_exception_fp_ieee_inexact 0
		.amdhsa_exception_int_div_zero 0
	.end_amdhsa_kernel
	.section	.text._ZN7rocprim17ROCPRIM_400000_NS6detail17trampoline_kernelINS0_14default_configENS1_25partition_config_selectorILNS1_17partition_subalgoE8ElNS0_10empty_typeEbEEZZNS1_14partition_implILS5_8ELb0ES3_jPlPS6_PKS6_NS0_5tupleIJS9_S6_EEENSD_IJSA_SA_EEENS0_18inequality_wrapperIZN2at6native12_GLOBAL__N_124unique_dim_cuda_templateIbEESt5tupleIJNSH_6TensorESM_SM_EERKSM_lbbbEUlllE0_EEPmJS6_EEE10hipError_tPvRmT3_T4_T5_T6_T7_T9_mT8_P12ihipStream_tbDpT10_ENKUlT_T0_E_clISt17integral_constantIbLb0EES1C_EEDaS17_S18_EUlS17_E_NS1_11comp_targetILNS1_3genE5ELNS1_11target_archE942ELNS1_3gpuE9ELNS1_3repE0EEENS1_30default_config_static_selectorELNS0_4arch9wavefront6targetE0EEEvT1_,"axG",@progbits,_ZN7rocprim17ROCPRIM_400000_NS6detail17trampoline_kernelINS0_14default_configENS1_25partition_config_selectorILNS1_17partition_subalgoE8ElNS0_10empty_typeEbEEZZNS1_14partition_implILS5_8ELb0ES3_jPlPS6_PKS6_NS0_5tupleIJS9_S6_EEENSD_IJSA_SA_EEENS0_18inequality_wrapperIZN2at6native12_GLOBAL__N_124unique_dim_cuda_templateIbEESt5tupleIJNSH_6TensorESM_SM_EERKSM_lbbbEUlllE0_EEPmJS6_EEE10hipError_tPvRmT3_T4_T5_T6_T7_T9_mT8_P12ihipStream_tbDpT10_ENKUlT_T0_E_clISt17integral_constantIbLb0EES1C_EEDaS17_S18_EUlS17_E_NS1_11comp_targetILNS1_3genE5ELNS1_11target_archE942ELNS1_3gpuE9ELNS1_3repE0EEENS1_30default_config_static_selectorELNS0_4arch9wavefront6targetE0EEEvT1_,comdat
.Lfunc_end1052:
	.size	_ZN7rocprim17ROCPRIM_400000_NS6detail17trampoline_kernelINS0_14default_configENS1_25partition_config_selectorILNS1_17partition_subalgoE8ElNS0_10empty_typeEbEEZZNS1_14partition_implILS5_8ELb0ES3_jPlPS6_PKS6_NS0_5tupleIJS9_S6_EEENSD_IJSA_SA_EEENS0_18inequality_wrapperIZN2at6native12_GLOBAL__N_124unique_dim_cuda_templateIbEESt5tupleIJNSH_6TensorESM_SM_EERKSM_lbbbEUlllE0_EEPmJS6_EEE10hipError_tPvRmT3_T4_T5_T6_T7_T9_mT8_P12ihipStream_tbDpT10_ENKUlT_T0_E_clISt17integral_constantIbLb0EES1C_EEDaS17_S18_EUlS17_E_NS1_11comp_targetILNS1_3genE5ELNS1_11target_archE942ELNS1_3gpuE9ELNS1_3repE0EEENS1_30default_config_static_selectorELNS0_4arch9wavefront6targetE0EEEvT1_, .Lfunc_end1052-_ZN7rocprim17ROCPRIM_400000_NS6detail17trampoline_kernelINS0_14default_configENS1_25partition_config_selectorILNS1_17partition_subalgoE8ElNS0_10empty_typeEbEEZZNS1_14partition_implILS5_8ELb0ES3_jPlPS6_PKS6_NS0_5tupleIJS9_S6_EEENSD_IJSA_SA_EEENS0_18inequality_wrapperIZN2at6native12_GLOBAL__N_124unique_dim_cuda_templateIbEESt5tupleIJNSH_6TensorESM_SM_EERKSM_lbbbEUlllE0_EEPmJS6_EEE10hipError_tPvRmT3_T4_T5_T6_T7_T9_mT8_P12ihipStream_tbDpT10_ENKUlT_T0_E_clISt17integral_constantIbLb0EES1C_EEDaS17_S18_EUlS17_E_NS1_11comp_targetILNS1_3genE5ELNS1_11target_archE942ELNS1_3gpuE9ELNS1_3repE0EEENS1_30default_config_static_selectorELNS0_4arch9wavefront6targetE0EEEvT1_
                                        ; -- End function
	.set _ZN7rocprim17ROCPRIM_400000_NS6detail17trampoline_kernelINS0_14default_configENS1_25partition_config_selectorILNS1_17partition_subalgoE8ElNS0_10empty_typeEbEEZZNS1_14partition_implILS5_8ELb0ES3_jPlPS6_PKS6_NS0_5tupleIJS9_S6_EEENSD_IJSA_SA_EEENS0_18inequality_wrapperIZN2at6native12_GLOBAL__N_124unique_dim_cuda_templateIbEESt5tupleIJNSH_6TensorESM_SM_EERKSM_lbbbEUlllE0_EEPmJS6_EEE10hipError_tPvRmT3_T4_T5_T6_T7_T9_mT8_P12ihipStream_tbDpT10_ENKUlT_T0_E_clISt17integral_constantIbLb0EES1C_EEDaS17_S18_EUlS17_E_NS1_11comp_targetILNS1_3genE5ELNS1_11target_archE942ELNS1_3gpuE9ELNS1_3repE0EEENS1_30default_config_static_selectorELNS0_4arch9wavefront6targetE0EEEvT1_.num_vgpr, 0
	.set _ZN7rocprim17ROCPRIM_400000_NS6detail17trampoline_kernelINS0_14default_configENS1_25partition_config_selectorILNS1_17partition_subalgoE8ElNS0_10empty_typeEbEEZZNS1_14partition_implILS5_8ELb0ES3_jPlPS6_PKS6_NS0_5tupleIJS9_S6_EEENSD_IJSA_SA_EEENS0_18inequality_wrapperIZN2at6native12_GLOBAL__N_124unique_dim_cuda_templateIbEESt5tupleIJNSH_6TensorESM_SM_EERKSM_lbbbEUlllE0_EEPmJS6_EEE10hipError_tPvRmT3_T4_T5_T6_T7_T9_mT8_P12ihipStream_tbDpT10_ENKUlT_T0_E_clISt17integral_constantIbLb0EES1C_EEDaS17_S18_EUlS17_E_NS1_11comp_targetILNS1_3genE5ELNS1_11target_archE942ELNS1_3gpuE9ELNS1_3repE0EEENS1_30default_config_static_selectorELNS0_4arch9wavefront6targetE0EEEvT1_.num_agpr, 0
	.set _ZN7rocprim17ROCPRIM_400000_NS6detail17trampoline_kernelINS0_14default_configENS1_25partition_config_selectorILNS1_17partition_subalgoE8ElNS0_10empty_typeEbEEZZNS1_14partition_implILS5_8ELb0ES3_jPlPS6_PKS6_NS0_5tupleIJS9_S6_EEENSD_IJSA_SA_EEENS0_18inequality_wrapperIZN2at6native12_GLOBAL__N_124unique_dim_cuda_templateIbEESt5tupleIJNSH_6TensorESM_SM_EERKSM_lbbbEUlllE0_EEPmJS6_EEE10hipError_tPvRmT3_T4_T5_T6_T7_T9_mT8_P12ihipStream_tbDpT10_ENKUlT_T0_E_clISt17integral_constantIbLb0EES1C_EEDaS17_S18_EUlS17_E_NS1_11comp_targetILNS1_3genE5ELNS1_11target_archE942ELNS1_3gpuE9ELNS1_3repE0EEENS1_30default_config_static_selectorELNS0_4arch9wavefront6targetE0EEEvT1_.numbered_sgpr, 0
	.set _ZN7rocprim17ROCPRIM_400000_NS6detail17trampoline_kernelINS0_14default_configENS1_25partition_config_selectorILNS1_17partition_subalgoE8ElNS0_10empty_typeEbEEZZNS1_14partition_implILS5_8ELb0ES3_jPlPS6_PKS6_NS0_5tupleIJS9_S6_EEENSD_IJSA_SA_EEENS0_18inequality_wrapperIZN2at6native12_GLOBAL__N_124unique_dim_cuda_templateIbEESt5tupleIJNSH_6TensorESM_SM_EERKSM_lbbbEUlllE0_EEPmJS6_EEE10hipError_tPvRmT3_T4_T5_T6_T7_T9_mT8_P12ihipStream_tbDpT10_ENKUlT_T0_E_clISt17integral_constantIbLb0EES1C_EEDaS17_S18_EUlS17_E_NS1_11comp_targetILNS1_3genE5ELNS1_11target_archE942ELNS1_3gpuE9ELNS1_3repE0EEENS1_30default_config_static_selectorELNS0_4arch9wavefront6targetE0EEEvT1_.num_named_barrier, 0
	.set _ZN7rocprim17ROCPRIM_400000_NS6detail17trampoline_kernelINS0_14default_configENS1_25partition_config_selectorILNS1_17partition_subalgoE8ElNS0_10empty_typeEbEEZZNS1_14partition_implILS5_8ELb0ES3_jPlPS6_PKS6_NS0_5tupleIJS9_S6_EEENSD_IJSA_SA_EEENS0_18inequality_wrapperIZN2at6native12_GLOBAL__N_124unique_dim_cuda_templateIbEESt5tupleIJNSH_6TensorESM_SM_EERKSM_lbbbEUlllE0_EEPmJS6_EEE10hipError_tPvRmT3_T4_T5_T6_T7_T9_mT8_P12ihipStream_tbDpT10_ENKUlT_T0_E_clISt17integral_constantIbLb0EES1C_EEDaS17_S18_EUlS17_E_NS1_11comp_targetILNS1_3genE5ELNS1_11target_archE942ELNS1_3gpuE9ELNS1_3repE0EEENS1_30default_config_static_selectorELNS0_4arch9wavefront6targetE0EEEvT1_.private_seg_size, 0
	.set _ZN7rocprim17ROCPRIM_400000_NS6detail17trampoline_kernelINS0_14default_configENS1_25partition_config_selectorILNS1_17partition_subalgoE8ElNS0_10empty_typeEbEEZZNS1_14partition_implILS5_8ELb0ES3_jPlPS6_PKS6_NS0_5tupleIJS9_S6_EEENSD_IJSA_SA_EEENS0_18inequality_wrapperIZN2at6native12_GLOBAL__N_124unique_dim_cuda_templateIbEESt5tupleIJNSH_6TensorESM_SM_EERKSM_lbbbEUlllE0_EEPmJS6_EEE10hipError_tPvRmT3_T4_T5_T6_T7_T9_mT8_P12ihipStream_tbDpT10_ENKUlT_T0_E_clISt17integral_constantIbLb0EES1C_EEDaS17_S18_EUlS17_E_NS1_11comp_targetILNS1_3genE5ELNS1_11target_archE942ELNS1_3gpuE9ELNS1_3repE0EEENS1_30default_config_static_selectorELNS0_4arch9wavefront6targetE0EEEvT1_.uses_vcc, 0
	.set _ZN7rocprim17ROCPRIM_400000_NS6detail17trampoline_kernelINS0_14default_configENS1_25partition_config_selectorILNS1_17partition_subalgoE8ElNS0_10empty_typeEbEEZZNS1_14partition_implILS5_8ELb0ES3_jPlPS6_PKS6_NS0_5tupleIJS9_S6_EEENSD_IJSA_SA_EEENS0_18inequality_wrapperIZN2at6native12_GLOBAL__N_124unique_dim_cuda_templateIbEESt5tupleIJNSH_6TensorESM_SM_EERKSM_lbbbEUlllE0_EEPmJS6_EEE10hipError_tPvRmT3_T4_T5_T6_T7_T9_mT8_P12ihipStream_tbDpT10_ENKUlT_T0_E_clISt17integral_constantIbLb0EES1C_EEDaS17_S18_EUlS17_E_NS1_11comp_targetILNS1_3genE5ELNS1_11target_archE942ELNS1_3gpuE9ELNS1_3repE0EEENS1_30default_config_static_selectorELNS0_4arch9wavefront6targetE0EEEvT1_.uses_flat_scratch, 0
	.set _ZN7rocprim17ROCPRIM_400000_NS6detail17trampoline_kernelINS0_14default_configENS1_25partition_config_selectorILNS1_17partition_subalgoE8ElNS0_10empty_typeEbEEZZNS1_14partition_implILS5_8ELb0ES3_jPlPS6_PKS6_NS0_5tupleIJS9_S6_EEENSD_IJSA_SA_EEENS0_18inequality_wrapperIZN2at6native12_GLOBAL__N_124unique_dim_cuda_templateIbEESt5tupleIJNSH_6TensorESM_SM_EERKSM_lbbbEUlllE0_EEPmJS6_EEE10hipError_tPvRmT3_T4_T5_T6_T7_T9_mT8_P12ihipStream_tbDpT10_ENKUlT_T0_E_clISt17integral_constantIbLb0EES1C_EEDaS17_S18_EUlS17_E_NS1_11comp_targetILNS1_3genE5ELNS1_11target_archE942ELNS1_3gpuE9ELNS1_3repE0EEENS1_30default_config_static_selectorELNS0_4arch9wavefront6targetE0EEEvT1_.has_dyn_sized_stack, 0
	.set _ZN7rocprim17ROCPRIM_400000_NS6detail17trampoline_kernelINS0_14default_configENS1_25partition_config_selectorILNS1_17partition_subalgoE8ElNS0_10empty_typeEbEEZZNS1_14partition_implILS5_8ELb0ES3_jPlPS6_PKS6_NS0_5tupleIJS9_S6_EEENSD_IJSA_SA_EEENS0_18inequality_wrapperIZN2at6native12_GLOBAL__N_124unique_dim_cuda_templateIbEESt5tupleIJNSH_6TensorESM_SM_EERKSM_lbbbEUlllE0_EEPmJS6_EEE10hipError_tPvRmT3_T4_T5_T6_T7_T9_mT8_P12ihipStream_tbDpT10_ENKUlT_T0_E_clISt17integral_constantIbLb0EES1C_EEDaS17_S18_EUlS17_E_NS1_11comp_targetILNS1_3genE5ELNS1_11target_archE942ELNS1_3gpuE9ELNS1_3repE0EEENS1_30default_config_static_selectorELNS0_4arch9wavefront6targetE0EEEvT1_.has_recursion, 0
	.set _ZN7rocprim17ROCPRIM_400000_NS6detail17trampoline_kernelINS0_14default_configENS1_25partition_config_selectorILNS1_17partition_subalgoE8ElNS0_10empty_typeEbEEZZNS1_14partition_implILS5_8ELb0ES3_jPlPS6_PKS6_NS0_5tupleIJS9_S6_EEENSD_IJSA_SA_EEENS0_18inequality_wrapperIZN2at6native12_GLOBAL__N_124unique_dim_cuda_templateIbEESt5tupleIJNSH_6TensorESM_SM_EERKSM_lbbbEUlllE0_EEPmJS6_EEE10hipError_tPvRmT3_T4_T5_T6_T7_T9_mT8_P12ihipStream_tbDpT10_ENKUlT_T0_E_clISt17integral_constantIbLb0EES1C_EEDaS17_S18_EUlS17_E_NS1_11comp_targetILNS1_3genE5ELNS1_11target_archE942ELNS1_3gpuE9ELNS1_3repE0EEENS1_30default_config_static_selectorELNS0_4arch9wavefront6targetE0EEEvT1_.has_indirect_call, 0
	.section	.AMDGPU.csdata,"",@progbits
; Kernel info:
; codeLenInByte = 0
; TotalNumSgprs: 0
; NumVgprs: 0
; ScratchSize: 0
; MemoryBound: 0
; FloatMode: 240
; IeeeMode: 1
; LDSByteSize: 0 bytes/workgroup (compile time only)
; SGPRBlocks: 0
; VGPRBlocks: 0
; NumSGPRsForWavesPerEU: 1
; NumVGPRsForWavesPerEU: 1
; NamedBarCnt: 0
; Occupancy: 16
; WaveLimiterHint : 0
; COMPUTE_PGM_RSRC2:SCRATCH_EN: 0
; COMPUTE_PGM_RSRC2:USER_SGPR: 2
; COMPUTE_PGM_RSRC2:TRAP_HANDLER: 0
; COMPUTE_PGM_RSRC2:TGID_X_EN: 1
; COMPUTE_PGM_RSRC2:TGID_Y_EN: 0
; COMPUTE_PGM_RSRC2:TGID_Z_EN: 0
; COMPUTE_PGM_RSRC2:TIDIG_COMP_CNT: 0
	.section	.text._ZN7rocprim17ROCPRIM_400000_NS6detail17trampoline_kernelINS0_14default_configENS1_25partition_config_selectorILNS1_17partition_subalgoE8ElNS0_10empty_typeEbEEZZNS1_14partition_implILS5_8ELb0ES3_jPlPS6_PKS6_NS0_5tupleIJS9_S6_EEENSD_IJSA_SA_EEENS0_18inequality_wrapperIZN2at6native12_GLOBAL__N_124unique_dim_cuda_templateIbEESt5tupleIJNSH_6TensorESM_SM_EERKSM_lbbbEUlllE0_EEPmJS6_EEE10hipError_tPvRmT3_T4_T5_T6_T7_T9_mT8_P12ihipStream_tbDpT10_ENKUlT_T0_E_clISt17integral_constantIbLb0EES1C_EEDaS17_S18_EUlS17_E_NS1_11comp_targetILNS1_3genE4ELNS1_11target_archE910ELNS1_3gpuE8ELNS1_3repE0EEENS1_30default_config_static_selectorELNS0_4arch9wavefront6targetE0EEEvT1_,"axG",@progbits,_ZN7rocprim17ROCPRIM_400000_NS6detail17trampoline_kernelINS0_14default_configENS1_25partition_config_selectorILNS1_17partition_subalgoE8ElNS0_10empty_typeEbEEZZNS1_14partition_implILS5_8ELb0ES3_jPlPS6_PKS6_NS0_5tupleIJS9_S6_EEENSD_IJSA_SA_EEENS0_18inequality_wrapperIZN2at6native12_GLOBAL__N_124unique_dim_cuda_templateIbEESt5tupleIJNSH_6TensorESM_SM_EERKSM_lbbbEUlllE0_EEPmJS6_EEE10hipError_tPvRmT3_T4_T5_T6_T7_T9_mT8_P12ihipStream_tbDpT10_ENKUlT_T0_E_clISt17integral_constantIbLb0EES1C_EEDaS17_S18_EUlS17_E_NS1_11comp_targetILNS1_3genE4ELNS1_11target_archE910ELNS1_3gpuE8ELNS1_3repE0EEENS1_30default_config_static_selectorELNS0_4arch9wavefront6targetE0EEEvT1_,comdat
	.globl	_ZN7rocprim17ROCPRIM_400000_NS6detail17trampoline_kernelINS0_14default_configENS1_25partition_config_selectorILNS1_17partition_subalgoE8ElNS0_10empty_typeEbEEZZNS1_14partition_implILS5_8ELb0ES3_jPlPS6_PKS6_NS0_5tupleIJS9_S6_EEENSD_IJSA_SA_EEENS0_18inequality_wrapperIZN2at6native12_GLOBAL__N_124unique_dim_cuda_templateIbEESt5tupleIJNSH_6TensorESM_SM_EERKSM_lbbbEUlllE0_EEPmJS6_EEE10hipError_tPvRmT3_T4_T5_T6_T7_T9_mT8_P12ihipStream_tbDpT10_ENKUlT_T0_E_clISt17integral_constantIbLb0EES1C_EEDaS17_S18_EUlS17_E_NS1_11comp_targetILNS1_3genE4ELNS1_11target_archE910ELNS1_3gpuE8ELNS1_3repE0EEENS1_30default_config_static_selectorELNS0_4arch9wavefront6targetE0EEEvT1_ ; -- Begin function _ZN7rocprim17ROCPRIM_400000_NS6detail17trampoline_kernelINS0_14default_configENS1_25partition_config_selectorILNS1_17partition_subalgoE8ElNS0_10empty_typeEbEEZZNS1_14partition_implILS5_8ELb0ES3_jPlPS6_PKS6_NS0_5tupleIJS9_S6_EEENSD_IJSA_SA_EEENS0_18inequality_wrapperIZN2at6native12_GLOBAL__N_124unique_dim_cuda_templateIbEESt5tupleIJNSH_6TensorESM_SM_EERKSM_lbbbEUlllE0_EEPmJS6_EEE10hipError_tPvRmT3_T4_T5_T6_T7_T9_mT8_P12ihipStream_tbDpT10_ENKUlT_T0_E_clISt17integral_constantIbLb0EES1C_EEDaS17_S18_EUlS17_E_NS1_11comp_targetILNS1_3genE4ELNS1_11target_archE910ELNS1_3gpuE8ELNS1_3repE0EEENS1_30default_config_static_selectorELNS0_4arch9wavefront6targetE0EEEvT1_
	.p2align	8
	.type	_ZN7rocprim17ROCPRIM_400000_NS6detail17trampoline_kernelINS0_14default_configENS1_25partition_config_selectorILNS1_17partition_subalgoE8ElNS0_10empty_typeEbEEZZNS1_14partition_implILS5_8ELb0ES3_jPlPS6_PKS6_NS0_5tupleIJS9_S6_EEENSD_IJSA_SA_EEENS0_18inequality_wrapperIZN2at6native12_GLOBAL__N_124unique_dim_cuda_templateIbEESt5tupleIJNSH_6TensorESM_SM_EERKSM_lbbbEUlllE0_EEPmJS6_EEE10hipError_tPvRmT3_T4_T5_T6_T7_T9_mT8_P12ihipStream_tbDpT10_ENKUlT_T0_E_clISt17integral_constantIbLb0EES1C_EEDaS17_S18_EUlS17_E_NS1_11comp_targetILNS1_3genE4ELNS1_11target_archE910ELNS1_3gpuE8ELNS1_3repE0EEENS1_30default_config_static_selectorELNS0_4arch9wavefront6targetE0EEEvT1_,@function
_ZN7rocprim17ROCPRIM_400000_NS6detail17trampoline_kernelINS0_14default_configENS1_25partition_config_selectorILNS1_17partition_subalgoE8ElNS0_10empty_typeEbEEZZNS1_14partition_implILS5_8ELb0ES3_jPlPS6_PKS6_NS0_5tupleIJS9_S6_EEENSD_IJSA_SA_EEENS0_18inequality_wrapperIZN2at6native12_GLOBAL__N_124unique_dim_cuda_templateIbEESt5tupleIJNSH_6TensorESM_SM_EERKSM_lbbbEUlllE0_EEPmJS6_EEE10hipError_tPvRmT3_T4_T5_T6_T7_T9_mT8_P12ihipStream_tbDpT10_ENKUlT_T0_E_clISt17integral_constantIbLb0EES1C_EEDaS17_S18_EUlS17_E_NS1_11comp_targetILNS1_3genE4ELNS1_11target_archE910ELNS1_3gpuE8ELNS1_3repE0EEENS1_30default_config_static_selectorELNS0_4arch9wavefront6targetE0EEEvT1_: ; @_ZN7rocprim17ROCPRIM_400000_NS6detail17trampoline_kernelINS0_14default_configENS1_25partition_config_selectorILNS1_17partition_subalgoE8ElNS0_10empty_typeEbEEZZNS1_14partition_implILS5_8ELb0ES3_jPlPS6_PKS6_NS0_5tupleIJS9_S6_EEENSD_IJSA_SA_EEENS0_18inequality_wrapperIZN2at6native12_GLOBAL__N_124unique_dim_cuda_templateIbEESt5tupleIJNSH_6TensorESM_SM_EERKSM_lbbbEUlllE0_EEPmJS6_EEE10hipError_tPvRmT3_T4_T5_T6_T7_T9_mT8_P12ihipStream_tbDpT10_ENKUlT_T0_E_clISt17integral_constantIbLb0EES1C_EEDaS17_S18_EUlS17_E_NS1_11comp_targetILNS1_3genE4ELNS1_11target_archE910ELNS1_3gpuE8ELNS1_3repE0EEENS1_30default_config_static_selectorELNS0_4arch9wavefront6targetE0EEEvT1_
; %bb.0:
	.section	.rodata,"a",@progbits
	.p2align	6, 0x0
	.amdhsa_kernel _ZN7rocprim17ROCPRIM_400000_NS6detail17trampoline_kernelINS0_14default_configENS1_25partition_config_selectorILNS1_17partition_subalgoE8ElNS0_10empty_typeEbEEZZNS1_14partition_implILS5_8ELb0ES3_jPlPS6_PKS6_NS0_5tupleIJS9_S6_EEENSD_IJSA_SA_EEENS0_18inequality_wrapperIZN2at6native12_GLOBAL__N_124unique_dim_cuda_templateIbEESt5tupleIJNSH_6TensorESM_SM_EERKSM_lbbbEUlllE0_EEPmJS6_EEE10hipError_tPvRmT3_T4_T5_T6_T7_T9_mT8_P12ihipStream_tbDpT10_ENKUlT_T0_E_clISt17integral_constantIbLb0EES1C_EEDaS17_S18_EUlS17_E_NS1_11comp_targetILNS1_3genE4ELNS1_11target_archE910ELNS1_3gpuE8ELNS1_3repE0EEENS1_30default_config_static_selectorELNS0_4arch9wavefront6targetE0EEEvT1_
		.amdhsa_group_segment_fixed_size 0
		.amdhsa_private_segment_fixed_size 0
		.amdhsa_kernarg_size 120
		.amdhsa_user_sgpr_count 2
		.amdhsa_user_sgpr_dispatch_ptr 0
		.amdhsa_user_sgpr_queue_ptr 0
		.amdhsa_user_sgpr_kernarg_segment_ptr 1
		.amdhsa_user_sgpr_dispatch_id 0
		.amdhsa_user_sgpr_kernarg_preload_length 0
		.amdhsa_user_sgpr_kernarg_preload_offset 0
		.amdhsa_user_sgpr_private_segment_size 0
		.amdhsa_wavefront_size32 1
		.amdhsa_uses_dynamic_stack 0
		.amdhsa_enable_private_segment 0
		.amdhsa_system_sgpr_workgroup_id_x 1
		.amdhsa_system_sgpr_workgroup_id_y 0
		.amdhsa_system_sgpr_workgroup_id_z 0
		.amdhsa_system_sgpr_workgroup_info 0
		.amdhsa_system_vgpr_workitem_id 0
		.amdhsa_next_free_vgpr 1
		.amdhsa_next_free_sgpr 1
		.amdhsa_named_barrier_count 0
		.amdhsa_reserve_vcc 0
		.amdhsa_float_round_mode_32 0
		.amdhsa_float_round_mode_16_64 0
		.amdhsa_float_denorm_mode_32 3
		.amdhsa_float_denorm_mode_16_64 3
		.amdhsa_fp16_overflow 0
		.amdhsa_memory_ordered 1
		.amdhsa_forward_progress 1
		.amdhsa_inst_pref_size 0
		.amdhsa_round_robin_scheduling 0
		.amdhsa_exception_fp_ieee_invalid_op 0
		.amdhsa_exception_fp_denorm_src 0
		.amdhsa_exception_fp_ieee_div_zero 0
		.amdhsa_exception_fp_ieee_overflow 0
		.amdhsa_exception_fp_ieee_underflow 0
		.amdhsa_exception_fp_ieee_inexact 0
		.amdhsa_exception_int_div_zero 0
	.end_amdhsa_kernel
	.section	.text._ZN7rocprim17ROCPRIM_400000_NS6detail17trampoline_kernelINS0_14default_configENS1_25partition_config_selectorILNS1_17partition_subalgoE8ElNS0_10empty_typeEbEEZZNS1_14partition_implILS5_8ELb0ES3_jPlPS6_PKS6_NS0_5tupleIJS9_S6_EEENSD_IJSA_SA_EEENS0_18inequality_wrapperIZN2at6native12_GLOBAL__N_124unique_dim_cuda_templateIbEESt5tupleIJNSH_6TensorESM_SM_EERKSM_lbbbEUlllE0_EEPmJS6_EEE10hipError_tPvRmT3_T4_T5_T6_T7_T9_mT8_P12ihipStream_tbDpT10_ENKUlT_T0_E_clISt17integral_constantIbLb0EES1C_EEDaS17_S18_EUlS17_E_NS1_11comp_targetILNS1_3genE4ELNS1_11target_archE910ELNS1_3gpuE8ELNS1_3repE0EEENS1_30default_config_static_selectorELNS0_4arch9wavefront6targetE0EEEvT1_,"axG",@progbits,_ZN7rocprim17ROCPRIM_400000_NS6detail17trampoline_kernelINS0_14default_configENS1_25partition_config_selectorILNS1_17partition_subalgoE8ElNS0_10empty_typeEbEEZZNS1_14partition_implILS5_8ELb0ES3_jPlPS6_PKS6_NS0_5tupleIJS9_S6_EEENSD_IJSA_SA_EEENS0_18inequality_wrapperIZN2at6native12_GLOBAL__N_124unique_dim_cuda_templateIbEESt5tupleIJNSH_6TensorESM_SM_EERKSM_lbbbEUlllE0_EEPmJS6_EEE10hipError_tPvRmT3_T4_T5_T6_T7_T9_mT8_P12ihipStream_tbDpT10_ENKUlT_T0_E_clISt17integral_constantIbLb0EES1C_EEDaS17_S18_EUlS17_E_NS1_11comp_targetILNS1_3genE4ELNS1_11target_archE910ELNS1_3gpuE8ELNS1_3repE0EEENS1_30default_config_static_selectorELNS0_4arch9wavefront6targetE0EEEvT1_,comdat
.Lfunc_end1053:
	.size	_ZN7rocprim17ROCPRIM_400000_NS6detail17trampoline_kernelINS0_14default_configENS1_25partition_config_selectorILNS1_17partition_subalgoE8ElNS0_10empty_typeEbEEZZNS1_14partition_implILS5_8ELb0ES3_jPlPS6_PKS6_NS0_5tupleIJS9_S6_EEENSD_IJSA_SA_EEENS0_18inequality_wrapperIZN2at6native12_GLOBAL__N_124unique_dim_cuda_templateIbEESt5tupleIJNSH_6TensorESM_SM_EERKSM_lbbbEUlllE0_EEPmJS6_EEE10hipError_tPvRmT3_T4_T5_T6_T7_T9_mT8_P12ihipStream_tbDpT10_ENKUlT_T0_E_clISt17integral_constantIbLb0EES1C_EEDaS17_S18_EUlS17_E_NS1_11comp_targetILNS1_3genE4ELNS1_11target_archE910ELNS1_3gpuE8ELNS1_3repE0EEENS1_30default_config_static_selectorELNS0_4arch9wavefront6targetE0EEEvT1_, .Lfunc_end1053-_ZN7rocprim17ROCPRIM_400000_NS6detail17trampoline_kernelINS0_14default_configENS1_25partition_config_selectorILNS1_17partition_subalgoE8ElNS0_10empty_typeEbEEZZNS1_14partition_implILS5_8ELb0ES3_jPlPS6_PKS6_NS0_5tupleIJS9_S6_EEENSD_IJSA_SA_EEENS0_18inequality_wrapperIZN2at6native12_GLOBAL__N_124unique_dim_cuda_templateIbEESt5tupleIJNSH_6TensorESM_SM_EERKSM_lbbbEUlllE0_EEPmJS6_EEE10hipError_tPvRmT3_T4_T5_T6_T7_T9_mT8_P12ihipStream_tbDpT10_ENKUlT_T0_E_clISt17integral_constantIbLb0EES1C_EEDaS17_S18_EUlS17_E_NS1_11comp_targetILNS1_3genE4ELNS1_11target_archE910ELNS1_3gpuE8ELNS1_3repE0EEENS1_30default_config_static_selectorELNS0_4arch9wavefront6targetE0EEEvT1_
                                        ; -- End function
	.set _ZN7rocprim17ROCPRIM_400000_NS6detail17trampoline_kernelINS0_14default_configENS1_25partition_config_selectorILNS1_17partition_subalgoE8ElNS0_10empty_typeEbEEZZNS1_14partition_implILS5_8ELb0ES3_jPlPS6_PKS6_NS0_5tupleIJS9_S6_EEENSD_IJSA_SA_EEENS0_18inequality_wrapperIZN2at6native12_GLOBAL__N_124unique_dim_cuda_templateIbEESt5tupleIJNSH_6TensorESM_SM_EERKSM_lbbbEUlllE0_EEPmJS6_EEE10hipError_tPvRmT3_T4_T5_T6_T7_T9_mT8_P12ihipStream_tbDpT10_ENKUlT_T0_E_clISt17integral_constantIbLb0EES1C_EEDaS17_S18_EUlS17_E_NS1_11comp_targetILNS1_3genE4ELNS1_11target_archE910ELNS1_3gpuE8ELNS1_3repE0EEENS1_30default_config_static_selectorELNS0_4arch9wavefront6targetE0EEEvT1_.num_vgpr, 0
	.set _ZN7rocprim17ROCPRIM_400000_NS6detail17trampoline_kernelINS0_14default_configENS1_25partition_config_selectorILNS1_17partition_subalgoE8ElNS0_10empty_typeEbEEZZNS1_14partition_implILS5_8ELb0ES3_jPlPS6_PKS6_NS0_5tupleIJS9_S6_EEENSD_IJSA_SA_EEENS0_18inequality_wrapperIZN2at6native12_GLOBAL__N_124unique_dim_cuda_templateIbEESt5tupleIJNSH_6TensorESM_SM_EERKSM_lbbbEUlllE0_EEPmJS6_EEE10hipError_tPvRmT3_T4_T5_T6_T7_T9_mT8_P12ihipStream_tbDpT10_ENKUlT_T0_E_clISt17integral_constantIbLb0EES1C_EEDaS17_S18_EUlS17_E_NS1_11comp_targetILNS1_3genE4ELNS1_11target_archE910ELNS1_3gpuE8ELNS1_3repE0EEENS1_30default_config_static_selectorELNS0_4arch9wavefront6targetE0EEEvT1_.num_agpr, 0
	.set _ZN7rocprim17ROCPRIM_400000_NS6detail17trampoline_kernelINS0_14default_configENS1_25partition_config_selectorILNS1_17partition_subalgoE8ElNS0_10empty_typeEbEEZZNS1_14partition_implILS5_8ELb0ES3_jPlPS6_PKS6_NS0_5tupleIJS9_S6_EEENSD_IJSA_SA_EEENS0_18inequality_wrapperIZN2at6native12_GLOBAL__N_124unique_dim_cuda_templateIbEESt5tupleIJNSH_6TensorESM_SM_EERKSM_lbbbEUlllE0_EEPmJS6_EEE10hipError_tPvRmT3_T4_T5_T6_T7_T9_mT8_P12ihipStream_tbDpT10_ENKUlT_T0_E_clISt17integral_constantIbLb0EES1C_EEDaS17_S18_EUlS17_E_NS1_11comp_targetILNS1_3genE4ELNS1_11target_archE910ELNS1_3gpuE8ELNS1_3repE0EEENS1_30default_config_static_selectorELNS0_4arch9wavefront6targetE0EEEvT1_.numbered_sgpr, 0
	.set _ZN7rocprim17ROCPRIM_400000_NS6detail17trampoline_kernelINS0_14default_configENS1_25partition_config_selectorILNS1_17partition_subalgoE8ElNS0_10empty_typeEbEEZZNS1_14partition_implILS5_8ELb0ES3_jPlPS6_PKS6_NS0_5tupleIJS9_S6_EEENSD_IJSA_SA_EEENS0_18inequality_wrapperIZN2at6native12_GLOBAL__N_124unique_dim_cuda_templateIbEESt5tupleIJNSH_6TensorESM_SM_EERKSM_lbbbEUlllE0_EEPmJS6_EEE10hipError_tPvRmT3_T4_T5_T6_T7_T9_mT8_P12ihipStream_tbDpT10_ENKUlT_T0_E_clISt17integral_constantIbLb0EES1C_EEDaS17_S18_EUlS17_E_NS1_11comp_targetILNS1_3genE4ELNS1_11target_archE910ELNS1_3gpuE8ELNS1_3repE0EEENS1_30default_config_static_selectorELNS0_4arch9wavefront6targetE0EEEvT1_.num_named_barrier, 0
	.set _ZN7rocprim17ROCPRIM_400000_NS6detail17trampoline_kernelINS0_14default_configENS1_25partition_config_selectorILNS1_17partition_subalgoE8ElNS0_10empty_typeEbEEZZNS1_14partition_implILS5_8ELb0ES3_jPlPS6_PKS6_NS0_5tupleIJS9_S6_EEENSD_IJSA_SA_EEENS0_18inequality_wrapperIZN2at6native12_GLOBAL__N_124unique_dim_cuda_templateIbEESt5tupleIJNSH_6TensorESM_SM_EERKSM_lbbbEUlllE0_EEPmJS6_EEE10hipError_tPvRmT3_T4_T5_T6_T7_T9_mT8_P12ihipStream_tbDpT10_ENKUlT_T0_E_clISt17integral_constantIbLb0EES1C_EEDaS17_S18_EUlS17_E_NS1_11comp_targetILNS1_3genE4ELNS1_11target_archE910ELNS1_3gpuE8ELNS1_3repE0EEENS1_30default_config_static_selectorELNS0_4arch9wavefront6targetE0EEEvT1_.private_seg_size, 0
	.set _ZN7rocprim17ROCPRIM_400000_NS6detail17trampoline_kernelINS0_14default_configENS1_25partition_config_selectorILNS1_17partition_subalgoE8ElNS0_10empty_typeEbEEZZNS1_14partition_implILS5_8ELb0ES3_jPlPS6_PKS6_NS0_5tupleIJS9_S6_EEENSD_IJSA_SA_EEENS0_18inequality_wrapperIZN2at6native12_GLOBAL__N_124unique_dim_cuda_templateIbEESt5tupleIJNSH_6TensorESM_SM_EERKSM_lbbbEUlllE0_EEPmJS6_EEE10hipError_tPvRmT3_T4_T5_T6_T7_T9_mT8_P12ihipStream_tbDpT10_ENKUlT_T0_E_clISt17integral_constantIbLb0EES1C_EEDaS17_S18_EUlS17_E_NS1_11comp_targetILNS1_3genE4ELNS1_11target_archE910ELNS1_3gpuE8ELNS1_3repE0EEENS1_30default_config_static_selectorELNS0_4arch9wavefront6targetE0EEEvT1_.uses_vcc, 0
	.set _ZN7rocprim17ROCPRIM_400000_NS6detail17trampoline_kernelINS0_14default_configENS1_25partition_config_selectorILNS1_17partition_subalgoE8ElNS0_10empty_typeEbEEZZNS1_14partition_implILS5_8ELb0ES3_jPlPS6_PKS6_NS0_5tupleIJS9_S6_EEENSD_IJSA_SA_EEENS0_18inequality_wrapperIZN2at6native12_GLOBAL__N_124unique_dim_cuda_templateIbEESt5tupleIJNSH_6TensorESM_SM_EERKSM_lbbbEUlllE0_EEPmJS6_EEE10hipError_tPvRmT3_T4_T5_T6_T7_T9_mT8_P12ihipStream_tbDpT10_ENKUlT_T0_E_clISt17integral_constantIbLb0EES1C_EEDaS17_S18_EUlS17_E_NS1_11comp_targetILNS1_3genE4ELNS1_11target_archE910ELNS1_3gpuE8ELNS1_3repE0EEENS1_30default_config_static_selectorELNS0_4arch9wavefront6targetE0EEEvT1_.uses_flat_scratch, 0
	.set _ZN7rocprim17ROCPRIM_400000_NS6detail17trampoline_kernelINS0_14default_configENS1_25partition_config_selectorILNS1_17partition_subalgoE8ElNS0_10empty_typeEbEEZZNS1_14partition_implILS5_8ELb0ES3_jPlPS6_PKS6_NS0_5tupleIJS9_S6_EEENSD_IJSA_SA_EEENS0_18inequality_wrapperIZN2at6native12_GLOBAL__N_124unique_dim_cuda_templateIbEESt5tupleIJNSH_6TensorESM_SM_EERKSM_lbbbEUlllE0_EEPmJS6_EEE10hipError_tPvRmT3_T4_T5_T6_T7_T9_mT8_P12ihipStream_tbDpT10_ENKUlT_T0_E_clISt17integral_constantIbLb0EES1C_EEDaS17_S18_EUlS17_E_NS1_11comp_targetILNS1_3genE4ELNS1_11target_archE910ELNS1_3gpuE8ELNS1_3repE0EEENS1_30default_config_static_selectorELNS0_4arch9wavefront6targetE0EEEvT1_.has_dyn_sized_stack, 0
	.set _ZN7rocprim17ROCPRIM_400000_NS6detail17trampoline_kernelINS0_14default_configENS1_25partition_config_selectorILNS1_17partition_subalgoE8ElNS0_10empty_typeEbEEZZNS1_14partition_implILS5_8ELb0ES3_jPlPS6_PKS6_NS0_5tupleIJS9_S6_EEENSD_IJSA_SA_EEENS0_18inequality_wrapperIZN2at6native12_GLOBAL__N_124unique_dim_cuda_templateIbEESt5tupleIJNSH_6TensorESM_SM_EERKSM_lbbbEUlllE0_EEPmJS6_EEE10hipError_tPvRmT3_T4_T5_T6_T7_T9_mT8_P12ihipStream_tbDpT10_ENKUlT_T0_E_clISt17integral_constantIbLb0EES1C_EEDaS17_S18_EUlS17_E_NS1_11comp_targetILNS1_3genE4ELNS1_11target_archE910ELNS1_3gpuE8ELNS1_3repE0EEENS1_30default_config_static_selectorELNS0_4arch9wavefront6targetE0EEEvT1_.has_recursion, 0
	.set _ZN7rocprim17ROCPRIM_400000_NS6detail17trampoline_kernelINS0_14default_configENS1_25partition_config_selectorILNS1_17partition_subalgoE8ElNS0_10empty_typeEbEEZZNS1_14partition_implILS5_8ELb0ES3_jPlPS6_PKS6_NS0_5tupleIJS9_S6_EEENSD_IJSA_SA_EEENS0_18inequality_wrapperIZN2at6native12_GLOBAL__N_124unique_dim_cuda_templateIbEESt5tupleIJNSH_6TensorESM_SM_EERKSM_lbbbEUlllE0_EEPmJS6_EEE10hipError_tPvRmT3_T4_T5_T6_T7_T9_mT8_P12ihipStream_tbDpT10_ENKUlT_T0_E_clISt17integral_constantIbLb0EES1C_EEDaS17_S18_EUlS17_E_NS1_11comp_targetILNS1_3genE4ELNS1_11target_archE910ELNS1_3gpuE8ELNS1_3repE0EEENS1_30default_config_static_selectorELNS0_4arch9wavefront6targetE0EEEvT1_.has_indirect_call, 0
	.section	.AMDGPU.csdata,"",@progbits
; Kernel info:
; codeLenInByte = 0
; TotalNumSgprs: 0
; NumVgprs: 0
; ScratchSize: 0
; MemoryBound: 0
; FloatMode: 240
; IeeeMode: 1
; LDSByteSize: 0 bytes/workgroup (compile time only)
; SGPRBlocks: 0
; VGPRBlocks: 0
; NumSGPRsForWavesPerEU: 1
; NumVGPRsForWavesPerEU: 1
; NamedBarCnt: 0
; Occupancy: 16
; WaveLimiterHint : 0
; COMPUTE_PGM_RSRC2:SCRATCH_EN: 0
; COMPUTE_PGM_RSRC2:USER_SGPR: 2
; COMPUTE_PGM_RSRC2:TRAP_HANDLER: 0
; COMPUTE_PGM_RSRC2:TGID_X_EN: 1
; COMPUTE_PGM_RSRC2:TGID_Y_EN: 0
; COMPUTE_PGM_RSRC2:TGID_Z_EN: 0
; COMPUTE_PGM_RSRC2:TIDIG_COMP_CNT: 0
	.section	.text._ZN7rocprim17ROCPRIM_400000_NS6detail17trampoline_kernelINS0_14default_configENS1_25partition_config_selectorILNS1_17partition_subalgoE8ElNS0_10empty_typeEbEEZZNS1_14partition_implILS5_8ELb0ES3_jPlPS6_PKS6_NS0_5tupleIJS9_S6_EEENSD_IJSA_SA_EEENS0_18inequality_wrapperIZN2at6native12_GLOBAL__N_124unique_dim_cuda_templateIbEESt5tupleIJNSH_6TensorESM_SM_EERKSM_lbbbEUlllE0_EEPmJS6_EEE10hipError_tPvRmT3_T4_T5_T6_T7_T9_mT8_P12ihipStream_tbDpT10_ENKUlT_T0_E_clISt17integral_constantIbLb0EES1C_EEDaS17_S18_EUlS17_E_NS1_11comp_targetILNS1_3genE3ELNS1_11target_archE908ELNS1_3gpuE7ELNS1_3repE0EEENS1_30default_config_static_selectorELNS0_4arch9wavefront6targetE0EEEvT1_,"axG",@progbits,_ZN7rocprim17ROCPRIM_400000_NS6detail17trampoline_kernelINS0_14default_configENS1_25partition_config_selectorILNS1_17partition_subalgoE8ElNS0_10empty_typeEbEEZZNS1_14partition_implILS5_8ELb0ES3_jPlPS6_PKS6_NS0_5tupleIJS9_S6_EEENSD_IJSA_SA_EEENS0_18inequality_wrapperIZN2at6native12_GLOBAL__N_124unique_dim_cuda_templateIbEESt5tupleIJNSH_6TensorESM_SM_EERKSM_lbbbEUlllE0_EEPmJS6_EEE10hipError_tPvRmT3_T4_T5_T6_T7_T9_mT8_P12ihipStream_tbDpT10_ENKUlT_T0_E_clISt17integral_constantIbLb0EES1C_EEDaS17_S18_EUlS17_E_NS1_11comp_targetILNS1_3genE3ELNS1_11target_archE908ELNS1_3gpuE7ELNS1_3repE0EEENS1_30default_config_static_selectorELNS0_4arch9wavefront6targetE0EEEvT1_,comdat
	.globl	_ZN7rocprim17ROCPRIM_400000_NS6detail17trampoline_kernelINS0_14default_configENS1_25partition_config_selectorILNS1_17partition_subalgoE8ElNS0_10empty_typeEbEEZZNS1_14partition_implILS5_8ELb0ES3_jPlPS6_PKS6_NS0_5tupleIJS9_S6_EEENSD_IJSA_SA_EEENS0_18inequality_wrapperIZN2at6native12_GLOBAL__N_124unique_dim_cuda_templateIbEESt5tupleIJNSH_6TensorESM_SM_EERKSM_lbbbEUlllE0_EEPmJS6_EEE10hipError_tPvRmT3_T4_T5_T6_T7_T9_mT8_P12ihipStream_tbDpT10_ENKUlT_T0_E_clISt17integral_constantIbLb0EES1C_EEDaS17_S18_EUlS17_E_NS1_11comp_targetILNS1_3genE3ELNS1_11target_archE908ELNS1_3gpuE7ELNS1_3repE0EEENS1_30default_config_static_selectorELNS0_4arch9wavefront6targetE0EEEvT1_ ; -- Begin function _ZN7rocprim17ROCPRIM_400000_NS6detail17trampoline_kernelINS0_14default_configENS1_25partition_config_selectorILNS1_17partition_subalgoE8ElNS0_10empty_typeEbEEZZNS1_14partition_implILS5_8ELb0ES3_jPlPS6_PKS6_NS0_5tupleIJS9_S6_EEENSD_IJSA_SA_EEENS0_18inequality_wrapperIZN2at6native12_GLOBAL__N_124unique_dim_cuda_templateIbEESt5tupleIJNSH_6TensorESM_SM_EERKSM_lbbbEUlllE0_EEPmJS6_EEE10hipError_tPvRmT3_T4_T5_T6_T7_T9_mT8_P12ihipStream_tbDpT10_ENKUlT_T0_E_clISt17integral_constantIbLb0EES1C_EEDaS17_S18_EUlS17_E_NS1_11comp_targetILNS1_3genE3ELNS1_11target_archE908ELNS1_3gpuE7ELNS1_3repE0EEENS1_30default_config_static_selectorELNS0_4arch9wavefront6targetE0EEEvT1_
	.p2align	8
	.type	_ZN7rocprim17ROCPRIM_400000_NS6detail17trampoline_kernelINS0_14default_configENS1_25partition_config_selectorILNS1_17partition_subalgoE8ElNS0_10empty_typeEbEEZZNS1_14partition_implILS5_8ELb0ES3_jPlPS6_PKS6_NS0_5tupleIJS9_S6_EEENSD_IJSA_SA_EEENS0_18inequality_wrapperIZN2at6native12_GLOBAL__N_124unique_dim_cuda_templateIbEESt5tupleIJNSH_6TensorESM_SM_EERKSM_lbbbEUlllE0_EEPmJS6_EEE10hipError_tPvRmT3_T4_T5_T6_T7_T9_mT8_P12ihipStream_tbDpT10_ENKUlT_T0_E_clISt17integral_constantIbLb0EES1C_EEDaS17_S18_EUlS17_E_NS1_11comp_targetILNS1_3genE3ELNS1_11target_archE908ELNS1_3gpuE7ELNS1_3repE0EEENS1_30default_config_static_selectorELNS0_4arch9wavefront6targetE0EEEvT1_,@function
_ZN7rocprim17ROCPRIM_400000_NS6detail17trampoline_kernelINS0_14default_configENS1_25partition_config_selectorILNS1_17partition_subalgoE8ElNS0_10empty_typeEbEEZZNS1_14partition_implILS5_8ELb0ES3_jPlPS6_PKS6_NS0_5tupleIJS9_S6_EEENSD_IJSA_SA_EEENS0_18inequality_wrapperIZN2at6native12_GLOBAL__N_124unique_dim_cuda_templateIbEESt5tupleIJNSH_6TensorESM_SM_EERKSM_lbbbEUlllE0_EEPmJS6_EEE10hipError_tPvRmT3_T4_T5_T6_T7_T9_mT8_P12ihipStream_tbDpT10_ENKUlT_T0_E_clISt17integral_constantIbLb0EES1C_EEDaS17_S18_EUlS17_E_NS1_11comp_targetILNS1_3genE3ELNS1_11target_archE908ELNS1_3gpuE7ELNS1_3repE0EEENS1_30default_config_static_selectorELNS0_4arch9wavefront6targetE0EEEvT1_: ; @_ZN7rocprim17ROCPRIM_400000_NS6detail17trampoline_kernelINS0_14default_configENS1_25partition_config_selectorILNS1_17partition_subalgoE8ElNS0_10empty_typeEbEEZZNS1_14partition_implILS5_8ELb0ES3_jPlPS6_PKS6_NS0_5tupleIJS9_S6_EEENSD_IJSA_SA_EEENS0_18inequality_wrapperIZN2at6native12_GLOBAL__N_124unique_dim_cuda_templateIbEESt5tupleIJNSH_6TensorESM_SM_EERKSM_lbbbEUlllE0_EEPmJS6_EEE10hipError_tPvRmT3_T4_T5_T6_T7_T9_mT8_P12ihipStream_tbDpT10_ENKUlT_T0_E_clISt17integral_constantIbLb0EES1C_EEDaS17_S18_EUlS17_E_NS1_11comp_targetILNS1_3genE3ELNS1_11target_archE908ELNS1_3gpuE7ELNS1_3repE0EEENS1_30default_config_static_selectorELNS0_4arch9wavefront6targetE0EEEvT1_
; %bb.0:
	.section	.rodata,"a",@progbits
	.p2align	6, 0x0
	.amdhsa_kernel _ZN7rocprim17ROCPRIM_400000_NS6detail17trampoline_kernelINS0_14default_configENS1_25partition_config_selectorILNS1_17partition_subalgoE8ElNS0_10empty_typeEbEEZZNS1_14partition_implILS5_8ELb0ES3_jPlPS6_PKS6_NS0_5tupleIJS9_S6_EEENSD_IJSA_SA_EEENS0_18inequality_wrapperIZN2at6native12_GLOBAL__N_124unique_dim_cuda_templateIbEESt5tupleIJNSH_6TensorESM_SM_EERKSM_lbbbEUlllE0_EEPmJS6_EEE10hipError_tPvRmT3_T4_T5_T6_T7_T9_mT8_P12ihipStream_tbDpT10_ENKUlT_T0_E_clISt17integral_constantIbLb0EES1C_EEDaS17_S18_EUlS17_E_NS1_11comp_targetILNS1_3genE3ELNS1_11target_archE908ELNS1_3gpuE7ELNS1_3repE0EEENS1_30default_config_static_selectorELNS0_4arch9wavefront6targetE0EEEvT1_
		.amdhsa_group_segment_fixed_size 0
		.amdhsa_private_segment_fixed_size 0
		.amdhsa_kernarg_size 120
		.amdhsa_user_sgpr_count 2
		.amdhsa_user_sgpr_dispatch_ptr 0
		.amdhsa_user_sgpr_queue_ptr 0
		.amdhsa_user_sgpr_kernarg_segment_ptr 1
		.amdhsa_user_sgpr_dispatch_id 0
		.amdhsa_user_sgpr_kernarg_preload_length 0
		.amdhsa_user_sgpr_kernarg_preload_offset 0
		.amdhsa_user_sgpr_private_segment_size 0
		.amdhsa_wavefront_size32 1
		.amdhsa_uses_dynamic_stack 0
		.amdhsa_enable_private_segment 0
		.amdhsa_system_sgpr_workgroup_id_x 1
		.amdhsa_system_sgpr_workgroup_id_y 0
		.amdhsa_system_sgpr_workgroup_id_z 0
		.amdhsa_system_sgpr_workgroup_info 0
		.amdhsa_system_vgpr_workitem_id 0
		.amdhsa_next_free_vgpr 1
		.amdhsa_next_free_sgpr 1
		.amdhsa_named_barrier_count 0
		.amdhsa_reserve_vcc 0
		.amdhsa_float_round_mode_32 0
		.amdhsa_float_round_mode_16_64 0
		.amdhsa_float_denorm_mode_32 3
		.amdhsa_float_denorm_mode_16_64 3
		.amdhsa_fp16_overflow 0
		.amdhsa_memory_ordered 1
		.amdhsa_forward_progress 1
		.amdhsa_inst_pref_size 0
		.amdhsa_round_robin_scheduling 0
		.amdhsa_exception_fp_ieee_invalid_op 0
		.amdhsa_exception_fp_denorm_src 0
		.amdhsa_exception_fp_ieee_div_zero 0
		.amdhsa_exception_fp_ieee_overflow 0
		.amdhsa_exception_fp_ieee_underflow 0
		.amdhsa_exception_fp_ieee_inexact 0
		.amdhsa_exception_int_div_zero 0
	.end_amdhsa_kernel
	.section	.text._ZN7rocprim17ROCPRIM_400000_NS6detail17trampoline_kernelINS0_14default_configENS1_25partition_config_selectorILNS1_17partition_subalgoE8ElNS0_10empty_typeEbEEZZNS1_14partition_implILS5_8ELb0ES3_jPlPS6_PKS6_NS0_5tupleIJS9_S6_EEENSD_IJSA_SA_EEENS0_18inequality_wrapperIZN2at6native12_GLOBAL__N_124unique_dim_cuda_templateIbEESt5tupleIJNSH_6TensorESM_SM_EERKSM_lbbbEUlllE0_EEPmJS6_EEE10hipError_tPvRmT3_T4_T5_T6_T7_T9_mT8_P12ihipStream_tbDpT10_ENKUlT_T0_E_clISt17integral_constantIbLb0EES1C_EEDaS17_S18_EUlS17_E_NS1_11comp_targetILNS1_3genE3ELNS1_11target_archE908ELNS1_3gpuE7ELNS1_3repE0EEENS1_30default_config_static_selectorELNS0_4arch9wavefront6targetE0EEEvT1_,"axG",@progbits,_ZN7rocprim17ROCPRIM_400000_NS6detail17trampoline_kernelINS0_14default_configENS1_25partition_config_selectorILNS1_17partition_subalgoE8ElNS0_10empty_typeEbEEZZNS1_14partition_implILS5_8ELb0ES3_jPlPS6_PKS6_NS0_5tupleIJS9_S6_EEENSD_IJSA_SA_EEENS0_18inequality_wrapperIZN2at6native12_GLOBAL__N_124unique_dim_cuda_templateIbEESt5tupleIJNSH_6TensorESM_SM_EERKSM_lbbbEUlllE0_EEPmJS6_EEE10hipError_tPvRmT3_T4_T5_T6_T7_T9_mT8_P12ihipStream_tbDpT10_ENKUlT_T0_E_clISt17integral_constantIbLb0EES1C_EEDaS17_S18_EUlS17_E_NS1_11comp_targetILNS1_3genE3ELNS1_11target_archE908ELNS1_3gpuE7ELNS1_3repE0EEENS1_30default_config_static_selectorELNS0_4arch9wavefront6targetE0EEEvT1_,comdat
.Lfunc_end1054:
	.size	_ZN7rocprim17ROCPRIM_400000_NS6detail17trampoline_kernelINS0_14default_configENS1_25partition_config_selectorILNS1_17partition_subalgoE8ElNS0_10empty_typeEbEEZZNS1_14partition_implILS5_8ELb0ES3_jPlPS6_PKS6_NS0_5tupleIJS9_S6_EEENSD_IJSA_SA_EEENS0_18inequality_wrapperIZN2at6native12_GLOBAL__N_124unique_dim_cuda_templateIbEESt5tupleIJNSH_6TensorESM_SM_EERKSM_lbbbEUlllE0_EEPmJS6_EEE10hipError_tPvRmT3_T4_T5_T6_T7_T9_mT8_P12ihipStream_tbDpT10_ENKUlT_T0_E_clISt17integral_constantIbLb0EES1C_EEDaS17_S18_EUlS17_E_NS1_11comp_targetILNS1_3genE3ELNS1_11target_archE908ELNS1_3gpuE7ELNS1_3repE0EEENS1_30default_config_static_selectorELNS0_4arch9wavefront6targetE0EEEvT1_, .Lfunc_end1054-_ZN7rocprim17ROCPRIM_400000_NS6detail17trampoline_kernelINS0_14default_configENS1_25partition_config_selectorILNS1_17partition_subalgoE8ElNS0_10empty_typeEbEEZZNS1_14partition_implILS5_8ELb0ES3_jPlPS6_PKS6_NS0_5tupleIJS9_S6_EEENSD_IJSA_SA_EEENS0_18inequality_wrapperIZN2at6native12_GLOBAL__N_124unique_dim_cuda_templateIbEESt5tupleIJNSH_6TensorESM_SM_EERKSM_lbbbEUlllE0_EEPmJS6_EEE10hipError_tPvRmT3_T4_T5_T6_T7_T9_mT8_P12ihipStream_tbDpT10_ENKUlT_T0_E_clISt17integral_constantIbLb0EES1C_EEDaS17_S18_EUlS17_E_NS1_11comp_targetILNS1_3genE3ELNS1_11target_archE908ELNS1_3gpuE7ELNS1_3repE0EEENS1_30default_config_static_selectorELNS0_4arch9wavefront6targetE0EEEvT1_
                                        ; -- End function
	.set _ZN7rocprim17ROCPRIM_400000_NS6detail17trampoline_kernelINS0_14default_configENS1_25partition_config_selectorILNS1_17partition_subalgoE8ElNS0_10empty_typeEbEEZZNS1_14partition_implILS5_8ELb0ES3_jPlPS6_PKS6_NS0_5tupleIJS9_S6_EEENSD_IJSA_SA_EEENS0_18inequality_wrapperIZN2at6native12_GLOBAL__N_124unique_dim_cuda_templateIbEESt5tupleIJNSH_6TensorESM_SM_EERKSM_lbbbEUlllE0_EEPmJS6_EEE10hipError_tPvRmT3_T4_T5_T6_T7_T9_mT8_P12ihipStream_tbDpT10_ENKUlT_T0_E_clISt17integral_constantIbLb0EES1C_EEDaS17_S18_EUlS17_E_NS1_11comp_targetILNS1_3genE3ELNS1_11target_archE908ELNS1_3gpuE7ELNS1_3repE0EEENS1_30default_config_static_selectorELNS0_4arch9wavefront6targetE0EEEvT1_.num_vgpr, 0
	.set _ZN7rocprim17ROCPRIM_400000_NS6detail17trampoline_kernelINS0_14default_configENS1_25partition_config_selectorILNS1_17partition_subalgoE8ElNS0_10empty_typeEbEEZZNS1_14partition_implILS5_8ELb0ES3_jPlPS6_PKS6_NS0_5tupleIJS9_S6_EEENSD_IJSA_SA_EEENS0_18inequality_wrapperIZN2at6native12_GLOBAL__N_124unique_dim_cuda_templateIbEESt5tupleIJNSH_6TensorESM_SM_EERKSM_lbbbEUlllE0_EEPmJS6_EEE10hipError_tPvRmT3_T4_T5_T6_T7_T9_mT8_P12ihipStream_tbDpT10_ENKUlT_T0_E_clISt17integral_constantIbLb0EES1C_EEDaS17_S18_EUlS17_E_NS1_11comp_targetILNS1_3genE3ELNS1_11target_archE908ELNS1_3gpuE7ELNS1_3repE0EEENS1_30default_config_static_selectorELNS0_4arch9wavefront6targetE0EEEvT1_.num_agpr, 0
	.set _ZN7rocprim17ROCPRIM_400000_NS6detail17trampoline_kernelINS0_14default_configENS1_25partition_config_selectorILNS1_17partition_subalgoE8ElNS0_10empty_typeEbEEZZNS1_14partition_implILS5_8ELb0ES3_jPlPS6_PKS6_NS0_5tupleIJS9_S6_EEENSD_IJSA_SA_EEENS0_18inequality_wrapperIZN2at6native12_GLOBAL__N_124unique_dim_cuda_templateIbEESt5tupleIJNSH_6TensorESM_SM_EERKSM_lbbbEUlllE0_EEPmJS6_EEE10hipError_tPvRmT3_T4_T5_T6_T7_T9_mT8_P12ihipStream_tbDpT10_ENKUlT_T0_E_clISt17integral_constantIbLb0EES1C_EEDaS17_S18_EUlS17_E_NS1_11comp_targetILNS1_3genE3ELNS1_11target_archE908ELNS1_3gpuE7ELNS1_3repE0EEENS1_30default_config_static_selectorELNS0_4arch9wavefront6targetE0EEEvT1_.numbered_sgpr, 0
	.set _ZN7rocprim17ROCPRIM_400000_NS6detail17trampoline_kernelINS0_14default_configENS1_25partition_config_selectorILNS1_17partition_subalgoE8ElNS0_10empty_typeEbEEZZNS1_14partition_implILS5_8ELb0ES3_jPlPS6_PKS6_NS0_5tupleIJS9_S6_EEENSD_IJSA_SA_EEENS0_18inequality_wrapperIZN2at6native12_GLOBAL__N_124unique_dim_cuda_templateIbEESt5tupleIJNSH_6TensorESM_SM_EERKSM_lbbbEUlllE0_EEPmJS6_EEE10hipError_tPvRmT3_T4_T5_T6_T7_T9_mT8_P12ihipStream_tbDpT10_ENKUlT_T0_E_clISt17integral_constantIbLb0EES1C_EEDaS17_S18_EUlS17_E_NS1_11comp_targetILNS1_3genE3ELNS1_11target_archE908ELNS1_3gpuE7ELNS1_3repE0EEENS1_30default_config_static_selectorELNS0_4arch9wavefront6targetE0EEEvT1_.num_named_barrier, 0
	.set _ZN7rocprim17ROCPRIM_400000_NS6detail17trampoline_kernelINS0_14default_configENS1_25partition_config_selectorILNS1_17partition_subalgoE8ElNS0_10empty_typeEbEEZZNS1_14partition_implILS5_8ELb0ES3_jPlPS6_PKS6_NS0_5tupleIJS9_S6_EEENSD_IJSA_SA_EEENS0_18inequality_wrapperIZN2at6native12_GLOBAL__N_124unique_dim_cuda_templateIbEESt5tupleIJNSH_6TensorESM_SM_EERKSM_lbbbEUlllE0_EEPmJS6_EEE10hipError_tPvRmT3_T4_T5_T6_T7_T9_mT8_P12ihipStream_tbDpT10_ENKUlT_T0_E_clISt17integral_constantIbLb0EES1C_EEDaS17_S18_EUlS17_E_NS1_11comp_targetILNS1_3genE3ELNS1_11target_archE908ELNS1_3gpuE7ELNS1_3repE0EEENS1_30default_config_static_selectorELNS0_4arch9wavefront6targetE0EEEvT1_.private_seg_size, 0
	.set _ZN7rocprim17ROCPRIM_400000_NS6detail17trampoline_kernelINS0_14default_configENS1_25partition_config_selectorILNS1_17partition_subalgoE8ElNS0_10empty_typeEbEEZZNS1_14partition_implILS5_8ELb0ES3_jPlPS6_PKS6_NS0_5tupleIJS9_S6_EEENSD_IJSA_SA_EEENS0_18inequality_wrapperIZN2at6native12_GLOBAL__N_124unique_dim_cuda_templateIbEESt5tupleIJNSH_6TensorESM_SM_EERKSM_lbbbEUlllE0_EEPmJS6_EEE10hipError_tPvRmT3_T4_T5_T6_T7_T9_mT8_P12ihipStream_tbDpT10_ENKUlT_T0_E_clISt17integral_constantIbLb0EES1C_EEDaS17_S18_EUlS17_E_NS1_11comp_targetILNS1_3genE3ELNS1_11target_archE908ELNS1_3gpuE7ELNS1_3repE0EEENS1_30default_config_static_selectorELNS0_4arch9wavefront6targetE0EEEvT1_.uses_vcc, 0
	.set _ZN7rocprim17ROCPRIM_400000_NS6detail17trampoline_kernelINS0_14default_configENS1_25partition_config_selectorILNS1_17partition_subalgoE8ElNS0_10empty_typeEbEEZZNS1_14partition_implILS5_8ELb0ES3_jPlPS6_PKS6_NS0_5tupleIJS9_S6_EEENSD_IJSA_SA_EEENS0_18inequality_wrapperIZN2at6native12_GLOBAL__N_124unique_dim_cuda_templateIbEESt5tupleIJNSH_6TensorESM_SM_EERKSM_lbbbEUlllE0_EEPmJS6_EEE10hipError_tPvRmT3_T4_T5_T6_T7_T9_mT8_P12ihipStream_tbDpT10_ENKUlT_T0_E_clISt17integral_constantIbLb0EES1C_EEDaS17_S18_EUlS17_E_NS1_11comp_targetILNS1_3genE3ELNS1_11target_archE908ELNS1_3gpuE7ELNS1_3repE0EEENS1_30default_config_static_selectorELNS0_4arch9wavefront6targetE0EEEvT1_.uses_flat_scratch, 0
	.set _ZN7rocprim17ROCPRIM_400000_NS6detail17trampoline_kernelINS0_14default_configENS1_25partition_config_selectorILNS1_17partition_subalgoE8ElNS0_10empty_typeEbEEZZNS1_14partition_implILS5_8ELb0ES3_jPlPS6_PKS6_NS0_5tupleIJS9_S6_EEENSD_IJSA_SA_EEENS0_18inequality_wrapperIZN2at6native12_GLOBAL__N_124unique_dim_cuda_templateIbEESt5tupleIJNSH_6TensorESM_SM_EERKSM_lbbbEUlllE0_EEPmJS6_EEE10hipError_tPvRmT3_T4_T5_T6_T7_T9_mT8_P12ihipStream_tbDpT10_ENKUlT_T0_E_clISt17integral_constantIbLb0EES1C_EEDaS17_S18_EUlS17_E_NS1_11comp_targetILNS1_3genE3ELNS1_11target_archE908ELNS1_3gpuE7ELNS1_3repE0EEENS1_30default_config_static_selectorELNS0_4arch9wavefront6targetE0EEEvT1_.has_dyn_sized_stack, 0
	.set _ZN7rocprim17ROCPRIM_400000_NS6detail17trampoline_kernelINS0_14default_configENS1_25partition_config_selectorILNS1_17partition_subalgoE8ElNS0_10empty_typeEbEEZZNS1_14partition_implILS5_8ELb0ES3_jPlPS6_PKS6_NS0_5tupleIJS9_S6_EEENSD_IJSA_SA_EEENS0_18inequality_wrapperIZN2at6native12_GLOBAL__N_124unique_dim_cuda_templateIbEESt5tupleIJNSH_6TensorESM_SM_EERKSM_lbbbEUlllE0_EEPmJS6_EEE10hipError_tPvRmT3_T4_T5_T6_T7_T9_mT8_P12ihipStream_tbDpT10_ENKUlT_T0_E_clISt17integral_constantIbLb0EES1C_EEDaS17_S18_EUlS17_E_NS1_11comp_targetILNS1_3genE3ELNS1_11target_archE908ELNS1_3gpuE7ELNS1_3repE0EEENS1_30default_config_static_selectorELNS0_4arch9wavefront6targetE0EEEvT1_.has_recursion, 0
	.set _ZN7rocprim17ROCPRIM_400000_NS6detail17trampoline_kernelINS0_14default_configENS1_25partition_config_selectorILNS1_17partition_subalgoE8ElNS0_10empty_typeEbEEZZNS1_14partition_implILS5_8ELb0ES3_jPlPS6_PKS6_NS0_5tupleIJS9_S6_EEENSD_IJSA_SA_EEENS0_18inequality_wrapperIZN2at6native12_GLOBAL__N_124unique_dim_cuda_templateIbEESt5tupleIJNSH_6TensorESM_SM_EERKSM_lbbbEUlllE0_EEPmJS6_EEE10hipError_tPvRmT3_T4_T5_T6_T7_T9_mT8_P12ihipStream_tbDpT10_ENKUlT_T0_E_clISt17integral_constantIbLb0EES1C_EEDaS17_S18_EUlS17_E_NS1_11comp_targetILNS1_3genE3ELNS1_11target_archE908ELNS1_3gpuE7ELNS1_3repE0EEENS1_30default_config_static_selectorELNS0_4arch9wavefront6targetE0EEEvT1_.has_indirect_call, 0
	.section	.AMDGPU.csdata,"",@progbits
; Kernel info:
; codeLenInByte = 0
; TotalNumSgprs: 0
; NumVgprs: 0
; ScratchSize: 0
; MemoryBound: 0
; FloatMode: 240
; IeeeMode: 1
; LDSByteSize: 0 bytes/workgroup (compile time only)
; SGPRBlocks: 0
; VGPRBlocks: 0
; NumSGPRsForWavesPerEU: 1
; NumVGPRsForWavesPerEU: 1
; NamedBarCnt: 0
; Occupancy: 16
; WaveLimiterHint : 0
; COMPUTE_PGM_RSRC2:SCRATCH_EN: 0
; COMPUTE_PGM_RSRC2:USER_SGPR: 2
; COMPUTE_PGM_RSRC2:TRAP_HANDLER: 0
; COMPUTE_PGM_RSRC2:TGID_X_EN: 1
; COMPUTE_PGM_RSRC2:TGID_Y_EN: 0
; COMPUTE_PGM_RSRC2:TGID_Z_EN: 0
; COMPUTE_PGM_RSRC2:TIDIG_COMP_CNT: 0
	.section	.text._ZN7rocprim17ROCPRIM_400000_NS6detail17trampoline_kernelINS0_14default_configENS1_25partition_config_selectorILNS1_17partition_subalgoE8ElNS0_10empty_typeEbEEZZNS1_14partition_implILS5_8ELb0ES3_jPlPS6_PKS6_NS0_5tupleIJS9_S6_EEENSD_IJSA_SA_EEENS0_18inequality_wrapperIZN2at6native12_GLOBAL__N_124unique_dim_cuda_templateIbEESt5tupleIJNSH_6TensorESM_SM_EERKSM_lbbbEUlllE0_EEPmJS6_EEE10hipError_tPvRmT3_T4_T5_T6_T7_T9_mT8_P12ihipStream_tbDpT10_ENKUlT_T0_E_clISt17integral_constantIbLb0EES1C_EEDaS17_S18_EUlS17_E_NS1_11comp_targetILNS1_3genE2ELNS1_11target_archE906ELNS1_3gpuE6ELNS1_3repE0EEENS1_30default_config_static_selectorELNS0_4arch9wavefront6targetE0EEEvT1_,"axG",@progbits,_ZN7rocprim17ROCPRIM_400000_NS6detail17trampoline_kernelINS0_14default_configENS1_25partition_config_selectorILNS1_17partition_subalgoE8ElNS0_10empty_typeEbEEZZNS1_14partition_implILS5_8ELb0ES3_jPlPS6_PKS6_NS0_5tupleIJS9_S6_EEENSD_IJSA_SA_EEENS0_18inequality_wrapperIZN2at6native12_GLOBAL__N_124unique_dim_cuda_templateIbEESt5tupleIJNSH_6TensorESM_SM_EERKSM_lbbbEUlllE0_EEPmJS6_EEE10hipError_tPvRmT3_T4_T5_T6_T7_T9_mT8_P12ihipStream_tbDpT10_ENKUlT_T0_E_clISt17integral_constantIbLb0EES1C_EEDaS17_S18_EUlS17_E_NS1_11comp_targetILNS1_3genE2ELNS1_11target_archE906ELNS1_3gpuE6ELNS1_3repE0EEENS1_30default_config_static_selectorELNS0_4arch9wavefront6targetE0EEEvT1_,comdat
	.globl	_ZN7rocprim17ROCPRIM_400000_NS6detail17trampoline_kernelINS0_14default_configENS1_25partition_config_selectorILNS1_17partition_subalgoE8ElNS0_10empty_typeEbEEZZNS1_14partition_implILS5_8ELb0ES3_jPlPS6_PKS6_NS0_5tupleIJS9_S6_EEENSD_IJSA_SA_EEENS0_18inequality_wrapperIZN2at6native12_GLOBAL__N_124unique_dim_cuda_templateIbEESt5tupleIJNSH_6TensorESM_SM_EERKSM_lbbbEUlllE0_EEPmJS6_EEE10hipError_tPvRmT3_T4_T5_T6_T7_T9_mT8_P12ihipStream_tbDpT10_ENKUlT_T0_E_clISt17integral_constantIbLb0EES1C_EEDaS17_S18_EUlS17_E_NS1_11comp_targetILNS1_3genE2ELNS1_11target_archE906ELNS1_3gpuE6ELNS1_3repE0EEENS1_30default_config_static_selectorELNS0_4arch9wavefront6targetE0EEEvT1_ ; -- Begin function _ZN7rocprim17ROCPRIM_400000_NS6detail17trampoline_kernelINS0_14default_configENS1_25partition_config_selectorILNS1_17partition_subalgoE8ElNS0_10empty_typeEbEEZZNS1_14partition_implILS5_8ELb0ES3_jPlPS6_PKS6_NS0_5tupleIJS9_S6_EEENSD_IJSA_SA_EEENS0_18inequality_wrapperIZN2at6native12_GLOBAL__N_124unique_dim_cuda_templateIbEESt5tupleIJNSH_6TensorESM_SM_EERKSM_lbbbEUlllE0_EEPmJS6_EEE10hipError_tPvRmT3_T4_T5_T6_T7_T9_mT8_P12ihipStream_tbDpT10_ENKUlT_T0_E_clISt17integral_constantIbLb0EES1C_EEDaS17_S18_EUlS17_E_NS1_11comp_targetILNS1_3genE2ELNS1_11target_archE906ELNS1_3gpuE6ELNS1_3repE0EEENS1_30default_config_static_selectorELNS0_4arch9wavefront6targetE0EEEvT1_
	.p2align	8
	.type	_ZN7rocprim17ROCPRIM_400000_NS6detail17trampoline_kernelINS0_14default_configENS1_25partition_config_selectorILNS1_17partition_subalgoE8ElNS0_10empty_typeEbEEZZNS1_14partition_implILS5_8ELb0ES3_jPlPS6_PKS6_NS0_5tupleIJS9_S6_EEENSD_IJSA_SA_EEENS0_18inequality_wrapperIZN2at6native12_GLOBAL__N_124unique_dim_cuda_templateIbEESt5tupleIJNSH_6TensorESM_SM_EERKSM_lbbbEUlllE0_EEPmJS6_EEE10hipError_tPvRmT3_T4_T5_T6_T7_T9_mT8_P12ihipStream_tbDpT10_ENKUlT_T0_E_clISt17integral_constantIbLb0EES1C_EEDaS17_S18_EUlS17_E_NS1_11comp_targetILNS1_3genE2ELNS1_11target_archE906ELNS1_3gpuE6ELNS1_3repE0EEENS1_30default_config_static_selectorELNS0_4arch9wavefront6targetE0EEEvT1_,@function
_ZN7rocprim17ROCPRIM_400000_NS6detail17trampoline_kernelINS0_14default_configENS1_25partition_config_selectorILNS1_17partition_subalgoE8ElNS0_10empty_typeEbEEZZNS1_14partition_implILS5_8ELb0ES3_jPlPS6_PKS6_NS0_5tupleIJS9_S6_EEENSD_IJSA_SA_EEENS0_18inequality_wrapperIZN2at6native12_GLOBAL__N_124unique_dim_cuda_templateIbEESt5tupleIJNSH_6TensorESM_SM_EERKSM_lbbbEUlllE0_EEPmJS6_EEE10hipError_tPvRmT3_T4_T5_T6_T7_T9_mT8_P12ihipStream_tbDpT10_ENKUlT_T0_E_clISt17integral_constantIbLb0EES1C_EEDaS17_S18_EUlS17_E_NS1_11comp_targetILNS1_3genE2ELNS1_11target_archE906ELNS1_3gpuE6ELNS1_3repE0EEENS1_30default_config_static_selectorELNS0_4arch9wavefront6targetE0EEEvT1_: ; @_ZN7rocprim17ROCPRIM_400000_NS6detail17trampoline_kernelINS0_14default_configENS1_25partition_config_selectorILNS1_17partition_subalgoE8ElNS0_10empty_typeEbEEZZNS1_14partition_implILS5_8ELb0ES3_jPlPS6_PKS6_NS0_5tupleIJS9_S6_EEENSD_IJSA_SA_EEENS0_18inequality_wrapperIZN2at6native12_GLOBAL__N_124unique_dim_cuda_templateIbEESt5tupleIJNSH_6TensorESM_SM_EERKSM_lbbbEUlllE0_EEPmJS6_EEE10hipError_tPvRmT3_T4_T5_T6_T7_T9_mT8_P12ihipStream_tbDpT10_ENKUlT_T0_E_clISt17integral_constantIbLb0EES1C_EEDaS17_S18_EUlS17_E_NS1_11comp_targetILNS1_3genE2ELNS1_11target_archE906ELNS1_3gpuE6ELNS1_3repE0EEENS1_30default_config_static_selectorELNS0_4arch9wavefront6targetE0EEEvT1_
; %bb.0:
	.section	.rodata,"a",@progbits
	.p2align	6, 0x0
	.amdhsa_kernel _ZN7rocprim17ROCPRIM_400000_NS6detail17trampoline_kernelINS0_14default_configENS1_25partition_config_selectorILNS1_17partition_subalgoE8ElNS0_10empty_typeEbEEZZNS1_14partition_implILS5_8ELb0ES3_jPlPS6_PKS6_NS0_5tupleIJS9_S6_EEENSD_IJSA_SA_EEENS0_18inequality_wrapperIZN2at6native12_GLOBAL__N_124unique_dim_cuda_templateIbEESt5tupleIJNSH_6TensorESM_SM_EERKSM_lbbbEUlllE0_EEPmJS6_EEE10hipError_tPvRmT3_T4_T5_T6_T7_T9_mT8_P12ihipStream_tbDpT10_ENKUlT_T0_E_clISt17integral_constantIbLb0EES1C_EEDaS17_S18_EUlS17_E_NS1_11comp_targetILNS1_3genE2ELNS1_11target_archE906ELNS1_3gpuE6ELNS1_3repE0EEENS1_30default_config_static_selectorELNS0_4arch9wavefront6targetE0EEEvT1_
		.amdhsa_group_segment_fixed_size 0
		.amdhsa_private_segment_fixed_size 0
		.amdhsa_kernarg_size 120
		.amdhsa_user_sgpr_count 2
		.amdhsa_user_sgpr_dispatch_ptr 0
		.amdhsa_user_sgpr_queue_ptr 0
		.amdhsa_user_sgpr_kernarg_segment_ptr 1
		.amdhsa_user_sgpr_dispatch_id 0
		.amdhsa_user_sgpr_kernarg_preload_length 0
		.amdhsa_user_sgpr_kernarg_preload_offset 0
		.amdhsa_user_sgpr_private_segment_size 0
		.amdhsa_wavefront_size32 1
		.amdhsa_uses_dynamic_stack 0
		.amdhsa_enable_private_segment 0
		.amdhsa_system_sgpr_workgroup_id_x 1
		.amdhsa_system_sgpr_workgroup_id_y 0
		.amdhsa_system_sgpr_workgroup_id_z 0
		.amdhsa_system_sgpr_workgroup_info 0
		.amdhsa_system_vgpr_workitem_id 0
		.amdhsa_next_free_vgpr 1
		.amdhsa_next_free_sgpr 1
		.amdhsa_named_barrier_count 0
		.amdhsa_reserve_vcc 0
		.amdhsa_float_round_mode_32 0
		.amdhsa_float_round_mode_16_64 0
		.amdhsa_float_denorm_mode_32 3
		.amdhsa_float_denorm_mode_16_64 3
		.amdhsa_fp16_overflow 0
		.amdhsa_memory_ordered 1
		.amdhsa_forward_progress 1
		.amdhsa_inst_pref_size 0
		.amdhsa_round_robin_scheduling 0
		.amdhsa_exception_fp_ieee_invalid_op 0
		.amdhsa_exception_fp_denorm_src 0
		.amdhsa_exception_fp_ieee_div_zero 0
		.amdhsa_exception_fp_ieee_overflow 0
		.amdhsa_exception_fp_ieee_underflow 0
		.amdhsa_exception_fp_ieee_inexact 0
		.amdhsa_exception_int_div_zero 0
	.end_amdhsa_kernel
	.section	.text._ZN7rocprim17ROCPRIM_400000_NS6detail17trampoline_kernelINS0_14default_configENS1_25partition_config_selectorILNS1_17partition_subalgoE8ElNS0_10empty_typeEbEEZZNS1_14partition_implILS5_8ELb0ES3_jPlPS6_PKS6_NS0_5tupleIJS9_S6_EEENSD_IJSA_SA_EEENS0_18inequality_wrapperIZN2at6native12_GLOBAL__N_124unique_dim_cuda_templateIbEESt5tupleIJNSH_6TensorESM_SM_EERKSM_lbbbEUlllE0_EEPmJS6_EEE10hipError_tPvRmT3_T4_T5_T6_T7_T9_mT8_P12ihipStream_tbDpT10_ENKUlT_T0_E_clISt17integral_constantIbLb0EES1C_EEDaS17_S18_EUlS17_E_NS1_11comp_targetILNS1_3genE2ELNS1_11target_archE906ELNS1_3gpuE6ELNS1_3repE0EEENS1_30default_config_static_selectorELNS0_4arch9wavefront6targetE0EEEvT1_,"axG",@progbits,_ZN7rocprim17ROCPRIM_400000_NS6detail17trampoline_kernelINS0_14default_configENS1_25partition_config_selectorILNS1_17partition_subalgoE8ElNS0_10empty_typeEbEEZZNS1_14partition_implILS5_8ELb0ES3_jPlPS6_PKS6_NS0_5tupleIJS9_S6_EEENSD_IJSA_SA_EEENS0_18inequality_wrapperIZN2at6native12_GLOBAL__N_124unique_dim_cuda_templateIbEESt5tupleIJNSH_6TensorESM_SM_EERKSM_lbbbEUlllE0_EEPmJS6_EEE10hipError_tPvRmT3_T4_T5_T6_T7_T9_mT8_P12ihipStream_tbDpT10_ENKUlT_T0_E_clISt17integral_constantIbLb0EES1C_EEDaS17_S18_EUlS17_E_NS1_11comp_targetILNS1_3genE2ELNS1_11target_archE906ELNS1_3gpuE6ELNS1_3repE0EEENS1_30default_config_static_selectorELNS0_4arch9wavefront6targetE0EEEvT1_,comdat
.Lfunc_end1055:
	.size	_ZN7rocprim17ROCPRIM_400000_NS6detail17trampoline_kernelINS0_14default_configENS1_25partition_config_selectorILNS1_17partition_subalgoE8ElNS0_10empty_typeEbEEZZNS1_14partition_implILS5_8ELb0ES3_jPlPS6_PKS6_NS0_5tupleIJS9_S6_EEENSD_IJSA_SA_EEENS0_18inequality_wrapperIZN2at6native12_GLOBAL__N_124unique_dim_cuda_templateIbEESt5tupleIJNSH_6TensorESM_SM_EERKSM_lbbbEUlllE0_EEPmJS6_EEE10hipError_tPvRmT3_T4_T5_T6_T7_T9_mT8_P12ihipStream_tbDpT10_ENKUlT_T0_E_clISt17integral_constantIbLb0EES1C_EEDaS17_S18_EUlS17_E_NS1_11comp_targetILNS1_3genE2ELNS1_11target_archE906ELNS1_3gpuE6ELNS1_3repE0EEENS1_30default_config_static_selectorELNS0_4arch9wavefront6targetE0EEEvT1_, .Lfunc_end1055-_ZN7rocprim17ROCPRIM_400000_NS6detail17trampoline_kernelINS0_14default_configENS1_25partition_config_selectorILNS1_17partition_subalgoE8ElNS0_10empty_typeEbEEZZNS1_14partition_implILS5_8ELb0ES3_jPlPS6_PKS6_NS0_5tupleIJS9_S6_EEENSD_IJSA_SA_EEENS0_18inequality_wrapperIZN2at6native12_GLOBAL__N_124unique_dim_cuda_templateIbEESt5tupleIJNSH_6TensorESM_SM_EERKSM_lbbbEUlllE0_EEPmJS6_EEE10hipError_tPvRmT3_T4_T5_T6_T7_T9_mT8_P12ihipStream_tbDpT10_ENKUlT_T0_E_clISt17integral_constantIbLb0EES1C_EEDaS17_S18_EUlS17_E_NS1_11comp_targetILNS1_3genE2ELNS1_11target_archE906ELNS1_3gpuE6ELNS1_3repE0EEENS1_30default_config_static_selectorELNS0_4arch9wavefront6targetE0EEEvT1_
                                        ; -- End function
	.set _ZN7rocprim17ROCPRIM_400000_NS6detail17trampoline_kernelINS0_14default_configENS1_25partition_config_selectorILNS1_17partition_subalgoE8ElNS0_10empty_typeEbEEZZNS1_14partition_implILS5_8ELb0ES3_jPlPS6_PKS6_NS0_5tupleIJS9_S6_EEENSD_IJSA_SA_EEENS0_18inequality_wrapperIZN2at6native12_GLOBAL__N_124unique_dim_cuda_templateIbEESt5tupleIJNSH_6TensorESM_SM_EERKSM_lbbbEUlllE0_EEPmJS6_EEE10hipError_tPvRmT3_T4_T5_T6_T7_T9_mT8_P12ihipStream_tbDpT10_ENKUlT_T0_E_clISt17integral_constantIbLb0EES1C_EEDaS17_S18_EUlS17_E_NS1_11comp_targetILNS1_3genE2ELNS1_11target_archE906ELNS1_3gpuE6ELNS1_3repE0EEENS1_30default_config_static_selectorELNS0_4arch9wavefront6targetE0EEEvT1_.num_vgpr, 0
	.set _ZN7rocprim17ROCPRIM_400000_NS6detail17trampoline_kernelINS0_14default_configENS1_25partition_config_selectorILNS1_17partition_subalgoE8ElNS0_10empty_typeEbEEZZNS1_14partition_implILS5_8ELb0ES3_jPlPS6_PKS6_NS0_5tupleIJS9_S6_EEENSD_IJSA_SA_EEENS0_18inequality_wrapperIZN2at6native12_GLOBAL__N_124unique_dim_cuda_templateIbEESt5tupleIJNSH_6TensorESM_SM_EERKSM_lbbbEUlllE0_EEPmJS6_EEE10hipError_tPvRmT3_T4_T5_T6_T7_T9_mT8_P12ihipStream_tbDpT10_ENKUlT_T0_E_clISt17integral_constantIbLb0EES1C_EEDaS17_S18_EUlS17_E_NS1_11comp_targetILNS1_3genE2ELNS1_11target_archE906ELNS1_3gpuE6ELNS1_3repE0EEENS1_30default_config_static_selectorELNS0_4arch9wavefront6targetE0EEEvT1_.num_agpr, 0
	.set _ZN7rocprim17ROCPRIM_400000_NS6detail17trampoline_kernelINS0_14default_configENS1_25partition_config_selectorILNS1_17partition_subalgoE8ElNS0_10empty_typeEbEEZZNS1_14partition_implILS5_8ELb0ES3_jPlPS6_PKS6_NS0_5tupleIJS9_S6_EEENSD_IJSA_SA_EEENS0_18inequality_wrapperIZN2at6native12_GLOBAL__N_124unique_dim_cuda_templateIbEESt5tupleIJNSH_6TensorESM_SM_EERKSM_lbbbEUlllE0_EEPmJS6_EEE10hipError_tPvRmT3_T4_T5_T6_T7_T9_mT8_P12ihipStream_tbDpT10_ENKUlT_T0_E_clISt17integral_constantIbLb0EES1C_EEDaS17_S18_EUlS17_E_NS1_11comp_targetILNS1_3genE2ELNS1_11target_archE906ELNS1_3gpuE6ELNS1_3repE0EEENS1_30default_config_static_selectorELNS0_4arch9wavefront6targetE0EEEvT1_.numbered_sgpr, 0
	.set _ZN7rocprim17ROCPRIM_400000_NS6detail17trampoline_kernelINS0_14default_configENS1_25partition_config_selectorILNS1_17partition_subalgoE8ElNS0_10empty_typeEbEEZZNS1_14partition_implILS5_8ELb0ES3_jPlPS6_PKS6_NS0_5tupleIJS9_S6_EEENSD_IJSA_SA_EEENS0_18inequality_wrapperIZN2at6native12_GLOBAL__N_124unique_dim_cuda_templateIbEESt5tupleIJNSH_6TensorESM_SM_EERKSM_lbbbEUlllE0_EEPmJS6_EEE10hipError_tPvRmT3_T4_T5_T6_T7_T9_mT8_P12ihipStream_tbDpT10_ENKUlT_T0_E_clISt17integral_constantIbLb0EES1C_EEDaS17_S18_EUlS17_E_NS1_11comp_targetILNS1_3genE2ELNS1_11target_archE906ELNS1_3gpuE6ELNS1_3repE0EEENS1_30default_config_static_selectorELNS0_4arch9wavefront6targetE0EEEvT1_.num_named_barrier, 0
	.set _ZN7rocprim17ROCPRIM_400000_NS6detail17trampoline_kernelINS0_14default_configENS1_25partition_config_selectorILNS1_17partition_subalgoE8ElNS0_10empty_typeEbEEZZNS1_14partition_implILS5_8ELb0ES3_jPlPS6_PKS6_NS0_5tupleIJS9_S6_EEENSD_IJSA_SA_EEENS0_18inequality_wrapperIZN2at6native12_GLOBAL__N_124unique_dim_cuda_templateIbEESt5tupleIJNSH_6TensorESM_SM_EERKSM_lbbbEUlllE0_EEPmJS6_EEE10hipError_tPvRmT3_T4_T5_T6_T7_T9_mT8_P12ihipStream_tbDpT10_ENKUlT_T0_E_clISt17integral_constantIbLb0EES1C_EEDaS17_S18_EUlS17_E_NS1_11comp_targetILNS1_3genE2ELNS1_11target_archE906ELNS1_3gpuE6ELNS1_3repE0EEENS1_30default_config_static_selectorELNS0_4arch9wavefront6targetE0EEEvT1_.private_seg_size, 0
	.set _ZN7rocprim17ROCPRIM_400000_NS6detail17trampoline_kernelINS0_14default_configENS1_25partition_config_selectorILNS1_17partition_subalgoE8ElNS0_10empty_typeEbEEZZNS1_14partition_implILS5_8ELb0ES3_jPlPS6_PKS6_NS0_5tupleIJS9_S6_EEENSD_IJSA_SA_EEENS0_18inequality_wrapperIZN2at6native12_GLOBAL__N_124unique_dim_cuda_templateIbEESt5tupleIJNSH_6TensorESM_SM_EERKSM_lbbbEUlllE0_EEPmJS6_EEE10hipError_tPvRmT3_T4_T5_T6_T7_T9_mT8_P12ihipStream_tbDpT10_ENKUlT_T0_E_clISt17integral_constantIbLb0EES1C_EEDaS17_S18_EUlS17_E_NS1_11comp_targetILNS1_3genE2ELNS1_11target_archE906ELNS1_3gpuE6ELNS1_3repE0EEENS1_30default_config_static_selectorELNS0_4arch9wavefront6targetE0EEEvT1_.uses_vcc, 0
	.set _ZN7rocprim17ROCPRIM_400000_NS6detail17trampoline_kernelINS0_14default_configENS1_25partition_config_selectorILNS1_17partition_subalgoE8ElNS0_10empty_typeEbEEZZNS1_14partition_implILS5_8ELb0ES3_jPlPS6_PKS6_NS0_5tupleIJS9_S6_EEENSD_IJSA_SA_EEENS0_18inequality_wrapperIZN2at6native12_GLOBAL__N_124unique_dim_cuda_templateIbEESt5tupleIJNSH_6TensorESM_SM_EERKSM_lbbbEUlllE0_EEPmJS6_EEE10hipError_tPvRmT3_T4_T5_T6_T7_T9_mT8_P12ihipStream_tbDpT10_ENKUlT_T0_E_clISt17integral_constantIbLb0EES1C_EEDaS17_S18_EUlS17_E_NS1_11comp_targetILNS1_3genE2ELNS1_11target_archE906ELNS1_3gpuE6ELNS1_3repE0EEENS1_30default_config_static_selectorELNS0_4arch9wavefront6targetE0EEEvT1_.uses_flat_scratch, 0
	.set _ZN7rocprim17ROCPRIM_400000_NS6detail17trampoline_kernelINS0_14default_configENS1_25partition_config_selectorILNS1_17partition_subalgoE8ElNS0_10empty_typeEbEEZZNS1_14partition_implILS5_8ELb0ES3_jPlPS6_PKS6_NS0_5tupleIJS9_S6_EEENSD_IJSA_SA_EEENS0_18inequality_wrapperIZN2at6native12_GLOBAL__N_124unique_dim_cuda_templateIbEESt5tupleIJNSH_6TensorESM_SM_EERKSM_lbbbEUlllE0_EEPmJS6_EEE10hipError_tPvRmT3_T4_T5_T6_T7_T9_mT8_P12ihipStream_tbDpT10_ENKUlT_T0_E_clISt17integral_constantIbLb0EES1C_EEDaS17_S18_EUlS17_E_NS1_11comp_targetILNS1_3genE2ELNS1_11target_archE906ELNS1_3gpuE6ELNS1_3repE0EEENS1_30default_config_static_selectorELNS0_4arch9wavefront6targetE0EEEvT1_.has_dyn_sized_stack, 0
	.set _ZN7rocprim17ROCPRIM_400000_NS6detail17trampoline_kernelINS0_14default_configENS1_25partition_config_selectorILNS1_17partition_subalgoE8ElNS0_10empty_typeEbEEZZNS1_14partition_implILS5_8ELb0ES3_jPlPS6_PKS6_NS0_5tupleIJS9_S6_EEENSD_IJSA_SA_EEENS0_18inequality_wrapperIZN2at6native12_GLOBAL__N_124unique_dim_cuda_templateIbEESt5tupleIJNSH_6TensorESM_SM_EERKSM_lbbbEUlllE0_EEPmJS6_EEE10hipError_tPvRmT3_T4_T5_T6_T7_T9_mT8_P12ihipStream_tbDpT10_ENKUlT_T0_E_clISt17integral_constantIbLb0EES1C_EEDaS17_S18_EUlS17_E_NS1_11comp_targetILNS1_3genE2ELNS1_11target_archE906ELNS1_3gpuE6ELNS1_3repE0EEENS1_30default_config_static_selectorELNS0_4arch9wavefront6targetE0EEEvT1_.has_recursion, 0
	.set _ZN7rocprim17ROCPRIM_400000_NS6detail17trampoline_kernelINS0_14default_configENS1_25partition_config_selectorILNS1_17partition_subalgoE8ElNS0_10empty_typeEbEEZZNS1_14partition_implILS5_8ELb0ES3_jPlPS6_PKS6_NS0_5tupleIJS9_S6_EEENSD_IJSA_SA_EEENS0_18inequality_wrapperIZN2at6native12_GLOBAL__N_124unique_dim_cuda_templateIbEESt5tupleIJNSH_6TensorESM_SM_EERKSM_lbbbEUlllE0_EEPmJS6_EEE10hipError_tPvRmT3_T4_T5_T6_T7_T9_mT8_P12ihipStream_tbDpT10_ENKUlT_T0_E_clISt17integral_constantIbLb0EES1C_EEDaS17_S18_EUlS17_E_NS1_11comp_targetILNS1_3genE2ELNS1_11target_archE906ELNS1_3gpuE6ELNS1_3repE0EEENS1_30default_config_static_selectorELNS0_4arch9wavefront6targetE0EEEvT1_.has_indirect_call, 0
	.section	.AMDGPU.csdata,"",@progbits
; Kernel info:
; codeLenInByte = 0
; TotalNumSgprs: 0
; NumVgprs: 0
; ScratchSize: 0
; MemoryBound: 0
; FloatMode: 240
; IeeeMode: 1
; LDSByteSize: 0 bytes/workgroup (compile time only)
; SGPRBlocks: 0
; VGPRBlocks: 0
; NumSGPRsForWavesPerEU: 1
; NumVGPRsForWavesPerEU: 1
; NamedBarCnt: 0
; Occupancy: 16
; WaveLimiterHint : 0
; COMPUTE_PGM_RSRC2:SCRATCH_EN: 0
; COMPUTE_PGM_RSRC2:USER_SGPR: 2
; COMPUTE_PGM_RSRC2:TRAP_HANDLER: 0
; COMPUTE_PGM_RSRC2:TGID_X_EN: 1
; COMPUTE_PGM_RSRC2:TGID_Y_EN: 0
; COMPUTE_PGM_RSRC2:TGID_Z_EN: 0
; COMPUTE_PGM_RSRC2:TIDIG_COMP_CNT: 0
	.section	.text._ZN7rocprim17ROCPRIM_400000_NS6detail17trampoline_kernelINS0_14default_configENS1_25partition_config_selectorILNS1_17partition_subalgoE8ElNS0_10empty_typeEbEEZZNS1_14partition_implILS5_8ELb0ES3_jPlPS6_PKS6_NS0_5tupleIJS9_S6_EEENSD_IJSA_SA_EEENS0_18inequality_wrapperIZN2at6native12_GLOBAL__N_124unique_dim_cuda_templateIbEESt5tupleIJNSH_6TensorESM_SM_EERKSM_lbbbEUlllE0_EEPmJS6_EEE10hipError_tPvRmT3_T4_T5_T6_T7_T9_mT8_P12ihipStream_tbDpT10_ENKUlT_T0_E_clISt17integral_constantIbLb0EES1C_EEDaS17_S18_EUlS17_E_NS1_11comp_targetILNS1_3genE10ELNS1_11target_archE1200ELNS1_3gpuE4ELNS1_3repE0EEENS1_30default_config_static_selectorELNS0_4arch9wavefront6targetE0EEEvT1_,"axG",@progbits,_ZN7rocprim17ROCPRIM_400000_NS6detail17trampoline_kernelINS0_14default_configENS1_25partition_config_selectorILNS1_17partition_subalgoE8ElNS0_10empty_typeEbEEZZNS1_14partition_implILS5_8ELb0ES3_jPlPS6_PKS6_NS0_5tupleIJS9_S6_EEENSD_IJSA_SA_EEENS0_18inequality_wrapperIZN2at6native12_GLOBAL__N_124unique_dim_cuda_templateIbEESt5tupleIJNSH_6TensorESM_SM_EERKSM_lbbbEUlllE0_EEPmJS6_EEE10hipError_tPvRmT3_T4_T5_T6_T7_T9_mT8_P12ihipStream_tbDpT10_ENKUlT_T0_E_clISt17integral_constantIbLb0EES1C_EEDaS17_S18_EUlS17_E_NS1_11comp_targetILNS1_3genE10ELNS1_11target_archE1200ELNS1_3gpuE4ELNS1_3repE0EEENS1_30default_config_static_selectorELNS0_4arch9wavefront6targetE0EEEvT1_,comdat
	.globl	_ZN7rocprim17ROCPRIM_400000_NS6detail17trampoline_kernelINS0_14default_configENS1_25partition_config_selectorILNS1_17partition_subalgoE8ElNS0_10empty_typeEbEEZZNS1_14partition_implILS5_8ELb0ES3_jPlPS6_PKS6_NS0_5tupleIJS9_S6_EEENSD_IJSA_SA_EEENS0_18inequality_wrapperIZN2at6native12_GLOBAL__N_124unique_dim_cuda_templateIbEESt5tupleIJNSH_6TensorESM_SM_EERKSM_lbbbEUlllE0_EEPmJS6_EEE10hipError_tPvRmT3_T4_T5_T6_T7_T9_mT8_P12ihipStream_tbDpT10_ENKUlT_T0_E_clISt17integral_constantIbLb0EES1C_EEDaS17_S18_EUlS17_E_NS1_11comp_targetILNS1_3genE10ELNS1_11target_archE1200ELNS1_3gpuE4ELNS1_3repE0EEENS1_30default_config_static_selectorELNS0_4arch9wavefront6targetE0EEEvT1_ ; -- Begin function _ZN7rocprim17ROCPRIM_400000_NS6detail17trampoline_kernelINS0_14default_configENS1_25partition_config_selectorILNS1_17partition_subalgoE8ElNS0_10empty_typeEbEEZZNS1_14partition_implILS5_8ELb0ES3_jPlPS6_PKS6_NS0_5tupleIJS9_S6_EEENSD_IJSA_SA_EEENS0_18inequality_wrapperIZN2at6native12_GLOBAL__N_124unique_dim_cuda_templateIbEESt5tupleIJNSH_6TensorESM_SM_EERKSM_lbbbEUlllE0_EEPmJS6_EEE10hipError_tPvRmT3_T4_T5_T6_T7_T9_mT8_P12ihipStream_tbDpT10_ENKUlT_T0_E_clISt17integral_constantIbLb0EES1C_EEDaS17_S18_EUlS17_E_NS1_11comp_targetILNS1_3genE10ELNS1_11target_archE1200ELNS1_3gpuE4ELNS1_3repE0EEENS1_30default_config_static_selectorELNS0_4arch9wavefront6targetE0EEEvT1_
	.p2align	8
	.type	_ZN7rocprim17ROCPRIM_400000_NS6detail17trampoline_kernelINS0_14default_configENS1_25partition_config_selectorILNS1_17partition_subalgoE8ElNS0_10empty_typeEbEEZZNS1_14partition_implILS5_8ELb0ES3_jPlPS6_PKS6_NS0_5tupleIJS9_S6_EEENSD_IJSA_SA_EEENS0_18inequality_wrapperIZN2at6native12_GLOBAL__N_124unique_dim_cuda_templateIbEESt5tupleIJNSH_6TensorESM_SM_EERKSM_lbbbEUlllE0_EEPmJS6_EEE10hipError_tPvRmT3_T4_T5_T6_T7_T9_mT8_P12ihipStream_tbDpT10_ENKUlT_T0_E_clISt17integral_constantIbLb0EES1C_EEDaS17_S18_EUlS17_E_NS1_11comp_targetILNS1_3genE10ELNS1_11target_archE1200ELNS1_3gpuE4ELNS1_3repE0EEENS1_30default_config_static_selectorELNS0_4arch9wavefront6targetE0EEEvT1_,@function
_ZN7rocprim17ROCPRIM_400000_NS6detail17trampoline_kernelINS0_14default_configENS1_25partition_config_selectorILNS1_17partition_subalgoE8ElNS0_10empty_typeEbEEZZNS1_14partition_implILS5_8ELb0ES3_jPlPS6_PKS6_NS0_5tupleIJS9_S6_EEENSD_IJSA_SA_EEENS0_18inequality_wrapperIZN2at6native12_GLOBAL__N_124unique_dim_cuda_templateIbEESt5tupleIJNSH_6TensorESM_SM_EERKSM_lbbbEUlllE0_EEPmJS6_EEE10hipError_tPvRmT3_T4_T5_T6_T7_T9_mT8_P12ihipStream_tbDpT10_ENKUlT_T0_E_clISt17integral_constantIbLb0EES1C_EEDaS17_S18_EUlS17_E_NS1_11comp_targetILNS1_3genE10ELNS1_11target_archE1200ELNS1_3gpuE4ELNS1_3repE0EEENS1_30default_config_static_selectorELNS0_4arch9wavefront6targetE0EEEvT1_: ; @_ZN7rocprim17ROCPRIM_400000_NS6detail17trampoline_kernelINS0_14default_configENS1_25partition_config_selectorILNS1_17partition_subalgoE8ElNS0_10empty_typeEbEEZZNS1_14partition_implILS5_8ELb0ES3_jPlPS6_PKS6_NS0_5tupleIJS9_S6_EEENSD_IJSA_SA_EEENS0_18inequality_wrapperIZN2at6native12_GLOBAL__N_124unique_dim_cuda_templateIbEESt5tupleIJNSH_6TensorESM_SM_EERKSM_lbbbEUlllE0_EEPmJS6_EEE10hipError_tPvRmT3_T4_T5_T6_T7_T9_mT8_P12ihipStream_tbDpT10_ENKUlT_T0_E_clISt17integral_constantIbLb0EES1C_EEDaS17_S18_EUlS17_E_NS1_11comp_targetILNS1_3genE10ELNS1_11target_archE1200ELNS1_3gpuE4ELNS1_3repE0EEENS1_30default_config_static_selectorELNS0_4arch9wavefront6targetE0EEEvT1_
; %bb.0:
	.section	.rodata,"a",@progbits
	.p2align	6, 0x0
	.amdhsa_kernel _ZN7rocprim17ROCPRIM_400000_NS6detail17trampoline_kernelINS0_14default_configENS1_25partition_config_selectorILNS1_17partition_subalgoE8ElNS0_10empty_typeEbEEZZNS1_14partition_implILS5_8ELb0ES3_jPlPS6_PKS6_NS0_5tupleIJS9_S6_EEENSD_IJSA_SA_EEENS0_18inequality_wrapperIZN2at6native12_GLOBAL__N_124unique_dim_cuda_templateIbEESt5tupleIJNSH_6TensorESM_SM_EERKSM_lbbbEUlllE0_EEPmJS6_EEE10hipError_tPvRmT3_T4_T5_T6_T7_T9_mT8_P12ihipStream_tbDpT10_ENKUlT_T0_E_clISt17integral_constantIbLb0EES1C_EEDaS17_S18_EUlS17_E_NS1_11comp_targetILNS1_3genE10ELNS1_11target_archE1200ELNS1_3gpuE4ELNS1_3repE0EEENS1_30default_config_static_selectorELNS0_4arch9wavefront6targetE0EEEvT1_
		.amdhsa_group_segment_fixed_size 0
		.amdhsa_private_segment_fixed_size 0
		.amdhsa_kernarg_size 120
		.amdhsa_user_sgpr_count 2
		.amdhsa_user_sgpr_dispatch_ptr 0
		.amdhsa_user_sgpr_queue_ptr 0
		.amdhsa_user_sgpr_kernarg_segment_ptr 1
		.amdhsa_user_sgpr_dispatch_id 0
		.amdhsa_user_sgpr_kernarg_preload_length 0
		.amdhsa_user_sgpr_kernarg_preload_offset 0
		.amdhsa_user_sgpr_private_segment_size 0
		.amdhsa_wavefront_size32 1
		.amdhsa_uses_dynamic_stack 0
		.amdhsa_enable_private_segment 0
		.amdhsa_system_sgpr_workgroup_id_x 1
		.amdhsa_system_sgpr_workgroup_id_y 0
		.amdhsa_system_sgpr_workgroup_id_z 0
		.amdhsa_system_sgpr_workgroup_info 0
		.amdhsa_system_vgpr_workitem_id 0
		.amdhsa_next_free_vgpr 1
		.amdhsa_next_free_sgpr 1
		.amdhsa_named_barrier_count 0
		.amdhsa_reserve_vcc 0
		.amdhsa_float_round_mode_32 0
		.amdhsa_float_round_mode_16_64 0
		.amdhsa_float_denorm_mode_32 3
		.amdhsa_float_denorm_mode_16_64 3
		.amdhsa_fp16_overflow 0
		.amdhsa_memory_ordered 1
		.amdhsa_forward_progress 1
		.amdhsa_inst_pref_size 0
		.amdhsa_round_robin_scheduling 0
		.amdhsa_exception_fp_ieee_invalid_op 0
		.amdhsa_exception_fp_denorm_src 0
		.amdhsa_exception_fp_ieee_div_zero 0
		.amdhsa_exception_fp_ieee_overflow 0
		.amdhsa_exception_fp_ieee_underflow 0
		.amdhsa_exception_fp_ieee_inexact 0
		.amdhsa_exception_int_div_zero 0
	.end_amdhsa_kernel
	.section	.text._ZN7rocprim17ROCPRIM_400000_NS6detail17trampoline_kernelINS0_14default_configENS1_25partition_config_selectorILNS1_17partition_subalgoE8ElNS0_10empty_typeEbEEZZNS1_14partition_implILS5_8ELb0ES3_jPlPS6_PKS6_NS0_5tupleIJS9_S6_EEENSD_IJSA_SA_EEENS0_18inequality_wrapperIZN2at6native12_GLOBAL__N_124unique_dim_cuda_templateIbEESt5tupleIJNSH_6TensorESM_SM_EERKSM_lbbbEUlllE0_EEPmJS6_EEE10hipError_tPvRmT3_T4_T5_T6_T7_T9_mT8_P12ihipStream_tbDpT10_ENKUlT_T0_E_clISt17integral_constantIbLb0EES1C_EEDaS17_S18_EUlS17_E_NS1_11comp_targetILNS1_3genE10ELNS1_11target_archE1200ELNS1_3gpuE4ELNS1_3repE0EEENS1_30default_config_static_selectorELNS0_4arch9wavefront6targetE0EEEvT1_,"axG",@progbits,_ZN7rocprim17ROCPRIM_400000_NS6detail17trampoline_kernelINS0_14default_configENS1_25partition_config_selectorILNS1_17partition_subalgoE8ElNS0_10empty_typeEbEEZZNS1_14partition_implILS5_8ELb0ES3_jPlPS6_PKS6_NS0_5tupleIJS9_S6_EEENSD_IJSA_SA_EEENS0_18inequality_wrapperIZN2at6native12_GLOBAL__N_124unique_dim_cuda_templateIbEESt5tupleIJNSH_6TensorESM_SM_EERKSM_lbbbEUlllE0_EEPmJS6_EEE10hipError_tPvRmT3_T4_T5_T6_T7_T9_mT8_P12ihipStream_tbDpT10_ENKUlT_T0_E_clISt17integral_constantIbLb0EES1C_EEDaS17_S18_EUlS17_E_NS1_11comp_targetILNS1_3genE10ELNS1_11target_archE1200ELNS1_3gpuE4ELNS1_3repE0EEENS1_30default_config_static_selectorELNS0_4arch9wavefront6targetE0EEEvT1_,comdat
.Lfunc_end1056:
	.size	_ZN7rocprim17ROCPRIM_400000_NS6detail17trampoline_kernelINS0_14default_configENS1_25partition_config_selectorILNS1_17partition_subalgoE8ElNS0_10empty_typeEbEEZZNS1_14partition_implILS5_8ELb0ES3_jPlPS6_PKS6_NS0_5tupleIJS9_S6_EEENSD_IJSA_SA_EEENS0_18inequality_wrapperIZN2at6native12_GLOBAL__N_124unique_dim_cuda_templateIbEESt5tupleIJNSH_6TensorESM_SM_EERKSM_lbbbEUlllE0_EEPmJS6_EEE10hipError_tPvRmT3_T4_T5_T6_T7_T9_mT8_P12ihipStream_tbDpT10_ENKUlT_T0_E_clISt17integral_constantIbLb0EES1C_EEDaS17_S18_EUlS17_E_NS1_11comp_targetILNS1_3genE10ELNS1_11target_archE1200ELNS1_3gpuE4ELNS1_3repE0EEENS1_30default_config_static_selectorELNS0_4arch9wavefront6targetE0EEEvT1_, .Lfunc_end1056-_ZN7rocprim17ROCPRIM_400000_NS6detail17trampoline_kernelINS0_14default_configENS1_25partition_config_selectorILNS1_17partition_subalgoE8ElNS0_10empty_typeEbEEZZNS1_14partition_implILS5_8ELb0ES3_jPlPS6_PKS6_NS0_5tupleIJS9_S6_EEENSD_IJSA_SA_EEENS0_18inequality_wrapperIZN2at6native12_GLOBAL__N_124unique_dim_cuda_templateIbEESt5tupleIJNSH_6TensorESM_SM_EERKSM_lbbbEUlllE0_EEPmJS6_EEE10hipError_tPvRmT3_T4_T5_T6_T7_T9_mT8_P12ihipStream_tbDpT10_ENKUlT_T0_E_clISt17integral_constantIbLb0EES1C_EEDaS17_S18_EUlS17_E_NS1_11comp_targetILNS1_3genE10ELNS1_11target_archE1200ELNS1_3gpuE4ELNS1_3repE0EEENS1_30default_config_static_selectorELNS0_4arch9wavefront6targetE0EEEvT1_
                                        ; -- End function
	.set _ZN7rocprim17ROCPRIM_400000_NS6detail17trampoline_kernelINS0_14default_configENS1_25partition_config_selectorILNS1_17partition_subalgoE8ElNS0_10empty_typeEbEEZZNS1_14partition_implILS5_8ELb0ES3_jPlPS6_PKS6_NS0_5tupleIJS9_S6_EEENSD_IJSA_SA_EEENS0_18inequality_wrapperIZN2at6native12_GLOBAL__N_124unique_dim_cuda_templateIbEESt5tupleIJNSH_6TensorESM_SM_EERKSM_lbbbEUlllE0_EEPmJS6_EEE10hipError_tPvRmT3_T4_T5_T6_T7_T9_mT8_P12ihipStream_tbDpT10_ENKUlT_T0_E_clISt17integral_constantIbLb0EES1C_EEDaS17_S18_EUlS17_E_NS1_11comp_targetILNS1_3genE10ELNS1_11target_archE1200ELNS1_3gpuE4ELNS1_3repE0EEENS1_30default_config_static_selectorELNS0_4arch9wavefront6targetE0EEEvT1_.num_vgpr, 0
	.set _ZN7rocprim17ROCPRIM_400000_NS6detail17trampoline_kernelINS0_14default_configENS1_25partition_config_selectorILNS1_17partition_subalgoE8ElNS0_10empty_typeEbEEZZNS1_14partition_implILS5_8ELb0ES3_jPlPS6_PKS6_NS0_5tupleIJS9_S6_EEENSD_IJSA_SA_EEENS0_18inequality_wrapperIZN2at6native12_GLOBAL__N_124unique_dim_cuda_templateIbEESt5tupleIJNSH_6TensorESM_SM_EERKSM_lbbbEUlllE0_EEPmJS6_EEE10hipError_tPvRmT3_T4_T5_T6_T7_T9_mT8_P12ihipStream_tbDpT10_ENKUlT_T0_E_clISt17integral_constantIbLb0EES1C_EEDaS17_S18_EUlS17_E_NS1_11comp_targetILNS1_3genE10ELNS1_11target_archE1200ELNS1_3gpuE4ELNS1_3repE0EEENS1_30default_config_static_selectorELNS0_4arch9wavefront6targetE0EEEvT1_.num_agpr, 0
	.set _ZN7rocprim17ROCPRIM_400000_NS6detail17trampoline_kernelINS0_14default_configENS1_25partition_config_selectorILNS1_17partition_subalgoE8ElNS0_10empty_typeEbEEZZNS1_14partition_implILS5_8ELb0ES3_jPlPS6_PKS6_NS0_5tupleIJS9_S6_EEENSD_IJSA_SA_EEENS0_18inequality_wrapperIZN2at6native12_GLOBAL__N_124unique_dim_cuda_templateIbEESt5tupleIJNSH_6TensorESM_SM_EERKSM_lbbbEUlllE0_EEPmJS6_EEE10hipError_tPvRmT3_T4_T5_T6_T7_T9_mT8_P12ihipStream_tbDpT10_ENKUlT_T0_E_clISt17integral_constantIbLb0EES1C_EEDaS17_S18_EUlS17_E_NS1_11comp_targetILNS1_3genE10ELNS1_11target_archE1200ELNS1_3gpuE4ELNS1_3repE0EEENS1_30default_config_static_selectorELNS0_4arch9wavefront6targetE0EEEvT1_.numbered_sgpr, 0
	.set _ZN7rocprim17ROCPRIM_400000_NS6detail17trampoline_kernelINS0_14default_configENS1_25partition_config_selectorILNS1_17partition_subalgoE8ElNS0_10empty_typeEbEEZZNS1_14partition_implILS5_8ELb0ES3_jPlPS6_PKS6_NS0_5tupleIJS9_S6_EEENSD_IJSA_SA_EEENS0_18inequality_wrapperIZN2at6native12_GLOBAL__N_124unique_dim_cuda_templateIbEESt5tupleIJNSH_6TensorESM_SM_EERKSM_lbbbEUlllE0_EEPmJS6_EEE10hipError_tPvRmT3_T4_T5_T6_T7_T9_mT8_P12ihipStream_tbDpT10_ENKUlT_T0_E_clISt17integral_constantIbLb0EES1C_EEDaS17_S18_EUlS17_E_NS1_11comp_targetILNS1_3genE10ELNS1_11target_archE1200ELNS1_3gpuE4ELNS1_3repE0EEENS1_30default_config_static_selectorELNS0_4arch9wavefront6targetE0EEEvT1_.num_named_barrier, 0
	.set _ZN7rocprim17ROCPRIM_400000_NS6detail17trampoline_kernelINS0_14default_configENS1_25partition_config_selectorILNS1_17partition_subalgoE8ElNS0_10empty_typeEbEEZZNS1_14partition_implILS5_8ELb0ES3_jPlPS6_PKS6_NS0_5tupleIJS9_S6_EEENSD_IJSA_SA_EEENS0_18inequality_wrapperIZN2at6native12_GLOBAL__N_124unique_dim_cuda_templateIbEESt5tupleIJNSH_6TensorESM_SM_EERKSM_lbbbEUlllE0_EEPmJS6_EEE10hipError_tPvRmT3_T4_T5_T6_T7_T9_mT8_P12ihipStream_tbDpT10_ENKUlT_T0_E_clISt17integral_constantIbLb0EES1C_EEDaS17_S18_EUlS17_E_NS1_11comp_targetILNS1_3genE10ELNS1_11target_archE1200ELNS1_3gpuE4ELNS1_3repE0EEENS1_30default_config_static_selectorELNS0_4arch9wavefront6targetE0EEEvT1_.private_seg_size, 0
	.set _ZN7rocprim17ROCPRIM_400000_NS6detail17trampoline_kernelINS0_14default_configENS1_25partition_config_selectorILNS1_17partition_subalgoE8ElNS0_10empty_typeEbEEZZNS1_14partition_implILS5_8ELb0ES3_jPlPS6_PKS6_NS0_5tupleIJS9_S6_EEENSD_IJSA_SA_EEENS0_18inequality_wrapperIZN2at6native12_GLOBAL__N_124unique_dim_cuda_templateIbEESt5tupleIJNSH_6TensorESM_SM_EERKSM_lbbbEUlllE0_EEPmJS6_EEE10hipError_tPvRmT3_T4_T5_T6_T7_T9_mT8_P12ihipStream_tbDpT10_ENKUlT_T0_E_clISt17integral_constantIbLb0EES1C_EEDaS17_S18_EUlS17_E_NS1_11comp_targetILNS1_3genE10ELNS1_11target_archE1200ELNS1_3gpuE4ELNS1_3repE0EEENS1_30default_config_static_selectorELNS0_4arch9wavefront6targetE0EEEvT1_.uses_vcc, 0
	.set _ZN7rocprim17ROCPRIM_400000_NS6detail17trampoline_kernelINS0_14default_configENS1_25partition_config_selectorILNS1_17partition_subalgoE8ElNS0_10empty_typeEbEEZZNS1_14partition_implILS5_8ELb0ES3_jPlPS6_PKS6_NS0_5tupleIJS9_S6_EEENSD_IJSA_SA_EEENS0_18inequality_wrapperIZN2at6native12_GLOBAL__N_124unique_dim_cuda_templateIbEESt5tupleIJNSH_6TensorESM_SM_EERKSM_lbbbEUlllE0_EEPmJS6_EEE10hipError_tPvRmT3_T4_T5_T6_T7_T9_mT8_P12ihipStream_tbDpT10_ENKUlT_T0_E_clISt17integral_constantIbLb0EES1C_EEDaS17_S18_EUlS17_E_NS1_11comp_targetILNS1_3genE10ELNS1_11target_archE1200ELNS1_3gpuE4ELNS1_3repE0EEENS1_30default_config_static_selectorELNS0_4arch9wavefront6targetE0EEEvT1_.uses_flat_scratch, 0
	.set _ZN7rocprim17ROCPRIM_400000_NS6detail17trampoline_kernelINS0_14default_configENS1_25partition_config_selectorILNS1_17partition_subalgoE8ElNS0_10empty_typeEbEEZZNS1_14partition_implILS5_8ELb0ES3_jPlPS6_PKS6_NS0_5tupleIJS9_S6_EEENSD_IJSA_SA_EEENS0_18inequality_wrapperIZN2at6native12_GLOBAL__N_124unique_dim_cuda_templateIbEESt5tupleIJNSH_6TensorESM_SM_EERKSM_lbbbEUlllE0_EEPmJS6_EEE10hipError_tPvRmT3_T4_T5_T6_T7_T9_mT8_P12ihipStream_tbDpT10_ENKUlT_T0_E_clISt17integral_constantIbLb0EES1C_EEDaS17_S18_EUlS17_E_NS1_11comp_targetILNS1_3genE10ELNS1_11target_archE1200ELNS1_3gpuE4ELNS1_3repE0EEENS1_30default_config_static_selectorELNS0_4arch9wavefront6targetE0EEEvT1_.has_dyn_sized_stack, 0
	.set _ZN7rocprim17ROCPRIM_400000_NS6detail17trampoline_kernelINS0_14default_configENS1_25partition_config_selectorILNS1_17partition_subalgoE8ElNS0_10empty_typeEbEEZZNS1_14partition_implILS5_8ELb0ES3_jPlPS6_PKS6_NS0_5tupleIJS9_S6_EEENSD_IJSA_SA_EEENS0_18inequality_wrapperIZN2at6native12_GLOBAL__N_124unique_dim_cuda_templateIbEESt5tupleIJNSH_6TensorESM_SM_EERKSM_lbbbEUlllE0_EEPmJS6_EEE10hipError_tPvRmT3_T4_T5_T6_T7_T9_mT8_P12ihipStream_tbDpT10_ENKUlT_T0_E_clISt17integral_constantIbLb0EES1C_EEDaS17_S18_EUlS17_E_NS1_11comp_targetILNS1_3genE10ELNS1_11target_archE1200ELNS1_3gpuE4ELNS1_3repE0EEENS1_30default_config_static_selectorELNS0_4arch9wavefront6targetE0EEEvT1_.has_recursion, 0
	.set _ZN7rocprim17ROCPRIM_400000_NS6detail17trampoline_kernelINS0_14default_configENS1_25partition_config_selectorILNS1_17partition_subalgoE8ElNS0_10empty_typeEbEEZZNS1_14partition_implILS5_8ELb0ES3_jPlPS6_PKS6_NS0_5tupleIJS9_S6_EEENSD_IJSA_SA_EEENS0_18inequality_wrapperIZN2at6native12_GLOBAL__N_124unique_dim_cuda_templateIbEESt5tupleIJNSH_6TensorESM_SM_EERKSM_lbbbEUlllE0_EEPmJS6_EEE10hipError_tPvRmT3_T4_T5_T6_T7_T9_mT8_P12ihipStream_tbDpT10_ENKUlT_T0_E_clISt17integral_constantIbLb0EES1C_EEDaS17_S18_EUlS17_E_NS1_11comp_targetILNS1_3genE10ELNS1_11target_archE1200ELNS1_3gpuE4ELNS1_3repE0EEENS1_30default_config_static_selectorELNS0_4arch9wavefront6targetE0EEEvT1_.has_indirect_call, 0
	.section	.AMDGPU.csdata,"",@progbits
; Kernel info:
; codeLenInByte = 0
; TotalNumSgprs: 0
; NumVgprs: 0
; ScratchSize: 0
; MemoryBound: 0
; FloatMode: 240
; IeeeMode: 1
; LDSByteSize: 0 bytes/workgroup (compile time only)
; SGPRBlocks: 0
; VGPRBlocks: 0
; NumSGPRsForWavesPerEU: 1
; NumVGPRsForWavesPerEU: 1
; NamedBarCnt: 0
; Occupancy: 16
; WaveLimiterHint : 0
; COMPUTE_PGM_RSRC2:SCRATCH_EN: 0
; COMPUTE_PGM_RSRC2:USER_SGPR: 2
; COMPUTE_PGM_RSRC2:TRAP_HANDLER: 0
; COMPUTE_PGM_RSRC2:TGID_X_EN: 1
; COMPUTE_PGM_RSRC2:TGID_Y_EN: 0
; COMPUTE_PGM_RSRC2:TGID_Z_EN: 0
; COMPUTE_PGM_RSRC2:TIDIG_COMP_CNT: 0
	.section	.text._ZN7rocprim17ROCPRIM_400000_NS6detail17trampoline_kernelINS0_14default_configENS1_25partition_config_selectorILNS1_17partition_subalgoE8ElNS0_10empty_typeEbEEZZNS1_14partition_implILS5_8ELb0ES3_jPlPS6_PKS6_NS0_5tupleIJS9_S6_EEENSD_IJSA_SA_EEENS0_18inequality_wrapperIZN2at6native12_GLOBAL__N_124unique_dim_cuda_templateIbEESt5tupleIJNSH_6TensorESM_SM_EERKSM_lbbbEUlllE0_EEPmJS6_EEE10hipError_tPvRmT3_T4_T5_T6_T7_T9_mT8_P12ihipStream_tbDpT10_ENKUlT_T0_E_clISt17integral_constantIbLb0EES1C_EEDaS17_S18_EUlS17_E_NS1_11comp_targetILNS1_3genE9ELNS1_11target_archE1100ELNS1_3gpuE3ELNS1_3repE0EEENS1_30default_config_static_selectorELNS0_4arch9wavefront6targetE0EEEvT1_,"axG",@progbits,_ZN7rocprim17ROCPRIM_400000_NS6detail17trampoline_kernelINS0_14default_configENS1_25partition_config_selectorILNS1_17partition_subalgoE8ElNS0_10empty_typeEbEEZZNS1_14partition_implILS5_8ELb0ES3_jPlPS6_PKS6_NS0_5tupleIJS9_S6_EEENSD_IJSA_SA_EEENS0_18inequality_wrapperIZN2at6native12_GLOBAL__N_124unique_dim_cuda_templateIbEESt5tupleIJNSH_6TensorESM_SM_EERKSM_lbbbEUlllE0_EEPmJS6_EEE10hipError_tPvRmT3_T4_T5_T6_T7_T9_mT8_P12ihipStream_tbDpT10_ENKUlT_T0_E_clISt17integral_constantIbLb0EES1C_EEDaS17_S18_EUlS17_E_NS1_11comp_targetILNS1_3genE9ELNS1_11target_archE1100ELNS1_3gpuE3ELNS1_3repE0EEENS1_30default_config_static_selectorELNS0_4arch9wavefront6targetE0EEEvT1_,comdat
	.globl	_ZN7rocprim17ROCPRIM_400000_NS6detail17trampoline_kernelINS0_14default_configENS1_25partition_config_selectorILNS1_17partition_subalgoE8ElNS0_10empty_typeEbEEZZNS1_14partition_implILS5_8ELb0ES3_jPlPS6_PKS6_NS0_5tupleIJS9_S6_EEENSD_IJSA_SA_EEENS0_18inequality_wrapperIZN2at6native12_GLOBAL__N_124unique_dim_cuda_templateIbEESt5tupleIJNSH_6TensorESM_SM_EERKSM_lbbbEUlllE0_EEPmJS6_EEE10hipError_tPvRmT3_T4_T5_T6_T7_T9_mT8_P12ihipStream_tbDpT10_ENKUlT_T0_E_clISt17integral_constantIbLb0EES1C_EEDaS17_S18_EUlS17_E_NS1_11comp_targetILNS1_3genE9ELNS1_11target_archE1100ELNS1_3gpuE3ELNS1_3repE0EEENS1_30default_config_static_selectorELNS0_4arch9wavefront6targetE0EEEvT1_ ; -- Begin function _ZN7rocprim17ROCPRIM_400000_NS6detail17trampoline_kernelINS0_14default_configENS1_25partition_config_selectorILNS1_17partition_subalgoE8ElNS0_10empty_typeEbEEZZNS1_14partition_implILS5_8ELb0ES3_jPlPS6_PKS6_NS0_5tupleIJS9_S6_EEENSD_IJSA_SA_EEENS0_18inequality_wrapperIZN2at6native12_GLOBAL__N_124unique_dim_cuda_templateIbEESt5tupleIJNSH_6TensorESM_SM_EERKSM_lbbbEUlllE0_EEPmJS6_EEE10hipError_tPvRmT3_T4_T5_T6_T7_T9_mT8_P12ihipStream_tbDpT10_ENKUlT_T0_E_clISt17integral_constantIbLb0EES1C_EEDaS17_S18_EUlS17_E_NS1_11comp_targetILNS1_3genE9ELNS1_11target_archE1100ELNS1_3gpuE3ELNS1_3repE0EEENS1_30default_config_static_selectorELNS0_4arch9wavefront6targetE0EEEvT1_
	.p2align	8
	.type	_ZN7rocprim17ROCPRIM_400000_NS6detail17trampoline_kernelINS0_14default_configENS1_25partition_config_selectorILNS1_17partition_subalgoE8ElNS0_10empty_typeEbEEZZNS1_14partition_implILS5_8ELb0ES3_jPlPS6_PKS6_NS0_5tupleIJS9_S6_EEENSD_IJSA_SA_EEENS0_18inequality_wrapperIZN2at6native12_GLOBAL__N_124unique_dim_cuda_templateIbEESt5tupleIJNSH_6TensorESM_SM_EERKSM_lbbbEUlllE0_EEPmJS6_EEE10hipError_tPvRmT3_T4_T5_T6_T7_T9_mT8_P12ihipStream_tbDpT10_ENKUlT_T0_E_clISt17integral_constantIbLb0EES1C_EEDaS17_S18_EUlS17_E_NS1_11comp_targetILNS1_3genE9ELNS1_11target_archE1100ELNS1_3gpuE3ELNS1_3repE0EEENS1_30default_config_static_selectorELNS0_4arch9wavefront6targetE0EEEvT1_,@function
_ZN7rocprim17ROCPRIM_400000_NS6detail17trampoline_kernelINS0_14default_configENS1_25partition_config_selectorILNS1_17partition_subalgoE8ElNS0_10empty_typeEbEEZZNS1_14partition_implILS5_8ELb0ES3_jPlPS6_PKS6_NS0_5tupleIJS9_S6_EEENSD_IJSA_SA_EEENS0_18inequality_wrapperIZN2at6native12_GLOBAL__N_124unique_dim_cuda_templateIbEESt5tupleIJNSH_6TensorESM_SM_EERKSM_lbbbEUlllE0_EEPmJS6_EEE10hipError_tPvRmT3_T4_T5_T6_T7_T9_mT8_P12ihipStream_tbDpT10_ENKUlT_T0_E_clISt17integral_constantIbLb0EES1C_EEDaS17_S18_EUlS17_E_NS1_11comp_targetILNS1_3genE9ELNS1_11target_archE1100ELNS1_3gpuE3ELNS1_3repE0EEENS1_30default_config_static_selectorELNS0_4arch9wavefront6targetE0EEEvT1_: ; @_ZN7rocprim17ROCPRIM_400000_NS6detail17trampoline_kernelINS0_14default_configENS1_25partition_config_selectorILNS1_17partition_subalgoE8ElNS0_10empty_typeEbEEZZNS1_14partition_implILS5_8ELb0ES3_jPlPS6_PKS6_NS0_5tupleIJS9_S6_EEENSD_IJSA_SA_EEENS0_18inequality_wrapperIZN2at6native12_GLOBAL__N_124unique_dim_cuda_templateIbEESt5tupleIJNSH_6TensorESM_SM_EERKSM_lbbbEUlllE0_EEPmJS6_EEE10hipError_tPvRmT3_T4_T5_T6_T7_T9_mT8_P12ihipStream_tbDpT10_ENKUlT_T0_E_clISt17integral_constantIbLb0EES1C_EEDaS17_S18_EUlS17_E_NS1_11comp_targetILNS1_3genE9ELNS1_11target_archE1100ELNS1_3gpuE3ELNS1_3repE0EEENS1_30default_config_static_selectorELNS0_4arch9wavefront6targetE0EEEvT1_
; %bb.0:
	.section	.rodata,"a",@progbits
	.p2align	6, 0x0
	.amdhsa_kernel _ZN7rocprim17ROCPRIM_400000_NS6detail17trampoline_kernelINS0_14default_configENS1_25partition_config_selectorILNS1_17partition_subalgoE8ElNS0_10empty_typeEbEEZZNS1_14partition_implILS5_8ELb0ES3_jPlPS6_PKS6_NS0_5tupleIJS9_S6_EEENSD_IJSA_SA_EEENS0_18inequality_wrapperIZN2at6native12_GLOBAL__N_124unique_dim_cuda_templateIbEESt5tupleIJNSH_6TensorESM_SM_EERKSM_lbbbEUlllE0_EEPmJS6_EEE10hipError_tPvRmT3_T4_T5_T6_T7_T9_mT8_P12ihipStream_tbDpT10_ENKUlT_T0_E_clISt17integral_constantIbLb0EES1C_EEDaS17_S18_EUlS17_E_NS1_11comp_targetILNS1_3genE9ELNS1_11target_archE1100ELNS1_3gpuE3ELNS1_3repE0EEENS1_30default_config_static_selectorELNS0_4arch9wavefront6targetE0EEEvT1_
		.amdhsa_group_segment_fixed_size 0
		.amdhsa_private_segment_fixed_size 0
		.amdhsa_kernarg_size 120
		.amdhsa_user_sgpr_count 2
		.amdhsa_user_sgpr_dispatch_ptr 0
		.amdhsa_user_sgpr_queue_ptr 0
		.amdhsa_user_sgpr_kernarg_segment_ptr 1
		.amdhsa_user_sgpr_dispatch_id 0
		.amdhsa_user_sgpr_kernarg_preload_length 0
		.amdhsa_user_sgpr_kernarg_preload_offset 0
		.amdhsa_user_sgpr_private_segment_size 0
		.amdhsa_wavefront_size32 1
		.amdhsa_uses_dynamic_stack 0
		.amdhsa_enable_private_segment 0
		.amdhsa_system_sgpr_workgroup_id_x 1
		.amdhsa_system_sgpr_workgroup_id_y 0
		.amdhsa_system_sgpr_workgroup_id_z 0
		.amdhsa_system_sgpr_workgroup_info 0
		.amdhsa_system_vgpr_workitem_id 0
		.amdhsa_next_free_vgpr 1
		.amdhsa_next_free_sgpr 1
		.amdhsa_named_barrier_count 0
		.amdhsa_reserve_vcc 0
		.amdhsa_float_round_mode_32 0
		.amdhsa_float_round_mode_16_64 0
		.amdhsa_float_denorm_mode_32 3
		.amdhsa_float_denorm_mode_16_64 3
		.amdhsa_fp16_overflow 0
		.amdhsa_memory_ordered 1
		.amdhsa_forward_progress 1
		.amdhsa_inst_pref_size 0
		.amdhsa_round_robin_scheduling 0
		.amdhsa_exception_fp_ieee_invalid_op 0
		.amdhsa_exception_fp_denorm_src 0
		.amdhsa_exception_fp_ieee_div_zero 0
		.amdhsa_exception_fp_ieee_overflow 0
		.amdhsa_exception_fp_ieee_underflow 0
		.amdhsa_exception_fp_ieee_inexact 0
		.amdhsa_exception_int_div_zero 0
	.end_amdhsa_kernel
	.section	.text._ZN7rocprim17ROCPRIM_400000_NS6detail17trampoline_kernelINS0_14default_configENS1_25partition_config_selectorILNS1_17partition_subalgoE8ElNS0_10empty_typeEbEEZZNS1_14partition_implILS5_8ELb0ES3_jPlPS6_PKS6_NS0_5tupleIJS9_S6_EEENSD_IJSA_SA_EEENS0_18inequality_wrapperIZN2at6native12_GLOBAL__N_124unique_dim_cuda_templateIbEESt5tupleIJNSH_6TensorESM_SM_EERKSM_lbbbEUlllE0_EEPmJS6_EEE10hipError_tPvRmT3_T4_T5_T6_T7_T9_mT8_P12ihipStream_tbDpT10_ENKUlT_T0_E_clISt17integral_constantIbLb0EES1C_EEDaS17_S18_EUlS17_E_NS1_11comp_targetILNS1_3genE9ELNS1_11target_archE1100ELNS1_3gpuE3ELNS1_3repE0EEENS1_30default_config_static_selectorELNS0_4arch9wavefront6targetE0EEEvT1_,"axG",@progbits,_ZN7rocprim17ROCPRIM_400000_NS6detail17trampoline_kernelINS0_14default_configENS1_25partition_config_selectorILNS1_17partition_subalgoE8ElNS0_10empty_typeEbEEZZNS1_14partition_implILS5_8ELb0ES3_jPlPS6_PKS6_NS0_5tupleIJS9_S6_EEENSD_IJSA_SA_EEENS0_18inequality_wrapperIZN2at6native12_GLOBAL__N_124unique_dim_cuda_templateIbEESt5tupleIJNSH_6TensorESM_SM_EERKSM_lbbbEUlllE0_EEPmJS6_EEE10hipError_tPvRmT3_T4_T5_T6_T7_T9_mT8_P12ihipStream_tbDpT10_ENKUlT_T0_E_clISt17integral_constantIbLb0EES1C_EEDaS17_S18_EUlS17_E_NS1_11comp_targetILNS1_3genE9ELNS1_11target_archE1100ELNS1_3gpuE3ELNS1_3repE0EEENS1_30default_config_static_selectorELNS0_4arch9wavefront6targetE0EEEvT1_,comdat
.Lfunc_end1057:
	.size	_ZN7rocprim17ROCPRIM_400000_NS6detail17trampoline_kernelINS0_14default_configENS1_25partition_config_selectorILNS1_17partition_subalgoE8ElNS0_10empty_typeEbEEZZNS1_14partition_implILS5_8ELb0ES3_jPlPS6_PKS6_NS0_5tupleIJS9_S6_EEENSD_IJSA_SA_EEENS0_18inequality_wrapperIZN2at6native12_GLOBAL__N_124unique_dim_cuda_templateIbEESt5tupleIJNSH_6TensorESM_SM_EERKSM_lbbbEUlllE0_EEPmJS6_EEE10hipError_tPvRmT3_T4_T5_T6_T7_T9_mT8_P12ihipStream_tbDpT10_ENKUlT_T0_E_clISt17integral_constantIbLb0EES1C_EEDaS17_S18_EUlS17_E_NS1_11comp_targetILNS1_3genE9ELNS1_11target_archE1100ELNS1_3gpuE3ELNS1_3repE0EEENS1_30default_config_static_selectorELNS0_4arch9wavefront6targetE0EEEvT1_, .Lfunc_end1057-_ZN7rocprim17ROCPRIM_400000_NS6detail17trampoline_kernelINS0_14default_configENS1_25partition_config_selectorILNS1_17partition_subalgoE8ElNS0_10empty_typeEbEEZZNS1_14partition_implILS5_8ELb0ES3_jPlPS6_PKS6_NS0_5tupleIJS9_S6_EEENSD_IJSA_SA_EEENS0_18inequality_wrapperIZN2at6native12_GLOBAL__N_124unique_dim_cuda_templateIbEESt5tupleIJNSH_6TensorESM_SM_EERKSM_lbbbEUlllE0_EEPmJS6_EEE10hipError_tPvRmT3_T4_T5_T6_T7_T9_mT8_P12ihipStream_tbDpT10_ENKUlT_T0_E_clISt17integral_constantIbLb0EES1C_EEDaS17_S18_EUlS17_E_NS1_11comp_targetILNS1_3genE9ELNS1_11target_archE1100ELNS1_3gpuE3ELNS1_3repE0EEENS1_30default_config_static_selectorELNS0_4arch9wavefront6targetE0EEEvT1_
                                        ; -- End function
	.set _ZN7rocprim17ROCPRIM_400000_NS6detail17trampoline_kernelINS0_14default_configENS1_25partition_config_selectorILNS1_17partition_subalgoE8ElNS0_10empty_typeEbEEZZNS1_14partition_implILS5_8ELb0ES3_jPlPS6_PKS6_NS0_5tupleIJS9_S6_EEENSD_IJSA_SA_EEENS0_18inequality_wrapperIZN2at6native12_GLOBAL__N_124unique_dim_cuda_templateIbEESt5tupleIJNSH_6TensorESM_SM_EERKSM_lbbbEUlllE0_EEPmJS6_EEE10hipError_tPvRmT3_T4_T5_T6_T7_T9_mT8_P12ihipStream_tbDpT10_ENKUlT_T0_E_clISt17integral_constantIbLb0EES1C_EEDaS17_S18_EUlS17_E_NS1_11comp_targetILNS1_3genE9ELNS1_11target_archE1100ELNS1_3gpuE3ELNS1_3repE0EEENS1_30default_config_static_selectorELNS0_4arch9wavefront6targetE0EEEvT1_.num_vgpr, 0
	.set _ZN7rocprim17ROCPRIM_400000_NS6detail17trampoline_kernelINS0_14default_configENS1_25partition_config_selectorILNS1_17partition_subalgoE8ElNS0_10empty_typeEbEEZZNS1_14partition_implILS5_8ELb0ES3_jPlPS6_PKS6_NS0_5tupleIJS9_S6_EEENSD_IJSA_SA_EEENS0_18inequality_wrapperIZN2at6native12_GLOBAL__N_124unique_dim_cuda_templateIbEESt5tupleIJNSH_6TensorESM_SM_EERKSM_lbbbEUlllE0_EEPmJS6_EEE10hipError_tPvRmT3_T4_T5_T6_T7_T9_mT8_P12ihipStream_tbDpT10_ENKUlT_T0_E_clISt17integral_constantIbLb0EES1C_EEDaS17_S18_EUlS17_E_NS1_11comp_targetILNS1_3genE9ELNS1_11target_archE1100ELNS1_3gpuE3ELNS1_3repE0EEENS1_30default_config_static_selectorELNS0_4arch9wavefront6targetE0EEEvT1_.num_agpr, 0
	.set _ZN7rocprim17ROCPRIM_400000_NS6detail17trampoline_kernelINS0_14default_configENS1_25partition_config_selectorILNS1_17partition_subalgoE8ElNS0_10empty_typeEbEEZZNS1_14partition_implILS5_8ELb0ES3_jPlPS6_PKS6_NS0_5tupleIJS9_S6_EEENSD_IJSA_SA_EEENS0_18inequality_wrapperIZN2at6native12_GLOBAL__N_124unique_dim_cuda_templateIbEESt5tupleIJNSH_6TensorESM_SM_EERKSM_lbbbEUlllE0_EEPmJS6_EEE10hipError_tPvRmT3_T4_T5_T6_T7_T9_mT8_P12ihipStream_tbDpT10_ENKUlT_T0_E_clISt17integral_constantIbLb0EES1C_EEDaS17_S18_EUlS17_E_NS1_11comp_targetILNS1_3genE9ELNS1_11target_archE1100ELNS1_3gpuE3ELNS1_3repE0EEENS1_30default_config_static_selectorELNS0_4arch9wavefront6targetE0EEEvT1_.numbered_sgpr, 0
	.set _ZN7rocprim17ROCPRIM_400000_NS6detail17trampoline_kernelINS0_14default_configENS1_25partition_config_selectorILNS1_17partition_subalgoE8ElNS0_10empty_typeEbEEZZNS1_14partition_implILS5_8ELb0ES3_jPlPS6_PKS6_NS0_5tupleIJS9_S6_EEENSD_IJSA_SA_EEENS0_18inequality_wrapperIZN2at6native12_GLOBAL__N_124unique_dim_cuda_templateIbEESt5tupleIJNSH_6TensorESM_SM_EERKSM_lbbbEUlllE0_EEPmJS6_EEE10hipError_tPvRmT3_T4_T5_T6_T7_T9_mT8_P12ihipStream_tbDpT10_ENKUlT_T0_E_clISt17integral_constantIbLb0EES1C_EEDaS17_S18_EUlS17_E_NS1_11comp_targetILNS1_3genE9ELNS1_11target_archE1100ELNS1_3gpuE3ELNS1_3repE0EEENS1_30default_config_static_selectorELNS0_4arch9wavefront6targetE0EEEvT1_.num_named_barrier, 0
	.set _ZN7rocprim17ROCPRIM_400000_NS6detail17trampoline_kernelINS0_14default_configENS1_25partition_config_selectorILNS1_17partition_subalgoE8ElNS0_10empty_typeEbEEZZNS1_14partition_implILS5_8ELb0ES3_jPlPS6_PKS6_NS0_5tupleIJS9_S6_EEENSD_IJSA_SA_EEENS0_18inequality_wrapperIZN2at6native12_GLOBAL__N_124unique_dim_cuda_templateIbEESt5tupleIJNSH_6TensorESM_SM_EERKSM_lbbbEUlllE0_EEPmJS6_EEE10hipError_tPvRmT3_T4_T5_T6_T7_T9_mT8_P12ihipStream_tbDpT10_ENKUlT_T0_E_clISt17integral_constantIbLb0EES1C_EEDaS17_S18_EUlS17_E_NS1_11comp_targetILNS1_3genE9ELNS1_11target_archE1100ELNS1_3gpuE3ELNS1_3repE0EEENS1_30default_config_static_selectorELNS0_4arch9wavefront6targetE0EEEvT1_.private_seg_size, 0
	.set _ZN7rocprim17ROCPRIM_400000_NS6detail17trampoline_kernelINS0_14default_configENS1_25partition_config_selectorILNS1_17partition_subalgoE8ElNS0_10empty_typeEbEEZZNS1_14partition_implILS5_8ELb0ES3_jPlPS6_PKS6_NS0_5tupleIJS9_S6_EEENSD_IJSA_SA_EEENS0_18inequality_wrapperIZN2at6native12_GLOBAL__N_124unique_dim_cuda_templateIbEESt5tupleIJNSH_6TensorESM_SM_EERKSM_lbbbEUlllE0_EEPmJS6_EEE10hipError_tPvRmT3_T4_T5_T6_T7_T9_mT8_P12ihipStream_tbDpT10_ENKUlT_T0_E_clISt17integral_constantIbLb0EES1C_EEDaS17_S18_EUlS17_E_NS1_11comp_targetILNS1_3genE9ELNS1_11target_archE1100ELNS1_3gpuE3ELNS1_3repE0EEENS1_30default_config_static_selectorELNS0_4arch9wavefront6targetE0EEEvT1_.uses_vcc, 0
	.set _ZN7rocprim17ROCPRIM_400000_NS6detail17trampoline_kernelINS0_14default_configENS1_25partition_config_selectorILNS1_17partition_subalgoE8ElNS0_10empty_typeEbEEZZNS1_14partition_implILS5_8ELb0ES3_jPlPS6_PKS6_NS0_5tupleIJS9_S6_EEENSD_IJSA_SA_EEENS0_18inequality_wrapperIZN2at6native12_GLOBAL__N_124unique_dim_cuda_templateIbEESt5tupleIJNSH_6TensorESM_SM_EERKSM_lbbbEUlllE0_EEPmJS6_EEE10hipError_tPvRmT3_T4_T5_T6_T7_T9_mT8_P12ihipStream_tbDpT10_ENKUlT_T0_E_clISt17integral_constantIbLb0EES1C_EEDaS17_S18_EUlS17_E_NS1_11comp_targetILNS1_3genE9ELNS1_11target_archE1100ELNS1_3gpuE3ELNS1_3repE0EEENS1_30default_config_static_selectorELNS0_4arch9wavefront6targetE0EEEvT1_.uses_flat_scratch, 0
	.set _ZN7rocprim17ROCPRIM_400000_NS6detail17trampoline_kernelINS0_14default_configENS1_25partition_config_selectorILNS1_17partition_subalgoE8ElNS0_10empty_typeEbEEZZNS1_14partition_implILS5_8ELb0ES3_jPlPS6_PKS6_NS0_5tupleIJS9_S6_EEENSD_IJSA_SA_EEENS0_18inequality_wrapperIZN2at6native12_GLOBAL__N_124unique_dim_cuda_templateIbEESt5tupleIJNSH_6TensorESM_SM_EERKSM_lbbbEUlllE0_EEPmJS6_EEE10hipError_tPvRmT3_T4_T5_T6_T7_T9_mT8_P12ihipStream_tbDpT10_ENKUlT_T0_E_clISt17integral_constantIbLb0EES1C_EEDaS17_S18_EUlS17_E_NS1_11comp_targetILNS1_3genE9ELNS1_11target_archE1100ELNS1_3gpuE3ELNS1_3repE0EEENS1_30default_config_static_selectorELNS0_4arch9wavefront6targetE0EEEvT1_.has_dyn_sized_stack, 0
	.set _ZN7rocprim17ROCPRIM_400000_NS6detail17trampoline_kernelINS0_14default_configENS1_25partition_config_selectorILNS1_17partition_subalgoE8ElNS0_10empty_typeEbEEZZNS1_14partition_implILS5_8ELb0ES3_jPlPS6_PKS6_NS0_5tupleIJS9_S6_EEENSD_IJSA_SA_EEENS0_18inequality_wrapperIZN2at6native12_GLOBAL__N_124unique_dim_cuda_templateIbEESt5tupleIJNSH_6TensorESM_SM_EERKSM_lbbbEUlllE0_EEPmJS6_EEE10hipError_tPvRmT3_T4_T5_T6_T7_T9_mT8_P12ihipStream_tbDpT10_ENKUlT_T0_E_clISt17integral_constantIbLb0EES1C_EEDaS17_S18_EUlS17_E_NS1_11comp_targetILNS1_3genE9ELNS1_11target_archE1100ELNS1_3gpuE3ELNS1_3repE0EEENS1_30default_config_static_selectorELNS0_4arch9wavefront6targetE0EEEvT1_.has_recursion, 0
	.set _ZN7rocprim17ROCPRIM_400000_NS6detail17trampoline_kernelINS0_14default_configENS1_25partition_config_selectorILNS1_17partition_subalgoE8ElNS0_10empty_typeEbEEZZNS1_14partition_implILS5_8ELb0ES3_jPlPS6_PKS6_NS0_5tupleIJS9_S6_EEENSD_IJSA_SA_EEENS0_18inequality_wrapperIZN2at6native12_GLOBAL__N_124unique_dim_cuda_templateIbEESt5tupleIJNSH_6TensorESM_SM_EERKSM_lbbbEUlllE0_EEPmJS6_EEE10hipError_tPvRmT3_T4_T5_T6_T7_T9_mT8_P12ihipStream_tbDpT10_ENKUlT_T0_E_clISt17integral_constantIbLb0EES1C_EEDaS17_S18_EUlS17_E_NS1_11comp_targetILNS1_3genE9ELNS1_11target_archE1100ELNS1_3gpuE3ELNS1_3repE0EEENS1_30default_config_static_selectorELNS0_4arch9wavefront6targetE0EEEvT1_.has_indirect_call, 0
	.section	.AMDGPU.csdata,"",@progbits
; Kernel info:
; codeLenInByte = 0
; TotalNumSgprs: 0
; NumVgprs: 0
; ScratchSize: 0
; MemoryBound: 0
; FloatMode: 240
; IeeeMode: 1
; LDSByteSize: 0 bytes/workgroup (compile time only)
; SGPRBlocks: 0
; VGPRBlocks: 0
; NumSGPRsForWavesPerEU: 1
; NumVGPRsForWavesPerEU: 1
; NamedBarCnt: 0
; Occupancy: 16
; WaveLimiterHint : 0
; COMPUTE_PGM_RSRC2:SCRATCH_EN: 0
; COMPUTE_PGM_RSRC2:USER_SGPR: 2
; COMPUTE_PGM_RSRC2:TRAP_HANDLER: 0
; COMPUTE_PGM_RSRC2:TGID_X_EN: 1
; COMPUTE_PGM_RSRC2:TGID_Y_EN: 0
; COMPUTE_PGM_RSRC2:TGID_Z_EN: 0
; COMPUTE_PGM_RSRC2:TIDIG_COMP_CNT: 0
	.section	.text._ZN7rocprim17ROCPRIM_400000_NS6detail17trampoline_kernelINS0_14default_configENS1_25partition_config_selectorILNS1_17partition_subalgoE8ElNS0_10empty_typeEbEEZZNS1_14partition_implILS5_8ELb0ES3_jPlPS6_PKS6_NS0_5tupleIJS9_S6_EEENSD_IJSA_SA_EEENS0_18inequality_wrapperIZN2at6native12_GLOBAL__N_124unique_dim_cuda_templateIbEESt5tupleIJNSH_6TensorESM_SM_EERKSM_lbbbEUlllE0_EEPmJS6_EEE10hipError_tPvRmT3_T4_T5_T6_T7_T9_mT8_P12ihipStream_tbDpT10_ENKUlT_T0_E_clISt17integral_constantIbLb0EES1C_EEDaS17_S18_EUlS17_E_NS1_11comp_targetILNS1_3genE8ELNS1_11target_archE1030ELNS1_3gpuE2ELNS1_3repE0EEENS1_30default_config_static_selectorELNS0_4arch9wavefront6targetE0EEEvT1_,"axG",@progbits,_ZN7rocprim17ROCPRIM_400000_NS6detail17trampoline_kernelINS0_14default_configENS1_25partition_config_selectorILNS1_17partition_subalgoE8ElNS0_10empty_typeEbEEZZNS1_14partition_implILS5_8ELb0ES3_jPlPS6_PKS6_NS0_5tupleIJS9_S6_EEENSD_IJSA_SA_EEENS0_18inequality_wrapperIZN2at6native12_GLOBAL__N_124unique_dim_cuda_templateIbEESt5tupleIJNSH_6TensorESM_SM_EERKSM_lbbbEUlllE0_EEPmJS6_EEE10hipError_tPvRmT3_T4_T5_T6_T7_T9_mT8_P12ihipStream_tbDpT10_ENKUlT_T0_E_clISt17integral_constantIbLb0EES1C_EEDaS17_S18_EUlS17_E_NS1_11comp_targetILNS1_3genE8ELNS1_11target_archE1030ELNS1_3gpuE2ELNS1_3repE0EEENS1_30default_config_static_selectorELNS0_4arch9wavefront6targetE0EEEvT1_,comdat
	.globl	_ZN7rocprim17ROCPRIM_400000_NS6detail17trampoline_kernelINS0_14default_configENS1_25partition_config_selectorILNS1_17partition_subalgoE8ElNS0_10empty_typeEbEEZZNS1_14partition_implILS5_8ELb0ES3_jPlPS6_PKS6_NS0_5tupleIJS9_S6_EEENSD_IJSA_SA_EEENS0_18inequality_wrapperIZN2at6native12_GLOBAL__N_124unique_dim_cuda_templateIbEESt5tupleIJNSH_6TensorESM_SM_EERKSM_lbbbEUlllE0_EEPmJS6_EEE10hipError_tPvRmT3_T4_T5_T6_T7_T9_mT8_P12ihipStream_tbDpT10_ENKUlT_T0_E_clISt17integral_constantIbLb0EES1C_EEDaS17_S18_EUlS17_E_NS1_11comp_targetILNS1_3genE8ELNS1_11target_archE1030ELNS1_3gpuE2ELNS1_3repE0EEENS1_30default_config_static_selectorELNS0_4arch9wavefront6targetE0EEEvT1_ ; -- Begin function _ZN7rocprim17ROCPRIM_400000_NS6detail17trampoline_kernelINS0_14default_configENS1_25partition_config_selectorILNS1_17partition_subalgoE8ElNS0_10empty_typeEbEEZZNS1_14partition_implILS5_8ELb0ES3_jPlPS6_PKS6_NS0_5tupleIJS9_S6_EEENSD_IJSA_SA_EEENS0_18inequality_wrapperIZN2at6native12_GLOBAL__N_124unique_dim_cuda_templateIbEESt5tupleIJNSH_6TensorESM_SM_EERKSM_lbbbEUlllE0_EEPmJS6_EEE10hipError_tPvRmT3_T4_T5_T6_T7_T9_mT8_P12ihipStream_tbDpT10_ENKUlT_T0_E_clISt17integral_constantIbLb0EES1C_EEDaS17_S18_EUlS17_E_NS1_11comp_targetILNS1_3genE8ELNS1_11target_archE1030ELNS1_3gpuE2ELNS1_3repE0EEENS1_30default_config_static_selectorELNS0_4arch9wavefront6targetE0EEEvT1_
	.p2align	8
	.type	_ZN7rocprim17ROCPRIM_400000_NS6detail17trampoline_kernelINS0_14default_configENS1_25partition_config_selectorILNS1_17partition_subalgoE8ElNS0_10empty_typeEbEEZZNS1_14partition_implILS5_8ELb0ES3_jPlPS6_PKS6_NS0_5tupleIJS9_S6_EEENSD_IJSA_SA_EEENS0_18inequality_wrapperIZN2at6native12_GLOBAL__N_124unique_dim_cuda_templateIbEESt5tupleIJNSH_6TensorESM_SM_EERKSM_lbbbEUlllE0_EEPmJS6_EEE10hipError_tPvRmT3_T4_T5_T6_T7_T9_mT8_P12ihipStream_tbDpT10_ENKUlT_T0_E_clISt17integral_constantIbLb0EES1C_EEDaS17_S18_EUlS17_E_NS1_11comp_targetILNS1_3genE8ELNS1_11target_archE1030ELNS1_3gpuE2ELNS1_3repE0EEENS1_30default_config_static_selectorELNS0_4arch9wavefront6targetE0EEEvT1_,@function
_ZN7rocprim17ROCPRIM_400000_NS6detail17trampoline_kernelINS0_14default_configENS1_25partition_config_selectorILNS1_17partition_subalgoE8ElNS0_10empty_typeEbEEZZNS1_14partition_implILS5_8ELb0ES3_jPlPS6_PKS6_NS0_5tupleIJS9_S6_EEENSD_IJSA_SA_EEENS0_18inequality_wrapperIZN2at6native12_GLOBAL__N_124unique_dim_cuda_templateIbEESt5tupleIJNSH_6TensorESM_SM_EERKSM_lbbbEUlllE0_EEPmJS6_EEE10hipError_tPvRmT3_T4_T5_T6_T7_T9_mT8_P12ihipStream_tbDpT10_ENKUlT_T0_E_clISt17integral_constantIbLb0EES1C_EEDaS17_S18_EUlS17_E_NS1_11comp_targetILNS1_3genE8ELNS1_11target_archE1030ELNS1_3gpuE2ELNS1_3repE0EEENS1_30default_config_static_selectorELNS0_4arch9wavefront6targetE0EEEvT1_: ; @_ZN7rocprim17ROCPRIM_400000_NS6detail17trampoline_kernelINS0_14default_configENS1_25partition_config_selectorILNS1_17partition_subalgoE8ElNS0_10empty_typeEbEEZZNS1_14partition_implILS5_8ELb0ES3_jPlPS6_PKS6_NS0_5tupleIJS9_S6_EEENSD_IJSA_SA_EEENS0_18inequality_wrapperIZN2at6native12_GLOBAL__N_124unique_dim_cuda_templateIbEESt5tupleIJNSH_6TensorESM_SM_EERKSM_lbbbEUlllE0_EEPmJS6_EEE10hipError_tPvRmT3_T4_T5_T6_T7_T9_mT8_P12ihipStream_tbDpT10_ENKUlT_T0_E_clISt17integral_constantIbLb0EES1C_EEDaS17_S18_EUlS17_E_NS1_11comp_targetILNS1_3genE8ELNS1_11target_archE1030ELNS1_3gpuE2ELNS1_3repE0EEENS1_30default_config_static_selectorELNS0_4arch9wavefront6targetE0EEEvT1_
; %bb.0:
	.section	.rodata,"a",@progbits
	.p2align	6, 0x0
	.amdhsa_kernel _ZN7rocprim17ROCPRIM_400000_NS6detail17trampoline_kernelINS0_14default_configENS1_25partition_config_selectorILNS1_17partition_subalgoE8ElNS0_10empty_typeEbEEZZNS1_14partition_implILS5_8ELb0ES3_jPlPS6_PKS6_NS0_5tupleIJS9_S6_EEENSD_IJSA_SA_EEENS0_18inequality_wrapperIZN2at6native12_GLOBAL__N_124unique_dim_cuda_templateIbEESt5tupleIJNSH_6TensorESM_SM_EERKSM_lbbbEUlllE0_EEPmJS6_EEE10hipError_tPvRmT3_T4_T5_T6_T7_T9_mT8_P12ihipStream_tbDpT10_ENKUlT_T0_E_clISt17integral_constantIbLb0EES1C_EEDaS17_S18_EUlS17_E_NS1_11comp_targetILNS1_3genE8ELNS1_11target_archE1030ELNS1_3gpuE2ELNS1_3repE0EEENS1_30default_config_static_selectorELNS0_4arch9wavefront6targetE0EEEvT1_
		.amdhsa_group_segment_fixed_size 0
		.amdhsa_private_segment_fixed_size 0
		.amdhsa_kernarg_size 120
		.amdhsa_user_sgpr_count 2
		.amdhsa_user_sgpr_dispatch_ptr 0
		.amdhsa_user_sgpr_queue_ptr 0
		.amdhsa_user_sgpr_kernarg_segment_ptr 1
		.amdhsa_user_sgpr_dispatch_id 0
		.amdhsa_user_sgpr_kernarg_preload_length 0
		.amdhsa_user_sgpr_kernarg_preload_offset 0
		.amdhsa_user_sgpr_private_segment_size 0
		.amdhsa_wavefront_size32 1
		.amdhsa_uses_dynamic_stack 0
		.amdhsa_enable_private_segment 0
		.amdhsa_system_sgpr_workgroup_id_x 1
		.amdhsa_system_sgpr_workgroup_id_y 0
		.amdhsa_system_sgpr_workgroup_id_z 0
		.amdhsa_system_sgpr_workgroup_info 0
		.amdhsa_system_vgpr_workitem_id 0
		.amdhsa_next_free_vgpr 1
		.amdhsa_next_free_sgpr 1
		.amdhsa_named_barrier_count 0
		.amdhsa_reserve_vcc 0
		.amdhsa_float_round_mode_32 0
		.amdhsa_float_round_mode_16_64 0
		.amdhsa_float_denorm_mode_32 3
		.amdhsa_float_denorm_mode_16_64 3
		.amdhsa_fp16_overflow 0
		.amdhsa_memory_ordered 1
		.amdhsa_forward_progress 1
		.amdhsa_inst_pref_size 0
		.amdhsa_round_robin_scheduling 0
		.amdhsa_exception_fp_ieee_invalid_op 0
		.amdhsa_exception_fp_denorm_src 0
		.amdhsa_exception_fp_ieee_div_zero 0
		.amdhsa_exception_fp_ieee_overflow 0
		.amdhsa_exception_fp_ieee_underflow 0
		.amdhsa_exception_fp_ieee_inexact 0
		.amdhsa_exception_int_div_zero 0
	.end_amdhsa_kernel
	.section	.text._ZN7rocprim17ROCPRIM_400000_NS6detail17trampoline_kernelINS0_14default_configENS1_25partition_config_selectorILNS1_17partition_subalgoE8ElNS0_10empty_typeEbEEZZNS1_14partition_implILS5_8ELb0ES3_jPlPS6_PKS6_NS0_5tupleIJS9_S6_EEENSD_IJSA_SA_EEENS0_18inequality_wrapperIZN2at6native12_GLOBAL__N_124unique_dim_cuda_templateIbEESt5tupleIJNSH_6TensorESM_SM_EERKSM_lbbbEUlllE0_EEPmJS6_EEE10hipError_tPvRmT3_T4_T5_T6_T7_T9_mT8_P12ihipStream_tbDpT10_ENKUlT_T0_E_clISt17integral_constantIbLb0EES1C_EEDaS17_S18_EUlS17_E_NS1_11comp_targetILNS1_3genE8ELNS1_11target_archE1030ELNS1_3gpuE2ELNS1_3repE0EEENS1_30default_config_static_selectorELNS0_4arch9wavefront6targetE0EEEvT1_,"axG",@progbits,_ZN7rocprim17ROCPRIM_400000_NS6detail17trampoline_kernelINS0_14default_configENS1_25partition_config_selectorILNS1_17partition_subalgoE8ElNS0_10empty_typeEbEEZZNS1_14partition_implILS5_8ELb0ES3_jPlPS6_PKS6_NS0_5tupleIJS9_S6_EEENSD_IJSA_SA_EEENS0_18inequality_wrapperIZN2at6native12_GLOBAL__N_124unique_dim_cuda_templateIbEESt5tupleIJNSH_6TensorESM_SM_EERKSM_lbbbEUlllE0_EEPmJS6_EEE10hipError_tPvRmT3_T4_T5_T6_T7_T9_mT8_P12ihipStream_tbDpT10_ENKUlT_T0_E_clISt17integral_constantIbLb0EES1C_EEDaS17_S18_EUlS17_E_NS1_11comp_targetILNS1_3genE8ELNS1_11target_archE1030ELNS1_3gpuE2ELNS1_3repE0EEENS1_30default_config_static_selectorELNS0_4arch9wavefront6targetE0EEEvT1_,comdat
.Lfunc_end1058:
	.size	_ZN7rocprim17ROCPRIM_400000_NS6detail17trampoline_kernelINS0_14default_configENS1_25partition_config_selectorILNS1_17partition_subalgoE8ElNS0_10empty_typeEbEEZZNS1_14partition_implILS5_8ELb0ES3_jPlPS6_PKS6_NS0_5tupleIJS9_S6_EEENSD_IJSA_SA_EEENS0_18inequality_wrapperIZN2at6native12_GLOBAL__N_124unique_dim_cuda_templateIbEESt5tupleIJNSH_6TensorESM_SM_EERKSM_lbbbEUlllE0_EEPmJS6_EEE10hipError_tPvRmT3_T4_T5_T6_T7_T9_mT8_P12ihipStream_tbDpT10_ENKUlT_T0_E_clISt17integral_constantIbLb0EES1C_EEDaS17_S18_EUlS17_E_NS1_11comp_targetILNS1_3genE8ELNS1_11target_archE1030ELNS1_3gpuE2ELNS1_3repE0EEENS1_30default_config_static_selectorELNS0_4arch9wavefront6targetE0EEEvT1_, .Lfunc_end1058-_ZN7rocprim17ROCPRIM_400000_NS6detail17trampoline_kernelINS0_14default_configENS1_25partition_config_selectorILNS1_17partition_subalgoE8ElNS0_10empty_typeEbEEZZNS1_14partition_implILS5_8ELb0ES3_jPlPS6_PKS6_NS0_5tupleIJS9_S6_EEENSD_IJSA_SA_EEENS0_18inequality_wrapperIZN2at6native12_GLOBAL__N_124unique_dim_cuda_templateIbEESt5tupleIJNSH_6TensorESM_SM_EERKSM_lbbbEUlllE0_EEPmJS6_EEE10hipError_tPvRmT3_T4_T5_T6_T7_T9_mT8_P12ihipStream_tbDpT10_ENKUlT_T0_E_clISt17integral_constantIbLb0EES1C_EEDaS17_S18_EUlS17_E_NS1_11comp_targetILNS1_3genE8ELNS1_11target_archE1030ELNS1_3gpuE2ELNS1_3repE0EEENS1_30default_config_static_selectorELNS0_4arch9wavefront6targetE0EEEvT1_
                                        ; -- End function
	.set _ZN7rocprim17ROCPRIM_400000_NS6detail17trampoline_kernelINS0_14default_configENS1_25partition_config_selectorILNS1_17partition_subalgoE8ElNS0_10empty_typeEbEEZZNS1_14partition_implILS5_8ELb0ES3_jPlPS6_PKS6_NS0_5tupleIJS9_S6_EEENSD_IJSA_SA_EEENS0_18inequality_wrapperIZN2at6native12_GLOBAL__N_124unique_dim_cuda_templateIbEESt5tupleIJNSH_6TensorESM_SM_EERKSM_lbbbEUlllE0_EEPmJS6_EEE10hipError_tPvRmT3_T4_T5_T6_T7_T9_mT8_P12ihipStream_tbDpT10_ENKUlT_T0_E_clISt17integral_constantIbLb0EES1C_EEDaS17_S18_EUlS17_E_NS1_11comp_targetILNS1_3genE8ELNS1_11target_archE1030ELNS1_3gpuE2ELNS1_3repE0EEENS1_30default_config_static_selectorELNS0_4arch9wavefront6targetE0EEEvT1_.num_vgpr, 0
	.set _ZN7rocprim17ROCPRIM_400000_NS6detail17trampoline_kernelINS0_14default_configENS1_25partition_config_selectorILNS1_17partition_subalgoE8ElNS0_10empty_typeEbEEZZNS1_14partition_implILS5_8ELb0ES3_jPlPS6_PKS6_NS0_5tupleIJS9_S6_EEENSD_IJSA_SA_EEENS0_18inequality_wrapperIZN2at6native12_GLOBAL__N_124unique_dim_cuda_templateIbEESt5tupleIJNSH_6TensorESM_SM_EERKSM_lbbbEUlllE0_EEPmJS6_EEE10hipError_tPvRmT3_T4_T5_T6_T7_T9_mT8_P12ihipStream_tbDpT10_ENKUlT_T0_E_clISt17integral_constantIbLb0EES1C_EEDaS17_S18_EUlS17_E_NS1_11comp_targetILNS1_3genE8ELNS1_11target_archE1030ELNS1_3gpuE2ELNS1_3repE0EEENS1_30default_config_static_selectorELNS0_4arch9wavefront6targetE0EEEvT1_.num_agpr, 0
	.set _ZN7rocprim17ROCPRIM_400000_NS6detail17trampoline_kernelINS0_14default_configENS1_25partition_config_selectorILNS1_17partition_subalgoE8ElNS0_10empty_typeEbEEZZNS1_14partition_implILS5_8ELb0ES3_jPlPS6_PKS6_NS0_5tupleIJS9_S6_EEENSD_IJSA_SA_EEENS0_18inequality_wrapperIZN2at6native12_GLOBAL__N_124unique_dim_cuda_templateIbEESt5tupleIJNSH_6TensorESM_SM_EERKSM_lbbbEUlllE0_EEPmJS6_EEE10hipError_tPvRmT3_T4_T5_T6_T7_T9_mT8_P12ihipStream_tbDpT10_ENKUlT_T0_E_clISt17integral_constantIbLb0EES1C_EEDaS17_S18_EUlS17_E_NS1_11comp_targetILNS1_3genE8ELNS1_11target_archE1030ELNS1_3gpuE2ELNS1_3repE0EEENS1_30default_config_static_selectorELNS0_4arch9wavefront6targetE0EEEvT1_.numbered_sgpr, 0
	.set _ZN7rocprim17ROCPRIM_400000_NS6detail17trampoline_kernelINS0_14default_configENS1_25partition_config_selectorILNS1_17partition_subalgoE8ElNS0_10empty_typeEbEEZZNS1_14partition_implILS5_8ELb0ES3_jPlPS6_PKS6_NS0_5tupleIJS9_S6_EEENSD_IJSA_SA_EEENS0_18inequality_wrapperIZN2at6native12_GLOBAL__N_124unique_dim_cuda_templateIbEESt5tupleIJNSH_6TensorESM_SM_EERKSM_lbbbEUlllE0_EEPmJS6_EEE10hipError_tPvRmT3_T4_T5_T6_T7_T9_mT8_P12ihipStream_tbDpT10_ENKUlT_T0_E_clISt17integral_constantIbLb0EES1C_EEDaS17_S18_EUlS17_E_NS1_11comp_targetILNS1_3genE8ELNS1_11target_archE1030ELNS1_3gpuE2ELNS1_3repE0EEENS1_30default_config_static_selectorELNS0_4arch9wavefront6targetE0EEEvT1_.num_named_barrier, 0
	.set _ZN7rocprim17ROCPRIM_400000_NS6detail17trampoline_kernelINS0_14default_configENS1_25partition_config_selectorILNS1_17partition_subalgoE8ElNS0_10empty_typeEbEEZZNS1_14partition_implILS5_8ELb0ES3_jPlPS6_PKS6_NS0_5tupleIJS9_S6_EEENSD_IJSA_SA_EEENS0_18inequality_wrapperIZN2at6native12_GLOBAL__N_124unique_dim_cuda_templateIbEESt5tupleIJNSH_6TensorESM_SM_EERKSM_lbbbEUlllE0_EEPmJS6_EEE10hipError_tPvRmT3_T4_T5_T6_T7_T9_mT8_P12ihipStream_tbDpT10_ENKUlT_T0_E_clISt17integral_constantIbLb0EES1C_EEDaS17_S18_EUlS17_E_NS1_11comp_targetILNS1_3genE8ELNS1_11target_archE1030ELNS1_3gpuE2ELNS1_3repE0EEENS1_30default_config_static_selectorELNS0_4arch9wavefront6targetE0EEEvT1_.private_seg_size, 0
	.set _ZN7rocprim17ROCPRIM_400000_NS6detail17trampoline_kernelINS0_14default_configENS1_25partition_config_selectorILNS1_17partition_subalgoE8ElNS0_10empty_typeEbEEZZNS1_14partition_implILS5_8ELb0ES3_jPlPS6_PKS6_NS0_5tupleIJS9_S6_EEENSD_IJSA_SA_EEENS0_18inequality_wrapperIZN2at6native12_GLOBAL__N_124unique_dim_cuda_templateIbEESt5tupleIJNSH_6TensorESM_SM_EERKSM_lbbbEUlllE0_EEPmJS6_EEE10hipError_tPvRmT3_T4_T5_T6_T7_T9_mT8_P12ihipStream_tbDpT10_ENKUlT_T0_E_clISt17integral_constantIbLb0EES1C_EEDaS17_S18_EUlS17_E_NS1_11comp_targetILNS1_3genE8ELNS1_11target_archE1030ELNS1_3gpuE2ELNS1_3repE0EEENS1_30default_config_static_selectorELNS0_4arch9wavefront6targetE0EEEvT1_.uses_vcc, 0
	.set _ZN7rocprim17ROCPRIM_400000_NS6detail17trampoline_kernelINS0_14default_configENS1_25partition_config_selectorILNS1_17partition_subalgoE8ElNS0_10empty_typeEbEEZZNS1_14partition_implILS5_8ELb0ES3_jPlPS6_PKS6_NS0_5tupleIJS9_S6_EEENSD_IJSA_SA_EEENS0_18inequality_wrapperIZN2at6native12_GLOBAL__N_124unique_dim_cuda_templateIbEESt5tupleIJNSH_6TensorESM_SM_EERKSM_lbbbEUlllE0_EEPmJS6_EEE10hipError_tPvRmT3_T4_T5_T6_T7_T9_mT8_P12ihipStream_tbDpT10_ENKUlT_T0_E_clISt17integral_constantIbLb0EES1C_EEDaS17_S18_EUlS17_E_NS1_11comp_targetILNS1_3genE8ELNS1_11target_archE1030ELNS1_3gpuE2ELNS1_3repE0EEENS1_30default_config_static_selectorELNS0_4arch9wavefront6targetE0EEEvT1_.uses_flat_scratch, 0
	.set _ZN7rocprim17ROCPRIM_400000_NS6detail17trampoline_kernelINS0_14default_configENS1_25partition_config_selectorILNS1_17partition_subalgoE8ElNS0_10empty_typeEbEEZZNS1_14partition_implILS5_8ELb0ES3_jPlPS6_PKS6_NS0_5tupleIJS9_S6_EEENSD_IJSA_SA_EEENS0_18inequality_wrapperIZN2at6native12_GLOBAL__N_124unique_dim_cuda_templateIbEESt5tupleIJNSH_6TensorESM_SM_EERKSM_lbbbEUlllE0_EEPmJS6_EEE10hipError_tPvRmT3_T4_T5_T6_T7_T9_mT8_P12ihipStream_tbDpT10_ENKUlT_T0_E_clISt17integral_constantIbLb0EES1C_EEDaS17_S18_EUlS17_E_NS1_11comp_targetILNS1_3genE8ELNS1_11target_archE1030ELNS1_3gpuE2ELNS1_3repE0EEENS1_30default_config_static_selectorELNS0_4arch9wavefront6targetE0EEEvT1_.has_dyn_sized_stack, 0
	.set _ZN7rocprim17ROCPRIM_400000_NS6detail17trampoline_kernelINS0_14default_configENS1_25partition_config_selectorILNS1_17partition_subalgoE8ElNS0_10empty_typeEbEEZZNS1_14partition_implILS5_8ELb0ES3_jPlPS6_PKS6_NS0_5tupleIJS9_S6_EEENSD_IJSA_SA_EEENS0_18inequality_wrapperIZN2at6native12_GLOBAL__N_124unique_dim_cuda_templateIbEESt5tupleIJNSH_6TensorESM_SM_EERKSM_lbbbEUlllE0_EEPmJS6_EEE10hipError_tPvRmT3_T4_T5_T6_T7_T9_mT8_P12ihipStream_tbDpT10_ENKUlT_T0_E_clISt17integral_constantIbLb0EES1C_EEDaS17_S18_EUlS17_E_NS1_11comp_targetILNS1_3genE8ELNS1_11target_archE1030ELNS1_3gpuE2ELNS1_3repE0EEENS1_30default_config_static_selectorELNS0_4arch9wavefront6targetE0EEEvT1_.has_recursion, 0
	.set _ZN7rocprim17ROCPRIM_400000_NS6detail17trampoline_kernelINS0_14default_configENS1_25partition_config_selectorILNS1_17partition_subalgoE8ElNS0_10empty_typeEbEEZZNS1_14partition_implILS5_8ELb0ES3_jPlPS6_PKS6_NS0_5tupleIJS9_S6_EEENSD_IJSA_SA_EEENS0_18inequality_wrapperIZN2at6native12_GLOBAL__N_124unique_dim_cuda_templateIbEESt5tupleIJNSH_6TensorESM_SM_EERKSM_lbbbEUlllE0_EEPmJS6_EEE10hipError_tPvRmT3_T4_T5_T6_T7_T9_mT8_P12ihipStream_tbDpT10_ENKUlT_T0_E_clISt17integral_constantIbLb0EES1C_EEDaS17_S18_EUlS17_E_NS1_11comp_targetILNS1_3genE8ELNS1_11target_archE1030ELNS1_3gpuE2ELNS1_3repE0EEENS1_30default_config_static_selectorELNS0_4arch9wavefront6targetE0EEEvT1_.has_indirect_call, 0
	.section	.AMDGPU.csdata,"",@progbits
; Kernel info:
; codeLenInByte = 0
; TotalNumSgprs: 0
; NumVgprs: 0
; ScratchSize: 0
; MemoryBound: 0
; FloatMode: 240
; IeeeMode: 1
; LDSByteSize: 0 bytes/workgroup (compile time only)
; SGPRBlocks: 0
; VGPRBlocks: 0
; NumSGPRsForWavesPerEU: 1
; NumVGPRsForWavesPerEU: 1
; NamedBarCnt: 0
; Occupancy: 16
; WaveLimiterHint : 0
; COMPUTE_PGM_RSRC2:SCRATCH_EN: 0
; COMPUTE_PGM_RSRC2:USER_SGPR: 2
; COMPUTE_PGM_RSRC2:TRAP_HANDLER: 0
; COMPUTE_PGM_RSRC2:TGID_X_EN: 1
; COMPUTE_PGM_RSRC2:TGID_Y_EN: 0
; COMPUTE_PGM_RSRC2:TGID_Z_EN: 0
; COMPUTE_PGM_RSRC2:TIDIG_COMP_CNT: 0
	.section	.text._ZN7rocprim17ROCPRIM_400000_NS6detail17trampoline_kernelINS0_14default_configENS1_25partition_config_selectorILNS1_17partition_subalgoE8ElNS0_10empty_typeEbEEZZNS1_14partition_implILS5_8ELb0ES3_jPlPS6_PKS6_NS0_5tupleIJS9_S6_EEENSD_IJSA_SA_EEENS0_18inequality_wrapperIZN2at6native12_GLOBAL__N_124unique_dim_cuda_templateIbEESt5tupleIJNSH_6TensorESM_SM_EERKSM_lbbbEUlllE0_EEPmJS6_EEE10hipError_tPvRmT3_T4_T5_T6_T7_T9_mT8_P12ihipStream_tbDpT10_ENKUlT_T0_E_clISt17integral_constantIbLb1EES1C_EEDaS17_S18_EUlS17_E_NS1_11comp_targetILNS1_3genE0ELNS1_11target_archE4294967295ELNS1_3gpuE0ELNS1_3repE0EEENS1_30default_config_static_selectorELNS0_4arch9wavefront6targetE0EEEvT1_,"axG",@progbits,_ZN7rocprim17ROCPRIM_400000_NS6detail17trampoline_kernelINS0_14default_configENS1_25partition_config_selectorILNS1_17partition_subalgoE8ElNS0_10empty_typeEbEEZZNS1_14partition_implILS5_8ELb0ES3_jPlPS6_PKS6_NS0_5tupleIJS9_S6_EEENSD_IJSA_SA_EEENS0_18inequality_wrapperIZN2at6native12_GLOBAL__N_124unique_dim_cuda_templateIbEESt5tupleIJNSH_6TensorESM_SM_EERKSM_lbbbEUlllE0_EEPmJS6_EEE10hipError_tPvRmT3_T4_T5_T6_T7_T9_mT8_P12ihipStream_tbDpT10_ENKUlT_T0_E_clISt17integral_constantIbLb1EES1C_EEDaS17_S18_EUlS17_E_NS1_11comp_targetILNS1_3genE0ELNS1_11target_archE4294967295ELNS1_3gpuE0ELNS1_3repE0EEENS1_30default_config_static_selectorELNS0_4arch9wavefront6targetE0EEEvT1_,comdat
	.globl	_ZN7rocprim17ROCPRIM_400000_NS6detail17trampoline_kernelINS0_14default_configENS1_25partition_config_selectorILNS1_17partition_subalgoE8ElNS0_10empty_typeEbEEZZNS1_14partition_implILS5_8ELb0ES3_jPlPS6_PKS6_NS0_5tupleIJS9_S6_EEENSD_IJSA_SA_EEENS0_18inequality_wrapperIZN2at6native12_GLOBAL__N_124unique_dim_cuda_templateIbEESt5tupleIJNSH_6TensorESM_SM_EERKSM_lbbbEUlllE0_EEPmJS6_EEE10hipError_tPvRmT3_T4_T5_T6_T7_T9_mT8_P12ihipStream_tbDpT10_ENKUlT_T0_E_clISt17integral_constantIbLb1EES1C_EEDaS17_S18_EUlS17_E_NS1_11comp_targetILNS1_3genE0ELNS1_11target_archE4294967295ELNS1_3gpuE0ELNS1_3repE0EEENS1_30default_config_static_selectorELNS0_4arch9wavefront6targetE0EEEvT1_ ; -- Begin function _ZN7rocprim17ROCPRIM_400000_NS6detail17trampoline_kernelINS0_14default_configENS1_25partition_config_selectorILNS1_17partition_subalgoE8ElNS0_10empty_typeEbEEZZNS1_14partition_implILS5_8ELb0ES3_jPlPS6_PKS6_NS0_5tupleIJS9_S6_EEENSD_IJSA_SA_EEENS0_18inequality_wrapperIZN2at6native12_GLOBAL__N_124unique_dim_cuda_templateIbEESt5tupleIJNSH_6TensorESM_SM_EERKSM_lbbbEUlllE0_EEPmJS6_EEE10hipError_tPvRmT3_T4_T5_T6_T7_T9_mT8_P12ihipStream_tbDpT10_ENKUlT_T0_E_clISt17integral_constantIbLb1EES1C_EEDaS17_S18_EUlS17_E_NS1_11comp_targetILNS1_3genE0ELNS1_11target_archE4294967295ELNS1_3gpuE0ELNS1_3repE0EEENS1_30default_config_static_selectorELNS0_4arch9wavefront6targetE0EEEvT1_
	.p2align	8
	.type	_ZN7rocprim17ROCPRIM_400000_NS6detail17trampoline_kernelINS0_14default_configENS1_25partition_config_selectorILNS1_17partition_subalgoE8ElNS0_10empty_typeEbEEZZNS1_14partition_implILS5_8ELb0ES3_jPlPS6_PKS6_NS0_5tupleIJS9_S6_EEENSD_IJSA_SA_EEENS0_18inequality_wrapperIZN2at6native12_GLOBAL__N_124unique_dim_cuda_templateIbEESt5tupleIJNSH_6TensorESM_SM_EERKSM_lbbbEUlllE0_EEPmJS6_EEE10hipError_tPvRmT3_T4_T5_T6_T7_T9_mT8_P12ihipStream_tbDpT10_ENKUlT_T0_E_clISt17integral_constantIbLb1EES1C_EEDaS17_S18_EUlS17_E_NS1_11comp_targetILNS1_3genE0ELNS1_11target_archE4294967295ELNS1_3gpuE0ELNS1_3repE0EEENS1_30default_config_static_selectorELNS0_4arch9wavefront6targetE0EEEvT1_,@function
_ZN7rocprim17ROCPRIM_400000_NS6detail17trampoline_kernelINS0_14default_configENS1_25partition_config_selectorILNS1_17partition_subalgoE8ElNS0_10empty_typeEbEEZZNS1_14partition_implILS5_8ELb0ES3_jPlPS6_PKS6_NS0_5tupleIJS9_S6_EEENSD_IJSA_SA_EEENS0_18inequality_wrapperIZN2at6native12_GLOBAL__N_124unique_dim_cuda_templateIbEESt5tupleIJNSH_6TensorESM_SM_EERKSM_lbbbEUlllE0_EEPmJS6_EEE10hipError_tPvRmT3_T4_T5_T6_T7_T9_mT8_P12ihipStream_tbDpT10_ENKUlT_T0_E_clISt17integral_constantIbLb1EES1C_EEDaS17_S18_EUlS17_E_NS1_11comp_targetILNS1_3genE0ELNS1_11target_archE4294967295ELNS1_3gpuE0ELNS1_3repE0EEENS1_30default_config_static_selectorELNS0_4arch9wavefront6targetE0EEEvT1_: ; @_ZN7rocprim17ROCPRIM_400000_NS6detail17trampoline_kernelINS0_14default_configENS1_25partition_config_selectorILNS1_17partition_subalgoE8ElNS0_10empty_typeEbEEZZNS1_14partition_implILS5_8ELb0ES3_jPlPS6_PKS6_NS0_5tupleIJS9_S6_EEENSD_IJSA_SA_EEENS0_18inequality_wrapperIZN2at6native12_GLOBAL__N_124unique_dim_cuda_templateIbEESt5tupleIJNSH_6TensorESM_SM_EERKSM_lbbbEUlllE0_EEPmJS6_EEE10hipError_tPvRmT3_T4_T5_T6_T7_T9_mT8_P12ihipStream_tbDpT10_ENKUlT_T0_E_clISt17integral_constantIbLb1EES1C_EEDaS17_S18_EUlS17_E_NS1_11comp_targetILNS1_3genE0ELNS1_11target_archE4294967295ELNS1_3gpuE0ELNS1_3repE0EEENS1_30default_config_static_selectorELNS0_4arch9wavefront6targetE0EEEvT1_
; %bb.0:
	s_endpgm
	.section	.rodata,"a",@progbits
	.p2align	6, 0x0
	.amdhsa_kernel _ZN7rocprim17ROCPRIM_400000_NS6detail17trampoline_kernelINS0_14default_configENS1_25partition_config_selectorILNS1_17partition_subalgoE8ElNS0_10empty_typeEbEEZZNS1_14partition_implILS5_8ELb0ES3_jPlPS6_PKS6_NS0_5tupleIJS9_S6_EEENSD_IJSA_SA_EEENS0_18inequality_wrapperIZN2at6native12_GLOBAL__N_124unique_dim_cuda_templateIbEESt5tupleIJNSH_6TensorESM_SM_EERKSM_lbbbEUlllE0_EEPmJS6_EEE10hipError_tPvRmT3_T4_T5_T6_T7_T9_mT8_P12ihipStream_tbDpT10_ENKUlT_T0_E_clISt17integral_constantIbLb1EES1C_EEDaS17_S18_EUlS17_E_NS1_11comp_targetILNS1_3genE0ELNS1_11target_archE4294967295ELNS1_3gpuE0ELNS1_3repE0EEENS1_30default_config_static_selectorELNS0_4arch9wavefront6targetE0EEEvT1_
		.amdhsa_group_segment_fixed_size 0
		.amdhsa_private_segment_fixed_size 0
		.amdhsa_kernarg_size 136
		.amdhsa_user_sgpr_count 2
		.amdhsa_user_sgpr_dispatch_ptr 0
		.amdhsa_user_sgpr_queue_ptr 0
		.amdhsa_user_sgpr_kernarg_segment_ptr 1
		.amdhsa_user_sgpr_dispatch_id 0
		.amdhsa_user_sgpr_kernarg_preload_length 0
		.amdhsa_user_sgpr_kernarg_preload_offset 0
		.amdhsa_user_sgpr_private_segment_size 0
		.amdhsa_wavefront_size32 1
		.amdhsa_uses_dynamic_stack 0
		.amdhsa_enable_private_segment 0
		.amdhsa_system_sgpr_workgroup_id_x 1
		.amdhsa_system_sgpr_workgroup_id_y 0
		.amdhsa_system_sgpr_workgroup_id_z 0
		.amdhsa_system_sgpr_workgroup_info 0
		.amdhsa_system_vgpr_workitem_id 0
		.amdhsa_next_free_vgpr 1
		.amdhsa_next_free_sgpr 1
		.amdhsa_named_barrier_count 0
		.amdhsa_reserve_vcc 0
		.amdhsa_float_round_mode_32 0
		.amdhsa_float_round_mode_16_64 0
		.amdhsa_float_denorm_mode_32 3
		.amdhsa_float_denorm_mode_16_64 3
		.amdhsa_fp16_overflow 0
		.amdhsa_memory_ordered 1
		.amdhsa_forward_progress 1
		.amdhsa_inst_pref_size 1
		.amdhsa_round_robin_scheduling 0
		.amdhsa_exception_fp_ieee_invalid_op 0
		.amdhsa_exception_fp_denorm_src 0
		.amdhsa_exception_fp_ieee_div_zero 0
		.amdhsa_exception_fp_ieee_overflow 0
		.amdhsa_exception_fp_ieee_underflow 0
		.amdhsa_exception_fp_ieee_inexact 0
		.amdhsa_exception_int_div_zero 0
	.end_amdhsa_kernel
	.section	.text._ZN7rocprim17ROCPRIM_400000_NS6detail17trampoline_kernelINS0_14default_configENS1_25partition_config_selectorILNS1_17partition_subalgoE8ElNS0_10empty_typeEbEEZZNS1_14partition_implILS5_8ELb0ES3_jPlPS6_PKS6_NS0_5tupleIJS9_S6_EEENSD_IJSA_SA_EEENS0_18inequality_wrapperIZN2at6native12_GLOBAL__N_124unique_dim_cuda_templateIbEESt5tupleIJNSH_6TensorESM_SM_EERKSM_lbbbEUlllE0_EEPmJS6_EEE10hipError_tPvRmT3_T4_T5_T6_T7_T9_mT8_P12ihipStream_tbDpT10_ENKUlT_T0_E_clISt17integral_constantIbLb1EES1C_EEDaS17_S18_EUlS17_E_NS1_11comp_targetILNS1_3genE0ELNS1_11target_archE4294967295ELNS1_3gpuE0ELNS1_3repE0EEENS1_30default_config_static_selectorELNS0_4arch9wavefront6targetE0EEEvT1_,"axG",@progbits,_ZN7rocprim17ROCPRIM_400000_NS6detail17trampoline_kernelINS0_14default_configENS1_25partition_config_selectorILNS1_17partition_subalgoE8ElNS0_10empty_typeEbEEZZNS1_14partition_implILS5_8ELb0ES3_jPlPS6_PKS6_NS0_5tupleIJS9_S6_EEENSD_IJSA_SA_EEENS0_18inequality_wrapperIZN2at6native12_GLOBAL__N_124unique_dim_cuda_templateIbEESt5tupleIJNSH_6TensorESM_SM_EERKSM_lbbbEUlllE0_EEPmJS6_EEE10hipError_tPvRmT3_T4_T5_T6_T7_T9_mT8_P12ihipStream_tbDpT10_ENKUlT_T0_E_clISt17integral_constantIbLb1EES1C_EEDaS17_S18_EUlS17_E_NS1_11comp_targetILNS1_3genE0ELNS1_11target_archE4294967295ELNS1_3gpuE0ELNS1_3repE0EEENS1_30default_config_static_selectorELNS0_4arch9wavefront6targetE0EEEvT1_,comdat
.Lfunc_end1059:
	.size	_ZN7rocprim17ROCPRIM_400000_NS6detail17trampoline_kernelINS0_14default_configENS1_25partition_config_selectorILNS1_17partition_subalgoE8ElNS0_10empty_typeEbEEZZNS1_14partition_implILS5_8ELb0ES3_jPlPS6_PKS6_NS0_5tupleIJS9_S6_EEENSD_IJSA_SA_EEENS0_18inequality_wrapperIZN2at6native12_GLOBAL__N_124unique_dim_cuda_templateIbEESt5tupleIJNSH_6TensorESM_SM_EERKSM_lbbbEUlllE0_EEPmJS6_EEE10hipError_tPvRmT3_T4_T5_T6_T7_T9_mT8_P12ihipStream_tbDpT10_ENKUlT_T0_E_clISt17integral_constantIbLb1EES1C_EEDaS17_S18_EUlS17_E_NS1_11comp_targetILNS1_3genE0ELNS1_11target_archE4294967295ELNS1_3gpuE0ELNS1_3repE0EEENS1_30default_config_static_selectorELNS0_4arch9wavefront6targetE0EEEvT1_, .Lfunc_end1059-_ZN7rocprim17ROCPRIM_400000_NS6detail17trampoline_kernelINS0_14default_configENS1_25partition_config_selectorILNS1_17partition_subalgoE8ElNS0_10empty_typeEbEEZZNS1_14partition_implILS5_8ELb0ES3_jPlPS6_PKS6_NS0_5tupleIJS9_S6_EEENSD_IJSA_SA_EEENS0_18inequality_wrapperIZN2at6native12_GLOBAL__N_124unique_dim_cuda_templateIbEESt5tupleIJNSH_6TensorESM_SM_EERKSM_lbbbEUlllE0_EEPmJS6_EEE10hipError_tPvRmT3_T4_T5_T6_T7_T9_mT8_P12ihipStream_tbDpT10_ENKUlT_T0_E_clISt17integral_constantIbLb1EES1C_EEDaS17_S18_EUlS17_E_NS1_11comp_targetILNS1_3genE0ELNS1_11target_archE4294967295ELNS1_3gpuE0ELNS1_3repE0EEENS1_30default_config_static_selectorELNS0_4arch9wavefront6targetE0EEEvT1_
                                        ; -- End function
	.set _ZN7rocprim17ROCPRIM_400000_NS6detail17trampoline_kernelINS0_14default_configENS1_25partition_config_selectorILNS1_17partition_subalgoE8ElNS0_10empty_typeEbEEZZNS1_14partition_implILS5_8ELb0ES3_jPlPS6_PKS6_NS0_5tupleIJS9_S6_EEENSD_IJSA_SA_EEENS0_18inequality_wrapperIZN2at6native12_GLOBAL__N_124unique_dim_cuda_templateIbEESt5tupleIJNSH_6TensorESM_SM_EERKSM_lbbbEUlllE0_EEPmJS6_EEE10hipError_tPvRmT3_T4_T5_T6_T7_T9_mT8_P12ihipStream_tbDpT10_ENKUlT_T0_E_clISt17integral_constantIbLb1EES1C_EEDaS17_S18_EUlS17_E_NS1_11comp_targetILNS1_3genE0ELNS1_11target_archE4294967295ELNS1_3gpuE0ELNS1_3repE0EEENS1_30default_config_static_selectorELNS0_4arch9wavefront6targetE0EEEvT1_.num_vgpr, 0
	.set _ZN7rocprim17ROCPRIM_400000_NS6detail17trampoline_kernelINS0_14default_configENS1_25partition_config_selectorILNS1_17partition_subalgoE8ElNS0_10empty_typeEbEEZZNS1_14partition_implILS5_8ELb0ES3_jPlPS6_PKS6_NS0_5tupleIJS9_S6_EEENSD_IJSA_SA_EEENS0_18inequality_wrapperIZN2at6native12_GLOBAL__N_124unique_dim_cuda_templateIbEESt5tupleIJNSH_6TensorESM_SM_EERKSM_lbbbEUlllE0_EEPmJS6_EEE10hipError_tPvRmT3_T4_T5_T6_T7_T9_mT8_P12ihipStream_tbDpT10_ENKUlT_T0_E_clISt17integral_constantIbLb1EES1C_EEDaS17_S18_EUlS17_E_NS1_11comp_targetILNS1_3genE0ELNS1_11target_archE4294967295ELNS1_3gpuE0ELNS1_3repE0EEENS1_30default_config_static_selectorELNS0_4arch9wavefront6targetE0EEEvT1_.num_agpr, 0
	.set _ZN7rocprim17ROCPRIM_400000_NS6detail17trampoline_kernelINS0_14default_configENS1_25partition_config_selectorILNS1_17partition_subalgoE8ElNS0_10empty_typeEbEEZZNS1_14partition_implILS5_8ELb0ES3_jPlPS6_PKS6_NS0_5tupleIJS9_S6_EEENSD_IJSA_SA_EEENS0_18inequality_wrapperIZN2at6native12_GLOBAL__N_124unique_dim_cuda_templateIbEESt5tupleIJNSH_6TensorESM_SM_EERKSM_lbbbEUlllE0_EEPmJS6_EEE10hipError_tPvRmT3_T4_T5_T6_T7_T9_mT8_P12ihipStream_tbDpT10_ENKUlT_T0_E_clISt17integral_constantIbLb1EES1C_EEDaS17_S18_EUlS17_E_NS1_11comp_targetILNS1_3genE0ELNS1_11target_archE4294967295ELNS1_3gpuE0ELNS1_3repE0EEENS1_30default_config_static_selectorELNS0_4arch9wavefront6targetE0EEEvT1_.numbered_sgpr, 0
	.set _ZN7rocprim17ROCPRIM_400000_NS6detail17trampoline_kernelINS0_14default_configENS1_25partition_config_selectorILNS1_17partition_subalgoE8ElNS0_10empty_typeEbEEZZNS1_14partition_implILS5_8ELb0ES3_jPlPS6_PKS6_NS0_5tupleIJS9_S6_EEENSD_IJSA_SA_EEENS0_18inequality_wrapperIZN2at6native12_GLOBAL__N_124unique_dim_cuda_templateIbEESt5tupleIJNSH_6TensorESM_SM_EERKSM_lbbbEUlllE0_EEPmJS6_EEE10hipError_tPvRmT3_T4_T5_T6_T7_T9_mT8_P12ihipStream_tbDpT10_ENKUlT_T0_E_clISt17integral_constantIbLb1EES1C_EEDaS17_S18_EUlS17_E_NS1_11comp_targetILNS1_3genE0ELNS1_11target_archE4294967295ELNS1_3gpuE0ELNS1_3repE0EEENS1_30default_config_static_selectorELNS0_4arch9wavefront6targetE0EEEvT1_.num_named_barrier, 0
	.set _ZN7rocprim17ROCPRIM_400000_NS6detail17trampoline_kernelINS0_14default_configENS1_25partition_config_selectorILNS1_17partition_subalgoE8ElNS0_10empty_typeEbEEZZNS1_14partition_implILS5_8ELb0ES3_jPlPS6_PKS6_NS0_5tupleIJS9_S6_EEENSD_IJSA_SA_EEENS0_18inequality_wrapperIZN2at6native12_GLOBAL__N_124unique_dim_cuda_templateIbEESt5tupleIJNSH_6TensorESM_SM_EERKSM_lbbbEUlllE0_EEPmJS6_EEE10hipError_tPvRmT3_T4_T5_T6_T7_T9_mT8_P12ihipStream_tbDpT10_ENKUlT_T0_E_clISt17integral_constantIbLb1EES1C_EEDaS17_S18_EUlS17_E_NS1_11comp_targetILNS1_3genE0ELNS1_11target_archE4294967295ELNS1_3gpuE0ELNS1_3repE0EEENS1_30default_config_static_selectorELNS0_4arch9wavefront6targetE0EEEvT1_.private_seg_size, 0
	.set _ZN7rocprim17ROCPRIM_400000_NS6detail17trampoline_kernelINS0_14default_configENS1_25partition_config_selectorILNS1_17partition_subalgoE8ElNS0_10empty_typeEbEEZZNS1_14partition_implILS5_8ELb0ES3_jPlPS6_PKS6_NS0_5tupleIJS9_S6_EEENSD_IJSA_SA_EEENS0_18inequality_wrapperIZN2at6native12_GLOBAL__N_124unique_dim_cuda_templateIbEESt5tupleIJNSH_6TensorESM_SM_EERKSM_lbbbEUlllE0_EEPmJS6_EEE10hipError_tPvRmT3_T4_T5_T6_T7_T9_mT8_P12ihipStream_tbDpT10_ENKUlT_T0_E_clISt17integral_constantIbLb1EES1C_EEDaS17_S18_EUlS17_E_NS1_11comp_targetILNS1_3genE0ELNS1_11target_archE4294967295ELNS1_3gpuE0ELNS1_3repE0EEENS1_30default_config_static_selectorELNS0_4arch9wavefront6targetE0EEEvT1_.uses_vcc, 0
	.set _ZN7rocprim17ROCPRIM_400000_NS6detail17trampoline_kernelINS0_14default_configENS1_25partition_config_selectorILNS1_17partition_subalgoE8ElNS0_10empty_typeEbEEZZNS1_14partition_implILS5_8ELb0ES3_jPlPS6_PKS6_NS0_5tupleIJS9_S6_EEENSD_IJSA_SA_EEENS0_18inequality_wrapperIZN2at6native12_GLOBAL__N_124unique_dim_cuda_templateIbEESt5tupleIJNSH_6TensorESM_SM_EERKSM_lbbbEUlllE0_EEPmJS6_EEE10hipError_tPvRmT3_T4_T5_T6_T7_T9_mT8_P12ihipStream_tbDpT10_ENKUlT_T0_E_clISt17integral_constantIbLb1EES1C_EEDaS17_S18_EUlS17_E_NS1_11comp_targetILNS1_3genE0ELNS1_11target_archE4294967295ELNS1_3gpuE0ELNS1_3repE0EEENS1_30default_config_static_selectorELNS0_4arch9wavefront6targetE0EEEvT1_.uses_flat_scratch, 0
	.set _ZN7rocprim17ROCPRIM_400000_NS6detail17trampoline_kernelINS0_14default_configENS1_25partition_config_selectorILNS1_17partition_subalgoE8ElNS0_10empty_typeEbEEZZNS1_14partition_implILS5_8ELb0ES3_jPlPS6_PKS6_NS0_5tupleIJS9_S6_EEENSD_IJSA_SA_EEENS0_18inequality_wrapperIZN2at6native12_GLOBAL__N_124unique_dim_cuda_templateIbEESt5tupleIJNSH_6TensorESM_SM_EERKSM_lbbbEUlllE0_EEPmJS6_EEE10hipError_tPvRmT3_T4_T5_T6_T7_T9_mT8_P12ihipStream_tbDpT10_ENKUlT_T0_E_clISt17integral_constantIbLb1EES1C_EEDaS17_S18_EUlS17_E_NS1_11comp_targetILNS1_3genE0ELNS1_11target_archE4294967295ELNS1_3gpuE0ELNS1_3repE0EEENS1_30default_config_static_selectorELNS0_4arch9wavefront6targetE0EEEvT1_.has_dyn_sized_stack, 0
	.set _ZN7rocprim17ROCPRIM_400000_NS6detail17trampoline_kernelINS0_14default_configENS1_25partition_config_selectorILNS1_17partition_subalgoE8ElNS0_10empty_typeEbEEZZNS1_14partition_implILS5_8ELb0ES3_jPlPS6_PKS6_NS0_5tupleIJS9_S6_EEENSD_IJSA_SA_EEENS0_18inequality_wrapperIZN2at6native12_GLOBAL__N_124unique_dim_cuda_templateIbEESt5tupleIJNSH_6TensorESM_SM_EERKSM_lbbbEUlllE0_EEPmJS6_EEE10hipError_tPvRmT3_T4_T5_T6_T7_T9_mT8_P12ihipStream_tbDpT10_ENKUlT_T0_E_clISt17integral_constantIbLb1EES1C_EEDaS17_S18_EUlS17_E_NS1_11comp_targetILNS1_3genE0ELNS1_11target_archE4294967295ELNS1_3gpuE0ELNS1_3repE0EEENS1_30default_config_static_selectorELNS0_4arch9wavefront6targetE0EEEvT1_.has_recursion, 0
	.set _ZN7rocprim17ROCPRIM_400000_NS6detail17trampoline_kernelINS0_14default_configENS1_25partition_config_selectorILNS1_17partition_subalgoE8ElNS0_10empty_typeEbEEZZNS1_14partition_implILS5_8ELb0ES3_jPlPS6_PKS6_NS0_5tupleIJS9_S6_EEENSD_IJSA_SA_EEENS0_18inequality_wrapperIZN2at6native12_GLOBAL__N_124unique_dim_cuda_templateIbEESt5tupleIJNSH_6TensorESM_SM_EERKSM_lbbbEUlllE0_EEPmJS6_EEE10hipError_tPvRmT3_T4_T5_T6_T7_T9_mT8_P12ihipStream_tbDpT10_ENKUlT_T0_E_clISt17integral_constantIbLb1EES1C_EEDaS17_S18_EUlS17_E_NS1_11comp_targetILNS1_3genE0ELNS1_11target_archE4294967295ELNS1_3gpuE0ELNS1_3repE0EEENS1_30default_config_static_selectorELNS0_4arch9wavefront6targetE0EEEvT1_.has_indirect_call, 0
	.section	.AMDGPU.csdata,"",@progbits
; Kernel info:
; codeLenInByte = 4
; TotalNumSgprs: 0
; NumVgprs: 0
; ScratchSize: 0
; MemoryBound: 0
; FloatMode: 240
; IeeeMode: 1
; LDSByteSize: 0 bytes/workgroup (compile time only)
; SGPRBlocks: 0
; VGPRBlocks: 0
; NumSGPRsForWavesPerEU: 1
; NumVGPRsForWavesPerEU: 1
; NamedBarCnt: 0
; Occupancy: 16
; WaveLimiterHint : 0
; COMPUTE_PGM_RSRC2:SCRATCH_EN: 0
; COMPUTE_PGM_RSRC2:USER_SGPR: 2
; COMPUTE_PGM_RSRC2:TRAP_HANDLER: 0
; COMPUTE_PGM_RSRC2:TGID_X_EN: 1
; COMPUTE_PGM_RSRC2:TGID_Y_EN: 0
; COMPUTE_PGM_RSRC2:TGID_Z_EN: 0
; COMPUTE_PGM_RSRC2:TIDIG_COMP_CNT: 0
	.section	.text._ZN7rocprim17ROCPRIM_400000_NS6detail17trampoline_kernelINS0_14default_configENS1_25partition_config_selectorILNS1_17partition_subalgoE8ElNS0_10empty_typeEbEEZZNS1_14partition_implILS5_8ELb0ES3_jPlPS6_PKS6_NS0_5tupleIJS9_S6_EEENSD_IJSA_SA_EEENS0_18inequality_wrapperIZN2at6native12_GLOBAL__N_124unique_dim_cuda_templateIbEESt5tupleIJNSH_6TensorESM_SM_EERKSM_lbbbEUlllE0_EEPmJS6_EEE10hipError_tPvRmT3_T4_T5_T6_T7_T9_mT8_P12ihipStream_tbDpT10_ENKUlT_T0_E_clISt17integral_constantIbLb1EES1C_EEDaS17_S18_EUlS17_E_NS1_11comp_targetILNS1_3genE5ELNS1_11target_archE942ELNS1_3gpuE9ELNS1_3repE0EEENS1_30default_config_static_selectorELNS0_4arch9wavefront6targetE0EEEvT1_,"axG",@progbits,_ZN7rocprim17ROCPRIM_400000_NS6detail17trampoline_kernelINS0_14default_configENS1_25partition_config_selectorILNS1_17partition_subalgoE8ElNS0_10empty_typeEbEEZZNS1_14partition_implILS5_8ELb0ES3_jPlPS6_PKS6_NS0_5tupleIJS9_S6_EEENSD_IJSA_SA_EEENS0_18inequality_wrapperIZN2at6native12_GLOBAL__N_124unique_dim_cuda_templateIbEESt5tupleIJNSH_6TensorESM_SM_EERKSM_lbbbEUlllE0_EEPmJS6_EEE10hipError_tPvRmT3_T4_T5_T6_T7_T9_mT8_P12ihipStream_tbDpT10_ENKUlT_T0_E_clISt17integral_constantIbLb1EES1C_EEDaS17_S18_EUlS17_E_NS1_11comp_targetILNS1_3genE5ELNS1_11target_archE942ELNS1_3gpuE9ELNS1_3repE0EEENS1_30default_config_static_selectorELNS0_4arch9wavefront6targetE0EEEvT1_,comdat
	.globl	_ZN7rocprim17ROCPRIM_400000_NS6detail17trampoline_kernelINS0_14default_configENS1_25partition_config_selectorILNS1_17partition_subalgoE8ElNS0_10empty_typeEbEEZZNS1_14partition_implILS5_8ELb0ES3_jPlPS6_PKS6_NS0_5tupleIJS9_S6_EEENSD_IJSA_SA_EEENS0_18inequality_wrapperIZN2at6native12_GLOBAL__N_124unique_dim_cuda_templateIbEESt5tupleIJNSH_6TensorESM_SM_EERKSM_lbbbEUlllE0_EEPmJS6_EEE10hipError_tPvRmT3_T4_T5_T6_T7_T9_mT8_P12ihipStream_tbDpT10_ENKUlT_T0_E_clISt17integral_constantIbLb1EES1C_EEDaS17_S18_EUlS17_E_NS1_11comp_targetILNS1_3genE5ELNS1_11target_archE942ELNS1_3gpuE9ELNS1_3repE0EEENS1_30default_config_static_selectorELNS0_4arch9wavefront6targetE0EEEvT1_ ; -- Begin function _ZN7rocprim17ROCPRIM_400000_NS6detail17trampoline_kernelINS0_14default_configENS1_25partition_config_selectorILNS1_17partition_subalgoE8ElNS0_10empty_typeEbEEZZNS1_14partition_implILS5_8ELb0ES3_jPlPS6_PKS6_NS0_5tupleIJS9_S6_EEENSD_IJSA_SA_EEENS0_18inequality_wrapperIZN2at6native12_GLOBAL__N_124unique_dim_cuda_templateIbEESt5tupleIJNSH_6TensorESM_SM_EERKSM_lbbbEUlllE0_EEPmJS6_EEE10hipError_tPvRmT3_T4_T5_T6_T7_T9_mT8_P12ihipStream_tbDpT10_ENKUlT_T0_E_clISt17integral_constantIbLb1EES1C_EEDaS17_S18_EUlS17_E_NS1_11comp_targetILNS1_3genE5ELNS1_11target_archE942ELNS1_3gpuE9ELNS1_3repE0EEENS1_30default_config_static_selectorELNS0_4arch9wavefront6targetE0EEEvT1_
	.p2align	8
	.type	_ZN7rocprim17ROCPRIM_400000_NS6detail17trampoline_kernelINS0_14default_configENS1_25partition_config_selectorILNS1_17partition_subalgoE8ElNS0_10empty_typeEbEEZZNS1_14partition_implILS5_8ELb0ES3_jPlPS6_PKS6_NS0_5tupleIJS9_S6_EEENSD_IJSA_SA_EEENS0_18inequality_wrapperIZN2at6native12_GLOBAL__N_124unique_dim_cuda_templateIbEESt5tupleIJNSH_6TensorESM_SM_EERKSM_lbbbEUlllE0_EEPmJS6_EEE10hipError_tPvRmT3_T4_T5_T6_T7_T9_mT8_P12ihipStream_tbDpT10_ENKUlT_T0_E_clISt17integral_constantIbLb1EES1C_EEDaS17_S18_EUlS17_E_NS1_11comp_targetILNS1_3genE5ELNS1_11target_archE942ELNS1_3gpuE9ELNS1_3repE0EEENS1_30default_config_static_selectorELNS0_4arch9wavefront6targetE0EEEvT1_,@function
_ZN7rocprim17ROCPRIM_400000_NS6detail17trampoline_kernelINS0_14default_configENS1_25partition_config_selectorILNS1_17partition_subalgoE8ElNS0_10empty_typeEbEEZZNS1_14partition_implILS5_8ELb0ES3_jPlPS6_PKS6_NS0_5tupleIJS9_S6_EEENSD_IJSA_SA_EEENS0_18inequality_wrapperIZN2at6native12_GLOBAL__N_124unique_dim_cuda_templateIbEESt5tupleIJNSH_6TensorESM_SM_EERKSM_lbbbEUlllE0_EEPmJS6_EEE10hipError_tPvRmT3_T4_T5_T6_T7_T9_mT8_P12ihipStream_tbDpT10_ENKUlT_T0_E_clISt17integral_constantIbLb1EES1C_EEDaS17_S18_EUlS17_E_NS1_11comp_targetILNS1_3genE5ELNS1_11target_archE942ELNS1_3gpuE9ELNS1_3repE0EEENS1_30default_config_static_selectorELNS0_4arch9wavefront6targetE0EEEvT1_: ; @_ZN7rocprim17ROCPRIM_400000_NS6detail17trampoline_kernelINS0_14default_configENS1_25partition_config_selectorILNS1_17partition_subalgoE8ElNS0_10empty_typeEbEEZZNS1_14partition_implILS5_8ELb0ES3_jPlPS6_PKS6_NS0_5tupleIJS9_S6_EEENSD_IJSA_SA_EEENS0_18inequality_wrapperIZN2at6native12_GLOBAL__N_124unique_dim_cuda_templateIbEESt5tupleIJNSH_6TensorESM_SM_EERKSM_lbbbEUlllE0_EEPmJS6_EEE10hipError_tPvRmT3_T4_T5_T6_T7_T9_mT8_P12ihipStream_tbDpT10_ENKUlT_T0_E_clISt17integral_constantIbLb1EES1C_EEDaS17_S18_EUlS17_E_NS1_11comp_targetILNS1_3genE5ELNS1_11target_archE942ELNS1_3gpuE9ELNS1_3repE0EEENS1_30default_config_static_selectorELNS0_4arch9wavefront6targetE0EEEvT1_
; %bb.0:
	.section	.rodata,"a",@progbits
	.p2align	6, 0x0
	.amdhsa_kernel _ZN7rocprim17ROCPRIM_400000_NS6detail17trampoline_kernelINS0_14default_configENS1_25partition_config_selectorILNS1_17partition_subalgoE8ElNS0_10empty_typeEbEEZZNS1_14partition_implILS5_8ELb0ES3_jPlPS6_PKS6_NS0_5tupleIJS9_S6_EEENSD_IJSA_SA_EEENS0_18inequality_wrapperIZN2at6native12_GLOBAL__N_124unique_dim_cuda_templateIbEESt5tupleIJNSH_6TensorESM_SM_EERKSM_lbbbEUlllE0_EEPmJS6_EEE10hipError_tPvRmT3_T4_T5_T6_T7_T9_mT8_P12ihipStream_tbDpT10_ENKUlT_T0_E_clISt17integral_constantIbLb1EES1C_EEDaS17_S18_EUlS17_E_NS1_11comp_targetILNS1_3genE5ELNS1_11target_archE942ELNS1_3gpuE9ELNS1_3repE0EEENS1_30default_config_static_selectorELNS0_4arch9wavefront6targetE0EEEvT1_
		.amdhsa_group_segment_fixed_size 0
		.amdhsa_private_segment_fixed_size 0
		.amdhsa_kernarg_size 136
		.amdhsa_user_sgpr_count 2
		.amdhsa_user_sgpr_dispatch_ptr 0
		.amdhsa_user_sgpr_queue_ptr 0
		.amdhsa_user_sgpr_kernarg_segment_ptr 1
		.amdhsa_user_sgpr_dispatch_id 0
		.amdhsa_user_sgpr_kernarg_preload_length 0
		.amdhsa_user_sgpr_kernarg_preload_offset 0
		.amdhsa_user_sgpr_private_segment_size 0
		.amdhsa_wavefront_size32 1
		.amdhsa_uses_dynamic_stack 0
		.amdhsa_enable_private_segment 0
		.amdhsa_system_sgpr_workgroup_id_x 1
		.amdhsa_system_sgpr_workgroup_id_y 0
		.amdhsa_system_sgpr_workgroup_id_z 0
		.amdhsa_system_sgpr_workgroup_info 0
		.amdhsa_system_vgpr_workitem_id 0
		.amdhsa_next_free_vgpr 1
		.amdhsa_next_free_sgpr 1
		.amdhsa_named_barrier_count 0
		.amdhsa_reserve_vcc 0
		.amdhsa_float_round_mode_32 0
		.amdhsa_float_round_mode_16_64 0
		.amdhsa_float_denorm_mode_32 3
		.amdhsa_float_denorm_mode_16_64 3
		.amdhsa_fp16_overflow 0
		.amdhsa_memory_ordered 1
		.amdhsa_forward_progress 1
		.amdhsa_inst_pref_size 0
		.amdhsa_round_robin_scheduling 0
		.amdhsa_exception_fp_ieee_invalid_op 0
		.amdhsa_exception_fp_denorm_src 0
		.amdhsa_exception_fp_ieee_div_zero 0
		.amdhsa_exception_fp_ieee_overflow 0
		.amdhsa_exception_fp_ieee_underflow 0
		.amdhsa_exception_fp_ieee_inexact 0
		.amdhsa_exception_int_div_zero 0
	.end_amdhsa_kernel
	.section	.text._ZN7rocprim17ROCPRIM_400000_NS6detail17trampoline_kernelINS0_14default_configENS1_25partition_config_selectorILNS1_17partition_subalgoE8ElNS0_10empty_typeEbEEZZNS1_14partition_implILS5_8ELb0ES3_jPlPS6_PKS6_NS0_5tupleIJS9_S6_EEENSD_IJSA_SA_EEENS0_18inequality_wrapperIZN2at6native12_GLOBAL__N_124unique_dim_cuda_templateIbEESt5tupleIJNSH_6TensorESM_SM_EERKSM_lbbbEUlllE0_EEPmJS6_EEE10hipError_tPvRmT3_T4_T5_T6_T7_T9_mT8_P12ihipStream_tbDpT10_ENKUlT_T0_E_clISt17integral_constantIbLb1EES1C_EEDaS17_S18_EUlS17_E_NS1_11comp_targetILNS1_3genE5ELNS1_11target_archE942ELNS1_3gpuE9ELNS1_3repE0EEENS1_30default_config_static_selectorELNS0_4arch9wavefront6targetE0EEEvT1_,"axG",@progbits,_ZN7rocprim17ROCPRIM_400000_NS6detail17trampoline_kernelINS0_14default_configENS1_25partition_config_selectorILNS1_17partition_subalgoE8ElNS0_10empty_typeEbEEZZNS1_14partition_implILS5_8ELb0ES3_jPlPS6_PKS6_NS0_5tupleIJS9_S6_EEENSD_IJSA_SA_EEENS0_18inequality_wrapperIZN2at6native12_GLOBAL__N_124unique_dim_cuda_templateIbEESt5tupleIJNSH_6TensorESM_SM_EERKSM_lbbbEUlllE0_EEPmJS6_EEE10hipError_tPvRmT3_T4_T5_T6_T7_T9_mT8_P12ihipStream_tbDpT10_ENKUlT_T0_E_clISt17integral_constantIbLb1EES1C_EEDaS17_S18_EUlS17_E_NS1_11comp_targetILNS1_3genE5ELNS1_11target_archE942ELNS1_3gpuE9ELNS1_3repE0EEENS1_30default_config_static_selectorELNS0_4arch9wavefront6targetE0EEEvT1_,comdat
.Lfunc_end1060:
	.size	_ZN7rocprim17ROCPRIM_400000_NS6detail17trampoline_kernelINS0_14default_configENS1_25partition_config_selectorILNS1_17partition_subalgoE8ElNS0_10empty_typeEbEEZZNS1_14partition_implILS5_8ELb0ES3_jPlPS6_PKS6_NS0_5tupleIJS9_S6_EEENSD_IJSA_SA_EEENS0_18inequality_wrapperIZN2at6native12_GLOBAL__N_124unique_dim_cuda_templateIbEESt5tupleIJNSH_6TensorESM_SM_EERKSM_lbbbEUlllE0_EEPmJS6_EEE10hipError_tPvRmT3_T4_T5_T6_T7_T9_mT8_P12ihipStream_tbDpT10_ENKUlT_T0_E_clISt17integral_constantIbLb1EES1C_EEDaS17_S18_EUlS17_E_NS1_11comp_targetILNS1_3genE5ELNS1_11target_archE942ELNS1_3gpuE9ELNS1_3repE0EEENS1_30default_config_static_selectorELNS0_4arch9wavefront6targetE0EEEvT1_, .Lfunc_end1060-_ZN7rocprim17ROCPRIM_400000_NS6detail17trampoline_kernelINS0_14default_configENS1_25partition_config_selectorILNS1_17partition_subalgoE8ElNS0_10empty_typeEbEEZZNS1_14partition_implILS5_8ELb0ES3_jPlPS6_PKS6_NS0_5tupleIJS9_S6_EEENSD_IJSA_SA_EEENS0_18inequality_wrapperIZN2at6native12_GLOBAL__N_124unique_dim_cuda_templateIbEESt5tupleIJNSH_6TensorESM_SM_EERKSM_lbbbEUlllE0_EEPmJS6_EEE10hipError_tPvRmT3_T4_T5_T6_T7_T9_mT8_P12ihipStream_tbDpT10_ENKUlT_T0_E_clISt17integral_constantIbLb1EES1C_EEDaS17_S18_EUlS17_E_NS1_11comp_targetILNS1_3genE5ELNS1_11target_archE942ELNS1_3gpuE9ELNS1_3repE0EEENS1_30default_config_static_selectorELNS0_4arch9wavefront6targetE0EEEvT1_
                                        ; -- End function
	.set _ZN7rocprim17ROCPRIM_400000_NS6detail17trampoline_kernelINS0_14default_configENS1_25partition_config_selectorILNS1_17partition_subalgoE8ElNS0_10empty_typeEbEEZZNS1_14partition_implILS5_8ELb0ES3_jPlPS6_PKS6_NS0_5tupleIJS9_S6_EEENSD_IJSA_SA_EEENS0_18inequality_wrapperIZN2at6native12_GLOBAL__N_124unique_dim_cuda_templateIbEESt5tupleIJNSH_6TensorESM_SM_EERKSM_lbbbEUlllE0_EEPmJS6_EEE10hipError_tPvRmT3_T4_T5_T6_T7_T9_mT8_P12ihipStream_tbDpT10_ENKUlT_T0_E_clISt17integral_constantIbLb1EES1C_EEDaS17_S18_EUlS17_E_NS1_11comp_targetILNS1_3genE5ELNS1_11target_archE942ELNS1_3gpuE9ELNS1_3repE0EEENS1_30default_config_static_selectorELNS0_4arch9wavefront6targetE0EEEvT1_.num_vgpr, 0
	.set _ZN7rocprim17ROCPRIM_400000_NS6detail17trampoline_kernelINS0_14default_configENS1_25partition_config_selectorILNS1_17partition_subalgoE8ElNS0_10empty_typeEbEEZZNS1_14partition_implILS5_8ELb0ES3_jPlPS6_PKS6_NS0_5tupleIJS9_S6_EEENSD_IJSA_SA_EEENS0_18inequality_wrapperIZN2at6native12_GLOBAL__N_124unique_dim_cuda_templateIbEESt5tupleIJNSH_6TensorESM_SM_EERKSM_lbbbEUlllE0_EEPmJS6_EEE10hipError_tPvRmT3_T4_T5_T6_T7_T9_mT8_P12ihipStream_tbDpT10_ENKUlT_T0_E_clISt17integral_constantIbLb1EES1C_EEDaS17_S18_EUlS17_E_NS1_11comp_targetILNS1_3genE5ELNS1_11target_archE942ELNS1_3gpuE9ELNS1_3repE0EEENS1_30default_config_static_selectorELNS0_4arch9wavefront6targetE0EEEvT1_.num_agpr, 0
	.set _ZN7rocprim17ROCPRIM_400000_NS6detail17trampoline_kernelINS0_14default_configENS1_25partition_config_selectorILNS1_17partition_subalgoE8ElNS0_10empty_typeEbEEZZNS1_14partition_implILS5_8ELb0ES3_jPlPS6_PKS6_NS0_5tupleIJS9_S6_EEENSD_IJSA_SA_EEENS0_18inequality_wrapperIZN2at6native12_GLOBAL__N_124unique_dim_cuda_templateIbEESt5tupleIJNSH_6TensorESM_SM_EERKSM_lbbbEUlllE0_EEPmJS6_EEE10hipError_tPvRmT3_T4_T5_T6_T7_T9_mT8_P12ihipStream_tbDpT10_ENKUlT_T0_E_clISt17integral_constantIbLb1EES1C_EEDaS17_S18_EUlS17_E_NS1_11comp_targetILNS1_3genE5ELNS1_11target_archE942ELNS1_3gpuE9ELNS1_3repE0EEENS1_30default_config_static_selectorELNS0_4arch9wavefront6targetE0EEEvT1_.numbered_sgpr, 0
	.set _ZN7rocprim17ROCPRIM_400000_NS6detail17trampoline_kernelINS0_14default_configENS1_25partition_config_selectorILNS1_17partition_subalgoE8ElNS0_10empty_typeEbEEZZNS1_14partition_implILS5_8ELb0ES3_jPlPS6_PKS6_NS0_5tupleIJS9_S6_EEENSD_IJSA_SA_EEENS0_18inequality_wrapperIZN2at6native12_GLOBAL__N_124unique_dim_cuda_templateIbEESt5tupleIJNSH_6TensorESM_SM_EERKSM_lbbbEUlllE0_EEPmJS6_EEE10hipError_tPvRmT3_T4_T5_T6_T7_T9_mT8_P12ihipStream_tbDpT10_ENKUlT_T0_E_clISt17integral_constantIbLb1EES1C_EEDaS17_S18_EUlS17_E_NS1_11comp_targetILNS1_3genE5ELNS1_11target_archE942ELNS1_3gpuE9ELNS1_3repE0EEENS1_30default_config_static_selectorELNS0_4arch9wavefront6targetE0EEEvT1_.num_named_barrier, 0
	.set _ZN7rocprim17ROCPRIM_400000_NS6detail17trampoline_kernelINS0_14default_configENS1_25partition_config_selectorILNS1_17partition_subalgoE8ElNS0_10empty_typeEbEEZZNS1_14partition_implILS5_8ELb0ES3_jPlPS6_PKS6_NS0_5tupleIJS9_S6_EEENSD_IJSA_SA_EEENS0_18inequality_wrapperIZN2at6native12_GLOBAL__N_124unique_dim_cuda_templateIbEESt5tupleIJNSH_6TensorESM_SM_EERKSM_lbbbEUlllE0_EEPmJS6_EEE10hipError_tPvRmT3_T4_T5_T6_T7_T9_mT8_P12ihipStream_tbDpT10_ENKUlT_T0_E_clISt17integral_constantIbLb1EES1C_EEDaS17_S18_EUlS17_E_NS1_11comp_targetILNS1_3genE5ELNS1_11target_archE942ELNS1_3gpuE9ELNS1_3repE0EEENS1_30default_config_static_selectorELNS0_4arch9wavefront6targetE0EEEvT1_.private_seg_size, 0
	.set _ZN7rocprim17ROCPRIM_400000_NS6detail17trampoline_kernelINS0_14default_configENS1_25partition_config_selectorILNS1_17partition_subalgoE8ElNS0_10empty_typeEbEEZZNS1_14partition_implILS5_8ELb0ES3_jPlPS6_PKS6_NS0_5tupleIJS9_S6_EEENSD_IJSA_SA_EEENS0_18inequality_wrapperIZN2at6native12_GLOBAL__N_124unique_dim_cuda_templateIbEESt5tupleIJNSH_6TensorESM_SM_EERKSM_lbbbEUlllE0_EEPmJS6_EEE10hipError_tPvRmT3_T4_T5_T6_T7_T9_mT8_P12ihipStream_tbDpT10_ENKUlT_T0_E_clISt17integral_constantIbLb1EES1C_EEDaS17_S18_EUlS17_E_NS1_11comp_targetILNS1_3genE5ELNS1_11target_archE942ELNS1_3gpuE9ELNS1_3repE0EEENS1_30default_config_static_selectorELNS0_4arch9wavefront6targetE0EEEvT1_.uses_vcc, 0
	.set _ZN7rocprim17ROCPRIM_400000_NS6detail17trampoline_kernelINS0_14default_configENS1_25partition_config_selectorILNS1_17partition_subalgoE8ElNS0_10empty_typeEbEEZZNS1_14partition_implILS5_8ELb0ES3_jPlPS6_PKS6_NS0_5tupleIJS9_S6_EEENSD_IJSA_SA_EEENS0_18inequality_wrapperIZN2at6native12_GLOBAL__N_124unique_dim_cuda_templateIbEESt5tupleIJNSH_6TensorESM_SM_EERKSM_lbbbEUlllE0_EEPmJS6_EEE10hipError_tPvRmT3_T4_T5_T6_T7_T9_mT8_P12ihipStream_tbDpT10_ENKUlT_T0_E_clISt17integral_constantIbLb1EES1C_EEDaS17_S18_EUlS17_E_NS1_11comp_targetILNS1_3genE5ELNS1_11target_archE942ELNS1_3gpuE9ELNS1_3repE0EEENS1_30default_config_static_selectorELNS0_4arch9wavefront6targetE0EEEvT1_.uses_flat_scratch, 0
	.set _ZN7rocprim17ROCPRIM_400000_NS6detail17trampoline_kernelINS0_14default_configENS1_25partition_config_selectorILNS1_17partition_subalgoE8ElNS0_10empty_typeEbEEZZNS1_14partition_implILS5_8ELb0ES3_jPlPS6_PKS6_NS0_5tupleIJS9_S6_EEENSD_IJSA_SA_EEENS0_18inequality_wrapperIZN2at6native12_GLOBAL__N_124unique_dim_cuda_templateIbEESt5tupleIJNSH_6TensorESM_SM_EERKSM_lbbbEUlllE0_EEPmJS6_EEE10hipError_tPvRmT3_T4_T5_T6_T7_T9_mT8_P12ihipStream_tbDpT10_ENKUlT_T0_E_clISt17integral_constantIbLb1EES1C_EEDaS17_S18_EUlS17_E_NS1_11comp_targetILNS1_3genE5ELNS1_11target_archE942ELNS1_3gpuE9ELNS1_3repE0EEENS1_30default_config_static_selectorELNS0_4arch9wavefront6targetE0EEEvT1_.has_dyn_sized_stack, 0
	.set _ZN7rocprim17ROCPRIM_400000_NS6detail17trampoline_kernelINS0_14default_configENS1_25partition_config_selectorILNS1_17partition_subalgoE8ElNS0_10empty_typeEbEEZZNS1_14partition_implILS5_8ELb0ES3_jPlPS6_PKS6_NS0_5tupleIJS9_S6_EEENSD_IJSA_SA_EEENS0_18inequality_wrapperIZN2at6native12_GLOBAL__N_124unique_dim_cuda_templateIbEESt5tupleIJNSH_6TensorESM_SM_EERKSM_lbbbEUlllE0_EEPmJS6_EEE10hipError_tPvRmT3_T4_T5_T6_T7_T9_mT8_P12ihipStream_tbDpT10_ENKUlT_T0_E_clISt17integral_constantIbLb1EES1C_EEDaS17_S18_EUlS17_E_NS1_11comp_targetILNS1_3genE5ELNS1_11target_archE942ELNS1_3gpuE9ELNS1_3repE0EEENS1_30default_config_static_selectorELNS0_4arch9wavefront6targetE0EEEvT1_.has_recursion, 0
	.set _ZN7rocprim17ROCPRIM_400000_NS6detail17trampoline_kernelINS0_14default_configENS1_25partition_config_selectorILNS1_17partition_subalgoE8ElNS0_10empty_typeEbEEZZNS1_14partition_implILS5_8ELb0ES3_jPlPS6_PKS6_NS0_5tupleIJS9_S6_EEENSD_IJSA_SA_EEENS0_18inequality_wrapperIZN2at6native12_GLOBAL__N_124unique_dim_cuda_templateIbEESt5tupleIJNSH_6TensorESM_SM_EERKSM_lbbbEUlllE0_EEPmJS6_EEE10hipError_tPvRmT3_T4_T5_T6_T7_T9_mT8_P12ihipStream_tbDpT10_ENKUlT_T0_E_clISt17integral_constantIbLb1EES1C_EEDaS17_S18_EUlS17_E_NS1_11comp_targetILNS1_3genE5ELNS1_11target_archE942ELNS1_3gpuE9ELNS1_3repE0EEENS1_30default_config_static_selectorELNS0_4arch9wavefront6targetE0EEEvT1_.has_indirect_call, 0
	.section	.AMDGPU.csdata,"",@progbits
; Kernel info:
; codeLenInByte = 0
; TotalNumSgprs: 0
; NumVgprs: 0
; ScratchSize: 0
; MemoryBound: 0
; FloatMode: 240
; IeeeMode: 1
; LDSByteSize: 0 bytes/workgroup (compile time only)
; SGPRBlocks: 0
; VGPRBlocks: 0
; NumSGPRsForWavesPerEU: 1
; NumVGPRsForWavesPerEU: 1
; NamedBarCnt: 0
; Occupancy: 16
; WaveLimiterHint : 0
; COMPUTE_PGM_RSRC2:SCRATCH_EN: 0
; COMPUTE_PGM_RSRC2:USER_SGPR: 2
; COMPUTE_PGM_RSRC2:TRAP_HANDLER: 0
; COMPUTE_PGM_RSRC2:TGID_X_EN: 1
; COMPUTE_PGM_RSRC2:TGID_Y_EN: 0
; COMPUTE_PGM_RSRC2:TGID_Z_EN: 0
; COMPUTE_PGM_RSRC2:TIDIG_COMP_CNT: 0
	.section	.text._ZN7rocprim17ROCPRIM_400000_NS6detail17trampoline_kernelINS0_14default_configENS1_25partition_config_selectorILNS1_17partition_subalgoE8ElNS0_10empty_typeEbEEZZNS1_14partition_implILS5_8ELb0ES3_jPlPS6_PKS6_NS0_5tupleIJS9_S6_EEENSD_IJSA_SA_EEENS0_18inequality_wrapperIZN2at6native12_GLOBAL__N_124unique_dim_cuda_templateIbEESt5tupleIJNSH_6TensorESM_SM_EERKSM_lbbbEUlllE0_EEPmJS6_EEE10hipError_tPvRmT3_T4_T5_T6_T7_T9_mT8_P12ihipStream_tbDpT10_ENKUlT_T0_E_clISt17integral_constantIbLb1EES1C_EEDaS17_S18_EUlS17_E_NS1_11comp_targetILNS1_3genE4ELNS1_11target_archE910ELNS1_3gpuE8ELNS1_3repE0EEENS1_30default_config_static_selectorELNS0_4arch9wavefront6targetE0EEEvT1_,"axG",@progbits,_ZN7rocprim17ROCPRIM_400000_NS6detail17trampoline_kernelINS0_14default_configENS1_25partition_config_selectorILNS1_17partition_subalgoE8ElNS0_10empty_typeEbEEZZNS1_14partition_implILS5_8ELb0ES3_jPlPS6_PKS6_NS0_5tupleIJS9_S6_EEENSD_IJSA_SA_EEENS0_18inequality_wrapperIZN2at6native12_GLOBAL__N_124unique_dim_cuda_templateIbEESt5tupleIJNSH_6TensorESM_SM_EERKSM_lbbbEUlllE0_EEPmJS6_EEE10hipError_tPvRmT3_T4_T5_T6_T7_T9_mT8_P12ihipStream_tbDpT10_ENKUlT_T0_E_clISt17integral_constantIbLb1EES1C_EEDaS17_S18_EUlS17_E_NS1_11comp_targetILNS1_3genE4ELNS1_11target_archE910ELNS1_3gpuE8ELNS1_3repE0EEENS1_30default_config_static_selectorELNS0_4arch9wavefront6targetE0EEEvT1_,comdat
	.globl	_ZN7rocprim17ROCPRIM_400000_NS6detail17trampoline_kernelINS0_14default_configENS1_25partition_config_selectorILNS1_17partition_subalgoE8ElNS0_10empty_typeEbEEZZNS1_14partition_implILS5_8ELb0ES3_jPlPS6_PKS6_NS0_5tupleIJS9_S6_EEENSD_IJSA_SA_EEENS0_18inequality_wrapperIZN2at6native12_GLOBAL__N_124unique_dim_cuda_templateIbEESt5tupleIJNSH_6TensorESM_SM_EERKSM_lbbbEUlllE0_EEPmJS6_EEE10hipError_tPvRmT3_T4_T5_T6_T7_T9_mT8_P12ihipStream_tbDpT10_ENKUlT_T0_E_clISt17integral_constantIbLb1EES1C_EEDaS17_S18_EUlS17_E_NS1_11comp_targetILNS1_3genE4ELNS1_11target_archE910ELNS1_3gpuE8ELNS1_3repE0EEENS1_30default_config_static_selectorELNS0_4arch9wavefront6targetE0EEEvT1_ ; -- Begin function _ZN7rocprim17ROCPRIM_400000_NS6detail17trampoline_kernelINS0_14default_configENS1_25partition_config_selectorILNS1_17partition_subalgoE8ElNS0_10empty_typeEbEEZZNS1_14partition_implILS5_8ELb0ES3_jPlPS6_PKS6_NS0_5tupleIJS9_S6_EEENSD_IJSA_SA_EEENS0_18inequality_wrapperIZN2at6native12_GLOBAL__N_124unique_dim_cuda_templateIbEESt5tupleIJNSH_6TensorESM_SM_EERKSM_lbbbEUlllE0_EEPmJS6_EEE10hipError_tPvRmT3_T4_T5_T6_T7_T9_mT8_P12ihipStream_tbDpT10_ENKUlT_T0_E_clISt17integral_constantIbLb1EES1C_EEDaS17_S18_EUlS17_E_NS1_11comp_targetILNS1_3genE4ELNS1_11target_archE910ELNS1_3gpuE8ELNS1_3repE0EEENS1_30default_config_static_selectorELNS0_4arch9wavefront6targetE0EEEvT1_
	.p2align	8
	.type	_ZN7rocprim17ROCPRIM_400000_NS6detail17trampoline_kernelINS0_14default_configENS1_25partition_config_selectorILNS1_17partition_subalgoE8ElNS0_10empty_typeEbEEZZNS1_14partition_implILS5_8ELb0ES3_jPlPS6_PKS6_NS0_5tupleIJS9_S6_EEENSD_IJSA_SA_EEENS0_18inequality_wrapperIZN2at6native12_GLOBAL__N_124unique_dim_cuda_templateIbEESt5tupleIJNSH_6TensorESM_SM_EERKSM_lbbbEUlllE0_EEPmJS6_EEE10hipError_tPvRmT3_T4_T5_T6_T7_T9_mT8_P12ihipStream_tbDpT10_ENKUlT_T0_E_clISt17integral_constantIbLb1EES1C_EEDaS17_S18_EUlS17_E_NS1_11comp_targetILNS1_3genE4ELNS1_11target_archE910ELNS1_3gpuE8ELNS1_3repE0EEENS1_30default_config_static_selectorELNS0_4arch9wavefront6targetE0EEEvT1_,@function
_ZN7rocprim17ROCPRIM_400000_NS6detail17trampoline_kernelINS0_14default_configENS1_25partition_config_selectorILNS1_17partition_subalgoE8ElNS0_10empty_typeEbEEZZNS1_14partition_implILS5_8ELb0ES3_jPlPS6_PKS6_NS0_5tupleIJS9_S6_EEENSD_IJSA_SA_EEENS0_18inequality_wrapperIZN2at6native12_GLOBAL__N_124unique_dim_cuda_templateIbEESt5tupleIJNSH_6TensorESM_SM_EERKSM_lbbbEUlllE0_EEPmJS6_EEE10hipError_tPvRmT3_T4_T5_T6_T7_T9_mT8_P12ihipStream_tbDpT10_ENKUlT_T0_E_clISt17integral_constantIbLb1EES1C_EEDaS17_S18_EUlS17_E_NS1_11comp_targetILNS1_3genE4ELNS1_11target_archE910ELNS1_3gpuE8ELNS1_3repE0EEENS1_30default_config_static_selectorELNS0_4arch9wavefront6targetE0EEEvT1_: ; @_ZN7rocprim17ROCPRIM_400000_NS6detail17trampoline_kernelINS0_14default_configENS1_25partition_config_selectorILNS1_17partition_subalgoE8ElNS0_10empty_typeEbEEZZNS1_14partition_implILS5_8ELb0ES3_jPlPS6_PKS6_NS0_5tupleIJS9_S6_EEENSD_IJSA_SA_EEENS0_18inequality_wrapperIZN2at6native12_GLOBAL__N_124unique_dim_cuda_templateIbEESt5tupleIJNSH_6TensorESM_SM_EERKSM_lbbbEUlllE0_EEPmJS6_EEE10hipError_tPvRmT3_T4_T5_T6_T7_T9_mT8_P12ihipStream_tbDpT10_ENKUlT_T0_E_clISt17integral_constantIbLb1EES1C_EEDaS17_S18_EUlS17_E_NS1_11comp_targetILNS1_3genE4ELNS1_11target_archE910ELNS1_3gpuE8ELNS1_3repE0EEENS1_30default_config_static_selectorELNS0_4arch9wavefront6targetE0EEEvT1_
; %bb.0:
	.section	.rodata,"a",@progbits
	.p2align	6, 0x0
	.amdhsa_kernel _ZN7rocprim17ROCPRIM_400000_NS6detail17trampoline_kernelINS0_14default_configENS1_25partition_config_selectorILNS1_17partition_subalgoE8ElNS0_10empty_typeEbEEZZNS1_14partition_implILS5_8ELb0ES3_jPlPS6_PKS6_NS0_5tupleIJS9_S6_EEENSD_IJSA_SA_EEENS0_18inequality_wrapperIZN2at6native12_GLOBAL__N_124unique_dim_cuda_templateIbEESt5tupleIJNSH_6TensorESM_SM_EERKSM_lbbbEUlllE0_EEPmJS6_EEE10hipError_tPvRmT3_T4_T5_T6_T7_T9_mT8_P12ihipStream_tbDpT10_ENKUlT_T0_E_clISt17integral_constantIbLb1EES1C_EEDaS17_S18_EUlS17_E_NS1_11comp_targetILNS1_3genE4ELNS1_11target_archE910ELNS1_3gpuE8ELNS1_3repE0EEENS1_30default_config_static_selectorELNS0_4arch9wavefront6targetE0EEEvT1_
		.amdhsa_group_segment_fixed_size 0
		.amdhsa_private_segment_fixed_size 0
		.amdhsa_kernarg_size 136
		.amdhsa_user_sgpr_count 2
		.amdhsa_user_sgpr_dispatch_ptr 0
		.amdhsa_user_sgpr_queue_ptr 0
		.amdhsa_user_sgpr_kernarg_segment_ptr 1
		.amdhsa_user_sgpr_dispatch_id 0
		.amdhsa_user_sgpr_kernarg_preload_length 0
		.amdhsa_user_sgpr_kernarg_preload_offset 0
		.amdhsa_user_sgpr_private_segment_size 0
		.amdhsa_wavefront_size32 1
		.amdhsa_uses_dynamic_stack 0
		.amdhsa_enable_private_segment 0
		.amdhsa_system_sgpr_workgroup_id_x 1
		.amdhsa_system_sgpr_workgroup_id_y 0
		.amdhsa_system_sgpr_workgroup_id_z 0
		.amdhsa_system_sgpr_workgroup_info 0
		.amdhsa_system_vgpr_workitem_id 0
		.amdhsa_next_free_vgpr 1
		.amdhsa_next_free_sgpr 1
		.amdhsa_named_barrier_count 0
		.amdhsa_reserve_vcc 0
		.amdhsa_float_round_mode_32 0
		.amdhsa_float_round_mode_16_64 0
		.amdhsa_float_denorm_mode_32 3
		.amdhsa_float_denorm_mode_16_64 3
		.amdhsa_fp16_overflow 0
		.amdhsa_memory_ordered 1
		.amdhsa_forward_progress 1
		.amdhsa_inst_pref_size 0
		.amdhsa_round_robin_scheduling 0
		.amdhsa_exception_fp_ieee_invalid_op 0
		.amdhsa_exception_fp_denorm_src 0
		.amdhsa_exception_fp_ieee_div_zero 0
		.amdhsa_exception_fp_ieee_overflow 0
		.amdhsa_exception_fp_ieee_underflow 0
		.amdhsa_exception_fp_ieee_inexact 0
		.amdhsa_exception_int_div_zero 0
	.end_amdhsa_kernel
	.section	.text._ZN7rocprim17ROCPRIM_400000_NS6detail17trampoline_kernelINS0_14default_configENS1_25partition_config_selectorILNS1_17partition_subalgoE8ElNS0_10empty_typeEbEEZZNS1_14partition_implILS5_8ELb0ES3_jPlPS6_PKS6_NS0_5tupleIJS9_S6_EEENSD_IJSA_SA_EEENS0_18inequality_wrapperIZN2at6native12_GLOBAL__N_124unique_dim_cuda_templateIbEESt5tupleIJNSH_6TensorESM_SM_EERKSM_lbbbEUlllE0_EEPmJS6_EEE10hipError_tPvRmT3_T4_T5_T6_T7_T9_mT8_P12ihipStream_tbDpT10_ENKUlT_T0_E_clISt17integral_constantIbLb1EES1C_EEDaS17_S18_EUlS17_E_NS1_11comp_targetILNS1_3genE4ELNS1_11target_archE910ELNS1_3gpuE8ELNS1_3repE0EEENS1_30default_config_static_selectorELNS0_4arch9wavefront6targetE0EEEvT1_,"axG",@progbits,_ZN7rocprim17ROCPRIM_400000_NS6detail17trampoline_kernelINS0_14default_configENS1_25partition_config_selectorILNS1_17partition_subalgoE8ElNS0_10empty_typeEbEEZZNS1_14partition_implILS5_8ELb0ES3_jPlPS6_PKS6_NS0_5tupleIJS9_S6_EEENSD_IJSA_SA_EEENS0_18inequality_wrapperIZN2at6native12_GLOBAL__N_124unique_dim_cuda_templateIbEESt5tupleIJNSH_6TensorESM_SM_EERKSM_lbbbEUlllE0_EEPmJS6_EEE10hipError_tPvRmT3_T4_T5_T6_T7_T9_mT8_P12ihipStream_tbDpT10_ENKUlT_T0_E_clISt17integral_constantIbLb1EES1C_EEDaS17_S18_EUlS17_E_NS1_11comp_targetILNS1_3genE4ELNS1_11target_archE910ELNS1_3gpuE8ELNS1_3repE0EEENS1_30default_config_static_selectorELNS0_4arch9wavefront6targetE0EEEvT1_,comdat
.Lfunc_end1061:
	.size	_ZN7rocprim17ROCPRIM_400000_NS6detail17trampoline_kernelINS0_14default_configENS1_25partition_config_selectorILNS1_17partition_subalgoE8ElNS0_10empty_typeEbEEZZNS1_14partition_implILS5_8ELb0ES3_jPlPS6_PKS6_NS0_5tupleIJS9_S6_EEENSD_IJSA_SA_EEENS0_18inequality_wrapperIZN2at6native12_GLOBAL__N_124unique_dim_cuda_templateIbEESt5tupleIJNSH_6TensorESM_SM_EERKSM_lbbbEUlllE0_EEPmJS6_EEE10hipError_tPvRmT3_T4_T5_T6_T7_T9_mT8_P12ihipStream_tbDpT10_ENKUlT_T0_E_clISt17integral_constantIbLb1EES1C_EEDaS17_S18_EUlS17_E_NS1_11comp_targetILNS1_3genE4ELNS1_11target_archE910ELNS1_3gpuE8ELNS1_3repE0EEENS1_30default_config_static_selectorELNS0_4arch9wavefront6targetE0EEEvT1_, .Lfunc_end1061-_ZN7rocprim17ROCPRIM_400000_NS6detail17trampoline_kernelINS0_14default_configENS1_25partition_config_selectorILNS1_17partition_subalgoE8ElNS0_10empty_typeEbEEZZNS1_14partition_implILS5_8ELb0ES3_jPlPS6_PKS6_NS0_5tupleIJS9_S6_EEENSD_IJSA_SA_EEENS0_18inequality_wrapperIZN2at6native12_GLOBAL__N_124unique_dim_cuda_templateIbEESt5tupleIJNSH_6TensorESM_SM_EERKSM_lbbbEUlllE0_EEPmJS6_EEE10hipError_tPvRmT3_T4_T5_T6_T7_T9_mT8_P12ihipStream_tbDpT10_ENKUlT_T0_E_clISt17integral_constantIbLb1EES1C_EEDaS17_S18_EUlS17_E_NS1_11comp_targetILNS1_3genE4ELNS1_11target_archE910ELNS1_3gpuE8ELNS1_3repE0EEENS1_30default_config_static_selectorELNS0_4arch9wavefront6targetE0EEEvT1_
                                        ; -- End function
	.set _ZN7rocprim17ROCPRIM_400000_NS6detail17trampoline_kernelINS0_14default_configENS1_25partition_config_selectorILNS1_17partition_subalgoE8ElNS0_10empty_typeEbEEZZNS1_14partition_implILS5_8ELb0ES3_jPlPS6_PKS6_NS0_5tupleIJS9_S6_EEENSD_IJSA_SA_EEENS0_18inequality_wrapperIZN2at6native12_GLOBAL__N_124unique_dim_cuda_templateIbEESt5tupleIJNSH_6TensorESM_SM_EERKSM_lbbbEUlllE0_EEPmJS6_EEE10hipError_tPvRmT3_T4_T5_T6_T7_T9_mT8_P12ihipStream_tbDpT10_ENKUlT_T0_E_clISt17integral_constantIbLb1EES1C_EEDaS17_S18_EUlS17_E_NS1_11comp_targetILNS1_3genE4ELNS1_11target_archE910ELNS1_3gpuE8ELNS1_3repE0EEENS1_30default_config_static_selectorELNS0_4arch9wavefront6targetE0EEEvT1_.num_vgpr, 0
	.set _ZN7rocprim17ROCPRIM_400000_NS6detail17trampoline_kernelINS0_14default_configENS1_25partition_config_selectorILNS1_17partition_subalgoE8ElNS0_10empty_typeEbEEZZNS1_14partition_implILS5_8ELb0ES3_jPlPS6_PKS6_NS0_5tupleIJS9_S6_EEENSD_IJSA_SA_EEENS0_18inequality_wrapperIZN2at6native12_GLOBAL__N_124unique_dim_cuda_templateIbEESt5tupleIJNSH_6TensorESM_SM_EERKSM_lbbbEUlllE0_EEPmJS6_EEE10hipError_tPvRmT3_T4_T5_T6_T7_T9_mT8_P12ihipStream_tbDpT10_ENKUlT_T0_E_clISt17integral_constantIbLb1EES1C_EEDaS17_S18_EUlS17_E_NS1_11comp_targetILNS1_3genE4ELNS1_11target_archE910ELNS1_3gpuE8ELNS1_3repE0EEENS1_30default_config_static_selectorELNS0_4arch9wavefront6targetE0EEEvT1_.num_agpr, 0
	.set _ZN7rocprim17ROCPRIM_400000_NS6detail17trampoline_kernelINS0_14default_configENS1_25partition_config_selectorILNS1_17partition_subalgoE8ElNS0_10empty_typeEbEEZZNS1_14partition_implILS5_8ELb0ES3_jPlPS6_PKS6_NS0_5tupleIJS9_S6_EEENSD_IJSA_SA_EEENS0_18inequality_wrapperIZN2at6native12_GLOBAL__N_124unique_dim_cuda_templateIbEESt5tupleIJNSH_6TensorESM_SM_EERKSM_lbbbEUlllE0_EEPmJS6_EEE10hipError_tPvRmT3_T4_T5_T6_T7_T9_mT8_P12ihipStream_tbDpT10_ENKUlT_T0_E_clISt17integral_constantIbLb1EES1C_EEDaS17_S18_EUlS17_E_NS1_11comp_targetILNS1_3genE4ELNS1_11target_archE910ELNS1_3gpuE8ELNS1_3repE0EEENS1_30default_config_static_selectorELNS0_4arch9wavefront6targetE0EEEvT1_.numbered_sgpr, 0
	.set _ZN7rocprim17ROCPRIM_400000_NS6detail17trampoline_kernelINS0_14default_configENS1_25partition_config_selectorILNS1_17partition_subalgoE8ElNS0_10empty_typeEbEEZZNS1_14partition_implILS5_8ELb0ES3_jPlPS6_PKS6_NS0_5tupleIJS9_S6_EEENSD_IJSA_SA_EEENS0_18inequality_wrapperIZN2at6native12_GLOBAL__N_124unique_dim_cuda_templateIbEESt5tupleIJNSH_6TensorESM_SM_EERKSM_lbbbEUlllE0_EEPmJS6_EEE10hipError_tPvRmT3_T4_T5_T6_T7_T9_mT8_P12ihipStream_tbDpT10_ENKUlT_T0_E_clISt17integral_constantIbLb1EES1C_EEDaS17_S18_EUlS17_E_NS1_11comp_targetILNS1_3genE4ELNS1_11target_archE910ELNS1_3gpuE8ELNS1_3repE0EEENS1_30default_config_static_selectorELNS0_4arch9wavefront6targetE0EEEvT1_.num_named_barrier, 0
	.set _ZN7rocprim17ROCPRIM_400000_NS6detail17trampoline_kernelINS0_14default_configENS1_25partition_config_selectorILNS1_17partition_subalgoE8ElNS0_10empty_typeEbEEZZNS1_14partition_implILS5_8ELb0ES3_jPlPS6_PKS6_NS0_5tupleIJS9_S6_EEENSD_IJSA_SA_EEENS0_18inequality_wrapperIZN2at6native12_GLOBAL__N_124unique_dim_cuda_templateIbEESt5tupleIJNSH_6TensorESM_SM_EERKSM_lbbbEUlllE0_EEPmJS6_EEE10hipError_tPvRmT3_T4_T5_T6_T7_T9_mT8_P12ihipStream_tbDpT10_ENKUlT_T0_E_clISt17integral_constantIbLb1EES1C_EEDaS17_S18_EUlS17_E_NS1_11comp_targetILNS1_3genE4ELNS1_11target_archE910ELNS1_3gpuE8ELNS1_3repE0EEENS1_30default_config_static_selectorELNS0_4arch9wavefront6targetE0EEEvT1_.private_seg_size, 0
	.set _ZN7rocprim17ROCPRIM_400000_NS6detail17trampoline_kernelINS0_14default_configENS1_25partition_config_selectorILNS1_17partition_subalgoE8ElNS0_10empty_typeEbEEZZNS1_14partition_implILS5_8ELb0ES3_jPlPS6_PKS6_NS0_5tupleIJS9_S6_EEENSD_IJSA_SA_EEENS0_18inequality_wrapperIZN2at6native12_GLOBAL__N_124unique_dim_cuda_templateIbEESt5tupleIJNSH_6TensorESM_SM_EERKSM_lbbbEUlllE0_EEPmJS6_EEE10hipError_tPvRmT3_T4_T5_T6_T7_T9_mT8_P12ihipStream_tbDpT10_ENKUlT_T0_E_clISt17integral_constantIbLb1EES1C_EEDaS17_S18_EUlS17_E_NS1_11comp_targetILNS1_3genE4ELNS1_11target_archE910ELNS1_3gpuE8ELNS1_3repE0EEENS1_30default_config_static_selectorELNS0_4arch9wavefront6targetE0EEEvT1_.uses_vcc, 0
	.set _ZN7rocprim17ROCPRIM_400000_NS6detail17trampoline_kernelINS0_14default_configENS1_25partition_config_selectorILNS1_17partition_subalgoE8ElNS0_10empty_typeEbEEZZNS1_14partition_implILS5_8ELb0ES3_jPlPS6_PKS6_NS0_5tupleIJS9_S6_EEENSD_IJSA_SA_EEENS0_18inequality_wrapperIZN2at6native12_GLOBAL__N_124unique_dim_cuda_templateIbEESt5tupleIJNSH_6TensorESM_SM_EERKSM_lbbbEUlllE0_EEPmJS6_EEE10hipError_tPvRmT3_T4_T5_T6_T7_T9_mT8_P12ihipStream_tbDpT10_ENKUlT_T0_E_clISt17integral_constantIbLb1EES1C_EEDaS17_S18_EUlS17_E_NS1_11comp_targetILNS1_3genE4ELNS1_11target_archE910ELNS1_3gpuE8ELNS1_3repE0EEENS1_30default_config_static_selectorELNS0_4arch9wavefront6targetE0EEEvT1_.uses_flat_scratch, 0
	.set _ZN7rocprim17ROCPRIM_400000_NS6detail17trampoline_kernelINS0_14default_configENS1_25partition_config_selectorILNS1_17partition_subalgoE8ElNS0_10empty_typeEbEEZZNS1_14partition_implILS5_8ELb0ES3_jPlPS6_PKS6_NS0_5tupleIJS9_S6_EEENSD_IJSA_SA_EEENS0_18inequality_wrapperIZN2at6native12_GLOBAL__N_124unique_dim_cuda_templateIbEESt5tupleIJNSH_6TensorESM_SM_EERKSM_lbbbEUlllE0_EEPmJS6_EEE10hipError_tPvRmT3_T4_T5_T6_T7_T9_mT8_P12ihipStream_tbDpT10_ENKUlT_T0_E_clISt17integral_constantIbLb1EES1C_EEDaS17_S18_EUlS17_E_NS1_11comp_targetILNS1_3genE4ELNS1_11target_archE910ELNS1_3gpuE8ELNS1_3repE0EEENS1_30default_config_static_selectorELNS0_4arch9wavefront6targetE0EEEvT1_.has_dyn_sized_stack, 0
	.set _ZN7rocprim17ROCPRIM_400000_NS6detail17trampoline_kernelINS0_14default_configENS1_25partition_config_selectorILNS1_17partition_subalgoE8ElNS0_10empty_typeEbEEZZNS1_14partition_implILS5_8ELb0ES3_jPlPS6_PKS6_NS0_5tupleIJS9_S6_EEENSD_IJSA_SA_EEENS0_18inequality_wrapperIZN2at6native12_GLOBAL__N_124unique_dim_cuda_templateIbEESt5tupleIJNSH_6TensorESM_SM_EERKSM_lbbbEUlllE0_EEPmJS6_EEE10hipError_tPvRmT3_T4_T5_T6_T7_T9_mT8_P12ihipStream_tbDpT10_ENKUlT_T0_E_clISt17integral_constantIbLb1EES1C_EEDaS17_S18_EUlS17_E_NS1_11comp_targetILNS1_3genE4ELNS1_11target_archE910ELNS1_3gpuE8ELNS1_3repE0EEENS1_30default_config_static_selectorELNS0_4arch9wavefront6targetE0EEEvT1_.has_recursion, 0
	.set _ZN7rocprim17ROCPRIM_400000_NS6detail17trampoline_kernelINS0_14default_configENS1_25partition_config_selectorILNS1_17partition_subalgoE8ElNS0_10empty_typeEbEEZZNS1_14partition_implILS5_8ELb0ES3_jPlPS6_PKS6_NS0_5tupleIJS9_S6_EEENSD_IJSA_SA_EEENS0_18inequality_wrapperIZN2at6native12_GLOBAL__N_124unique_dim_cuda_templateIbEESt5tupleIJNSH_6TensorESM_SM_EERKSM_lbbbEUlllE0_EEPmJS6_EEE10hipError_tPvRmT3_T4_T5_T6_T7_T9_mT8_P12ihipStream_tbDpT10_ENKUlT_T0_E_clISt17integral_constantIbLb1EES1C_EEDaS17_S18_EUlS17_E_NS1_11comp_targetILNS1_3genE4ELNS1_11target_archE910ELNS1_3gpuE8ELNS1_3repE0EEENS1_30default_config_static_selectorELNS0_4arch9wavefront6targetE0EEEvT1_.has_indirect_call, 0
	.section	.AMDGPU.csdata,"",@progbits
; Kernel info:
; codeLenInByte = 0
; TotalNumSgprs: 0
; NumVgprs: 0
; ScratchSize: 0
; MemoryBound: 0
; FloatMode: 240
; IeeeMode: 1
; LDSByteSize: 0 bytes/workgroup (compile time only)
; SGPRBlocks: 0
; VGPRBlocks: 0
; NumSGPRsForWavesPerEU: 1
; NumVGPRsForWavesPerEU: 1
; NamedBarCnt: 0
; Occupancy: 16
; WaveLimiterHint : 0
; COMPUTE_PGM_RSRC2:SCRATCH_EN: 0
; COMPUTE_PGM_RSRC2:USER_SGPR: 2
; COMPUTE_PGM_RSRC2:TRAP_HANDLER: 0
; COMPUTE_PGM_RSRC2:TGID_X_EN: 1
; COMPUTE_PGM_RSRC2:TGID_Y_EN: 0
; COMPUTE_PGM_RSRC2:TGID_Z_EN: 0
; COMPUTE_PGM_RSRC2:TIDIG_COMP_CNT: 0
	.section	.text._ZN7rocprim17ROCPRIM_400000_NS6detail17trampoline_kernelINS0_14default_configENS1_25partition_config_selectorILNS1_17partition_subalgoE8ElNS0_10empty_typeEbEEZZNS1_14partition_implILS5_8ELb0ES3_jPlPS6_PKS6_NS0_5tupleIJS9_S6_EEENSD_IJSA_SA_EEENS0_18inequality_wrapperIZN2at6native12_GLOBAL__N_124unique_dim_cuda_templateIbEESt5tupleIJNSH_6TensorESM_SM_EERKSM_lbbbEUlllE0_EEPmJS6_EEE10hipError_tPvRmT3_T4_T5_T6_T7_T9_mT8_P12ihipStream_tbDpT10_ENKUlT_T0_E_clISt17integral_constantIbLb1EES1C_EEDaS17_S18_EUlS17_E_NS1_11comp_targetILNS1_3genE3ELNS1_11target_archE908ELNS1_3gpuE7ELNS1_3repE0EEENS1_30default_config_static_selectorELNS0_4arch9wavefront6targetE0EEEvT1_,"axG",@progbits,_ZN7rocprim17ROCPRIM_400000_NS6detail17trampoline_kernelINS0_14default_configENS1_25partition_config_selectorILNS1_17partition_subalgoE8ElNS0_10empty_typeEbEEZZNS1_14partition_implILS5_8ELb0ES3_jPlPS6_PKS6_NS0_5tupleIJS9_S6_EEENSD_IJSA_SA_EEENS0_18inequality_wrapperIZN2at6native12_GLOBAL__N_124unique_dim_cuda_templateIbEESt5tupleIJNSH_6TensorESM_SM_EERKSM_lbbbEUlllE0_EEPmJS6_EEE10hipError_tPvRmT3_T4_T5_T6_T7_T9_mT8_P12ihipStream_tbDpT10_ENKUlT_T0_E_clISt17integral_constantIbLb1EES1C_EEDaS17_S18_EUlS17_E_NS1_11comp_targetILNS1_3genE3ELNS1_11target_archE908ELNS1_3gpuE7ELNS1_3repE0EEENS1_30default_config_static_selectorELNS0_4arch9wavefront6targetE0EEEvT1_,comdat
	.globl	_ZN7rocprim17ROCPRIM_400000_NS6detail17trampoline_kernelINS0_14default_configENS1_25partition_config_selectorILNS1_17partition_subalgoE8ElNS0_10empty_typeEbEEZZNS1_14partition_implILS5_8ELb0ES3_jPlPS6_PKS6_NS0_5tupleIJS9_S6_EEENSD_IJSA_SA_EEENS0_18inequality_wrapperIZN2at6native12_GLOBAL__N_124unique_dim_cuda_templateIbEESt5tupleIJNSH_6TensorESM_SM_EERKSM_lbbbEUlllE0_EEPmJS6_EEE10hipError_tPvRmT3_T4_T5_T6_T7_T9_mT8_P12ihipStream_tbDpT10_ENKUlT_T0_E_clISt17integral_constantIbLb1EES1C_EEDaS17_S18_EUlS17_E_NS1_11comp_targetILNS1_3genE3ELNS1_11target_archE908ELNS1_3gpuE7ELNS1_3repE0EEENS1_30default_config_static_selectorELNS0_4arch9wavefront6targetE0EEEvT1_ ; -- Begin function _ZN7rocprim17ROCPRIM_400000_NS6detail17trampoline_kernelINS0_14default_configENS1_25partition_config_selectorILNS1_17partition_subalgoE8ElNS0_10empty_typeEbEEZZNS1_14partition_implILS5_8ELb0ES3_jPlPS6_PKS6_NS0_5tupleIJS9_S6_EEENSD_IJSA_SA_EEENS0_18inequality_wrapperIZN2at6native12_GLOBAL__N_124unique_dim_cuda_templateIbEESt5tupleIJNSH_6TensorESM_SM_EERKSM_lbbbEUlllE0_EEPmJS6_EEE10hipError_tPvRmT3_T4_T5_T6_T7_T9_mT8_P12ihipStream_tbDpT10_ENKUlT_T0_E_clISt17integral_constantIbLb1EES1C_EEDaS17_S18_EUlS17_E_NS1_11comp_targetILNS1_3genE3ELNS1_11target_archE908ELNS1_3gpuE7ELNS1_3repE0EEENS1_30default_config_static_selectorELNS0_4arch9wavefront6targetE0EEEvT1_
	.p2align	8
	.type	_ZN7rocprim17ROCPRIM_400000_NS6detail17trampoline_kernelINS0_14default_configENS1_25partition_config_selectorILNS1_17partition_subalgoE8ElNS0_10empty_typeEbEEZZNS1_14partition_implILS5_8ELb0ES3_jPlPS6_PKS6_NS0_5tupleIJS9_S6_EEENSD_IJSA_SA_EEENS0_18inequality_wrapperIZN2at6native12_GLOBAL__N_124unique_dim_cuda_templateIbEESt5tupleIJNSH_6TensorESM_SM_EERKSM_lbbbEUlllE0_EEPmJS6_EEE10hipError_tPvRmT3_T4_T5_T6_T7_T9_mT8_P12ihipStream_tbDpT10_ENKUlT_T0_E_clISt17integral_constantIbLb1EES1C_EEDaS17_S18_EUlS17_E_NS1_11comp_targetILNS1_3genE3ELNS1_11target_archE908ELNS1_3gpuE7ELNS1_3repE0EEENS1_30default_config_static_selectorELNS0_4arch9wavefront6targetE0EEEvT1_,@function
_ZN7rocprim17ROCPRIM_400000_NS6detail17trampoline_kernelINS0_14default_configENS1_25partition_config_selectorILNS1_17partition_subalgoE8ElNS0_10empty_typeEbEEZZNS1_14partition_implILS5_8ELb0ES3_jPlPS6_PKS6_NS0_5tupleIJS9_S6_EEENSD_IJSA_SA_EEENS0_18inequality_wrapperIZN2at6native12_GLOBAL__N_124unique_dim_cuda_templateIbEESt5tupleIJNSH_6TensorESM_SM_EERKSM_lbbbEUlllE0_EEPmJS6_EEE10hipError_tPvRmT3_T4_T5_T6_T7_T9_mT8_P12ihipStream_tbDpT10_ENKUlT_T0_E_clISt17integral_constantIbLb1EES1C_EEDaS17_S18_EUlS17_E_NS1_11comp_targetILNS1_3genE3ELNS1_11target_archE908ELNS1_3gpuE7ELNS1_3repE0EEENS1_30default_config_static_selectorELNS0_4arch9wavefront6targetE0EEEvT1_: ; @_ZN7rocprim17ROCPRIM_400000_NS6detail17trampoline_kernelINS0_14default_configENS1_25partition_config_selectorILNS1_17partition_subalgoE8ElNS0_10empty_typeEbEEZZNS1_14partition_implILS5_8ELb0ES3_jPlPS6_PKS6_NS0_5tupleIJS9_S6_EEENSD_IJSA_SA_EEENS0_18inequality_wrapperIZN2at6native12_GLOBAL__N_124unique_dim_cuda_templateIbEESt5tupleIJNSH_6TensorESM_SM_EERKSM_lbbbEUlllE0_EEPmJS6_EEE10hipError_tPvRmT3_T4_T5_T6_T7_T9_mT8_P12ihipStream_tbDpT10_ENKUlT_T0_E_clISt17integral_constantIbLb1EES1C_EEDaS17_S18_EUlS17_E_NS1_11comp_targetILNS1_3genE3ELNS1_11target_archE908ELNS1_3gpuE7ELNS1_3repE0EEENS1_30default_config_static_selectorELNS0_4arch9wavefront6targetE0EEEvT1_
; %bb.0:
	.section	.rodata,"a",@progbits
	.p2align	6, 0x0
	.amdhsa_kernel _ZN7rocprim17ROCPRIM_400000_NS6detail17trampoline_kernelINS0_14default_configENS1_25partition_config_selectorILNS1_17partition_subalgoE8ElNS0_10empty_typeEbEEZZNS1_14partition_implILS5_8ELb0ES3_jPlPS6_PKS6_NS0_5tupleIJS9_S6_EEENSD_IJSA_SA_EEENS0_18inequality_wrapperIZN2at6native12_GLOBAL__N_124unique_dim_cuda_templateIbEESt5tupleIJNSH_6TensorESM_SM_EERKSM_lbbbEUlllE0_EEPmJS6_EEE10hipError_tPvRmT3_T4_T5_T6_T7_T9_mT8_P12ihipStream_tbDpT10_ENKUlT_T0_E_clISt17integral_constantIbLb1EES1C_EEDaS17_S18_EUlS17_E_NS1_11comp_targetILNS1_3genE3ELNS1_11target_archE908ELNS1_3gpuE7ELNS1_3repE0EEENS1_30default_config_static_selectorELNS0_4arch9wavefront6targetE0EEEvT1_
		.amdhsa_group_segment_fixed_size 0
		.amdhsa_private_segment_fixed_size 0
		.amdhsa_kernarg_size 136
		.amdhsa_user_sgpr_count 2
		.amdhsa_user_sgpr_dispatch_ptr 0
		.amdhsa_user_sgpr_queue_ptr 0
		.amdhsa_user_sgpr_kernarg_segment_ptr 1
		.amdhsa_user_sgpr_dispatch_id 0
		.amdhsa_user_sgpr_kernarg_preload_length 0
		.amdhsa_user_sgpr_kernarg_preload_offset 0
		.amdhsa_user_sgpr_private_segment_size 0
		.amdhsa_wavefront_size32 1
		.amdhsa_uses_dynamic_stack 0
		.amdhsa_enable_private_segment 0
		.amdhsa_system_sgpr_workgroup_id_x 1
		.amdhsa_system_sgpr_workgroup_id_y 0
		.amdhsa_system_sgpr_workgroup_id_z 0
		.amdhsa_system_sgpr_workgroup_info 0
		.amdhsa_system_vgpr_workitem_id 0
		.amdhsa_next_free_vgpr 1
		.amdhsa_next_free_sgpr 1
		.amdhsa_named_barrier_count 0
		.amdhsa_reserve_vcc 0
		.amdhsa_float_round_mode_32 0
		.amdhsa_float_round_mode_16_64 0
		.amdhsa_float_denorm_mode_32 3
		.amdhsa_float_denorm_mode_16_64 3
		.amdhsa_fp16_overflow 0
		.amdhsa_memory_ordered 1
		.amdhsa_forward_progress 1
		.amdhsa_inst_pref_size 0
		.amdhsa_round_robin_scheduling 0
		.amdhsa_exception_fp_ieee_invalid_op 0
		.amdhsa_exception_fp_denorm_src 0
		.amdhsa_exception_fp_ieee_div_zero 0
		.amdhsa_exception_fp_ieee_overflow 0
		.amdhsa_exception_fp_ieee_underflow 0
		.amdhsa_exception_fp_ieee_inexact 0
		.amdhsa_exception_int_div_zero 0
	.end_amdhsa_kernel
	.section	.text._ZN7rocprim17ROCPRIM_400000_NS6detail17trampoline_kernelINS0_14default_configENS1_25partition_config_selectorILNS1_17partition_subalgoE8ElNS0_10empty_typeEbEEZZNS1_14partition_implILS5_8ELb0ES3_jPlPS6_PKS6_NS0_5tupleIJS9_S6_EEENSD_IJSA_SA_EEENS0_18inequality_wrapperIZN2at6native12_GLOBAL__N_124unique_dim_cuda_templateIbEESt5tupleIJNSH_6TensorESM_SM_EERKSM_lbbbEUlllE0_EEPmJS6_EEE10hipError_tPvRmT3_T4_T5_T6_T7_T9_mT8_P12ihipStream_tbDpT10_ENKUlT_T0_E_clISt17integral_constantIbLb1EES1C_EEDaS17_S18_EUlS17_E_NS1_11comp_targetILNS1_3genE3ELNS1_11target_archE908ELNS1_3gpuE7ELNS1_3repE0EEENS1_30default_config_static_selectorELNS0_4arch9wavefront6targetE0EEEvT1_,"axG",@progbits,_ZN7rocprim17ROCPRIM_400000_NS6detail17trampoline_kernelINS0_14default_configENS1_25partition_config_selectorILNS1_17partition_subalgoE8ElNS0_10empty_typeEbEEZZNS1_14partition_implILS5_8ELb0ES3_jPlPS6_PKS6_NS0_5tupleIJS9_S6_EEENSD_IJSA_SA_EEENS0_18inequality_wrapperIZN2at6native12_GLOBAL__N_124unique_dim_cuda_templateIbEESt5tupleIJNSH_6TensorESM_SM_EERKSM_lbbbEUlllE0_EEPmJS6_EEE10hipError_tPvRmT3_T4_T5_T6_T7_T9_mT8_P12ihipStream_tbDpT10_ENKUlT_T0_E_clISt17integral_constantIbLb1EES1C_EEDaS17_S18_EUlS17_E_NS1_11comp_targetILNS1_3genE3ELNS1_11target_archE908ELNS1_3gpuE7ELNS1_3repE0EEENS1_30default_config_static_selectorELNS0_4arch9wavefront6targetE0EEEvT1_,comdat
.Lfunc_end1062:
	.size	_ZN7rocprim17ROCPRIM_400000_NS6detail17trampoline_kernelINS0_14default_configENS1_25partition_config_selectorILNS1_17partition_subalgoE8ElNS0_10empty_typeEbEEZZNS1_14partition_implILS5_8ELb0ES3_jPlPS6_PKS6_NS0_5tupleIJS9_S6_EEENSD_IJSA_SA_EEENS0_18inequality_wrapperIZN2at6native12_GLOBAL__N_124unique_dim_cuda_templateIbEESt5tupleIJNSH_6TensorESM_SM_EERKSM_lbbbEUlllE0_EEPmJS6_EEE10hipError_tPvRmT3_T4_T5_T6_T7_T9_mT8_P12ihipStream_tbDpT10_ENKUlT_T0_E_clISt17integral_constantIbLb1EES1C_EEDaS17_S18_EUlS17_E_NS1_11comp_targetILNS1_3genE3ELNS1_11target_archE908ELNS1_3gpuE7ELNS1_3repE0EEENS1_30default_config_static_selectorELNS0_4arch9wavefront6targetE0EEEvT1_, .Lfunc_end1062-_ZN7rocprim17ROCPRIM_400000_NS6detail17trampoline_kernelINS0_14default_configENS1_25partition_config_selectorILNS1_17partition_subalgoE8ElNS0_10empty_typeEbEEZZNS1_14partition_implILS5_8ELb0ES3_jPlPS6_PKS6_NS0_5tupleIJS9_S6_EEENSD_IJSA_SA_EEENS0_18inequality_wrapperIZN2at6native12_GLOBAL__N_124unique_dim_cuda_templateIbEESt5tupleIJNSH_6TensorESM_SM_EERKSM_lbbbEUlllE0_EEPmJS6_EEE10hipError_tPvRmT3_T4_T5_T6_T7_T9_mT8_P12ihipStream_tbDpT10_ENKUlT_T0_E_clISt17integral_constantIbLb1EES1C_EEDaS17_S18_EUlS17_E_NS1_11comp_targetILNS1_3genE3ELNS1_11target_archE908ELNS1_3gpuE7ELNS1_3repE0EEENS1_30default_config_static_selectorELNS0_4arch9wavefront6targetE0EEEvT1_
                                        ; -- End function
	.set _ZN7rocprim17ROCPRIM_400000_NS6detail17trampoline_kernelINS0_14default_configENS1_25partition_config_selectorILNS1_17partition_subalgoE8ElNS0_10empty_typeEbEEZZNS1_14partition_implILS5_8ELb0ES3_jPlPS6_PKS6_NS0_5tupleIJS9_S6_EEENSD_IJSA_SA_EEENS0_18inequality_wrapperIZN2at6native12_GLOBAL__N_124unique_dim_cuda_templateIbEESt5tupleIJNSH_6TensorESM_SM_EERKSM_lbbbEUlllE0_EEPmJS6_EEE10hipError_tPvRmT3_T4_T5_T6_T7_T9_mT8_P12ihipStream_tbDpT10_ENKUlT_T0_E_clISt17integral_constantIbLb1EES1C_EEDaS17_S18_EUlS17_E_NS1_11comp_targetILNS1_3genE3ELNS1_11target_archE908ELNS1_3gpuE7ELNS1_3repE0EEENS1_30default_config_static_selectorELNS0_4arch9wavefront6targetE0EEEvT1_.num_vgpr, 0
	.set _ZN7rocprim17ROCPRIM_400000_NS6detail17trampoline_kernelINS0_14default_configENS1_25partition_config_selectorILNS1_17partition_subalgoE8ElNS0_10empty_typeEbEEZZNS1_14partition_implILS5_8ELb0ES3_jPlPS6_PKS6_NS0_5tupleIJS9_S6_EEENSD_IJSA_SA_EEENS0_18inequality_wrapperIZN2at6native12_GLOBAL__N_124unique_dim_cuda_templateIbEESt5tupleIJNSH_6TensorESM_SM_EERKSM_lbbbEUlllE0_EEPmJS6_EEE10hipError_tPvRmT3_T4_T5_T6_T7_T9_mT8_P12ihipStream_tbDpT10_ENKUlT_T0_E_clISt17integral_constantIbLb1EES1C_EEDaS17_S18_EUlS17_E_NS1_11comp_targetILNS1_3genE3ELNS1_11target_archE908ELNS1_3gpuE7ELNS1_3repE0EEENS1_30default_config_static_selectorELNS0_4arch9wavefront6targetE0EEEvT1_.num_agpr, 0
	.set _ZN7rocprim17ROCPRIM_400000_NS6detail17trampoline_kernelINS0_14default_configENS1_25partition_config_selectorILNS1_17partition_subalgoE8ElNS0_10empty_typeEbEEZZNS1_14partition_implILS5_8ELb0ES3_jPlPS6_PKS6_NS0_5tupleIJS9_S6_EEENSD_IJSA_SA_EEENS0_18inequality_wrapperIZN2at6native12_GLOBAL__N_124unique_dim_cuda_templateIbEESt5tupleIJNSH_6TensorESM_SM_EERKSM_lbbbEUlllE0_EEPmJS6_EEE10hipError_tPvRmT3_T4_T5_T6_T7_T9_mT8_P12ihipStream_tbDpT10_ENKUlT_T0_E_clISt17integral_constantIbLb1EES1C_EEDaS17_S18_EUlS17_E_NS1_11comp_targetILNS1_3genE3ELNS1_11target_archE908ELNS1_3gpuE7ELNS1_3repE0EEENS1_30default_config_static_selectorELNS0_4arch9wavefront6targetE0EEEvT1_.numbered_sgpr, 0
	.set _ZN7rocprim17ROCPRIM_400000_NS6detail17trampoline_kernelINS0_14default_configENS1_25partition_config_selectorILNS1_17partition_subalgoE8ElNS0_10empty_typeEbEEZZNS1_14partition_implILS5_8ELb0ES3_jPlPS6_PKS6_NS0_5tupleIJS9_S6_EEENSD_IJSA_SA_EEENS0_18inequality_wrapperIZN2at6native12_GLOBAL__N_124unique_dim_cuda_templateIbEESt5tupleIJNSH_6TensorESM_SM_EERKSM_lbbbEUlllE0_EEPmJS6_EEE10hipError_tPvRmT3_T4_T5_T6_T7_T9_mT8_P12ihipStream_tbDpT10_ENKUlT_T0_E_clISt17integral_constantIbLb1EES1C_EEDaS17_S18_EUlS17_E_NS1_11comp_targetILNS1_3genE3ELNS1_11target_archE908ELNS1_3gpuE7ELNS1_3repE0EEENS1_30default_config_static_selectorELNS0_4arch9wavefront6targetE0EEEvT1_.num_named_barrier, 0
	.set _ZN7rocprim17ROCPRIM_400000_NS6detail17trampoline_kernelINS0_14default_configENS1_25partition_config_selectorILNS1_17partition_subalgoE8ElNS0_10empty_typeEbEEZZNS1_14partition_implILS5_8ELb0ES3_jPlPS6_PKS6_NS0_5tupleIJS9_S6_EEENSD_IJSA_SA_EEENS0_18inequality_wrapperIZN2at6native12_GLOBAL__N_124unique_dim_cuda_templateIbEESt5tupleIJNSH_6TensorESM_SM_EERKSM_lbbbEUlllE0_EEPmJS6_EEE10hipError_tPvRmT3_T4_T5_T6_T7_T9_mT8_P12ihipStream_tbDpT10_ENKUlT_T0_E_clISt17integral_constantIbLb1EES1C_EEDaS17_S18_EUlS17_E_NS1_11comp_targetILNS1_3genE3ELNS1_11target_archE908ELNS1_3gpuE7ELNS1_3repE0EEENS1_30default_config_static_selectorELNS0_4arch9wavefront6targetE0EEEvT1_.private_seg_size, 0
	.set _ZN7rocprim17ROCPRIM_400000_NS6detail17trampoline_kernelINS0_14default_configENS1_25partition_config_selectorILNS1_17partition_subalgoE8ElNS0_10empty_typeEbEEZZNS1_14partition_implILS5_8ELb0ES3_jPlPS6_PKS6_NS0_5tupleIJS9_S6_EEENSD_IJSA_SA_EEENS0_18inequality_wrapperIZN2at6native12_GLOBAL__N_124unique_dim_cuda_templateIbEESt5tupleIJNSH_6TensorESM_SM_EERKSM_lbbbEUlllE0_EEPmJS6_EEE10hipError_tPvRmT3_T4_T5_T6_T7_T9_mT8_P12ihipStream_tbDpT10_ENKUlT_T0_E_clISt17integral_constantIbLb1EES1C_EEDaS17_S18_EUlS17_E_NS1_11comp_targetILNS1_3genE3ELNS1_11target_archE908ELNS1_3gpuE7ELNS1_3repE0EEENS1_30default_config_static_selectorELNS0_4arch9wavefront6targetE0EEEvT1_.uses_vcc, 0
	.set _ZN7rocprim17ROCPRIM_400000_NS6detail17trampoline_kernelINS0_14default_configENS1_25partition_config_selectorILNS1_17partition_subalgoE8ElNS0_10empty_typeEbEEZZNS1_14partition_implILS5_8ELb0ES3_jPlPS6_PKS6_NS0_5tupleIJS9_S6_EEENSD_IJSA_SA_EEENS0_18inequality_wrapperIZN2at6native12_GLOBAL__N_124unique_dim_cuda_templateIbEESt5tupleIJNSH_6TensorESM_SM_EERKSM_lbbbEUlllE0_EEPmJS6_EEE10hipError_tPvRmT3_T4_T5_T6_T7_T9_mT8_P12ihipStream_tbDpT10_ENKUlT_T0_E_clISt17integral_constantIbLb1EES1C_EEDaS17_S18_EUlS17_E_NS1_11comp_targetILNS1_3genE3ELNS1_11target_archE908ELNS1_3gpuE7ELNS1_3repE0EEENS1_30default_config_static_selectorELNS0_4arch9wavefront6targetE0EEEvT1_.uses_flat_scratch, 0
	.set _ZN7rocprim17ROCPRIM_400000_NS6detail17trampoline_kernelINS0_14default_configENS1_25partition_config_selectorILNS1_17partition_subalgoE8ElNS0_10empty_typeEbEEZZNS1_14partition_implILS5_8ELb0ES3_jPlPS6_PKS6_NS0_5tupleIJS9_S6_EEENSD_IJSA_SA_EEENS0_18inequality_wrapperIZN2at6native12_GLOBAL__N_124unique_dim_cuda_templateIbEESt5tupleIJNSH_6TensorESM_SM_EERKSM_lbbbEUlllE0_EEPmJS6_EEE10hipError_tPvRmT3_T4_T5_T6_T7_T9_mT8_P12ihipStream_tbDpT10_ENKUlT_T0_E_clISt17integral_constantIbLb1EES1C_EEDaS17_S18_EUlS17_E_NS1_11comp_targetILNS1_3genE3ELNS1_11target_archE908ELNS1_3gpuE7ELNS1_3repE0EEENS1_30default_config_static_selectorELNS0_4arch9wavefront6targetE0EEEvT1_.has_dyn_sized_stack, 0
	.set _ZN7rocprim17ROCPRIM_400000_NS6detail17trampoline_kernelINS0_14default_configENS1_25partition_config_selectorILNS1_17partition_subalgoE8ElNS0_10empty_typeEbEEZZNS1_14partition_implILS5_8ELb0ES3_jPlPS6_PKS6_NS0_5tupleIJS9_S6_EEENSD_IJSA_SA_EEENS0_18inequality_wrapperIZN2at6native12_GLOBAL__N_124unique_dim_cuda_templateIbEESt5tupleIJNSH_6TensorESM_SM_EERKSM_lbbbEUlllE0_EEPmJS6_EEE10hipError_tPvRmT3_T4_T5_T6_T7_T9_mT8_P12ihipStream_tbDpT10_ENKUlT_T0_E_clISt17integral_constantIbLb1EES1C_EEDaS17_S18_EUlS17_E_NS1_11comp_targetILNS1_3genE3ELNS1_11target_archE908ELNS1_3gpuE7ELNS1_3repE0EEENS1_30default_config_static_selectorELNS0_4arch9wavefront6targetE0EEEvT1_.has_recursion, 0
	.set _ZN7rocprim17ROCPRIM_400000_NS6detail17trampoline_kernelINS0_14default_configENS1_25partition_config_selectorILNS1_17partition_subalgoE8ElNS0_10empty_typeEbEEZZNS1_14partition_implILS5_8ELb0ES3_jPlPS6_PKS6_NS0_5tupleIJS9_S6_EEENSD_IJSA_SA_EEENS0_18inequality_wrapperIZN2at6native12_GLOBAL__N_124unique_dim_cuda_templateIbEESt5tupleIJNSH_6TensorESM_SM_EERKSM_lbbbEUlllE0_EEPmJS6_EEE10hipError_tPvRmT3_T4_T5_T6_T7_T9_mT8_P12ihipStream_tbDpT10_ENKUlT_T0_E_clISt17integral_constantIbLb1EES1C_EEDaS17_S18_EUlS17_E_NS1_11comp_targetILNS1_3genE3ELNS1_11target_archE908ELNS1_3gpuE7ELNS1_3repE0EEENS1_30default_config_static_selectorELNS0_4arch9wavefront6targetE0EEEvT1_.has_indirect_call, 0
	.section	.AMDGPU.csdata,"",@progbits
; Kernel info:
; codeLenInByte = 0
; TotalNumSgprs: 0
; NumVgprs: 0
; ScratchSize: 0
; MemoryBound: 0
; FloatMode: 240
; IeeeMode: 1
; LDSByteSize: 0 bytes/workgroup (compile time only)
; SGPRBlocks: 0
; VGPRBlocks: 0
; NumSGPRsForWavesPerEU: 1
; NumVGPRsForWavesPerEU: 1
; NamedBarCnt: 0
; Occupancy: 16
; WaveLimiterHint : 0
; COMPUTE_PGM_RSRC2:SCRATCH_EN: 0
; COMPUTE_PGM_RSRC2:USER_SGPR: 2
; COMPUTE_PGM_RSRC2:TRAP_HANDLER: 0
; COMPUTE_PGM_RSRC2:TGID_X_EN: 1
; COMPUTE_PGM_RSRC2:TGID_Y_EN: 0
; COMPUTE_PGM_RSRC2:TGID_Z_EN: 0
; COMPUTE_PGM_RSRC2:TIDIG_COMP_CNT: 0
	.section	.text._ZN7rocprim17ROCPRIM_400000_NS6detail17trampoline_kernelINS0_14default_configENS1_25partition_config_selectorILNS1_17partition_subalgoE8ElNS0_10empty_typeEbEEZZNS1_14partition_implILS5_8ELb0ES3_jPlPS6_PKS6_NS0_5tupleIJS9_S6_EEENSD_IJSA_SA_EEENS0_18inequality_wrapperIZN2at6native12_GLOBAL__N_124unique_dim_cuda_templateIbEESt5tupleIJNSH_6TensorESM_SM_EERKSM_lbbbEUlllE0_EEPmJS6_EEE10hipError_tPvRmT3_T4_T5_T6_T7_T9_mT8_P12ihipStream_tbDpT10_ENKUlT_T0_E_clISt17integral_constantIbLb1EES1C_EEDaS17_S18_EUlS17_E_NS1_11comp_targetILNS1_3genE2ELNS1_11target_archE906ELNS1_3gpuE6ELNS1_3repE0EEENS1_30default_config_static_selectorELNS0_4arch9wavefront6targetE0EEEvT1_,"axG",@progbits,_ZN7rocprim17ROCPRIM_400000_NS6detail17trampoline_kernelINS0_14default_configENS1_25partition_config_selectorILNS1_17partition_subalgoE8ElNS0_10empty_typeEbEEZZNS1_14partition_implILS5_8ELb0ES3_jPlPS6_PKS6_NS0_5tupleIJS9_S6_EEENSD_IJSA_SA_EEENS0_18inequality_wrapperIZN2at6native12_GLOBAL__N_124unique_dim_cuda_templateIbEESt5tupleIJNSH_6TensorESM_SM_EERKSM_lbbbEUlllE0_EEPmJS6_EEE10hipError_tPvRmT3_T4_T5_T6_T7_T9_mT8_P12ihipStream_tbDpT10_ENKUlT_T0_E_clISt17integral_constantIbLb1EES1C_EEDaS17_S18_EUlS17_E_NS1_11comp_targetILNS1_3genE2ELNS1_11target_archE906ELNS1_3gpuE6ELNS1_3repE0EEENS1_30default_config_static_selectorELNS0_4arch9wavefront6targetE0EEEvT1_,comdat
	.globl	_ZN7rocprim17ROCPRIM_400000_NS6detail17trampoline_kernelINS0_14default_configENS1_25partition_config_selectorILNS1_17partition_subalgoE8ElNS0_10empty_typeEbEEZZNS1_14partition_implILS5_8ELb0ES3_jPlPS6_PKS6_NS0_5tupleIJS9_S6_EEENSD_IJSA_SA_EEENS0_18inequality_wrapperIZN2at6native12_GLOBAL__N_124unique_dim_cuda_templateIbEESt5tupleIJNSH_6TensorESM_SM_EERKSM_lbbbEUlllE0_EEPmJS6_EEE10hipError_tPvRmT3_T4_T5_T6_T7_T9_mT8_P12ihipStream_tbDpT10_ENKUlT_T0_E_clISt17integral_constantIbLb1EES1C_EEDaS17_S18_EUlS17_E_NS1_11comp_targetILNS1_3genE2ELNS1_11target_archE906ELNS1_3gpuE6ELNS1_3repE0EEENS1_30default_config_static_selectorELNS0_4arch9wavefront6targetE0EEEvT1_ ; -- Begin function _ZN7rocprim17ROCPRIM_400000_NS6detail17trampoline_kernelINS0_14default_configENS1_25partition_config_selectorILNS1_17partition_subalgoE8ElNS0_10empty_typeEbEEZZNS1_14partition_implILS5_8ELb0ES3_jPlPS6_PKS6_NS0_5tupleIJS9_S6_EEENSD_IJSA_SA_EEENS0_18inequality_wrapperIZN2at6native12_GLOBAL__N_124unique_dim_cuda_templateIbEESt5tupleIJNSH_6TensorESM_SM_EERKSM_lbbbEUlllE0_EEPmJS6_EEE10hipError_tPvRmT3_T4_T5_T6_T7_T9_mT8_P12ihipStream_tbDpT10_ENKUlT_T0_E_clISt17integral_constantIbLb1EES1C_EEDaS17_S18_EUlS17_E_NS1_11comp_targetILNS1_3genE2ELNS1_11target_archE906ELNS1_3gpuE6ELNS1_3repE0EEENS1_30default_config_static_selectorELNS0_4arch9wavefront6targetE0EEEvT1_
	.p2align	8
	.type	_ZN7rocprim17ROCPRIM_400000_NS6detail17trampoline_kernelINS0_14default_configENS1_25partition_config_selectorILNS1_17partition_subalgoE8ElNS0_10empty_typeEbEEZZNS1_14partition_implILS5_8ELb0ES3_jPlPS6_PKS6_NS0_5tupleIJS9_S6_EEENSD_IJSA_SA_EEENS0_18inequality_wrapperIZN2at6native12_GLOBAL__N_124unique_dim_cuda_templateIbEESt5tupleIJNSH_6TensorESM_SM_EERKSM_lbbbEUlllE0_EEPmJS6_EEE10hipError_tPvRmT3_T4_T5_T6_T7_T9_mT8_P12ihipStream_tbDpT10_ENKUlT_T0_E_clISt17integral_constantIbLb1EES1C_EEDaS17_S18_EUlS17_E_NS1_11comp_targetILNS1_3genE2ELNS1_11target_archE906ELNS1_3gpuE6ELNS1_3repE0EEENS1_30default_config_static_selectorELNS0_4arch9wavefront6targetE0EEEvT1_,@function
_ZN7rocprim17ROCPRIM_400000_NS6detail17trampoline_kernelINS0_14default_configENS1_25partition_config_selectorILNS1_17partition_subalgoE8ElNS0_10empty_typeEbEEZZNS1_14partition_implILS5_8ELb0ES3_jPlPS6_PKS6_NS0_5tupleIJS9_S6_EEENSD_IJSA_SA_EEENS0_18inequality_wrapperIZN2at6native12_GLOBAL__N_124unique_dim_cuda_templateIbEESt5tupleIJNSH_6TensorESM_SM_EERKSM_lbbbEUlllE0_EEPmJS6_EEE10hipError_tPvRmT3_T4_T5_T6_T7_T9_mT8_P12ihipStream_tbDpT10_ENKUlT_T0_E_clISt17integral_constantIbLb1EES1C_EEDaS17_S18_EUlS17_E_NS1_11comp_targetILNS1_3genE2ELNS1_11target_archE906ELNS1_3gpuE6ELNS1_3repE0EEENS1_30default_config_static_selectorELNS0_4arch9wavefront6targetE0EEEvT1_: ; @_ZN7rocprim17ROCPRIM_400000_NS6detail17trampoline_kernelINS0_14default_configENS1_25partition_config_selectorILNS1_17partition_subalgoE8ElNS0_10empty_typeEbEEZZNS1_14partition_implILS5_8ELb0ES3_jPlPS6_PKS6_NS0_5tupleIJS9_S6_EEENSD_IJSA_SA_EEENS0_18inequality_wrapperIZN2at6native12_GLOBAL__N_124unique_dim_cuda_templateIbEESt5tupleIJNSH_6TensorESM_SM_EERKSM_lbbbEUlllE0_EEPmJS6_EEE10hipError_tPvRmT3_T4_T5_T6_T7_T9_mT8_P12ihipStream_tbDpT10_ENKUlT_T0_E_clISt17integral_constantIbLb1EES1C_EEDaS17_S18_EUlS17_E_NS1_11comp_targetILNS1_3genE2ELNS1_11target_archE906ELNS1_3gpuE6ELNS1_3repE0EEENS1_30default_config_static_selectorELNS0_4arch9wavefront6targetE0EEEvT1_
; %bb.0:
	.section	.rodata,"a",@progbits
	.p2align	6, 0x0
	.amdhsa_kernel _ZN7rocprim17ROCPRIM_400000_NS6detail17trampoline_kernelINS0_14default_configENS1_25partition_config_selectorILNS1_17partition_subalgoE8ElNS0_10empty_typeEbEEZZNS1_14partition_implILS5_8ELb0ES3_jPlPS6_PKS6_NS0_5tupleIJS9_S6_EEENSD_IJSA_SA_EEENS0_18inequality_wrapperIZN2at6native12_GLOBAL__N_124unique_dim_cuda_templateIbEESt5tupleIJNSH_6TensorESM_SM_EERKSM_lbbbEUlllE0_EEPmJS6_EEE10hipError_tPvRmT3_T4_T5_T6_T7_T9_mT8_P12ihipStream_tbDpT10_ENKUlT_T0_E_clISt17integral_constantIbLb1EES1C_EEDaS17_S18_EUlS17_E_NS1_11comp_targetILNS1_3genE2ELNS1_11target_archE906ELNS1_3gpuE6ELNS1_3repE0EEENS1_30default_config_static_selectorELNS0_4arch9wavefront6targetE0EEEvT1_
		.amdhsa_group_segment_fixed_size 0
		.amdhsa_private_segment_fixed_size 0
		.amdhsa_kernarg_size 136
		.amdhsa_user_sgpr_count 2
		.amdhsa_user_sgpr_dispatch_ptr 0
		.amdhsa_user_sgpr_queue_ptr 0
		.amdhsa_user_sgpr_kernarg_segment_ptr 1
		.amdhsa_user_sgpr_dispatch_id 0
		.amdhsa_user_sgpr_kernarg_preload_length 0
		.amdhsa_user_sgpr_kernarg_preload_offset 0
		.amdhsa_user_sgpr_private_segment_size 0
		.amdhsa_wavefront_size32 1
		.amdhsa_uses_dynamic_stack 0
		.amdhsa_enable_private_segment 0
		.amdhsa_system_sgpr_workgroup_id_x 1
		.amdhsa_system_sgpr_workgroup_id_y 0
		.amdhsa_system_sgpr_workgroup_id_z 0
		.amdhsa_system_sgpr_workgroup_info 0
		.amdhsa_system_vgpr_workitem_id 0
		.amdhsa_next_free_vgpr 1
		.amdhsa_next_free_sgpr 1
		.amdhsa_named_barrier_count 0
		.amdhsa_reserve_vcc 0
		.amdhsa_float_round_mode_32 0
		.amdhsa_float_round_mode_16_64 0
		.amdhsa_float_denorm_mode_32 3
		.amdhsa_float_denorm_mode_16_64 3
		.amdhsa_fp16_overflow 0
		.amdhsa_memory_ordered 1
		.amdhsa_forward_progress 1
		.amdhsa_inst_pref_size 0
		.amdhsa_round_robin_scheduling 0
		.amdhsa_exception_fp_ieee_invalid_op 0
		.amdhsa_exception_fp_denorm_src 0
		.amdhsa_exception_fp_ieee_div_zero 0
		.amdhsa_exception_fp_ieee_overflow 0
		.amdhsa_exception_fp_ieee_underflow 0
		.amdhsa_exception_fp_ieee_inexact 0
		.amdhsa_exception_int_div_zero 0
	.end_amdhsa_kernel
	.section	.text._ZN7rocprim17ROCPRIM_400000_NS6detail17trampoline_kernelINS0_14default_configENS1_25partition_config_selectorILNS1_17partition_subalgoE8ElNS0_10empty_typeEbEEZZNS1_14partition_implILS5_8ELb0ES3_jPlPS6_PKS6_NS0_5tupleIJS9_S6_EEENSD_IJSA_SA_EEENS0_18inequality_wrapperIZN2at6native12_GLOBAL__N_124unique_dim_cuda_templateIbEESt5tupleIJNSH_6TensorESM_SM_EERKSM_lbbbEUlllE0_EEPmJS6_EEE10hipError_tPvRmT3_T4_T5_T6_T7_T9_mT8_P12ihipStream_tbDpT10_ENKUlT_T0_E_clISt17integral_constantIbLb1EES1C_EEDaS17_S18_EUlS17_E_NS1_11comp_targetILNS1_3genE2ELNS1_11target_archE906ELNS1_3gpuE6ELNS1_3repE0EEENS1_30default_config_static_selectorELNS0_4arch9wavefront6targetE0EEEvT1_,"axG",@progbits,_ZN7rocprim17ROCPRIM_400000_NS6detail17trampoline_kernelINS0_14default_configENS1_25partition_config_selectorILNS1_17partition_subalgoE8ElNS0_10empty_typeEbEEZZNS1_14partition_implILS5_8ELb0ES3_jPlPS6_PKS6_NS0_5tupleIJS9_S6_EEENSD_IJSA_SA_EEENS0_18inequality_wrapperIZN2at6native12_GLOBAL__N_124unique_dim_cuda_templateIbEESt5tupleIJNSH_6TensorESM_SM_EERKSM_lbbbEUlllE0_EEPmJS6_EEE10hipError_tPvRmT3_T4_T5_T6_T7_T9_mT8_P12ihipStream_tbDpT10_ENKUlT_T0_E_clISt17integral_constantIbLb1EES1C_EEDaS17_S18_EUlS17_E_NS1_11comp_targetILNS1_3genE2ELNS1_11target_archE906ELNS1_3gpuE6ELNS1_3repE0EEENS1_30default_config_static_selectorELNS0_4arch9wavefront6targetE0EEEvT1_,comdat
.Lfunc_end1063:
	.size	_ZN7rocprim17ROCPRIM_400000_NS6detail17trampoline_kernelINS0_14default_configENS1_25partition_config_selectorILNS1_17partition_subalgoE8ElNS0_10empty_typeEbEEZZNS1_14partition_implILS5_8ELb0ES3_jPlPS6_PKS6_NS0_5tupleIJS9_S6_EEENSD_IJSA_SA_EEENS0_18inequality_wrapperIZN2at6native12_GLOBAL__N_124unique_dim_cuda_templateIbEESt5tupleIJNSH_6TensorESM_SM_EERKSM_lbbbEUlllE0_EEPmJS6_EEE10hipError_tPvRmT3_T4_T5_T6_T7_T9_mT8_P12ihipStream_tbDpT10_ENKUlT_T0_E_clISt17integral_constantIbLb1EES1C_EEDaS17_S18_EUlS17_E_NS1_11comp_targetILNS1_3genE2ELNS1_11target_archE906ELNS1_3gpuE6ELNS1_3repE0EEENS1_30default_config_static_selectorELNS0_4arch9wavefront6targetE0EEEvT1_, .Lfunc_end1063-_ZN7rocprim17ROCPRIM_400000_NS6detail17trampoline_kernelINS0_14default_configENS1_25partition_config_selectorILNS1_17partition_subalgoE8ElNS0_10empty_typeEbEEZZNS1_14partition_implILS5_8ELb0ES3_jPlPS6_PKS6_NS0_5tupleIJS9_S6_EEENSD_IJSA_SA_EEENS0_18inequality_wrapperIZN2at6native12_GLOBAL__N_124unique_dim_cuda_templateIbEESt5tupleIJNSH_6TensorESM_SM_EERKSM_lbbbEUlllE0_EEPmJS6_EEE10hipError_tPvRmT3_T4_T5_T6_T7_T9_mT8_P12ihipStream_tbDpT10_ENKUlT_T0_E_clISt17integral_constantIbLb1EES1C_EEDaS17_S18_EUlS17_E_NS1_11comp_targetILNS1_3genE2ELNS1_11target_archE906ELNS1_3gpuE6ELNS1_3repE0EEENS1_30default_config_static_selectorELNS0_4arch9wavefront6targetE0EEEvT1_
                                        ; -- End function
	.set _ZN7rocprim17ROCPRIM_400000_NS6detail17trampoline_kernelINS0_14default_configENS1_25partition_config_selectorILNS1_17partition_subalgoE8ElNS0_10empty_typeEbEEZZNS1_14partition_implILS5_8ELb0ES3_jPlPS6_PKS6_NS0_5tupleIJS9_S6_EEENSD_IJSA_SA_EEENS0_18inequality_wrapperIZN2at6native12_GLOBAL__N_124unique_dim_cuda_templateIbEESt5tupleIJNSH_6TensorESM_SM_EERKSM_lbbbEUlllE0_EEPmJS6_EEE10hipError_tPvRmT3_T4_T5_T6_T7_T9_mT8_P12ihipStream_tbDpT10_ENKUlT_T0_E_clISt17integral_constantIbLb1EES1C_EEDaS17_S18_EUlS17_E_NS1_11comp_targetILNS1_3genE2ELNS1_11target_archE906ELNS1_3gpuE6ELNS1_3repE0EEENS1_30default_config_static_selectorELNS0_4arch9wavefront6targetE0EEEvT1_.num_vgpr, 0
	.set _ZN7rocprim17ROCPRIM_400000_NS6detail17trampoline_kernelINS0_14default_configENS1_25partition_config_selectorILNS1_17partition_subalgoE8ElNS0_10empty_typeEbEEZZNS1_14partition_implILS5_8ELb0ES3_jPlPS6_PKS6_NS0_5tupleIJS9_S6_EEENSD_IJSA_SA_EEENS0_18inequality_wrapperIZN2at6native12_GLOBAL__N_124unique_dim_cuda_templateIbEESt5tupleIJNSH_6TensorESM_SM_EERKSM_lbbbEUlllE0_EEPmJS6_EEE10hipError_tPvRmT3_T4_T5_T6_T7_T9_mT8_P12ihipStream_tbDpT10_ENKUlT_T0_E_clISt17integral_constantIbLb1EES1C_EEDaS17_S18_EUlS17_E_NS1_11comp_targetILNS1_3genE2ELNS1_11target_archE906ELNS1_3gpuE6ELNS1_3repE0EEENS1_30default_config_static_selectorELNS0_4arch9wavefront6targetE0EEEvT1_.num_agpr, 0
	.set _ZN7rocprim17ROCPRIM_400000_NS6detail17trampoline_kernelINS0_14default_configENS1_25partition_config_selectorILNS1_17partition_subalgoE8ElNS0_10empty_typeEbEEZZNS1_14partition_implILS5_8ELb0ES3_jPlPS6_PKS6_NS0_5tupleIJS9_S6_EEENSD_IJSA_SA_EEENS0_18inequality_wrapperIZN2at6native12_GLOBAL__N_124unique_dim_cuda_templateIbEESt5tupleIJNSH_6TensorESM_SM_EERKSM_lbbbEUlllE0_EEPmJS6_EEE10hipError_tPvRmT3_T4_T5_T6_T7_T9_mT8_P12ihipStream_tbDpT10_ENKUlT_T0_E_clISt17integral_constantIbLb1EES1C_EEDaS17_S18_EUlS17_E_NS1_11comp_targetILNS1_3genE2ELNS1_11target_archE906ELNS1_3gpuE6ELNS1_3repE0EEENS1_30default_config_static_selectorELNS0_4arch9wavefront6targetE0EEEvT1_.numbered_sgpr, 0
	.set _ZN7rocprim17ROCPRIM_400000_NS6detail17trampoline_kernelINS0_14default_configENS1_25partition_config_selectorILNS1_17partition_subalgoE8ElNS0_10empty_typeEbEEZZNS1_14partition_implILS5_8ELb0ES3_jPlPS6_PKS6_NS0_5tupleIJS9_S6_EEENSD_IJSA_SA_EEENS0_18inequality_wrapperIZN2at6native12_GLOBAL__N_124unique_dim_cuda_templateIbEESt5tupleIJNSH_6TensorESM_SM_EERKSM_lbbbEUlllE0_EEPmJS6_EEE10hipError_tPvRmT3_T4_T5_T6_T7_T9_mT8_P12ihipStream_tbDpT10_ENKUlT_T0_E_clISt17integral_constantIbLb1EES1C_EEDaS17_S18_EUlS17_E_NS1_11comp_targetILNS1_3genE2ELNS1_11target_archE906ELNS1_3gpuE6ELNS1_3repE0EEENS1_30default_config_static_selectorELNS0_4arch9wavefront6targetE0EEEvT1_.num_named_barrier, 0
	.set _ZN7rocprim17ROCPRIM_400000_NS6detail17trampoline_kernelINS0_14default_configENS1_25partition_config_selectorILNS1_17partition_subalgoE8ElNS0_10empty_typeEbEEZZNS1_14partition_implILS5_8ELb0ES3_jPlPS6_PKS6_NS0_5tupleIJS9_S6_EEENSD_IJSA_SA_EEENS0_18inequality_wrapperIZN2at6native12_GLOBAL__N_124unique_dim_cuda_templateIbEESt5tupleIJNSH_6TensorESM_SM_EERKSM_lbbbEUlllE0_EEPmJS6_EEE10hipError_tPvRmT3_T4_T5_T6_T7_T9_mT8_P12ihipStream_tbDpT10_ENKUlT_T0_E_clISt17integral_constantIbLb1EES1C_EEDaS17_S18_EUlS17_E_NS1_11comp_targetILNS1_3genE2ELNS1_11target_archE906ELNS1_3gpuE6ELNS1_3repE0EEENS1_30default_config_static_selectorELNS0_4arch9wavefront6targetE0EEEvT1_.private_seg_size, 0
	.set _ZN7rocprim17ROCPRIM_400000_NS6detail17trampoline_kernelINS0_14default_configENS1_25partition_config_selectorILNS1_17partition_subalgoE8ElNS0_10empty_typeEbEEZZNS1_14partition_implILS5_8ELb0ES3_jPlPS6_PKS6_NS0_5tupleIJS9_S6_EEENSD_IJSA_SA_EEENS0_18inequality_wrapperIZN2at6native12_GLOBAL__N_124unique_dim_cuda_templateIbEESt5tupleIJNSH_6TensorESM_SM_EERKSM_lbbbEUlllE0_EEPmJS6_EEE10hipError_tPvRmT3_T4_T5_T6_T7_T9_mT8_P12ihipStream_tbDpT10_ENKUlT_T0_E_clISt17integral_constantIbLb1EES1C_EEDaS17_S18_EUlS17_E_NS1_11comp_targetILNS1_3genE2ELNS1_11target_archE906ELNS1_3gpuE6ELNS1_3repE0EEENS1_30default_config_static_selectorELNS0_4arch9wavefront6targetE0EEEvT1_.uses_vcc, 0
	.set _ZN7rocprim17ROCPRIM_400000_NS6detail17trampoline_kernelINS0_14default_configENS1_25partition_config_selectorILNS1_17partition_subalgoE8ElNS0_10empty_typeEbEEZZNS1_14partition_implILS5_8ELb0ES3_jPlPS6_PKS6_NS0_5tupleIJS9_S6_EEENSD_IJSA_SA_EEENS0_18inequality_wrapperIZN2at6native12_GLOBAL__N_124unique_dim_cuda_templateIbEESt5tupleIJNSH_6TensorESM_SM_EERKSM_lbbbEUlllE0_EEPmJS6_EEE10hipError_tPvRmT3_T4_T5_T6_T7_T9_mT8_P12ihipStream_tbDpT10_ENKUlT_T0_E_clISt17integral_constantIbLb1EES1C_EEDaS17_S18_EUlS17_E_NS1_11comp_targetILNS1_3genE2ELNS1_11target_archE906ELNS1_3gpuE6ELNS1_3repE0EEENS1_30default_config_static_selectorELNS0_4arch9wavefront6targetE0EEEvT1_.uses_flat_scratch, 0
	.set _ZN7rocprim17ROCPRIM_400000_NS6detail17trampoline_kernelINS0_14default_configENS1_25partition_config_selectorILNS1_17partition_subalgoE8ElNS0_10empty_typeEbEEZZNS1_14partition_implILS5_8ELb0ES3_jPlPS6_PKS6_NS0_5tupleIJS9_S6_EEENSD_IJSA_SA_EEENS0_18inequality_wrapperIZN2at6native12_GLOBAL__N_124unique_dim_cuda_templateIbEESt5tupleIJNSH_6TensorESM_SM_EERKSM_lbbbEUlllE0_EEPmJS6_EEE10hipError_tPvRmT3_T4_T5_T6_T7_T9_mT8_P12ihipStream_tbDpT10_ENKUlT_T0_E_clISt17integral_constantIbLb1EES1C_EEDaS17_S18_EUlS17_E_NS1_11comp_targetILNS1_3genE2ELNS1_11target_archE906ELNS1_3gpuE6ELNS1_3repE0EEENS1_30default_config_static_selectorELNS0_4arch9wavefront6targetE0EEEvT1_.has_dyn_sized_stack, 0
	.set _ZN7rocprim17ROCPRIM_400000_NS6detail17trampoline_kernelINS0_14default_configENS1_25partition_config_selectorILNS1_17partition_subalgoE8ElNS0_10empty_typeEbEEZZNS1_14partition_implILS5_8ELb0ES3_jPlPS6_PKS6_NS0_5tupleIJS9_S6_EEENSD_IJSA_SA_EEENS0_18inequality_wrapperIZN2at6native12_GLOBAL__N_124unique_dim_cuda_templateIbEESt5tupleIJNSH_6TensorESM_SM_EERKSM_lbbbEUlllE0_EEPmJS6_EEE10hipError_tPvRmT3_T4_T5_T6_T7_T9_mT8_P12ihipStream_tbDpT10_ENKUlT_T0_E_clISt17integral_constantIbLb1EES1C_EEDaS17_S18_EUlS17_E_NS1_11comp_targetILNS1_3genE2ELNS1_11target_archE906ELNS1_3gpuE6ELNS1_3repE0EEENS1_30default_config_static_selectorELNS0_4arch9wavefront6targetE0EEEvT1_.has_recursion, 0
	.set _ZN7rocprim17ROCPRIM_400000_NS6detail17trampoline_kernelINS0_14default_configENS1_25partition_config_selectorILNS1_17partition_subalgoE8ElNS0_10empty_typeEbEEZZNS1_14partition_implILS5_8ELb0ES3_jPlPS6_PKS6_NS0_5tupleIJS9_S6_EEENSD_IJSA_SA_EEENS0_18inequality_wrapperIZN2at6native12_GLOBAL__N_124unique_dim_cuda_templateIbEESt5tupleIJNSH_6TensorESM_SM_EERKSM_lbbbEUlllE0_EEPmJS6_EEE10hipError_tPvRmT3_T4_T5_T6_T7_T9_mT8_P12ihipStream_tbDpT10_ENKUlT_T0_E_clISt17integral_constantIbLb1EES1C_EEDaS17_S18_EUlS17_E_NS1_11comp_targetILNS1_3genE2ELNS1_11target_archE906ELNS1_3gpuE6ELNS1_3repE0EEENS1_30default_config_static_selectorELNS0_4arch9wavefront6targetE0EEEvT1_.has_indirect_call, 0
	.section	.AMDGPU.csdata,"",@progbits
; Kernel info:
; codeLenInByte = 0
; TotalNumSgprs: 0
; NumVgprs: 0
; ScratchSize: 0
; MemoryBound: 0
; FloatMode: 240
; IeeeMode: 1
; LDSByteSize: 0 bytes/workgroup (compile time only)
; SGPRBlocks: 0
; VGPRBlocks: 0
; NumSGPRsForWavesPerEU: 1
; NumVGPRsForWavesPerEU: 1
; NamedBarCnt: 0
; Occupancy: 16
; WaveLimiterHint : 0
; COMPUTE_PGM_RSRC2:SCRATCH_EN: 0
; COMPUTE_PGM_RSRC2:USER_SGPR: 2
; COMPUTE_PGM_RSRC2:TRAP_HANDLER: 0
; COMPUTE_PGM_RSRC2:TGID_X_EN: 1
; COMPUTE_PGM_RSRC2:TGID_Y_EN: 0
; COMPUTE_PGM_RSRC2:TGID_Z_EN: 0
; COMPUTE_PGM_RSRC2:TIDIG_COMP_CNT: 0
	.section	.text._ZN7rocprim17ROCPRIM_400000_NS6detail17trampoline_kernelINS0_14default_configENS1_25partition_config_selectorILNS1_17partition_subalgoE8ElNS0_10empty_typeEbEEZZNS1_14partition_implILS5_8ELb0ES3_jPlPS6_PKS6_NS0_5tupleIJS9_S6_EEENSD_IJSA_SA_EEENS0_18inequality_wrapperIZN2at6native12_GLOBAL__N_124unique_dim_cuda_templateIbEESt5tupleIJNSH_6TensorESM_SM_EERKSM_lbbbEUlllE0_EEPmJS6_EEE10hipError_tPvRmT3_T4_T5_T6_T7_T9_mT8_P12ihipStream_tbDpT10_ENKUlT_T0_E_clISt17integral_constantIbLb1EES1C_EEDaS17_S18_EUlS17_E_NS1_11comp_targetILNS1_3genE10ELNS1_11target_archE1200ELNS1_3gpuE4ELNS1_3repE0EEENS1_30default_config_static_selectorELNS0_4arch9wavefront6targetE0EEEvT1_,"axG",@progbits,_ZN7rocprim17ROCPRIM_400000_NS6detail17trampoline_kernelINS0_14default_configENS1_25partition_config_selectorILNS1_17partition_subalgoE8ElNS0_10empty_typeEbEEZZNS1_14partition_implILS5_8ELb0ES3_jPlPS6_PKS6_NS0_5tupleIJS9_S6_EEENSD_IJSA_SA_EEENS0_18inequality_wrapperIZN2at6native12_GLOBAL__N_124unique_dim_cuda_templateIbEESt5tupleIJNSH_6TensorESM_SM_EERKSM_lbbbEUlllE0_EEPmJS6_EEE10hipError_tPvRmT3_T4_T5_T6_T7_T9_mT8_P12ihipStream_tbDpT10_ENKUlT_T0_E_clISt17integral_constantIbLb1EES1C_EEDaS17_S18_EUlS17_E_NS1_11comp_targetILNS1_3genE10ELNS1_11target_archE1200ELNS1_3gpuE4ELNS1_3repE0EEENS1_30default_config_static_selectorELNS0_4arch9wavefront6targetE0EEEvT1_,comdat
	.globl	_ZN7rocprim17ROCPRIM_400000_NS6detail17trampoline_kernelINS0_14default_configENS1_25partition_config_selectorILNS1_17partition_subalgoE8ElNS0_10empty_typeEbEEZZNS1_14partition_implILS5_8ELb0ES3_jPlPS6_PKS6_NS0_5tupleIJS9_S6_EEENSD_IJSA_SA_EEENS0_18inequality_wrapperIZN2at6native12_GLOBAL__N_124unique_dim_cuda_templateIbEESt5tupleIJNSH_6TensorESM_SM_EERKSM_lbbbEUlllE0_EEPmJS6_EEE10hipError_tPvRmT3_T4_T5_T6_T7_T9_mT8_P12ihipStream_tbDpT10_ENKUlT_T0_E_clISt17integral_constantIbLb1EES1C_EEDaS17_S18_EUlS17_E_NS1_11comp_targetILNS1_3genE10ELNS1_11target_archE1200ELNS1_3gpuE4ELNS1_3repE0EEENS1_30default_config_static_selectorELNS0_4arch9wavefront6targetE0EEEvT1_ ; -- Begin function _ZN7rocprim17ROCPRIM_400000_NS6detail17trampoline_kernelINS0_14default_configENS1_25partition_config_selectorILNS1_17partition_subalgoE8ElNS0_10empty_typeEbEEZZNS1_14partition_implILS5_8ELb0ES3_jPlPS6_PKS6_NS0_5tupleIJS9_S6_EEENSD_IJSA_SA_EEENS0_18inequality_wrapperIZN2at6native12_GLOBAL__N_124unique_dim_cuda_templateIbEESt5tupleIJNSH_6TensorESM_SM_EERKSM_lbbbEUlllE0_EEPmJS6_EEE10hipError_tPvRmT3_T4_T5_T6_T7_T9_mT8_P12ihipStream_tbDpT10_ENKUlT_T0_E_clISt17integral_constantIbLb1EES1C_EEDaS17_S18_EUlS17_E_NS1_11comp_targetILNS1_3genE10ELNS1_11target_archE1200ELNS1_3gpuE4ELNS1_3repE0EEENS1_30default_config_static_selectorELNS0_4arch9wavefront6targetE0EEEvT1_
	.p2align	8
	.type	_ZN7rocprim17ROCPRIM_400000_NS6detail17trampoline_kernelINS0_14default_configENS1_25partition_config_selectorILNS1_17partition_subalgoE8ElNS0_10empty_typeEbEEZZNS1_14partition_implILS5_8ELb0ES3_jPlPS6_PKS6_NS0_5tupleIJS9_S6_EEENSD_IJSA_SA_EEENS0_18inequality_wrapperIZN2at6native12_GLOBAL__N_124unique_dim_cuda_templateIbEESt5tupleIJNSH_6TensorESM_SM_EERKSM_lbbbEUlllE0_EEPmJS6_EEE10hipError_tPvRmT3_T4_T5_T6_T7_T9_mT8_P12ihipStream_tbDpT10_ENKUlT_T0_E_clISt17integral_constantIbLb1EES1C_EEDaS17_S18_EUlS17_E_NS1_11comp_targetILNS1_3genE10ELNS1_11target_archE1200ELNS1_3gpuE4ELNS1_3repE0EEENS1_30default_config_static_selectorELNS0_4arch9wavefront6targetE0EEEvT1_,@function
_ZN7rocprim17ROCPRIM_400000_NS6detail17trampoline_kernelINS0_14default_configENS1_25partition_config_selectorILNS1_17partition_subalgoE8ElNS0_10empty_typeEbEEZZNS1_14partition_implILS5_8ELb0ES3_jPlPS6_PKS6_NS0_5tupleIJS9_S6_EEENSD_IJSA_SA_EEENS0_18inequality_wrapperIZN2at6native12_GLOBAL__N_124unique_dim_cuda_templateIbEESt5tupleIJNSH_6TensorESM_SM_EERKSM_lbbbEUlllE0_EEPmJS6_EEE10hipError_tPvRmT3_T4_T5_T6_T7_T9_mT8_P12ihipStream_tbDpT10_ENKUlT_T0_E_clISt17integral_constantIbLb1EES1C_EEDaS17_S18_EUlS17_E_NS1_11comp_targetILNS1_3genE10ELNS1_11target_archE1200ELNS1_3gpuE4ELNS1_3repE0EEENS1_30default_config_static_selectorELNS0_4arch9wavefront6targetE0EEEvT1_: ; @_ZN7rocprim17ROCPRIM_400000_NS6detail17trampoline_kernelINS0_14default_configENS1_25partition_config_selectorILNS1_17partition_subalgoE8ElNS0_10empty_typeEbEEZZNS1_14partition_implILS5_8ELb0ES3_jPlPS6_PKS6_NS0_5tupleIJS9_S6_EEENSD_IJSA_SA_EEENS0_18inequality_wrapperIZN2at6native12_GLOBAL__N_124unique_dim_cuda_templateIbEESt5tupleIJNSH_6TensorESM_SM_EERKSM_lbbbEUlllE0_EEPmJS6_EEE10hipError_tPvRmT3_T4_T5_T6_T7_T9_mT8_P12ihipStream_tbDpT10_ENKUlT_T0_E_clISt17integral_constantIbLb1EES1C_EEDaS17_S18_EUlS17_E_NS1_11comp_targetILNS1_3genE10ELNS1_11target_archE1200ELNS1_3gpuE4ELNS1_3repE0EEENS1_30default_config_static_selectorELNS0_4arch9wavefront6targetE0EEEvT1_
; %bb.0:
	.section	.rodata,"a",@progbits
	.p2align	6, 0x0
	.amdhsa_kernel _ZN7rocprim17ROCPRIM_400000_NS6detail17trampoline_kernelINS0_14default_configENS1_25partition_config_selectorILNS1_17partition_subalgoE8ElNS0_10empty_typeEbEEZZNS1_14partition_implILS5_8ELb0ES3_jPlPS6_PKS6_NS0_5tupleIJS9_S6_EEENSD_IJSA_SA_EEENS0_18inequality_wrapperIZN2at6native12_GLOBAL__N_124unique_dim_cuda_templateIbEESt5tupleIJNSH_6TensorESM_SM_EERKSM_lbbbEUlllE0_EEPmJS6_EEE10hipError_tPvRmT3_T4_T5_T6_T7_T9_mT8_P12ihipStream_tbDpT10_ENKUlT_T0_E_clISt17integral_constantIbLb1EES1C_EEDaS17_S18_EUlS17_E_NS1_11comp_targetILNS1_3genE10ELNS1_11target_archE1200ELNS1_3gpuE4ELNS1_3repE0EEENS1_30default_config_static_selectorELNS0_4arch9wavefront6targetE0EEEvT1_
		.amdhsa_group_segment_fixed_size 0
		.amdhsa_private_segment_fixed_size 0
		.amdhsa_kernarg_size 136
		.amdhsa_user_sgpr_count 2
		.amdhsa_user_sgpr_dispatch_ptr 0
		.amdhsa_user_sgpr_queue_ptr 0
		.amdhsa_user_sgpr_kernarg_segment_ptr 1
		.amdhsa_user_sgpr_dispatch_id 0
		.amdhsa_user_sgpr_kernarg_preload_length 0
		.amdhsa_user_sgpr_kernarg_preload_offset 0
		.amdhsa_user_sgpr_private_segment_size 0
		.amdhsa_wavefront_size32 1
		.amdhsa_uses_dynamic_stack 0
		.amdhsa_enable_private_segment 0
		.amdhsa_system_sgpr_workgroup_id_x 1
		.amdhsa_system_sgpr_workgroup_id_y 0
		.amdhsa_system_sgpr_workgroup_id_z 0
		.amdhsa_system_sgpr_workgroup_info 0
		.amdhsa_system_vgpr_workitem_id 0
		.amdhsa_next_free_vgpr 1
		.amdhsa_next_free_sgpr 1
		.amdhsa_named_barrier_count 0
		.amdhsa_reserve_vcc 0
		.amdhsa_float_round_mode_32 0
		.amdhsa_float_round_mode_16_64 0
		.amdhsa_float_denorm_mode_32 3
		.amdhsa_float_denorm_mode_16_64 3
		.amdhsa_fp16_overflow 0
		.amdhsa_memory_ordered 1
		.amdhsa_forward_progress 1
		.amdhsa_inst_pref_size 0
		.amdhsa_round_robin_scheduling 0
		.amdhsa_exception_fp_ieee_invalid_op 0
		.amdhsa_exception_fp_denorm_src 0
		.amdhsa_exception_fp_ieee_div_zero 0
		.amdhsa_exception_fp_ieee_overflow 0
		.amdhsa_exception_fp_ieee_underflow 0
		.amdhsa_exception_fp_ieee_inexact 0
		.amdhsa_exception_int_div_zero 0
	.end_amdhsa_kernel
	.section	.text._ZN7rocprim17ROCPRIM_400000_NS6detail17trampoline_kernelINS0_14default_configENS1_25partition_config_selectorILNS1_17partition_subalgoE8ElNS0_10empty_typeEbEEZZNS1_14partition_implILS5_8ELb0ES3_jPlPS6_PKS6_NS0_5tupleIJS9_S6_EEENSD_IJSA_SA_EEENS0_18inequality_wrapperIZN2at6native12_GLOBAL__N_124unique_dim_cuda_templateIbEESt5tupleIJNSH_6TensorESM_SM_EERKSM_lbbbEUlllE0_EEPmJS6_EEE10hipError_tPvRmT3_T4_T5_T6_T7_T9_mT8_P12ihipStream_tbDpT10_ENKUlT_T0_E_clISt17integral_constantIbLb1EES1C_EEDaS17_S18_EUlS17_E_NS1_11comp_targetILNS1_3genE10ELNS1_11target_archE1200ELNS1_3gpuE4ELNS1_3repE0EEENS1_30default_config_static_selectorELNS0_4arch9wavefront6targetE0EEEvT1_,"axG",@progbits,_ZN7rocprim17ROCPRIM_400000_NS6detail17trampoline_kernelINS0_14default_configENS1_25partition_config_selectorILNS1_17partition_subalgoE8ElNS0_10empty_typeEbEEZZNS1_14partition_implILS5_8ELb0ES3_jPlPS6_PKS6_NS0_5tupleIJS9_S6_EEENSD_IJSA_SA_EEENS0_18inequality_wrapperIZN2at6native12_GLOBAL__N_124unique_dim_cuda_templateIbEESt5tupleIJNSH_6TensorESM_SM_EERKSM_lbbbEUlllE0_EEPmJS6_EEE10hipError_tPvRmT3_T4_T5_T6_T7_T9_mT8_P12ihipStream_tbDpT10_ENKUlT_T0_E_clISt17integral_constantIbLb1EES1C_EEDaS17_S18_EUlS17_E_NS1_11comp_targetILNS1_3genE10ELNS1_11target_archE1200ELNS1_3gpuE4ELNS1_3repE0EEENS1_30default_config_static_selectorELNS0_4arch9wavefront6targetE0EEEvT1_,comdat
.Lfunc_end1064:
	.size	_ZN7rocprim17ROCPRIM_400000_NS6detail17trampoline_kernelINS0_14default_configENS1_25partition_config_selectorILNS1_17partition_subalgoE8ElNS0_10empty_typeEbEEZZNS1_14partition_implILS5_8ELb0ES3_jPlPS6_PKS6_NS0_5tupleIJS9_S6_EEENSD_IJSA_SA_EEENS0_18inequality_wrapperIZN2at6native12_GLOBAL__N_124unique_dim_cuda_templateIbEESt5tupleIJNSH_6TensorESM_SM_EERKSM_lbbbEUlllE0_EEPmJS6_EEE10hipError_tPvRmT3_T4_T5_T6_T7_T9_mT8_P12ihipStream_tbDpT10_ENKUlT_T0_E_clISt17integral_constantIbLb1EES1C_EEDaS17_S18_EUlS17_E_NS1_11comp_targetILNS1_3genE10ELNS1_11target_archE1200ELNS1_3gpuE4ELNS1_3repE0EEENS1_30default_config_static_selectorELNS0_4arch9wavefront6targetE0EEEvT1_, .Lfunc_end1064-_ZN7rocprim17ROCPRIM_400000_NS6detail17trampoline_kernelINS0_14default_configENS1_25partition_config_selectorILNS1_17partition_subalgoE8ElNS0_10empty_typeEbEEZZNS1_14partition_implILS5_8ELb0ES3_jPlPS6_PKS6_NS0_5tupleIJS9_S6_EEENSD_IJSA_SA_EEENS0_18inequality_wrapperIZN2at6native12_GLOBAL__N_124unique_dim_cuda_templateIbEESt5tupleIJNSH_6TensorESM_SM_EERKSM_lbbbEUlllE0_EEPmJS6_EEE10hipError_tPvRmT3_T4_T5_T6_T7_T9_mT8_P12ihipStream_tbDpT10_ENKUlT_T0_E_clISt17integral_constantIbLb1EES1C_EEDaS17_S18_EUlS17_E_NS1_11comp_targetILNS1_3genE10ELNS1_11target_archE1200ELNS1_3gpuE4ELNS1_3repE0EEENS1_30default_config_static_selectorELNS0_4arch9wavefront6targetE0EEEvT1_
                                        ; -- End function
	.set _ZN7rocprim17ROCPRIM_400000_NS6detail17trampoline_kernelINS0_14default_configENS1_25partition_config_selectorILNS1_17partition_subalgoE8ElNS0_10empty_typeEbEEZZNS1_14partition_implILS5_8ELb0ES3_jPlPS6_PKS6_NS0_5tupleIJS9_S6_EEENSD_IJSA_SA_EEENS0_18inequality_wrapperIZN2at6native12_GLOBAL__N_124unique_dim_cuda_templateIbEESt5tupleIJNSH_6TensorESM_SM_EERKSM_lbbbEUlllE0_EEPmJS6_EEE10hipError_tPvRmT3_T4_T5_T6_T7_T9_mT8_P12ihipStream_tbDpT10_ENKUlT_T0_E_clISt17integral_constantIbLb1EES1C_EEDaS17_S18_EUlS17_E_NS1_11comp_targetILNS1_3genE10ELNS1_11target_archE1200ELNS1_3gpuE4ELNS1_3repE0EEENS1_30default_config_static_selectorELNS0_4arch9wavefront6targetE0EEEvT1_.num_vgpr, 0
	.set _ZN7rocprim17ROCPRIM_400000_NS6detail17trampoline_kernelINS0_14default_configENS1_25partition_config_selectorILNS1_17partition_subalgoE8ElNS0_10empty_typeEbEEZZNS1_14partition_implILS5_8ELb0ES3_jPlPS6_PKS6_NS0_5tupleIJS9_S6_EEENSD_IJSA_SA_EEENS0_18inequality_wrapperIZN2at6native12_GLOBAL__N_124unique_dim_cuda_templateIbEESt5tupleIJNSH_6TensorESM_SM_EERKSM_lbbbEUlllE0_EEPmJS6_EEE10hipError_tPvRmT3_T4_T5_T6_T7_T9_mT8_P12ihipStream_tbDpT10_ENKUlT_T0_E_clISt17integral_constantIbLb1EES1C_EEDaS17_S18_EUlS17_E_NS1_11comp_targetILNS1_3genE10ELNS1_11target_archE1200ELNS1_3gpuE4ELNS1_3repE0EEENS1_30default_config_static_selectorELNS0_4arch9wavefront6targetE0EEEvT1_.num_agpr, 0
	.set _ZN7rocprim17ROCPRIM_400000_NS6detail17trampoline_kernelINS0_14default_configENS1_25partition_config_selectorILNS1_17partition_subalgoE8ElNS0_10empty_typeEbEEZZNS1_14partition_implILS5_8ELb0ES3_jPlPS6_PKS6_NS0_5tupleIJS9_S6_EEENSD_IJSA_SA_EEENS0_18inequality_wrapperIZN2at6native12_GLOBAL__N_124unique_dim_cuda_templateIbEESt5tupleIJNSH_6TensorESM_SM_EERKSM_lbbbEUlllE0_EEPmJS6_EEE10hipError_tPvRmT3_T4_T5_T6_T7_T9_mT8_P12ihipStream_tbDpT10_ENKUlT_T0_E_clISt17integral_constantIbLb1EES1C_EEDaS17_S18_EUlS17_E_NS1_11comp_targetILNS1_3genE10ELNS1_11target_archE1200ELNS1_3gpuE4ELNS1_3repE0EEENS1_30default_config_static_selectorELNS0_4arch9wavefront6targetE0EEEvT1_.numbered_sgpr, 0
	.set _ZN7rocprim17ROCPRIM_400000_NS6detail17trampoline_kernelINS0_14default_configENS1_25partition_config_selectorILNS1_17partition_subalgoE8ElNS0_10empty_typeEbEEZZNS1_14partition_implILS5_8ELb0ES3_jPlPS6_PKS6_NS0_5tupleIJS9_S6_EEENSD_IJSA_SA_EEENS0_18inequality_wrapperIZN2at6native12_GLOBAL__N_124unique_dim_cuda_templateIbEESt5tupleIJNSH_6TensorESM_SM_EERKSM_lbbbEUlllE0_EEPmJS6_EEE10hipError_tPvRmT3_T4_T5_T6_T7_T9_mT8_P12ihipStream_tbDpT10_ENKUlT_T0_E_clISt17integral_constantIbLb1EES1C_EEDaS17_S18_EUlS17_E_NS1_11comp_targetILNS1_3genE10ELNS1_11target_archE1200ELNS1_3gpuE4ELNS1_3repE0EEENS1_30default_config_static_selectorELNS0_4arch9wavefront6targetE0EEEvT1_.num_named_barrier, 0
	.set _ZN7rocprim17ROCPRIM_400000_NS6detail17trampoline_kernelINS0_14default_configENS1_25partition_config_selectorILNS1_17partition_subalgoE8ElNS0_10empty_typeEbEEZZNS1_14partition_implILS5_8ELb0ES3_jPlPS6_PKS6_NS0_5tupleIJS9_S6_EEENSD_IJSA_SA_EEENS0_18inequality_wrapperIZN2at6native12_GLOBAL__N_124unique_dim_cuda_templateIbEESt5tupleIJNSH_6TensorESM_SM_EERKSM_lbbbEUlllE0_EEPmJS6_EEE10hipError_tPvRmT3_T4_T5_T6_T7_T9_mT8_P12ihipStream_tbDpT10_ENKUlT_T0_E_clISt17integral_constantIbLb1EES1C_EEDaS17_S18_EUlS17_E_NS1_11comp_targetILNS1_3genE10ELNS1_11target_archE1200ELNS1_3gpuE4ELNS1_3repE0EEENS1_30default_config_static_selectorELNS0_4arch9wavefront6targetE0EEEvT1_.private_seg_size, 0
	.set _ZN7rocprim17ROCPRIM_400000_NS6detail17trampoline_kernelINS0_14default_configENS1_25partition_config_selectorILNS1_17partition_subalgoE8ElNS0_10empty_typeEbEEZZNS1_14partition_implILS5_8ELb0ES3_jPlPS6_PKS6_NS0_5tupleIJS9_S6_EEENSD_IJSA_SA_EEENS0_18inequality_wrapperIZN2at6native12_GLOBAL__N_124unique_dim_cuda_templateIbEESt5tupleIJNSH_6TensorESM_SM_EERKSM_lbbbEUlllE0_EEPmJS6_EEE10hipError_tPvRmT3_T4_T5_T6_T7_T9_mT8_P12ihipStream_tbDpT10_ENKUlT_T0_E_clISt17integral_constantIbLb1EES1C_EEDaS17_S18_EUlS17_E_NS1_11comp_targetILNS1_3genE10ELNS1_11target_archE1200ELNS1_3gpuE4ELNS1_3repE0EEENS1_30default_config_static_selectorELNS0_4arch9wavefront6targetE0EEEvT1_.uses_vcc, 0
	.set _ZN7rocprim17ROCPRIM_400000_NS6detail17trampoline_kernelINS0_14default_configENS1_25partition_config_selectorILNS1_17partition_subalgoE8ElNS0_10empty_typeEbEEZZNS1_14partition_implILS5_8ELb0ES3_jPlPS6_PKS6_NS0_5tupleIJS9_S6_EEENSD_IJSA_SA_EEENS0_18inequality_wrapperIZN2at6native12_GLOBAL__N_124unique_dim_cuda_templateIbEESt5tupleIJNSH_6TensorESM_SM_EERKSM_lbbbEUlllE0_EEPmJS6_EEE10hipError_tPvRmT3_T4_T5_T6_T7_T9_mT8_P12ihipStream_tbDpT10_ENKUlT_T0_E_clISt17integral_constantIbLb1EES1C_EEDaS17_S18_EUlS17_E_NS1_11comp_targetILNS1_3genE10ELNS1_11target_archE1200ELNS1_3gpuE4ELNS1_3repE0EEENS1_30default_config_static_selectorELNS0_4arch9wavefront6targetE0EEEvT1_.uses_flat_scratch, 0
	.set _ZN7rocprim17ROCPRIM_400000_NS6detail17trampoline_kernelINS0_14default_configENS1_25partition_config_selectorILNS1_17partition_subalgoE8ElNS0_10empty_typeEbEEZZNS1_14partition_implILS5_8ELb0ES3_jPlPS6_PKS6_NS0_5tupleIJS9_S6_EEENSD_IJSA_SA_EEENS0_18inequality_wrapperIZN2at6native12_GLOBAL__N_124unique_dim_cuda_templateIbEESt5tupleIJNSH_6TensorESM_SM_EERKSM_lbbbEUlllE0_EEPmJS6_EEE10hipError_tPvRmT3_T4_T5_T6_T7_T9_mT8_P12ihipStream_tbDpT10_ENKUlT_T0_E_clISt17integral_constantIbLb1EES1C_EEDaS17_S18_EUlS17_E_NS1_11comp_targetILNS1_3genE10ELNS1_11target_archE1200ELNS1_3gpuE4ELNS1_3repE0EEENS1_30default_config_static_selectorELNS0_4arch9wavefront6targetE0EEEvT1_.has_dyn_sized_stack, 0
	.set _ZN7rocprim17ROCPRIM_400000_NS6detail17trampoline_kernelINS0_14default_configENS1_25partition_config_selectorILNS1_17partition_subalgoE8ElNS0_10empty_typeEbEEZZNS1_14partition_implILS5_8ELb0ES3_jPlPS6_PKS6_NS0_5tupleIJS9_S6_EEENSD_IJSA_SA_EEENS0_18inequality_wrapperIZN2at6native12_GLOBAL__N_124unique_dim_cuda_templateIbEESt5tupleIJNSH_6TensorESM_SM_EERKSM_lbbbEUlllE0_EEPmJS6_EEE10hipError_tPvRmT3_T4_T5_T6_T7_T9_mT8_P12ihipStream_tbDpT10_ENKUlT_T0_E_clISt17integral_constantIbLb1EES1C_EEDaS17_S18_EUlS17_E_NS1_11comp_targetILNS1_3genE10ELNS1_11target_archE1200ELNS1_3gpuE4ELNS1_3repE0EEENS1_30default_config_static_selectorELNS0_4arch9wavefront6targetE0EEEvT1_.has_recursion, 0
	.set _ZN7rocprim17ROCPRIM_400000_NS6detail17trampoline_kernelINS0_14default_configENS1_25partition_config_selectorILNS1_17partition_subalgoE8ElNS0_10empty_typeEbEEZZNS1_14partition_implILS5_8ELb0ES3_jPlPS6_PKS6_NS0_5tupleIJS9_S6_EEENSD_IJSA_SA_EEENS0_18inequality_wrapperIZN2at6native12_GLOBAL__N_124unique_dim_cuda_templateIbEESt5tupleIJNSH_6TensorESM_SM_EERKSM_lbbbEUlllE0_EEPmJS6_EEE10hipError_tPvRmT3_T4_T5_T6_T7_T9_mT8_P12ihipStream_tbDpT10_ENKUlT_T0_E_clISt17integral_constantIbLb1EES1C_EEDaS17_S18_EUlS17_E_NS1_11comp_targetILNS1_3genE10ELNS1_11target_archE1200ELNS1_3gpuE4ELNS1_3repE0EEENS1_30default_config_static_selectorELNS0_4arch9wavefront6targetE0EEEvT1_.has_indirect_call, 0
	.section	.AMDGPU.csdata,"",@progbits
; Kernel info:
; codeLenInByte = 0
; TotalNumSgprs: 0
; NumVgprs: 0
; ScratchSize: 0
; MemoryBound: 0
; FloatMode: 240
; IeeeMode: 1
; LDSByteSize: 0 bytes/workgroup (compile time only)
; SGPRBlocks: 0
; VGPRBlocks: 0
; NumSGPRsForWavesPerEU: 1
; NumVGPRsForWavesPerEU: 1
; NamedBarCnt: 0
; Occupancy: 16
; WaveLimiterHint : 0
; COMPUTE_PGM_RSRC2:SCRATCH_EN: 0
; COMPUTE_PGM_RSRC2:USER_SGPR: 2
; COMPUTE_PGM_RSRC2:TRAP_HANDLER: 0
; COMPUTE_PGM_RSRC2:TGID_X_EN: 1
; COMPUTE_PGM_RSRC2:TGID_Y_EN: 0
; COMPUTE_PGM_RSRC2:TGID_Z_EN: 0
; COMPUTE_PGM_RSRC2:TIDIG_COMP_CNT: 0
	.section	.text._ZN7rocprim17ROCPRIM_400000_NS6detail17trampoline_kernelINS0_14default_configENS1_25partition_config_selectorILNS1_17partition_subalgoE8ElNS0_10empty_typeEbEEZZNS1_14partition_implILS5_8ELb0ES3_jPlPS6_PKS6_NS0_5tupleIJS9_S6_EEENSD_IJSA_SA_EEENS0_18inequality_wrapperIZN2at6native12_GLOBAL__N_124unique_dim_cuda_templateIbEESt5tupleIJNSH_6TensorESM_SM_EERKSM_lbbbEUlllE0_EEPmJS6_EEE10hipError_tPvRmT3_T4_T5_T6_T7_T9_mT8_P12ihipStream_tbDpT10_ENKUlT_T0_E_clISt17integral_constantIbLb1EES1C_EEDaS17_S18_EUlS17_E_NS1_11comp_targetILNS1_3genE9ELNS1_11target_archE1100ELNS1_3gpuE3ELNS1_3repE0EEENS1_30default_config_static_selectorELNS0_4arch9wavefront6targetE0EEEvT1_,"axG",@progbits,_ZN7rocprim17ROCPRIM_400000_NS6detail17trampoline_kernelINS0_14default_configENS1_25partition_config_selectorILNS1_17partition_subalgoE8ElNS0_10empty_typeEbEEZZNS1_14partition_implILS5_8ELb0ES3_jPlPS6_PKS6_NS0_5tupleIJS9_S6_EEENSD_IJSA_SA_EEENS0_18inequality_wrapperIZN2at6native12_GLOBAL__N_124unique_dim_cuda_templateIbEESt5tupleIJNSH_6TensorESM_SM_EERKSM_lbbbEUlllE0_EEPmJS6_EEE10hipError_tPvRmT3_T4_T5_T6_T7_T9_mT8_P12ihipStream_tbDpT10_ENKUlT_T0_E_clISt17integral_constantIbLb1EES1C_EEDaS17_S18_EUlS17_E_NS1_11comp_targetILNS1_3genE9ELNS1_11target_archE1100ELNS1_3gpuE3ELNS1_3repE0EEENS1_30default_config_static_selectorELNS0_4arch9wavefront6targetE0EEEvT1_,comdat
	.globl	_ZN7rocprim17ROCPRIM_400000_NS6detail17trampoline_kernelINS0_14default_configENS1_25partition_config_selectorILNS1_17partition_subalgoE8ElNS0_10empty_typeEbEEZZNS1_14partition_implILS5_8ELb0ES3_jPlPS6_PKS6_NS0_5tupleIJS9_S6_EEENSD_IJSA_SA_EEENS0_18inequality_wrapperIZN2at6native12_GLOBAL__N_124unique_dim_cuda_templateIbEESt5tupleIJNSH_6TensorESM_SM_EERKSM_lbbbEUlllE0_EEPmJS6_EEE10hipError_tPvRmT3_T4_T5_T6_T7_T9_mT8_P12ihipStream_tbDpT10_ENKUlT_T0_E_clISt17integral_constantIbLb1EES1C_EEDaS17_S18_EUlS17_E_NS1_11comp_targetILNS1_3genE9ELNS1_11target_archE1100ELNS1_3gpuE3ELNS1_3repE0EEENS1_30default_config_static_selectorELNS0_4arch9wavefront6targetE0EEEvT1_ ; -- Begin function _ZN7rocprim17ROCPRIM_400000_NS6detail17trampoline_kernelINS0_14default_configENS1_25partition_config_selectorILNS1_17partition_subalgoE8ElNS0_10empty_typeEbEEZZNS1_14partition_implILS5_8ELb0ES3_jPlPS6_PKS6_NS0_5tupleIJS9_S6_EEENSD_IJSA_SA_EEENS0_18inequality_wrapperIZN2at6native12_GLOBAL__N_124unique_dim_cuda_templateIbEESt5tupleIJNSH_6TensorESM_SM_EERKSM_lbbbEUlllE0_EEPmJS6_EEE10hipError_tPvRmT3_T4_T5_T6_T7_T9_mT8_P12ihipStream_tbDpT10_ENKUlT_T0_E_clISt17integral_constantIbLb1EES1C_EEDaS17_S18_EUlS17_E_NS1_11comp_targetILNS1_3genE9ELNS1_11target_archE1100ELNS1_3gpuE3ELNS1_3repE0EEENS1_30default_config_static_selectorELNS0_4arch9wavefront6targetE0EEEvT1_
	.p2align	8
	.type	_ZN7rocprim17ROCPRIM_400000_NS6detail17trampoline_kernelINS0_14default_configENS1_25partition_config_selectorILNS1_17partition_subalgoE8ElNS0_10empty_typeEbEEZZNS1_14partition_implILS5_8ELb0ES3_jPlPS6_PKS6_NS0_5tupleIJS9_S6_EEENSD_IJSA_SA_EEENS0_18inequality_wrapperIZN2at6native12_GLOBAL__N_124unique_dim_cuda_templateIbEESt5tupleIJNSH_6TensorESM_SM_EERKSM_lbbbEUlllE0_EEPmJS6_EEE10hipError_tPvRmT3_T4_T5_T6_T7_T9_mT8_P12ihipStream_tbDpT10_ENKUlT_T0_E_clISt17integral_constantIbLb1EES1C_EEDaS17_S18_EUlS17_E_NS1_11comp_targetILNS1_3genE9ELNS1_11target_archE1100ELNS1_3gpuE3ELNS1_3repE0EEENS1_30default_config_static_selectorELNS0_4arch9wavefront6targetE0EEEvT1_,@function
_ZN7rocprim17ROCPRIM_400000_NS6detail17trampoline_kernelINS0_14default_configENS1_25partition_config_selectorILNS1_17partition_subalgoE8ElNS0_10empty_typeEbEEZZNS1_14partition_implILS5_8ELb0ES3_jPlPS6_PKS6_NS0_5tupleIJS9_S6_EEENSD_IJSA_SA_EEENS0_18inequality_wrapperIZN2at6native12_GLOBAL__N_124unique_dim_cuda_templateIbEESt5tupleIJNSH_6TensorESM_SM_EERKSM_lbbbEUlllE0_EEPmJS6_EEE10hipError_tPvRmT3_T4_T5_T6_T7_T9_mT8_P12ihipStream_tbDpT10_ENKUlT_T0_E_clISt17integral_constantIbLb1EES1C_EEDaS17_S18_EUlS17_E_NS1_11comp_targetILNS1_3genE9ELNS1_11target_archE1100ELNS1_3gpuE3ELNS1_3repE0EEENS1_30default_config_static_selectorELNS0_4arch9wavefront6targetE0EEEvT1_: ; @_ZN7rocprim17ROCPRIM_400000_NS6detail17trampoline_kernelINS0_14default_configENS1_25partition_config_selectorILNS1_17partition_subalgoE8ElNS0_10empty_typeEbEEZZNS1_14partition_implILS5_8ELb0ES3_jPlPS6_PKS6_NS0_5tupleIJS9_S6_EEENSD_IJSA_SA_EEENS0_18inequality_wrapperIZN2at6native12_GLOBAL__N_124unique_dim_cuda_templateIbEESt5tupleIJNSH_6TensorESM_SM_EERKSM_lbbbEUlllE0_EEPmJS6_EEE10hipError_tPvRmT3_T4_T5_T6_T7_T9_mT8_P12ihipStream_tbDpT10_ENKUlT_T0_E_clISt17integral_constantIbLb1EES1C_EEDaS17_S18_EUlS17_E_NS1_11comp_targetILNS1_3genE9ELNS1_11target_archE1100ELNS1_3gpuE3ELNS1_3repE0EEENS1_30default_config_static_selectorELNS0_4arch9wavefront6targetE0EEEvT1_
; %bb.0:
	.section	.rodata,"a",@progbits
	.p2align	6, 0x0
	.amdhsa_kernel _ZN7rocprim17ROCPRIM_400000_NS6detail17trampoline_kernelINS0_14default_configENS1_25partition_config_selectorILNS1_17partition_subalgoE8ElNS0_10empty_typeEbEEZZNS1_14partition_implILS5_8ELb0ES3_jPlPS6_PKS6_NS0_5tupleIJS9_S6_EEENSD_IJSA_SA_EEENS0_18inequality_wrapperIZN2at6native12_GLOBAL__N_124unique_dim_cuda_templateIbEESt5tupleIJNSH_6TensorESM_SM_EERKSM_lbbbEUlllE0_EEPmJS6_EEE10hipError_tPvRmT3_T4_T5_T6_T7_T9_mT8_P12ihipStream_tbDpT10_ENKUlT_T0_E_clISt17integral_constantIbLb1EES1C_EEDaS17_S18_EUlS17_E_NS1_11comp_targetILNS1_3genE9ELNS1_11target_archE1100ELNS1_3gpuE3ELNS1_3repE0EEENS1_30default_config_static_selectorELNS0_4arch9wavefront6targetE0EEEvT1_
		.amdhsa_group_segment_fixed_size 0
		.amdhsa_private_segment_fixed_size 0
		.amdhsa_kernarg_size 136
		.amdhsa_user_sgpr_count 2
		.amdhsa_user_sgpr_dispatch_ptr 0
		.amdhsa_user_sgpr_queue_ptr 0
		.amdhsa_user_sgpr_kernarg_segment_ptr 1
		.amdhsa_user_sgpr_dispatch_id 0
		.amdhsa_user_sgpr_kernarg_preload_length 0
		.amdhsa_user_sgpr_kernarg_preload_offset 0
		.amdhsa_user_sgpr_private_segment_size 0
		.amdhsa_wavefront_size32 1
		.amdhsa_uses_dynamic_stack 0
		.amdhsa_enable_private_segment 0
		.amdhsa_system_sgpr_workgroup_id_x 1
		.amdhsa_system_sgpr_workgroup_id_y 0
		.amdhsa_system_sgpr_workgroup_id_z 0
		.amdhsa_system_sgpr_workgroup_info 0
		.amdhsa_system_vgpr_workitem_id 0
		.amdhsa_next_free_vgpr 1
		.amdhsa_next_free_sgpr 1
		.amdhsa_named_barrier_count 0
		.amdhsa_reserve_vcc 0
		.amdhsa_float_round_mode_32 0
		.amdhsa_float_round_mode_16_64 0
		.amdhsa_float_denorm_mode_32 3
		.amdhsa_float_denorm_mode_16_64 3
		.amdhsa_fp16_overflow 0
		.amdhsa_memory_ordered 1
		.amdhsa_forward_progress 1
		.amdhsa_inst_pref_size 0
		.amdhsa_round_robin_scheduling 0
		.amdhsa_exception_fp_ieee_invalid_op 0
		.amdhsa_exception_fp_denorm_src 0
		.amdhsa_exception_fp_ieee_div_zero 0
		.amdhsa_exception_fp_ieee_overflow 0
		.amdhsa_exception_fp_ieee_underflow 0
		.amdhsa_exception_fp_ieee_inexact 0
		.amdhsa_exception_int_div_zero 0
	.end_amdhsa_kernel
	.section	.text._ZN7rocprim17ROCPRIM_400000_NS6detail17trampoline_kernelINS0_14default_configENS1_25partition_config_selectorILNS1_17partition_subalgoE8ElNS0_10empty_typeEbEEZZNS1_14partition_implILS5_8ELb0ES3_jPlPS6_PKS6_NS0_5tupleIJS9_S6_EEENSD_IJSA_SA_EEENS0_18inequality_wrapperIZN2at6native12_GLOBAL__N_124unique_dim_cuda_templateIbEESt5tupleIJNSH_6TensorESM_SM_EERKSM_lbbbEUlllE0_EEPmJS6_EEE10hipError_tPvRmT3_T4_T5_T6_T7_T9_mT8_P12ihipStream_tbDpT10_ENKUlT_T0_E_clISt17integral_constantIbLb1EES1C_EEDaS17_S18_EUlS17_E_NS1_11comp_targetILNS1_3genE9ELNS1_11target_archE1100ELNS1_3gpuE3ELNS1_3repE0EEENS1_30default_config_static_selectorELNS0_4arch9wavefront6targetE0EEEvT1_,"axG",@progbits,_ZN7rocprim17ROCPRIM_400000_NS6detail17trampoline_kernelINS0_14default_configENS1_25partition_config_selectorILNS1_17partition_subalgoE8ElNS0_10empty_typeEbEEZZNS1_14partition_implILS5_8ELb0ES3_jPlPS6_PKS6_NS0_5tupleIJS9_S6_EEENSD_IJSA_SA_EEENS0_18inequality_wrapperIZN2at6native12_GLOBAL__N_124unique_dim_cuda_templateIbEESt5tupleIJNSH_6TensorESM_SM_EERKSM_lbbbEUlllE0_EEPmJS6_EEE10hipError_tPvRmT3_T4_T5_T6_T7_T9_mT8_P12ihipStream_tbDpT10_ENKUlT_T0_E_clISt17integral_constantIbLb1EES1C_EEDaS17_S18_EUlS17_E_NS1_11comp_targetILNS1_3genE9ELNS1_11target_archE1100ELNS1_3gpuE3ELNS1_3repE0EEENS1_30default_config_static_selectorELNS0_4arch9wavefront6targetE0EEEvT1_,comdat
.Lfunc_end1065:
	.size	_ZN7rocprim17ROCPRIM_400000_NS6detail17trampoline_kernelINS0_14default_configENS1_25partition_config_selectorILNS1_17partition_subalgoE8ElNS0_10empty_typeEbEEZZNS1_14partition_implILS5_8ELb0ES3_jPlPS6_PKS6_NS0_5tupleIJS9_S6_EEENSD_IJSA_SA_EEENS0_18inequality_wrapperIZN2at6native12_GLOBAL__N_124unique_dim_cuda_templateIbEESt5tupleIJNSH_6TensorESM_SM_EERKSM_lbbbEUlllE0_EEPmJS6_EEE10hipError_tPvRmT3_T4_T5_T6_T7_T9_mT8_P12ihipStream_tbDpT10_ENKUlT_T0_E_clISt17integral_constantIbLb1EES1C_EEDaS17_S18_EUlS17_E_NS1_11comp_targetILNS1_3genE9ELNS1_11target_archE1100ELNS1_3gpuE3ELNS1_3repE0EEENS1_30default_config_static_selectorELNS0_4arch9wavefront6targetE0EEEvT1_, .Lfunc_end1065-_ZN7rocprim17ROCPRIM_400000_NS6detail17trampoline_kernelINS0_14default_configENS1_25partition_config_selectorILNS1_17partition_subalgoE8ElNS0_10empty_typeEbEEZZNS1_14partition_implILS5_8ELb0ES3_jPlPS6_PKS6_NS0_5tupleIJS9_S6_EEENSD_IJSA_SA_EEENS0_18inequality_wrapperIZN2at6native12_GLOBAL__N_124unique_dim_cuda_templateIbEESt5tupleIJNSH_6TensorESM_SM_EERKSM_lbbbEUlllE0_EEPmJS6_EEE10hipError_tPvRmT3_T4_T5_T6_T7_T9_mT8_P12ihipStream_tbDpT10_ENKUlT_T0_E_clISt17integral_constantIbLb1EES1C_EEDaS17_S18_EUlS17_E_NS1_11comp_targetILNS1_3genE9ELNS1_11target_archE1100ELNS1_3gpuE3ELNS1_3repE0EEENS1_30default_config_static_selectorELNS0_4arch9wavefront6targetE0EEEvT1_
                                        ; -- End function
	.set _ZN7rocprim17ROCPRIM_400000_NS6detail17trampoline_kernelINS0_14default_configENS1_25partition_config_selectorILNS1_17partition_subalgoE8ElNS0_10empty_typeEbEEZZNS1_14partition_implILS5_8ELb0ES3_jPlPS6_PKS6_NS0_5tupleIJS9_S6_EEENSD_IJSA_SA_EEENS0_18inequality_wrapperIZN2at6native12_GLOBAL__N_124unique_dim_cuda_templateIbEESt5tupleIJNSH_6TensorESM_SM_EERKSM_lbbbEUlllE0_EEPmJS6_EEE10hipError_tPvRmT3_T4_T5_T6_T7_T9_mT8_P12ihipStream_tbDpT10_ENKUlT_T0_E_clISt17integral_constantIbLb1EES1C_EEDaS17_S18_EUlS17_E_NS1_11comp_targetILNS1_3genE9ELNS1_11target_archE1100ELNS1_3gpuE3ELNS1_3repE0EEENS1_30default_config_static_selectorELNS0_4arch9wavefront6targetE0EEEvT1_.num_vgpr, 0
	.set _ZN7rocprim17ROCPRIM_400000_NS6detail17trampoline_kernelINS0_14default_configENS1_25partition_config_selectorILNS1_17partition_subalgoE8ElNS0_10empty_typeEbEEZZNS1_14partition_implILS5_8ELb0ES3_jPlPS6_PKS6_NS0_5tupleIJS9_S6_EEENSD_IJSA_SA_EEENS0_18inequality_wrapperIZN2at6native12_GLOBAL__N_124unique_dim_cuda_templateIbEESt5tupleIJNSH_6TensorESM_SM_EERKSM_lbbbEUlllE0_EEPmJS6_EEE10hipError_tPvRmT3_T4_T5_T6_T7_T9_mT8_P12ihipStream_tbDpT10_ENKUlT_T0_E_clISt17integral_constantIbLb1EES1C_EEDaS17_S18_EUlS17_E_NS1_11comp_targetILNS1_3genE9ELNS1_11target_archE1100ELNS1_3gpuE3ELNS1_3repE0EEENS1_30default_config_static_selectorELNS0_4arch9wavefront6targetE0EEEvT1_.num_agpr, 0
	.set _ZN7rocprim17ROCPRIM_400000_NS6detail17trampoline_kernelINS0_14default_configENS1_25partition_config_selectorILNS1_17partition_subalgoE8ElNS0_10empty_typeEbEEZZNS1_14partition_implILS5_8ELb0ES3_jPlPS6_PKS6_NS0_5tupleIJS9_S6_EEENSD_IJSA_SA_EEENS0_18inequality_wrapperIZN2at6native12_GLOBAL__N_124unique_dim_cuda_templateIbEESt5tupleIJNSH_6TensorESM_SM_EERKSM_lbbbEUlllE0_EEPmJS6_EEE10hipError_tPvRmT3_T4_T5_T6_T7_T9_mT8_P12ihipStream_tbDpT10_ENKUlT_T0_E_clISt17integral_constantIbLb1EES1C_EEDaS17_S18_EUlS17_E_NS1_11comp_targetILNS1_3genE9ELNS1_11target_archE1100ELNS1_3gpuE3ELNS1_3repE0EEENS1_30default_config_static_selectorELNS0_4arch9wavefront6targetE0EEEvT1_.numbered_sgpr, 0
	.set _ZN7rocprim17ROCPRIM_400000_NS6detail17trampoline_kernelINS0_14default_configENS1_25partition_config_selectorILNS1_17partition_subalgoE8ElNS0_10empty_typeEbEEZZNS1_14partition_implILS5_8ELb0ES3_jPlPS6_PKS6_NS0_5tupleIJS9_S6_EEENSD_IJSA_SA_EEENS0_18inequality_wrapperIZN2at6native12_GLOBAL__N_124unique_dim_cuda_templateIbEESt5tupleIJNSH_6TensorESM_SM_EERKSM_lbbbEUlllE0_EEPmJS6_EEE10hipError_tPvRmT3_T4_T5_T6_T7_T9_mT8_P12ihipStream_tbDpT10_ENKUlT_T0_E_clISt17integral_constantIbLb1EES1C_EEDaS17_S18_EUlS17_E_NS1_11comp_targetILNS1_3genE9ELNS1_11target_archE1100ELNS1_3gpuE3ELNS1_3repE0EEENS1_30default_config_static_selectorELNS0_4arch9wavefront6targetE0EEEvT1_.num_named_barrier, 0
	.set _ZN7rocprim17ROCPRIM_400000_NS6detail17trampoline_kernelINS0_14default_configENS1_25partition_config_selectorILNS1_17partition_subalgoE8ElNS0_10empty_typeEbEEZZNS1_14partition_implILS5_8ELb0ES3_jPlPS6_PKS6_NS0_5tupleIJS9_S6_EEENSD_IJSA_SA_EEENS0_18inequality_wrapperIZN2at6native12_GLOBAL__N_124unique_dim_cuda_templateIbEESt5tupleIJNSH_6TensorESM_SM_EERKSM_lbbbEUlllE0_EEPmJS6_EEE10hipError_tPvRmT3_T4_T5_T6_T7_T9_mT8_P12ihipStream_tbDpT10_ENKUlT_T0_E_clISt17integral_constantIbLb1EES1C_EEDaS17_S18_EUlS17_E_NS1_11comp_targetILNS1_3genE9ELNS1_11target_archE1100ELNS1_3gpuE3ELNS1_3repE0EEENS1_30default_config_static_selectorELNS0_4arch9wavefront6targetE0EEEvT1_.private_seg_size, 0
	.set _ZN7rocprim17ROCPRIM_400000_NS6detail17trampoline_kernelINS0_14default_configENS1_25partition_config_selectorILNS1_17partition_subalgoE8ElNS0_10empty_typeEbEEZZNS1_14partition_implILS5_8ELb0ES3_jPlPS6_PKS6_NS0_5tupleIJS9_S6_EEENSD_IJSA_SA_EEENS0_18inequality_wrapperIZN2at6native12_GLOBAL__N_124unique_dim_cuda_templateIbEESt5tupleIJNSH_6TensorESM_SM_EERKSM_lbbbEUlllE0_EEPmJS6_EEE10hipError_tPvRmT3_T4_T5_T6_T7_T9_mT8_P12ihipStream_tbDpT10_ENKUlT_T0_E_clISt17integral_constantIbLb1EES1C_EEDaS17_S18_EUlS17_E_NS1_11comp_targetILNS1_3genE9ELNS1_11target_archE1100ELNS1_3gpuE3ELNS1_3repE0EEENS1_30default_config_static_selectorELNS0_4arch9wavefront6targetE0EEEvT1_.uses_vcc, 0
	.set _ZN7rocprim17ROCPRIM_400000_NS6detail17trampoline_kernelINS0_14default_configENS1_25partition_config_selectorILNS1_17partition_subalgoE8ElNS0_10empty_typeEbEEZZNS1_14partition_implILS5_8ELb0ES3_jPlPS6_PKS6_NS0_5tupleIJS9_S6_EEENSD_IJSA_SA_EEENS0_18inequality_wrapperIZN2at6native12_GLOBAL__N_124unique_dim_cuda_templateIbEESt5tupleIJNSH_6TensorESM_SM_EERKSM_lbbbEUlllE0_EEPmJS6_EEE10hipError_tPvRmT3_T4_T5_T6_T7_T9_mT8_P12ihipStream_tbDpT10_ENKUlT_T0_E_clISt17integral_constantIbLb1EES1C_EEDaS17_S18_EUlS17_E_NS1_11comp_targetILNS1_3genE9ELNS1_11target_archE1100ELNS1_3gpuE3ELNS1_3repE0EEENS1_30default_config_static_selectorELNS0_4arch9wavefront6targetE0EEEvT1_.uses_flat_scratch, 0
	.set _ZN7rocprim17ROCPRIM_400000_NS6detail17trampoline_kernelINS0_14default_configENS1_25partition_config_selectorILNS1_17partition_subalgoE8ElNS0_10empty_typeEbEEZZNS1_14partition_implILS5_8ELb0ES3_jPlPS6_PKS6_NS0_5tupleIJS9_S6_EEENSD_IJSA_SA_EEENS0_18inequality_wrapperIZN2at6native12_GLOBAL__N_124unique_dim_cuda_templateIbEESt5tupleIJNSH_6TensorESM_SM_EERKSM_lbbbEUlllE0_EEPmJS6_EEE10hipError_tPvRmT3_T4_T5_T6_T7_T9_mT8_P12ihipStream_tbDpT10_ENKUlT_T0_E_clISt17integral_constantIbLb1EES1C_EEDaS17_S18_EUlS17_E_NS1_11comp_targetILNS1_3genE9ELNS1_11target_archE1100ELNS1_3gpuE3ELNS1_3repE0EEENS1_30default_config_static_selectorELNS0_4arch9wavefront6targetE0EEEvT1_.has_dyn_sized_stack, 0
	.set _ZN7rocprim17ROCPRIM_400000_NS6detail17trampoline_kernelINS0_14default_configENS1_25partition_config_selectorILNS1_17partition_subalgoE8ElNS0_10empty_typeEbEEZZNS1_14partition_implILS5_8ELb0ES3_jPlPS6_PKS6_NS0_5tupleIJS9_S6_EEENSD_IJSA_SA_EEENS0_18inequality_wrapperIZN2at6native12_GLOBAL__N_124unique_dim_cuda_templateIbEESt5tupleIJNSH_6TensorESM_SM_EERKSM_lbbbEUlllE0_EEPmJS6_EEE10hipError_tPvRmT3_T4_T5_T6_T7_T9_mT8_P12ihipStream_tbDpT10_ENKUlT_T0_E_clISt17integral_constantIbLb1EES1C_EEDaS17_S18_EUlS17_E_NS1_11comp_targetILNS1_3genE9ELNS1_11target_archE1100ELNS1_3gpuE3ELNS1_3repE0EEENS1_30default_config_static_selectorELNS0_4arch9wavefront6targetE0EEEvT1_.has_recursion, 0
	.set _ZN7rocprim17ROCPRIM_400000_NS6detail17trampoline_kernelINS0_14default_configENS1_25partition_config_selectorILNS1_17partition_subalgoE8ElNS0_10empty_typeEbEEZZNS1_14partition_implILS5_8ELb0ES3_jPlPS6_PKS6_NS0_5tupleIJS9_S6_EEENSD_IJSA_SA_EEENS0_18inequality_wrapperIZN2at6native12_GLOBAL__N_124unique_dim_cuda_templateIbEESt5tupleIJNSH_6TensorESM_SM_EERKSM_lbbbEUlllE0_EEPmJS6_EEE10hipError_tPvRmT3_T4_T5_T6_T7_T9_mT8_P12ihipStream_tbDpT10_ENKUlT_T0_E_clISt17integral_constantIbLb1EES1C_EEDaS17_S18_EUlS17_E_NS1_11comp_targetILNS1_3genE9ELNS1_11target_archE1100ELNS1_3gpuE3ELNS1_3repE0EEENS1_30default_config_static_selectorELNS0_4arch9wavefront6targetE0EEEvT1_.has_indirect_call, 0
	.section	.AMDGPU.csdata,"",@progbits
; Kernel info:
; codeLenInByte = 0
; TotalNumSgprs: 0
; NumVgprs: 0
; ScratchSize: 0
; MemoryBound: 0
; FloatMode: 240
; IeeeMode: 1
; LDSByteSize: 0 bytes/workgroup (compile time only)
; SGPRBlocks: 0
; VGPRBlocks: 0
; NumSGPRsForWavesPerEU: 1
; NumVGPRsForWavesPerEU: 1
; NamedBarCnt: 0
; Occupancy: 16
; WaveLimiterHint : 0
; COMPUTE_PGM_RSRC2:SCRATCH_EN: 0
; COMPUTE_PGM_RSRC2:USER_SGPR: 2
; COMPUTE_PGM_RSRC2:TRAP_HANDLER: 0
; COMPUTE_PGM_RSRC2:TGID_X_EN: 1
; COMPUTE_PGM_RSRC2:TGID_Y_EN: 0
; COMPUTE_PGM_RSRC2:TGID_Z_EN: 0
; COMPUTE_PGM_RSRC2:TIDIG_COMP_CNT: 0
	.section	.text._ZN7rocprim17ROCPRIM_400000_NS6detail17trampoline_kernelINS0_14default_configENS1_25partition_config_selectorILNS1_17partition_subalgoE8ElNS0_10empty_typeEbEEZZNS1_14partition_implILS5_8ELb0ES3_jPlPS6_PKS6_NS0_5tupleIJS9_S6_EEENSD_IJSA_SA_EEENS0_18inequality_wrapperIZN2at6native12_GLOBAL__N_124unique_dim_cuda_templateIbEESt5tupleIJNSH_6TensorESM_SM_EERKSM_lbbbEUlllE0_EEPmJS6_EEE10hipError_tPvRmT3_T4_T5_T6_T7_T9_mT8_P12ihipStream_tbDpT10_ENKUlT_T0_E_clISt17integral_constantIbLb1EES1C_EEDaS17_S18_EUlS17_E_NS1_11comp_targetILNS1_3genE8ELNS1_11target_archE1030ELNS1_3gpuE2ELNS1_3repE0EEENS1_30default_config_static_selectorELNS0_4arch9wavefront6targetE0EEEvT1_,"axG",@progbits,_ZN7rocprim17ROCPRIM_400000_NS6detail17trampoline_kernelINS0_14default_configENS1_25partition_config_selectorILNS1_17partition_subalgoE8ElNS0_10empty_typeEbEEZZNS1_14partition_implILS5_8ELb0ES3_jPlPS6_PKS6_NS0_5tupleIJS9_S6_EEENSD_IJSA_SA_EEENS0_18inequality_wrapperIZN2at6native12_GLOBAL__N_124unique_dim_cuda_templateIbEESt5tupleIJNSH_6TensorESM_SM_EERKSM_lbbbEUlllE0_EEPmJS6_EEE10hipError_tPvRmT3_T4_T5_T6_T7_T9_mT8_P12ihipStream_tbDpT10_ENKUlT_T0_E_clISt17integral_constantIbLb1EES1C_EEDaS17_S18_EUlS17_E_NS1_11comp_targetILNS1_3genE8ELNS1_11target_archE1030ELNS1_3gpuE2ELNS1_3repE0EEENS1_30default_config_static_selectorELNS0_4arch9wavefront6targetE0EEEvT1_,comdat
	.globl	_ZN7rocprim17ROCPRIM_400000_NS6detail17trampoline_kernelINS0_14default_configENS1_25partition_config_selectorILNS1_17partition_subalgoE8ElNS0_10empty_typeEbEEZZNS1_14partition_implILS5_8ELb0ES3_jPlPS6_PKS6_NS0_5tupleIJS9_S6_EEENSD_IJSA_SA_EEENS0_18inequality_wrapperIZN2at6native12_GLOBAL__N_124unique_dim_cuda_templateIbEESt5tupleIJNSH_6TensorESM_SM_EERKSM_lbbbEUlllE0_EEPmJS6_EEE10hipError_tPvRmT3_T4_T5_T6_T7_T9_mT8_P12ihipStream_tbDpT10_ENKUlT_T0_E_clISt17integral_constantIbLb1EES1C_EEDaS17_S18_EUlS17_E_NS1_11comp_targetILNS1_3genE8ELNS1_11target_archE1030ELNS1_3gpuE2ELNS1_3repE0EEENS1_30default_config_static_selectorELNS0_4arch9wavefront6targetE0EEEvT1_ ; -- Begin function _ZN7rocprim17ROCPRIM_400000_NS6detail17trampoline_kernelINS0_14default_configENS1_25partition_config_selectorILNS1_17partition_subalgoE8ElNS0_10empty_typeEbEEZZNS1_14partition_implILS5_8ELb0ES3_jPlPS6_PKS6_NS0_5tupleIJS9_S6_EEENSD_IJSA_SA_EEENS0_18inequality_wrapperIZN2at6native12_GLOBAL__N_124unique_dim_cuda_templateIbEESt5tupleIJNSH_6TensorESM_SM_EERKSM_lbbbEUlllE0_EEPmJS6_EEE10hipError_tPvRmT3_T4_T5_T6_T7_T9_mT8_P12ihipStream_tbDpT10_ENKUlT_T0_E_clISt17integral_constantIbLb1EES1C_EEDaS17_S18_EUlS17_E_NS1_11comp_targetILNS1_3genE8ELNS1_11target_archE1030ELNS1_3gpuE2ELNS1_3repE0EEENS1_30default_config_static_selectorELNS0_4arch9wavefront6targetE0EEEvT1_
	.p2align	8
	.type	_ZN7rocprim17ROCPRIM_400000_NS6detail17trampoline_kernelINS0_14default_configENS1_25partition_config_selectorILNS1_17partition_subalgoE8ElNS0_10empty_typeEbEEZZNS1_14partition_implILS5_8ELb0ES3_jPlPS6_PKS6_NS0_5tupleIJS9_S6_EEENSD_IJSA_SA_EEENS0_18inequality_wrapperIZN2at6native12_GLOBAL__N_124unique_dim_cuda_templateIbEESt5tupleIJNSH_6TensorESM_SM_EERKSM_lbbbEUlllE0_EEPmJS6_EEE10hipError_tPvRmT3_T4_T5_T6_T7_T9_mT8_P12ihipStream_tbDpT10_ENKUlT_T0_E_clISt17integral_constantIbLb1EES1C_EEDaS17_S18_EUlS17_E_NS1_11comp_targetILNS1_3genE8ELNS1_11target_archE1030ELNS1_3gpuE2ELNS1_3repE0EEENS1_30default_config_static_selectorELNS0_4arch9wavefront6targetE0EEEvT1_,@function
_ZN7rocprim17ROCPRIM_400000_NS6detail17trampoline_kernelINS0_14default_configENS1_25partition_config_selectorILNS1_17partition_subalgoE8ElNS0_10empty_typeEbEEZZNS1_14partition_implILS5_8ELb0ES3_jPlPS6_PKS6_NS0_5tupleIJS9_S6_EEENSD_IJSA_SA_EEENS0_18inequality_wrapperIZN2at6native12_GLOBAL__N_124unique_dim_cuda_templateIbEESt5tupleIJNSH_6TensorESM_SM_EERKSM_lbbbEUlllE0_EEPmJS6_EEE10hipError_tPvRmT3_T4_T5_T6_T7_T9_mT8_P12ihipStream_tbDpT10_ENKUlT_T0_E_clISt17integral_constantIbLb1EES1C_EEDaS17_S18_EUlS17_E_NS1_11comp_targetILNS1_3genE8ELNS1_11target_archE1030ELNS1_3gpuE2ELNS1_3repE0EEENS1_30default_config_static_selectorELNS0_4arch9wavefront6targetE0EEEvT1_: ; @_ZN7rocprim17ROCPRIM_400000_NS6detail17trampoline_kernelINS0_14default_configENS1_25partition_config_selectorILNS1_17partition_subalgoE8ElNS0_10empty_typeEbEEZZNS1_14partition_implILS5_8ELb0ES3_jPlPS6_PKS6_NS0_5tupleIJS9_S6_EEENSD_IJSA_SA_EEENS0_18inequality_wrapperIZN2at6native12_GLOBAL__N_124unique_dim_cuda_templateIbEESt5tupleIJNSH_6TensorESM_SM_EERKSM_lbbbEUlllE0_EEPmJS6_EEE10hipError_tPvRmT3_T4_T5_T6_T7_T9_mT8_P12ihipStream_tbDpT10_ENKUlT_T0_E_clISt17integral_constantIbLb1EES1C_EEDaS17_S18_EUlS17_E_NS1_11comp_targetILNS1_3genE8ELNS1_11target_archE1030ELNS1_3gpuE2ELNS1_3repE0EEENS1_30default_config_static_selectorELNS0_4arch9wavefront6targetE0EEEvT1_
; %bb.0:
	.section	.rodata,"a",@progbits
	.p2align	6, 0x0
	.amdhsa_kernel _ZN7rocprim17ROCPRIM_400000_NS6detail17trampoline_kernelINS0_14default_configENS1_25partition_config_selectorILNS1_17partition_subalgoE8ElNS0_10empty_typeEbEEZZNS1_14partition_implILS5_8ELb0ES3_jPlPS6_PKS6_NS0_5tupleIJS9_S6_EEENSD_IJSA_SA_EEENS0_18inequality_wrapperIZN2at6native12_GLOBAL__N_124unique_dim_cuda_templateIbEESt5tupleIJNSH_6TensorESM_SM_EERKSM_lbbbEUlllE0_EEPmJS6_EEE10hipError_tPvRmT3_T4_T5_T6_T7_T9_mT8_P12ihipStream_tbDpT10_ENKUlT_T0_E_clISt17integral_constantIbLb1EES1C_EEDaS17_S18_EUlS17_E_NS1_11comp_targetILNS1_3genE8ELNS1_11target_archE1030ELNS1_3gpuE2ELNS1_3repE0EEENS1_30default_config_static_selectorELNS0_4arch9wavefront6targetE0EEEvT1_
		.amdhsa_group_segment_fixed_size 0
		.amdhsa_private_segment_fixed_size 0
		.amdhsa_kernarg_size 136
		.amdhsa_user_sgpr_count 2
		.amdhsa_user_sgpr_dispatch_ptr 0
		.amdhsa_user_sgpr_queue_ptr 0
		.amdhsa_user_sgpr_kernarg_segment_ptr 1
		.amdhsa_user_sgpr_dispatch_id 0
		.amdhsa_user_sgpr_kernarg_preload_length 0
		.amdhsa_user_sgpr_kernarg_preload_offset 0
		.amdhsa_user_sgpr_private_segment_size 0
		.amdhsa_wavefront_size32 1
		.amdhsa_uses_dynamic_stack 0
		.amdhsa_enable_private_segment 0
		.amdhsa_system_sgpr_workgroup_id_x 1
		.amdhsa_system_sgpr_workgroup_id_y 0
		.amdhsa_system_sgpr_workgroup_id_z 0
		.amdhsa_system_sgpr_workgroup_info 0
		.amdhsa_system_vgpr_workitem_id 0
		.amdhsa_next_free_vgpr 1
		.amdhsa_next_free_sgpr 1
		.amdhsa_named_barrier_count 0
		.amdhsa_reserve_vcc 0
		.amdhsa_float_round_mode_32 0
		.amdhsa_float_round_mode_16_64 0
		.amdhsa_float_denorm_mode_32 3
		.amdhsa_float_denorm_mode_16_64 3
		.amdhsa_fp16_overflow 0
		.amdhsa_memory_ordered 1
		.amdhsa_forward_progress 1
		.amdhsa_inst_pref_size 0
		.amdhsa_round_robin_scheduling 0
		.amdhsa_exception_fp_ieee_invalid_op 0
		.amdhsa_exception_fp_denorm_src 0
		.amdhsa_exception_fp_ieee_div_zero 0
		.amdhsa_exception_fp_ieee_overflow 0
		.amdhsa_exception_fp_ieee_underflow 0
		.amdhsa_exception_fp_ieee_inexact 0
		.amdhsa_exception_int_div_zero 0
	.end_amdhsa_kernel
	.section	.text._ZN7rocprim17ROCPRIM_400000_NS6detail17trampoline_kernelINS0_14default_configENS1_25partition_config_selectorILNS1_17partition_subalgoE8ElNS0_10empty_typeEbEEZZNS1_14partition_implILS5_8ELb0ES3_jPlPS6_PKS6_NS0_5tupleIJS9_S6_EEENSD_IJSA_SA_EEENS0_18inequality_wrapperIZN2at6native12_GLOBAL__N_124unique_dim_cuda_templateIbEESt5tupleIJNSH_6TensorESM_SM_EERKSM_lbbbEUlllE0_EEPmJS6_EEE10hipError_tPvRmT3_T4_T5_T6_T7_T9_mT8_P12ihipStream_tbDpT10_ENKUlT_T0_E_clISt17integral_constantIbLb1EES1C_EEDaS17_S18_EUlS17_E_NS1_11comp_targetILNS1_3genE8ELNS1_11target_archE1030ELNS1_3gpuE2ELNS1_3repE0EEENS1_30default_config_static_selectorELNS0_4arch9wavefront6targetE0EEEvT1_,"axG",@progbits,_ZN7rocprim17ROCPRIM_400000_NS6detail17trampoline_kernelINS0_14default_configENS1_25partition_config_selectorILNS1_17partition_subalgoE8ElNS0_10empty_typeEbEEZZNS1_14partition_implILS5_8ELb0ES3_jPlPS6_PKS6_NS0_5tupleIJS9_S6_EEENSD_IJSA_SA_EEENS0_18inequality_wrapperIZN2at6native12_GLOBAL__N_124unique_dim_cuda_templateIbEESt5tupleIJNSH_6TensorESM_SM_EERKSM_lbbbEUlllE0_EEPmJS6_EEE10hipError_tPvRmT3_T4_T5_T6_T7_T9_mT8_P12ihipStream_tbDpT10_ENKUlT_T0_E_clISt17integral_constantIbLb1EES1C_EEDaS17_S18_EUlS17_E_NS1_11comp_targetILNS1_3genE8ELNS1_11target_archE1030ELNS1_3gpuE2ELNS1_3repE0EEENS1_30default_config_static_selectorELNS0_4arch9wavefront6targetE0EEEvT1_,comdat
.Lfunc_end1066:
	.size	_ZN7rocprim17ROCPRIM_400000_NS6detail17trampoline_kernelINS0_14default_configENS1_25partition_config_selectorILNS1_17partition_subalgoE8ElNS0_10empty_typeEbEEZZNS1_14partition_implILS5_8ELb0ES3_jPlPS6_PKS6_NS0_5tupleIJS9_S6_EEENSD_IJSA_SA_EEENS0_18inequality_wrapperIZN2at6native12_GLOBAL__N_124unique_dim_cuda_templateIbEESt5tupleIJNSH_6TensorESM_SM_EERKSM_lbbbEUlllE0_EEPmJS6_EEE10hipError_tPvRmT3_T4_T5_T6_T7_T9_mT8_P12ihipStream_tbDpT10_ENKUlT_T0_E_clISt17integral_constantIbLb1EES1C_EEDaS17_S18_EUlS17_E_NS1_11comp_targetILNS1_3genE8ELNS1_11target_archE1030ELNS1_3gpuE2ELNS1_3repE0EEENS1_30default_config_static_selectorELNS0_4arch9wavefront6targetE0EEEvT1_, .Lfunc_end1066-_ZN7rocprim17ROCPRIM_400000_NS6detail17trampoline_kernelINS0_14default_configENS1_25partition_config_selectorILNS1_17partition_subalgoE8ElNS0_10empty_typeEbEEZZNS1_14partition_implILS5_8ELb0ES3_jPlPS6_PKS6_NS0_5tupleIJS9_S6_EEENSD_IJSA_SA_EEENS0_18inequality_wrapperIZN2at6native12_GLOBAL__N_124unique_dim_cuda_templateIbEESt5tupleIJNSH_6TensorESM_SM_EERKSM_lbbbEUlllE0_EEPmJS6_EEE10hipError_tPvRmT3_T4_T5_T6_T7_T9_mT8_P12ihipStream_tbDpT10_ENKUlT_T0_E_clISt17integral_constantIbLb1EES1C_EEDaS17_S18_EUlS17_E_NS1_11comp_targetILNS1_3genE8ELNS1_11target_archE1030ELNS1_3gpuE2ELNS1_3repE0EEENS1_30default_config_static_selectorELNS0_4arch9wavefront6targetE0EEEvT1_
                                        ; -- End function
	.set _ZN7rocprim17ROCPRIM_400000_NS6detail17trampoline_kernelINS0_14default_configENS1_25partition_config_selectorILNS1_17partition_subalgoE8ElNS0_10empty_typeEbEEZZNS1_14partition_implILS5_8ELb0ES3_jPlPS6_PKS6_NS0_5tupleIJS9_S6_EEENSD_IJSA_SA_EEENS0_18inequality_wrapperIZN2at6native12_GLOBAL__N_124unique_dim_cuda_templateIbEESt5tupleIJNSH_6TensorESM_SM_EERKSM_lbbbEUlllE0_EEPmJS6_EEE10hipError_tPvRmT3_T4_T5_T6_T7_T9_mT8_P12ihipStream_tbDpT10_ENKUlT_T0_E_clISt17integral_constantIbLb1EES1C_EEDaS17_S18_EUlS17_E_NS1_11comp_targetILNS1_3genE8ELNS1_11target_archE1030ELNS1_3gpuE2ELNS1_3repE0EEENS1_30default_config_static_selectorELNS0_4arch9wavefront6targetE0EEEvT1_.num_vgpr, 0
	.set _ZN7rocprim17ROCPRIM_400000_NS6detail17trampoline_kernelINS0_14default_configENS1_25partition_config_selectorILNS1_17partition_subalgoE8ElNS0_10empty_typeEbEEZZNS1_14partition_implILS5_8ELb0ES3_jPlPS6_PKS6_NS0_5tupleIJS9_S6_EEENSD_IJSA_SA_EEENS0_18inequality_wrapperIZN2at6native12_GLOBAL__N_124unique_dim_cuda_templateIbEESt5tupleIJNSH_6TensorESM_SM_EERKSM_lbbbEUlllE0_EEPmJS6_EEE10hipError_tPvRmT3_T4_T5_T6_T7_T9_mT8_P12ihipStream_tbDpT10_ENKUlT_T0_E_clISt17integral_constantIbLb1EES1C_EEDaS17_S18_EUlS17_E_NS1_11comp_targetILNS1_3genE8ELNS1_11target_archE1030ELNS1_3gpuE2ELNS1_3repE0EEENS1_30default_config_static_selectorELNS0_4arch9wavefront6targetE0EEEvT1_.num_agpr, 0
	.set _ZN7rocprim17ROCPRIM_400000_NS6detail17trampoline_kernelINS0_14default_configENS1_25partition_config_selectorILNS1_17partition_subalgoE8ElNS0_10empty_typeEbEEZZNS1_14partition_implILS5_8ELb0ES3_jPlPS6_PKS6_NS0_5tupleIJS9_S6_EEENSD_IJSA_SA_EEENS0_18inequality_wrapperIZN2at6native12_GLOBAL__N_124unique_dim_cuda_templateIbEESt5tupleIJNSH_6TensorESM_SM_EERKSM_lbbbEUlllE0_EEPmJS6_EEE10hipError_tPvRmT3_T4_T5_T6_T7_T9_mT8_P12ihipStream_tbDpT10_ENKUlT_T0_E_clISt17integral_constantIbLb1EES1C_EEDaS17_S18_EUlS17_E_NS1_11comp_targetILNS1_3genE8ELNS1_11target_archE1030ELNS1_3gpuE2ELNS1_3repE0EEENS1_30default_config_static_selectorELNS0_4arch9wavefront6targetE0EEEvT1_.numbered_sgpr, 0
	.set _ZN7rocprim17ROCPRIM_400000_NS6detail17trampoline_kernelINS0_14default_configENS1_25partition_config_selectorILNS1_17partition_subalgoE8ElNS0_10empty_typeEbEEZZNS1_14partition_implILS5_8ELb0ES3_jPlPS6_PKS6_NS0_5tupleIJS9_S6_EEENSD_IJSA_SA_EEENS0_18inequality_wrapperIZN2at6native12_GLOBAL__N_124unique_dim_cuda_templateIbEESt5tupleIJNSH_6TensorESM_SM_EERKSM_lbbbEUlllE0_EEPmJS6_EEE10hipError_tPvRmT3_T4_T5_T6_T7_T9_mT8_P12ihipStream_tbDpT10_ENKUlT_T0_E_clISt17integral_constantIbLb1EES1C_EEDaS17_S18_EUlS17_E_NS1_11comp_targetILNS1_3genE8ELNS1_11target_archE1030ELNS1_3gpuE2ELNS1_3repE0EEENS1_30default_config_static_selectorELNS0_4arch9wavefront6targetE0EEEvT1_.num_named_barrier, 0
	.set _ZN7rocprim17ROCPRIM_400000_NS6detail17trampoline_kernelINS0_14default_configENS1_25partition_config_selectorILNS1_17partition_subalgoE8ElNS0_10empty_typeEbEEZZNS1_14partition_implILS5_8ELb0ES3_jPlPS6_PKS6_NS0_5tupleIJS9_S6_EEENSD_IJSA_SA_EEENS0_18inequality_wrapperIZN2at6native12_GLOBAL__N_124unique_dim_cuda_templateIbEESt5tupleIJNSH_6TensorESM_SM_EERKSM_lbbbEUlllE0_EEPmJS6_EEE10hipError_tPvRmT3_T4_T5_T6_T7_T9_mT8_P12ihipStream_tbDpT10_ENKUlT_T0_E_clISt17integral_constantIbLb1EES1C_EEDaS17_S18_EUlS17_E_NS1_11comp_targetILNS1_3genE8ELNS1_11target_archE1030ELNS1_3gpuE2ELNS1_3repE0EEENS1_30default_config_static_selectorELNS0_4arch9wavefront6targetE0EEEvT1_.private_seg_size, 0
	.set _ZN7rocprim17ROCPRIM_400000_NS6detail17trampoline_kernelINS0_14default_configENS1_25partition_config_selectorILNS1_17partition_subalgoE8ElNS0_10empty_typeEbEEZZNS1_14partition_implILS5_8ELb0ES3_jPlPS6_PKS6_NS0_5tupleIJS9_S6_EEENSD_IJSA_SA_EEENS0_18inequality_wrapperIZN2at6native12_GLOBAL__N_124unique_dim_cuda_templateIbEESt5tupleIJNSH_6TensorESM_SM_EERKSM_lbbbEUlllE0_EEPmJS6_EEE10hipError_tPvRmT3_T4_T5_T6_T7_T9_mT8_P12ihipStream_tbDpT10_ENKUlT_T0_E_clISt17integral_constantIbLb1EES1C_EEDaS17_S18_EUlS17_E_NS1_11comp_targetILNS1_3genE8ELNS1_11target_archE1030ELNS1_3gpuE2ELNS1_3repE0EEENS1_30default_config_static_selectorELNS0_4arch9wavefront6targetE0EEEvT1_.uses_vcc, 0
	.set _ZN7rocprim17ROCPRIM_400000_NS6detail17trampoline_kernelINS0_14default_configENS1_25partition_config_selectorILNS1_17partition_subalgoE8ElNS0_10empty_typeEbEEZZNS1_14partition_implILS5_8ELb0ES3_jPlPS6_PKS6_NS0_5tupleIJS9_S6_EEENSD_IJSA_SA_EEENS0_18inequality_wrapperIZN2at6native12_GLOBAL__N_124unique_dim_cuda_templateIbEESt5tupleIJNSH_6TensorESM_SM_EERKSM_lbbbEUlllE0_EEPmJS6_EEE10hipError_tPvRmT3_T4_T5_T6_T7_T9_mT8_P12ihipStream_tbDpT10_ENKUlT_T0_E_clISt17integral_constantIbLb1EES1C_EEDaS17_S18_EUlS17_E_NS1_11comp_targetILNS1_3genE8ELNS1_11target_archE1030ELNS1_3gpuE2ELNS1_3repE0EEENS1_30default_config_static_selectorELNS0_4arch9wavefront6targetE0EEEvT1_.uses_flat_scratch, 0
	.set _ZN7rocprim17ROCPRIM_400000_NS6detail17trampoline_kernelINS0_14default_configENS1_25partition_config_selectorILNS1_17partition_subalgoE8ElNS0_10empty_typeEbEEZZNS1_14partition_implILS5_8ELb0ES3_jPlPS6_PKS6_NS0_5tupleIJS9_S6_EEENSD_IJSA_SA_EEENS0_18inequality_wrapperIZN2at6native12_GLOBAL__N_124unique_dim_cuda_templateIbEESt5tupleIJNSH_6TensorESM_SM_EERKSM_lbbbEUlllE0_EEPmJS6_EEE10hipError_tPvRmT3_T4_T5_T6_T7_T9_mT8_P12ihipStream_tbDpT10_ENKUlT_T0_E_clISt17integral_constantIbLb1EES1C_EEDaS17_S18_EUlS17_E_NS1_11comp_targetILNS1_3genE8ELNS1_11target_archE1030ELNS1_3gpuE2ELNS1_3repE0EEENS1_30default_config_static_selectorELNS0_4arch9wavefront6targetE0EEEvT1_.has_dyn_sized_stack, 0
	.set _ZN7rocprim17ROCPRIM_400000_NS6detail17trampoline_kernelINS0_14default_configENS1_25partition_config_selectorILNS1_17partition_subalgoE8ElNS0_10empty_typeEbEEZZNS1_14partition_implILS5_8ELb0ES3_jPlPS6_PKS6_NS0_5tupleIJS9_S6_EEENSD_IJSA_SA_EEENS0_18inequality_wrapperIZN2at6native12_GLOBAL__N_124unique_dim_cuda_templateIbEESt5tupleIJNSH_6TensorESM_SM_EERKSM_lbbbEUlllE0_EEPmJS6_EEE10hipError_tPvRmT3_T4_T5_T6_T7_T9_mT8_P12ihipStream_tbDpT10_ENKUlT_T0_E_clISt17integral_constantIbLb1EES1C_EEDaS17_S18_EUlS17_E_NS1_11comp_targetILNS1_3genE8ELNS1_11target_archE1030ELNS1_3gpuE2ELNS1_3repE0EEENS1_30default_config_static_selectorELNS0_4arch9wavefront6targetE0EEEvT1_.has_recursion, 0
	.set _ZN7rocprim17ROCPRIM_400000_NS6detail17trampoline_kernelINS0_14default_configENS1_25partition_config_selectorILNS1_17partition_subalgoE8ElNS0_10empty_typeEbEEZZNS1_14partition_implILS5_8ELb0ES3_jPlPS6_PKS6_NS0_5tupleIJS9_S6_EEENSD_IJSA_SA_EEENS0_18inequality_wrapperIZN2at6native12_GLOBAL__N_124unique_dim_cuda_templateIbEESt5tupleIJNSH_6TensorESM_SM_EERKSM_lbbbEUlllE0_EEPmJS6_EEE10hipError_tPvRmT3_T4_T5_T6_T7_T9_mT8_P12ihipStream_tbDpT10_ENKUlT_T0_E_clISt17integral_constantIbLb1EES1C_EEDaS17_S18_EUlS17_E_NS1_11comp_targetILNS1_3genE8ELNS1_11target_archE1030ELNS1_3gpuE2ELNS1_3repE0EEENS1_30default_config_static_selectorELNS0_4arch9wavefront6targetE0EEEvT1_.has_indirect_call, 0
	.section	.AMDGPU.csdata,"",@progbits
; Kernel info:
; codeLenInByte = 0
; TotalNumSgprs: 0
; NumVgprs: 0
; ScratchSize: 0
; MemoryBound: 0
; FloatMode: 240
; IeeeMode: 1
; LDSByteSize: 0 bytes/workgroup (compile time only)
; SGPRBlocks: 0
; VGPRBlocks: 0
; NumSGPRsForWavesPerEU: 1
; NumVGPRsForWavesPerEU: 1
; NamedBarCnt: 0
; Occupancy: 16
; WaveLimiterHint : 0
; COMPUTE_PGM_RSRC2:SCRATCH_EN: 0
; COMPUTE_PGM_RSRC2:USER_SGPR: 2
; COMPUTE_PGM_RSRC2:TRAP_HANDLER: 0
; COMPUTE_PGM_RSRC2:TGID_X_EN: 1
; COMPUTE_PGM_RSRC2:TGID_Y_EN: 0
; COMPUTE_PGM_RSRC2:TGID_Z_EN: 0
; COMPUTE_PGM_RSRC2:TIDIG_COMP_CNT: 0
	.section	.text._ZN7rocprim17ROCPRIM_400000_NS6detail17trampoline_kernelINS0_14default_configENS1_25partition_config_selectorILNS1_17partition_subalgoE8ElNS0_10empty_typeEbEEZZNS1_14partition_implILS5_8ELb0ES3_jPlPS6_PKS6_NS0_5tupleIJS9_S6_EEENSD_IJSA_SA_EEENS0_18inequality_wrapperIZN2at6native12_GLOBAL__N_124unique_dim_cuda_templateIbEESt5tupleIJNSH_6TensorESM_SM_EERKSM_lbbbEUlllE0_EEPmJS6_EEE10hipError_tPvRmT3_T4_T5_T6_T7_T9_mT8_P12ihipStream_tbDpT10_ENKUlT_T0_E_clISt17integral_constantIbLb1EES1B_IbLb0EEEEDaS17_S18_EUlS17_E_NS1_11comp_targetILNS1_3genE0ELNS1_11target_archE4294967295ELNS1_3gpuE0ELNS1_3repE0EEENS1_30default_config_static_selectorELNS0_4arch9wavefront6targetE0EEEvT1_,"axG",@progbits,_ZN7rocprim17ROCPRIM_400000_NS6detail17trampoline_kernelINS0_14default_configENS1_25partition_config_selectorILNS1_17partition_subalgoE8ElNS0_10empty_typeEbEEZZNS1_14partition_implILS5_8ELb0ES3_jPlPS6_PKS6_NS0_5tupleIJS9_S6_EEENSD_IJSA_SA_EEENS0_18inequality_wrapperIZN2at6native12_GLOBAL__N_124unique_dim_cuda_templateIbEESt5tupleIJNSH_6TensorESM_SM_EERKSM_lbbbEUlllE0_EEPmJS6_EEE10hipError_tPvRmT3_T4_T5_T6_T7_T9_mT8_P12ihipStream_tbDpT10_ENKUlT_T0_E_clISt17integral_constantIbLb1EES1B_IbLb0EEEEDaS17_S18_EUlS17_E_NS1_11comp_targetILNS1_3genE0ELNS1_11target_archE4294967295ELNS1_3gpuE0ELNS1_3repE0EEENS1_30default_config_static_selectorELNS0_4arch9wavefront6targetE0EEEvT1_,comdat
	.globl	_ZN7rocprim17ROCPRIM_400000_NS6detail17trampoline_kernelINS0_14default_configENS1_25partition_config_selectorILNS1_17partition_subalgoE8ElNS0_10empty_typeEbEEZZNS1_14partition_implILS5_8ELb0ES3_jPlPS6_PKS6_NS0_5tupleIJS9_S6_EEENSD_IJSA_SA_EEENS0_18inequality_wrapperIZN2at6native12_GLOBAL__N_124unique_dim_cuda_templateIbEESt5tupleIJNSH_6TensorESM_SM_EERKSM_lbbbEUlllE0_EEPmJS6_EEE10hipError_tPvRmT3_T4_T5_T6_T7_T9_mT8_P12ihipStream_tbDpT10_ENKUlT_T0_E_clISt17integral_constantIbLb1EES1B_IbLb0EEEEDaS17_S18_EUlS17_E_NS1_11comp_targetILNS1_3genE0ELNS1_11target_archE4294967295ELNS1_3gpuE0ELNS1_3repE0EEENS1_30default_config_static_selectorELNS0_4arch9wavefront6targetE0EEEvT1_ ; -- Begin function _ZN7rocprim17ROCPRIM_400000_NS6detail17trampoline_kernelINS0_14default_configENS1_25partition_config_selectorILNS1_17partition_subalgoE8ElNS0_10empty_typeEbEEZZNS1_14partition_implILS5_8ELb0ES3_jPlPS6_PKS6_NS0_5tupleIJS9_S6_EEENSD_IJSA_SA_EEENS0_18inequality_wrapperIZN2at6native12_GLOBAL__N_124unique_dim_cuda_templateIbEESt5tupleIJNSH_6TensorESM_SM_EERKSM_lbbbEUlllE0_EEPmJS6_EEE10hipError_tPvRmT3_T4_T5_T6_T7_T9_mT8_P12ihipStream_tbDpT10_ENKUlT_T0_E_clISt17integral_constantIbLb1EES1B_IbLb0EEEEDaS17_S18_EUlS17_E_NS1_11comp_targetILNS1_3genE0ELNS1_11target_archE4294967295ELNS1_3gpuE0ELNS1_3repE0EEENS1_30default_config_static_selectorELNS0_4arch9wavefront6targetE0EEEvT1_
	.p2align	8
	.type	_ZN7rocprim17ROCPRIM_400000_NS6detail17trampoline_kernelINS0_14default_configENS1_25partition_config_selectorILNS1_17partition_subalgoE8ElNS0_10empty_typeEbEEZZNS1_14partition_implILS5_8ELb0ES3_jPlPS6_PKS6_NS0_5tupleIJS9_S6_EEENSD_IJSA_SA_EEENS0_18inequality_wrapperIZN2at6native12_GLOBAL__N_124unique_dim_cuda_templateIbEESt5tupleIJNSH_6TensorESM_SM_EERKSM_lbbbEUlllE0_EEPmJS6_EEE10hipError_tPvRmT3_T4_T5_T6_T7_T9_mT8_P12ihipStream_tbDpT10_ENKUlT_T0_E_clISt17integral_constantIbLb1EES1B_IbLb0EEEEDaS17_S18_EUlS17_E_NS1_11comp_targetILNS1_3genE0ELNS1_11target_archE4294967295ELNS1_3gpuE0ELNS1_3repE0EEENS1_30default_config_static_selectorELNS0_4arch9wavefront6targetE0EEEvT1_,@function
_ZN7rocprim17ROCPRIM_400000_NS6detail17trampoline_kernelINS0_14default_configENS1_25partition_config_selectorILNS1_17partition_subalgoE8ElNS0_10empty_typeEbEEZZNS1_14partition_implILS5_8ELb0ES3_jPlPS6_PKS6_NS0_5tupleIJS9_S6_EEENSD_IJSA_SA_EEENS0_18inequality_wrapperIZN2at6native12_GLOBAL__N_124unique_dim_cuda_templateIbEESt5tupleIJNSH_6TensorESM_SM_EERKSM_lbbbEUlllE0_EEPmJS6_EEE10hipError_tPvRmT3_T4_T5_T6_T7_T9_mT8_P12ihipStream_tbDpT10_ENKUlT_T0_E_clISt17integral_constantIbLb1EES1B_IbLb0EEEEDaS17_S18_EUlS17_E_NS1_11comp_targetILNS1_3genE0ELNS1_11target_archE4294967295ELNS1_3gpuE0ELNS1_3repE0EEENS1_30default_config_static_selectorELNS0_4arch9wavefront6targetE0EEEvT1_: ; @_ZN7rocprim17ROCPRIM_400000_NS6detail17trampoline_kernelINS0_14default_configENS1_25partition_config_selectorILNS1_17partition_subalgoE8ElNS0_10empty_typeEbEEZZNS1_14partition_implILS5_8ELb0ES3_jPlPS6_PKS6_NS0_5tupleIJS9_S6_EEENSD_IJSA_SA_EEENS0_18inequality_wrapperIZN2at6native12_GLOBAL__N_124unique_dim_cuda_templateIbEESt5tupleIJNSH_6TensorESM_SM_EERKSM_lbbbEUlllE0_EEPmJS6_EEE10hipError_tPvRmT3_T4_T5_T6_T7_T9_mT8_P12ihipStream_tbDpT10_ENKUlT_T0_E_clISt17integral_constantIbLb1EES1B_IbLb0EEEEDaS17_S18_EUlS17_E_NS1_11comp_targetILNS1_3genE0ELNS1_11target_archE4294967295ELNS1_3gpuE0ELNS1_3repE0EEENS1_30default_config_static_selectorELNS0_4arch9wavefront6targetE0EEEvT1_
; %bb.0:
	s_endpgm
	.section	.rodata,"a",@progbits
	.p2align	6, 0x0
	.amdhsa_kernel _ZN7rocprim17ROCPRIM_400000_NS6detail17trampoline_kernelINS0_14default_configENS1_25partition_config_selectorILNS1_17partition_subalgoE8ElNS0_10empty_typeEbEEZZNS1_14partition_implILS5_8ELb0ES3_jPlPS6_PKS6_NS0_5tupleIJS9_S6_EEENSD_IJSA_SA_EEENS0_18inequality_wrapperIZN2at6native12_GLOBAL__N_124unique_dim_cuda_templateIbEESt5tupleIJNSH_6TensorESM_SM_EERKSM_lbbbEUlllE0_EEPmJS6_EEE10hipError_tPvRmT3_T4_T5_T6_T7_T9_mT8_P12ihipStream_tbDpT10_ENKUlT_T0_E_clISt17integral_constantIbLb1EES1B_IbLb0EEEEDaS17_S18_EUlS17_E_NS1_11comp_targetILNS1_3genE0ELNS1_11target_archE4294967295ELNS1_3gpuE0ELNS1_3repE0EEENS1_30default_config_static_selectorELNS0_4arch9wavefront6targetE0EEEvT1_
		.amdhsa_group_segment_fixed_size 0
		.amdhsa_private_segment_fixed_size 0
		.amdhsa_kernarg_size 120
		.amdhsa_user_sgpr_count 2
		.amdhsa_user_sgpr_dispatch_ptr 0
		.amdhsa_user_sgpr_queue_ptr 0
		.amdhsa_user_sgpr_kernarg_segment_ptr 1
		.amdhsa_user_sgpr_dispatch_id 0
		.amdhsa_user_sgpr_kernarg_preload_length 0
		.amdhsa_user_sgpr_kernarg_preload_offset 0
		.amdhsa_user_sgpr_private_segment_size 0
		.amdhsa_wavefront_size32 1
		.amdhsa_uses_dynamic_stack 0
		.amdhsa_enable_private_segment 0
		.amdhsa_system_sgpr_workgroup_id_x 1
		.amdhsa_system_sgpr_workgroup_id_y 0
		.amdhsa_system_sgpr_workgroup_id_z 0
		.amdhsa_system_sgpr_workgroup_info 0
		.amdhsa_system_vgpr_workitem_id 0
		.amdhsa_next_free_vgpr 1
		.amdhsa_next_free_sgpr 1
		.amdhsa_named_barrier_count 0
		.amdhsa_reserve_vcc 0
		.amdhsa_float_round_mode_32 0
		.amdhsa_float_round_mode_16_64 0
		.amdhsa_float_denorm_mode_32 3
		.amdhsa_float_denorm_mode_16_64 3
		.amdhsa_fp16_overflow 0
		.amdhsa_memory_ordered 1
		.amdhsa_forward_progress 1
		.amdhsa_inst_pref_size 1
		.amdhsa_round_robin_scheduling 0
		.amdhsa_exception_fp_ieee_invalid_op 0
		.amdhsa_exception_fp_denorm_src 0
		.amdhsa_exception_fp_ieee_div_zero 0
		.amdhsa_exception_fp_ieee_overflow 0
		.amdhsa_exception_fp_ieee_underflow 0
		.amdhsa_exception_fp_ieee_inexact 0
		.amdhsa_exception_int_div_zero 0
	.end_amdhsa_kernel
	.section	.text._ZN7rocprim17ROCPRIM_400000_NS6detail17trampoline_kernelINS0_14default_configENS1_25partition_config_selectorILNS1_17partition_subalgoE8ElNS0_10empty_typeEbEEZZNS1_14partition_implILS5_8ELb0ES3_jPlPS6_PKS6_NS0_5tupleIJS9_S6_EEENSD_IJSA_SA_EEENS0_18inequality_wrapperIZN2at6native12_GLOBAL__N_124unique_dim_cuda_templateIbEESt5tupleIJNSH_6TensorESM_SM_EERKSM_lbbbEUlllE0_EEPmJS6_EEE10hipError_tPvRmT3_T4_T5_T6_T7_T9_mT8_P12ihipStream_tbDpT10_ENKUlT_T0_E_clISt17integral_constantIbLb1EES1B_IbLb0EEEEDaS17_S18_EUlS17_E_NS1_11comp_targetILNS1_3genE0ELNS1_11target_archE4294967295ELNS1_3gpuE0ELNS1_3repE0EEENS1_30default_config_static_selectorELNS0_4arch9wavefront6targetE0EEEvT1_,"axG",@progbits,_ZN7rocprim17ROCPRIM_400000_NS6detail17trampoline_kernelINS0_14default_configENS1_25partition_config_selectorILNS1_17partition_subalgoE8ElNS0_10empty_typeEbEEZZNS1_14partition_implILS5_8ELb0ES3_jPlPS6_PKS6_NS0_5tupleIJS9_S6_EEENSD_IJSA_SA_EEENS0_18inequality_wrapperIZN2at6native12_GLOBAL__N_124unique_dim_cuda_templateIbEESt5tupleIJNSH_6TensorESM_SM_EERKSM_lbbbEUlllE0_EEPmJS6_EEE10hipError_tPvRmT3_T4_T5_T6_T7_T9_mT8_P12ihipStream_tbDpT10_ENKUlT_T0_E_clISt17integral_constantIbLb1EES1B_IbLb0EEEEDaS17_S18_EUlS17_E_NS1_11comp_targetILNS1_3genE0ELNS1_11target_archE4294967295ELNS1_3gpuE0ELNS1_3repE0EEENS1_30default_config_static_selectorELNS0_4arch9wavefront6targetE0EEEvT1_,comdat
.Lfunc_end1067:
	.size	_ZN7rocprim17ROCPRIM_400000_NS6detail17trampoline_kernelINS0_14default_configENS1_25partition_config_selectorILNS1_17partition_subalgoE8ElNS0_10empty_typeEbEEZZNS1_14partition_implILS5_8ELb0ES3_jPlPS6_PKS6_NS0_5tupleIJS9_S6_EEENSD_IJSA_SA_EEENS0_18inequality_wrapperIZN2at6native12_GLOBAL__N_124unique_dim_cuda_templateIbEESt5tupleIJNSH_6TensorESM_SM_EERKSM_lbbbEUlllE0_EEPmJS6_EEE10hipError_tPvRmT3_T4_T5_T6_T7_T9_mT8_P12ihipStream_tbDpT10_ENKUlT_T0_E_clISt17integral_constantIbLb1EES1B_IbLb0EEEEDaS17_S18_EUlS17_E_NS1_11comp_targetILNS1_3genE0ELNS1_11target_archE4294967295ELNS1_3gpuE0ELNS1_3repE0EEENS1_30default_config_static_selectorELNS0_4arch9wavefront6targetE0EEEvT1_, .Lfunc_end1067-_ZN7rocprim17ROCPRIM_400000_NS6detail17trampoline_kernelINS0_14default_configENS1_25partition_config_selectorILNS1_17partition_subalgoE8ElNS0_10empty_typeEbEEZZNS1_14partition_implILS5_8ELb0ES3_jPlPS6_PKS6_NS0_5tupleIJS9_S6_EEENSD_IJSA_SA_EEENS0_18inequality_wrapperIZN2at6native12_GLOBAL__N_124unique_dim_cuda_templateIbEESt5tupleIJNSH_6TensorESM_SM_EERKSM_lbbbEUlllE0_EEPmJS6_EEE10hipError_tPvRmT3_T4_T5_T6_T7_T9_mT8_P12ihipStream_tbDpT10_ENKUlT_T0_E_clISt17integral_constantIbLb1EES1B_IbLb0EEEEDaS17_S18_EUlS17_E_NS1_11comp_targetILNS1_3genE0ELNS1_11target_archE4294967295ELNS1_3gpuE0ELNS1_3repE0EEENS1_30default_config_static_selectorELNS0_4arch9wavefront6targetE0EEEvT1_
                                        ; -- End function
	.set _ZN7rocprim17ROCPRIM_400000_NS6detail17trampoline_kernelINS0_14default_configENS1_25partition_config_selectorILNS1_17partition_subalgoE8ElNS0_10empty_typeEbEEZZNS1_14partition_implILS5_8ELb0ES3_jPlPS6_PKS6_NS0_5tupleIJS9_S6_EEENSD_IJSA_SA_EEENS0_18inequality_wrapperIZN2at6native12_GLOBAL__N_124unique_dim_cuda_templateIbEESt5tupleIJNSH_6TensorESM_SM_EERKSM_lbbbEUlllE0_EEPmJS6_EEE10hipError_tPvRmT3_T4_T5_T6_T7_T9_mT8_P12ihipStream_tbDpT10_ENKUlT_T0_E_clISt17integral_constantIbLb1EES1B_IbLb0EEEEDaS17_S18_EUlS17_E_NS1_11comp_targetILNS1_3genE0ELNS1_11target_archE4294967295ELNS1_3gpuE0ELNS1_3repE0EEENS1_30default_config_static_selectorELNS0_4arch9wavefront6targetE0EEEvT1_.num_vgpr, 0
	.set _ZN7rocprim17ROCPRIM_400000_NS6detail17trampoline_kernelINS0_14default_configENS1_25partition_config_selectorILNS1_17partition_subalgoE8ElNS0_10empty_typeEbEEZZNS1_14partition_implILS5_8ELb0ES3_jPlPS6_PKS6_NS0_5tupleIJS9_S6_EEENSD_IJSA_SA_EEENS0_18inequality_wrapperIZN2at6native12_GLOBAL__N_124unique_dim_cuda_templateIbEESt5tupleIJNSH_6TensorESM_SM_EERKSM_lbbbEUlllE0_EEPmJS6_EEE10hipError_tPvRmT3_T4_T5_T6_T7_T9_mT8_P12ihipStream_tbDpT10_ENKUlT_T0_E_clISt17integral_constantIbLb1EES1B_IbLb0EEEEDaS17_S18_EUlS17_E_NS1_11comp_targetILNS1_3genE0ELNS1_11target_archE4294967295ELNS1_3gpuE0ELNS1_3repE0EEENS1_30default_config_static_selectorELNS0_4arch9wavefront6targetE0EEEvT1_.num_agpr, 0
	.set _ZN7rocprim17ROCPRIM_400000_NS6detail17trampoline_kernelINS0_14default_configENS1_25partition_config_selectorILNS1_17partition_subalgoE8ElNS0_10empty_typeEbEEZZNS1_14partition_implILS5_8ELb0ES3_jPlPS6_PKS6_NS0_5tupleIJS9_S6_EEENSD_IJSA_SA_EEENS0_18inequality_wrapperIZN2at6native12_GLOBAL__N_124unique_dim_cuda_templateIbEESt5tupleIJNSH_6TensorESM_SM_EERKSM_lbbbEUlllE0_EEPmJS6_EEE10hipError_tPvRmT3_T4_T5_T6_T7_T9_mT8_P12ihipStream_tbDpT10_ENKUlT_T0_E_clISt17integral_constantIbLb1EES1B_IbLb0EEEEDaS17_S18_EUlS17_E_NS1_11comp_targetILNS1_3genE0ELNS1_11target_archE4294967295ELNS1_3gpuE0ELNS1_3repE0EEENS1_30default_config_static_selectorELNS0_4arch9wavefront6targetE0EEEvT1_.numbered_sgpr, 0
	.set _ZN7rocprim17ROCPRIM_400000_NS6detail17trampoline_kernelINS0_14default_configENS1_25partition_config_selectorILNS1_17partition_subalgoE8ElNS0_10empty_typeEbEEZZNS1_14partition_implILS5_8ELb0ES3_jPlPS6_PKS6_NS0_5tupleIJS9_S6_EEENSD_IJSA_SA_EEENS0_18inequality_wrapperIZN2at6native12_GLOBAL__N_124unique_dim_cuda_templateIbEESt5tupleIJNSH_6TensorESM_SM_EERKSM_lbbbEUlllE0_EEPmJS6_EEE10hipError_tPvRmT3_T4_T5_T6_T7_T9_mT8_P12ihipStream_tbDpT10_ENKUlT_T0_E_clISt17integral_constantIbLb1EES1B_IbLb0EEEEDaS17_S18_EUlS17_E_NS1_11comp_targetILNS1_3genE0ELNS1_11target_archE4294967295ELNS1_3gpuE0ELNS1_3repE0EEENS1_30default_config_static_selectorELNS0_4arch9wavefront6targetE0EEEvT1_.num_named_barrier, 0
	.set _ZN7rocprim17ROCPRIM_400000_NS6detail17trampoline_kernelINS0_14default_configENS1_25partition_config_selectorILNS1_17partition_subalgoE8ElNS0_10empty_typeEbEEZZNS1_14partition_implILS5_8ELb0ES3_jPlPS6_PKS6_NS0_5tupleIJS9_S6_EEENSD_IJSA_SA_EEENS0_18inequality_wrapperIZN2at6native12_GLOBAL__N_124unique_dim_cuda_templateIbEESt5tupleIJNSH_6TensorESM_SM_EERKSM_lbbbEUlllE0_EEPmJS6_EEE10hipError_tPvRmT3_T4_T5_T6_T7_T9_mT8_P12ihipStream_tbDpT10_ENKUlT_T0_E_clISt17integral_constantIbLb1EES1B_IbLb0EEEEDaS17_S18_EUlS17_E_NS1_11comp_targetILNS1_3genE0ELNS1_11target_archE4294967295ELNS1_3gpuE0ELNS1_3repE0EEENS1_30default_config_static_selectorELNS0_4arch9wavefront6targetE0EEEvT1_.private_seg_size, 0
	.set _ZN7rocprim17ROCPRIM_400000_NS6detail17trampoline_kernelINS0_14default_configENS1_25partition_config_selectorILNS1_17partition_subalgoE8ElNS0_10empty_typeEbEEZZNS1_14partition_implILS5_8ELb0ES3_jPlPS6_PKS6_NS0_5tupleIJS9_S6_EEENSD_IJSA_SA_EEENS0_18inequality_wrapperIZN2at6native12_GLOBAL__N_124unique_dim_cuda_templateIbEESt5tupleIJNSH_6TensorESM_SM_EERKSM_lbbbEUlllE0_EEPmJS6_EEE10hipError_tPvRmT3_T4_T5_T6_T7_T9_mT8_P12ihipStream_tbDpT10_ENKUlT_T0_E_clISt17integral_constantIbLb1EES1B_IbLb0EEEEDaS17_S18_EUlS17_E_NS1_11comp_targetILNS1_3genE0ELNS1_11target_archE4294967295ELNS1_3gpuE0ELNS1_3repE0EEENS1_30default_config_static_selectorELNS0_4arch9wavefront6targetE0EEEvT1_.uses_vcc, 0
	.set _ZN7rocprim17ROCPRIM_400000_NS6detail17trampoline_kernelINS0_14default_configENS1_25partition_config_selectorILNS1_17partition_subalgoE8ElNS0_10empty_typeEbEEZZNS1_14partition_implILS5_8ELb0ES3_jPlPS6_PKS6_NS0_5tupleIJS9_S6_EEENSD_IJSA_SA_EEENS0_18inequality_wrapperIZN2at6native12_GLOBAL__N_124unique_dim_cuda_templateIbEESt5tupleIJNSH_6TensorESM_SM_EERKSM_lbbbEUlllE0_EEPmJS6_EEE10hipError_tPvRmT3_T4_T5_T6_T7_T9_mT8_P12ihipStream_tbDpT10_ENKUlT_T0_E_clISt17integral_constantIbLb1EES1B_IbLb0EEEEDaS17_S18_EUlS17_E_NS1_11comp_targetILNS1_3genE0ELNS1_11target_archE4294967295ELNS1_3gpuE0ELNS1_3repE0EEENS1_30default_config_static_selectorELNS0_4arch9wavefront6targetE0EEEvT1_.uses_flat_scratch, 0
	.set _ZN7rocprim17ROCPRIM_400000_NS6detail17trampoline_kernelINS0_14default_configENS1_25partition_config_selectorILNS1_17partition_subalgoE8ElNS0_10empty_typeEbEEZZNS1_14partition_implILS5_8ELb0ES3_jPlPS6_PKS6_NS0_5tupleIJS9_S6_EEENSD_IJSA_SA_EEENS0_18inequality_wrapperIZN2at6native12_GLOBAL__N_124unique_dim_cuda_templateIbEESt5tupleIJNSH_6TensorESM_SM_EERKSM_lbbbEUlllE0_EEPmJS6_EEE10hipError_tPvRmT3_T4_T5_T6_T7_T9_mT8_P12ihipStream_tbDpT10_ENKUlT_T0_E_clISt17integral_constantIbLb1EES1B_IbLb0EEEEDaS17_S18_EUlS17_E_NS1_11comp_targetILNS1_3genE0ELNS1_11target_archE4294967295ELNS1_3gpuE0ELNS1_3repE0EEENS1_30default_config_static_selectorELNS0_4arch9wavefront6targetE0EEEvT1_.has_dyn_sized_stack, 0
	.set _ZN7rocprim17ROCPRIM_400000_NS6detail17trampoline_kernelINS0_14default_configENS1_25partition_config_selectorILNS1_17partition_subalgoE8ElNS0_10empty_typeEbEEZZNS1_14partition_implILS5_8ELb0ES3_jPlPS6_PKS6_NS0_5tupleIJS9_S6_EEENSD_IJSA_SA_EEENS0_18inequality_wrapperIZN2at6native12_GLOBAL__N_124unique_dim_cuda_templateIbEESt5tupleIJNSH_6TensorESM_SM_EERKSM_lbbbEUlllE0_EEPmJS6_EEE10hipError_tPvRmT3_T4_T5_T6_T7_T9_mT8_P12ihipStream_tbDpT10_ENKUlT_T0_E_clISt17integral_constantIbLb1EES1B_IbLb0EEEEDaS17_S18_EUlS17_E_NS1_11comp_targetILNS1_3genE0ELNS1_11target_archE4294967295ELNS1_3gpuE0ELNS1_3repE0EEENS1_30default_config_static_selectorELNS0_4arch9wavefront6targetE0EEEvT1_.has_recursion, 0
	.set _ZN7rocprim17ROCPRIM_400000_NS6detail17trampoline_kernelINS0_14default_configENS1_25partition_config_selectorILNS1_17partition_subalgoE8ElNS0_10empty_typeEbEEZZNS1_14partition_implILS5_8ELb0ES3_jPlPS6_PKS6_NS0_5tupleIJS9_S6_EEENSD_IJSA_SA_EEENS0_18inequality_wrapperIZN2at6native12_GLOBAL__N_124unique_dim_cuda_templateIbEESt5tupleIJNSH_6TensorESM_SM_EERKSM_lbbbEUlllE0_EEPmJS6_EEE10hipError_tPvRmT3_T4_T5_T6_T7_T9_mT8_P12ihipStream_tbDpT10_ENKUlT_T0_E_clISt17integral_constantIbLb1EES1B_IbLb0EEEEDaS17_S18_EUlS17_E_NS1_11comp_targetILNS1_3genE0ELNS1_11target_archE4294967295ELNS1_3gpuE0ELNS1_3repE0EEENS1_30default_config_static_selectorELNS0_4arch9wavefront6targetE0EEEvT1_.has_indirect_call, 0
	.section	.AMDGPU.csdata,"",@progbits
; Kernel info:
; codeLenInByte = 4
; TotalNumSgprs: 0
; NumVgprs: 0
; ScratchSize: 0
; MemoryBound: 0
; FloatMode: 240
; IeeeMode: 1
; LDSByteSize: 0 bytes/workgroup (compile time only)
; SGPRBlocks: 0
; VGPRBlocks: 0
; NumSGPRsForWavesPerEU: 1
; NumVGPRsForWavesPerEU: 1
; NamedBarCnt: 0
; Occupancy: 16
; WaveLimiterHint : 0
; COMPUTE_PGM_RSRC2:SCRATCH_EN: 0
; COMPUTE_PGM_RSRC2:USER_SGPR: 2
; COMPUTE_PGM_RSRC2:TRAP_HANDLER: 0
; COMPUTE_PGM_RSRC2:TGID_X_EN: 1
; COMPUTE_PGM_RSRC2:TGID_Y_EN: 0
; COMPUTE_PGM_RSRC2:TGID_Z_EN: 0
; COMPUTE_PGM_RSRC2:TIDIG_COMP_CNT: 0
	.section	.text._ZN7rocprim17ROCPRIM_400000_NS6detail17trampoline_kernelINS0_14default_configENS1_25partition_config_selectorILNS1_17partition_subalgoE8ElNS0_10empty_typeEbEEZZNS1_14partition_implILS5_8ELb0ES3_jPlPS6_PKS6_NS0_5tupleIJS9_S6_EEENSD_IJSA_SA_EEENS0_18inequality_wrapperIZN2at6native12_GLOBAL__N_124unique_dim_cuda_templateIbEESt5tupleIJNSH_6TensorESM_SM_EERKSM_lbbbEUlllE0_EEPmJS6_EEE10hipError_tPvRmT3_T4_T5_T6_T7_T9_mT8_P12ihipStream_tbDpT10_ENKUlT_T0_E_clISt17integral_constantIbLb1EES1B_IbLb0EEEEDaS17_S18_EUlS17_E_NS1_11comp_targetILNS1_3genE5ELNS1_11target_archE942ELNS1_3gpuE9ELNS1_3repE0EEENS1_30default_config_static_selectorELNS0_4arch9wavefront6targetE0EEEvT1_,"axG",@progbits,_ZN7rocprim17ROCPRIM_400000_NS6detail17trampoline_kernelINS0_14default_configENS1_25partition_config_selectorILNS1_17partition_subalgoE8ElNS0_10empty_typeEbEEZZNS1_14partition_implILS5_8ELb0ES3_jPlPS6_PKS6_NS0_5tupleIJS9_S6_EEENSD_IJSA_SA_EEENS0_18inequality_wrapperIZN2at6native12_GLOBAL__N_124unique_dim_cuda_templateIbEESt5tupleIJNSH_6TensorESM_SM_EERKSM_lbbbEUlllE0_EEPmJS6_EEE10hipError_tPvRmT3_T4_T5_T6_T7_T9_mT8_P12ihipStream_tbDpT10_ENKUlT_T0_E_clISt17integral_constantIbLb1EES1B_IbLb0EEEEDaS17_S18_EUlS17_E_NS1_11comp_targetILNS1_3genE5ELNS1_11target_archE942ELNS1_3gpuE9ELNS1_3repE0EEENS1_30default_config_static_selectorELNS0_4arch9wavefront6targetE0EEEvT1_,comdat
	.globl	_ZN7rocprim17ROCPRIM_400000_NS6detail17trampoline_kernelINS0_14default_configENS1_25partition_config_selectorILNS1_17partition_subalgoE8ElNS0_10empty_typeEbEEZZNS1_14partition_implILS5_8ELb0ES3_jPlPS6_PKS6_NS0_5tupleIJS9_S6_EEENSD_IJSA_SA_EEENS0_18inequality_wrapperIZN2at6native12_GLOBAL__N_124unique_dim_cuda_templateIbEESt5tupleIJNSH_6TensorESM_SM_EERKSM_lbbbEUlllE0_EEPmJS6_EEE10hipError_tPvRmT3_T4_T5_T6_T7_T9_mT8_P12ihipStream_tbDpT10_ENKUlT_T0_E_clISt17integral_constantIbLb1EES1B_IbLb0EEEEDaS17_S18_EUlS17_E_NS1_11comp_targetILNS1_3genE5ELNS1_11target_archE942ELNS1_3gpuE9ELNS1_3repE0EEENS1_30default_config_static_selectorELNS0_4arch9wavefront6targetE0EEEvT1_ ; -- Begin function _ZN7rocprim17ROCPRIM_400000_NS6detail17trampoline_kernelINS0_14default_configENS1_25partition_config_selectorILNS1_17partition_subalgoE8ElNS0_10empty_typeEbEEZZNS1_14partition_implILS5_8ELb0ES3_jPlPS6_PKS6_NS0_5tupleIJS9_S6_EEENSD_IJSA_SA_EEENS0_18inequality_wrapperIZN2at6native12_GLOBAL__N_124unique_dim_cuda_templateIbEESt5tupleIJNSH_6TensorESM_SM_EERKSM_lbbbEUlllE0_EEPmJS6_EEE10hipError_tPvRmT3_T4_T5_T6_T7_T9_mT8_P12ihipStream_tbDpT10_ENKUlT_T0_E_clISt17integral_constantIbLb1EES1B_IbLb0EEEEDaS17_S18_EUlS17_E_NS1_11comp_targetILNS1_3genE5ELNS1_11target_archE942ELNS1_3gpuE9ELNS1_3repE0EEENS1_30default_config_static_selectorELNS0_4arch9wavefront6targetE0EEEvT1_
	.p2align	8
	.type	_ZN7rocprim17ROCPRIM_400000_NS6detail17trampoline_kernelINS0_14default_configENS1_25partition_config_selectorILNS1_17partition_subalgoE8ElNS0_10empty_typeEbEEZZNS1_14partition_implILS5_8ELb0ES3_jPlPS6_PKS6_NS0_5tupleIJS9_S6_EEENSD_IJSA_SA_EEENS0_18inequality_wrapperIZN2at6native12_GLOBAL__N_124unique_dim_cuda_templateIbEESt5tupleIJNSH_6TensorESM_SM_EERKSM_lbbbEUlllE0_EEPmJS6_EEE10hipError_tPvRmT3_T4_T5_T6_T7_T9_mT8_P12ihipStream_tbDpT10_ENKUlT_T0_E_clISt17integral_constantIbLb1EES1B_IbLb0EEEEDaS17_S18_EUlS17_E_NS1_11comp_targetILNS1_3genE5ELNS1_11target_archE942ELNS1_3gpuE9ELNS1_3repE0EEENS1_30default_config_static_selectorELNS0_4arch9wavefront6targetE0EEEvT1_,@function
_ZN7rocprim17ROCPRIM_400000_NS6detail17trampoline_kernelINS0_14default_configENS1_25partition_config_selectorILNS1_17partition_subalgoE8ElNS0_10empty_typeEbEEZZNS1_14partition_implILS5_8ELb0ES3_jPlPS6_PKS6_NS0_5tupleIJS9_S6_EEENSD_IJSA_SA_EEENS0_18inequality_wrapperIZN2at6native12_GLOBAL__N_124unique_dim_cuda_templateIbEESt5tupleIJNSH_6TensorESM_SM_EERKSM_lbbbEUlllE0_EEPmJS6_EEE10hipError_tPvRmT3_T4_T5_T6_T7_T9_mT8_P12ihipStream_tbDpT10_ENKUlT_T0_E_clISt17integral_constantIbLb1EES1B_IbLb0EEEEDaS17_S18_EUlS17_E_NS1_11comp_targetILNS1_3genE5ELNS1_11target_archE942ELNS1_3gpuE9ELNS1_3repE0EEENS1_30default_config_static_selectorELNS0_4arch9wavefront6targetE0EEEvT1_: ; @_ZN7rocprim17ROCPRIM_400000_NS6detail17trampoline_kernelINS0_14default_configENS1_25partition_config_selectorILNS1_17partition_subalgoE8ElNS0_10empty_typeEbEEZZNS1_14partition_implILS5_8ELb0ES3_jPlPS6_PKS6_NS0_5tupleIJS9_S6_EEENSD_IJSA_SA_EEENS0_18inequality_wrapperIZN2at6native12_GLOBAL__N_124unique_dim_cuda_templateIbEESt5tupleIJNSH_6TensorESM_SM_EERKSM_lbbbEUlllE0_EEPmJS6_EEE10hipError_tPvRmT3_T4_T5_T6_T7_T9_mT8_P12ihipStream_tbDpT10_ENKUlT_T0_E_clISt17integral_constantIbLb1EES1B_IbLb0EEEEDaS17_S18_EUlS17_E_NS1_11comp_targetILNS1_3genE5ELNS1_11target_archE942ELNS1_3gpuE9ELNS1_3repE0EEENS1_30default_config_static_selectorELNS0_4arch9wavefront6targetE0EEEvT1_
; %bb.0:
	.section	.rodata,"a",@progbits
	.p2align	6, 0x0
	.amdhsa_kernel _ZN7rocprim17ROCPRIM_400000_NS6detail17trampoline_kernelINS0_14default_configENS1_25partition_config_selectorILNS1_17partition_subalgoE8ElNS0_10empty_typeEbEEZZNS1_14partition_implILS5_8ELb0ES3_jPlPS6_PKS6_NS0_5tupleIJS9_S6_EEENSD_IJSA_SA_EEENS0_18inequality_wrapperIZN2at6native12_GLOBAL__N_124unique_dim_cuda_templateIbEESt5tupleIJNSH_6TensorESM_SM_EERKSM_lbbbEUlllE0_EEPmJS6_EEE10hipError_tPvRmT3_T4_T5_T6_T7_T9_mT8_P12ihipStream_tbDpT10_ENKUlT_T0_E_clISt17integral_constantIbLb1EES1B_IbLb0EEEEDaS17_S18_EUlS17_E_NS1_11comp_targetILNS1_3genE5ELNS1_11target_archE942ELNS1_3gpuE9ELNS1_3repE0EEENS1_30default_config_static_selectorELNS0_4arch9wavefront6targetE0EEEvT1_
		.amdhsa_group_segment_fixed_size 0
		.amdhsa_private_segment_fixed_size 0
		.amdhsa_kernarg_size 120
		.amdhsa_user_sgpr_count 2
		.amdhsa_user_sgpr_dispatch_ptr 0
		.amdhsa_user_sgpr_queue_ptr 0
		.amdhsa_user_sgpr_kernarg_segment_ptr 1
		.amdhsa_user_sgpr_dispatch_id 0
		.amdhsa_user_sgpr_kernarg_preload_length 0
		.amdhsa_user_sgpr_kernarg_preload_offset 0
		.amdhsa_user_sgpr_private_segment_size 0
		.amdhsa_wavefront_size32 1
		.amdhsa_uses_dynamic_stack 0
		.amdhsa_enable_private_segment 0
		.amdhsa_system_sgpr_workgroup_id_x 1
		.amdhsa_system_sgpr_workgroup_id_y 0
		.amdhsa_system_sgpr_workgroup_id_z 0
		.amdhsa_system_sgpr_workgroup_info 0
		.amdhsa_system_vgpr_workitem_id 0
		.amdhsa_next_free_vgpr 1
		.amdhsa_next_free_sgpr 1
		.amdhsa_named_barrier_count 0
		.amdhsa_reserve_vcc 0
		.amdhsa_float_round_mode_32 0
		.amdhsa_float_round_mode_16_64 0
		.amdhsa_float_denorm_mode_32 3
		.amdhsa_float_denorm_mode_16_64 3
		.amdhsa_fp16_overflow 0
		.amdhsa_memory_ordered 1
		.amdhsa_forward_progress 1
		.amdhsa_inst_pref_size 0
		.amdhsa_round_robin_scheduling 0
		.amdhsa_exception_fp_ieee_invalid_op 0
		.amdhsa_exception_fp_denorm_src 0
		.amdhsa_exception_fp_ieee_div_zero 0
		.amdhsa_exception_fp_ieee_overflow 0
		.amdhsa_exception_fp_ieee_underflow 0
		.amdhsa_exception_fp_ieee_inexact 0
		.amdhsa_exception_int_div_zero 0
	.end_amdhsa_kernel
	.section	.text._ZN7rocprim17ROCPRIM_400000_NS6detail17trampoline_kernelINS0_14default_configENS1_25partition_config_selectorILNS1_17partition_subalgoE8ElNS0_10empty_typeEbEEZZNS1_14partition_implILS5_8ELb0ES3_jPlPS6_PKS6_NS0_5tupleIJS9_S6_EEENSD_IJSA_SA_EEENS0_18inequality_wrapperIZN2at6native12_GLOBAL__N_124unique_dim_cuda_templateIbEESt5tupleIJNSH_6TensorESM_SM_EERKSM_lbbbEUlllE0_EEPmJS6_EEE10hipError_tPvRmT3_T4_T5_T6_T7_T9_mT8_P12ihipStream_tbDpT10_ENKUlT_T0_E_clISt17integral_constantIbLb1EES1B_IbLb0EEEEDaS17_S18_EUlS17_E_NS1_11comp_targetILNS1_3genE5ELNS1_11target_archE942ELNS1_3gpuE9ELNS1_3repE0EEENS1_30default_config_static_selectorELNS0_4arch9wavefront6targetE0EEEvT1_,"axG",@progbits,_ZN7rocprim17ROCPRIM_400000_NS6detail17trampoline_kernelINS0_14default_configENS1_25partition_config_selectorILNS1_17partition_subalgoE8ElNS0_10empty_typeEbEEZZNS1_14partition_implILS5_8ELb0ES3_jPlPS6_PKS6_NS0_5tupleIJS9_S6_EEENSD_IJSA_SA_EEENS0_18inequality_wrapperIZN2at6native12_GLOBAL__N_124unique_dim_cuda_templateIbEESt5tupleIJNSH_6TensorESM_SM_EERKSM_lbbbEUlllE0_EEPmJS6_EEE10hipError_tPvRmT3_T4_T5_T6_T7_T9_mT8_P12ihipStream_tbDpT10_ENKUlT_T0_E_clISt17integral_constantIbLb1EES1B_IbLb0EEEEDaS17_S18_EUlS17_E_NS1_11comp_targetILNS1_3genE5ELNS1_11target_archE942ELNS1_3gpuE9ELNS1_3repE0EEENS1_30default_config_static_selectorELNS0_4arch9wavefront6targetE0EEEvT1_,comdat
.Lfunc_end1068:
	.size	_ZN7rocprim17ROCPRIM_400000_NS6detail17trampoline_kernelINS0_14default_configENS1_25partition_config_selectorILNS1_17partition_subalgoE8ElNS0_10empty_typeEbEEZZNS1_14partition_implILS5_8ELb0ES3_jPlPS6_PKS6_NS0_5tupleIJS9_S6_EEENSD_IJSA_SA_EEENS0_18inequality_wrapperIZN2at6native12_GLOBAL__N_124unique_dim_cuda_templateIbEESt5tupleIJNSH_6TensorESM_SM_EERKSM_lbbbEUlllE0_EEPmJS6_EEE10hipError_tPvRmT3_T4_T5_T6_T7_T9_mT8_P12ihipStream_tbDpT10_ENKUlT_T0_E_clISt17integral_constantIbLb1EES1B_IbLb0EEEEDaS17_S18_EUlS17_E_NS1_11comp_targetILNS1_3genE5ELNS1_11target_archE942ELNS1_3gpuE9ELNS1_3repE0EEENS1_30default_config_static_selectorELNS0_4arch9wavefront6targetE0EEEvT1_, .Lfunc_end1068-_ZN7rocprim17ROCPRIM_400000_NS6detail17trampoline_kernelINS0_14default_configENS1_25partition_config_selectorILNS1_17partition_subalgoE8ElNS0_10empty_typeEbEEZZNS1_14partition_implILS5_8ELb0ES3_jPlPS6_PKS6_NS0_5tupleIJS9_S6_EEENSD_IJSA_SA_EEENS0_18inequality_wrapperIZN2at6native12_GLOBAL__N_124unique_dim_cuda_templateIbEESt5tupleIJNSH_6TensorESM_SM_EERKSM_lbbbEUlllE0_EEPmJS6_EEE10hipError_tPvRmT3_T4_T5_T6_T7_T9_mT8_P12ihipStream_tbDpT10_ENKUlT_T0_E_clISt17integral_constantIbLb1EES1B_IbLb0EEEEDaS17_S18_EUlS17_E_NS1_11comp_targetILNS1_3genE5ELNS1_11target_archE942ELNS1_3gpuE9ELNS1_3repE0EEENS1_30default_config_static_selectorELNS0_4arch9wavefront6targetE0EEEvT1_
                                        ; -- End function
	.set _ZN7rocprim17ROCPRIM_400000_NS6detail17trampoline_kernelINS0_14default_configENS1_25partition_config_selectorILNS1_17partition_subalgoE8ElNS0_10empty_typeEbEEZZNS1_14partition_implILS5_8ELb0ES3_jPlPS6_PKS6_NS0_5tupleIJS9_S6_EEENSD_IJSA_SA_EEENS0_18inequality_wrapperIZN2at6native12_GLOBAL__N_124unique_dim_cuda_templateIbEESt5tupleIJNSH_6TensorESM_SM_EERKSM_lbbbEUlllE0_EEPmJS6_EEE10hipError_tPvRmT3_T4_T5_T6_T7_T9_mT8_P12ihipStream_tbDpT10_ENKUlT_T0_E_clISt17integral_constantIbLb1EES1B_IbLb0EEEEDaS17_S18_EUlS17_E_NS1_11comp_targetILNS1_3genE5ELNS1_11target_archE942ELNS1_3gpuE9ELNS1_3repE0EEENS1_30default_config_static_selectorELNS0_4arch9wavefront6targetE0EEEvT1_.num_vgpr, 0
	.set _ZN7rocprim17ROCPRIM_400000_NS6detail17trampoline_kernelINS0_14default_configENS1_25partition_config_selectorILNS1_17partition_subalgoE8ElNS0_10empty_typeEbEEZZNS1_14partition_implILS5_8ELb0ES3_jPlPS6_PKS6_NS0_5tupleIJS9_S6_EEENSD_IJSA_SA_EEENS0_18inequality_wrapperIZN2at6native12_GLOBAL__N_124unique_dim_cuda_templateIbEESt5tupleIJNSH_6TensorESM_SM_EERKSM_lbbbEUlllE0_EEPmJS6_EEE10hipError_tPvRmT3_T4_T5_T6_T7_T9_mT8_P12ihipStream_tbDpT10_ENKUlT_T0_E_clISt17integral_constantIbLb1EES1B_IbLb0EEEEDaS17_S18_EUlS17_E_NS1_11comp_targetILNS1_3genE5ELNS1_11target_archE942ELNS1_3gpuE9ELNS1_3repE0EEENS1_30default_config_static_selectorELNS0_4arch9wavefront6targetE0EEEvT1_.num_agpr, 0
	.set _ZN7rocprim17ROCPRIM_400000_NS6detail17trampoline_kernelINS0_14default_configENS1_25partition_config_selectorILNS1_17partition_subalgoE8ElNS0_10empty_typeEbEEZZNS1_14partition_implILS5_8ELb0ES3_jPlPS6_PKS6_NS0_5tupleIJS9_S6_EEENSD_IJSA_SA_EEENS0_18inequality_wrapperIZN2at6native12_GLOBAL__N_124unique_dim_cuda_templateIbEESt5tupleIJNSH_6TensorESM_SM_EERKSM_lbbbEUlllE0_EEPmJS6_EEE10hipError_tPvRmT3_T4_T5_T6_T7_T9_mT8_P12ihipStream_tbDpT10_ENKUlT_T0_E_clISt17integral_constantIbLb1EES1B_IbLb0EEEEDaS17_S18_EUlS17_E_NS1_11comp_targetILNS1_3genE5ELNS1_11target_archE942ELNS1_3gpuE9ELNS1_3repE0EEENS1_30default_config_static_selectorELNS0_4arch9wavefront6targetE0EEEvT1_.numbered_sgpr, 0
	.set _ZN7rocprim17ROCPRIM_400000_NS6detail17trampoline_kernelINS0_14default_configENS1_25partition_config_selectorILNS1_17partition_subalgoE8ElNS0_10empty_typeEbEEZZNS1_14partition_implILS5_8ELb0ES3_jPlPS6_PKS6_NS0_5tupleIJS9_S6_EEENSD_IJSA_SA_EEENS0_18inequality_wrapperIZN2at6native12_GLOBAL__N_124unique_dim_cuda_templateIbEESt5tupleIJNSH_6TensorESM_SM_EERKSM_lbbbEUlllE0_EEPmJS6_EEE10hipError_tPvRmT3_T4_T5_T6_T7_T9_mT8_P12ihipStream_tbDpT10_ENKUlT_T0_E_clISt17integral_constantIbLb1EES1B_IbLb0EEEEDaS17_S18_EUlS17_E_NS1_11comp_targetILNS1_3genE5ELNS1_11target_archE942ELNS1_3gpuE9ELNS1_3repE0EEENS1_30default_config_static_selectorELNS0_4arch9wavefront6targetE0EEEvT1_.num_named_barrier, 0
	.set _ZN7rocprim17ROCPRIM_400000_NS6detail17trampoline_kernelINS0_14default_configENS1_25partition_config_selectorILNS1_17partition_subalgoE8ElNS0_10empty_typeEbEEZZNS1_14partition_implILS5_8ELb0ES3_jPlPS6_PKS6_NS0_5tupleIJS9_S6_EEENSD_IJSA_SA_EEENS0_18inequality_wrapperIZN2at6native12_GLOBAL__N_124unique_dim_cuda_templateIbEESt5tupleIJNSH_6TensorESM_SM_EERKSM_lbbbEUlllE0_EEPmJS6_EEE10hipError_tPvRmT3_T4_T5_T6_T7_T9_mT8_P12ihipStream_tbDpT10_ENKUlT_T0_E_clISt17integral_constantIbLb1EES1B_IbLb0EEEEDaS17_S18_EUlS17_E_NS1_11comp_targetILNS1_3genE5ELNS1_11target_archE942ELNS1_3gpuE9ELNS1_3repE0EEENS1_30default_config_static_selectorELNS0_4arch9wavefront6targetE0EEEvT1_.private_seg_size, 0
	.set _ZN7rocprim17ROCPRIM_400000_NS6detail17trampoline_kernelINS0_14default_configENS1_25partition_config_selectorILNS1_17partition_subalgoE8ElNS0_10empty_typeEbEEZZNS1_14partition_implILS5_8ELb0ES3_jPlPS6_PKS6_NS0_5tupleIJS9_S6_EEENSD_IJSA_SA_EEENS0_18inequality_wrapperIZN2at6native12_GLOBAL__N_124unique_dim_cuda_templateIbEESt5tupleIJNSH_6TensorESM_SM_EERKSM_lbbbEUlllE0_EEPmJS6_EEE10hipError_tPvRmT3_T4_T5_T6_T7_T9_mT8_P12ihipStream_tbDpT10_ENKUlT_T0_E_clISt17integral_constantIbLb1EES1B_IbLb0EEEEDaS17_S18_EUlS17_E_NS1_11comp_targetILNS1_3genE5ELNS1_11target_archE942ELNS1_3gpuE9ELNS1_3repE0EEENS1_30default_config_static_selectorELNS0_4arch9wavefront6targetE0EEEvT1_.uses_vcc, 0
	.set _ZN7rocprim17ROCPRIM_400000_NS6detail17trampoline_kernelINS0_14default_configENS1_25partition_config_selectorILNS1_17partition_subalgoE8ElNS0_10empty_typeEbEEZZNS1_14partition_implILS5_8ELb0ES3_jPlPS6_PKS6_NS0_5tupleIJS9_S6_EEENSD_IJSA_SA_EEENS0_18inequality_wrapperIZN2at6native12_GLOBAL__N_124unique_dim_cuda_templateIbEESt5tupleIJNSH_6TensorESM_SM_EERKSM_lbbbEUlllE0_EEPmJS6_EEE10hipError_tPvRmT3_T4_T5_T6_T7_T9_mT8_P12ihipStream_tbDpT10_ENKUlT_T0_E_clISt17integral_constantIbLb1EES1B_IbLb0EEEEDaS17_S18_EUlS17_E_NS1_11comp_targetILNS1_3genE5ELNS1_11target_archE942ELNS1_3gpuE9ELNS1_3repE0EEENS1_30default_config_static_selectorELNS0_4arch9wavefront6targetE0EEEvT1_.uses_flat_scratch, 0
	.set _ZN7rocprim17ROCPRIM_400000_NS6detail17trampoline_kernelINS0_14default_configENS1_25partition_config_selectorILNS1_17partition_subalgoE8ElNS0_10empty_typeEbEEZZNS1_14partition_implILS5_8ELb0ES3_jPlPS6_PKS6_NS0_5tupleIJS9_S6_EEENSD_IJSA_SA_EEENS0_18inequality_wrapperIZN2at6native12_GLOBAL__N_124unique_dim_cuda_templateIbEESt5tupleIJNSH_6TensorESM_SM_EERKSM_lbbbEUlllE0_EEPmJS6_EEE10hipError_tPvRmT3_T4_T5_T6_T7_T9_mT8_P12ihipStream_tbDpT10_ENKUlT_T0_E_clISt17integral_constantIbLb1EES1B_IbLb0EEEEDaS17_S18_EUlS17_E_NS1_11comp_targetILNS1_3genE5ELNS1_11target_archE942ELNS1_3gpuE9ELNS1_3repE0EEENS1_30default_config_static_selectorELNS0_4arch9wavefront6targetE0EEEvT1_.has_dyn_sized_stack, 0
	.set _ZN7rocprim17ROCPRIM_400000_NS6detail17trampoline_kernelINS0_14default_configENS1_25partition_config_selectorILNS1_17partition_subalgoE8ElNS0_10empty_typeEbEEZZNS1_14partition_implILS5_8ELb0ES3_jPlPS6_PKS6_NS0_5tupleIJS9_S6_EEENSD_IJSA_SA_EEENS0_18inequality_wrapperIZN2at6native12_GLOBAL__N_124unique_dim_cuda_templateIbEESt5tupleIJNSH_6TensorESM_SM_EERKSM_lbbbEUlllE0_EEPmJS6_EEE10hipError_tPvRmT3_T4_T5_T6_T7_T9_mT8_P12ihipStream_tbDpT10_ENKUlT_T0_E_clISt17integral_constantIbLb1EES1B_IbLb0EEEEDaS17_S18_EUlS17_E_NS1_11comp_targetILNS1_3genE5ELNS1_11target_archE942ELNS1_3gpuE9ELNS1_3repE0EEENS1_30default_config_static_selectorELNS0_4arch9wavefront6targetE0EEEvT1_.has_recursion, 0
	.set _ZN7rocprim17ROCPRIM_400000_NS6detail17trampoline_kernelINS0_14default_configENS1_25partition_config_selectorILNS1_17partition_subalgoE8ElNS0_10empty_typeEbEEZZNS1_14partition_implILS5_8ELb0ES3_jPlPS6_PKS6_NS0_5tupleIJS9_S6_EEENSD_IJSA_SA_EEENS0_18inequality_wrapperIZN2at6native12_GLOBAL__N_124unique_dim_cuda_templateIbEESt5tupleIJNSH_6TensorESM_SM_EERKSM_lbbbEUlllE0_EEPmJS6_EEE10hipError_tPvRmT3_T4_T5_T6_T7_T9_mT8_P12ihipStream_tbDpT10_ENKUlT_T0_E_clISt17integral_constantIbLb1EES1B_IbLb0EEEEDaS17_S18_EUlS17_E_NS1_11comp_targetILNS1_3genE5ELNS1_11target_archE942ELNS1_3gpuE9ELNS1_3repE0EEENS1_30default_config_static_selectorELNS0_4arch9wavefront6targetE0EEEvT1_.has_indirect_call, 0
	.section	.AMDGPU.csdata,"",@progbits
; Kernel info:
; codeLenInByte = 0
; TotalNumSgprs: 0
; NumVgprs: 0
; ScratchSize: 0
; MemoryBound: 0
; FloatMode: 240
; IeeeMode: 1
; LDSByteSize: 0 bytes/workgroup (compile time only)
; SGPRBlocks: 0
; VGPRBlocks: 0
; NumSGPRsForWavesPerEU: 1
; NumVGPRsForWavesPerEU: 1
; NamedBarCnt: 0
; Occupancy: 16
; WaveLimiterHint : 0
; COMPUTE_PGM_RSRC2:SCRATCH_EN: 0
; COMPUTE_PGM_RSRC2:USER_SGPR: 2
; COMPUTE_PGM_RSRC2:TRAP_HANDLER: 0
; COMPUTE_PGM_RSRC2:TGID_X_EN: 1
; COMPUTE_PGM_RSRC2:TGID_Y_EN: 0
; COMPUTE_PGM_RSRC2:TGID_Z_EN: 0
; COMPUTE_PGM_RSRC2:TIDIG_COMP_CNT: 0
	.section	.text._ZN7rocprim17ROCPRIM_400000_NS6detail17trampoline_kernelINS0_14default_configENS1_25partition_config_selectorILNS1_17partition_subalgoE8ElNS0_10empty_typeEbEEZZNS1_14partition_implILS5_8ELb0ES3_jPlPS6_PKS6_NS0_5tupleIJS9_S6_EEENSD_IJSA_SA_EEENS0_18inequality_wrapperIZN2at6native12_GLOBAL__N_124unique_dim_cuda_templateIbEESt5tupleIJNSH_6TensorESM_SM_EERKSM_lbbbEUlllE0_EEPmJS6_EEE10hipError_tPvRmT3_T4_T5_T6_T7_T9_mT8_P12ihipStream_tbDpT10_ENKUlT_T0_E_clISt17integral_constantIbLb1EES1B_IbLb0EEEEDaS17_S18_EUlS17_E_NS1_11comp_targetILNS1_3genE4ELNS1_11target_archE910ELNS1_3gpuE8ELNS1_3repE0EEENS1_30default_config_static_selectorELNS0_4arch9wavefront6targetE0EEEvT1_,"axG",@progbits,_ZN7rocprim17ROCPRIM_400000_NS6detail17trampoline_kernelINS0_14default_configENS1_25partition_config_selectorILNS1_17partition_subalgoE8ElNS0_10empty_typeEbEEZZNS1_14partition_implILS5_8ELb0ES3_jPlPS6_PKS6_NS0_5tupleIJS9_S6_EEENSD_IJSA_SA_EEENS0_18inequality_wrapperIZN2at6native12_GLOBAL__N_124unique_dim_cuda_templateIbEESt5tupleIJNSH_6TensorESM_SM_EERKSM_lbbbEUlllE0_EEPmJS6_EEE10hipError_tPvRmT3_T4_T5_T6_T7_T9_mT8_P12ihipStream_tbDpT10_ENKUlT_T0_E_clISt17integral_constantIbLb1EES1B_IbLb0EEEEDaS17_S18_EUlS17_E_NS1_11comp_targetILNS1_3genE4ELNS1_11target_archE910ELNS1_3gpuE8ELNS1_3repE0EEENS1_30default_config_static_selectorELNS0_4arch9wavefront6targetE0EEEvT1_,comdat
	.globl	_ZN7rocprim17ROCPRIM_400000_NS6detail17trampoline_kernelINS0_14default_configENS1_25partition_config_selectorILNS1_17partition_subalgoE8ElNS0_10empty_typeEbEEZZNS1_14partition_implILS5_8ELb0ES3_jPlPS6_PKS6_NS0_5tupleIJS9_S6_EEENSD_IJSA_SA_EEENS0_18inequality_wrapperIZN2at6native12_GLOBAL__N_124unique_dim_cuda_templateIbEESt5tupleIJNSH_6TensorESM_SM_EERKSM_lbbbEUlllE0_EEPmJS6_EEE10hipError_tPvRmT3_T4_T5_T6_T7_T9_mT8_P12ihipStream_tbDpT10_ENKUlT_T0_E_clISt17integral_constantIbLb1EES1B_IbLb0EEEEDaS17_S18_EUlS17_E_NS1_11comp_targetILNS1_3genE4ELNS1_11target_archE910ELNS1_3gpuE8ELNS1_3repE0EEENS1_30default_config_static_selectorELNS0_4arch9wavefront6targetE0EEEvT1_ ; -- Begin function _ZN7rocprim17ROCPRIM_400000_NS6detail17trampoline_kernelINS0_14default_configENS1_25partition_config_selectorILNS1_17partition_subalgoE8ElNS0_10empty_typeEbEEZZNS1_14partition_implILS5_8ELb0ES3_jPlPS6_PKS6_NS0_5tupleIJS9_S6_EEENSD_IJSA_SA_EEENS0_18inequality_wrapperIZN2at6native12_GLOBAL__N_124unique_dim_cuda_templateIbEESt5tupleIJNSH_6TensorESM_SM_EERKSM_lbbbEUlllE0_EEPmJS6_EEE10hipError_tPvRmT3_T4_T5_T6_T7_T9_mT8_P12ihipStream_tbDpT10_ENKUlT_T0_E_clISt17integral_constantIbLb1EES1B_IbLb0EEEEDaS17_S18_EUlS17_E_NS1_11comp_targetILNS1_3genE4ELNS1_11target_archE910ELNS1_3gpuE8ELNS1_3repE0EEENS1_30default_config_static_selectorELNS0_4arch9wavefront6targetE0EEEvT1_
	.p2align	8
	.type	_ZN7rocprim17ROCPRIM_400000_NS6detail17trampoline_kernelINS0_14default_configENS1_25partition_config_selectorILNS1_17partition_subalgoE8ElNS0_10empty_typeEbEEZZNS1_14partition_implILS5_8ELb0ES3_jPlPS6_PKS6_NS0_5tupleIJS9_S6_EEENSD_IJSA_SA_EEENS0_18inequality_wrapperIZN2at6native12_GLOBAL__N_124unique_dim_cuda_templateIbEESt5tupleIJNSH_6TensorESM_SM_EERKSM_lbbbEUlllE0_EEPmJS6_EEE10hipError_tPvRmT3_T4_T5_T6_T7_T9_mT8_P12ihipStream_tbDpT10_ENKUlT_T0_E_clISt17integral_constantIbLb1EES1B_IbLb0EEEEDaS17_S18_EUlS17_E_NS1_11comp_targetILNS1_3genE4ELNS1_11target_archE910ELNS1_3gpuE8ELNS1_3repE0EEENS1_30default_config_static_selectorELNS0_4arch9wavefront6targetE0EEEvT1_,@function
_ZN7rocprim17ROCPRIM_400000_NS6detail17trampoline_kernelINS0_14default_configENS1_25partition_config_selectorILNS1_17partition_subalgoE8ElNS0_10empty_typeEbEEZZNS1_14partition_implILS5_8ELb0ES3_jPlPS6_PKS6_NS0_5tupleIJS9_S6_EEENSD_IJSA_SA_EEENS0_18inequality_wrapperIZN2at6native12_GLOBAL__N_124unique_dim_cuda_templateIbEESt5tupleIJNSH_6TensorESM_SM_EERKSM_lbbbEUlllE0_EEPmJS6_EEE10hipError_tPvRmT3_T4_T5_T6_T7_T9_mT8_P12ihipStream_tbDpT10_ENKUlT_T0_E_clISt17integral_constantIbLb1EES1B_IbLb0EEEEDaS17_S18_EUlS17_E_NS1_11comp_targetILNS1_3genE4ELNS1_11target_archE910ELNS1_3gpuE8ELNS1_3repE0EEENS1_30default_config_static_selectorELNS0_4arch9wavefront6targetE0EEEvT1_: ; @_ZN7rocprim17ROCPRIM_400000_NS6detail17trampoline_kernelINS0_14default_configENS1_25partition_config_selectorILNS1_17partition_subalgoE8ElNS0_10empty_typeEbEEZZNS1_14partition_implILS5_8ELb0ES3_jPlPS6_PKS6_NS0_5tupleIJS9_S6_EEENSD_IJSA_SA_EEENS0_18inequality_wrapperIZN2at6native12_GLOBAL__N_124unique_dim_cuda_templateIbEESt5tupleIJNSH_6TensorESM_SM_EERKSM_lbbbEUlllE0_EEPmJS6_EEE10hipError_tPvRmT3_T4_T5_T6_T7_T9_mT8_P12ihipStream_tbDpT10_ENKUlT_T0_E_clISt17integral_constantIbLb1EES1B_IbLb0EEEEDaS17_S18_EUlS17_E_NS1_11comp_targetILNS1_3genE4ELNS1_11target_archE910ELNS1_3gpuE8ELNS1_3repE0EEENS1_30default_config_static_selectorELNS0_4arch9wavefront6targetE0EEEvT1_
; %bb.0:
	.section	.rodata,"a",@progbits
	.p2align	6, 0x0
	.amdhsa_kernel _ZN7rocprim17ROCPRIM_400000_NS6detail17trampoline_kernelINS0_14default_configENS1_25partition_config_selectorILNS1_17partition_subalgoE8ElNS0_10empty_typeEbEEZZNS1_14partition_implILS5_8ELb0ES3_jPlPS6_PKS6_NS0_5tupleIJS9_S6_EEENSD_IJSA_SA_EEENS0_18inequality_wrapperIZN2at6native12_GLOBAL__N_124unique_dim_cuda_templateIbEESt5tupleIJNSH_6TensorESM_SM_EERKSM_lbbbEUlllE0_EEPmJS6_EEE10hipError_tPvRmT3_T4_T5_T6_T7_T9_mT8_P12ihipStream_tbDpT10_ENKUlT_T0_E_clISt17integral_constantIbLb1EES1B_IbLb0EEEEDaS17_S18_EUlS17_E_NS1_11comp_targetILNS1_3genE4ELNS1_11target_archE910ELNS1_3gpuE8ELNS1_3repE0EEENS1_30default_config_static_selectorELNS0_4arch9wavefront6targetE0EEEvT1_
		.amdhsa_group_segment_fixed_size 0
		.amdhsa_private_segment_fixed_size 0
		.amdhsa_kernarg_size 120
		.amdhsa_user_sgpr_count 2
		.amdhsa_user_sgpr_dispatch_ptr 0
		.amdhsa_user_sgpr_queue_ptr 0
		.amdhsa_user_sgpr_kernarg_segment_ptr 1
		.amdhsa_user_sgpr_dispatch_id 0
		.amdhsa_user_sgpr_kernarg_preload_length 0
		.amdhsa_user_sgpr_kernarg_preload_offset 0
		.amdhsa_user_sgpr_private_segment_size 0
		.amdhsa_wavefront_size32 1
		.amdhsa_uses_dynamic_stack 0
		.amdhsa_enable_private_segment 0
		.amdhsa_system_sgpr_workgroup_id_x 1
		.amdhsa_system_sgpr_workgroup_id_y 0
		.amdhsa_system_sgpr_workgroup_id_z 0
		.amdhsa_system_sgpr_workgroup_info 0
		.amdhsa_system_vgpr_workitem_id 0
		.amdhsa_next_free_vgpr 1
		.amdhsa_next_free_sgpr 1
		.amdhsa_named_barrier_count 0
		.amdhsa_reserve_vcc 0
		.amdhsa_float_round_mode_32 0
		.amdhsa_float_round_mode_16_64 0
		.amdhsa_float_denorm_mode_32 3
		.amdhsa_float_denorm_mode_16_64 3
		.amdhsa_fp16_overflow 0
		.amdhsa_memory_ordered 1
		.amdhsa_forward_progress 1
		.amdhsa_inst_pref_size 0
		.amdhsa_round_robin_scheduling 0
		.amdhsa_exception_fp_ieee_invalid_op 0
		.amdhsa_exception_fp_denorm_src 0
		.amdhsa_exception_fp_ieee_div_zero 0
		.amdhsa_exception_fp_ieee_overflow 0
		.amdhsa_exception_fp_ieee_underflow 0
		.amdhsa_exception_fp_ieee_inexact 0
		.amdhsa_exception_int_div_zero 0
	.end_amdhsa_kernel
	.section	.text._ZN7rocprim17ROCPRIM_400000_NS6detail17trampoline_kernelINS0_14default_configENS1_25partition_config_selectorILNS1_17partition_subalgoE8ElNS0_10empty_typeEbEEZZNS1_14partition_implILS5_8ELb0ES3_jPlPS6_PKS6_NS0_5tupleIJS9_S6_EEENSD_IJSA_SA_EEENS0_18inequality_wrapperIZN2at6native12_GLOBAL__N_124unique_dim_cuda_templateIbEESt5tupleIJNSH_6TensorESM_SM_EERKSM_lbbbEUlllE0_EEPmJS6_EEE10hipError_tPvRmT3_T4_T5_T6_T7_T9_mT8_P12ihipStream_tbDpT10_ENKUlT_T0_E_clISt17integral_constantIbLb1EES1B_IbLb0EEEEDaS17_S18_EUlS17_E_NS1_11comp_targetILNS1_3genE4ELNS1_11target_archE910ELNS1_3gpuE8ELNS1_3repE0EEENS1_30default_config_static_selectorELNS0_4arch9wavefront6targetE0EEEvT1_,"axG",@progbits,_ZN7rocprim17ROCPRIM_400000_NS6detail17trampoline_kernelINS0_14default_configENS1_25partition_config_selectorILNS1_17partition_subalgoE8ElNS0_10empty_typeEbEEZZNS1_14partition_implILS5_8ELb0ES3_jPlPS6_PKS6_NS0_5tupleIJS9_S6_EEENSD_IJSA_SA_EEENS0_18inequality_wrapperIZN2at6native12_GLOBAL__N_124unique_dim_cuda_templateIbEESt5tupleIJNSH_6TensorESM_SM_EERKSM_lbbbEUlllE0_EEPmJS6_EEE10hipError_tPvRmT3_T4_T5_T6_T7_T9_mT8_P12ihipStream_tbDpT10_ENKUlT_T0_E_clISt17integral_constantIbLb1EES1B_IbLb0EEEEDaS17_S18_EUlS17_E_NS1_11comp_targetILNS1_3genE4ELNS1_11target_archE910ELNS1_3gpuE8ELNS1_3repE0EEENS1_30default_config_static_selectorELNS0_4arch9wavefront6targetE0EEEvT1_,comdat
.Lfunc_end1069:
	.size	_ZN7rocprim17ROCPRIM_400000_NS6detail17trampoline_kernelINS0_14default_configENS1_25partition_config_selectorILNS1_17partition_subalgoE8ElNS0_10empty_typeEbEEZZNS1_14partition_implILS5_8ELb0ES3_jPlPS6_PKS6_NS0_5tupleIJS9_S6_EEENSD_IJSA_SA_EEENS0_18inequality_wrapperIZN2at6native12_GLOBAL__N_124unique_dim_cuda_templateIbEESt5tupleIJNSH_6TensorESM_SM_EERKSM_lbbbEUlllE0_EEPmJS6_EEE10hipError_tPvRmT3_T4_T5_T6_T7_T9_mT8_P12ihipStream_tbDpT10_ENKUlT_T0_E_clISt17integral_constantIbLb1EES1B_IbLb0EEEEDaS17_S18_EUlS17_E_NS1_11comp_targetILNS1_3genE4ELNS1_11target_archE910ELNS1_3gpuE8ELNS1_3repE0EEENS1_30default_config_static_selectorELNS0_4arch9wavefront6targetE0EEEvT1_, .Lfunc_end1069-_ZN7rocprim17ROCPRIM_400000_NS6detail17trampoline_kernelINS0_14default_configENS1_25partition_config_selectorILNS1_17partition_subalgoE8ElNS0_10empty_typeEbEEZZNS1_14partition_implILS5_8ELb0ES3_jPlPS6_PKS6_NS0_5tupleIJS9_S6_EEENSD_IJSA_SA_EEENS0_18inequality_wrapperIZN2at6native12_GLOBAL__N_124unique_dim_cuda_templateIbEESt5tupleIJNSH_6TensorESM_SM_EERKSM_lbbbEUlllE0_EEPmJS6_EEE10hipError_tPvRmT3_T4_T5_T6_T7_T9_mT8_P12ihipStream_tbDpT10_ENKUlT_T0_E_clISt17integral_constantIbLb1EES1B_IbLb0EEEEDaS17_S18_EUlS17_E_NS1_11comp_targetILNS1_3genE4ELNS1_11target_archE910ELNS1_3gpuE8ELNS1_3repE0EEENS1_30default_config_static_selectorELNS0_4arch9wavefront6targetE0EEEvT1_
                                        ; -- End function
	.set _ZN7rocprim17ROCPRIM_400000_NS6detail17trampoline_kernelINS0_14default_configENS1_25partition_config_selectorILNS1_17partition_subalgoE8ElNS0_10empty_typeEbEEZZNS1_14partition_implILS5_8ELb0ES3_jPlPS6_PKS6_NS0_5tupleIJS9_S6_EEENSD_IJSA_SA_EEENS0_18inequality_wrapperIZN2at6native12_GLOBAL__N_124unique_dim_cuda_templateIbEESt5tupleIJNSH_6TensorESM_SM_EERKSM_lbbbEUlllE0_EEPmJS6_EEE10hipError_tPvRmT3_T4_T5_T6_T7_T9_mT8_P12ihipStream_tbDpT10_ENKUlT_T0_E_clISt17integral_constantIbLb1EES1B_IbLb0EEEEDaS17_S18_EUlS17_E_NS1_11comp_targetILNS1_3genE4ELNS1_11target_archE910ELNS1_3gpuE8ELNS1_3repE0EEENS1_30default_config_static_selectorELNS0_4arch9wavefront6targetE0EEEvT1_.num_vgpr, 0
	.set _ZN7rocprim17ROCPRIM_400000_NS6detail17trampoline_kernelINS0_14default_configENS1_25partition_config_selectorILNS1_17partition_subalgoE8ElNS0_10empty_typeEbEEZZNS1_14partition_implILS5_8ELb0ES3_jPlPS6_PKS6_NS0_5tupleIJS9_S6_EEENSD_IJSA_SA_EEENS0_18inequality_wrapperIZN2at6native12_GLOBAL__N_124unique_dim_cuda_templateIbEESt5tupleIJNSH_6TensorESM_SM_EERKSM_lbbbEUlllE0_EEPmJS6_EEE10hipError_tPvRmT3_T4_T5_T6_T7_T9_mT8_P12ihipStream_tbDpT10_ENKUlT_T0_E_clISt17integral_constantIbLb1EES1B_IbLb0EEEEDaS17_S18_EUlS17_E_NS1_11comp_targetILNS1_3genE4ELNS1_11target_archE910ELNS1_3gpuE8ELNS1_3repE0EEENS1_30default_config_static_selectorELNS0_4arch9wavefront6targetE0EEEvT1_.num_agpr, 0
	.set _ZN7rocprim17ROCPRIM_400000_NS6detail17trampoline_kernelINS0_14default_configENS1_25partition_config_selectorILNS1_17partition_subalgoE8ElNS0_10empty_typeEbEEZZNS1_14partition_implILS5_8ELb0ES3_jPlPS6_PKS6_NS0_5tupleIJS9_S6_EEENSD_IJSA_SA_EEENS0_18inequality_wrapperIZN2at6native12_GLOBAL__N_124unique_dim_cuda_templateIbEESt5tupleIJNSH_6TensorESM_SM_EERKSM_lbbbEUlllE0_EEPmJS6_EEE10hipError_tPvRmT3_T4_T5_T6_T7_T9_mT8_P12ihipStream_tbDpT10_ENKUlT_T0_E_clISt17integral_constantIbLb1EES1B_IbLb0EEEEDaS17_S18_EUlS17_E_NS1_11comp_targetILNS1_3genE4ELNS1_11target_archE910ELNS1_3gpuE8ELNS1_3repE0EEENS1_30default_config_static_selectorELNS0_4arch9wavefront6targetE0EEEvT1_.numbered_sgpr, 0
	.set _ZN7rocprim17ROCPRIM_400000_NS6detail17trampoline_kernelINS0_14default_configENS1_25partition_config_selectorILNS1_17partition_subalgoE8ElNS0_10empty_typeEbEEZZNS1_14partition_implILS5_8ELb0ES3_jPlPS6_PKS6_NS0_5tupleIJS9_S6_EEENSD_IJSA_SA_EEENS0_18inequality_wrapperIZN2at6native12_GLOBAL__N_124unique_dim_cuda_templateIbEESt5tupleIJNSH_6TensorESM_SM_EERKSM_lbbbEUlllE0_EEPmJS6_EEE10hipError_tPvRmT3_T4_T5_T6_T7_T9_mT8_P12ihipStream_tbDpT10_ENKUlT_T0_E_clISt17integral_constantIbLb1EES1B_IbLb0EEEEDaS17_S18_EUlS17_E_NS1_11comp_targetILNS1_3genE4ELNS1_11target_archE910ELNS1_3gpuE8ELNS1_3repE0EEENS1_30default_config_static_selectorELNS0_4arch9wavefront6targetE0EEEvT1_.num_named_barrier, 0
	.set _ZN7rocprim17ROCPRIM_400000_NS6detail17trampoline_kernelINS0_14default_configENS1_25partition_config_selectorILNS1_17partition_subalgoE8ElNS0_10empty_typeEbEEZZNS1_14partition_implILS5_8ELb0ES3_jPlPS6_PKS6_NS0_5tupleIJS9_S6_EEENSD_IJSA_SA_EEENS0_18inequality_wrapperIZN2at6native12_GLOBAL__N_124unique_dim_cuda_templateIbEESt5tupleIJNSH_6TensorESM_SM_EERKSM_lbbbEUlllE0_EEPmJS6_EEE10hipError_tPvRmT3_T4_T5_T6_T7_T9_mT8_P12ihipStream_tbDpT10_ENKUlT_T0_E_clISt17integral_constantIbLb1EES1B_IbLb0EEEEDaS17_S18_EUlS17_E_NS1_11comp_targetILNS1_3genE4ELNS1_11target_archE910ELNS1_3gpuE8ELNS1_3repE0EEENS1_30default_config_static_selectorELNS0_4arch9wavefront6targetE0EEEvT1_.private_seg_size, 0
	.set _ZN7rocprim17ROCPRIM_400000_NS6detail17trampoline_kernelINS0_14default_configENS1_25partition_config_selectorILNS1_17partition_subalgoE8ElNS0_10empty_typeEbEEZZNS1_14partition_implILS5_8ELb0ES3_jPlPS6_PKS6_NS0_5tupleIJS9_S6_EEENSD_IJSA_SA_EEENS0_18inequality_wrapperIZN2at6native12_GLOBAL__N_124unique_dim_cuda_templateIbEESt5tupleIJNSH_6TensorESM_SM_EERKSM_lbbbEUlllE0_EEPmJS6_EEE10hipError_tPvRmT3_T4_T5_T6_T7_T9_mT8_P12ihipStream_tbDpT10_ENKUlT_T0_E_clISt17integral_constantIbLb1EES1B_IbLb0EEEEDaS17_S18_EUlS17_E_NS1_11comp_targetILNS1_3genE4ELNS1_11target_archE910ELNS1_3gpuE8ELNS1_3repE0EEENS1_30default_config_static_selectorELNS0_4arch9wavefront6targetE0EEEvT1_.uses_vcc, 0
	.set _ZN7rocprim17ROCPRIM_400000_NS6detail17trampoline_kernelINS0_14default_configENS1_25partition_config_selectorILNS1_17partition_subalgoE8ElNS0_10empty_typeEbEEZZNS1_14partition_implILS5_8ELb0ES3_jPlPS6_PKS6_NS0_5tupleIJS9_S6_EEENSD_IJSA_SA_EEENS0_18inequality_wrapperIZN2at6native12_GLOBAL__N_124unique_dim_cuda_templateIbEESt5tupleIJNSH_6TensorESM_SM_EERKSM_lbbbEUlllE0_EEPmJS6_EEE10hipError_tPvRmT3_T4_T5_T6_T7_T9_mT8_P12ihipStream_tbDpT10_ENKUlT_T0_E_clISt17integral_constantIbLb1EES1B_IbLb0EEEEDaS17_S18_EUlS17_E_NS1_11comp_targetILNS1_3genE4ELNS1_11target_archE910ELNS1_3gpuE8ELNS1_3repE0EEENS1_30default_config_static_selectorELNS0_4arch9wavefront6targetE0EEEvT1_.uses_flat_scratch, 0
	.set _ZN7rocprim17ROCPRIM_400000_NS6detail17trampoline_kernelINS0_14default_configENS1_25partition_config_selectorILNS1_17partition_subalgoE8ElNS0_10empty_typeEbEEZZNS1_14partition_implILS5_8ELb0ES3_jPlPS6_PKS6_NS0_5tupleIJS9_S6_EEENSD_IJSA_SA_EEENS0_18inequality_wrapperIZN2at6native12_GLOBAL__N_124unique_dim_cuda_templateIbEESt5tupleIJNSH_6TensorESM_SM_EERKSM_lbbbEUlllE0_EEPmJS6_EEE10hipError_tPvRmT3_T4_T5_T6_T7_T9_mT8_P12ihipStream_tbDpT10_ENKUlT_T0_E_clISt17integral_constantIbLb1EES1B_IbLb0EEEEDaS17_S18_EUlS17_E_NS1_11comp_targetILNS1_3genE4ELNS1_11target_archE910ELNS1_3gpuE8ELNS1_3repE0EEENS1_30default_config_static_selectorELNS0_4arch9wavefront6targetE0EEEvT1_.has_dyn_sized_stack, 0
	.set _ZN7rocprim17ROCPRIM_400000_NS6detail17trampoline_kernelINS0_14default_configENS1_25partition_config_selectorILNS1_17partition_subalgoE8ElNS0_10empty_typeEbEEZZNS1_14partition_implILS5_8ELb0ES3_jPlPS6_PKS6_NS0_5tupleIJS9_S6_EEENSD_IJSA_SA_EEENS0_18inequality_wrapperIZN2at6native12_GLOBAL__N_124unique_dim_cuda_templateIbEESt5tupleIJNSH_6TensorESM_SM_EERKSM_lbbbEUlllE0_EEPmJS6_EEE10hipError_tPvRmT3_T4_T5_T6_T7_T9_mT8_P12ihipStream_tbDpT10_ENKUlT_T0_E_clISt17integral_constantIbLb1EES1B_IbLb0EEEEDaS17_S18_EUlS17_E_NS1_11comp_targetILNS1_3genE4ELNS1_11target_archE910ELNS1_3gpuE8ELNS1_3repE0EEENS1_30default_config_static_selectorELNS0_4arch9wavefront6targetE0EEEvT1_.has_recursion, 0
	.set _ZN7rocprim17ROCPRIM_400000_NS6detail17trampoline_kernelINS0_14default_configENS1_25partition_config_selectorILNS1_17partition_subalgoE8ElNS0_10empty_typeEbEEZZNS1_14partition_implILS5_8ELb0ES3_jPlPS6_PKS6_NS0_5tupleIJS9_S6_EEENSD_IJSA_SA_EEENS0_18inequality_wrapperIZN2at6native12_GLOBAL__N_124unique_dim_cuda_templateIbEESt5tupleIJNSH_6TensorESM_SM_EERKSM_lbbbEUlllE0_EEPmJS6_EEE10hipError_tPvRmT3_T4_T5_T6_T7_T9_mT8_P12ihipStream_tbDpT10_ENKUlT_T0_E_clISt17integral_constantIbLb1EES1B_IbLb0EEEEDaS17_S18_EUlS17_E_NS1_11comp_targetILNS1_3genE4ELNS1_11target_archE910ELNS1_3gpuE8ELNS1_3repE0EEENS1_30default_config_static_selectorELNS0_4arch9wavefront6targetE0EEEvT1_.has_indirect_call, 0
	.section	.AMDGPU.csdata,"",@progbits
; Kernel info:
; codeLenInByte = 0
; TotalNumSgprs: 0
; NumVgprs: 0
; ScratchSize: 0
; MemoryBound: 0
; FloatMode: 240
; IeeeMode: 1
; LDSByteSize: 0 bytes/workgroup (compile time only)
; SGPRBlocks: 0
; VGPRBlocks: 0
; NumSGPRsForWavesPerEU: 1
; NumVGPRsForWavesPerEU: 1
; NamedBarCnt: 0
; Occupancy: 16
; WaveLimiterHint : 0
; COMPUTE_PGM_RSRC2:SCRATCH_EN: 0
; COMPUTE_PGM_RSRC2:USER_SGPR: 2
; COMPUTE_PGM_RSRC2:TRAP_HANDLER: 0
; COMPUTE_PGM_RSRC2:TGID_X_EN: 1
; COMPUTE_PGM_RSRC2:TGID_Y_EN: 0
; COMPUTE_PGM_RSRC2:TGID_Z_EN: 0
; COMPUTE_PGM_RSRC2:TIDIG_COMP_CNT: 0
	.section	.text._ZN7rocprim17ROCPRIM_400000_NS6detail17trampoline_kernelINS0_14default_configENS1_25partition_config_selectorILNS1_17partition_subalgoE8ElNS0_10empty_typeEbEEZZNS1_14partition_implILS5_8ELb0ES3_jPlPS6_PKS6_NS0_5tupleIJS9_S6_EEENSD_IJSA_SA_EEENS0_18inequality_wrapperIZN2at6native12_GLOBAL__N_124unique_dim_cuda_templateIbEESt5tupleIJNSH_6TensorESM_SM_EERKSM_lbbbEUlllE0_EEPmJS6_EEE10hipError_tPvRmT3_T4_T5_T6_T7_T9_mT8_P12ihipStream_tbDpT10_ENKUlT_T0_E_clISt17integral_constantIbLb1EES1B_IbLb0EEEEDaS17_S18_EUlS17_E_NS1_11comp_targetILNS1_3genE3ELNS1_11target_archE908ELNS1_3gpuE7ELNS1_3repE0EEENS1_30default_config_static_selectorELNS0_4arch9wavefront6targetE0EEEvT1_,"axG",@progbits,_ZN7rocprim17ROCPRIM_400000_NS6detail17trampoline_kernelINS0_14default_configENS1_25partition_config_selectorILNS1_17partition_subalgoE8ElNS0_10empty_typeEbEEZZNS1_14partition_implILS5_8ELb0ES3_jPlPS6_PKS6_NS0_5tupleIJS9_S6_EEENSD_IJSA_SA_EEENS0_18inequality_wrapperIZN2at6native12_GLOBAL__N_124unique_dim_cuda_templateIbEESt5tupleIJNSH_6TensorESM_SM_EERKSM_lbbbEUlllE0_EEPmJS6_EEE10hipError_tPvRmT3_T4_T5_T6_T7_T9_mT8_P12ihipStream_tbDpT10_ENKUlT_T0_E_clISt17integral_constantIbLb1EES1B_IbLb0EEEEDaS17_S18_EUlS17_E_NS1_11comp_targetILNS1_3genE3ELNS1_11target_archE908ELNS1_3gpuE7ELNS1_3repE0EEENS1_30default_config_static_selectorELNS0_4arch9wavefront6targetE0EEEvT1_,comdat
	.globl	_ZN7rocprim17ROCPRIM_400000_NS6detail17trampoline_kernelINS0_14default_configENS1_25partition_config_selectorILNS1_17partition_subalgoE8ElNS0_10empty_typeEbEEZZNS1_14partition_implILS5_8ELb0ES3_jPlPS6_PKS6_NS0_5tupleIJS9_S6_EEENSD_IJSA_SA_EEENS0_18inequality_wrapperIZN2at6native12_GLOBAL__N_124unique_dim_cuda_templateIbEESt5tupleIJNSH_6TensorESM_SM_EERKSM_lbbbEUlllE0_EEPmJS6_EEE10hipError_tPvRmT3_T4_T5_T6_T7_T9_mT8_P12ihipStream_tbDpT10_ENKUlT_T0_E_clISt17integral_constantIbLb1EES1B_IbLb0EEEEDaS17_S18_EUlS17_E_NS1_11comp_targetILNS1_3genE3ELNS1_11target_archE908ELNS1_3gpuE7ELNS1_3repE0EEENS1_30default_config_static_selectorELNS0_4arch9wavefront6targetE0EEEvT1_ ; -- Begin function _ZN7rocprim17ROCPRIM_400000_NS6detail17trampoline_kernelINS0_14default_configENS1_25partition_config_selectorILNS1_17partition_subalgoE8ElNS0_10empty_typeEbEEZZNS1_14partition_implILS5_8ELb0ES3_jPlPS6_PKS6_NS0_5tupleIJS9_S6_EEENSD_IJSA_SA_EEENS0_18inequality_wrapperIZN2at6native12_GLOBAL__N_124unique_dim_cuda_templateIbEESt5tupleIJNSH_6TensorESM_SM_EERKSM_lbbbEUlllE0_EEPmJS6_EEE10hipError_tPvRmT3_T4_T5_T6_T7_T9_mT8_P12ihipStream_tbDpT10_ENKUlT_T0_E_clISt17integral_constantIbLb1EES1B_IbLb0EEEEDaS17_S18_EUlS17_E_NS1_11comp_targetILNS1_3genE3ELNS1_11target_archE908ELNS1_3gpuE7ELNS1_3repE0EEENS1_30default_config_static_selectorELNS0_4arch9wavefront6targetE0EEEvT1_
	.p2align	8
	.type	_ZN7rocprim17ROCPRIM_400000_NS6detail17trampoline_kernelINS0_14default_configENS1_25partition_config_selectorILNS1_17partition_subalgoE8ElNS0_10empty_typeEbEEZZNS1_14partition_implILS5_8ELb0ES3_jPlPS6_PKS6_NS0_5tupleIJS9_S6_EEENSD_IJSA_SA_EEENS0_18inequality_wrapperIZN2at6native12_GLOBAL__N_124unique_dim_cuda_templateIbEESt5tupleIJNSH_6TensorESM_SM_EERKSM_lbbbEUlllE0_EEPmJS6_EEE10hipError_tPvRmT3_T4_T5_T6_T7_T9_mT8_P12ihipStream_tbDpT10_ENKUlT_T0_E_clISt17integral_constantIbLb1EES1B_IbLb0EEEEDaS17_S18_EUlS17_E_NS1_11comp_targetILNS1_3genE3ELNS1_11target_archE908ELNS1_3gpuE7ELNS1_3repE0EEENS1_30default_config_static_selectorELNS0_4arch9wavefront6targetE0EEEvT1_,@function
_ZN7rocprim17ROCPRIM_400000_NS6detail17trampoline_kernelINS0_14default_configENS1_25partition_config_selectorILNS1_17partition_subalgoE8ElNS0_10empty_typeEbEEZZNS1_14partition_implILS5_8ELb0ES3_jPlPS6_PKS6_NS0_5tupleIJS9_S6_EEENSD_IJSA_SA_EEENS0_18inequality_wrapperIZN2at6native12_GLOBAL__N_124unique_dim_cuda_templateIbEESt5tupleIJNSH_6TensorESM_SM_EERKSM_lbbbEUlllE0_EEPmJS6_EEE10hipError_tPvRmT3_T4_T5_T6_T7_T9_mT8_P12ihipStream_tbDpT10_ENKUlT_T0_E_clISt17integral_constantIbLb1EES1B_IbLb0EEEEDaS17_S18_EUlS17_E_NS1_11comp_targetILNS1_3genE3ELNS1_11target_archE908ELNS1_3gpuE7ELNS1_3repE0EEENS1_30default_config_static_selectorELNS0_4arch9wavefront6targetE0EEEvT1_: ; @_ZN7rocprim17ROCPRIM_400000_NS6detail17trampoline_kernelINS0_14default_configENS1_25partition_config_selectorILNS1_17partition_subalgoE8ElNS0_10empty_typeEbEEZZNS1_14partition_implILS5_8ELb0ES3_jPlPS6_PKS6_NS0_5tupleIJS9_S6_EEENSD_IJSA_SA_EEENS0_18inequality_wrapperIZN2at6native12_GLOBAL__N_124unique_dim_cuda_templateIbEESt5tupleIJNSH_6TensorESM_SM_EERKSM_lbbbEUlllE0_EEPmJS6_EEE10hipError_tPvRmT3_T4_T5_T6_T7_T9_mT8_P12ihipStream_tbDpT10_ENKUlT_T0_E_clISt17integral_constantIbLb1EES1B_IbLb0EEEEDaS17_S18_EUlS17_E_NS1_11comp_targetILNS1_3genE3ELNS1_11target_archE908ELNS1_3gpuE7ELNS1_3repE0EEENS1_30default_config_static_selectorELNS0_4arch9wavefront6targetE0EEEvT1_
; %bb.0:
	.section	.rodata,"a",@progbits
	.p2align	6, 0x0
	.amdhsa_kernel _ZN7rocprim17ROCPRIM_400000_NS6detail17trampoline_kernelINS0_14default_configENS1_25partition_config_selectorILNS1_17partition_subalgoE8ElNS0_10empty_typeEbEEZZNS1_14partition_implILS5_8ELb0ES3_jPlPS6_PKS6_NS0_5tupleIJS9_S6_EEENSD_IJSA_SA_EEENS0_18inequality_wrapperIZN2at6native12_GLOBAL__N_124unique_dim_cuda_templateIbEESt5tupleIJNSH_6TensorESM_SM_EERKSM_lbbbEUlllE0_EEPmJS6_EEE10hipError_tPvRmT3_T4_T5_T6_T7_T9_mT8_P12ihipStream_tbDpT10_ENKUlT_T0_E_clISt17integral_constantIbLb1EES1B_IbLb0EEEEDaS17_S18_EUlS17_E_NS1_11comp_targetILNS1_3genE3ELNS1_11target_archE908ELNS1_3gpuE7ELNS1_3repE0EEENS1_30default_config_static_selectorELNS0_4arch9wavefront6targetE0EEEvT1_
		.amdhsa_group_segment_fixed_size 0
		.amdhsa_private_segment_fixed_size 0
		.amdhsa_kernarg_size 120
		.amdhsa_user_sgpr_count 2
		.amdhsa_user_sgpr_dispatch_ptr 0
		.amdhsa_user_sgpr_queue_ptr 0
		.amdhsa_user_sgpr_kernarg_segment_ptr 1
		.amdhsa_user_sgpr_dispatch_id 0
		.amdhsa_user_sgpr_kernarg_preload_length 0
		.amdhsa_user_sgpr_kernarg_preload_offset 0
		.amdhsa_user_sgpr_private_segment_size 0
		.amdhsa_wavefront_size32 1
		.amdhsa_uses_dynamic_stack 0
		.amdhsa_enable_private_segment 0
		.amdhsa_system_sgpr_workgroup_id_x 1
		.amdhsa_system_sgpr_workgroup_id_y 0
		.amdhsa_system_sgpr_workgroup_id_z 0
		.amdhsa_system_sgpr_workgroup_info 0
		.amdhsa_system_vgpr_workitem_id 0
		.amdhsa_next_free_vgpr 1
		.amdhsa_next_free_sgpr 1
		.amdhsa_named_barrier_count 0
		.amdhsa_reserve_vcc 0
		.amdhsa_float_round_mode_32 0
		.amdhsa_float_round_mode_16_64 0
		.amdhsa_float_denorm_mode_32 3
		.amdhsa_float_denorm_mode_16_64 3
		.amdhsa_fp16_overflow 0
		.amdhsa_memory_ordered 1
		.amdhsa_forward_progress 1
		.amdhsa_inst_pref_size 0
		.amdhsa_round_robin_scheduling 0
		.amdhsa_exception_fp_ieee_invalid_op 0
		.amdhsa_exception_fp_denorm_src 0
		.amdhsa_exception_fp_ieee_div_zero 0
		.amdhsa_exception_fp_ieee_overflow 0
		.amdhsa_exception_fp_ieee_underflow 0
		.amdhsa_exception_fp_ieee_inexact 0
		.amdhsa_exception_int_div_zero 0
	.end_amdhsa_kernel
	.section	.text._ZN7rocprim17ROCPRIM_400000_NS6detail17trampoline_kernelINS0_14default_configENS1_25partition_config_selectorILNS1_17partition_subalgoE8ElNS0_10empty_typeEbEEZZNS1_14partition_implILS5_8ELb0ES3_jPlPS6_PKS6_NS0_5tupleIJS9_S6_EEENSD_IJSA_SA_EEENS0_18inequality_wrapperIZN2at6native12_GLOBAL__N_124unique_dim_cuda_templateIbEESt5tupleIJNSH_6TensorESM_SM_EERKSM_lbbbEUlllE0_EEPmJS6_EEE10hipError_tPvRmT3_T4_T5_T6_T7_T9_mT8_P12ihipStream_tbDpT10_ENKUlT_T0_E_clISt17integral_constantIbLb1EES1B_IbLb0EEEEDaS17_S18_EUlS17_E_NS1_11comp_targetILNS1_3genE3ELNS1_11target_archE908ELNS1_3gpuE7ELNS1_3repE0EEENS1_30default_config_static_selectorELNS0_4arch9wavefront6targetE0EEEvT1_,"axG",@progbits,_ZN7rocprim17ROCPRIM_400000_NS6detail17trampoline_kernelINS0_14default_configENS1_25partition_config_selectorILNS1_17partition_subalgoE8ElNS0_10empty_typeEbEEZZNS1_14partition_implILS5_8ELb0ES3_jPlPS6_PKS6_NS0_5tupleIJS9_S6_EEENSD_IJSA_SA_EEENS0_18inequality_wrapperIZN2at6native12_GLOBAL__N_124unique_dim_cuda_templateIbEESt5tupleIJNSH_6TensorESM_SM_EERKSM_lbbbEUlllE0_EEPmJS6_EEE10hipError_tPvRmT3_T4_T5_T6_T7_T9_mT8_P12ihipStream_tbDpT10_ENKUlT_T0_E_clISt17integral_constantIbLb1EES1B_IbLb0EEEEDaS17_S18_EUlS17_E_NS1_11comp_targetILNS1_3genE3ELNS1_11target_archE908ELNS1_3gpuE7ELNS1_3repE0EEENS1_30default_config_static_selectorELNS0_4arch9wavefront6targetE0EEEvT1_,comdat
.Lfunc_end1070:
	.size	_ZN7rocprim17ROCPRIM_400000_NS6detail17trampoline_kernelINS0_14default_configENS1_25partition_config_selectorILNS1_17partition_subalgoE8ElNS0_10empty_typeEbEEZZNS1_14partition_implILS5_8ELb0ES3_jPlPS6_PKS6_NS0_5tupleIJS9_S6_EEENSD_IJSA_SA_EEENS0_18inequality_wrapperIZN2at6native12_GLOBAL__N_124unique_dim_cuda_templateIbEESt5tupleIJNSH_6TensorESM_SM_EERKSM_lbbbEUlllE0_EEPmJS6_EEE10hipError_tPvRmT3_T4_T5_T6_T7_T9_mT8_P12ihipStream_tbDpT10_ENKUlT_T0_E_clISt17integral_constantIbLb1EES1B_IbLb0EEEEDaS17_S18_EUlS17_E_NS1_11comp_targetILNS1_3genE3ELNS1_11target_archE908ELNS1_3gpuE7ELNS1_3repE0EEENS1_30default_config_static_selectorELNS0_4arch9wavefront6targetE0EEEvT1_, .Lfunc_end1070-_ZN7rocprim17ROCPRIM_400000_NS6detail17trampoline_kernelINS0_14default_configENS1_25partition_config_selectorILNS1_17partition_subalgoE8ElNS0_10empty_typeEbEEZZNS1_14partition_implILS5_8ELb0ES3_jPlPS6_PKS6_NS0_5tupleIJS9_S6_EEENSD_IJSA_SA_EEENS0_18inequality_wrapperIZN2at6native12_GLOBAL__N_124unique_dim_cuda_templateIbEESt5tupleIJNSH_6TensorESM_SM_EERKSM_lbbbEUlllE0_EEPmJS6_EEE10hipError_tPvRmT3_T4_T5_T6_T7_T9_mT8_P12ihipStream_tbDpT10_ENKUlT_T0_E_clISt17integral_constantIbLb1EES1B_IbLb0EEEEDaS17_S18_EUlS17_E_NS1_11comp_targetILNS1_3genE3ELNS1_11target_archE908ELNS1_3gpuE7ELNS1_3repE0EEENS1_30default_config_static_selectorELNS0_4arch9wavefront6targetE0EEEvT1_
                                        ; -- End function
	.set _ZN7rocprim17ROCPRIM_400000_NS6detail17trampoline_kernelINS0_14default_configENS1_25partition_config_selectorILNS1_17partition_subalgoE8ElNS0_10empty_typeEbEEZZNS1_14partition_implILS5_8ELb0ES3_jPlPS6_PKS6_NS0_5tupleIJS9_S6_EEENSD_IJSA_SA_EEENS0_18inequality_wrapperIZN2at6native12_GLOBAL__N_124unique_dim_cuda_templateIbEESt5tupleIJNSH_6TensorESM_SM_EERKSM_lbbbEUlllE0_EEPmJS6_EEE10hipError_tPvRmT3_T4_T5_T6_T7_T9_mT8_P12ihipStream_tbDpT10_ENKUlT_T0_E_clISt17integral_constantIbLb1EES1B_IbLb0EEEEDaS17_S18_EUlS17_E_NS1_11comp_targetILNS1_3genE3ELNS1_11target_archE908ELNS1_3gpuE7ELNS1_3repE0EEENS1_30default_config_static_selectorELNS0_4arch9wavefront6targetE0EEEvT1_.num_vgpr, 0
	.set _ZN7rocprim17ROCPRIM_400000_NS6detail17trampoline_kernelINS0_14default_configENS1_25partition_config_selectorILNS1_17partition_subalgoE8ElNS0_10empty_typeEbEEZZNS1_14partition_implILS5_8ELb0ES3_jPlPS6_PKS6_NS0_5tupleIJS9_S6_EEENSD_IJSA_SA_EEENS0_18inequality_wrapperIZN2at6native12_GLOBAL__N_124unique_dim_cuda_templateIbEESt5tupleIJNSH_6TensorESM_SM_EERKSM_lbbbEUlllE0_EEPmJS6_EEE10hipError_tPvRmT3_T4_T5_T6_T7_T9_mT8_P12ihipStream_tbDpT10_ENKUlT_T0_E_clISt17integral_constantIbLb1EES1B_IbLb0EEEEDaS17_S18_EUlS17_E_NS1_11comp_targetILNS1_3genE3ELNS1_11target_archE908ELNS1_3gpuE7ELNS1_3repE0EEENS1_30default_config_static_selectorELNS0_4arch9wavefront6targetE0EEEvT1_.num_agpr, 0
	.set _ZN7rocprim17ROCPRIM_400000_NS6detail17trampoline_kernelINS0_14default_configENS1_25partition_config_selectorILNS1_17partition_subalgoE8ElNS0_10empty_typeEbEEZZNS1_14partition_implILS5_8ELb0ES3_jPlPS6_PKS6_NS0_5tupleIJS9_S6_EEENSD_IJSA_SA_EEENS0_18inequality_wrapperIZN2at6native12_GLOBAL__N_124unique_dim_cuda_templateIbEESt5tupleIJNSH_6TensorESM_SM_EERKSM_lbbbEUlllE0_EEPmJS6_EEE10hipError_tPvRmT3_T4_T5_T6_T7_T9_mT8_P12ihipStream_tbDpT10_ENKUlT_T0_E_clISt17integral_constantIbLb1EES1B_IbLb0EEEEDaS17_S18_EUlS17_E_NS1_11comp_targetILNS1_3genE3ELNS1_11target_archE908ELNS1_3gpuE7ELNS1_3repE0EEENS1_30default_config_static_selectorELNS0_4arch9wavefront6targetE0EEEvT1_.numbered_sgpr, 0
	.set _ZN7rocprim17ROCPRIM_400000_NS6detail17trampoline_kernelINS0_14default_configENS1_25partition_config_selectorILNS1_17partition_subalgoE8ElNS0_10empty_typeEbEEZZNS1_14partition_implILS5_8ELb0ES3_jPlPS6_PKS6_NS0_5tupleIJS9_S6_EEENSD_IJSA_SA_EEENS0_18inequality_wrapperIZN2at6native12_GLOBAL__N_124unique_dim_cuda_templateIbEESt5tupleIJNSH_6TensorESM_SM_EERKSM_lbbbEUlllE0_EEPmJS6_EEE10hipError_tPvRmT3_T4_T5_T6_T7_T9_mT8_P12ihipStream_tbDpT10_ENKUlT_T0_E_clISt17integral_constantIbLb1EES1B_IbLb0EEEEDaS17_S18_EUlS17_E_NS1_11comp_targetILNS1_3genE3ELNS1_11target_archE908ELNS1_3gpuE7ELNS1_3repE0EEENS1_30default_config_static_selectorELNS0_4arch9wavefront6targetE0EEEvT1_.num_named_barrier, 0
	.set _ZN7rocprim17ROCPRIM_400000_NS6detail17trampoline_kernelINS0_14default_configENS1_25partition_config_selectorILNS1_17partition_subalgoE8ElNS0_10empty_typeEbEEZZNS1_14partition_implILS5_8ELb0ES3_jPlPS6_PKS6_NS0_5tupleIJS9_S6_EEENSD_IJSA_SA_EEENS0_18inequality_wrapperIZN2at6native12_GLOBAL__N_124unique_dim_cuda_templateIbEESt5tupleIJNSH_6TensorESM_SM_EERKSM_lbbbEUlllE0_EEPmJS6_EEE10hipError_tPvRmT3_T4_T5_T6_T7_T9_mT8_P12ihipStream_tbDpT10_ENKUlT_T0_E_clISt17integral_constantIbLb1EES1B_IbLb0EEEEDaS17_S18_EUlS17_E_NS1_11comp_targetILNS1_3genE3ELNS1_11target_archE908ELNS1_3gpuE7ELNS1_3repE0EEENS1_30default_config_static_selectorELNS0_4arch9wavefront6targetE0EEEvT1_.private_seg_size, 0
	.set _ZN7rocprim17ROCPRIM_400000_NS6detail17trampoline_kernelINS0_14default_configENS1_25partition_config_selectorILNS1_17partition_subalgoE8ElNS0_10empty_typeEbEEZZNS1_14partition_implILS5_8ELb0ES3_jPlPS6_PKS6_NS0_5tupleIJS9_S6_EEENSD_IJSA_SA_EEENS0_18inequality_wrapperIZN2at6native12_GLOBAL__N_124unique_dim_cuda_templateIbEESt5tupleIJNSH_6TensorESM_SM_EERKSM_lbbbEUlllE0_EEPmJS6_EEE10hipError_tPvRmT3_T4_T5_T6_T7_T9_mT8_P12ihipStream_tbDpT10_ENKUlT_T0_E_clISt17integral_constantIbLb1EES1B_IbLb0EEEEDaS17_S18_EUlS17_E_NS1_11comp_targetILNS1_3genE3ELNS1_11target_archE908ELNS1_3gpuE7ELNS1_3repE0EEENS1_30default_config_static_selectorELNS0_4arch9wavefront6targetE0EEEvT1_.uses_vcc, 0
	.set _ZN7rocprim17ROCPRIM_400000_NS6detail17trampoline_kernelINS0_14default_configENS1_25partition_config_selectorILNS1_17partition_subalgoE8ElNS0_10empty_typeEbEEZZNS1_14partition_implILS5_8ELb0ES3_jPlPS6_PKS6_NS0_5tupleIJS9_S6_EEENSD_IJSA_SA_EEENS0_18inequality_wrapperIZN2at6native12_GLOBAL__N_124unique_dim_cuda_templateIbEESt5tupleIJNSH_6TensorESM_SM_EERKSM_lbbbEUlllE0_EEPmJS6_EEE10hipError_tPvRmT3_T4_T5_T6_T7_T9_mT8_P12ihipStream_tbDpT10_ENKUlT_T0_E_clISt17integral_constantIbLb1EES1B_IbLb0EEEEDaS17_S18_EUlS17_E_NS1_11comp_targetILNS1_3genE3ELNS1_11target_archE908ELNS1_3gpuE7ELNS1_3repE0EEENS1_30default_config_static_selectorELNS0_4arch9wavefront6targetE0EEEvT1_.uses_flat_scratch, 0
	.set _ZN7rocprim17ROCPRIM_400000_NS6detail17trampoline_kernelINS0_14default_configENS1_25partition_config_selectorILNS1_17partition_subalgoE8ElNS0_10empty_typeEbEEZZNS1_14partition_implILS5_8ELb0ES3_jPlPS6_PKS6_NS0_5tupleIJS9_S6_EEENSD_IJSA_SA_EEENS0_18inequality_wrapperIZN2at6native12_GLOBAL__N_124unique_dim_cuda_templateIbEESt5tupleIJNSH_6TensorESM_SM_EERKSM_lbbbEUlllE0_EEPmJS6_EEE10hipError_tPvRmT3_T4_T5_T6_T7_T9_mT8_P12ihipStream_tbDpT10_ENKUlT_T0_E_clISt17integral_constantIbLb1EES1B_IbLb0EEEEDaS17_S18_EUlS17_E_NS1_11comp_targetILNS1_3genE3ELNS1_11target_archE908ELNS1_3gpuE7ELNS1_3repE0EEENS1_30default_config_static_selectorELNS0_4arch9wavefront6targetE0EEEvT1_.has_dyn_sized_stack, 0
	.set _ZN7rocprim17ROCPRIM_400000_NS6detail17trampoline_kernelINS0_14default_configENS1_25partition_config_selectorILNS1_17partition_subalgoE8ElNS0_10empty_typeEbEEZZNS1_14partition_implILS5_8ELb0ES3_jPlPS6_PKS6_NS0_5tupleIJS9_S6_EEENSD_IJSA_SA_EEENS0_18inequality_wrapperIZN2at6native12_GLOBAL__N_124unique_dim_cuda_templateIbEESt5tupleIJNSH_6TensorESM_SM_EERKSM_lbbbEUlllE0_EEPmJS6_EEE10hipError_tPvRmT3_T4_T5_T6_T7_T9_mT8_P12ihipStream_tbDpT10_ENKUlT_T0_E_clISt17integral_constantIbLb1EES1B_IbLb0EEEEDaS17_S18_EUlS17_E_NS1_11comp_targetILNS1_3genE3ELNS1_11target_archE908ELNS1_3gpuE7ELNS1_3repE0EEENS1_30default_config_static_selectorELNS0_4arch9wavefront6targetE0EEEvT1_.has_recursion, 0
	.set _ZN7rocprim17ROCPRIM_400000_NS6detail17trampoline_kernelINS0_14default_configENS1_25partition_config_selectorILNS1_17partition_subalgoE8ElNS0_10empty_typeEbEEZZNS1_14partition_implILS5_8ELb0ES3_jPlPS6_PKS6_NS0_5tupleIJS9_S6_EEENSD_IJSA_SA_EEENS0_18inequality_wrapperIZN2at6native12_GLOBAL__N_124unique_dim_cuda_templateIbEESt5tupleIJNSH_6TensorESM_SM_EERKSM_lbbbEUlllE0_EEPmJS6_EEE10hipError_tPvRmT3_T4_T5_T6_T7_T9_mT8_P12ihipStream_tbDpT10_ENKUlT_T0_E_clISt17integral_constantIbLb1EES1B_IbLb0EEEEDaS17_S18_EUlS17_E_NS1_11comp_targetILNS1_3genE3ELNS1_11target_archE908ELNS1_3gpuE7ELNS1_3repE0EEENS1_30default_config_static_selectorELNS0_4arch9wavefront6targetE0EEEvT1_.has_indirect_call, 0
	.section	.AMDGPU.csdata,"",@progbits
; Kernel info:
; codeLenInByte = 0
; TotalNumSgprs: 0
; NumVgprs: 0
; ScratchSize: 0
; MemoryBound: 0
; FloatMode: 240
; IeeeMode: 1
; LDSByteSize: 0 bytes/workgroup (compile time only)
; SGPRBlocks: 0
; VGPRBlocks: 0
; NumSGPRsForWavesPerEU: 1
; NumVGPRsForWavesPerEU: 1
; NamedBarCnt: 0
; Occupancy: 16
; WaveLimiterHint : 0
; COMPUTE_PGM_RSRC2:SCRATCH_EN: 0
; COMPUTE_PGM_RSRC2:USER_SGPR: 2
; COMPUTE_PGM_RSRC2:TRAP_HANDLER: 0
; COMPUTE_PGM_RSRC2:TGID_X_EN: 1
; COMPUTE_PGM_RSRC2:TGID_Y_EN: 0
; COMPUTE_PGM_RSRC2:TGID_Z_EN: 0
; COMPUTE_PGM_RSRC2:TIDIG_COMP_CNT: 0
	.section	.text._ZN7rocprim17ROCPRIM_400000_NS6detail17trampoline_kernelINS0_14default_configENS1_25partition_config_selectorILNS1_17partition_subalgoE8ElNS0_10empty_typeEbEEZZNS1_14partition_implILS5_8ELb0ES3_jPlPS6_PKS6_NS0_5tupleIJS9_S6_EEENSD_IJSA_SA_EEENS0_18inequality_wrapperIZN2at6native12_GLOBAL__N_124unique_dim_cuda_templateIbEESt5tupleIJNSH_6TensorESM_SM_EERKSM_lbbbEUlllE0_EEPmJS6_EEE10hipError_tPvRmT3_T4_T5_T6_T7_T9_mT8_P12ihipStream_tbDpT10_ENKUlT_T0_E_clISt17integral_constantIbLb1EES1B_IbLb0EEEEDaS17_S18_EUlS17_E_NS1_11comp_targetILNS1_3genE2ELNS1_11target_archE906ELNS1_3gpuE6ELNS1_3repE0EEENS1_30default_config_static_selectorELNS0_4arch9wavefront6targetE0EEEvT1_,"axG",@progbits,_ZN7rocprim17ROCPRIM_400000_NS6detail17trampoline_kernelINS0_14default_configENS1_25partition_config_selectorILNS1_17partition_subalgoE8ElNS0_10empty_typeEbEEZZNS1_14partition_implILS5_8ELb0ES3_jPlPS6_PKS6_NS0_5tupleIJS9_S6_EEENSD_IJSA_SA_EEENS0_18inequality_wrapperIZN2at6native12_GLOBAL__N_124unique_dim_cuda_templateIbEESt5tupleIJNSH_6TensorESM_SM_EERKSM_lbbbEUlllE0_EEPmJS6_EEE10hipError_tPvRmT3_T4_T5_T6_T7_T9_mT8_P12ihipStream_tbDpT10_ENKUlT_T0_E_clISt17integral_constantIbLb1EES1B_IbLb0EEEEDaS17_S18_EUlS17_E_NS1_11comp_targetILNS1_3genE2ELNS1_11target_archE906ELNS1_3gpuE6ELNS1_3repE0EEENS1_30default_config_static_selectorELNS0_4arch9wavefront6targetE0EEEvT1_,comdat
	.globl	_ZN7rocprim17ROCPRIM_400000_NS6detail17trampoline_kernelINS0_14default_configENS1_25partition_config_selectorILNS1_17partition_subalgoE8ElNS0_10empty_typeEbEEZZNS1_14partition_implILS5_8ELb0ES3_jPlPS6_PKS6_NS0_5tupleIJS9_S6_EEENSD_IJSA_SA_EEENS0_18inequality_wrapperIZN2at6native12_GLOBAL__N_124unique_dim_cuda_templateIbEESt5tupleIJNSH_6TensorESM_SM_EERKSM_lbbbEUlllE0_EEPmJS6_EEE10hipError_tPvRmT3_T4_T5_T6_T7_T9_mT8_P12ihipStream_tbDpT10_ENKUlT_T0_E_clISt17integral_constantIbLb1EES1B_IbLb0EEEEDaS17_S18_EUlS17_E_NS1_11comp_targetILNS1_3genE2ELNS1_11target_archE906ELNS1_3gpuE6ELNS1_3repE0EEENS1_30default_config_static_selectorELNS0_4arch9wavefront6targetE0EEEvT1_ ; -- Begin function _ZN7rocprim17ROCPRIM_400000_NS6detail17trampoline_kernelINS0_14default_configENS1_25partition_config_selectorILNS1_17partition_subalgoE8ElNS0_10empty_typeEbEEZZNS1_14partition_implILS5_8ELb0ES3_jPlPS6_PKS6_NS0_5tupleIJS9_S6_EEENSD_IJSA_SA_EEENS0_18inequality_wrapperIZN2at6native12_GLOBAL__N_124unique_dim_cuda_templateIbEESt5tupleIJNSH_6TensorESM_SM_EERKSM_lbbbEUlllE0_EEPmJS6_EEE10hipError_tPvRmT3_T4_T5_T6_T7_T9_mT8_P12ihipStream_tbDpT10_ENKUlT_T0_E_clISt17integral_constantIbLb1EES1B_IbLb0EEEEDaS17_S18_EUlS17_E_NS1_11comp_targetILNS1_3genE2ELNS1_11target_archE906ELNS1_3gpuE6ELNS1_3repE0EEENS1_30default_config_static_selectorELNS0_4arch9wavefront6targetE0EEEvT1_
	.p2align	8
	.type	_ZN7rocprim17ROCPRIM_400000_NS6detail17trampoline_kernelINS0_14default_configENS1_25partition_config_selectorILNS1_17partition_subalgoE8ElNS0_10empty_typeEbEEZZNS1_14partition_implILS5_8ELb0ES3_jPlPS6_PKS6_NS0_5tupleIJS9_S6_EEENSD_IJSA_SA_EEENS0_18inequality_wrapperIZN2at6native12_GLOBAL__N_124unique_dim_cuda_templateIbEESt5tupleIJNSH_6TensorESM_SM_EERKSM_lbbbEUlllE0_EEPmJS6_EEE10hipError_tPvRmT3_T4_T5_T6_T7_T9_mT8_P12ihipStream_tbDpT10_ENKUlT_T0_E_clISt17integral_constantIbLb1EES1B_IbLb0EEEEDaS17_S18_EUlS17_E_NS1_11comp_targetILNS1_3genE2ELNS1_11target_archE906ELNS1_3gpuE6ELNS1_3repE0EEENS1_30default_config_static_selectorELNS0_4arch9wavefront6targetE0EEEvT1_,@function
_ZN7rocprim17ROCPRIM_400000_NS6detail17trampoline_kernelINS0_14default_configENS1_25partition_config_selectorILNS1_17partition_subalgoE8ElNS0_10empty_typeEbEEZZNS1_14partition_implILS5_8ELb0ES3_jPlPS6_PKS6_NS0_5tupleIJS9_S6_EEENSD_IJSA_SA_EEENS0_18inequality_wrapperIZN2at6native12_GLOBAL__N_124unique_dim_cuda_templateIbEESt5tupleIJNSH_6TensorESM_SM_EERKSM_lbbbEUlllE0_EEPmJS6_EEE10hipError_tPvRmT3_T4_T5_T6_T7_T9_mT8_P12ihipStream_tbDpT10_ENKUlT_T0_E_clISt17integral_constantIbLb1EES1B_IbLb0EEEEDaS17_S18_EUlS17_E_NS1_11comp_targetILNS1_3genE2ELNS1_11target_archE906ELNS1_3gpuE6ELNS1_3repE0EEENS1_30default_config_static_selectorELNS0_4arch9wavefront6targetE0EEEvT1_: ; @_ZN7rocprim17ROCPRIM_400000_NS6detail17trampoline_kernelINS0_14default_configENS1_25partition_config_selectorILNS1_17partition_subalgoE8ElNS0_10empty_typeEbEEZZNS1_14partition_implILS5_8ELb0ES3_jPlPS6_PKS6_NS0_5tupleIJS9_S6_EEENSD_IJSA_SA_EEENS0_18inequality_wrapperIZN2at6native12_GLOBAL__N_124unique_dim_cuda_templateIbEESt5tupleIJNSH_6TensorESM_SM_EERKSM_lbbbEUlllE0_EEPmJS6_EEE10hipError_tPvRmT3_T4_T5_T6_T7_T9_mT8_P12ihipStream_tbDpT10_ENKUlT_T0_E_clISt17integral_constantIbLb1EES1B_IbLb0EEEEDaS17_S18_EUlS17_E_NS1_11comp_targetILNS1_3genE2ELNS1_11target_archE906ELNS1_3gpuE6ELNS1_3repE0EEENS1_30default_config_static_selectorELNS0_4arch9wavefront6targetE0EEEvT1_
; %bb.0:
	.section	.rodata,"a",@progbits
	.p2align	6, 0x0
	.amdhsa_kernel _ZN7rocprim17ROCPRIM_400000_NS6detail17trampoline_kernelINS0_14default_configENS1_25partition_config_selectorILNS1_17partition_subalgoE8ElNS0_10empty_typeEbEEZZNS1_14partition_implILS5_8ELb0ES3_jPlPS6_PKS6_NS0_5tupleIJS9_S6_EEENSD_IJSA_SA_EEENS0_18inequality_wrapperIZN2at6native12_GLOBAL__N_124unique_dim_cuda_templateIbEESt5tupleIJNSH_6TensorESM_SM_EERKSM_lbbbEUlllE0_EEPmJS6_EEE10hipError_tPvRmT3_T4_T5_T6_T7_T9_mT8_P12ihipStream_tbDpT10_ENKUlT_T0_E_clISt17integral_constantIbLb1EES1B_IbLb0EEEEDaS17_S18_EUlS17_E_NS1_11comp_targetILNS1_3genE2ELNS1_11target_archE906ELNS1_3gpuE6ELNS1_3repE0EEENS1_30default_config_static_selectorELNS0_4arch9wavefront6targetE0EEEvT1_
		.amdhsa_group_segment_fixed_size 0
		.amdhsa_private_segment_fixed_size 0
		.amdhsa_kernarg_size 120
		.amdhsa_user_sgpr_count 2
		.amdhsa_user_sgpr_dispatch_ptr 0
		.amdhsa_user_sgpr_queue_ptr 0
		.amdhsa_user_sgpr_kernarg_segment_ptr 1
		.amdhsa_user_sgpr_dispatch_id 0
		.amdhsa_user_sgpr_kernarg_preload_length 0
		.amdhsa_user_sgpr_kernarg_preload_offset 0
		.amdhsa_user_sgpr_private_segment_size 0
		.amdhsa_wavefront_size32 1
		.amdhsa_uses_dynamic_stack 0
		.amdhsa_enable_private_segment 0
		.amdhsa_system_sgpr_workgroup_id_x 1
		.amdhsa_system_sgpr_workgroup_id_y 0
		.amdhsa_system_sgpr_workgroup_id_z 0
		.amdhsa_system_sgpr_workgroup_info 0
		.amdhsa_system_vgpr_workitem_id 0
		.amdhsa_next_free_vgpr 1
		.amdhsa_next_free_sgpr 1
		.amdhsa_named_barrier_count 0
		.amdhsa_reserve_vcc 0
		.amdhsa_float_round_mode_32 0
		.amdhsa_float_round_mode_16_64 0
		.amdhsa_float_denorm_mode_32 3
		.amdhsa_float_denorm_mode_16_64 3
		.amdhsa_fp16_overflow 0
		.amdhsa_memory_ordered 1
		.amdhsa_forward_progress 1
		.amdhsa_inst_pref_size 0
		.amdhsa_round_robin_scheduling 0
		.amdhsa_exception_fp_ieee_invalid_op 0
		.amdhsa_exception_fp_denorm_src 0
		.amdhsa_exception_fp_ieee_div_zero 0
		.amdhsa_exception_fp_ieee_overflow 0
		.amdhsa_exception_fp_ieee_underflow 0
		.amdhsa_exception_fp_ieee_inexact 0
		.amdhsa_exception_int_div_zero 0
	.end_amdhsa_kernel
	.section	.text._ZN7rocprim17ROCPRIM_400000_NS6detail17trampoline_kernelINS0_14default_configENS1_25partition_config_selectorILNS1_17partition_subalgoE8ElNS0_10empty_typeEbEEZZNS1_14partition_implILS5_8ELb0ES3_jPlPS6_PKS6_NS0_5tupleIJS9_S6_EEENSD_IJSA_SA_EEENS0_18inequality_wrapperIZN2at6native12_GLOBAL__N_124unique_dim_cuda_templateIbEESt5tupleIJNSH_6TensorESM_SM_EERKSM_lbbbEUlllE0_EEPmJS6_EEE10hipError_tPvRmT3_T4_T5_T6_T7_T9_mT8_P12ihipStream_tbDpT10_ENKUlT_T0_E_clISt17integral_constantIbLb1EES1B_IbLb0EEEEDaS17_S18_EUlS17_E_NS1_11comp_targetILNS1_3genE2ELNS1_11target_archE906ELNS1_3gpuE6ELNS1_3repE0EEENS1_30default_config_static_selectorELNS0_4arch9wavefront6targetE0EEEvT1_,"axG",@progbits,_ZN7rocprim17ROCPRIM_400000_NS6detail17trampoline_kernelINS0_14default_configENS1_25partition_config_selectorILNS1_17partition_subalgoE8ElNS0_10empty_typeEbEEZZNS1_14partition_implILS5_8ELb0ES3_jPlPS6_PKS6_NS0_5tupleIJS9_S6_EEENSD_IJSA_SA_EEENS0_18inequality_wrapperIZN2at6native12_GLOBAL__N_124unique_dim_cuda_templateIbEESt5tupleIJNSH_6TensorESM_SM_EERKSM_lbbbEUlllE0_EEPmJS6_EEE10hipError_tPvRmT3_T4_T5_T6_T7_T9_mT8_P12ihipStream_tbDpT10_ENKUlT_T0_E_clISt17integral_constantIbLb1EES1B_IbLb0EEEEDaS17_S18_EUlS17_E_NS1_11comp_targetILNS1_3genE2ELNS1_11target_archE906ELNS1_3gpuE6ELNS1_3repE0EEENS1_30default_config_static_selectorELNS0_4arch9wavefront6targetE0EEEvT1_,comdat
.Lfunc_end1071:
	.size	_ZN7rocprim17ROCPRIM_400000_NS6detail17trampoline_kernelINS0_14default_configENS1_25partition_config_selectorILNS1_17partition_subalgoE8ElNS0_10empty_typeEbEEZZNS1_14partition_implILS5_8ELb0ES3_jPlPS6_PKS6_NS0_5tupleIJS9_S6_EEENSD_IJSA_SA_EEENS0_18inequality_wrapperIZN2at6native12_GLOBAL__N_124unique_dim_cuda_templateIbEESt5tupleIJNSH_6TensorESM_SM_EERKSM_lbbbEUlllE0_EEPmJS6_EEE10hipError_tPvRmT3_T4_T5_T6_T7_T9_mT8_P12ihipStream_tbDpT10_ENKUlT_T0_E_clISt17integral_constantIbLb1EES1B_IbLb0EEEEDaS17_S18_EUlS17_E_NS1_11comp_targetILNS1_3genE2ELNS1_11target_archE906ELNS1_3gpuE6ELNS1_3repE0EEENS1_30default_config_static_selectorELNS0_4arch9wavefront6targetE0EEEvT1_, .Lfunc_end1071-_ZN7rocprim17ROCPRIM_400000_NS6detail17trampoline_kernelINS0_14default_configENS1_25partition_config_selectorILNS1_17partition_subalgoE8ElNS0_10empty_typeEbEEZZNS1_14partition_implILS5_8ELb0ES3_jPlPS6_PKS6_NS0_5tupleIJS9_S6_EEENSD_IJSA_SA_EEENS0_18inequality_wrapperIZN2at6native12_GLOBAL__N_124unique_dim_cuda_templateIbEESt5tupleIJNSH_6TensorESM_SM_EERKSM_lbbbEUlllE0_EEPmJS6_EEE10hipError_tPvRmT3_T4_T5_T6_T7_T9_mT8_P12ihipStream_tbDpT10_ENKUlT_T0_E_clISt17integral_constantIbLb1EES1B_IbLb0EEEEDaS17_S18_EUlS17_E_NS1_11comp_targetILNS1_3genE2ELNS1_11target_archE906ELNS1_3gpuE6ELNS1_3repE0EEENS1_30default_config_static_selectorELNS0_4arch9wavefront6targetE0EEEvT1_
                                        ; -- End function
	.set _ZN7rocprim17ROCPRIM_400000_NS6detail17trampoline_kernelINS0_14default_configENS1_25partition_config_selectorILNS1_17partition_subalgoE8ElNS0_10empty_typeEbEEZZNS1_14partition_implILS5_8ELb0ES3_jPlPS6_PKS6_NS0_5tupleIJS9_S6_EEENSD_IJSA_SA_EEENS0_18inequality_wrapperIZN2at6native12_GLOBAL__N_124unique_dim_cuda_templateIbEESt5tupleIJNSH_6TensorESM_SM_EERKSM_lbbbEUlllE0_EEPmJS6_EEE10hipError_tPvRmT3_T4_T5_T6_T7_T9_mT8_P12ihipStream_tbDpT10_ENKUlT_T0_E_clISt17integral_constantIbLb1EES1B_IbLb0EEEEDaS17_S18_EUlS17_E_NS1_11comp_targetILNS1_3genE2ELNS1_11target_archE906ELNS1_3gpuE6ELNS1_3repE0EEENS1_30default_config_static_selectorELNS0_4arch9wavefront6targetE0EEEvT1_.num_vgpr, 0
	.set _ZN7rocprim17ROCPRIM_400000_NS6detail17trampoline_kernelINS0_14default_configENS1_25partition_config_selectorILNS1_17partition_subalgoE8ElNS0_10empty_typeEbEEZZNS1_14partition_implILS5_8ELb0ES3_jPlPS6_PKS6_NS0_5tupleIJS9_S6_EEENSD_IJSA_SA_EEENS0_18inequality_wrapperIZN2at6native12_GLOBAL__N_124unique_dim_cuda_templateIbEESt5tupleIJNSH_6TensorESM_SM_EERKSM_lbbbEUlllE0_EEPmJS6_EEE10hipError_tPvRmT3_T4_T5_T6_T7_T9_mT8_P12ihipStream_tbDpT10_ENKUlT_T0_E_clISt17integral_constantIbLb1EES1B_IbLb0EEEEDaS17_S18_EUlS17_E_NS1_11comp_targetILNS1_3genE2ELNS1_11target_archE906ELNS1_3gpuE6ELNS1_3repE0EEENS1_30default_config_static_selectorELNS0_4arch9wavefront6targetE0EEEvT1_.num_agpr, 0
	.set _ZN7rocprim17ROCPRIM_400000_NS6detail17trampoline_kernelINS0_14default_configENS1_25partition_config_selectorILNS1_17partition_subalgoE8ElNS0_10empty_typeEbEEZZNS1_14partition_implILS5_8ELb0ES3_jPlPS6_PKS6_NS0_5tupleIJS9_S6_EEENSD_IJSA_SA_EEENS0_18inequality_wrapperIZN2at6native12_GLOBAL__N_124unique_dim_cuda_templateIbEESt5tupleIJNSH_6TensorESM_SM_EERKSM_lbbbEUlllE0_EEPmJS6_EEE10hipError_tPvRmT3_T4_T5_T6_T7_T9_mT8_P12ihipStream_tbDpT10_ENKUlT_T0_E_clISt17integral_constantIbLb1EES1B_IbLb0EEEEDaS17_S18_EUlS17_E_NS1_11comp_targetILNS1_3genE2ELNS1_11target_archE906ELNS1_3gpuE6ELNS1_3repE0EEENS1_30default_config_static_selectorELNS0_4arch9wavefront6targetE0EEEvT1_.numbered_sgpr, 0
	.set _ZN7rocprim17ROCPRIM_400000_NS6detail17trampoline_kernelINS0_14default_configENS1_25partition_config_selectorILNS1_17partition_subalgoE8ElNS0_10empty_typeEbEEZZNS1_14partition_implILS5_8ELb0ES3_jPlPS6_PKS6_NS0_5tupleIJS9_S6_EEENSD_IJSA_SA_EEENS0_18inequality_wrapperIZN2at6native12_GLOBAL__N_124unique_dim_cuda_templateIbEESt5tupleIJNSH_6TensorESM_SM_EERKSM_lbbbEUlllE0_EEPmJS6_EEE10hipError_tPvRmT3_T4_T5_T6_T7_T9_mT8_P12ihipStream_tbDpT10_ENKUlT_T0_E_clISt17integral_constantIbLb1EES1B_IbLb0EEEEDaS17_S18_EUlS17_E_NS1_11comp_targetILNS1_3genE2ELNS1_11target_archE906ELNS1_3gpuE6ELNS1_3repE0EEENS1_30default_config_static_selectorELNS0_4arch9wavefront6targetE0EEEvT1_.num_named_barrier, 0
	.set _ZN7rocprim17ROCPRIM_400000_NS6detail17trampoline_kernelINS0_14default_configENS1_25partition_config_selectorILNS1_17partition_subalgoE8ElNS0_10empty_typeEbEEZZNS1_14partition_implILS5_8ELb0ES3_jPlPS6_PKS6_NS0_5tupleIJS9_S6_EEENSD_IJSA_SA_EEENS0_18inequality_wrapperIZN2at6native12_GLOBAL__N_124unique_dim_cuda_templateIbEESt5tupleIJNSH_6TensorESM_SM_EERKSM_lbbbEUlllE0_EEPmJS6_EEE10hipError_tPvRmT3_T4_T5_T6_T7_T9_mT8_P12ihipStream_tbDpT10_ENKUlT_T0_E_clISt17integral_constantIbLb1EES1B_IbLb0EEEEDaS17_S18_EUlS17_E_NS1_11comp_targetILNS1_3genE2ELNS1_11target_archE906ELNS1_3gpuE6ELNS1_3repE0EEENS1_30default_config_static_selectorELNS0_4arch9wavefront6targetE0EEEvT1_.private_seg_size, 0
	.set _ZN7rocprim17ROCPRIM_400000_NS6detail17trampoline_kernelINS0_14default_configENS1_25partition_config_selectorILNS1_17partition_subalgoE8ElNS0_10empty_typeEbEEZZNS1_14partition_implILS5_8ELb0ES3_jPlPS6_PKS6_NS0_5tupleIJS9_S6_EEENSD_IJSA_SA_EEENS0_18inequality_wrapperIZN2at6native12_GLOBAL__N_124unique_dim_cuda_templateIbEESt5tupleIJNSH_6TensorESM_SM_EERKSM_lbbbEUlllE0_EEPmJS6_EEE10hipError_tPvRmT3_T4_T5_T6_T7_T9_mT8_P12ihipStream_tbDpT10_ENKUlT_T0_E_clISt17integral_constantIbLb1EES1B_IbLb0EEEEDaS17_S18_EUlS17_E_NS1_11comp_targetILNS1_3genE2ELNS1_11target_archE906ELNS1_3gpuE6ELNS1_3repE0EEENS1_30default_config_static_selectorELNS0_4arch9wavefront6targetE0EEEvT1_.uses_vcc, 0
	.set _ZN7rocprim17ROCPRIM_400000_NS6detail17trampoline_kernelINS0_14default_configENS1_25partition_config_selectorILNS1_17partition_subalgoE8ElNS0_10empty_typeEbEEZZNS1_14partition_implILS5_8ELb0ES3_jPlPS6_PKS6_NS0_5tupleIJS9_S6_EEENSD_IJSA_SA_EEENS0_18inequality_wrapperIZN2at6native12_GLOBAL__N_124unique_dim_cuda_templateIbEESt5tupleIJNSH_6TensorESM_SM_EERKSM_lbbbEUlllE0_EEPmJS6_EEE10hipError_tPvRmT3_T4_T5_T6_T7_T9_mT8_P12ihipStream_tbDpT10_ENKUlT_T0_E_clISt17integral_constantIbLb1EES1B_IbLb0EEEEDaS17_S18_EUlS17_E_NS1_11comp_targetILNS1_3genE2ELNS1_11target_archE906ELNS1_3gpuE6ELNS1_3repE0EEENS1_30default_config_static_selectorELNS0_4arch9wavefront6targetE0EEEvT1_.uses_flat_scratch, 0
	.set _ZN7rocprim17ROCPRIM_400000_NS6detail17trampoline_kernelINS0_14default_configENS1_25partition_config_selectorILNS1_17partition_subalgoE8ElNS0_10empty_typeEbEEZZNS1_14partition_implILS5_8ELb0ES3_jPlPS6_PKS6_NS0_5tupleIJS9_S6_EEENSD_IJSA_SA_EEENS0_18inequality_wrapperIZN2at6native12_GLOBAL__N_124unique_dim_cuda_templateIbEESt5tupleIJNSH_6TensorESM_SM_EERKSM_lbbbEUlllE0_EEPmJS6_EEE10hipError_tPvRmT3_T4_T5_T6_T7_T9_mT8_P12ihipStream_tbDpT10_ENKUlT_T0_E_clISt17integral_constantIbLb1EES1B_IbLb0EEEEDaS17_S18_EUlS17_E_NS1_11comp_targetILNS1_3genE2ELNS1_11target_archE906ELNS1_3gpuE6ELNS1_3repE0EEENS1_30default_config_static_selectorELNS0_4arch9wavefront6targetE0EEEvT1_.has_dyn_sized_stack, 0
	.set _ZN7rocprim17ROCPRIM_400000_NS6detail17trampoline_kernelINS0_14default_configENS1_25partition_config_selectorILNS1_17partition_subalgoE8ElNS0_10empty_typeEbEEZZNS1_14partition_implILS5_8ELb0ES3_jPlPS6_PKS6_NS0_5tupleIJS9_S6_EEENSD_IJSA_SA_EEENS0_18inequality_wrapperIZN2at6native12_GLOBAL__N_124unique_dim_cuda_templateIbEESt5tupleIJNSH_6TensorESM_SM_EERKSM_lbbbEUlllE0_EEPmJS6_EEE10hipError_tPvRmT3_T4_T5_T6_T7_T9_mT8_P12ihipStream_tbDpT10_ENKUlT_T0_E_clISt17integral_constantIbLb1EES1B_IbLb0EEEEDaS17_S18_EUlS17_E_NS1_11comp_targetILNS1_3genE2ELNS1_11target_archE906ELNS1_3gpuE6ELNS1_3repE0EEENS1_30default_config_static_selectorELNS0_4arch9wavefront6targetE0EEEvT1_.has_recursion, 0
	.set _ZN7rocprim17ROCPRIM_400000_NS6detail17trampoline_kernelINS0_14default_configENS1_25partition_config_selectorILNS1_17partition_subalgoE8ElNS0_10empty_typeEbEEZZNS1_14partition_implILS5_8ELb0ES3_jPlPS6_PKS6_NS0_5tupleIJS9_S6_EEENSD_IJSA_SA_EEENS0_18inequality_wrapperIZN2at6native12_GLOBAL__N_124unique_dim_cuda_templateIbEESt5tupleIJNSH_6TensorESM_SM_EERKSM_lbbbEUlllE0_EEPmJS6_EEE10hipError_tPvRmT3_T4_T5_T6_T7_T9_mT8_P12ihipStream_tbDpT10_ENKUlT_T0_E_clISt17integral_constantIbLb1EES1B_IbLb0EEEEDaS17_S18_EUlS17_E_NS1_11comp_targetILNS1_3genE2ELNS1_11target_archE906ELNS1_3gpuE6ELNS1_3repE0EEENS1_30default_config_static_selectorELNS0_4arch9wavefront6targetE0EEEvT1_.has_indirect_call, 0
	.section	.AMDGPU.csdata,"",@progbits
; Kernel info:
; codeLenInByte = 0
; TotalNumSgprs: 0
; NumVgprs: 0
; ScratchSize: 0
; MemoryBound: 0
; FloatMode: 240
; IeeeMode: 1
; LDSByteSize: 0 bytes/workgroup (compile time only)
; SGPRBlocks: 0
; VGPRBlocks: 0
; NumSGPRsForWavesPerEU: 1
; NumVGPRsForWavesPerEU: 1
; NamedBarCnt: 0
; Occupancy: 16
; WaveLimiterHint : 0
; COMPUTE_PGM_RSRC2:SCRATCH_EN: 0
; COMPUTE_PGM_RSRC2:USER_SGPR: 2
; COMPUTE_PGM_RSRC2:TRAP_HANDLER: 0
; COMPUTE_PGM_RSRC2:TGID_X_EN: 1
; COMPUTE_PGM_RSRC2:TGID_Y_EN: 0
; COMPUTE_PGM_RSRC2:TGID_Z_EN: 0
; COMPUTE_PGM_RSRC2:TIDIG_COMP_CNT: 0
	.section	.text._ZN7rocprim17ROCPRIM_400000_NS6detail17trampoline_kernelINS0_14default_configENS1_25partition_config_selectorILNS1_17partition_subalgoE8ElNS0_10empty_typeEbEEZZNS1_14partition_implILS5_8ELb0ES3_jPlPS6_PKS6_NS0_5tupleIJS9_S6_EEENSD_IJSA_SA_EEENS0_18inequality_wrapperIZN2at6native12_GLOBAL__N_124unique_dim_cuda_templateIbEESt5tupleIJNSH_6TensorESM_SM_EERKSM_lbbbEUlllE0_EEPmJS6_EEE10hipError_tPvRmT3_T4_T5_T6_T7_T9_mT8_P12ihipStream_tbDpT10_ENKUlT_T0_E_clISt17integral_constantIbLb1EES1B_IbLb0EEEEDaS17_S18_EUlS17_E_NS1_11comp_targetILNS1_3genE10ELNS1_11target_archE1200ELNS1_3gpuE4ELNS1_3repE0EEENS1_30default_config_static_selectorELNS0_4arch9wavefront6targetE0EEEvT1_,"axG",@progbits,_ZN7rocprim17ROCPRIM_400000_NS6detail17trampoline_kernelINS0_14default_configENS1_25partition_config_selectorILNS1_17partition_subalgoE8ElNS0_10empty_typeEbEEZZNS1_14partition_implILS5_8ELb0ES3_jPlPS6_PKS6_NS0_5tupleIJS9_S6_EEENSD_IJSA_SA_EEENS0_18inequality_wrapperIZN2at6native12_GLOBAL__N_124unique_dim_cuda_templateIbEESt5tupleIJNSH_6TensorESM_SM_EERKSM_lbbbEUlllE0_EEPmJS6_EEE10hipError_tPvRmT3_T4_T5_T6_T7_T9_mT8_P12ihipStream_tbDpT10_ENKUlT_T0_E_clISt17integral_constantIbLb1EES1B_IbLb0EEEEDaS17_S18_EUlS17_E_NS1_11comp_targetILNS1_3genE10ELNS1_11target_archE1200ELNS1_3gpuE4ELNS1_3repE0EEENS1_30default_config_static_selectorELNS0_4arch9wavefront6targetE0EEEvT1_,comdat
	.globl	_ZN7rocprim17ROCPRIM_400000_NS6detail17trampoline_kernelINS0_14default_configENS1_25partition_config_selectorILNS1_17partition_subalgoE8ElNS0_10empty_typeEbEEZZNS1_14partition_implILS5_8ELb0ES3_jPlPS6_PKS6_NS0_5tupleIJS9_S6_EEENSD_IJSA_SA_EEENS0_18inequality_wrapperIZN2at6native12_GLOBAL__N_124unique_dim_cuda_templateIbEESt5tupleIJNSH_6TensorESM_SM_EERKSM_lbbbEUlllE0_EEPmJS6_EEE10hipError_tPvRmT3_T4_T5_T6_T7_T9_mT8_P12ihipStream_tbDpT10_ENKUlT_T0_E_clISt17integral_constantIbLb1EES1B_IbLb0EEEEDaS17_S18_EUlS17_E_NS1_11comp_targetILNS1_3genE10ELNS1_11target_archE1200ELNS1_3gpuE4ELNS1_3repE0EEENS1_30default_config_static_selectorELNS0_4arch9wavefront6targetE0EEEvT1_ ; -- Begin function _ZN7rocprim17ROCPRIM_400000_NS6detail17trampoline_kernelINS0_14default_configENS1_25partition_config_selectorILNS1_17partition_subalgoE8ElNS0_10empty_typeEbEEZZNS1_14partition_implILS5_8ELb0ES3_jPlPS6_PKS6_NS0_5tupleIJS9_S6_EEENSD_IJSA_SA_EEENS0_18inequality_wrapperIZN2at6native12_GLOBAL__N_124unique_dim_cuda_templateIbEESt5tupleIJNSH_6TensorESM_SM_EERKSM_lbbbEUlllE0_EEPmJS6_EEE10hipError_tPvRmT3_T4_T5_T6_T7_T9_mT8_P12ihipStream_tbDpT10_ENKUlT_T0_E_clISt17integral_constantIbLb1EES1B_IbLb0EEEEDaS17_S18_EUlS17_E_NS1_11comp_targetILNS1_3genE10ELNS1_11target_archE1200ELNS1_3gpuE4ELNS1_3repE0EEENS1_30default_config_static_selectorELNS0_4arch9wavefront6targetE0EEEvT1_
	.p2align	8
	.type	_ZN7rocprim17ROCPRIM_400000_NS6detail17trampoline_kernelINS0_14default_configENS1_25partition_config_selectorILNS1_17partition_subalgoE8ElNS0_10empty_typeEbEEZZNS1_14partition_implILS5_8ELb0ES3_jPlPS6_PKS6_NS0_5tupleIJS9_S6_EEENSD_IJSA_SA_EEENS0_18inequality_wrapperIZN2at6native12_GLOBAL__N_124unique_dim_cuda_templateIbEESt5tupleIJNSH_6TensorESM_SM_EERKSM_lbbbEUlllE0_EEPmJS6_EEE10hipError_tPvRmT3_T4_T5_T6_T7_T9_mT8_P12ihipStream_tbDpT10_ENKUlT_T0_E_clISt17integral_constantIbLb1EES1B_IbLb0EEEEDaS17_S18_EUlS17_E_NS1_11comp_targetILNS1_3genE10ELNS1_11target_archE1200ELNS1_3gpuE4ELNS1_3repE0EEENS1_30default_config_static_selectorELNS0_4arch9wavefront6targetE0EEEvT1_,@function
_ZN7rocprim17ROCPRIM_400000_NS6detail17trampoline_kernelINS0_14default_configENS1_25partition_config_selectorILNS1_17partition_subalgoE8ElNS0_10empty_typeEbEEZZNS1_14partition_implILS5_8ELb0ES3_jPlPS6_PKS6_NS0_5tupleIJS9_S6_EEENSD_IJSA_SA_EEENS0_18inequality_wrapperIZN2at6native12_GLOBAL__N_124unique_dim_cuda_templateIbEESt5tupleIJNSH_6TensorESM_SM_EERKSM_lbbbEUlllE0_EEPmJS6_EEE10hipError_tPvRmT3_T4_T5_T6_T7_T9_mT8_P12ihipStream_tbDpT10_ENKUlT_T0_E_clISt17integral_constantIbLb1EES1B_IbLb0EEEEDaS17_S18_EUlS17_E_NS1_11comp_targetILNS1_3genE10ELNS1_11target_archE1200ELNS1_3gpuE4ELNS1_3repE0EEENS1_30default_config_static_selectorELNS0_4arch9wavefront6targetE0EEEvT1_: ; @_ZN7rocprim17ROCPRIM_400000_NS6detail17trampoline_kernelINS0_14default_configENS1_25partition_config_selectorILNS1_17partition_subalgoE8ElNS0_10empty_typeEbEEZZNS1_14partition_implILS5_8ELb0ES3_jPlPS6_PKS6_NS0_5tupleIJS9_S6_EEENSD_IJSA_SA_EEENS0_18inequality_wrapperIZN2at6native12_GLOBAL__N_124unique_dim_cuda_templateIbEESt5tupleIJNSH_6TensorESM_SM_EERKSM_lbbbEUlllE0_EEPmJS6_EEE10hipError_tPvRmT3_T4_T5_T6_T7_T9_mT8_P12ihipStream_tbDpT10_ENKUlT_T0_E_clISt17integral_constantIbLb1EES1B_IbLb0EEEEDaS17_S18_EUlS17_E_NS1_11comp_targetILNS1_3genE10ELNS1_11target_archE1200ELNS1_3gpuE4ELNS1_3repE0EEENS1_30default_config_static_selectorELNS0_4arch9wavefront6targetE0EEEvT1_
; %bb.0:
	.section	.rodata,"a",@progbits
	.p2align	6, 0x0
	.amdhsa_kernel _ZN7rocprim17ROCPRIM_400000_NS6detail17trampoline_kernelINS0_14default_configENS1_25partition_config_selectorILNS1_17partition_subalgoE8ElNS0_10empty_typeEbEEZZNS1_14partition_implILS5_8ELb0ES3_jPlPS6_PKS6_NS0_5tupleIJS9_S6_EEENSD_IJSA_SA_EEENS0_18inequality_wrapperIZN2at6native12_GLOBAL__N_124unique_dim_cuda_templateIbEESt5tupleIJNSH_6TensorESM_SM_EERKSM_lbbbEUlllE0_EEPmJS6_EEE10hipError_tPvRmT3_T4_T5_T6_T7_T9_mT8_P12ihipStream_tbDpT10_ENKUlT_T0_E_clISt17integral_constantIbLb1EES1B_IbLb0EEEEDaS17_S18_EUlS17_E_NS1_11comp_targetILNS1_3genE10ELNS1_11target_archE1200ELNS1_3gpuE4ELNS1_3repE0EEENS1_30default_config_static_selectorELNS0_4arch9wavefront6targetE0EEEvT1_
		.amdhsa_group_segment_fixed_size 0
		.amdhsa_private_segment_fixed_size 0
		.amdhsa_kernarg_size 120
		.amdhsa_user_sgpr_count 2
		.amdhsa_user_sgpr_dispatch_ptr 0
		.amdhsa_user_sgpr_queue_ptr 0
		.amdhsa_user_sgpr_kernarg_segment_ptr 1
		.amdhsa_user_sgpr_dispatch_id 0
		.amdhsa_user_sgpr_kernarg_preload_length 0
		.amdhsa_user_sgpr_kernarg_preload_offset 0
		.amdhsa_user_sgpr_private_segment_size 0
		.amdhsa_wavefront_size32 1
		.amdhsa_uses_dynamic_stack 0
		.amdhsa_enable_private_segment 0
		.amdhsa_system_sgpr_workgroup_id_x 1
		.amdhsa_system_sgpr_workgroup_id_y 0
		.amdhsa_system_sgpr_workgroup_id_z 0
		.amdhsa_system_sgpr_workgroup_info 0
		.amdhsa_system_vgpr_workitem_id 0
		.amdhsa_next_free_vgpr 1
		.amdhsa_next_free_sgpr 1
		.amdhsa_named_barrier_count 0
		.amdhsa_reserve_vcc 0
		.amdhsa_float_round_mode_32 0
		.amdhsa_float_round_mode_16_64 0
		.amdhsa_float_denorm_mode_32 3
		.amdhsa_float_denorm_mode_16_64 3
		.amdhsa_fp16_overflow 0
		.amdhsa_memory_ordered 1
		.amdhsa_forward_progress 1
		.amdhsa_inst_pref_size 0
		.amdhsa_round_robin_scheduling 0
		.amdhsa_exception_fp_ieee_invalid_op 0
		.amdhsa_exception_fp_denorm_src 0
		.amdhsa_exception_fp_ieee_div_zero 0
		.amdhsa_exception_fp_ieee_overflow 0
		.amdhsa_exception_fp_ieee_underflow 0
		.amdhsa_exception_fp_ieee_inexact 0
		.amdhsa_exception_int_div_zero 0
	.end_amdhsa_kernel
	.section	.text._ZN7rocprim17ROCPRIM_400000_NS6detail17trampoline_kernelINS0_14default_configENS1_25partition_config_selectorILNS1_17partition_subalgoE8ElNS0_10empty_typeEbEEZZNS1_14partition_implILS5_8ELb0ES3_jPlPS6_PKS6_NS0_5tupleIJS9_S6_EEENSD_IJSA_SA_EEENS0_18inequality_wrapperIZN2at6native12_GLOBAL__N_124unique_dim_cuda_templateIbEESt5tupleIJNSH_6TensorESM_SM_EERKSM_lbbbEUlllE0_EEPmJS6_EEE10hipError_tPvRmT3_T4_T5_T6_T7_T9_mT8_P12ihipStream_tbDpT10_ENKUlT_T0_E_clISt17integral_constantIbLb1EES1B_IbLb0EEEEDaS17_S18_EUlS17_E_NS1_11comp_targetILNS1_3genE10ELNS1_11target_archE1200ELNS1_3gpuE4ELNS1_3repE0EEENS1_30default_config_static_selectorELNS0_4arch9wavefront6targetE0EEEvT1_,"axG",@progbits,_ZN7rocprim17ROCPRIM_400000_NS6detail17trampoline_kernelINS0_14default_configENS1_25partition_config_selectorILNS1_17partition_subalgoE8ElNS0_10empty_typeEbEEZZNS1_14partition_implILS5_8ELb0ES3_jPlPS6_PKS6_NS0_5tupleIJS9_S6_EEENSD_IJSA_SA_EEENS0_18inequality_wrapperIZN2at6native12_GLOBAL__N_124unique_dim_cuda_templateIbEESt5tupleIJNSH_6TensorESM_SM_EERKSM_lbbbEUlllE0_EEPmJS6_EEE10hipError_tPvRmT3_T4_T5_T6_T7_T9_mT8_P12ihipStream_tbDpT10_ENKUlT_T0_E_clISt17integral_constantIbLb1EES1B_IbLb0EEEEDaS17_S18_EUlS17_E_NS1_11comp_targetILNS1_3genE10ELNS1_11target_archE1200ELNS1_3gpuE4ELNS1_3repE0EEENS1_30default_config_static_selectorELNS0_4arch9wavefront6targetE0EEEvT1_,comdat
.Lfunc_end1072:
	.size	_ZN7rocprim17ROCPRIM_400000_NS6detail17trampoline_kernelINS0_14default_configENS1_25partition_config_selectorILNS1_17partition_subalgoE8ElNS0_10empty_typeEbEEZZNS1_14partition_implILS5_8ELb0ES3_jPlPS6_PKS6_NS0_5tupleIJS9_S6_EEENSD_IJSA_SA_EEENS0_18inequality_wrapperIZN2at6native12_GLOBAL__N_124unique_dim_cuda_templateIbEESt5tupleIJNSH_6TensorESM_SM_EERKSM_lbbbEUlllE0_EEPmJS6_EEE10hipError_tPvRmT3_T4_T5_T6_T7_T9_mT8_P12ihipStream_tbDpT10_ENKUlT_T0_E_clISt17integral_constantIbLb1EES1B_IbLb0EEEEDaS17_S18_EUlS17_E_NS1_11comp_targetILNS1_3genE10ELNS1_11target_archE1200ELNS1_3gpuE4ELNS1_3repE0EEENS1_30default_config_static_selectorELNS0_4arch9wavefront6targetE0EEEvT1_, .Lfunc_end1072-_ZN7rocprim17ROCPRIM_400000_NS6detail17trampoline_kernelINS0_14default_configENS1_25partition_config_selectorILNS1_17partition_subalgoE8ElNS0_10empty_typeEbEEZZNS1_14partition_implILS5_8ELb0ES3_jPlPS6_PKS6_NS0_5tupleIJS9_S6_EEENSD_IJSA_SA_EEENS0_18inequality_wrapperIZN2at6native12_GLOBAL__N_124unique_dim_cuda_templateIbEESt5tupleIJNSH_6TensorESM_SM_EERKSM_lbbbEUlllE0_EEPmJS6_EEE10hipError_tPvRmT3_T4_T5_T6_T7_T9_mT8_P12ihipStream_tbDpT10_ENKUlT_T0_E_clISt17integral_constantIbLb1EES1B_IbLb0EEEEDaS17_S18_EUlS17_E_NS1_11comp_targetILNS1_3genE10ELNS1_11target_archE1200ELNS1_3gpuE4ELNS1_3repE0EEENS1_30default_config_static_selectorELNS0_4arch9wavefront6targetE0EEEvT1_
                                        ; -- End function
	.set _ZN7rocprim17ROCPRIM_400000_NS6detail17trampoline_kernelINS0_14default_configENS1_25partition_config_selectorILNS1_17partition_subalgoE8ElNS0_10empty_typeEbEEZZNS1_14partition_implILS5_8ELb0ES3_jPlPS6_PKS6_NS0_5tupleIJS9_S6_EEENSD_IJSA_SA_EEENS0_18inequality_wrapperIZN2at6native12_GLOBAL__N_124unique_dim_cuda_templateIbEESt5tupleIJNSH_6TensorESM_SM_EERKSM_lbbbEUlllE0_EEPmJS6_EEE10hipError_tPvRmT3_T4_T5_T6_T7_T9_mT8_P12ihipStream_tbDpT10_ENKUlT_T0_E_clISt17integral_constantIbLb1EES1B_IbLb0EEEEDaS17_S18_EUlS17_E_NS1_11comp_targetILNS1_3genE10ELNS1_11target_archE1200ELNS1_3gpuE4ELNS1_3repE0EEENS1_30default_config_static_selectorELNS0_4arch9wavefront6targetE0EEEvT1_.num_vgpr, 0
	.set _ZN7rocprim17ROCPRIM_400000_NS6detail17trampoline_kernelINS0_14default_configENS1_25partition_config_selectorILNS1_17partition_subalgoE8ElNS0_10empty_typeEbEEZZNS1_14partition_implILS5_8ELb0ES3_jPlPS6_PKS6_NS0_5tupleIJS9_S6_EEENSD_IJSA_SA_EEENS0_18inequality_wrapperIZN2at6native12_GLOBAL__N_124unique_dim_cuda_templateIbEESt5tupleIJNSH_6TensorESM_SM_EERKSM_lbbbEUlllE0_EEPmJS6_EEE10hipError_tPvRmT3_T4_T5_T6_T7_T9_mT8_P12ihipStream_tbDpT10_ENKUlT_T0_E_clISt17integral_constantIbLb1EES1B_IbLb0EEEEDaS17_S18_EUlS17_E_NS1_11comp_targetILNS1_3genE10ELNS1_11target_archE1200ELNS1_3gpuE4ELNS1_3repE0EEENS1_30default_config_static_selectorELNS0_4arch9wavefront6targetE0EEEvT1_.num_agpr, 0
	.set _ZN7rocprim17ROCPRIM_400000_NS6detail17trampoline_kernelINS0_14default_configENS1_25partition_config_selectorILNS1_17partition_subalgoE8ElNS0_10empty_typeEbEEZZNS1_14partition_implILS5_8ELb0ES3_jPlPS6_PKS6_NS0_5tupleIJS9_S6_EEENSD_IJSA_SA_EEENS0_18inequality_wrapperIZN2at6native12_GLOBAL__N_124unique_dim_cuda_templateIbEESt5tupleIJNSH_6TensorESM_SM_EERKSM_lbbbEUlllE0_EEPmJS6_EEE10hipError_tPvRmT3_T4_T5_T6_T7_T9_mT8_P12ihipStream_tbDpT10_ENKUlT_T0_E_clISt17integral_constantIbLb1EES1B_IbLb0EEEEDaS17_S18_EUlS17_E_NS1_11comp_targetILNS1_3genE10ELNS1_11target_archE1200ELNS1_3gpuE4ELNS1_3repE0EEENS1_30default_config_static_selectorELNS0_4arch9wavefront6targetE0EEEvT1_.numbered_sgpr, 0
	.set _ZN7rocprim17ROCPRIM_400000_NS6detail17trampoline_kernelINS0_14default_configENS1_25partition_config_selectorILNS1_17partition_subalgoE8ElNS0_10empty_typeEbEEZZNS1_14partition_implILS5_8ELb0ES3_jPlPS6_PKS6_NS0_5tupleIJS9_S6_EEENSD_IJSA_SA_EEENS0_18inequality_wrapperIZN2at6native12_GLOBAL__N_124unique_dim_cuda_templateIbEESt5tupleIJNSH_6TensorESM_SM_EERKSM_lbbbEUlllE0_EEPmJS6_EEE10hipError_tPvRmT3_T4_T5_T6_T7_T9_mT8_P12ihipStream_tbDpT10_ENKUlT_T0_E_clISt17integral_constantIbLb1EES1B_IbLb0EEEEDaS17_S18_EUlS17_E_NS1_11comp_targetILNS1_3genE10ELNS1_11target_archE1200ELNS1_3gpuE4ELNS1_3repE0EEENS1_30default_config_static_selectorELNS0_4arch9wavefront6targetE0EEEvT1_.num_named_barrier, 0
	.set _ZN7rocprim17ROCPRIM_400000_NS6detail17trampoline_kernelINS0_14default_configENS1_25partition_config_selectorILNS1_17partition_subalgoE8ElNS0_10empty_typeEbEEZZNS1_14partition_implILS5_8ELb0ES3_jPlPS6_PKS6_NS0_5tupleIJS9_S6_EEENSD_IJSA_SA_EEENS0_18inequality_wrapperIZN2at6native12_GLOBAL__N_124unique_dim_cuda_templateIbEESt5tupleIJNSH_6TensorESM_SM_EERKSM_lbbbEUlllE0_EEPmJS6_EEE10hipError_tPvRmT3_T4_T5_T6_T7_T9_mT8_P12ihipStream_tbDpT10_ENKUlT_T0_E_clISt17integral_constantIbLb1EES1B_IbLb0EEEEDaS17_S18_EUlS17_E_NS1_11comp_targetILNS1_3genE10ELNS1_11target_archE1200ELNS1_3gpuE4ELNS1_3repE0EEENS1_30default_config_static_selectorELNS0_4arch9wavefront6targetE0EEEvT1_.private_seg_size, 0
	.set _ZN7rocprim17ROCPRIM_400000_NS6detail17trampoline_kernelINS0_14default_configENS1_25partition_config_selectorILNS1_17partition_subalgoE8ElNS0_10empty_typeEbEEZZNS1_14partition_implILS5_8ELb0ES3_jPlPS6_PKS6_NS0_5tupleIJS9_S6_EEENSD_IJSA_SA_EEENS0_18inequality_wrapperIZN2at6native12_GLOBAL__N_124unique_dim_cuda_templateIbEESt5tupleIJNSH_6TensorESM_SM_EERKSM_lbbbEUlllE0_EEPmJS6_EEE10hipError_tPvRmT3_T4_T5_T6_T7_T9_mT8_P12ihipStream_tbDpT10_ENKUlT_T0_E_clISt17integral_constantIbLb1EES1B_IbLb0EEEEDaS17_S18_EUlS17_E_NS1_11comp_targetILNS1_3genE10ELNS1_11target_archE1200ELNS1_3gpuE4ELNS1_3repE0EEENS1_30default_config_static_selectorELNS0_4arch9wavefront6targetE0EEEvT1_.uses_vcc, 0
	.set _ZN7rocprim17ROCPRIM_400000_NS6detail17trampoline_kernelINS0_14default_configENS1_25partition_config_selectorILNS1_17partition_subalgoE8ElNS0_10empty_typeEbEEZZNS1_14partition_implILS5_8ELb0ES3_jPlPS6_PKS6_NS0_5tupleIJS9_S6_EEENSD_IJSA_SA_EEENS0_18inequality_wrapperIZN2at6native12_GLOBAL__N_124unique_dim_cuda_templateIbEESt5tupleIJNSH_6TensorESM_SM_EERKSM_lbbbEUlllE0_EEPmJS6_EEE10hipError_tPvRmT3_T4_T5_T6_T7_T9_mT8_P12ihipStream_tbDpT10_ENKUlT_T0_E_clISt17integral_constantIbLb1EES1B_IbLb0EEEEDaS17_S18_EUlS17_E_NS1_11comp_targetILNS1_3genE10ELNS1_11target_archE1200ELNS1_3gpuE4ELNS1_3repE0EEENS1_30default_config_static_selectorELNS0_4arch9wavefront6targetE0EEEvT1_.uses_flat_scratch, 0
	.set _ZN7rocprim17ROCPRIM_400000_NS6detail17trampoline_kernelINS0_14default_configENS1_25partition_config_selectorILNS1_17partition_subalgoE8ElNS0_10empty_typeEbEEZZNS1_14partition_implILS5_8ELb0ES3_jPlPS6_PKS6_NS0_5tupleIJS9_S6_EEENSD_IJSA_SA_EEENS0_18inequality_wrapperIZN2at6native12_GLOBAL__N_124unique_dim_cuda_templateIbEESt5tupleIJNSH_6TensorESM_SM_EERKSM_lbbbEUlllE0_EEPmJS6_EEE10hipError_tPvRmT3_T4_T5_T6_T7_T9_mT8_P12ihipStream_tbDpT10_ENKUlT_T0_E_clISt17integral_constantIbLb1EES1B_IbLb0EEEEDaS17_S18_EUlS17_E_NS1_11comp_targetILNS1_3genE10ELNS1_11target_archE1200ELNS1_3gpuE4ELNS1_3repE0EEENS1_30default_config_static_selectorELNS0_4arch9wavefront6targetE0EEEvT1_.has_dyn_sized_stack, 0
	.set _ZN7rocprim17ROCPRIM_400000_NS6detail17trampoline_kernelINS0_14default_configENS1_25partition_config_selectorILNS1_17partition_subalgoE8ElNS0_10empty_typeEbEEZZNS1_14partition_implILS5_8ELb0ES3_jPlPS6_PKS6_NS0_5tupleIJS9_S6_EEENSD_IJSA_SA_EEENS0_18inequality_wrapperIZN2at6native12_GLOBAL__N_124unique_dim_cuda_templateIbEESt5tupleIJNSH_6TensorESM_SM_EERKSM_lbbbEUlllE0_EEPmJS6_EEE10hipError_tPvRmT3_T4_T5_T6_T7_T9_mT8_P12ihipStream_tbDpT10_ENKUlT_T0_E_clISt17integral_constantIbLb1EES1B_IbLb0EEEEDaS17_S18_EUlS17_E_NS1_11comp_targetILNS1_3genE10ELNS1_11target_archE1200ELNS1_3gpuE4ELNS1_3repE0EEENS1_30default_config_static_selectorELNS0_4arch9wavefront6targetE0EEEvT1_.has_recursion, 0
	.set _ZN7rocprim17ROCPRIM_400000_NS6detail17trampoline_kernelINS0_14default_configENS1_25partition_config_selectorILNS1_17partition_subalgoE8ElNS0_10empty_typeEbEEZZNS1_14partition_implILS5_8ELb0ES3_jPlPS6_PKS6_NS0_5tupleIJS9_S6_EEENSD_IJSA_SA_EEENS0_18inequality_wrapperIZN2at6native12_GLOBAL__N_124unique_dim_cuda_templateIbEESt5tupleIJNSH_6TensorESM_SM_EERKSM_lbbbEUlllE0_EEPmJS6_EEE10hipError_tPvRmT3_T4_T5_T6_T7_T9_mT8_P12ihipStream_tbDpT10_ENKUlT_T0_E_clISt17integral_constantIbLb1EES1B_IbLb0EEEEDaS17_S18_EUlS17_E_NS1_11comp_targetILNS1_3genE10ELNS1_11target_archE1200ELNS1_3gpuE4ELNS1_3repE0EEENS1_30default_config_static_selectorELNS0_4arch9wavefront6targetE0EEEvT1_.has_indirect_call, 0
	.section	.AMDGPU.csdata,"",@progbits
; Kernel info:
; codeLenInByte = 0
; TotalNumSgprs: 0
; NumVgprs: 0
; ScratchSize: 0
; MemoryBound: 0
; FloatMode: 240
; IeeeMode: 1
; LDSByteSize: 0 bytes/workgroup (compile time only)
; SGPRBlocks: 0
; VGPRBlocks: 0
; NumSGPRsForWavesPerEU: 1
; NumVGPRsForWavesPerEU: 1
; NamedBarCnt: 0
; Occupancy: 16
; WaveLimiterHint : 0
; COMPUTE_PGM_RSRC2:SCRATCH_EN: 0
; COMPUTE_PGM_RSRC2:USER_SGPR: 2
; COMPUTE_PGM_RSRC2:TRAP_HANDLER: 0
; COMPUTE_PGM_RSRC2:TGID_X_EN: 1
; COMPUTE_PGM_RSRC2:TGID_Y_EN: 0
; COMPUTE_PGM_RSRC2:TGID_Z_EN: 0
; COMPUTE_PGM_RSRC2:TIDIG_COMP_CNT: 0
	.section	.text._ZN7rocprim17ROCPRIM_400000_NS6detail17trampoline_kernelINS0_14default_configENS1_25partition_config_selectorILNS1_17partition_subalgoE8ElNS0_10empty_typeEbEEZZNS1_14partition_implILS5_8ELb0ES3_jPlPS6_PKS6_NS0_5tupleIJS9_S6_EEENSD_IJSA_SA_EEENS0_18inequality_wrapperIZN2at6native12_GLOBAL__N_124unique_dim_cuda_templateIbEESt5tupleIJNSH_6TensorESM_SM_EERKSM_lbbbEUlllE0_EEPmJS6_EEE10hipError_tPvRmT3_T4_T5_T6_T7_T9_mT8_P12ihipStream_tbDpT10_ENKUlT_T0_E_clISt17integral_constantIbLb1EES1B_IbLb0EEEEDaS17_S18_EUlS17_E_NS1_11comp_targetILNS1_3genE9ELNS1_11target_archE1100ELNS1_3gpuE3ELNS1_3repE0EEENS1_30default_config_static_selectorELNS0_4arch9wavefront6targetE0EEEvT1_,"axG",@progbits,_ZN7rocprim17ROCPRIM_400000_NS6detail17trampoline_kernelINS0_14default_configENS1_25partition_config_selectorILNS1_17partition_subalgoE8ElNS0_10empty_typeEbEEZZNS1_14partition_implILS5_8ELb0ES3_jPlPS6_PKS6_NS0_5tupleIJS9_S6_EEENSD_IJSA_SA_EEENS0_18inequality_wrapperIZN2at6native12_GLOBAL__N_124unique_dim_cuda_templateIbEESt5tupleIJNSH_6TensorESM_SM_EERKSM_lbbbEUlllE0_EEPmJS6_EEE10hipError_tPvRmT3_T4_T5_T6_T7_T9_mT8_P12ihipStream_tbDpT10_ENKUlT_T0_E_clISt17integral_constantIbLb1EES1B_IbLb0EEEEDaS17_S18_EUlS17_E_NS1_11comp_targetILNS1_3genE9ELNS1_11target_archE1100ELNS1_3gpuE3ELNS1_3repE0EEENS1_30default_config_static_selectorELNS0_4arch9wavefront6targetE0EEEvT1_,comdat
	.globl	_ZN7rocprim17ROCPRIM_400000_NS6detail17trampoline_kernelINS0_14default_configENS1_25partition_config_selectorILNS1_17partition_subalgoE8ElNS0_10empty_typeEbEEZZNS1_14partition_implILS5_8ELb0ES3_jPlPS6_PKS6_NS0_5tupleIJS9_S6_EEENSD_IJSA_SA_EEENS0_18inequality_wrapperIZN2at6native12_GLOBAL__N_124unique_dim_cuda_templateIbEESt5tupleIJNSH_6TensorESM_SM_EERKSM_lbbbEUlllE0_EEPmJS6_EEE10hipError_tPvRmT3_T4_T5_T6_T7_T9_mT8_P12ihipStream_tbDpT10_ENKUlT_T0_E_clISt17integral_constantIbLb1EES1B_IbLb0EEEEDaS17_S18_EUlS17_E_NS1_11comp_targetILNS1_3genE9ELNS1_11target_archE1100ELNS1_3gpuE3ELNS1_3repE0EEENS1_30default_config_static_selectorELNS0_4arch9wavefront6targetE0EEEvT1_ ; -- Begin function _ZN7rocprim17ROCPRIM_400000_NS6detail17trampoline_kernelINS0_14default_configENS1_25partition_config_selectorILNS1_17partition_subalgoE8ElNS0_10empty_typeEbEEZZNS1_14partition_implILS5_8ELb0ES3_jPlPS6_PKS6_NS0_5tupleIJS9_S6_EEENSD_IJSA_SA_EEENS0_18inequality_wrapperIZN2at6native12_GLOBAL__N_124unique_dim_cuda_templateIbEESt5tupleIJNSH_6TensorESM_SM_EERKSM_lbbbEUlllE0_EEPmJS6_EEE10hipError_tPvRmT3_T4_T5_T6_T7_T9_mT8_P12ihipStream_tbDpT10_ENKUlT_T0_E_clISt17integral_constantIbLb1EES1B_IbLb0EEEEDaS17_S18_EUlS17_E_NS1_11comp_targetILNS1_3genE9ELNS1_11target_archE1100ELNS1_3gpuE3ELNS1_3repE0EEENS1_30default_config_static_selectorELNS0_4arch9wavefront6targetE0EEEvT1_
	.p2align	8
	.type	_ZN7rocprim17ROCPRIM_400000_NS6detail17trampoline_kernelINS0_14default_configENS1_25partition_config_selectorILNS1_17partition_subalgoE8ElNS0_10empty_typeEbEEZZNS1_14partition_implILS5_8ELb0ES3_jPlPS6_PKS6_NS0_5tupleIJS9_S6_EEENSD_IJSA_SA_EEENS0_18inequality_wrapperIZN2at6native12_GLOBAL__N_124unique_dim_cuda_templateIbEESt5tupleIJNSH_6TensorESM_SM_EERKSM_lbbbEUlllE0_EEPmJS6_EEE10hipError_tPvRmT3_T4_T5_T6_T7_T9_mT8_P12ihipStream_tbDpT10_ENKUlT_T0_E_clISt17integral_constantIbLb1EES1B_IbLb0EEEEDaS17_S18_EUlS17_E_NS1_11comp_targetILNS1_3genE9ELNS1_11target_archE1100ELNS1_3gpuE3ELNS1_3repE0EEENS1_30default_config_static_selectorELNS0_4arch9wavefront6targetE0EEEvT1_,@function
_ZN7rocprim17ROCPRIM_400000_NS6detail17trampoline_kernelINS0_14default_configENS1_25partition_config_selectorILNS1_17partition_subalgoE8ElNS0_10empty_typeEbEEZZNS1_14partition_implILS5_8ELb0ES3_jPlPS6_PKS6_NS0_5tupleIJS9_S6_EEENSD_IJSA_SA_EEENS0_18inequality_wrapperIZN2at6native12_GLOBAL__N_124unique_dim_cuda_templateIbEESt5tupleIJNSH_6TensorESM_SM_EERKSM_lbbbEUlllE0_EEPmJS6_EEE10hipError_tPvRmT3_T4_T5_T6_T7_T9_mT8_P12ihipStream_tbDpT10_ENKUlT_T0_E_clISt17integral_constantIbLb1EES1B_IbLb0EEEEDaS17_S18_EUlS17_E_NS1_11comp_targetILNS1_3genE9ELNS1_11target_archE1100ELNS1_3gpuE3ELNS1_3repE0EEENS1_30default_config_static_selectorELNS0_4arch9wavefront6targetE0EEEvT1_: ; @_ZN7rocprim17ROCPRIM_400000_NS6detail17trampoline_kernelINS0_14default_configENS1_25partition_config_selectorILNS1_17partition_subalgoE8ElNS0_10empty_typeEbEEZZNS1_14partition_implILS5_8ELb0ES3_jPlPS6_PKS6_NS0_5tupleIJS9_S6_EEENSD_IJSA_SA_EEENS0_18inequality_wrapperIZN2at6native12_GLOBAL__N_124unique_dim_cuda_templateIbEESt5tupleIJNSH_6TensorESM_SM_EERKSM_lbbbEUlllE0_EEPmJS6_EEE10hipError_tPvRmT3_T4_T5_T6_T7_T9_mT8_P12ihipStream_tbDpT10_ENKUlT_T0_E_clISt17integral_constantIbLb1EES1B_IbLb0EEEEDaS17_S18_EUlS17_E_NS1_11comp_targetILNS1_3genE9ELNS1_11target_archE1100ELNS1_3gpuE3ELNS1_3repE0EEENS1_30default_config_static_selectorELNS0_4arch9wavefront6targetE0EEEvT1_
; %bb.0:
	.section	.rodata,"a",@progbits
	.p2align	6, 0x0
	.amdhsa_kernel _ZN7rocprim17ROCPRIM_400000_NS6detail17trampoline_kernelINS0_14default_configENS1_25partition_config_selectorILNS1_17partition_subalgoE8ElNS0_10empty_typeEbEEZZNS1_14partition_implILS5_8ELb0ES3_jPlPS6_PKS6_NS0_5tupleIJS9_S6_EEENSD_IJSA_SA_EEENS0_18inequality_wrapperIZN2at6native12_GLOBAL__N_124unique_dim_cuda_templateIbEESt5tupleIJNSH_6TensorESM_SM_EERKSM_lbbbEUlllE0_EEPmJS6_EEE10hipError_tPvRmT3_T4_T5_T6_T7_T9_mT8_P12ihipStream_tbDpT10_ENKUlT_T0_E_clISt17integral_constantIbLb1EES1B_IbLb0EEEEDaS17_S18_EUlS17_E_NS1_11comp_targetILNS1_3genE9ELNS1_11target_archE1100ELNS1_3gpuE3ELNS1_3repE0EEENS1_30default_config_static_selectorELNS0_4arch9wavefront6targetE0EEEvT1_
		.amdhsa_group_segment_fixed_size 0
		.amdhsa_private_segment_fixed_size 0
		.amdhsa_kernarg_size 120
		.amdhsa_user_sgpr_count 2
		.amdhsa_user_sgpr_dispatch_ptr 0
		.amdhsa_user_sgpr_queue_ptr 0
		.amdhsa_user_sgpr_kernarg_segment_ptr 1
		.amdhsa_user_sgpr_dispatch_id 0
		.amdhsa_user_sgpr_kernarg_preload_length 0
		.amdhsa_user_sgpr_kernarg_preload_offset 0
		.amdhsa_user_sgpr_private_segment_size 0
		.amdhsa_wavefront_size32 1
		.amdhsa_uses_dynamic_stack 0
		.amdhsa_enable_private_segment 0
		.amdhsa_system_sgpr_workgroup_id_x 1
		.amdhsa_system_sgpr_workgroup_id_y 0
		.amdhsa_system_sgpr_workgroup_id_z 0
		.amdhsa_system_sgpr_workgroup_info 0
		.amdhsa_system_vgpr_workitem_id 0
		.amdhsa_next_free_vgpr 1
		.amdhsa_next_free_sgpr 1
		.amdhsa_named_barrier_count 0
		.amdhsa_reserve_vcc 0
		.amdhsa_float_round_mode_32 0
		.amdhsa_float_round_mode_16_64 0
		.amdhsa_float_denorm_mode_32 3
		.amdhsa_float_denorm_mode_16_64 3
		.amdhsa_fp16_overflow 0
		.amdhsa_memory_ordered 1
		.amdhsa_forward_progress 1
		.amdhsa_inst_pref_size 0
		.amdhsa_round_robin_scheduling 0
		.amdhsa_exception_fp_ieee_invalid_op 0
		.amdhsa_exception_fp_denorm_src 0
		.amdhsa_exception_fp_ieee_div_zero 0
		.amdhsa_exception_fp_ieee_overflow 0
		.amdhsa_exception_fp_ieee_underflow 0
		.amdhsa_exception_fp_ieee_inexact 0
		.amdhsa_exception_int_div_zero 0
	.end_amdhsa_kernel
	.section	.text._ZN7rocprim17ROCPRIM_400000_NS6detail17trampoline_kernelINS0_14default_configENS1_25partition_config_selectorILNS1_17partition_subalgoE8ElNS0_10empty_typeEbEEZZNS1_14partition_implILS5_8ELb0ES3_jPlPS6_PKS6_NS0_5tupleIJS9_S6_EEENSD_IJSA_SA_EEENS0_18inequality_wrapperIZN2at6native12_GLOBAL__N_124unique_dim_cuda_templateIbEESt5tupleIJNSH_6TensorESM_SM_EERKSM_lbbbEUlllE0_EEPmJS6_EEE10hipError_tPvRmT3_T4_T5_T6_T7_T9_mT8_P12ihipStream_tbDpT10_ENKUlT_T0_E_clISt17integral_constantIbLb1EES1B_IbLb0EEEEDaS17_S18_EUlS17_E_NS1_11comp_targetILNS1_3genE9ELNS1_11target_archE1100ELNS1_3gpuE3ELNS1_3repE0EEENS1_30default_config_static_selectorELNS0_4arch9wavefront6targetE0EEEvT1_,"axG",@progbits,_ZN7rocprim17ROCPRIM_400000_NS6detail17trampoline_kernelINS0_14default_configENS1_25partition_config_selectorILNS1_17partition_subalgoE8ElNS0_10empty_typeEbEEZZNS1_14partition_implILS5_8ELb0ES3_jPlPS6_PKS6_NS0_5tupleIJS9_S6_EEENSD_IJSA_SA_EEENS0_18inequality_wrapperIZN2at6native12_GLOBAL__N_124unique_dim_cuda_templateIbEESt5tupleIJNSH_6TensorESM_SM_EERKSM_lbbbEUlllE0_EEPmJS6_EEE10hipError_tPvRmT3_T4_T5_T6_T7_T9_mT8_P12ihipStream_tbDpT10_ENKUlT_T0_E_clISt17integral_constantIbLb1EES1B_IbLb0EEEEDaS17_S18_EUlS17_E_NS1_11comp_targetILNS1_3genE9ELNS1_11target_archE1100ELNS1_3gpuE3ELNS1_3repE0EEENS1_30default_config_static_selectorELNS0_4arch9wavefront6targetE0EEEvT1_,comdat
.Lfunc_end1073:
	.size	_ZN7rocprim17ROCPRIM_400000_NS6detail17trampoline_kernelINS0_14default_configENS1_25partition_config_selectorILNS1_17partition_subalgoE8ElNS0_10empty_typeEbEEZZNS1_14partition_implILS5_8ELb0ES3_jPlPS6_PKS6_NS0_5tupleIJS9_S6_EEENSD_IJSA_SA_EEENS0_18inequality_wrapperIZN2at6native12_GLOBAL__N_124unique_dim_cuda_templateIbEESt5tupleIJNSH_6TensorESM_SM_EERKSM_lbbbEUlllE0_EEPmJS6_EEE10hipError_tPvRmT3_T4_T5_T6_T7_T9_mT8_P12ihipStream_tbDpT10_ENKUlT_T0_E_clISt17integral_constantIbLb1EES1B_IbLb0EEEEDaS17_S18_EUlS17_E_NS1_11comp_targetILNS1_3genE9ELNS1_11target_archE1100ELNS1_3gpuE3ELNS1_3repE0EEENS1_30default_config_static_selectorELNS0_4arch9wavefront6targetE0EEEvT1_, .Lfunc_end1073-_ZN7rocprim17ROCPRIM_400000_NS6detail17trampoline_kernelINS0_14default_configENS1_25partition_config_selectorILNS1_17partition_subalgoE8ElNS0_10empty_typeEbEEZZNS1_14partition_implILS5_8ELb0ES3_jPlPS6_PKS6_NS0_5tupleIJS9_S6_EEENSD_IJSA_SA_EEENS0_18inequality_wrapperIZN2at6native12_GLOBAL__N_124unique_dim_cuda_templateIbEESt5tupleIJNSH_6TensorESM_SM_EERKSM_lbbbEUlllE0_EEPmJS6_EEE10hipError_tPvRmT3_T4_T5_T6_T7_T9_mT8_P12ihipStream_tbDpT10_ENKUlT_T0_E_clISt17integral_constantIbLb1EES1B_IbLb0EEEEDaS17_S18_EUlS17_E_NS1_11comp_targetILNS1_3genE9ELNS1_11target_archE1100ELNS1_3gpuE3ELNS1_3repE0EEENS1_30default_config_static_selectorELNS0_4arch9wavefront6targetE0EEEvT1_
                                        ; -- End function
	.set _ZN7rocprim17ROCPRIM_400000_NS6detail17trampoline_kernelINS0_14default_configENS1_25partition_config_selectorILNS1_17partition_subalgoE8ElNS0_10empty_typeEbEEZZNS1_14partition_implILS5_8ELb0ES3_jPlPS6_PKS6_NS0_5tupleIJS9_S6_EEENSD_IJSA_SA_EEENS0_18inequality_wrapperIZN2at6native12_GLOBAL__N_124unique_dim_cuda_templateIbEESt5tupleIJNSH_6TensorESM_SM_EERKSM_lbbbEUlllE0_EEPmJS6_EEE10hipError_tPvRmT3_T4_T5_T6_T7_T9_mT8_P12ihipStream_tbDpT10_ENKUlT_T0_E_clISt17integral_constantIbLb1EES1B_IbLb0EEEEDaS17_S18_EUlS17_E_NS1_11comp_targetILNS1_3genE9ELNS1_11target_archE1100ELNS1_3gpuE3ELNS1_3repE0EEENS1_30default_config_static_selectorELNS0_4arch9wavefront6targetE0EEEvT1_.num_vgpr, 0
	.set _ZN7rocprim17ROCPRIM_400000_NS6detail17trampoline_kernelINS0_14default_configENS1_25partition_config_selectorILNS1_17partition_subalgoE8ElNS0_10empty_typeEbEEZZNS1_14partition_implILS5_8ELb0ES3_jPlPS6_PKS6_NS0_5tupleIJS9_S6_EEENSD_IJSA_SA_EEENS0_18inequality_wrapperIZN2at6native12_GLOBAL__N_124unique_dim_cuda_templateIbEESt5tupleIJNSH_6TensorESM_SM_EERKSM_lbbbEUlllE0_EEPmJS6_EEE10hipError_tPvRmT3_T4_T5_T6_T7_T9_mT8_P12ihipStream_tbDpT10_ENKUlT_T0_E_clISt17integral_constantIbLb1EES1B_IbLb0EEEEDaS17_S18_EUlS17_E_NS1_11comp_targetILNS1_3genE9ELNS1_11target_archE1100ELNS1_3gpuE3ELNS1_3repE0EEENS1_30default_config_static_selectorELNS0_4arch9wavefront6targetE0EEEvT1_.num_agpr, 0
	.set _ZN7rocprim17ROCPRIM_400000_NS6detail17trampoline_kernelINS0_14default_configENS1_25partition_config_selectorILNS1_17partition_subalgoE8ElNS0_10empty_typeEbEEZZNS1_14partition_implILS5_8ELb0ES3_jPlPS6_PKS6_NS0_5tupleIJS9_S6_EEENSD_IJSA_SA_EEENS0_18inequality_wrapperIZN2at6native12_GLOBAL__N_124unique_dim_cuda_templateIbEESt5tupleIJNSH_6TensorESM_SM_EERKSM_lbbbEUlllE0_EEPmJS6_EEE10hipError_tPvRmT3_T4_T5_T6_T7_T9_mT8_P12ihipStream_tbDpT10_ENKUlT_T0_E_clISt17integral_constantIbLb1EES1B_IbLb0EEEEDaS17_S18_EUlS17_E_NS1_11comp_targetILNS1_3genE9ELNS1_11target_archE1100ELNS1_3gpuE3ELNS1_3repE0EEENS1_30default_config_static_selectorELNS0_4arch9wavefront6targetE0EEEvT1_.numbered_sgpr, 0
	.set _ZN7rocprim17ROCPRIM_400000_NS6detail17trampoline_kernelINS0_14default_configENS1_25partition_config_selectorILNS1_17partition_subalgoE8ElNS0_10empty_typeEbEEZZNS1_14partition_implILS5_8ELb0ES3_jPlPS6_PKS6_NS0_5tupleIJS9_S6_EEENSD_IJSA_SA_EEENS0_18inequality_wrapperIZN2at6native12_GLOBAL__N_124unique_dim_cuda_templateIbEESt5tupleIJNSH_6TensorESM_SM_EERKSM_lbbbEUlllE0_EEPmJS6_EEE10hipError_tPvRmT3_T4_T5_T6_T7_T9_mT8_P12ihipStream_tbDpT10_ENKUlT_T0_E_clISt17integral_constantIbLb1EES1B_IbLb0EEEEDaS17_S18_EUlS17_E_NS1_11comp_targetILNS1_3genE9ELNS1_11target_archE1100ELNS1_3gpuE3ELNS1_3repE0EEENS1_30default_config_static_selectorELNS0_4arch9wavefront6targetE0EEEvT1_.num_named_barrier, 0
	.set _ZN7rocprim17ROCPRIM_400000_NS6detail17trampoline_kernelINS0_14default_configENS1_25partition_config_selectorILNS1_17partition_subalgoE8ElNS0_10empty_typeEbEEZZNS1_14partition_implILS5_8ELb0ES3_jPlPS6_PKS6_NS0_5tupleIJS9_S6_EEENSD_IJSA_SA_EEENS0_18inequality_wrapperIZN2at6native12_GLOBAL__N_124unique_dim_cuda_templateIbEESt5tupleIJNSH_6TensorESM_SM_EERKSM_lbbbEUlllE0_EEPmJS6_EEE10hipError_tPvRmT3_T4_T5_T6_T7_T9_mT8_P12ihipStream_tbDpT10_ENKUlT_T0_E_clISt17integral_constantIbLb1EES1B_IbLb0EEEEDaS17_S18_EUlS17_E_NS1_11comp_targetILNS1_3genE9ELNS1_11target_archE1100ELNS1_3gpuE3ELNS1_3repE0EEENS1_30default_config_static_selectorELNS0_4arch9wavefront6targetE0EEEvT1_.private_seg_size, 0
	.set _ZN7rocprim17ROCPRIM_400000_NS6detail17trampoline_kernelINS0_14default_configENS1_25partition_config_selectorILNS1_17partition_subalgoE8ElNS0_10empty_typeEbEEZZNS1_14partition_implILS5_8ELb0ES3_jPlPS6_PKS6_NS0_5tupleIJS9_S6_EEENSD_IJSA_SA_EEENS0_18inequality_wrapperIZN2at6native12_GLOBAL__N_124unique_dim_cuda_templateIbEESt5tupleIJNSH_6TensorESM_SM_EERKSM_lbbbEUlllE0_EEPmJS6_EEE10hipError_tPvRmT3_T4_T5_T6_T7_T9_mT8_P12ihipStream_tbDpT10_ENKUlT_T0_E_clISt17integral_constantIbLb1EES1B_IbLb0EEEEDaS17_S18_EUlS17_E_NS1_11comp_targetILNS1_3genE9ELNS1_11target_archE1100ELNS1_3gpuE3ELNS1_3repE0EEENS1_30default_config_static_selectorELNS0_4arch9wavefront6targetE0EEEvT1_.uses_vcc, 0
	.set _ZN7rocprim17ROCPRIM_400000_NS6detail17trampoline_kernelINS0_14default_configENS1_25partition_config_selectorILNS1_17partition_subalgoE8ElNS0_10empty_typeEbEEZZNS1_14partition_implILS5_8ELb0ES3_jPlPS6_PKS6_NS0_5tupleIJS9_S6_EEENSD_IJSA_SA_EEENS0_18inequality_wrapperIZN2at6native12_GLOBAL__N_124unique_dim_cuda_templateIbEESt5tupleIJNSH_6TensorESM_SM_EERKSM_lbbbEUlllE0_EEPmJS6_EEE10hipError_tPvRmT3_T4_T5_T6_T7_T9_mT8_P12ihipStream_tbDpT10_ENKUlT_T0_E_clISt17integral_constantIbLb1EES1B_IbLb0EEEEDaS17_S18_EUlS17_E_NS1_11comp_targetILNS1_3genE9ELNS1_11target_archE1100ELNS1_3gpuE3ELNS1_3repE0EEENS1_30default_config_static_selectorELNS0_4arch9wavefront6targetE0EEEvT1_.uses_flat_scratch, 0
	.set _ZN7rocprim17ROCPRIM_400000_NS6detail17trampoline_kernelINS0_14default_configENS1_25partition_config_selectorILNS1_17partition_subalgoE8ElNS0_10empty_typeEbEEZZNS1_14partition_implILS5_8ELb0ES3_jPlPS6_PKS6_NS0_5tupleIJS9_S6_EEENSD_IJSA_SA_EEENS0_18inequality_wrapperIZN2at6native12_GLOBAL__N_124unique_dim_cuda_templateIbEESt5tupleIJNSH_6TensorESM_SM_EERKSM_lbbbEUlllE0_EEPmJS6_EEE10hipError_tPvRmT3_T4_T5_T6_T7_T9_mT8_P12ihipStream_tbDpT10_ENKUlT_T0_E_clISt17integral_constantIbLb1EES1B_IbLb0EEEEDaS17_S18_EUlS17_E_NS1_11comp_targetILNS1_3genE9ELNS1_11target_archE1100ELNS1_3gpuE3ELNS1_3repE0EEENS1_30default_config_static_selectorELNS0_4arch9wavefront6targetE0EEEvT1_.has_dyn_sized_stack, 0
	.set _ZN7rocprim17ROCPRIM_400000_NS6detail17trampoline_kernelINS0_14default_configENS1_25partition_config_selectorILNS1_17partition_subalgoE8ElNS0_10empty_typeEbEEZZNS1_14partition_implILS5_8ELb0ES3_jPlPS6_PKS6_NS0_5tupleIJS9_S6_EEENSD_IJSA_SA_EEENS0_18inequality_wrapperIZN2at6native12_GLOBAL__N_124unique_dim_cuda_templateIbEESt5tupleIJNSH_6TensorESM_SM_EERKSM_lbbbEUlllE0_EEPmJS6_EEE10hipError_tPvRmT3_T4_T5_T6_T7_T9_mT8_P12ihipStream_tbDpT10_ENKUlT_T0_E_clISt17integral_constantIbLb1EES1B_IbLb0EEEEDaS17_S18_EUlS17_E_NS1_11comp_targetILNS1_3genE9ELNS1_11target_archE1100ELNS1_3gpuE3ELNS1_3repE0EEENS1_30default_config_static_selectorELNS0_4arch9wavefront6targetE0EEEvT1_.has_recursion, 0
	.set _ZN7rocprim17ROCPRIM_400000_NS6detail17trampoline_kernelINS0_14default_configENS1_25partition_config_selectorILNS1_17partition_subalgoE8ElNS0_10empty_typeEbEEZZNS1_14partition_implILS5_8ELb0ES3_jPlPS6_PKS6_NS0_5tupleIJS9_S6_EEENSD_IJSA_SA_EEENS0_18inequality_wrapperIZN2at6native12_GLOBAL__N_124unique_dim_cuda_templateIbEESt5tupleIJNSH_6TensorESM_SM_EERKSM_lbbbEUlllE0_EEPmJS6_EEE10hipError_tPvRmT3_T4_T5_T6_T7_T9_mT8_P12ihipStream_tbDpT10_ENKUlT_T0_E_clISt17integral_constantIbLb1EES1B_IbLb0EEEEDaS17_S18_EUlS17_E_NS1_11comp_targetILNS1_3genE9ELNS1_11target_archE1100ELNS1_3gpuE3ELNS1_3repE0EEENS1_30default_config_static_selectorELNS0_4arch9wavefront6targetE0EEEvT1_.has_indirect_call, 0
	.section	.AMDGPU.csdata,"",@progbits
; Kernel info:
; codeLenInByte = 0
; TotalNumSgprs: 0
; NumVgprs: 0
; ScratchSize: 0
; MemoryBound: 0
; FloatMode: 240
; IeeeMode: 1
; LDSByteSize: 0 bytes/workgroup (compile time only)
; SGPRBlocks: 0
; VGPRBlocks: 0
; NumSGPRsForWavesPerEU: 1
; NumVGPRsForWavesPerEU: 1
; NamedBarCnt: 0
; Occupancy: 16
; WaveLimiterHint : 0
; COMPUTE_PGM_RSRC2:SCRATCH_EN: 0
; COMPUTE_PGM_RSRC2:USER_SGPR: 2
; COMPUTE_PGM_RSRC2:TRAP_HANDLER: 0
; COMPUTE_PGM_RSRC2:TGID_X_EN: 1
; COMPUTE_PGM_RSRC2:TGID_Y_EN: 0
; COMPUTE_PGM_RSRC2:TGID_Z_EN: 0
; COMPUTE_PGM_RSRC2:TIDIG_COMP_CNT: 0
	.section	.text._ZN7rocprim17ROCPRIM_400000_NS6detail17trampoline_kernelINS0_14default_configENS1_25partition_config_selectorILNS1_17partition_subalgoE8ElNS0_10empty_typeEbEEZZNS1_14partition_implILS5_8ELb0ES3_jPlPS6_PKS6_NS0_5tupleIJS9_S6_EEENSD_IJSA_SA_EEENS0_18inequality_wrapperIZN2at6native12_GLOBAL__N_124unique_dim_cuda_templateIbEESt5tupleIJNSH_6TensorESM_SM_EERKSM_lbbbEUlllE0_EEPmJS6_EEE10hipError_tPvRmT3_T4_T5_T6_T7_T9_mT8_P12ihipStream_tbDpT10_ENKUlT_T0_E_clISt17integral_constantIbLb1EES1B_IbLb0EEEEDaS17_S18_EUlS17_E_NS1_11comp_targetILNS1_3genE8ELNS1_11target_archE1030ELNS1_3gpuE2ELNS1_3repE0EEENS1_30default_config_static_selectorELNS0_4arch9wavefront6targetE0EEEvT1_,"axG",@progbits,_ZN7rocprim17ROCPRIM_400000_NS6detail17trampoline_kernelINS0_14default_configENS1_25partition_config_selectorILNS1_17partition_subalgoE8ElNS0_10empty_typeEbEEZZNS1_14partition_implILS5_8ELb0ES3_jPlPS6_PKS6_NS0_5tupleIJS9_S6_EEENSD_IJSA_SA_EEENS0_18inequality_wrapperIZN2at6native12_GLOBAL__N_124unique_dim_cuda_templateIbEESt5tupleIJNSH_6TensorESM_SM_EERKSM_lbbbEUlllE0_EEPmJS6_EEE10hipError_tPvRmT3_T4_T5_T6_T7_T9_mT8_P12ihipStream_tbDpT10_ENKUlT_T0_E_clISt17integral_constantIbLb1EES1B_IbLb0EEEEDaS17_S18_EUlS17_E_NS1_11comp_targetILNS1_3genE8ELNS1_11target_archE1030ELNS1_3gpuE2ELNS1_3repE0EEENS1_30default_config_static_selectorELNS0_4arch9wavefront6targetE0EEEvT1_,comdat
	.globl	_ZN7rocprim17ROCPRIM_400000_NS6detail17trampoline_kernelINS0_14default_configENS1_25partition_config_selectorILNS1_17partition_subalgoE8ElNS0_10empty_typeEbEEZZNS1_14partition_implILS5_8ELb0ES3_jPlPS6_PKS6_NS0_5tupleIJS9_S6_EEENSD_IJSA_SA_EEENS0_18inequality_wrapperIZN2at6native12_GLOBAL__N_124unique_dim_cuda_templateIbEESt5tupleIJNSH_6TensorESM_SM_EERKSM_lbbbEUlllE0_EEPmJS6_EEE10hipError_tPvRmT3_T4_T5_T6_T7_T9_mT8_P12ihipStream_tbDpT10_ENKUlT_T0_E_clISt17integral_constantIbLb1EES1B_IbLb0EEEEDaS17_S18_EUlS17_E_NS1_11comp_targetILNS1_3genE8ELNS1_11target_archE1030ELNS1_3gpuE2ELNS1_3repE0EEENS1_30default_config_static_selectorELNS0_4arch9wavefront6targetE0EEEvT1_ ; -- Begin function _ZN7rocprim17ROCPRIM_400000_NS6detail17trampoline_kernelINS0_14default_configENS1_25partition_config_selectorILNS1_17partition_subalgoE8ElNS0_10empty_typeEbEEZZNS1_14partition_implILS5_8ELb0ES3_jPlPS6_PKS6_NS0_5tupleIJS9_S6_EEENSD_IJSA_SA_EEENS0_18inequality_wrapperIZN2at6native12_GLOBAL__N_124unique_dim_cuda_templateIbEESt5tupleIJNSH_6TensorESM_SM_EERKSM_lbbbEUlllE0_EEPmJS6_EEE10hipError_tPvRmT3_T4_T5_T6_T7_T9_mT8_P12ihipStream_tbDpT10_ENKUlT_T0_E_clISt17integral_constantIbLb1EES1B_IbLb0EEEEDaS17_S18_EUlS17_E_NS1_11comp_targetILNS1_3genE8ELNS1_11target_archE1030ELNS1_3gpuE2ELNS1_3repE0EEENS1_30default_config_static_selectorELNS0_4arch9wavefront6targetE0EEEvT1_
	.p2align	8
	.type	_ZN7rocprim17ROCPRIM_400000_NS6detail17trampoline_kernelINS0_14default_configENS1_25partition_config_selectorILNS1_17partition_subalgoE8ElNS0_10empty_typeEbEEZZNS1_14partition_implILS5_8ELb0ES3_jPlPS6_PKS6_NS0_5tupleIJS9_S6_EEENSD_IJSA_SA_EEENS0_18inequality_wrapperIZN2at6native12_GLOBAL__N_124unique_dim_cuda_templateIbEESt5tupleIJNSH_6TensorESM_SM_EERKSM_lbbbEUlllE0_EEPmJS6_EEE10hipError_tPvRmT3_T4_T5_T6_T7_T9_mT8_P12ihipStream_tbDpT10_ENKUlT_T0_E_clISt17integral_constantIbLb1EES1B_IbLb0EEEEDaS17_S18_EUlS17_E_NS1_11comp_targetILNS1_3genE8ELNS1_11target_archE1030ELNS1_3gpuE2ELNS1_3repE0EEENS1_30default_config_static_selectorELNS0_4arch9wavefront6targetE0EEEvT1_,@function
_ZN7rocprim17ROCPRIM_400000_NS6detail17trampoline_kernelINS0_14default_configENS1_25partition_config_selectorILNS1_17partition_subalgoE8ElNS0_10empty_typeEbEEZZNS1_14partition_implILS5_8ELb0ES3_jPlPS6_PKS6_NS0_5tupleIJS9_S6_EEENSD_IJSA_SA_EEENS0_18inequality_wrapperIZN2at6native12_GLOBAL__N_124unique_dim_cuda_templateIbEESt5tupleIJNSH_6TensorESM_SM_EERKSM_lbbbEUlllE0_EEPmJS6_EEE10hipError_tPvRmT3_T4_T5_T6_T7_T9_mT8_P12ihipStream_tbDpT10_ENKUlT_T0_E_clISt17integral_constantIbLb1EES1B_IbLb0EEEEDaS17_S18_EUlS17_E_NS1_11comp_targetILNS1_3genE8ELNS1_11target_archE1030ELNS1_3gpuE2ELNS1_3repE0EEENS1_30default_config_static_selectorELNS0_4arch9wavefront6targetE0EEEvT1_: ; @_ZN7rocprim17ROCPRIM_400000_NS6detail17trampoline_kernelINS0_14default_configENS1_25partition_config_selectorILNS1_17partition_subalgoE8ElNS0_10empty_typeEbEEZZNS1_14partition_implILS5_8ELb0ES3_jPlPS6_PKS6_NS0_5tupleIJS9_S6_EEENSD_IJSA_SA_EEENS0_18inequality_wrapperIZN2at6native12_GLOBAL__N_124unique_dim_cuda_templateIbEESt5tupleIJNSH_6TensorESM_SM_EERKSM_lbbbEUlllE0_EEPmJS6_EEE10hipError_tPvRmT3_T4_T5_T6_T7_T9_mT8_P12ihipStream_tbDpT10_ENKUlT_T0_E_clISt17integral_constantIbLb1EES1B_IbLb0EEEEDaS17_S18_EUlS17_E_NS1_11comp_targetILNS1_3genE8ELNS1_11target_archE1030ELNS1_3gpuE2ELNS1_3repE0EEENS1_30default_config_static_selectorELNS0_4arch9wavefront6targetE0EEEvT1_
; %bb.0:
	.section	.rodata,"a",@progbits
	.p2align	6, 0x0
	.amdhsa_kernel _ZN7rocprim17ROCPRIM_400000_NS6detail17trampoline_kernelINS0_14default_configENS1_25partition_config_selectorILNS1_17partition_subalgoE8ElNS0_10empty_typeEbEEZZNS1_14partition_implILS5_8ELb0ES3_jPlPS6_PKS6_NS0_5tupleIJS9_S6_EEENSD_IJSA_SA_EEENS0_18inequality_wrapperIZN2at6native12_GLOBAL__N_124unique_dim_cuda_templateIbEESt5tupleIJNSH_6TensorESM_SM_EERKSM_lbbbEUlllE0_EEPmJS6_EEE10hipError_tPvRmT3_T4_T5_T6_T7_T9_mT8_P12ihipStream_tbDpT10_ENKUlT_T0_E_clISt17integral_constantIbLb1EES1B_IbLb0EEEEDaS17_S18_EUlS17_E_NS1_11comp_targetILNS1_3genE8ELNS1_11target_archE1030ELNS1_3gpuE2ELNS1_3repE0EEENS1_30default_config_static_selectorELNS0_4arch9wavefront6targetE0EEEvT1_
		.amdhsa_group_segment_fixed_size 0
		.amdhsa_private_segment_fixed_size 0
		.amdhsa_kernarg_size 120
		.amdhsa_user_sgpr_count 2
		.amdhsa_user_sgpr_dispatch_ptr 0
		.amdhsa_user_sgpr_queue_ptr 0
		.amdhsa_user_sgpr_kernarg_segment_ptr 1
		.amdhsa_user_sgpr_dispatch_id 0
		.amdhsa_user_sgpr_kernarg_preload_length 0
		.amdhsa_user_sgpr_kernarg_preload_offset 0
		.amdhsa_user_sgpr_private_segment_size 0
		.amdhsa_wavefront_size32 1
		.amdhsa_uses_dynamic_stack 0
		.amdhsa_enable_private_segment 0
		.amdhsa_system_sgpr_workgroup_id_x 1
		.amdhsa_system_sgpr_workgroup_id_y 0
		.amdhsa_system_sgpr_workgroup_id_z 0
		.amdhsa_system_sgpr_workgroup_info 0
		.amdhsa_system_vgpr_workitem_id 0
		.amdhsa_next_free_vgpr 1
		.amdhsa_next_free_sgpr 1
		.amdhsa_named_barrier_count 0
		.amdhsa_reserve_vcc 0
		.amdhsa_float_round_mode_32 0
		.amdhsa_float_round_mode_16_64 0
		.amdhsa_float_denorm_mode_32 3
		.amdhsa_float_denorm_mode_16_64 3
		.amdhsa_fp16_overflow 0
		.amdhsa_memory_ordered 1
		.amdhsa_forward_progress 1
		.amdhsa_inst_pref_size 0
		.amdhsa_round_robin_scheduling 0
		.amdhsa_exception_fp_ieee_invalid_op 0
		.amdhsa_exception_fp_denorm_src 0
		.amdhsa_exception_fp_ieee_div_zero 0
		.amdhsa_exception_fp_ieee_overflow 0
		.amdhsa_exception_fp_ieee_underflow 0
		.amdhsa_exception_fp_ieee_inexact 0
		.amdhsa_exception_int_div_zero 0
	.end_amdhsa_kernel
	.section	.text._ZN7rocprim17ROCPRIM_400000_NS6detail17trampoline_kernelINS0_14default_configENS1_25partition_config_selectorILNS1_17partition_subalgoE8ElNS0_10empty_typeEbEEZZNS1_14partition_implILS5_8ELb0ES3_jPlPS6_PKS6_NS0_5tupleIJS9_S6_EEENSD_IJSA_SA_EEENS0_18inequality_wrapperIZN2at6native12_GLOBAL__N_124unique_dim_cuda_templateIbEESt5tupleIJNSH_6TensorESM_SM_EERKSM_lbbbEUlllE0_EEPmJS6_EEE10hipError_tPvRmT3_T4_T5_T6_T7_T9_mT8_P12ihipStream_tbDpT10_ENKUlT_T0_E_clISt17integral_constantIbLb1EES1B_IbLb0EEEEDaS17_S18_EUlS17_E_NS1_11comp_targetILNS1_3genE8ELNS1_11target_archE1030ELNS1_3gpuE2ELNS1_3repE0EEENS1_30default_config_static_selectorELNS0_4arch9wavefront6targetE0EEEvT1_,"axG",@progbits,_ZN7rocprim17ROCPRIM_400000_NS6detail17trampoline_kernelINS0_14default_configENS1_25partition_config_selectorILNS1_17partition_subalgoE8ElNS0_10empty_typeEbEEZZNS1_14partition_implILS5_8ELb0ES3_jPlPS6_PKS6_NS0_5tupleIJS9_S6_EEENSD_IJSA_SA_EEENS0_18inequality_wrapperIZN2at6native12_GLOBAL__N_124unique_dim_cuda_templateIbEESt5tupleIJNSH_6TensorESM_SM_EERKSM_lbbbEUlllE0_EEPmJS6_EEE10hipError_tPvRmT3_T4_T5_T6_T7_T9_mT8_P12ihipStream_tbDpT10_ENKUlT_T0_E_clISt17integral_constantIbLb1EES1B_IbLb0EEEEDaS17_S18_EUlS17_E_NS1_11comp_targetILNS1_3genE8ELNS1_11target_archE1030ELNS1_3gpuE2ELNS1_3repE0EEENS1_30default_config_static_selectorELNS0_4arch9wavefront6targetE0EEEvT1_,comdat
.Lfunc_end1074:
	.size	_ZN7rocprim17ROCPRIM_400000_NS6detail17trampoline_kernelINS0_14default_configENS1_25partition_config_selectorILNS1_17partition_subalgoE8ElNS0_10empty_typeEbEEZZNS1_14partition_implILS5_8ELb0ES3_jPlPS6_PKS6_NS0_5tupleIJS9_S6_EEENSD_IJSA_SA_EEENS0_18inequality_wrapperIZN2at6native12_GLOBAL__N_124unique_dim_cuda_templateIbEESt5tupleIJNSH_6TensorESM_SM_EERKSM_lbbbEUlllE0_EEPmJS6_EEE10hipError_tPvRmT3_T4_T5_T6_T7_T9_mT8_P12ihipStream_tbDpT10_ENKUlT_T0_E_clISt17integral_constantIbLb1EES1B_IbLb0EEEEDaS17_S18_EUlS17_E_NS1_11comp_targetILNS1_3genE8ELNS1_11target_archE1030ELNS1_3gpuE2ELNS1_3repE0EEENS1_30default_config_static_selectorELNS0_4arch9wavefront6targetE0EEEvT1_, .Lfunc_end1074-_ZN7rocprim17ROCPRIM_400000_NS6detail17trampoline_kernelINS0_14default_configENS1_25partition_config_selectorILNS1_17partition_subalgoE8ElNS0_10empty_typeEbEEZZNS1_14partition_implILS5_8ELb0ES3_jPlPS6_PKS6_NS0_5tupleIJS9_S6_EEENSD_IJSA_SA_EEENS0_18inequality_wrapperIZN2at6native12_GLOBAL__N_124unique_dim_cuda_templateIbEESt5tupleIJNSH_6TensorESM_SM_EERKSM_lbbbEUlllE0_EEPmJS6_EEE10hipError_tPvRmT3_T4_T5_T6_T7_T9_mT8_P12ihipStream_tbDpT10_ENKUlT_T0_E_clISt17integral_constantIbLb1EES1B_IbLb0EEEEDaS17_S18_EUlS17_E_NS1_11comp_targetILNS1_3genE8ELNS1_11target_archE1030ELNS1_3gpuE2ELNS1_3repE0EEENS1_30default_config_static_selectorELNS0_4arch9wavefront6targetE0EEEvT1_
                                        ; -- End function
	.set _ZN7rocprim17ROCPRIM_400000_NS6detail17trampoline_kernelINS0_14default_configENS1_25partition_config_selectorILNS1_17partition_subalgoE8ElNS0_10empty_typeEbEEZZNS1_14partition_implILS5_8ELb0ES3_jPlPS6_PKS6_NS0_5tupleIJS9_S6_EEENSD_IJSA_SA_EEENS0_18inequality_wrapperIZN2at6native12_GLOBAL__N_124unique_dim_cuda_templateIbEESt5tupleIJNSH_6TensorESM_SM_EERKSM_lbbbEUlllE0_EEPmJS6_EEE10hipError_tPvRmT3_T4_T5_T6_T7_T9_mT8_P12ihipStream_tbDpT10_ENKUlT_T0_E_clISt17integral_constantIbLb1EES1B_IbLb0EEEEDaS17_S18_EUlS17_E_NS1_11comp_targetILNS1_3genE8ELNS1_11target_archE1030ELNS1_3gpuE2ELNS1_3repE0EEENS1_30default_config_static_selectorELNS0_4arch9wavefront6targetE0EEEvT1_.num_vgpr, 0
	.set _ZN7rocprim17ROCPRIM_400000_NS6detail17trampoline_kernelINS0_14default_configENS1_25partition_config_selectorILNS1_17partition_subalgoE8ElNS0_10empty_typeEbEEZZNS1_14partition_implILS5_8ELb0ES3_jPlPS6_PKS6_NS0_5tupleIJS9_S6_EEENSD_IJSA_SA_EEENS0_18inequality_wrapperIZN2at6native12_GLOBAL__N_124unique_dim_cuda_templateIbEESt5tupleIJNSH_6TensorESM_SM_EERKSM_lbbbEUlllE0_EEPmJS6_EEE10hipError_tPvRmT3_T4_T5_T6_T7_T9_mT8_P12ihipStream_tbDpT10_ENKUlT_T0_E_clISt17integral_constantIbLb1EES1B_IbLb0EEEEDaS17_S18_EUlS17_E_NS1_11comp_targetILNS1_3genE8ELNS1_11target_archE1030ELNS1_3gpuE2ELNS1_3repE0EEENS1_30default_config_static_selectorELNS0_4arch9wavefront6targetE0EEEvT1_.num_agpr, 0
	.set _ZN7rocprim17ROCPRIM_400000_NS6detail17trampoline_kernelINS0_14default_configENS1_25partition_config_selectorILNS1_17partition_subalgoE8ElNS0_10empty_typeEbEEZZNS1_14partition_implILS5_8ELb0ES3_jPlPS6_PKS6_NS0_5tupleIJS9_S6_EEENSD_IJSA_SA_EEENS0_18inequality_wrapperIZN2at6native12_GLOBAL__N_124unique_dim_cuda_templateIbEESt5tupleIJNSH_6TensorESM_SM_EERKSM_lbbbEUlllE0_EEPmJS6_EEE10hipError_tPvRmT3_T4_T5_T6_T7_T9_mT8_P12ihipStream_tbDpT10_ENKUlT_T0_E_clISt17integral_constantIbLb1EES1B_IbLb0EEEEDaS17_S18_EUlS17_E_NS1_11comp_targetILNS1_3genE8ELNS1_11target_archE1030ELNS1_3gpuE2ELNS1_3repE0EEENS1_30default_config_static_selectorELNS0_4arch9wavefront6targetE0EEEvT1_.numbered_sgpr, 0
	.set _ZN7rocprim17ROCPRIM_400000_NS6detail17trampoline_kernelINS0_14default_configENS1_25partition_config_selectorILNS1_17partition_subalgoE8ElNS0_10empty_typeEbEEZZNS1_14partition_implILS5_8ELb0ES3_jPlPS6_PKS6_NS0_5tupleIJS9_S6_EEENSD_IJSA_SA_EEENS0_18inequality_wrapperIZN2at6native12_GLOBAL__N_124unique_dim_cuda_templateIbEESt5tupleIJNSH_6TensorESM_SM_EERKSM_lbbbEUlllE0_EEPmJS6_EEE10hipError_tPvRmT3_T4_T5_T6_T7_T9_mT8_P12ihipStream_tbDpT10_ENKUlT_T0_E_clISt17integral_constantIbLb1EES1B_IbLb0EEEEDaS17_S18_EUlS17_E_NS1_11comp_targetILNS1_3genE8ELNS1_11target_archE1030ELNS1_3gpuE2ELNS1_3repE0EEENS1_30default_config_static_selectorELNS0_4arch9wavefront6targetE0EEEvT1_.num_named_barrier, 0
	.set _ZN7rocprim17ROCPRIM_400000_NS6detail17trampoline_kernelINS0_14default_configENS1_25partition_config_selectorILNS1_17partition_subalgoE8ElNS0_10empty_typeEbEEZZNS1_14partition_implILS5_8ELb0ES3_jPlPS6_PKS6_NS0_5tupleIJS9_S6_EEENSD_IJSA_SA_EEENS0_18inequality_wrapperIZN2at6native12_GLOBAL__N_124unique_dim_cuda_templateIbEESt5tupleIJNSH_6TensorESM_SM_EERKSM_lbbbEUlllE0_EEPmJS6_EEE10hipError_tPvRmT3_T4_T5_T6_T7_T9_mT8_P12ihipStream_tbDpT10_ENKUlT_T0_E_clISt17integral_constantIbLb1EES1B_IbLb0EEEEDaS17_S18_EUlS17_E_NS1_11comp_targetILNS1_3genE8ELNS1_11target_archE1030ELNS1_3gpuE2ELNS1_3repE0EEENS1_30default_config_static_selectorELNS0_4arch9wavefront6targetE0EEEvT1_.private_seg_size, 0
	.set _ZN7rocprim17ROCPRIM_400000_NS6detail17trampoline_kernelINS0_14default_configENS1_25partition_config_selectorILNS1_17partition_subalgoE8ElNS0_10empty_typeEbEEZZNS1_14partition_implILS5_8ELb0ES3_jPlPS6_PKS6_NS0_5tupleIJS9_S6_EEENSD_IJSA_SA_EEENS0_18inequality_wrapperIZN2at6native12_GLOBAL__N_124unique_dim_cuda_templateIbEESt5tupleIJNSH_6TensorESM_SM_EERKSM_lbbbEUlllE0_EEPmJS6_EEE10hipError_tPvRmT3_T4_T5_T6_T7_T9_mT8_P12ihipStream_tbDpT10_ENKUlT_T0_E_clISt17integral_constantIbLb1EES1B_IbLb0EEEEDaS17_S18_EUlS17_E_NS1_11comp_targetILNS1_3genE8ELNS1_11target_archE1030ELNS1_3gpuE2ELNS1_3repE0EEENS1_30default_config_static_selectorELNS0_4arch9wavefront6targetE0EEEvT1_.uses_vcc, 0
	.set _ZN7rocprim17ROCPRIM_400000_NS6detail17trampoline_kernelINS0_14default_configENS1_25partition_config_selectorILNS1_17partition_subalgoE8ElNS0_10empty_typeEbEEZZNS1_14partition_implILS5_8ELb0ES3_jPlPS6_PKS6_NS0_5tupleIJS9_S6_EEENSD_IJSA_SA_EEENS0_18inequality_wrapperIZN2at6native12_GLOBAL__N_124unique_dim_cuda_templateIbEESt5tupleIJNSH_6TensorESM_SM_EERKSM_lbbbEUlllE0_EEPmJS6_EEE10hipError_tPvRmT3_T4_T5_T6_T7_T9_mT8_P12ihipStream_tbDpT10_ENKUlT_T0_E_clISt17integral_constantIbLb1EES1B_IbLb0EEEEDaS17_S18_EUlS17_E_NS1_11comp_targetILNS1_3genE8ELNS1_11target_archE1030ELNS1_3gpuE2ELNS1_3repE0EEENS1_30default_config_static_selectorELNS0_4arch9wavefront6targetE0EEEvT1_.uses_flat_scratch, 0
	.set _ZN7rocprim17ROCPRIM_400000_NS6detail17trampoline_kernelINS0_14default_configENS1_25partition_config_selectorILNS1_17partition_subalgoE8ElNS0_10empty_typeEbEEZZNS1_14partition_implILS5_8ELb0ES3_jPlPS6_PKS6_NS0_5tupleIJS9_S6_EEENSD_IJSA_SA_EEENS0_18inequality_wrapperIZN2at6native12_GLOBAL__N_124unique_dim_cuda_templateIbEESt5tupleIJNSH_6TensorESM_SM_EERKSM_lbbbEUlllE0_EEPmJS6_EEE10hipError_tPvRmT3_T4_T5_T6_T7_T9_mT8_P12ihipStream_tbDpT10_ENKUlT_T0_E_clISt17integral_constantIbLb1EES1B_IbLb0EEEEDaS17_S18_EUlS17_E_NS1_11comp_targetILNS1_3genE8ELNS1_11target_archE1030ELNS1_3gpuE2ELNS1_3repE0EEENS1_30default_config_static_selectorELNS0_4arch9wavefront6targetE0EEEvT1_.has_dyn_sized_stack, 0
	.set _ZN7rocprim17ROCPRIM_400000_NS6detail17trampoline_kernelINS0_14default_configENS1_25partition_config_selectorILNS1_17partition_subalgoE8ElNS0_10empty_typeEbEEZZNS1_14partition_implILS5_8ELb0ES3_jPlPS6_PKS6_NS0_5tupleIJS9_S6_EEENSD_IJSA_SA_EEENS0_18inequality_wrapperIZN2at6native12_GLOBAL__N_124unique_dim_cuda_templateIbEESt5tupleIJNSH_6TensorESM_SM_EERKSM_lbbbEUlllE0_EEPmJS6_EEE10hipError_tPvRmT3_T4_T5_T6_T7_T9_mT8_P12ihipStream_tbDpT10_ENKUlT_T0_E_clISt17integral_constantIbLb1EES1B_IbLb0EEEEDaS17_S18_EUlS17_E_NS1_11comp_targetILNS1_3genE8ELNS1_11target_archE1030ELNS1_3gpuE2ELNS1_3repE0EEENS1_30default_config_static_selectorELNS0_4arch9wavefront6targetE0EEEvT1_.has_recursion, 0
	.set _ZN7rocprim17ROCPRIM_400000_NS6detail17trampoline_kernelINS0_14default_configENS1_25partition_config_selectorILNS1_17partition_subalgoE8ElNS0_10empty_typeEbEEZZNS1_14partition_implILS5_8ELb0ES3_jPlPS6_PKS6_NS0_5tupleIJS9_S6_EEENSD_IJSA_SA_EEENS0_18inequality_wrapperIZN2at6native12_GLOBAL__N_124unique_dim_cuda_templateIbEESt5tupleIJNSH_6TensorESM_SM_EERKSM_lbbbEUlllE0_EEPmJS6_EEE10hipError_tPvRmT3_T4_T5_T6_T7_T9_mT8_P12ihipStream_tbDpT10_ENKUlT_T0_E_clISt17integral_constantIbLb1EES1B_IbLb0EEEEDaS17_S18_EUlS17_E_NS1_11comp_targetILNS1_3genE8ELNS1_11target_archE1030ELNS1_3gpuE2ELNS1_3repE0EEENS1_30default_config_static_selectorELNS0_4arch9wavefront6targetE0EEEvT1_.has_indirect_call, 0
	.section	.AMDGPU.csdata,"",@progbits
; Kernel info:
; codeLenInByte = 0
; TotalNumSgprs: 0
; NumVgprs: 0
; ScratchSize: 0
; MemoryBound: 0
; FloatMode: 240
; IeeeMode: 1
; LDSByteSize: 0 bytes/workgroup (compile time only)
; SGPRBlocks: 0
; VGPRBlocks: 0
; NumSGPRsForWavesPerEU: 1
; NumVGPRsForWavesPerEU: 1
; NamedBarCnt: 0
; Occupancy: 16
; WaveLimiterHint : 0
; COMPUTE_PGM_RSRC2:SCRATCH_EN: 0
; COMPUTE_PGM_RSRC2:USER_SGPR: 2
; COMPUTE_PGM_RSRC2:TRAP_HANDLER: 0
; COMPUTE_PGM_RSRC2:TGID_X_EN: 1
; COMPUTE_PGM_RSRC2:TGID_Y_EN: 0
; COMPUTE_PGM_RSRC2:TGID_Z_EN: 0
; COMPUTE_PGM_RSRC2:TIDIG_COMP_CNT: 0
	.section	.text._ZN7rocprim17ROCPRIM_400000_NS6detail17trampoline_kernelINS0_14default_configENS1_25partition_config_selectorILNS1_17partition_subalgoE8ElNS0_10empty_typeEbEEZZNS1_14partition_implILS5_8ELb0ES3_jPlPS6_PKS6_NS0_5tupleIJS9_S6_EEENSD_IJSA_SA_EEENS0_18inequality_wrapperIZN2at6native12_GLOBAL__N_124unique_dim_cuda_templateIbEESt5tupleIJNSH_6TensorESM_SM_EERKSM_lbbbEUlllE0_EEPmJS6_EEE10hipError_tPvRmT3_T4_T5_T6_T7_T9_mT8_P12ihipStream_tbDpT10_ENKUlT_T0_E_clISt17integral_constantIbLb0EES1B_IbLb1EEEEDaS17_S18_EUlS17_E_NS1_11comp_targetILNS1_3genE0ELNS1_11target_archE4294967295ELNS1_3gpuE0ELNS1_3repE0EEENS1_30default_config_static_selectorELNS0_4arch9wavefront6targetE0EEEvT1_,"axG",@progbits,_ZN7rocprim17ROCPRIM_400000_NS6detail17trampoline_kernelINS0_14default_configENS1_25partition_config_selectorILNS1_17partition_subalgoE8ElNS0_10empty_typeEbEEZZNS1_14partition_implILS5_8ELb0ES3_jPlPS6_PKS6_NS0_5tupleIJS9_S6_EEENSD_IJSA_SA_EEENS0_18inequality_wrapperIZN2at6native12_GLOBAL__N_124unique_dim_cuda_templateIbEESt5tupleIJNSH_6TensorESM_SM_EERKSM_lbbbEUlllE0_EEPmJS6_EEE10hipError_tPvRmT3_T4_T5_T6_T7_T9_mT8_P12ihipStream_tbDpT10_ENKUlT_T0_E_clISt17integral_constantIbLb0EES1B_IbLb1EEEEDaS17_S18_EUlS17_E_NS1_11comp_targetILNS1_3genE0ELNS1_11target_archE4294967295ELNS1_3gpuE0ELNS1_3repE0EEENS1_30default_config_static_selectorELNS0_4arch9wavefront6targetE0EEEvT1_,comdat
	.globl	_ZN7rocprim17ROCPRIM_400000_NS6detail17trampoline_kernelINS0_14default_configENS1_25partition_config_selectorILNS1_17partition_subalgoE8ElNS0_10empty_typeEbEEZZNS1_14partition_implILS5_8ELb0ES3_jPlPS6_PKS6_NS0_5tupleIJS9_S6_EEENSD_IJSA_SA_EEENS0_18inequality_wrapperIZN2at6native12_GLOBAL__N_124unique_dim_cuda_templateIbEESt5tupleIJNSH_6TensorESM_SM_EERKSM_lbbbEUlllE0_EEPmJS6_EEE10hipError_tPvRmT3_T4_T5_T6_T7_T9_mT8_P12ihipStream_tbDpT10_ENKUlT_T0_E_clISt17integral_constantIbLb0EES1B_IbLb1EEEEDaS17_S18_EUlS17_E_NS1_11comp_targetILNS1_3genE0ELNS1_11target_archE4294967295ELNS1_3gpuE0ELNS1_3repE0EEENS1_30default_config_static_selectorELNS0_4arch9wavefront6targetE0EEEvT1_ ; -- Begin function _ZN7rocprim17ROCPRIM_400000_NS6detail17trampoline_kernelINS0_14default_configENS1_25partition_config_selectorILNS1_17partition_subalgoE8ElNS0_10empty_typeEbEEZZNS1_14partition_implILS5_8ELb0ES3_jPlPS6_PKS6_NS0_5tupleIJS9_S6_EEENSD_IJSA_SA_EEENS0_18inequality_wrapperIZN2at6native12_GLOBAL__N_124unique_dim_cuda_templateIbEESt5tupleIJNSH_6TensorESM_SM_EERKSM_lbbbEUlllE0_EEPmJS6_EEE10hipError_tPvRmT3_T4_T5_T6_T7_T9_mT8_P12ihipStream_tbDpT10_ENKUlT_T0_E_clISt17integral_constantIbLb0EES1B_IbLb1EEEEDaS17_S18_EUlS17_E_NS1_11comp_targetILNS1_3genE0ELNS1_11target_archE4294967295ELNS1_3gpuE0ELNS1_3repE0EEENS1_30default_config_static_selectorELNS0_4arch9wavefront6targetE0EEEvT1_
	.p2align	8
	.type	_ZN7rocprim17ROCPRIM_400000_NS6detail17trampoline_kernelINS0_14default_configENS1_25partition_config_selectorILNS1_17partition_subalgoE8ElNS0_10empty_typeEbEEZZNS1_14partition_implILS5_8ELb0ES3_jPlPS6_PKS6_NS0_5tupleIJS9_S6_EEENSD_IJSA_SA_EEENS0_18inequality_wrapperIZN2at6native12_GLOBAL__N_124unique_dim_cuda_templateIbEESt5tupleIJNSH_6TensorESM_SM_EERKSM_lbbbEUlllE0_EEPmJS6_EEE10hipError_tPvRmT3_T4_T5_T6_T7_T9_mT8_P12ihipStream_tbDpT10_ENKUlT_T0_E_clISt17integral_constantIbLb0EES1B_IbLb1EEEEDaS17_S18_EUlS17_E_NS1_11comp_targetILNS1_3genE0ELNS1_11target_archE4294967295ELNS1_3gpuE0ELNS1_3repE0EEENS1_30default_config_static_selectorELNS0_4arch9wavefront6targetE0EEEvT1_,@function
_ZN7rocprim17ROCPRIM_400000_NS6detail17trampoline_kernelINS0_14default_configENS1_25partition_config_selectorILNS1_17partition_subalgoE8ElNS0_10empty_typeEbEEZZNS1_14partition_implILS5_8ELb0ES3_jPlPS6_PKS6_NS0_5tupleIJS9_S6_EEENSD_IJSA_SA_EEENS0_18inequality_wrapperIZN2at6native12_GLOBAL__N_124unique_dim_cuda_templateIbEESt5tupleIJNSH_6TensorESM_SM_EERKSM_lbbbEUlllE0_EEPmJS6_EEE10hipError_tPvRmT3_T4_T5_T6_T7_T9_mT8_P12ihipStream_tbDpT10_ENKUlT_T0_E_clISt17integral_constantIbLb0EES1B_IbLb1EEEEDaS17_S18_EUlS17_E_NS1_11comp_targetILNS1_3genE0ELNS1_11target_archE4294967295ELNS1_3gpuE0ELNS1_3repE0EEENS1_30default_config_static_selectorELNS0_4arch9wavefront6targetE0EEEvT1_: ; @_ZN7rocprim17ROCPRIM_400000_NS6detail17trampoline_kernelINS0_14default_configENS1_25partition_config_selectorILNS1_17partition_subalgoE8ElNS0_10empty_typeEbEEZZNS1_14partition_implILS5_8ELb0ES3_jPlPS6_PKS6_NS0_5tupleIJS9_S6_EEENSD_IJSA_SA_EEENS0_18inequality_wrapperIZN2at6native12_GLOBAL__N_124unique_dim_cuda_templateIbEESt5tupleIJNSH_6TensorESM_SM_EERKSM_lbbbEUlllE0_EEPmJS6_EEE10hipError_tPvRmT3_T4_T5_T6_T7_T9_mT8_P12ihipStream_tbDpT10_ENKUlT_T0_E_clISt17integral_constantIbLb0EES1B_IbLb1EEEEDaS17_S18_EUlS17_E_NS1_11comp_targetILNS1_3genE0ELNS1_11target_archE4294967295ELNS1_3gpuE0ELNS1_3repE0EEENS1_30default_config_static_selectorELNS0_4arch9wavefront6targetE0EEEvT1_
; %bb.0:
	s_clause 0x1
	s_load_b256 s[12:19], s[0:1], 0x40
	s_load_b128 s[8:11], s[0:1], 0x60
	v_cmp_ne_u32_e64 s3, 0, v0
	v_cmp_eq_u32_e64 s2, 0, v0
	s_and_saveexec_b32 s4, s2
	s_cbranch_execz .LBB1075_4
; %bb.1:
	s_mov_b32 s6, exec_lo
	s_mov_b32 s5, exec_lo
	v_mbcnt_lo_u32_b32 v1, s6, 0
                                        ; implicit-def: $vgpr2
	s_delay_alu instid0(VALU_DEP_1)
	v_cmpx_eq_u32_e32 0, v1
	s_cbranch_execz .LBB1075_3
; %bb.2:
	s_load_b64 s[20:21], s[0:1], 0x78
	s_bcnt1_i32_b32 s6, s6
	s_delay_alu instid0(SALU_CYCLE_1)
	v_dual_mov_b32 v2, 0 :: v_dual_mov_b32 v3, s6
	s_wait_xcnt 0x0
	s_wait_kmcnt 0x0
	global_atomic_add_u32 v2, v2, v3, s[20:21] th:TH_ATOMIC_RETURN scope:SCOPE_DEV
.LBB1075_3:
	s_wait_xcnt 0x0
	s_or_b32 exec_lo, exec_lo, s5
	s_wait_loadcnt 0x0
	v_readfirstlane_b32 s5, v2
	s_delay_alu instid0(VALU_DEP_1)
	v_dual_mov_b32 v2, 0 :: v_dual_add_nc_u32 v1, s5, v1
	ds_store_b32 v2, v1
.LBB1075_4:
	s_or_b32 exec_lo, exec_lo, s4
	v_dual_mov_b32 v3, 0 :: v_dual_lshlrev_b32 v18, 3, v0
	s_clause 0x2
	s_load_b128 s[4:7], s[0:1], 0x8
	s_load_b64 s[20:21], s[0:1], 0x28
	s_load_b32 s22, s[0:1], 0x70
	s_wait_dscnt 0x0
	s_barrier_signal -1
	s_barrier_wait -1
	ds_load_b32 v1, v3
	s_wait_dscnt 0x0
	s_barrier_signal -1
	s_barrier_wait -1
	s_wait_kmcnt 0x0
	global_load_b64 v[4:5], v3, s[14:15]
	s_mov_b32 s1, 0
	s_wait_xcnt 0x0
	s_lshl_b64 s[14:15], s[6:7], 3
	s_mul_i32 s0, s22, 0xe00
	s_add_co_i32 s26, s22, -1
	s_add_nc_u64 s[24:25], s[6:7], s[0:1]
	s_add_co_i32 s0, s0, s6
	v_cmp_le_u64_e64 s1, s[16:17], s[24:25]
	v_mul_lo_u32 v2, 0xe00, v1
	v_readfirstlane_b32 s22, v1
	s_sub_co_i32 s23, s16, s0
	s_add_nc_u64 s[4:5], s[4:5], s[14:15]
	s_mov_b32 s0, -1
	s_cmp_eq_u32 s22, s26
	s_cselect_b32 s16, -1, 0
	s_delay_alu instid0(SALU_CYCLE_1) | instskip(SKIP_2) | instid1(SALU_CYCLE_1)
	s_and_b32 s1, s1, s16
	v_lshlrev_b64_e32 v[2:3], 3, v[2:3]
	s_xor_b32 s17, s1, -1
	s_and_b32 vcc_lo, exec_lo, s17
	s_delay_alu instid0(VALU_DEP_1)
	v_add_nc_u64_e32 v[20:21], s[4:5], v[2:3]
	s_wait_loadcnt 0x0
	v_readfirstlane_b32 s14, v4
	v_readfirstlane_b32 s15, v5
	s_cbranch_vccz .LBB1075_6
; %bb.5:
	v_readfirstlane_b32 s4, v20
	v_readfirstlane_b32 s5, v21
	v_lshlrev_b32_e32 v1, 3, v0
	s_mov_b32 s0, 0
	s_clause 0x6
	global_load_b64 v[2:3], v0, s[4:5] scale_offset
	global_load_b64 v[4:5], v0, s[4:5] offset:4096 scale_offset
	global_load_b64 v[6:7], v0, s[4:5] offset:8192 scale_offset
	;; [unrolled: 1-line block ×6, first 2 shown]
	s_wait_loadcnt 0x5
	ds_store_2addr_stride64_b64 v1, v[2:3], v[4:5] offset1:8
	s_wait_loadcnt 0x3
	ds_store_2addr_stride64_b64 v1, v[6:7], v[8:9] offset0:16 offset1:24
	s_wait_loadcnt 0x1
	ds_store_2addr_stride64_b64 v1, v[10:11], v[12:13] offset0:32 offset1:40
	s_wait_loadcnt 0x0
	ds_store_b64 v1, v[14:15] offset:24576
	s_wait_dscnt 0x0
	s_barrier_signal -1
	s_barrier_wait -1
.LBB1075_6:
	s_and_not1_b32 vcc_lo, exec_lo, s0
	s_addk_co_i32 s23, 0xe00
	s_cbranch_vccnz .LBB1075_22
; %bb.7:
	v_mov_b32_e32 v2, 0
	s_mov_b32 s0, exec_lo
	s_delay_alu instid0(VALU_DEP_1)
	v_dual_mov_b32 v3, v2 :: v_dual_mov_b32 v4, v2
	v_dual_mov_b32 v5, v2 :: v_dual_mov_b32 v6, v2
	;; [unrolled: 1-line block ×6, first 2 shown]
	v_mov_b32_e32 v15, v2
	v_cmpx_gt_u32_e64 s23, v0
	s_cbranch_execz .LBB1075_9
; %bb.8:
	v_readfirstlane_b32 s4, v20
	v_readfirstlane_b32 s5, v21
	v_dual_mov_b32 v6, v2 :: v_dual_mov_b32 v7, v2
	v_dual_mov_b32 v8, v2 :: v_dual_mov_b32 v9, v2
	global_load_b64 v[4:5], v0, s[4:5] scale_offset
	v_dual_mov_b32 v10, v2 :: v_dual_mov_b32 v11, v2
	v_dual_mov_b32 v12, v2 :: v_dual_mov_b32 v13, v2
	v_dual_mov_b32 v14, v2 :: v_dual_mov_b32 v15, v2
	v_dual_mov_b32 v16, v2 :: v_dual_mov_b32 v17, v2
	s_wait_loadcnt 0x0
	v_mov_b64_e32 v[2:3], v[4:5]
	v_mov_b64_e32 v[4:5], v[6:7]
	;; [unrolled: 1-line block ×8, first 2 shown]
.LBB1075_9:
	s_or_b32 exec_lo, exec_lo, s0
	v_or_b32_e32 v1, 0x200, v0
	s_mov_b32 s0, exec_lo
	s_delay_alu instid0(VALU_DEP_1)
	v_cmpx_gt_u32_e64 s23, v1
	s_cbranch_execz .LBB1075_11
; %bb.10:
	v_readfirstlane_b32 s4, v20
	v_readfirstlane_b32 s5, v21
	global_load_b64 v[4:5], v0, s[4:5] offset:4096 scale_offset
.LBB1075_11:
	s_wait_xcnt 0x0
	s_or_b32 exec_lo, exec_lo, s0
	v_or_b32_e32 v1, 0x400, v0
	s_mov_b32 s0, exec_lo
	s_delay_alu instid0(VALU_DEP_1)
	v_cmpx_gt_u32_e64 s23, v1
	s_cbranch_execz .LBB1075_13
; %bb.12:
	v_readfirstlane_b32 s4, v20
	v_readfirstlane_b32 s5, v21
	global_load_b64 v[6:7], v0, s[4:5] offset:8192 scale_offset
.LBB1075_13:
	s_wait_xcnt 0x0
	;; [unrolled: 12-line block ×6, first 2 shown]
	s_or_b32 exec_lo, exec_lo, s0
	v_lshlrev_b32_e32 v1, 3, v0
	s_wait_loadcnt 0x0
	ds_store_2addr_stride64_b64 v1, v[2:3], v[4:5] offset1:8
	ds_store_2addr_stride64_b64 v1, v[6:7], v[8:9] offset0:16 offset1:24
	ds_store_2addr_stride64_b64 v1, v[10:11], v[12:13] offset0:32 offset1:40
	ds_store_b64 v1, v[14:15] offset:24576
	s_wait_dscnt 0x0
	s_barrier_signal -1
	s_barrier_wait -1
.LBB1075_22:
	v_mul_u32_u24_e32 v1, 7, v0
	s_cmp_lg_u32 s22, 0
	v_cmp_lt_i64_e64 s26, s[18:19], 1
	s_cselect_b32 s24, -1, 0
	v_lshlrev_b32_e32 v28, 3, v1
	s_cmp_lg_u64 s[6:7], 0
	s_mov_b32 s25, 0
	s_cselect_b32 s0, -1, 0
	ds_load_2addr_b64 v[10:13], v28 offset1:1
	ds_load_2addr_b64 v[6:9], v28 offset0:2 offset1:3
	ds_load_2addr_b64 v[2:5], v28 offset0:4 offset1:5
	ds_load_b64 v[14:15], v28 offset:48
	s_or_b32 s4, s0, s24
	v_cmp_gt_i64_e64 s0, s[18:19], 0
	s_and_b32 vcc_lo, exec_lo, s4
	s_wait_dscnt 0x0
	s_barrier_signal -1
	s_barrier_wait -1
	s_cbranch_vccz .LBB1075_32
; %bb.23:
	global_load_b64 v[20:21], v[20:21], off offset:-8
	v_lshlrev_b32_e32 v29, 3, v0
	s_and_b32 vcc_lo, exec_lo, s17
	ds_store_b64 v29, v[14:15]
	s_cbranch_vccz .LBB1075_34
; %bb.24:
	v_cndmask_b32_e64 v30, 0, 1, s0
	s_and_not1_b32 vcc_lo, exec_lo, s0
	s_cbranch_vccnz .LBB1075_35
; %bb.25:
	v_mad_nc_u64_u32 v[16:17], v4, s18, s[8:9]
	v_mad_nc_u64_u32 v[22:23], v14, s18, s[8:9]
	s_add_nc_u64 s[4:5], s[18:19], -1
                                        ; implicit-def: $sgpr27
	s_delay_alu instid0(SALU_CYCLE_1) | instskip(NEXT) | instid1(VALU_DEP_2)
	s_mov_b64 s[6:7], s[4:5]
	v_mad_u32 v17, v5, s18, v17
	s_delay_alu instid0(VALU_DEP_2) | instskip(NEXT) | instid1(VALU_DEP_2)
	v_mad_u32 v19, v15, s18, v23
	v_mad_u32 v17, v4, s19, v17
	s_delay_alu instid0(VALU_DEP_2) | instskip(NEXT) | instid1(VALU_DEP_2)
	v_mad_u32 v23, v14, s19, v19
	v_mov_b64_e32 v[24:25], v[16:17]
.LBB1075_26:                            ; =>This Inner Loop Header: Depth=1
	global_load_u8 v19, v[24:25], off
	global_load_u8 v26, v[22:23], off
	s_wait_xcnt 0x1
	v_add_nc_u64_e32 v[24:25], 1, v[24:25]
	s_wait_xcnt 0x0
	v_add_nc_u64_e32 v[22:23], 1, v[22:23]
	s_wait_loadcnt 0x1
	v_cmp_ne_u16_e32 vcc_lo, 0, v19
	s_wait_loadcnt 0x0
	v_cmp_ne_u16_e64 s0, 0, v26
	s_xor_b32 s0, vcc_lo, s0
	s_cmp_eq_u64 s[6:7], 0
	s_add_nc_u64 s[6:7], s[6:7], -1
	s_cselect_b32 s28, -1, 0
	s_delay_alu instid0(SALU_CYCLE_1) | instskip(NEXT) | instid1(SALU_CYCLE_1)
	s_or_b32 s28, s0, s28
	s_and_b32 s28, exec_lo, s28
	s_delay_alu instid0(SALU_CYCLE_1) | instskip(SKIP_2) | instid1(SALU_CYCLE_1)
	s_or_b32 s25, s28, s25
	s_and_not1_b32 s27, s27, exec_lo
	s_and_b32 s0, s0, exec_lo
	s_or_b32 s27, s27, s0
	s_and_not1_b32 exec_lo, exec_lo, s25
	s_cbranch_execnz .LBB1075_26
; %bb.27:
	s_or_b32 exec_lo, exec_lo, s25
	v_mad_nc_u64_u32 v[22:23], v2, s18, s[8:9]
	s_mov_b32 s6, 0
                                        ; implicit-def: $sgpr25
	s_delay_alu instid0(VALU_DEP_1) | instskip(NEXT) | instid1(VALU_DEP_1)
	v_mad_u32 v19, v3, s18, v23
	v_mad_u32 v23, v2, s19, v19
.LBB1075_28:                            ; =>This Inner Loop Header: Depth=1
	global_load_u8 v19, v[22:23], off
	global_load_u8 v24, v[16:17], off
	s_wait_xcnt 0x1
	v_add_nc_u64_e32 v[22:23], 1, v[22:23]
	s_wait_xcnt 0x0
	v_add_nc_u64_e32 v[16:17], 1, v[16:17]
	s_wait_loadcnt 0x1
	v_cmp_ne_u16_e32 vcc_lo, 0, v19
	s_wait_loadcnt 0x0
	v_cmp_ne_u16_e64 s0, 0, v24
	s_xor_b32 s0, vcc_lo, s0
	s_cmp_eq_u64 s[4:5], 0
	s_add_nc_u64 s[4:5], s[4:5], -1
	s_cselect_b32 s7, -1, 0
	s_delay_alu instid0(SALU_CYCLE_1) | instskip(NEXT) | instid1(SALU_CYCLE_1)
	s_or_b32 s7, s0, s7
	s_and_b32 s7, exec_lo, s7
	s_delay_alu instid0(SALU_CYCLE_1) | instskip(SKIP_2) | instid1(SALU_CYCLE_1)
	s_or_b32 s6, s7, s6
	s_and_not1_b32 s7, s25, exec_lo
	s_and_b32 s0, s0, exec_lo
	s_or_b32 s25, s7, s0
	s_and_not1_b32 exec_lo, exec_lo, s6
	s_cbranch_execnz .LBB1075_28
; %bb.29:
	s_or_b32 exec_lo, exec_lo, s6
	v_cndmask_b32_e64 v19, 0, 1, s27
	v_cmp_ne_u32_e32 vcc_lo, 1, v30
	s_cbranch_vccz .LBB1075_36
.LBB1075_30:
	v_mov_b32_e32 v17, 0
	s_mov_b32 s27, 0
	v_cmp_ne_u32_e32 vcc_lo, 1, v30
	s_cbranch_vccz .LBB1075_41
.LBB1075_31:
	v_mov_b32_e32 v16, 0
	s_mov_b32 s6, 0
	s_branch .LBB1075_46
.LBB1075_32:
                                        ; implicit-def: $sgpr7
                                        ; implicit-def: $vgpr19
                                        ; implicit-def: $vgpr30
                                        ; implicit-def: $vgpr17
                                        ; implicit-def: $vgpr22
	s_branch .LBB1075_85
.LBB1075_33:
                                        ; implicit-def: $vgpr32
                                        ; implicit-def: $vgpr31
                                        ; implicit-def: $vgpr20
	s_branch .LBB1075_144
.LBB1075_34:
                                        ; implicit-def: $sgpr7
                                        ; implicit-def: $vgpr19
                                        ; implicit-def: $vgpr30
                                        ; implicit-def: $vgpr17
                                        ; implicit-def: $vgpr22
	s_cbranch_execnz .LBB1075_53
	s_branch .LBB1075_84
.LBB1075_35:
	v_mov_b32_e32 v19, 0
	s_delay_alu instid0(VALU_DEP_2)
	v_cmp_ne_u32_e32 vcc_lo, 1, v30
	s_cbranch_vccnz .LBB1075_30
.LBB1075_36:
	v_mad_nc_u64_u32 v[16:17], v8, s18, s[8:9]
	v_mad_nc_u64_u32 v[22:23], v2, s18, s[8:9]
	s_add_nc_u64 s[4:5], s[18:19], -1
	s_mov_b32 s27, 0
	s_mov_b64 s[6:7], s[4:5]
                                        ; implicit-def: $sgpr28
	s_delay_alu instid0(VALU_DEP_2) | instskip(NEXT) | instid1(VALU_DEP_2)
	v_mad_u32 v17, v9, s18, v17
	v_mad_u32 v23, v3, s18, v23
	s_delay_alu instid0(VALU_DEP_2) | instskip(NEXT) | instid1(VALU_DEP_2)
	v_mad_u32 v17, v8, s19, v17
	v_mad_u32 v23, v2, s19, v23
	s_delay_alu instid0(VALU_DEP_2)
	v_mov_b64_e32 v[24:25], v[16:17]
.LBB1075_37:                            ; =>This Inner Loop Header: Depth=1
	global_load_u8 v26, v[24:25], off
	global_load_u8 v27, v[22:23], off
	s_wait_xcnt 0x1
	v_add_nc_u64_e32 v[24:25], 1, v[24:25]
	s_wait_xcnt 0x0
	v_add_nc_u64_e32 v[22:23], 1, v[22:23]
	s_wait_loadcnt 0x1
	v_cmp_ne_u16_e32 vcc_lo, 0, v26
	s_wait_loadcnt 0x0
	v_cmp_ne_u16_e64 s0, 0, v27
	s_xor_b32 s0, vcc_lo, s0
	s_cmp_eq_u64 s[6:7], 0
	s_add_nc_u64 s[6:7], s[6:7], -1
	s_cselect_b32 s29, -1, 0
	s_delay_alu instid0(SALU_CYCLE_1) | instskip(NEXT) | instid1(SALU_CYCLE_1)
	s_or_b32 s29, s0, s29
	s_and_b32 s29, exec_lo, s29
	s_delay_alu instid0(SALU_CYCLE_1) | instskip(SKIP_2) | instid1(SALU_CYCLE_1)
	s_or_b32 s27, s29, s27
	s_and_not1_b32 s28, s28, exec_lo
	s_and_b32 s0, s0, exec_lo
	s_or_b32 s28, s28, s0
	s_and_not1_b32 exec_lo, exec_lo, s27
	s_cbranch_execnz .LBB1075_37
; %bb.38:
	s_or_b32 exec_lo, exec_lo, s27
	v_mad_nc_u64_u32 v[22:23], v6, s18, s[8:9]
	s_mov_b32 s6, 0
                                        ; implicit-def: $sgpr27
	s_delay_alu instid0(VALU_DEP_1) | instskip(NEXT) | instid1(VALU_DEP_1)
	v_mad_u32 v23, v7, s18, v23
	v_mad_u32 v23, v6, s19, v23
.LBB1075_39:                            ; =>This Inner Loop Header: Depth=1
	global_load_u8 v24, v[22:23], off
	global_load_u8 v25, v[16:17], off
	s_wait_xcnt 0x1
	v_add_nc_u64_e32 v[22:23], 1, v[22:23]
	s_wait_xcnt 0x0
	v_add_nc_u64_e32 v[16:17], 1, v[16:17]
	s_wait_loadcnt 0x1
	v_cmp_ne_u16_e32 vcc_lo, 0, v24
	s_wait_loadcnt 0x0
	v_cmp_ne_u16_e64 s0, 0, v25
	s_xor_b32 s0, vcc_lo, s0
	s_cmp_eq_u64 s[4:5], 0
	s_add_nc_u64 s[4:5], s[4:5], -1
	s_cselect_b32 s7, -1, 0
	s_delay_alu instid0(SALU_CYCLE_1) | instskip(NEXT) | instid1(SALU_CYCLE_1)
	s_or_b32 s7, s0, s7
	s_and_b32 s7, exec_lo, s7
	s_delay_alu instid0(SALU_CYCLE_1) | instskip(SKIP_2) | instid1(SALU_CYCLE_1)
	s_or_b32 s6, s7, s6
	s_and_not1_b32 s7, s27, exec_lo
	s_and_b32 s0, s0, exec_lo
	s_or_b32 s27, s7, s0
	s_and_not1_b32 exec_lo, exec_lo, s6
	s_cbranch_execnz .LBB1075_39
; %bb.40:
	s_or_b32 exec_lo, exec_lo, s6
	v_cndmask_b32_e64 v17, 0, 1, s28
	v_cmp_ne_u32_e32 vcc_lo, 1, v30
	s_cbranch_vccnz .LBB1075_31
.LBB1075_41:
	v_mad_nc_u64_u32 v[22:23], v12, s18, s[8:9]
	v_mad_nc_u64_u32 v[24:25], v6, s18, s[8:9]
	s_add_nc_u64 s[4:5], s[18:19], -1
	s_mov_b32 s29, 0
	s_mov_b64 s[6:7], s[4:5]
                                        ; implicit-def: $sgpr28
	s_delay_alu instid0(VALU_DEP_2) | instskip(NEXT) | instid1(VALU_DEP_2)
	v_mad_u32 v16, v13, s18, v23
	v_mad_u32 v25, v7, s18, v25
	s_delay_alu instid0(VALU_DEP_2) | instskip(NEXT) | instid1(VALU_DEP_2)
	v_mad_u32 v23, v12, s19, v16
	v_mad_u32 v25, v6, s19, v25
	s_delay_alu instid0(VALU_DEP_2)
	v_mov_b64_e32 v[26:27], v[22:23]
.LBB1075_42:                            ; =>This Inner Loop Header: Depth=1
	global_load_u8 v16, v[26:27], off
	global_load_u8 v31, v[24:25], off
	s_wait_xcnt 0x1
	v_add_nc_u64_e32 v[26:27], 1, v[26:27]
	s_wait_xcnt 0x0
	v_add_nc_u64_e32 v[24:25], 1, v[24:25]
	s_wait_loadcnt 0x1
	v_cmp_ne_u16_e32 vcc_lo, 0, v16
	s_wait_loadcnt 0x0
	v_cmp_ne_u16_e64 s0, 0, v31
	s_xor_b32 s0, vcc_lo, s0
	s_cmp_eq_u64 s[6:7], 0
	s_add_nc_u64 s[6:7], s[6:7], -1
	s_cselect_b32 s30, -1, 0
	s_delay_alu instid0(SALU_CYCLE_1) | instskip(NEXT) | instid1(SALU_CYCLE_1)
	s_or_b32 s30, s0, s30
	s_and_b32 s30, exec_lo, s30
	s_delay_alu instid0(SALU_CYCLE_1) | instskip(SKIP_2) | instid1(SALU_CYCLE_1)
	s_or_b32 s29, s30, s29
	s_and_not1_b32 s28, s28, exec_lo
	s_and_b32 s0, s0, exec_lo
	s_or_b32 s28, s28, s0
	s_and_not1_b32 exec_lo, exec_lo, s29
	s_cbranch_execnz .LBB1075_42
; %bb.43:
	s_or_b32 exec_lo, exec_lo, s29
	v_mad_nc_u64_u32 v[24:25], v10, s18, s[8:9]
	s_mov_b32 s7, 0
                                        ; implicit-def: $sgpr6
	s_delay_alu instid0(VALU_DEP_1) | instskip(NEXT) | instid1(VALU_DEP_1)
	v_mad_u32 v16, v11, s18, v25
	v_mad_u32 v25, v10, s19, v16
.LBB1075_44:                            ; =>This Inner Loop Header: Depth=1
	global_load_u8 v16, v[24:25], off
	global_load_u8 v26, v[22:23], off
	s_wait_xcnt 0x1
	v_add_nc_u64_e32 v[24:25], 1, v[24:25]
	s_wait_xcnt 0x0
	v_add_nc_u64_e32 v[22:23], 1, v[22:23]
	s_wait_loadcnt 0x1
	v_cmp_ne_u16_e32 vcc_lo, 0, v16
	s_wait_loadcnt 0x0
	v_cmp_ne_u16_e64 s0, 0, v26
	s_xor_b32 s0, vcc_lo, s0
	s_cmp_eq_u64 s[4:5], 0
	s_add_nc_u64 s[4:5], s[4:5], -1
	s_cselect_b32 s29, -1, 0
	s_delay_alu instid0(SALU_CYCLE_1) | instskip(NEXT) | instid1(SALU_CYCLE_1)
	s_or_b32 s29, s0, s29
	s_and_b32 s29, exec_lo, s29
	s_delay_alu instid0(SALU_CYCLE_1) | instskip(SKIP_2) | instid1(SALU_CYCLE_1)
	s_or_b32 s7, s29, s7
	s_and_not1_b32 s6, s6, exec_lo
	s_and_b32 s0, s0, exec_lo
	s_or_b32 s6, s6, s0
	s_and_not1_b32 exec_lo, exec_lo, s7
	s_cbranch_execnz .LBB1075_44
; %bb.45:
	s_or_b32 exec_lo, exec_lo, s7
	v_cndmask_b32_e64 v16, 0, 1, s28
.LBB1075_46:
	s_wait_loadcnt 0x0
	v_mov_b64_e32 v[26:27], v[20:21]
	s_wait_dscnt 0x0
	s_barrier_signal -1
	s_barrier_wait -1
	s_and_saveexec_b32 s0, s3
; %bb.47:
	v_add_nc_u32_e32 v22, -8, v29
	ds_load_b64 v[26:27], v22
; %bb.48:
	s_or_b32 exec_lo, exec_lo, s0
	v_cndmask_b32_e64 v22, 0, 1, s27
	v_cndmask_b32_e64 v23, 0, 1, s6
	v_cmp_ne_u32_e32 vcc_lo, 1, v30
	s_mov_b32 s6, 0
	s_mov_b32 s7, 0
	v_lshlrev_b16 v22, 8, v22
	v_lshlrev_b16 v23, 8, v23
	s_delay_alu instid0(VALU_DEP_2) | instskip(NEXT) | instid1(VALU_DEP_2)
	v_or_b32_e32 v22, v16, v22
	v_and_b32_e32 v16, 0xffff, v23
	s_delay_alu instid0(VALU_DEP_2)
	v_lshlrev_b32_e32 v31, 16, v22
	s_cbranch_vccnz .LBB1075_52
; %bb.49:
	s_wait_dscnt 0x0
	v_mad_nc_u64_u32 v[22:23], v26, s18, s[8:9]
	v_mad_nc_u64_u32 v[24:25], v10, s18, s[8:9]
	s_add_nc_u64 s[4:5], s[18:19], -1
	s_mov_b32 s27, 0
                                        ; implicit-def: $sgpr7
	s_delay_alu instid0(VALU_DEP_2) | instskip(NEXT) | instid1(VALU_DEP_2)
	v_mad_u32 v23, v27, s18, v23
	v_mad_u32 v25, v11, s18, v25
	s_delay_alu instid0(VALU_DEP_2) | instskip(NEXT) | instid1(VALU_DEP_2)
	v_mad_u32 v23, v26, s19, v23
	v_mad_u32 v25, v10, s19, v25
.LBB1075_50:                            ; =>This Inner Loop Header: Depth=1
	global_load_u8 v26, v[22:23], off
	global_load_u8 v27, v[24:25], off
	s_wait_xcnt 0x1
	v_add_nc_u64_e32 v[22:23], 1, v[22:23]
	s_wait_xcnt 0x0
	v_add_nc_u64_e32 v[24:25], 1, v[24:25]
	s_wait_loadcnt 0x1
	v_cmp_ne_u16_e32 vcc_lo, 0, v26
	s_wait_loadcnt 0x0
	v_cmp_ne_u16_e64 s0, 0, v27
	s_xor_b32 s0, vcc_lo, s0
	s_cmp_eq_u64 s[4:5], 0
	s_add_nc_u64 s[4:5], s[4:5], -1
	s_cselect_b32 s28, -1, 0
	s_delay_alu instid0(SALU_CYCLE_1) | instskip(NEXT) | instid1(SALU_CYCLE_1)
	s_or_b32 s28, s0, s28
	s_and_b32 s28, exec_lo, s28
	s_delay_alu instid0(SALU_CYCLE_1) | instskip(SKIP_2) | instid1(SALU_CYCLE_1)
	s_or_b32 s27, s28, s27
	s_and_not1_b32 s7, s7, exec_lo
	s_and_b32 s0, s0, exec_lo
	s_or_b32 s7, s7, s0
	s_and_not1_b32 exec_lo, exec_lo, s27
	s_cbranch_execnz .LBB1075_50
; %bb.51:
	s_or_b32 exec_lo, exec_lo, s27
.LBB1075_52:
	v_cndmask_b32_e64 v30, 0, 1, s25
	s_delay_alu instid0(VALU_DEP_2)
	v_or_b32_e32 v22, v16, v31
	s_and_b32 vcc_lo, exec_lo, s6
	s_cbranch_vccz .LBB1075_84
.LBB1075_53:
	v_add_nc_u32_e32 v16, 6, v1
	s_xor_b32 s7, s26, -1
	s_mov_b32 s6, 0
	s_delay_alu instid0(VALU_DEP_1)
	v_cmp_gt_u32_e32 vcc_lo, s23, v16
	s_and_b32 s0, vcc_lo, s7
	s_wait_xcnt 0x0
	s_and_saveexec_b32 s25, s0
	s_cbranch_execz .LBB1075_57
; %bb.54:
	v_mad_nc_u64_u32 v[16:17], v4, s18, s[8:9]
	v_mad_nc_u64_u32 v[22:23], v14, s18, s[8:9]
	s_add_nc_u64 s[4:5], s[18:19], -1
                                        ; implicit-def: $sgpr26
	s_delay_alu instid0(VALU_DEP_2) | instskip(NEXT) | instid1(VALU_DEP_2)
	v_mad_u32 v17, v5, s18, v17
	v_mad_u32 v19, v15, s18, v23
	s_delay_alu instid0(VALU_DEP_2) | instskip(NEXT) | instid1(VALU_DEP_2)
	v_mad_u32 v17, v4, s19, v17
	v_mad_u32 v23, v14, s19, v19
.LBB1075_55:                            ; =>This Inner Loop Header: Depth=1
	global_load_u8 v19, v[16:17], off
	global_load_u8 v24, v[22:23], off
	s_wait_xcnt 0x1
	v_add_nc_u64_e32 v[16:17], 1, v[16:17]
	s_wait_xcnt 0x0
	v_add_nc_u64_e32 v[22:23], 1, v[22:23]
	s_wait_loadcnt 0x1
	v_cmp_ne_u16_e32 vcc_lo, 0, v19
	s_wait_loadcnt 0x0
	v_cmp_ne_u16_e64 s0, 0, v24
	s_xor_b32 s0, vcc_lo, s0
	s_cmp_eq_u64 s[4:5], 0
	s_add_nc_u64 s[4:5], s[4:5], -1
	s_cselect_b32 s27, -1, 0
	s_delay_alu instid0(SALU_CYCLE_1) | instskip(NEXT) | instid1(SALU_CYCLE_1)
	s_or_b32 s27, s0, s27
	s_and_b32 s27, exec_lo, s27
	s_delay_alu instid0(SALU_CYCLE_1) | instskip(SKIP_2) | instid1(SALU_CYCLE_1)
	s_or_b32 s6, s27, s6
	s_and_not1_b32 s26, s26, exec_lo
	s_and_b32 s0, s0, exec_lo
	s_or_b32 s26, s26, s0
	s_and_not1_b32 exec_lo, exec_lo, s6
	s_cbranch_execnz .LBB1075_55
; %bb.56:
	s_or_b32 exec_lo, exec_lo, s6
	s_delay_alu instid0(SALU_CYCLE_1)
	s_and_b32 s6, s26, exec_lo
.LBB1075_57:
	s_or_b32 exec_lo, exec_lo, s25
	v_add_nc_u32_e32 v16, 5, v1
	s_mov_b32 s25, 0
	s_delay_alu instid0(VALU_DEP_1) | instskip(SKIP_1) | instid1(SALU_CYCLE_1)
	v_cmp_gt_u32_e32 vcc_lo, s23, v16
	s_and_b32 s0, vcc_lo, s7
	s_and_saveexec_b32 s26, s0
	s_cbranch_execz .LBB1075_61
; %bb.58:
	v_mad_nc_u64_u32 v[16:17], v2, s18, s[8:9]
	v_mad_nc_u64_u32 v[22:23], v4, s18, s[8:9]
	s_add_nc_u64 s[4:5], s[18:19], -1
                                        ; implicit-def: $sgpr27
	s_delay_alu instid0(VALU_DEP_2) | instskip(NEXT) | instid1(VALU_DEP_2)
	v_mad_u32 v17, v3, s18, v17
	v_mad_u32 v19, v5, s18, v23
	s_delay_alu instid0(VALU_DEP_2) | instskip(NEXT) | instid1(VALU_DEP_2)
	v_mad_u32 v17, v2, s19, v17
	v_mad_u32 v23, v4, s19, v19
.LBB1075_59:                            ; =>This Inner Loop Header: Depth=1
	global_load_u8 v19, v[16:17], off
	global_load_u8 v24, v[22:23], off
	s_wait_xcnt 0x1
	v_add_nc_u64_e32 v[16:17], 1, v[16:17]
	s_wait_xcnt 0x0
	v_add_nc_u64_e32 v[22:23], 1, v[22:23]
	s_wait_loadcnt 0x1
	v_cmp_ne_u16_e32 vcc_lo, 0, v19
	s_wait_loadcnt 0x0
	v_cmp_ne_u16_e64 s0, 0, v24
	s_xor_b32 s0, vcc_lo, s0
	s_cmp_eq_u64 s[4:5], 0
	s_add_nc_u64 s[4:5], s[4:5], -1
	s_cselect_b32 s28, -1, 0
	s_delay_alu instid0(SALU_CYCLE_1) | instskip(NEXT) | instid1(SALU_CYCLE_1)
	s_or_b32 s28, s0, s28
	s_and_b32 s28, exec_lo, s28
	s_delay_alu instid0(SALU_CYCLE_1) | instskip(SKIP_2) | instid1(SALU_CYCLE_1)
	s_or_b32 s25, s28, s25
	s_and_not1_b32 s27, s27, exec_lo
	s_and_b32 s0, s0, exec_lo
	s_or_b32 s27, s27, s0
	s_and_not1_b32 exec_lo, exec_lo, s25
	s_cbranch_execnz .LBB1075_59
; %bb.60:
	s_or_b32 exec_lo, exec_lo, s25
	s_delay_alu instid0(SALU_CYCLE_1)
	s_and_b32 s25, s27, exec_lo
.LBB1075_61:
	s_or_b32 exec_lo, exec_lo, s26
	v_add_nc_u32_e32 v16, 4, v1
	s_mov_b32 s26, 0
	s_delay_alu instid0(VALU_DEP_1) | instskip(SKIP_1) | instid1(SALU_CYCLE_1)
	v_cmp_gt_u32_e32 vcc_lo, s23, v16
	s_and_b32 s0, vcc_lo, s7
	s_and_saveexec_b32 s27, s0
	s_cbranch_execz .LBB1075_65
; %bb.62:
	v_mad_nc_u64_u32 v[16:17], v8, s18, s[8:9]
	v_mad_nc_u64_u32 v[22:23], v2, s18, s[8:9]
	s_add_nc_u64 s[4:5], s[18:19], -1
                                        ; implicit-def: $sgpr28
	s_delay_alu instid0(VALU_DEP_2) | instskip(NEXT) | instid1(VALU_DEP_2)
	v_mad_u32 v17, v9, s18, v17
	v_mad_u32 v19, v3, s18, v23
	s_delay_alu instid0(VALU_DEP_2) | instskip(NEXT) | instid1(VALU_DEP_2)
	v_mad_u32 v17, v8, s19, v17
	v_mad_u32 v23, v2, s19, v19
.LBB1075_63:                            ; =>This Inner Loop Header: Depth=1
	global_load_u8 v19, v[16:17], off
	global_load_u8 v24, v[22:23], off
	s_wait_xcnt 0x1
	v_add_nc_u64_e32 v[16:17], 1, v[16:17]
	s_wait_xcnt 0x0
	v_add_nc_u64_e32 v[22:23], 1, v[22:23]
	s_wait_loadcnt 0x1
	v_cmp_ne_u16_e32 vcc_lo, 0, v19
	s_wait_loadcnt 0x0
	v_cmp_ne_u16_e64 s0, 0, v24
	s_xor_b32 s0, vcc_lo, s0
	s_cmp_eq_u64 s[4:5], 0
	s_add_nc_u64 s[4:5], s[4:5], -1
	s_cselect_b32 s29, -1, 0
	s_delay_alu instid0(SALU_CYCLE_1) | instskip(NEXT) | instid1(SALU_CYCLE_1)
	s_or_b32 s29, s0, s29
	s_and_b32 s29, exec_lo, s29
	s_delay_alu instid0(SALU_CYCLE_1) | instskip(SKIP_2) | instid1(SALU_CYCLE_1)
	s_or_b32 s26, s29, s26
	s_and_not1_b32 s28, s28, exec_lo
	s_and_b32 s0, s0, exec_lo
	s_or_b32 s28, s28, s0
	s_and_not1_b32 exec_lo, exec_lo, s26
	s_cbranch_execnz .LBB1075_63
; %bb.64:
	s_or_b32 exec_lo, exec_lo, s26
	s_delay_alu instid0(SALU_CYCLE_1)
	s_and_b32 s26, s28, exec_lo
.LBB1075_65:
	s_or_b32 exec_lo, exec_lo, s27
	v_add_nc_u32_e32 v16, 3, v1
	s_mov_b32 s27, 0
	s_delay_alu instid0(VALU_DEP_1) | instskip(SKIP_1) | instid1(SALU_CYCLE_1)
	v_cmp_gt_u32_e32 vcc_lo, s23, v16
	s_and_b32 s0, vcc_lo, s7
	s_and_saveexec_b32 s28, s0
	s_cbranch_execz .LBB1075_69
; %bb.66:
	v_mad_nc_u64_u32 v[16:17], v6, s18, s[8:9]
	v_mad_nc_u64_u32 v[22:23], v8, s18, s[8:9]
	s_add_nc_u64 s[4:5], s[18:19], -1
                                        ; implicit-def: $sgpr29
	s_delay_alu instid0(VALU_DEP_2) | instskip(NEXT) | instid1(VALU_DEP_2)
	v_mad_u32 v17, v7, s18, v17
	v_mad_u32 v19, v9, s18, v23
	s_delay_alu instid0(VALU_DEP_2) | instskip(NEXT) | instid1(VALU_DEP_2)
	v_mad_u32 v17, v6, s19, v17
	v_mad_u32 v23, v8, s19, v19
.LBB1075_67:                            ; =>This Inner Loop Header: Depth=1
	global_load_u8 v19, v[16:17], off
	global_load_u8 v24, v[22:23], off
	s_wait_xcnt 0x1
	v_add_nc_u64_e32 v[16:17], 1, v[16:17]
	s_wait_xcnt 0x0
	v_add_nc_u64_e32 v[22:23], 1, v[22:23]
	s_wait_loadcnt 0x1
	v_cmp_ne_u16_e32 vcc_lo, 0, v19
	s_wait_loadcnt 0x0
	v_cmp_ne_u16_e64 s0, 0, v24
	s_xor_b32 s0, vcc_lo, s0
	s_cmp_eq_u64 s[4:5], 0
	s_add_nc_u64 s[4:5], s[4:5], -1
	s_cselect_b32 s30, -1, 0
	s_delay_alu instid0(SALU_CYCLE_1) | instskip(NEXT) | instid1(SALU_CYCLE_1)
	s_or_b32 s30, s0, s30
	s_and_b32 s30, exec_lo, s30
	s_delay_alu instid0(SALU_CYCLE_1) | instskip(SKIP_2) | instid1(SALU_CYCLE_1)
	s_or_b32 s27, s30, s27
	s_and_not1_b32 s29, s29, exec_lo
	s_and_b32 s0, s0, exec_lo
	s_or_b32 s29, s29, s0
	s_and_not1_b32 exec_lo, exec_lo, s27
	s_cbranch_execnz .LBB1075_67
; %bb.68:
	s_or_b32 exec_lo, exec_lo, s27
	s_delay_alu instid0(SALU_CYCLE_1)
	s_and_b32 s27, s29, exec_lo
.LBB1075_69:
	s_or_b32 exec_lo, exec_lo, s28
	v_add_nc_u32_e32 v16, 2, v1
	s_mov_b32 s28, 0
	s_delay_alu instid0(VALU_DEP_1) | instskip(SKIP_1) | instid1(SALU_CYCLE_1)
	v_cmp_gt_u32_e32 vcc_lo, s23, v16
	s_and_b32 s0, vcc_lo, s7
	s_and_saveexec_b32 s29, s0
	s_cbranch_execz .LBB1075_73
; %bb.70:
	v_mad_nc_u64_u32 v[16:17], v12, s18, s[8:9]
	v_mad_nc_u64_u32 v[22:23], v6, s18, s[8:9]
	s_add_nc_u64 s[4:5], s[18:19], -1
                                        ; implicit-def: $sgpr30
	s_delay_alu instid0(VALU_DEP_2) | instskip(NEXT) | instid1(VALU_DEP_2)
	v_mad_u32 v17, v13, s18, v17
	v_mad_u32 v19, v7, s18, v23
	s_delay_alu instid0(VALU_DEP_2) | instskip(NEXT) | instid1(VALU_DEP_2)
	v_mad_u32 v17, v12, s19, v17
	v_mad_u32 v23, v6, s19, v19
.LBB1075_71:                            ; =>This Inner Loop Header: Depth=1
	global_load_u8 v19, v[16:17], off
	global_load_u8 v24, v[22:23], off
	s_wait_xcnt 0x1
	v_add_nc_u64_e32 v[16:17], 1, v[16:17]
	s_wait_xcnt 0x0
	v_add_nc_u64_e32 v[22:23], 1, v[22:23]
	s_wait_loadcnt 0x1
	v_cmp_ne_u16_e32 vcc_lo, 0, v19
	s_wait_loadcnt 0x0
	v_cmp_ne_u16_e64 s0, 0, v24
	s_xor_b32 s0, vcc_lo, s0
	s_cmp_eq_u64 s[4:5], 0
	s_add_nc_u64 s[4:5], s[4:5], -1
	s_cselect_b32 s31, -1, 0
	s_delay_alu instid0(SALU_CYCLE_1) | instskip(NEXT) | instid1(SALU_CYCLE_1)
	s_or_b32 s31, s0, s31
	s_and_b32 s31, exec_lo, s31
	s_delay_alu instid0(SALU_CYCLE_1) | instskip(SKIP_2) | instid1(SALU_CYCLE_1)
	s_or_b32 s28, s31, s28
	s_and_not1_b32 s30, s30, exec_lo
	s_and_b32 s0, s0, exec_lo
	s_or_b32 s30, s30, s0
	s_and_not1_b32 exec_lo, exec_lo, s28
	s_cbranch_execnz .LBB1075_71
; %bb.72:
	s_or_b32 exec_lo, exec_lo, s28
	s_delay_alu instid0(SALU_CYCLE_1)
	s_and_b32 s28, s30, exec_lo
.LBB1075_73:
	s_or_b32 exec_lo, exec_lo, s29
	v_add_nc_u32_e32 v16, 1, v1
	s_mov_b32 s0, 0
	s_delay_alu instid0(VALU_DEP_1) | instskip(SKIP_1) | instid1(SALU_CYCLE_1)
	v_cmp_gt_u32_e32 vcc_lo, s23, v16
	s_and_b32 s4, vcc_lo, s7
	s_and_saveexec_b32 s29, s4
	s_cbranch_execz .LBB1075_77
; %bb.74:
	v_mad_nc_u64_u32 v[16:17], v10, s18, s[8:9]
	v_mad_nc_u64_u32 v[22:23], v12, s18, s[8:9]
	s_add_nc_u64 s[4:5], s[18:19], -1
	s_mov_b32 s30, 0
                                        ; implicit-def: $sgpr31
	s_delay_alu instid0(VALU_DEP_2) | instskip(NEXT) | instid1(VALU_DEP_2)
	v_mad_u32 v17, v11, s18, v17
	v_mad_u32 v19, v13, s18, v23
	s_delay_alu instid0(VALU_DEP_2) | instskip(NEXT) | instid1(VALU_DEP_2)
	v_mad_u32 v17, v10, s19, v17
	v_mad_u32 v23, v12, s19, v19
.LBB1075_75:                            ; =>This Inner Loop Header: Depth=1
	global_load_u8 v19, v[16:17], off
	global_load_u8 v24, v[22:23], off
	s_wait_xcnt 0x1
	v_add_nc_u64_e32 v[16:17], 1, v[16:17]
	s_wait_xcnt 0x0
	v_add_nc_u64_e32 v[22:23], 1, v[22:23]
	s_wait_loadcnt 0x1
	v_cmp_ne_u16_e32 vcc_lo, 0, v19
	s_wait_loadcnt 0x0
	v_cmp_ne_u16_e64 s0, 0, v24
	s_xor_b32 s0, vcc_lo, s0
	s_cmp_eq_u64 s[4:5], 0
	s_add_nc_u64 s[4:5], s[4:5], -1
	s_cselect_b32 s33, -1, 0
	s_delay_alu instid0(SALU_CYCLE_1) | instskip(NEXT) | instid1(SALU_CYCLE_1)
	s_or_b32 s33, s0, s33
	s_and_b32 s33, exec_lo, s33
	s_delay_alu instid0(SALU_CYCLE_1) | instskip(SKIP_2) | instid1(SALU_CYCLE_1)
	s_or_b32 s30, s33, s30
	s_and_not1_b32 s31, s31, exec_lo
	s_and_b32 s0, s0, exec_lo
	s_or_b32 s31, s31, s0
	s_and_not1_b32 exec_lo, exec_lo, s30
	s_cbranch_execnz .LBB1075_75
; %bb.76:
	s_or_b32 exec_lo, exec_lo, s30
	s_delay_alu instid0(SALU_CYCLE_1)
	s_and_b32 s0, s31, exec_lo
.LBB1075_77:
	s_or_b32 exec_lo, exec_lo, s29
	s_wait_loadcnt_dscnt 0x0
	s_barrier_signal -1
	s_barrier_wait -1
	s_and_saveexec_b32 s4, s3
; %bb.78:
	v_add_nc_u32_e32 v16, -8, v29
	ds_load_b64 v[20:21], v16
; %bb.79:
	s_or_b32 exec_lo, exec_lo, s4
	v_cndmask_b32_e64 v16, 0, 1, s27
	v_cndmask_b32_e64 v17, 0, 1, s28
	;; [unrolled: 1-line block ×3, first 2 shown]
	v_cmp_gt_u32_e32 vcc_lo, s23, v1
	s_delay_alu instid0(VALU_DEP_4) | instskip(NEXT) | instid1(VALU_DEP_3)
	v_lshlrev_b16 v16, 8, v16
	v_lshlrev_b16 v19, 8, v19
	s_and_b32 s0, vcc_lo, s7
	s_mov_b32 s7, 0
	s_delay_alu instid0(VALU_DEP_2) | instskip(NEXT) | instid1(VALU_DEP_2)
	v_or_b32_e32 v16, v17, v16
	v_and_b32_e32 v24, 0xffff, v19
	s_delay_alu instid0(VALU_DEP_2)
	v_lshlrev_b32_e32 v25, 16, v16
	s_and_saveexec_b32 s27, s0
	s_cbranch_execz .LBB1075_83
; %bb.80:
	s_wait_dscnt 0x0
	v_mad_nc_u64_u32 v[16:17], v20, s18, s[8:9]
	v_mad_nc_u64_u32 v[22:23], v10, s18, s[8:9]
	s_add_nc_u64 s[4:5], s[18:19], -1
                                        ; implicit-def: $sgpr28
	s_delay_alu instid0(VALU_DEP_2) | instskip(NEXT) | instid1(VALU_DEP_2)
	v_mad_u32 v17, v21, s18, v17
	v_mad_u32 v19, v11, s18, v23
	s_delay_alu instid0(VALU_DEP_2) | instskip(NEXT) | instid1(VALU_DEP_2)
	v_mad_u32 v17, v20, s19, v17
	v_mad_u32 v23, v10, s19, v19
.LBB1075_81:                            ; =>This Inner Loop Header: Depth=1
	global_load_u8 v19, v[16:17], off
	global_load_u8 v20, v[22:23], off
	s_wait_xcnt 0x1
	v_add_nc_u64_e32 v[16:17], 1, v[16:17]
	s_wait_xcnt 0x0
	v_add_nc_u64_e32 v[22:23], 1, v[22:23]
	s_wait_loadcnt 0x1
	v_cmp_ne_u16_e32 vcc_lo, 0, v19
	s_wait_loadcnt 0x0
	v_cmp_ne_u16_e64 s0, 0, v20
	s_xor_b32 s0, vcc_lo, s0
	s_cmp_eq_u64 s[4:5], 0
	s_add_nc_u64 s[4:5], s[4:5], -1
	s_cselect_b32 s29, -1, 0
	s_delay_alu instid0(SALU_CYCLE_1) | instskip(NEXT) | instid1(SALU_CYCLE_1)
	s_or_b32 s29, s0, s29
	s_and_b32 s29, exec_lo, s29
	s_delay_alu instid0(SALU_CYCLE_1) | instskip(SKIP_2) | instid1(SALU_CYCLE_1)
	s_or_b32 s7, s29, s7
	s_and_not1_b32 s28, s28, exec_lo
	s_and_b32 s0, s0, exec_lo
	s_or_b32 s28, s28, s0
	s_and_not1_b32 exec_lo, exec_lo, s7
	s_cbranch_execnz .LBB1075_81
; %bb.82:
	s_or_b32 exec_lo, exec_lo, s7
	s_delay_alu instid0(SALU_CYCLE_1)
	s_and_b32 s7, s28, exec_lo
.LBB1075_83:
	s_or_b32 exec_lo, exec_lo, s27
	v_cndmask_b32_e64 v17, 0, 1, s26
	v_cndmask_b32_e64 v30, 0, 1, s25
	;; [unrolled: 1-line block ×3, first 2 shown]
	v_or_b32_e32 v22, v24, v25
.LBB1075_84:
	s_mov_b32 s25, -1
	s_cbranch_execnz .LBB1075_33
.LBB1075_85:
	v_cmp_lt_i64_e64 s26, s[18:19], 1
	v_cmp_gt_i64_e64 s0, s[18:19], 0
	s_wait_dscnt 0x0
	v_mad_i32_i24 v26, 0xffffffd0, v0, v28
	s_and_b32 vcc_lo, exec_lo, s17
	ds_store_b64 v26, v[14:15]
	s_cbranch_vccz .LBB1075_94
; %bb.86:
	v_cndmask_b32_e64 v27, 0, 1, s0
	s_and_not1_b32 vcc_lo, exec_lo, s0
	s_cbranch_vccnz .LBB1075_95
; %bb.87:
	v_mad_nc_u64_u32 v[16:17], v4, s18, s[8:9]
	s_wait_loadcnt 0x0
	v_mad_nc_u64_u32 v[20:21], v14, s18, s[8:9]
	s_add_nc_u64 s[4:5], s[18:19], -1
	s_mov_b32 s27, 0
	s_mov_b64 s[6:7], s[4:5]
                                        ; implicit-def: $sgpr28
	s_delay_alu instid0(VALU_DEP_2) | instskip(NEXT) | instid1(VALU_DEP_2)
	v_mad_u32 v17, v5, s18, v17
	v_mad_u32 v19, v15, s18, v21
	s_delay_alu instid0(VALU_DEP_2) | instskip(NEXT) | instid1(VALU_DEP_2)
	v_mad_u32 v17, v4, s19, v17
	v_mad_u32 v21, v14, s19, v19
	s_delay_alu instid0(VALU_DEP_2)
	v_mov_b64_e32 v[22:23], v[16:17]
.LBB1075_88:                            ; =>This Inner Loop Header: Depth=1
	global_load_u8 v19, v[22:23], off
	global_load_u8 v24, v[20:21], off
	s_wait_xcnt 0x1
	v_add_nc_u64_e32 v[22:23], 1, v[22:23]
	s_wait_xcnt 0x0
	v_add_nc_u64_e32 v[20:21], 1, v[20:21]
	s_wait_loadcnt 0x1
	v_cmp_ne_u16_e32 vcc_lo, 0, v19
	s_wait_loadcnt 0x0
	v_cmp_ne_u16_e64 s0, 0, v24
	s_xor_b32 s0, vcc_lo, s0
	s_cmp_eq_u64 s[6:7], 0
	s_add_nc_u64 s[6:7], s[6:7], -1
	s_cselect_b32 s29, -1, 0
	s_delay_alu instid0(SALU_CYCLE_1) | instskip(NEXT) | instid1(SALU_CYCLE_1)
	s_or_b32 s29, s0, s29
	s_and_b32 s29, exec_lo, s29
	s_delay_alu instid0(SALU_CYCLE_1) | instskip(SKIP_2) | instid1(SALU_CYCLE_1)
	s_or_b32 s27, s29, s27
	s_and_not1_b32 s28, s28, exec_lo
	s_and_b32 s0, s0, exec_lo
	s_or_b32 s28, s28, s0
	s_and_not1_b32 exec_lo, exec_lo, s27
	s_cbranch_execnz .LBB1075_88
; %bb.89:
	s_or_b32 exec_lo, exec_lo, s27
	v_mad_nc_u64_u32 v[20:21], v2, s18, s[8:9]
	s_mov_b32 s6, 0
                                        ; implicit-def: $sgpr27
	s_delay_alu instid0(VALU_DEP_1) | instskip(NEXT) | instid1(VALU_DEP_1)
	v_mad_u32 v19, v3, s18, v21
	v_mad_u32 v21, v2, s19, v19
.LBB1075_90:                            ; =>This Inner Loop Header: Depth=1
	global_load_u8 v19, v[20:21], off
	global_load_u8 v22, v[16:17], off
	s_wait_xcnt 0x1
	v_add_nc_u64_e32 v[20:21], 1, v[20:21]
	s_wait_xcnt 0x0
	v_add_nc_u64_e32 v[16:17], 1, v[16:17]
	s_wait_loadcnt 0x1
	v_cmp_ne_u16_e32 vcc_lo, 0, v19
	s_wait_loadcnt 0x0
	v_cmp_ne_u16_e64 s0, 0, v22
	s_xor_b32 s0, vcc_lo, s0
	s_cmp_eq_u64 s[4:5], 0
	s_add_nc_u64 s[4:5], s[4:5], -1
	s_cselect_b32 s7, -1, 0
	s_delay_alu instid0(SALU_CYCLE_1) | instskip(NEXT) | instid1(SALU_CYCLE_1)
	s_or_b32 s7, s0, s7
	s_and_b32 s7, exec_lo, s7
	s_delay_alu instid0(SALU_CYCLE_1) | instskip(SKIP_2) | instid1(SALU_CYCLE_1)
	s_or_b32 s6, s7, s6
	s_and_not1_b32 s7, s27, exec_lo
	s_and_b32 s0, s0, exec_lo
	s_or_b32 s27, s7, s0
	s_and_not1_b32 exec_lo, exec_lo, s6
	s_cbranch_execnz .LBB1075_90
; %bb.91:
	s_or_b32 exec_lo, exec_lo, s6
	v_cndmask_b32_e64 v19, 0, 1, s28
	v_cmp_ne_u32_e32 vcc_lo, 1, v27
	s_cbranch_vccz .LBB1075_96
.LBB1075_92:
	v_mov_b32_e32 v17, 0
	s_mov_b32 s28, 0
	v_cmp_ne_u32_e32 vcc_lo, 1, v27
	s_cbranch_vccz .LBB1075_101
.LBB1075_93:
	v_mov_b32_e32 v31, 0
	s_mov_b32 s6, 0
	s_branch .LBB1075_106
.LBB1075_94:
                                        ; implicit-def: $sgpr7
                                        ; implicit-def: $vgpr19
                                        ; implicit-def: $vgpr30
                                        ; implicit-def: $vgpr17
                                        ; implicit-def: $vgpr22
                                        ; implicit-def: $vgpr32
                                        ; implicit-def: $vgpr31
                                        ; implicit-def: $vgpr20
	s_cbranch_execnz .LBB1075_113
	s_branch .LBB1075_144
.LBB1075_95:
	v_mov_b32_e32 v19, 0
	s_mov_b32 s27, 0
	v_cmp_ne_u32_e32 vcc_lo, 1, v27
	s_cbranch_vccnz .LBB1075_92
.LBB1075_96:
	v_mad_nc_u64_u32 v[16:17], v8, s18, s[8:9]
	s_wait_loadcnt 0x0
	v_mad_nc_u64_u32 v[20:21], v2, s18, s[8:9]
	s_add_nc_u64 s[4:5], s[18:19], -1
	s_mov_b32 s28, 0
	s_mov_b64 s[6:7], s[4:5]
                                        ; implicit-def: $sgpr29
	s_delay_alu instid0(VALU_DEP_2) | instskip(NEXT) | instid1(VALU_DEP_2)
	v_mad_u32 v17, v9, s18, v17
	v_mad_u32 v21, v3, s18, v21
	s_delay_alu instid0(VALU_DEP_2) | instskip(NEXT) | instid1(VALU_DEP_2)
	v_mad_u32 v17, v8, s19, v17
	v_mad_u32 v21, v2, s19, v21
	s_delay_alu instid0(VALU_DEP_2)
	v_mov_b64_e32 v[22:23], v[16:17]
.LBB1075_97:                            ; =>This Inner Loop Header: Depth=1
	global_load_u8 v24, v[22:23], off
	global_load_u8 v25, v[20:21], off
	s_wait_xcnt 0x1
	v_add_nc_u64_e32 v[22:23], 1, v[22:23]
	s_wait_xcnt 0x0
	v_add_nc_u64_e32 v[20:21], 1, v[20:21]
	s_wait_loadcnt 0x1
	v_cmp_ne_u16_e32 vcc_lo, 0, v24
	s_wait_loadcnt 0x0
	v_cmp_ne_u16_e64 s0, 0, v25
	s_xor_b32 s0, vcc_lo, s0
	s_cmp_eq_u64 s[6:7], 0
	s_add_nc_u64 s[6:7], s[6:7], -1
	s_cselect_b32 s30, -1, 0
	s_delay_alu instid0(SALU_CYCLE_1) | instskip(NEXT) | instid1(SALU_CYCLE_1)
	s_or_b32 s30, s0, s30
	s_and_b32 s30, exec_lo, s30
	s_delay_alu instid0(SALU_CYCLE_1) | instskip(SKIP_2) | instid1(SALU_CYCLE_1)
	s_or_b32 s28, s30, s28
	s_and_not1_b32 s29, s29, exec_lo
	s_and_b32 s0, s0, exec_lo
	s_or_b32 s29, s29, s0
	s_and_not1_b32 exec_lo, exec_lo, s28
	s_cbranch_execnz .LBB1075_97
; %bb.98:
	s_or_b32 exec_lo, exec_lo, s28
	v_mad_nc_u64_u32 v[20:21], v6, s18, s[8:9]
	s_mov_b32 s6, 0
                                        ; implicit-def: $sgpr28
	s_delay_alu instid0(VALU_DEP_1) | instskip(NEXT) | instid1(VALU_DEP_1)
	v_mad_u32 v21, v7, s18, v21
	v_mad_u32 v21, v6, s19, v21
.LBB1075_99:                            ; =>This Inner Loop Header: Depth=1
	global_load_u8 v22, v[20:21], off
	global_load_u8 v23, v[16:17], off
	s_wait_xcnt 0x1
	v_add_nc_u64_e32 v[20:21], 1, v[20:21]
	s_wait_xcnt 0x0
	v_add_nc_u64_e32 v[16:17], 1, v[16:17]
	s_wait_loadcnt 0x1
	v_cmp_ne_u16_e32 vcc_lo, 0, v22
	s_wait_loadcnt 0x0
	v_cmp_ne_u16_e64 s0, 0, v23
	s_xor_b32 s0, vcc_lo, s0
	s_cmp_eq_u64 s[4:5], 0
	s_add_nc_u64 s[4:5], s[4:5], -1
	s_cselect_b32 s7, -1, 0
	s_delay_alu instid0(SALU_CYCLE_1) | instskip(NEXT) | instid1(SALU_CYCLE_1)
	s_or_b32 s7, s0, s7
	s_and_b32 s7, exec_lo, s7
	s_delay_alu instid0(SALU_CYCLE_1) | instskip(SKIP_2) | instid1(SALU_CYCLE_1)
	s_or_b32 s6, s7, s6
	s_and_not1_b32 s7, s28, exec_lo
	s_and_b32 s0, s0, exec_lo
	s_or_b32 s28, s7, s0
	s_and_not1_b32 exec_lo, exec_lo, s6
	s_cbranch_execnz .LBB1075_99
; %bb.100:
	s_or_b32 exec_lo, exec_lo, s6
	v_cndmask_b32_e64 v17, 0, 1, s29
	v_cmp_ne_u32_e32 vcc_lo, 1, v27
	s_cbranch_vccnz .LBB1075_93
.LBB1075_101:
	s_wait_loadcnt 0x0
	v_mad_nc_u64_u32 v[20:21], v12, s18, s[8:9]
	v_mad_nc_u64_u32 v[22:23], v6, s18, s[8:9]
	s_add_nc_u64 s[4:5], s[18:19], -1
	s_mov_b32 s30, 0
	s_mov_b64 s[6:7], s[4:5]
                                        ; implicit-def: $sgpr29
	s_delay_alu instid0(VALU_DEP_2) | instskip(NEXT) | instid1(VALU_DEP_2)
	v_mad_u32 v16, v13, s18, v21
	v_mad_u32 v23, v7, s18, v23
	s_delay_alu instid0(VALU_DEP_2) | instskip(NEXT) | instid1(VALU_DEP_2)
	v_mad_u32 v21, v12, s19, v16
	v_mad_u32 v23, v6, s19, v23
	s_delay_alu instid0(VALU_DEP_2)
	v_mov_b64_e32 v[24:25], v[20:21]
.LBB1075_102:                           ; =>This Inner Loop Header: Depth=1
	global_load_u8 v16, v[24:25], off
	global_load_u8 v28, v[22:23], off
	s_wait_xcnt 0x1
	v_add_nc_u64_e32 v[24:25], 1, v[24:25]
	s_wait_xcnt 0x0
	v_add_nc_u64_e32 v[22:23], 1, v[22:23]
	s_wait_loadcnt 0x1
	v_cmp_ne_u16_e32 vcc_lo, 0, v16
	s_wait_loadcnt 0x0
	v_cmp_ne_u16_e64 s0, 0, v28
	s_xor_b32 s0, vcc_lo, s0
	s_cmp_eq_u64 s[6:7], 0
	s_add_nc_u64 s[6:7], s[6:7], -1
	s_cselect_b32 s31, -1, 0
	s_delay_alu instid0(SALU_CYCLE_1) | instskip(NEXT) | instid1(SALU_CYCLE_1)
	s_or_b32 s31, s0, s31
	s_and_b32 s31, exec_lo, s31
	s_delay_alu instid0(SALU_CYCLE_1) | instskip(SKIP_2) | instid1(SALU_CYCLE_1)
	s_or_b32 s30, s31, s30
	s_and_not1_b32 s29, s29, exec_lo
	s_and_b32 s0, s0, exec_lo
	s_or_b32 s29, s29, s0
	s_and_not1_b32 exec_lo, exec_lo, s30
	s_cbranch_execnz .LBB1075_102
; %bb.103:
	s_or_b32 exec_lo, exec_lo, s30
	v_mad_nc_u64_u32 v[22:23], v10, s18, s[8:9]
	s_mov_b32 s7, 0
                                        ; implicit-def: $sgpr6
	s_delay_alu instid0(VALU_DEP_1) | instskip(NEXT) | instid1(VALU_DEP_1)
	v_mad_u32 v16, v11, s18, v23
	v_mad_u32 v23, v10, s19, v16
.LBB1075_104:                           ; =>This Inner Loop Header: Depth=1
	global_load_u8 v16, v[22:23], off
	global_load_u8 v24, v[20:21], off
	s_wait_xcnt 0x1
	v_add_nc_u64_e32 v[22:23], 1, v[22:23]
	s_wait_xcnt 0x0
	v_add_nc_u64_e32 v[20:21], 1, v[20:21]
	s_wait_loadcnt 0x1
	v_cmp_ne_u16_e32 vcc_lo, 0, v16
	s_wait_loadcnt 0x0
	v_cmp_ne_u16_e64 s0, 0, v24
	s_xor_b32 s0, vcc_lo, s0
	s_cmp_eq_u64 s[4:5], 0
	s_add_nc_u64 s[4:5], s[4:5], -1
	s_cselect_b32 s30, -1, 0
	s_delay_alu instid0(SALU_CYCLE_1) | instskip(NEXT) | instid1(SALU_CYCLE_1)
	s_or_b32 s30, s0, s30
	s_and_b32 s30, exec_lo, s30
	s_delay_alu instid0(SALU_CYCLE_1) | instskip(SKIP_2) | instid1(SALU_CYCLE_1)
	s_or_b32 s7, s30, s7
	s_and_not1_b32 s6, s6, exec_lo
	s_and_b32 s0, s0, exec_lo
	s_or_b32 s6, s6, s0
	s_and_not1_b32 exec_lo, exec_lo, s7
	s_cbranch_execnz .LBB1075_104
; %bb.105:
	s_or_b32 exec_lo, exec_lo, s7
	v_cndmask_b32_e64 v31, 0, 1, s29
.LBB1075_106:
	v_cndmask_b32_e64 v30, 0, 1, s27
	s_wait_loadcnt 0x0
	v_cndmask_b32_e64 v20, 0, 1, s28
	v_cndmask_b32_e64 v32, 0, 1, s6
	v_mov_b32_e32 v16, 1
	s_wait_dscnt 0x0
	s_barrier_signal -1
	s_barrier_wait -1
                                        ; implicit-def: $sgpr7
                                        ; implicit-def: $vgpr22
	s_and_saveexec_b32 s0, s3
	s_delay_alu instid0(SALU_CYCLE_1)
	s_xor_b32 s6, exec_lo, s0
	s_cbranch_execz .LBB1075_112
; %bb.107:
	v_lshlrev_b16 v21, 8, v32
	v_lshlrev_b16 v22, 8, v20
	v_cmp_ne_u32_e32 vcc_lo, 1, v27
	s_mov_b32 s7, 0
	s_delay_alu instid0(VALU_DEP_2) | instskip(SKIP_1) | instid1(VALU_DEP_2)
	v_or_b32_e32 v22, v31, v22
	v_or_b32_e32 v21, 1, v21
	v_lshlrev_b32_e32 v22, 16, v22
	s_delay_alu instid0(VALU_DEP_2) | instskip(NEXT) | instid1(VALU_DEP_1)
	v_and_b32_e32 v21, 0xffff, v21
	v_or_b32_e32 v21, v21, v22
	s_cbranch_vccnz .LBB1075_111
; %bb.108:
	v_add_nc_u32_e32 v22, -8, v26
	v_mad_nc_u64_u32 v[24:25], v10, s18, s[8:9]
	s_add_nc_u64 s[4:5], s[18:19], -1
	s_mov_b32 s27, 0
                                        ; implicit-def: $sgpr7
	ds_load_b64 v[28:29], v22
	v_mad_u32 v25, v11, s18, v25
	s_delay_alu instid0(VALU_DEP_1) | instskip(SKIP_2) | instid1(VALU_DEP_1)
	v_mad_u32 v25, v10, s19, v25
	s_wait_dscnt 0x0
	v_mad_nc_u64_u32 v[22:23], v28, s18, s[8:9]
	v_mad_u32 v23, v29, s18, v23
	s_delay_alu instid0(VALU_DEP_1)
	v_mad_u32 v23, v28, s19, v23
.LBB1075_109:                           ; =>This Inner Loop Header: Depth=1
	global_load_u8 v27, v[22:23], off
	global_load_u8 v28, v[24:25], off
	s_wait_xcnt 0x1
	v_add_nc_u64_e32 v[22:23], 1, v[22:23]
	s_wait_xcnt 0x0
	v_add_nc_u64_e32 v[24:25], 1, v[24:25]
	s_wait_loadcnt 0x1
	v_cmp_ne_u16_e32 vcc_lo, 0, v27
	s_wait_loadcnt 0x0
	v_cmp_ne_u16_e64 s0, 0, v28
	s_xor_b32 s0, vcc_lo, s0
	s_cmp_eq_u64 s[4:5], 0
	s_add_nc_u64 s[4:5], s[4:5], -1
	s_cselect_b32 s28, -1, 0
	s_delay_alu instid0(SALU_CYCLE_1) | instskip(NEXT) | instid1(SALU_CYCLE_1)
	s_or_b32 s28, s0, s28
	s_and_b32 s28, exec_lo, s28
	s_delay_alu instid0(SALU_CYCLE_1) | instskip(SKIP_2) | instid1(SALU_CYCLE_1)
	s_or_b32 s27, s28, s27
	s_and_not1_b32 s7, s7, exec_lo
	s_and_b32 s0, s0, exec_lo
	s_or_b32 s7, s7, s0
	s_and_not1_b32 exec_lo, exec_lo, s27
	s_cbranch_execnz .LBB1075_109
; %bb.110:
	s_or_b32 exec_lo, exec_lo, s27
.LBB1075_111:
	s_delay_alu instid0(VALU_DEP_1)
	v_perm_b32 v22, v21, v21, 0x3020104
	s_or_b32 s25, s25, exec_lo
.LBB1075_112:
	s_or_b32 exec_lo, exec_lo, s6
	s_branch .LBB1075_144
.LBB1075_113:
	v_add_nc_u32_e32 v19, 6, v1
	v_mad_nc_u64_u32 v[16:17], v4, s18, s[8:9]
	s_xor_b32 s6, s26, -1
	s_mov_b32 s7, 0
	s_delay_alu instid0(VALU_DEP_2)
	v_cmp_gt_u32_e32 vcc_lo, s23, v19
	s_and_b32 s0, vcc_lo, s6
	s_wait_xcnt 0x0
	s_and_saveexec_b32 s26, s0
	s_cbranch_execz .LBB1075_117
; %bb.114:
	s_wait_loadcnt 0x0
	v_mad_nc_u64_u32 v[20:21], v14, s18, s[8:9]
	s_delay_alu instid0(VALU_DEP_3) | instskip(SKIP_2) | instid1(VALU_DEP_3)
	v_mad_u32 v19, v5, s18, v17
	v_mov_b32_e32 v22, v16
	s_add_nc_u64 s[4:5], s[18:19], -1
                                        ; implicit-def: $sgpr27
	v_mad_u32 v21, v15, s18, v21
	s_delay_alu instid0(VALU_DEP_3) | instskip(NEXT) | instid1(VALU_DEP_2)
	v_mad_u32 v23, v4, s19, v19
	v_mad_u32 v21, v14, s19, v21
.LBB1075_115:                           ; =>This Inner Loop Header: Depth=1
	global_load_u8 v19, v[22:23], off
	global_load_u8 v24, v[20:21], off
	s_wait_xcnt 0x1
	v_add_nc_u64_e32 v[22:23], 1, v[22:23]
	s_wait_xcnt 0x0
	v_add_nc_u64_e32 v[20:21], 1, v[20:21]
	s_wait_loadcnt 0x1
	v_cmp_ne_u16_e32 vcc_lo, 0, v19
	s_wait_loadcnt 0x0
	v_cmp_ne_u16_e64 s0, 0, v24
	s_xor_b32 s0, vcc_lo, s0
	s_cmp_eq_u64 s[4:5], 0
	s_add_nc_u64 s[4:5], s[4:5], -1
	s_cselect_b32 s28, -1, 0
	s_delay_alu instid0(SALU_CYCLE_1) | instskip(NEXT) | instid1(SALU_CYCLE_1)
	s_or_b32 s28, s0, s28
	s_and_b32 s28, exec_lo, s28
	s_delay_alu instid0(SALU_CYCLE_1) | instskip(SKIP_2) | instid1(SALU_CYCLE_1)
	s_or_b32 s7, s28, s7
	s_and_not1_b32 s27, s27, exec_lo
	s_and_b32 s0, s0, exec_lo
	s_or_b32 s27, s27, s0
	s_and_not1_b32 exec_lo, exec_lo, s7
	s_cbranch_execnz .LBB1075_115
; %bb.116:
	s_or_b32 exec_lo, exec_lo, s7
	s_delay_alu instid0(SALU_CYCLE_1)
	s_and_b32 s7, s27, exec_lo
.LBB1075_117:
	s_or_b32 exec_lo, exec_lo, s26
	v_add_nc_u32_e32 v19, 5, v1
	s_wait_loadcnt 0x0
	v_mad_nc_u64_u32 v[20:21], v2, s18, s[8:9]
	s_mov_b32 s26, 0
	s_delay_alu instid0(VALU_DEP_2) | instskip(SKIP_1) | instid1(SALU_CYCLE_1)
	v_cmp_gt_u32_e32 vcc_lo, s23, v19
	s_and_b32 s0, vcc_lo, s6
	s_and_saveexec_b32 s27, s0
	s_cbranch_execz .LBB1075_121
; %bb.118:
	s_delay_alu instid0(VALU_DEP_2) | instskip(SKIP_1) | instid1(VALU_DEP_4)
	v_mad_u32 v19, v3, s18, v21
	v_mad_u32 v17, v5, s18, v17
	v_mov_b32_e32 v22, v20
	s_add_nc_u64 s[4:5], s[18:19], -1
                                        ; implicit-def: $sgpr28
	s_delay_alu instid0(VALU_DEP_3) | instskip(NEXT) | instid1(VALU_DEP_3)
	v_mad_u32 v23, v2, s19, v19
	v_mad_u32 v17, v4, s19, v17
.LBB1075_119:                           ; =>This Inner Loop Header: Depth=1
	global_load_u8 v19, v[22:23], off
	global_load_u8 v24, v[16:17], off
	s_wait_xcnt 0x1
	v_add_nc_u64_e32 v[22:23], 1, v[22:23]
	s_wait_xcnt 0x0
	v_add_nc_u64_e32 v[16:17], 1, v[16:17]
	s_wait_loadcnt 0x1
	v_cmp_ne_u16_e32 vcc_lo, 0, v19
	s_wait_loadcnt 0x0
	v_cmp_ne_u16_e64 s0, 0, v24
	s_xor_b32 s0, vcc_lo, s0
	s_cmp_eq_u64 s[4:5], 0
	s_add_nc_u64 s[4:5], s[4:5], -1
	s_cselect_b32 s29, -1, 0
	s_delay_alu instid0(SALU_CYCLE_1) | instskip(NEXT) | instid1(SALU_CYCLE_1)
	s_or_b32 s29, s0, s29
	s_and_b32 s29, exec_lo, s29
	s_delay_alu instid0(SALU_CYCLE_1) | instskip(SKIP_2) | instid1(SALU_CYCLE_1)
	s_or_b32 s26, s29, s26
	s_and_not1_b32 s28, s28, exec_lo
	s_and_b32 s0, s0, exec_lo
	s_or_b32 s28, s28, s0
	s_and_not1_b32 exec_lo, exec_lo, s26
	s_cbranch_execnz .LBB1075_119
; %bb.120:
	s_or_b32 exec_lo, exec_lo, s26
	s_delay_alu instid0(SALU_CYCLE_1)
	s_and_b32 s26, s28, exec_lo
.LBB1075_121:
	s_or_b32 exec_lo, exec_lo, s27
	v_add_nc_u32_e32 v19, 4, v1
	v_mad_nc_u64_u32 v[16:17], v8, s18, s[8:9]
	s_mov_b32 s27, 0
	s_delay_alu instid0(VALU_DEP_2) | instskip(SKIP_1) | instid1(SALU_CYCLE_1)
	v_cmp_gt_u32_e32 vcc_lo, s23, v19
	s_and_b32 s0, vcc_lo, s6
	s_and_saveexec_b32 s28, s0
	s_cbranch_execz .LBB1075_125
; %bb.122:
	s_delay_alu instid0(VALU_DEP_2) | instskip(SKIP_1) | instid1(VALU_DEP_4)
	v_mad_u32 v19, v9, s18, v17
	v_mad_u32 v21, v3, s18, v21
	v_mov_b32_e32 v22, v16
	s_add_nc_u64 s[4:5], s[18:19], -1
                                        ; implicit-def: $sgpr29
	s_delay_alu instid0(VALU_DEP_3) | instskip(NEXT) | instid1(VALU_DEP_3)
	v_mad_u32 v23, v8, s19, v19
	v_mad_u32 v21, v2, s19, v21
.LBB1075_123:                           ; =>This Inner Loop Header: Depth=1
	global_load_u8 v19, v[22:23], off
	global_load_u8 v24, v[20:21], off
	s_wait_xcnt 0x1
	v_add_nc_u64_e32 v[22:23], 1, v[22:23]
	s_wait_xcnt 0x0
	v_add_nc_u64_e32 v[20:21], 1, v[20:21]
	s_wait_loadcnt 0x1
	v_cmp_ne_u16_e32 vcc_lo, 0, v19
	s_wait_loadcnt 0x0
	v_cmp_ne_u16_e64 s0, 0, v24
	s_xor_b32 s0, vcc_lo, s0
	s_cmp_eq_u64 s[4:5], 0
	s_add_nc_u64 s[4:5], s[4:5], -1
	s_cselect_b32 s30, -1, 0
	s_delay_alu instid0(SALU_CYCLE_1) | instskip(NEXT) | instid1(SALU_CYCLE_1)
	s_or_b32 s30, s0, s30
	s_and_b32 s30, exec_lo, s30
	s_delay_alu instid0(SALU_CYCLE_1) | instskip(SKIP_2) | instid1(SALU_CYCLE_1)
	s_or_b32 s27, s30, s27
	s_and_not1_b32 s29, s29, exec_lo
	s_and_b32 s0, s0, exec_lo
	s_or_b32 s29, s29, s0
	s_and_not1_b32 exec_lo, exec_lo, s27
	s_cbranch_execnz .LBB1075_123
; %bb.124:
	s_or_b32 exec_lo, exec_lo, s27
	s_delay_alu instid0(SALU_CYCLE_1)
	s_and_b32 s27, s29, exec_lo
.LBB1075_125:
	s_or_b32 exec_lo, exec_lo, s28
	v_add_nc_u32_e32 v19, 3, v1
	v_mad_nc_u64_u32 v[20:21], v6, s18, s[8:9]
	s_mov_b32 s28, 0
	s_delay_alu instid0(VALU_DEP_2) | instskip(SKIP_1) | instid1(SALU_CYCLE_1)
	v_cmp_gt_u32_e32 vcc_lo, s23, v19
	s_and_b32 s0, vcc_lo, s6
	s_and_saveexec_b32 s29, s0
	s_cbranch_execz .LBB1075_129
; %bb.126:
	s_delay_alu instid0(VALU_DEP_2) | instskip(SKIP_1) | instid1(VALU_DEP_4)
	v_mad_u32 v19, v7, s18, v21
	v_mad_u32 v17, v9, s18, v17
	v_mov_b32_e32 v22, v20
	s_add_nc_u64 s[4:5], s[18:19], -1
                                        ; implicit-def: $sgpr30
	s_delay_alu instid0(VALU_DEP_3) | instskip(NEXT) | instid1(VALU_DEP_3)
	v_mad_u32 v23, v6, s19, v19
	v_mad_u32 v17, v8, s19, v17
.LBB1075_127:                           ; =>This Inner Loop Header: Depth=1
	global_load_u8 v19, v[22:23], off
	global_load_u8 v24, v[16:17], off
	s_wait_xcnt 0x1
	v_add_nc_u64_e32 v[22:23], 1, v[22:23]
	s_wait_xcnt 0x0
	v_add_nc_u64_e32 v[16:17], 1, v[16:17]
	s_wait_loadcnt 0x1
	v_cmp_ne_u16_e32 vcc_lo, 0, v19
	s_wait_loadcnt 0x0
	v_cmp_ne_u16_e64 s0, 0, v24
	s_xor_b32 s0, vcc_lo, s0
	s_cmp_eq_u64 s[4:5], 0
	s_add_nc_u64 s[4:5], s[4:5], -1
	s_cselect_b32 s31, -1, 0
	s_delay_alu instid0(SALU_CYCLE_1) | instskip(NEXT) | instid1(SALU_CYCLE_1)
	s_or_b32 s31, s0, s31
	s_and_b32 s31, exec_lo, s31
	s_delay_alu instid0(SALU_CYCLE_1) | instskip(SKIP_2) | instid1(SALU_CYCLE_1)
	s_or_b32 s28, s31, s28
	s_and_not1_b32 s30, s30, exec_lo
	s_and_b32 s0, s0, exec_lo
	s_or_b32 s30, s30, s0
	s_and_not1_b32 exec_lo, exec_lo, s28
	s_cbranch_execnz .LBB1075_127
; %bb.128:
	s_or_b32 exec_lo, exec_lo, s28
	s_delay_alu instid0(SALU_CYCLE_1)
	s_and_b32 s28, s30, exec_lo
.LBB1075_129:
	s_or_b32 exec_lo, exec_lo, s29
	v_add_nc_u32_e32 v19, 2, v1
	v_mad_nc_u64_u32 v[16:17], v12, s18, s[8:9]
	s_mov_b32 s29, 0
	s_delay_alu instid0(VALU_DEP_2) | instskip(SKIP_1) | instid1(SALU_CYCLE_1)
	v_cmp_gt_u32_e32 vcc_lo, s23, v19
	s_and_b32 s0, vcc_lo, s6
	s_and_saveexec_b32 s30, s0
	s_cbranch_execz .LBB1075_133
; %bb.130:
	s_delay_alu instid0(VALU_DEP_2) | instskip(SKIP_1) | instid1(VALU_DEP_4)
	v_mad_u32 v19, v13, s18, v17
	v_mad_u32 v21, v7, s18, v21
	v_mov_b32_e32 v22, v16
	s_add_nc_u64 s[4:5], s[18:19], -1
                                        ; implicit-def: $sgpr31
	s_delay_alu instid0(VALU_DEP_3) | instskip(NEXT) | instid1(VALU_DEP_3)
	v_mad_u32 v23, v12, s19, v19
	v_mad_u32 v21, v6, s19, v21
.LBB1075_131:                           ; =>This Inner Loop Header: Depth=1
	global_load_u8 v19, v[22:23], off
	global_load_u8 v24, v[20:21], off
	s_wait_xcnt 0x1
	v_add_nc_u64_e32 v[22:23], 1, v[22:23]
	s_wait_xcnt 0x0
	v_add_nc_u64_e32 v[20:21], 1, v[20:21]
	s_wait_loadcnt 0x1
	v_cmp_ne_u16_e32 vcc_lo, 0, v19
	s_wait_loadcnt 0x0
	v_cmp_ne_u16_e64 s0, 0, v24
	s_xor_b32 s0, vcc_lo, s0
	s_cmp_eq_u64 s[4:5], 0
	s_add_nc_u64 s[4:5], s[4:5], -1
	s_cselect_b32 s33, -1, 0
	s_delay_alu instid0(SALU_CYCLE_1) | instskip(NEXT) | instid1(SALU_CYCLE_1)
	s_or_b32 s33, s0, s33
	s_and_b32 s33, exec_lo, s33
	s_delay_alu instid0(SALU_CYCLE_1) | instskip(SKIP_2) | instid1(SALU_CYCLE_1)
	s_or_b32 s29, s33, s29
	s_and_not1_b32 s31, s31, exec_lo
	s_and_b32 s0, s0, exec_lo
	s_or_b32 s31, s31, s0
	s_and_not1_b32 exec_lo, exec_lo, s29
	s_cbranch_execnz .LBB1075_131
; %bb.132:
	s_or_b32 exec_lo, exec_lo, s29
	s_delay_alu instid0(SALU_CYCLE_1)
	s_and_b32 s29, s31, exec_lo
.LBB1075_133:
	s_or_b32 exec_lo, exec_lo, s30
	v_add_nc_u32_e32 v19, 1, v1
	s_mov_b32 s0, 0
	s_delay_alu instid0(VALU_DEP_1) | instskip(SKIP_1) | instid1(SALU_CYCLE_1)
	v_cmp_gt_u32_e32 vcc_lo, s23, v19
	s_and_b32 s4, vcc_lo, s6
	s_and_saveexec_b32 s30, s4
	s_cbranch_execz .LBB1075_137
; %bb.134:
	v_mad_nc_u64_u32 v[20:21], v10, s18, s[8:9]
	v_mad_u32 v17, v13, s18, v17
	s_add_nc_u64 s[4:5], s[18:19], -1
	s_mov_b32 s31, 0
                                        ; implicit-def: $sgpr33
	s_delay_alu instid0(VALU_DEP_2) | instskip(NEXT) | instid1(VALU_DEP_2)
	v_mad_u32 v19, v11, s18, v21
	v_mad_u32 v17, v12, s19, v17
	s_delay_alu instid0(VALU_DEP_2)
	v_mad_u32 v21, v10, s19, v19
.LBB1075_135:                           ; =>This Inner Loop Header: Depth=1
	global_load_u8 v19, v[20:21], off
	global_load_u8 v22, v[16:17], off
	s_wait_xcnt 0x1
	v_add_nc_u64_e32 v[20:21], 1, v[20:21]
	s_wait_xcnt 0x0
	v_add_nc_u64_e32 v[16:17], 1, v[16:17]
	s_wait_loadcnt 0x1
	v_cmp_ne_u16_e32 vcc_lo, 0, v19
	s_wait_loadcnt 0x0
	v_cmp_ne_u16_e64 s0, 0, v22
	s_xor_b32 s0, vcc_lo, s0
	s_cmp_eq_u64 s[4:5], 0
	s_add_nc_u64 s[4:5], s[4:5], -1
	s_cselect_b32 s34, -1, 0
	s_delay_alu instid0(SALU_CYCLE_1) | instskip(NEXT) | instid1(SALU_CYCLE_1)
	s_or_b32 s34, s0, s34
	s_and_b32 s34, exec_lo, s34
	s_delay_alu instid0(SALU_CYCLE_1) | instskip(SKIP_2) | instid1(SALU_CYCLE_1)
	s_or_b32 s31, s34, s31
	s_and_not1_b32 s33, s33, exec_lo
	s_and_b32 s0, s0, exec_lo
	s_or_b32 s33, s33, s0
	s_and_not1_b32 exec_lo, exec_lo, s31
	s_cbranch_execnz .LBB1075_135
; %bb.136:
	s_or_b32 exec_lo, exec_lo, s31
	s_delay_alu instid0(SALU_CYCLE_1)
	s_and_b32 s0, s33, exec_lo
.LBB1075_137:
	s_or_b32 exec_lo, exec_lo, s30
	v_cndmask_b32_e64 v17, 0, 1, s27
	v_cndmask_b32_e64 v30, 0, 1, s26
	;; [unrolled: 1-line block ×6, first 2 shown]
	v_mov_b32_e32 v16, 1
	s_wait_dscnt 0x0
	s_barrier_signal -1
	s_barrier_wait -1
                                        ; implicit-def: $sgpr7
                                        ; implicit-def: $vgpr22
	s_and_saveexec_b32 s26, s3
	s_cbranch_execz .LBB1075_143
; %bb.138:
	v_lshlrev_b16 v21, 8, v32
	v_lshlrev_b16 v22, 8, v20
	v_cmp_gt_u32_e32 vcc_lo, s23, v1
	s_mov_b32 s7, 0
	s_delay_alu instid0(VALU_DEP_2) | instskip(SKIP_2) | instid1(VALU_DEP_2)
	v_or_b32_e32 v22, v31, v22
	v_or_b32_e32 v21, 1, v21
	s_and_b32 s0, vcc_lo, s6
	v_lshlrev_b32_e32 v22, 16, v22
	s_delay_alu instid0(VALU_DEP_2) | instskip(NEXT) | instid1(VALU_DEP_1)
	v_and_b32_e32 v21, 0xffff, v21
	v_or_b32_e32 v21, v21, v22
	s_and_saveexec_b32 s3, s0
	s_cbranch_execz .LBB1075_142
; %bb.139:
	v_add_nc_u32_e32 v22, -8, v26
	v_mad_nc_u64_u32 v[24:25], v10, s18, s[8:9]
	s_add_nc_u64 s[4:5], s[18:19], -1
	s_mov_b32 s6, 0
                                        ; implicit-def: $sgpr7
	ds_load_b64 v[26:27], v22
	v_mad_u32 v25, v11, s18, v25
	s_delay_alu instid0(VALU_DEP_1) | instskip(SKIP_2) | instid1(VALU_DEP_1)
	v_mad_u32 v25, v10, s19, v25
	s_wait_dscnt 0x0
	v_mad_nc_u64_u32 v[22:23], v26, s18, s[8:9]
	v_mad_u32 v23, v27, s18, v23
	s_delay_alu instid0(VALU_DEP_1)
	v_mad_u32 v23, v26, s19, v23
.LBB1075_140:                           ; =>This Inner Loop Header: Depth=1
	global_load_u8 v26, v[22:23], off
	global_load_u8 v27, v[24:25], off
	s_wait_xcnt 0x1
	v_add_nc_u64_e32 v[22:23], 1, v[22:23]
	s_wait_xcnt 0x0
	v_add_nc_u64_e32 v[24:25], 1, v[24:25]
	s_wait_loadcnt 0x1
	v_cmp_ne_u16_e32 vcc_lo, 0, v26
	s_wait_loadcnt 0x0
	v_cmp_ne_u16_e64 s0, 0, v27
	s_xor_b32 s0, vcc_lo, s0
	s_cmp_eq_u64 s[4:5], 0
	s_add_nc_u64 s[4:5], s[4:5], -1
	s_cselect_b32 s8, -1, 0
	s_delay_alu instid0(SALU_CYCLE_1) | instskip(NEXT) | instid1(SALU_CYCLE_1)
	s_or_b32 s8, s0, s8
	s_and_b32 s8, exec_lo, s8
	s_delay_alu instid0(SALU_CYCLE_1) | instskip(SKIP_2) | instid1(SALU_CYCLE_1)
	s_or_b32 s6, s8, s6
	s_and_not1_b32 s7, s7, exec_lo
	s_and_b32 s0, s0, exec_lo
	s_or_b32 s7, s7, s0
	s_and_not1_b32 exec_lo, exec_lo, s6
	s_cbranch_execnz .LBB1075_140
; %bb.141:
	s_or_b32 exec_lo, exec_lo, s6
	s_delay_alu instid0(SALU_CYCLE_1)
	s_and_b32 s7, s7, exec_lo
.LBB1075_142:
	s_or_b32 exec_lo, exec_lo, s3
	s_delay_alu instid0(VALU_DEP_1)
	v_perm_b32 v22, v21, v21, 0x3020104
	s_or_b32 s25, s25, exec_lo
.LBB1075_143:
	s_or_b32 exec_lo, exec_lo, s26
.LBB1075_144:
	s_wait_xcnt 0x0
	s_and_saveexec_b32 s0, s25
	s_cbranch_execz .LBB1075_146
; %bb.145:
	s_wait_loadcnt_dscnt 0x0
	v_dual_lshrrev_b32 v20, 24, v22 :: v_dual_lshrrev_b32 v31, 16, v22
	v_lshrrev_b32_e32 v32, 8, v22
	v_cndmask_b32_e64 v16, 0, 1, s7
.LBB1075_146:
	s_or_b32 exec_lo, exec_lo, s0
	s_delay_alu instid0(SALU_CYCLE_1)
	s_and_not1_b32 vcc_lo, exec_lo, s1
	s_cbranch_vccnz .LBB1075_150
; %bb.147:
	s_delay_alu instid0(VALU_DEP_1)
	v_perm_b32 v16, v16, v32, 0xc0c0004
	s_wait_loadcnt_dscnt 0x0
	v_perm_b32 v20, v31, v20, 0xc0c0004
	v_cmp_gt_u32_e32 vcc_lo, s23, v1
	v_and_b32_e32 v19, 0xff, v19
	v_perm_b32 v17, v17, v30, 0xc0c0004
	v_add_nc_u32_e32 v21, 1, v1
	v_lshl_or_b32 v16, v20, 16, v16
	s_delay_alu instid0(VALU_DEP_4) | instskip(NEXT) | instid1(VALU_DEP_2)
	v_dual_add_nc_u32 v22, 4, v1 :: v_dual_lshlrev_b32 v19, 16, v19
	v_cndmask_b32_e32 v20, 0, v16, vcc_lo
	s_delay_alu instid0(VALU_DEP_4) | instskip(SKIP_1) | instid1(VALU_DEP_3)
	v_cmp_gt_u32_e32 vcc_lo, s23, v21
	v_add_nc_u32_e32 v21, 2, v1
	v_and_b32_e32 v20, 0xff, v20
	s_delay_alu instid0(VALU_DEP_1) | instskip(NEXT) | instid1(VALU_DEP_3)
	v_cndmask_b32_e32 v20, v20, v16, vcc_lo
	v_cmp_gt_u32_e32 vcc_lo, s23, v21
	s_delay_alu instid0(VALU_DEP_2) | instskip(SKIP_2) | instid1(VALU_DEP_3)
	v_and_b32_e32 v20, 0xffff, v20
	v_or_b32_e32 v23, v17, v19
	v_bitop3_b32 v17, v17, 0xffff00, v19 bitop3:0xc8
	v_cndmask_b32_e32 v19, v20, v16, vcc_lo
	v_cmp_gt_u32_e32 vcc_lo, s23, v22
	v_add_nc_u32_e32 v20, 5, v1
	s_delay_alu instid0(VALU_DEP_3) | instskip(SKIP_1) | instid1(VALU_DEP_3)
	v_and_b32_e32 v19, 0xffffff, v19
	v_dual_add_nc_u32 v21, 3, v1 :: v_dual_cndmask_b32 v17, v17, v23, vcc_lo
	v_cmp_gt_u32_e64 s0, s23, v20
	s_delay_alu instid0(VALU_DEP_2) | instskip(NEXT) | instid1(VALU_DEP_3)
	v_cmp_gt_u32_e64 s1, s23, v21
	v_and_b32_e32 v17, 0xffff00ff, v17
	s_or_b32 vcc_lo, s0, vcc_lo
	s_delay_alu instid0(VALU_DEP_1) | instskip(SKIP_1) | instid1(VALU_DEP_1)
	v_dual_cndmask_b32 v19, v19, v16, s1 :: v_dual_cndmask_b32 v17, v17, v23, s0
	s_mov_b32 s0, exec_lo
	v_dual_cndmask_b32 v16, v19, v16 :: v_dual_add_nc_u32 v1, 6, v1
	s_delay_alu instid0(VALU_DEP_2) | instskip(NEXT) | instid1(VALU_DEP_2)
	v_dual_lshrrev_b32 v30, 8, v17 :: v_dual_lshrrev_b32 v19, 16, v17
	v_lshrrev_b32_e32 v32, 8, v16
	v_lshrrev_b64 v[20:21], 24, v[16:17]
	v_lshrrev_b32_e32 v31, 16, v16
	v_cmpx_le_u32_e64 s23, v1
; %bb.148:
	v_mov_b32_e32 v19, 0
; %bb.149:
	s_or_b32 exec_lo, exec_lo, s0
.LBB1075_150:
	s_delay_alu instid0(VALU_DEP_1)
	v_and_b32_e32 v1, 0xff, v16
	s_wait_loadcnt_dscnt 0x0
	v_and_b32_e32 v21, 0xff, v32
	v_and_b32_e32 v33, 0xff, v31
	;; [unrolled: 1-line block ×4, first 2 shown]
	v_mbcnt_lo_u32_b32 v37, -1, 0
	v_and_b32_e32 v36, 0xff, v30
	v_add3_u32 v22, v21, v1, v33
	v_and_b32_e32 v23, 0xff, v19
	s_delay_alu instid0(VALU_DEP_4) | instskip(SKIP_1) | instid1(VALU_DEP_3)
	v_dual_lshrrev_b32 v38, 5, v0 :: v_dual_bitop2_b32 v24, 15, v37 bitop3:0x40
	s_and_b32 vcc_lo, exec_lo, s24
	v_add3_u32 v22, v22, v34, v35
	s_mov_b32 s7, -1
	s_delay_alu instid0(VALU_DEP_2) | instskip(SKIP_1) | instid1(VALU_DEP_3)
	v_cmp_eq_u32_e64 s0, 0, v24
	v_cmp_lt_u32_e64 s3, 1, v24
	v_add3_u32 v39, v22, v36, v23
	v_and_b32_e32 v22, 16, v37
	v_or_b32_e32 v23, 31, v0
	v_cmp_lt_u32_e64 s4, 3, v24
	v_cmp_lt_u32_e64 s1, 7, v24
	s_barrier_signal -1
	v_cmp_eq_u32_e64 s6, 0, v22
	v_cmp_eq_u32_e64 s5, v0, v23
	s_barrier_wait -1
                                        ; implicit-def: $vgpr25
                                        ; implicit-def: $vgpr26
                                        ; implicit-def: $vgpr27
                                        ; implicit-def: $vgpr28
                                        ; implicit-def: $vgpr29
                                        ; implicit-def: $vgpr40
                                        ; implicit-def: $vgpr41
                                        ; implicit-def: $vgpr24
                                        ; implicit-def: $vgpr22
	s_cbranch_vccz .LBB1075_177
; %bb.151:
	v_mov_b32_dpp v22, v39 row_shr:1 row_mask:0xf bank_mask:0xf
	s_delay_alu instid0(VALU_DEP_1) | instskip(NEXT) | instid1(VALU_DEP_1)
	v_cndmask_b32_e64 v22, v22, 0, s0
	v_add_nc_u32_e32 v22, v22, v39
	s_delay_alu instid0(VALU_DEP_1) | instskip(NEXT) | instid1(VALU_DEP_1)
	v_mov_b32_dpp v23, v22 row_shr:2 row_mask:0xf bank_mask:0xf
	v_cndmask_b32_e64 v23, 0, v23, s3
	s_delay_alu instid0(VALU_DEP_1) | instskip(NEXT) | instid1(VALU_DEP_1)
	v_add_nc_u32_e32 v22, v22, v23
	v_mov_b32_dpp v23, v22 row_shr:4 row_mask:0xf bank_mask:0xf
	s_delay_alu instid0(VALU_DEP_1) | instskip(NEXT) | instid1(VALU_DEP_1)
	v_cndmask_b32_e64 v23, 0, v23, s4
	v_add_nc_u32_e32 v22, v22, v23
	s_delay_alu instid0(VALU_DEP_1) | instskip(NEXT) | instid1(VALU_DEP_1)
	v_mov_b32_dpp v23, v22 row_shr:8 row_mask:0xf bank_mask:0xf
	v_cndmask_b32_e64 v23, 0, v23, s1
	s_delay_alu instid0(VALU_DEP_1) | instskip(SKIP_3) | instid1(VALU_DEP_1)
	v_add_nc_u32_e32 v22, v22, v23
	ds_swizzle_b32 v23, v22 offset:swizzle(BROADCAST,32,15)
	s_wait_dscnt 0x0
	v_cndmask_b32_e64 v23, v23, 0, s6
	v_add_nc_u32_e32 v22, v22, v23
	s_and_saveexec_b32 s7, s5
; %bb.152:
	v_lshlrev_b32_e32 v23, 2, v38
	ds_store_b32 v23, v22
; %bb.153:
	s_or_b32 exec_lo, exec_lo, s7
	s_delay_alu instid0(SALU_CYCLE_1)
	s_mov_b32 s7, exec_lo
	s_wait_dscnt 0x0
	s_barrier_signal -1
	s_barrier_wait -1
	v_cmpx_gt_u32_e32 16, v0
	s_cbranch_execz .LBB1075_155
; %bb.154:
	v_lshlrev_b32_e32 v23, 2, v0
	ds_load_b32 v24, v23
	s_wait_dscnt 0x0
	v_mov_b32_dpp v25, v24 row_shr:1 row_mask:0xf bank_mask:0xf
	s_delay_alu instid0(VALU_DEP_1) | instskip(NEXT) | instid1(VALU_DEP_1)
	v_cndmask_b32_e64 v25, v25, 0, s0
	v_add_nc_u32_e32 v24, v25, v24
	s_delay_alu instid0(VALU_DEP_1) | instskip(NEXT) | instid1(VALU_DEP_1)
	v_mov_b32_dpp v25, v24 row_shr:2 row_mask:0xf bank_mask:0xf
	v_cndmask_b32_e64 v25, 0, v25, s3
	s_delay_alu instid0(VALU_DEP_1) | instskip(NEXT) | instid1(VALU_DEP_1)
	v_add_nc_u32_e32 v24, v24, v25
	v_mov_b32_dpp v25, v24 row_shr:4 row_mask:0xf bank_mask:0xf
	s_delay_alu instid0(VALU_DEP_1) | instskip(NEXT) | instid1(VALU_DEP_1)
	v_cndmask_b32_e64 v25, 0, v25, s4
	v_add_nc_u32_e32 v24, v24, v25
	s_delay_alu instid0(VALU_DEP_1) | instskip(NEXT) | instid1(VALU_DEP_1)
	v_mov_b32_dpp v25, v24 row_shr:8 row_mask:0xf bank_mask:0xf
	v_cndmask_b32_e64 v25, 0, v25, s1
	s_delay_alu instid0(VALU_DEP_1)
	v_add_nc_u32_e32 v24, v24, v25
	ds_store_b32 v23, v24
.LBB1075_155:
	s_or_b32 exec_lo, exec_lo, s7
	s_delay_alu instid0(SALU_CYCLE_1)
	s_mov_b32 s8, exec_lo
	v_cmp_gt_u32_e32 vcc_lo, 32, v0
	s_wait_dscnt 0x0
	s_barrier_signal -1
	s_barrier_wait -1
                                        ; implicit-def: $vgpr40
	v_cmpx_lt_u32_e32 31, v0
	s_cbranch_execz .LBB1075_157
; %bb.156:
	v_lshl_add_u32 v23, v38, 2, -4
	ds_load_b32 v40, v23
	s_wait_dscnt 0x0
	v_add_nc_u32_e32 v22, v40, v22
.LBB1075_157:
	s_or_b32 exec_lo, exec_lo, s8
	v_sub_co_u32 v23, s7, v37, 1
	s_delay_alu instid0(VALU_DEP_1) | instskip(NEXT) | instid1(VALU_DEP_1)
	v_cmp_gt_i32_e64 s8, 0, v23
	v_cndmask_b32_e64 v23, v23, v37, s8
	s_delay_alu instid0(VALU_DEP_1)
	v_lshlrev_b32_e32 v23, 2, v23
	ds_bpermute_b32 v41, v23, v22
	s_and_saveexec_b32 s8, vcc_lo
	s_cbranch_execz .LBB1075_176
; %bb.158:
	v_mov_b32_e32 v29, 0
	ds_load_b32 v22, v29 offset:60
	s_and_saveexec_b32 s9, s7
	s_cbranch_execz .LBB1075_160
; %bb.159:
	s_add_co_i32 s18, s22, 32
	s_delay_alu instid0(SALU_CYCLE_1)
	v_dual_mov_b32 v23, 1 :: v_dual_mov_b32 v24, s18
	s_wait_dscnt 0x0
	global_store_b64 v24, v[22:23], s[10:11] scale_offset scope:SCOPE_DEV
.LBB1075_160:
	s_wait_xcnt 0x0
	s_or_b32 exec_lo, exec_lo, s9
	v_xad_u32 v24, v37, -1, s22
	s_mov_b32 s18, 0
	s_mov_b32 s9, exec_lo
	s_delay_alu instid0(VALU_DEP_1) | instskip(SKIP_4) | instid1(VALU_DEP_1)
	v_add_nc_u32_e32 v28, 32, v24
	global_load_b64 v[26:27], v28, s[10:11] scale_offset scope:SCOPE_DEV
	s_wait_loadcnt 0x0
	v_and_b32_e32 v23, 0xff, v27
	s_wait_xcnt 0x0
	v_cmpx_eq_u16_e32 0, v23
	s_cbranch_execz .LBB1075_164
; %bb.161:
	v_lshl_add_u64 v[28:29], v[28:29], 3, s[10:11]
.LBB1075_162:                           ; =>This Inner Loop Header: Depth=1
	global_load_b64 v[26:27], v[28:29], off scope:SCOPE_DEV
	s_wait_loadcnt 0x0
	v_and_b32_e32 v23, 0xff, v27
	s_delay_alu instid0(VALU_DEP_1)
	v_cmp_ne_u16_e32 vcc_lo, 0, v23
	s_or_b32 s18, vcc_lo, s18
	s_wait_xcnt 0x0
	s_and_not1_b32 exec_lo, exec_lo, s18
	s_cbranch_execnz .LBB1075_162
; %bb.163:
	s_or_b32 exec_lo, exec_lo, s18
.LBB1075_164:
	s_delay_alu instid0(SALU_CYCLE_1)
	s_or_b32 exec_lo, exec_lo, s9
	v_cmp_ne_u32_e32 vcc_lo, 31, v37
	v_lshlrev_b32_e64 v43, v37, -1
	v_lshl_or_b32 v50, v37, 2, 64
	v_dual_add_nc_u32 v45, 2, v37 :: v_dual_add_nc_u32 v47, 4, v37
	v_add_co_ci_u32_e64 v23, null, 0, v37, vcc_lo
	v_dual_add_nc_u32 v49, 8, v37 :: v_dual_add_nc_u32 v51, 16, v37
	s_delay_alu instid0(VALU_DEP_2)
	v_lshlrev_b32_e32 v42, 2, v23
	v_and_b32_e32 v23, 0xff, v27
	ds_bpermute_b32 v25, v42, v26
	v_cmp_eq_u16_e32 vcc_lo, 2, v23
	v_and_or_b32 v23, vcc_lo, v43, 0x80000000
	v_cmp_gt_u32_e32 vcc_lo, 30, v37
	s_delay_alu instid0(VALU_DEP_2) | instskip(SKIP_1) | instid1(VALU_DEP_2)
	v_ctz_i32_b32_e32 v23, v23
	v_cndmask_b32_e64 v28, 0, 2, vcc_lo
	v_cmp_lt_u32_e32 vcc_lo, v37, v23
	s_delay_alu instid0(VALU_DEP_2) | instskip(SKIP_3) | instid1(VALU_DEP_2)
	v_add_lshl_u32 v44, v28, v37, 2
	s_wait_dscnt 0x0
	v_cndmask_b32_e32 v25, 0, v25, vcc_lo
	v_cmp_gt_u32_e32 vcc_lo, 28, v37
	v_add_nc_u32_e32 v25, v25, v26
	v_cndmask_b32_e64 v28, 0, 4, vcc_lo
	v_cmp_le_u32_e32 vcc_lo, v45, v23
	ds_bpermute_b32 v26, v44, v25
	v_add_lshl_u32 v46, v28, v37, 2
	s_wait_dscnt 0x0
	v_cndmask_b32_e32 v26, 0, v26, vcc_lo
	v_cmp_gt_u32_e32 vcc_lo, 24, v37
	v_cndmask_b32_e64 v28, 0, 8, vcc_lo
	v_cmp_le_u32_e32 vcc_lo, v47, v23
	s_delay_alu instid0(VALU_DEP_4) | instskip(NEXT) | instid1(VALU_DEP_3)
	v_add_nc_u32_e32 v25, v25, v26
	v_add_lshl_u32 v48, v28, v37, 2
	ds_bpermute_b32 v26, v46, v25
	s_wait_dscnt 0x0
	v_cndmask_b32_e32 v26, 0, v26, vcc_lo
	v_cmp_le_u32_e32 vcc_lo, v49, v23
	s_delay_alu instid0(VALU_DEP_2) | instskip(SKIP_4) | instid1(VALU_DEP_2)
	v_add_nc_u32_e32 v25, v25, v26
	ds_bpermute_b32 v26, v48, v25
	s_wait_dscnt 0x0
	v_cndmask_b32_e32 v26, 0, v26, vcc_lo
	v_cmp_le_u32_e32 vcc_lo, v51, v23
	v_add_nc_u32_e32 v25, v25, v26
	ds_bpermute_b32 v26, v50, v25
	s_wait_dscnt 0x0
	v_cndmask_b32_e32 v23, 0, v26, vcc_lo
	s_delay_alu instid0(VALU_DEP_1)
	v_dual_mov_b32 v25, 0 :: v_dual_add_nc_u32 v26, v25, v23
	s_branch .LBB1075_167
.LBB1075_165:                           ;   in Loop: Header=BB1075_167 Depth=1
	s_or_b32 exec_lo, exec_lo, s9
	v_and_b32_e32 v28, 0xff, v27
	ds_bpermute_b32 v29, v42, v26
	v_subrev_nc_u32_e32 v24, 32, v24
	s_mov_b32 s9, 0
	v_cmp_eq_u16_e32 vcc_lo, 2, v28
	v_and_or_b32 v28, vcc_lo, v43, 0x80000000
	s_delay_alu instid0(VALU_DEP_1) | instskip(NEXT) | instid1(VALU_DEP_1)
	v_ctz_i32_b32_e32 v28, v28
	v_cmp_lt_u32_e32 vcc_lo, v37, v28
	s_wait_dscnt 0x0
	v_cndmask_b32_e32 v29, 0, v29, vcc_lo
	v_cmp_le_u32_e32 vcc_lo, v45, v28
	s_delay_alu instid0(VALU_DEP_2) | instskip(SKIP_4) | instid1(VALU_DEP_2)
	v_add_nc_u32_e32 v26, v29, v26
	ds_bpermute_b32 v29, v44, v26
	s_wait_dscnt 0x0
	v_cndmask_b32_e32 v29, 0, v29, vcc_lo
	v_cmp_le_u32_e32 vcc_lo, v47, v28
	v_add_nc_u32_e32 v26, v26, v29
	ds_bpermute_b32 v29, v46, v26
	s_wait_dscnt 0x0
	v_cndmask_b32_e32 v29, 0, v29, vcc_lo
	v_cmp_le_u32_e32 vcc_lo, v49, v28
	s_delay_alu instid0(VALU_DEP_2) | instskip(SKIP_4) | instid1(VALU_DEP_2)
	v_add_nc_u32_e32 v26, v26, v29
	ds_bpermute_b32 v29, v48, v26
	s_wait_dscnt 0x0
	v_cndmask_b32_e32 v29, 0, v29, vcc_lo
	v_cmp_le_u32_e32 vcc_lo, v51, v28
	v_add_nc_u32_e32 v26, v26, v29
	ds_bpermute_b32 v29, v50, v26
	s_wait_dscnt 0x0
	v_cndmask_b32_e32 v28, 0, v29, vcc_lo
	s_delay_alu instid0(VALU_DEP_1)
	v_add3_u32 v26, v28, v23, v26
.LBB1075_166:                           ;   in Loop: Header=BB1075_167 Depth=1
	s_and_b32 vcc_lo, exec_lo, s9
	s_cbranch_vccnz .LBB1075_172
.LBB1075_167:                           ; =>This Loop Header: Depth=1
                                        ;     Child Loop BB1075_170 Depth 2
	v_and_b32_e32 v23, 0xff, v27
	s_mov_b32 s9, -1
                                        ; implicit-def: $vgpr27
	s_delay_alu instid0(VALU_DEP_1)
	v_cmp_ne_u16_e32 vcc_lo, 2, v23
	v_mov_b32_e32 v23, v26
                                        ; implicit-def: $vgpr26
	s_cmp_lg_u32 vcc_lo, exec_lo
	s_cbranch_scc1 .LBB1075_166
; %bb.168:                              ;   in Loop: Header=BB1075_167 Depth=1
	global_load_b64 v[26:27], v24, s[10:11] scale_offset scope:SCOPE_DEV
	s_mov_b32 s9, exec_lo
	s_wait_loadcnt 0x0
	v_and_b32_e32 v28, 0xff, v27
	s_wait_xcnt 0x0
	s_delay_alu instid0(VALU_DEP_1)
	v_cmpx_eq_u16_e32 0, v28
	s_cbranch_execz .LBB1075_165
; %bb.169:                              ;   in Loop: Header=BB1075_167 Depth=1
	v_lshl_add_u64 v[28:29], v[24:25], 3, s[10:11]
	s_mov_b32 s18, 0
.LBB1075_170:                           ;   Parent Loop BB1075_167 Depth=1
                                        ; =>  This Inner Loop Header: Depth=2
	global_load_b64 v[26:27], v[28:29], off scope:SCOPE_DEV
	s_wait_loadcnt 0x0
	v_and_b32_e32 v52, 0xff, v27
	s_delay_alu instid0(VALU_DEP_1)
	v_cmp_ne_u16_e32 vcc_lo, 0, v52
	s_or_b32 s18, vcc_lo, s18
	s_wait_xcnt 0x0
	s_and_not1_b32 exec_lo, exec_lo, s18
	s_cbranch_execnz .LBB1075_170
; %bb.171:                              ;   in Loop: Header=BB1075_167 Depth=1
	s_or_b32 exec_lo, exec_lo, s18
	s_branch .LBB1075_165
.LBB1075_172:
	s_and_saveexec_b32 s9, s7
	s_cbranch_execz .LBB1075_174
; %bb.173:
	s_add_co_i32 s18, s22, 32
	v_dual_mov_b32 v25, 2 :: v_dual_add_nc_u32 v24, v23, v22
	v_dual_mov_b32 v26, s18 :: v_dual_mov_b32 v27, 0
	global_store_b64 v26, v[24:25], s[10:11] scale_offset scope:SCOPE_DEV
	ds_store_b64 v27, v[22:23] offset:28672
.LBB1075_174:
	s_wait_xcnt 0x0
	s_or_b32 exec_lo, exec_lo, s9
	s_delay_alu instid0(SALU_CYCLE_1)
	s_and_b32 exec_lo, exec_lo, s2
; %bb.175:
	v_mov_b32_e32 v22, 0
	ds_store_b32 v22, v23 offset:60
.LBB1075_176:
	s_or_b32 exec_lo, exec_lo, s8
	s_wait_dscnt 0x0
	v_dual_mov_b32 v22, 0 :: v_dual_cndmask_b32 v24, v41, v40, s7
	s_wait_storecnt 0x0
	s_barrier_signal -1
	s_barrier_wait -1
	ds_load_b32 v23, v22 offset:60
	v_cndmask_b32_e64 v24, v24, 0, s2
	s_wait_dscnt 0x0
	s_barrier_signal -1
	s_barrier_wait -1
	s_mov_b32 s7, 0
	v_add_nc_u32_e32 v41, v23, v24
	ds_load_b64 v[22:23], v22 offset:28672
	v_add_nc_u32_e32 v40, v41, v1
	s_delay_alu instid0(VALU_DEP_1) | instskip(NEXT) | instid1(VALU_DEP_1)
	v_add_nc_u32_e32 v29, v40, v21
	v_add_nc_u32_e32 v28, v29, v33
	s_wait_dscnt 0x0
	s_delay_alu instid0(VALU_DEP_1) | instskip(NEXT) | instid1(VALU_DEP_1)
	v_dual_mov_b32 v24, v23 :: v_dual_add_nc_u32 v27, v28, v34
	v_add_nc_u32_e32 v26, v27, v35
	s_delay_alu instid0(VALU_DEP_1)
	v_add_nc_u32_e32 v25, v26, v36
.LBB1075_177:
	s_and_b32 vcc_lo, exec_lo, s7
	s_cbranch_vccz .LBB1075_187
; %bb.178:
	v_mov_b32_dpp v22, v39 row_shr:1 row_mask:0xf bank_mask:0xf
	s_delay_alu instid0(VALU_DEP_1) | instskip(NEXT) | instid1(VALU_DEP_1)
	v_cndmask_b32_e64 v22, v22, 0, s0
	v_add_nc_u32_e32 v22, v22, v39
	s_delay_alu instid0(VALU_DEP_1) | instskip(NEXT) | instid1(VALU_DEP_1)
	v_mov_b32_dpp v23, v22 row_shr:2 row_mask:0xf bank_mask:0xf
	v_cndmask_b32_e64 v23, 0, v23, s3
	s_delay_alu instid0(VALU_DEP_1) | instskip(NEXT) | instid1(VALU_DEP_1)
	v_add_nc_u32_e32 v22, v22, v23
	v_mov_b32_dpp v23, v22 row_shr:4 row_mask:0xf bank_mask:0xf
	s_delay_alu instid0(VALU_DEP_1) | instskip(NEXT) | instid1(VALU_DEP_1)
	v_cndmask_b32_e64 v23, 0, v23, s4
	v_add_nc_u32_e32 v22, v22, v23
	s_delay_alu instid0(VALU_DEP_1) | instskip(NEXT) | instid1(VALU_DEP_1)
	v_mov_b32_dpp v23, v22 row_shr:8 row_mask:0xf bank_mask:0xf
	v_cndmask_b32_e64 v23, 0, v23, s1
	s_delay_alu instid0(VALU_DEP_1) | instskip(SKIP_3) | instid1(VALU_DEP_1)
	v_add_nc_u32_e32 v22, v22, v23
	ds_swizzle_b32 v23, v22 offset:swizzle(BROADCAST,32,15)
	s_wait_dscnt 0x0
	v_cndmask_b32_e64 v23, v23, 0, s6
	v_add_nc_u32_e32 v22, v22, v23
	s_and_saveexec_b32 s6, s5
; %bb.179:
	v_lshlrev_b32_e32 v23, 2, v38
	ds_store_b32 v23, v22
; %bb.180:
	s_or_b32 exec_lo, exec_lo, s6
	s_delay_alu instid0(SALU_CYCLE_1)
	s_mov_b32 s5, exec_lo
	s_wait_dscnt 0x0
	s_barrier_signal -1
	s_barrier_wait -1
	v_cmpx_gt_u32_e32 16, v0
	s_cbranch_execz .LBB1075_182
; %bb.181:
	v_lshlrev_b32_e32 v23, 2, v0
	ds_load_b32 v24, v23
	s_wait_dscnt 0x0
	v_mov_b32_dpp v25, v24 row_shr:1 row_mask:0xf bank_mask:0xf
	s_delay_alu instid0(VALU_DEP_1) | instskip(NEXT) | instid1(VALU_DEP_1)
	v_cndmask_b32_e64 v25, v25, 0, s0
	v_add_nc_u32_e32 v24, v25, v24
	s_delay_alu instid0(VALU_DEP_1) | instskip(NEXT) | instid1(VALU_DEP_1)
	v_mov_b32_dpp v25, v24 row_shr:2 row_mask:0xf bank_mask:0xf
	v_cndmask_b32_e64 v25, 0, v25, s3
	s_delay_alu instid0(VALU_DEP_1) | instskip(NEXT) | instid1(VALU_DEP_1)
	v_add_nc_u32_e32 v24, v24, v25
	v_mov_b32_dpp v25, v24 row_shr:4 row_mask:0xf bank_mask:0xf
	s_delay_alu instid0(VALU_DEP_1) | instskip(NEXT) | instid1(VALU_DEP_1)
	v_cndmask_b32_e64 v25, 0, v25, s4
	v_add_nc_u32_e32 v24, v24, v25
	s_delay_alu instid0(VALU_DEP_1) | instskip(NEXT) | instid1(VALU_DEP_1)
	v_mov_b32_dpp v25, v24 row_shr:8 row_mask:0xf bank_mask:0xf
	v_cndmask_b32_e64 v25, 0, v25, s1
	s_delay_alu instid0(VALU_DEP_1)
	v_add_nc_u32_e32 v24, v24, v25
	ds_store_b32 v23, v24
.LBB1075_182:
	s_or_b32 exec_lo, exec_lo, s5
	v_dual_mov_b32 v23, 0 :: v_dual_mov_b32 v24, 0
	s_mov_b32 s0, exec_lo
	s_wait_dscnt 0x0
	s_barrier_signal -1
	s_barrier_wait -1
	v_cmpx_lt_u32_e32 31, v0
; %bb.183:
	v_lshl_add_u32 v24, v38, 2, -4
	ds_load_b32 v24, v24
; %bb.184:
	s_or_b32 exec_lo, exec_lo, s0
	v_sub_co_u32 v25, vcc_lo, v37, 1
	s_wait_dscnt 0x0
	v_add_nc_u32_e32 v22, v24, v22
	s_delay_alu instid0(VALU_DEP_2) | instskip(NEXT) | instid1(VALU_DEP_1)
	v_cmp_gt_i32_e64 s0, 0, v25
	v_cndmask_b32_e64 v25, v25, v37, s0
	s_delay_alu instid0(VALU_DEP_1)
	v_lshlrev_b32_e32 v25, 2, v25
	ds_bpermute_b32 v25, v25, v22
	ds_load_b32 v22, v23 offset:60
	s_and_saveexec_b32 s0, s2
	s_cbranch_execz .LBB1075_186
; %bb.185:
	v_dual_mov_b32 v26, 0 :: v_dual_mov_b32 v23, 2
	s_wait_dscnt 0x0
	global_store_b64 v26, v[22:23], s[10:11] offset:256 scope:SCOPE_DEV
.LBB1075_186:
	s_wait_xcnt 0x0
	s_or_b32 exec_lo, exec_lo, s0
	s_wait_dscnt 0x1
	v_cndmask_b32_e32 v23, v25, v24, vcc_lo
	s_wait_storecnt_dscnt 0x0
	s_barrier_signal -1
	s_barrier_wait -1
	s_delay_alu instid0(VALU_DEP_1) | instskip(NEXT) | instid1(VALU_DEP_1)
	v_cndmask_b32_e64 v41, v23, 0, s2
	v_dual_mov_b32 v24, 0 :: v_dual_add_nc_u32 v40, v41, v1
	s_delay_alu instid0(VALU_DEP_1) | instskip(NEXT) | instid1(VALU_DEP_1)
	v_add_nc_u32_e32 v29, v40, v21
	v_add_nc_u32_e32 v28, v29, v33
	s_delay_alu instid0(VALU_DEP_1) | instskip(NEXT) | instid1(VALU_DEP_1)
	v_add_nc_u32_e32 v27, v28, v34
	v_add_nc_u32_e32 v26, v27, v35
	s_delay_alu instid0(VALU_DEP_1)
	v_add_nc_u32_e32 v25, v26, v36
.LBB1075_187:
	v_and_b32_e32 v1, 1, v16
	v_cmp_gt_u32_e32 vcc_lo, 0x201, v22
	s_mov_b32 s1, -1
	s_delay_alu instid0(VALU_DEP_2)
	v_cmp_eq_u32_e64 s0, 1, v1
	s_cbranch_vccnz .LBB1075_191
; %bb.188:
	s_and_b32 vcc_lo, exec_lo, s1
	s_cbranch_vccnz .LBB1075_206
.LBB1075_189:
	s_and_b32 s0, s2, s16
	s_delay_alu instid0(SALU_CYCLE_1)
	s_and_saveexec_b32 s1, s0
	s_cbranch_execnz .LBB1075_223
.LBB1075_190:
	s_endpgm
.LBB1075_191:
	v_add_nc_u32_e32 v16, v24, v22
	s_delay_alu instid0(VALU_DEP_1) | instskip(SKIP_1) | instid1(SALU_CYCLE_1)
	v_cmp_lt_u32_e32 vcc_lo, v41, v16
	s_or_b32 s1, s17, vcc_lo
	s_and_b32 s1, s1, s0
	s_delay_alu instid0(SALU_CYCLE_1)
	s_and_saveexec_b32 s0, s1
	s_cbranch_execz .LBB1075_193
; %bb.192:
	s_lshl_b64 s[4:5], s[14:15], 3
	s_delay_alu instid0(SALU_CYCLE_1)
	s_add_nc_u64 s[4:5], s[20:21], s[4:5]
	global_store_b64 v41, v[10:11], s[4:5] scale_offset
.LBB1075_193:
	s_wait_xcnt 0x0
	s_or_b32 exec_lo, exec_lo, s0
	v_and_b32_e32 v21, 1, v32
	v_cmp_lt_u32_e32 vcc_lo, v40, v16
	s_delay_alu instid0(VALU_DEP_2) | instskip(SKIP_1) | instid1(SALU_CYCLE_1)
	v_cmp_eq_u32_e64 s0, 1, v21
	s_or_b32 s1, s17, vcc_lo
	s_and_b32 s1, s1, s0
	s_delay_alu instid0(SALU_CYCLE_1)
	s_and_saveexec_b32 s0, s1
	s_cbranch_execz .LBB1075_195
; %bb.194:
	s_lshl_b64 s[4:5], s[14:15], 3
	s_delay_alu instid0(SALU_CYCLE_1)
	s_add_nc_u64 s[4:5], s[20:21], s[4:5]
	global_store_b64 v40, v[12:13], s[4:5] scale_offset
.LBB1075_195:
	s_wait_xcnt 0x0
	s_or_b32 exec_lo, exec_lo, s0
	v_and_b32_e32 v21, 1, v31
	v_cmp_lt_u32_e32 vcc_lo, v29, v16
	s_delay_alu instid0(VALU_DEP_2) | instskip(SKIP_1) | instid1(SALU_CYCLE_1)
	v_cmp_eq_u32_e64 s0, 1, v21
	;; [unrolled: 17-line block ×6, first 2 shown]
	s_or_b32 s1, s17, vcc_lo
	s_and_b32 s1, s1, s0
	s_delay_alu instid0(SALU_CYCLE_1)
	s_and_saveexec_b32 s0, s1
	s_cbranch_execz .LBB1075_205
; %bb.204:
	s_lshl_b64 s[4:5], s[14:15], 3
	s_delay_alu instid0(SALU_CYCLE_1)
	s_add_nc_u64 s[4:5], s[20:21], s[4:5]
	global_store_b64 v25, v[14:15], s[4:5] scale_offset
.LBB1075_205:
	s_wait_xcnt 0x0
	s_or_b32 exec_lo, exec_lo, s0
	s_branch .LBB1075_189
.LBB1075_206:
	s_mov_b32 s0, exec_lo
	v_cmpx_eq_u32_e32 1, v1
; %bb.207:
	v_sub_nc_u32_e32 v1, v41, v24
	s_delay_alu instid0(VALU_DEP_1)
	v_lshlrev_b32_e32 v1, 3, v1
	ds_store_b64 v1, v[10:11]
; %bb.208:
	s_or_b32 exec_lo, exec_lo, s0
	v_and_b32_e32 v1, 1, v32
	s_mov_b32 s0, exec_lo
	s_delay_alu instid0(VALU_DEP_1)
	v_cmpx_eq_u32_e32 1, v1
; %bb.209:
	v_sub_nc_u32_e32 v1, v40, v24
	s_delay_alu instid0(VALU_DEP_1)
	v_lshlrev_b32_e32 v1, 3, v1
	ds_store_b64 v1, v[12:13]
; %bb.210:
	s_or_b32 exec_lo, exec_lo, s0
	v_and_b32_e32 v1, 1, v31
	s_mov_b32 s0, exec_lo
	s_delay_alu instid0(VALU_DEP_1)
	;; [unrolled: 11-line block ×6, first 2 shown]
	v_cmpx_eq_u32_e32 1, v1
; %bb.219:
	v_sub_nc_u32_e32 v1, v25, v24
	s_delay_alu instid0(VALU_DEP_1)
	v_lshlrev_b32_e32 v1, 3, v1
	ds_store_b64 v1, v[14:15]
; %bb.220:
	s_or_b32 exec_lo, exec_lo, s0
	v_mov_b32_e32 v25, 0
	s_lshl_b64 s[0:1], s[14:15], 3
	s_wait_storecnt_dscnt 0x0
	s_barrier_signal -1
	s_barrier_wait -1
	v_lshlrev_b64_e32 v[2:3], 3, v[24:25]
	v_mov_b32_e32 v19, v25
	s_delay_alu instid0(VALU_DEP_2) | instskip(SKIP_1) | instid1(VALU_DEP_1)
	v_add_nc_u64_e32 v[2:3], s[0:1], v[2:3]
	s_mov_b32 s0, 0
	v_add_nc_u64_e32 v[2:3], s[20:21], v[2:3]
	s_delay_alu instid0(VALU_DEP_1)
	v_add_nc_u64_e32 v[2:3], v[2:3], v[18:19]
.LBB1075_221:                           ; =>This Inner Loop Header: Depth=1
	ds_load_b64 v[4:5], v18
	v_add_nc_u32_e32 v0, 0x200, v0
	v_add_nc_u32_e32 v18, 0x1000, v18
	s_delay_alu instid0(VALU_DEP_2)
	v_cmp_ge_u32_e32 vcc_lo, v0, v22
	s_or_b32 s0, vcc_lo, s0
	s_wait_dscnt 0x0
	global_store_b64 v[2:3], v[4:5], off
	s_wait_xcnt 0x0
	v_add_nc_u64_e32 v[2:3], 0x1000, v[2:3]
	s_and_not1_b32 exec_lo, exec_lo, s0
	s_cbranch_execnz .LBB1075_221
; %bb.222:
	s_or_b32 exec_lo, exec_lo, s0
	s_and_b32 s0, s2, s16
	s_delay_alu instid0(SALU_CYCLE_1)
	s_and_saveexec_b32 s1, s0
	s_cbranch_execz .LBB1075_190
.LBB1075_223:
	v_mov_b32_e32 v23, 0
	s_delay_alu instid0(VALU_DEP_1) | instskip(SKIP_1) | instid1(VALU_DEP_1)
	v_add_nc_u64_e32 v[0:1], s[14:15], v[22:23]
	v_mov_b32_e32 v25, v23
	v_add_nc_u64_e32 v[0:1], v[0:1], v[24:25]
	global_store_b64 v23, v[0:1], s[12:13]
	s_endpgm
	.section	.rodata,"a",@progbits
	.p2align	6, 0x0
	.amdhsa_kernel _ZN7rocprim17ROCPRIM_400000_NS6detail17trampoline_kernelINS0_14default_configENS1_25partition_config_selectorILNS1_17partition_subalgoE8ElNS0_10empty_typeEbEEZZNS1_14partition_implILS5_8ELb0ES3_jPlPS6_PKS6_NS0_5tupleIJS9_S6_EEENSD_IJSA_SA_EEENS0_18inequality_wrapperIZN2at6native12_GLOBAL__N_124unique_dim_cuda_templateIbEESt5tupleIJNSH_6TensorESM_SM_EERKSM_lbbbEUlllE0_EEPmJS6_EEE10hipError_tPvRmT3_T4_T5_T6_T7_T9_mT8_P12ihipStream_tbDpT10_ENKUlT_T0_E_clISt17integral_constantIbLb0EES1B_IbLb1EEEEDaS17_S18_EUlS17_E_NS1_11comp_targetILNS1_3genE0ELNS1_11target_archE4294967295ELNS1_3gpuE0ELNS1_3repE0EEENS1_30default_config_static_selectorELNS0_4arch9wavefront6targetE0EEEvT1_
		.amdhsa_group_segment_fixed_size 28680
		.amdhsa_private_segment_fixed_size 0
		.amdhsa_kernarg_size 136
		.amdhsa_user_sgpr_count 2
		.amdhsa_user_sgpr_dispatch_ptr 0
		.amdhsa_user_sgpr_queue_ptr 0
		.amdhsa_user_sgpr_kernarg_segment_ptr 1
		.amdhsa_user_sgpr_dispatch_id 0
		.amdhsa_user_sgpr_kernarg_preload_length 0
		.amdhsa_user_sgpr_kernarg_preload_offset 0
		.amdhsa_user_sgpr_private_segment_size 0
		.amdhsa_wavefront_size32 1
		.amdhsa_uses_dynamic_stack 0
		.amdhsa_enable_private_segment 0
		.amdhsa_system_sgpr_workgroup_id_x 1
		.amdhsa_system_sgpr_workgroup_id_y 0
		.amdhsa_system_sgpr_workgroup_id_z 0
		.amdhsa_system_sgpr_workgroup_info 0
		.amdhsa_system_vgpr_workitem_id 0
		.amdhsa_next_free_vgpr 53
		.amdhsa_next_free_sgpr 35
		.amdhsa_named_barrier_count 0
		.amdhsa_reserve_vcc 1
		.amdhsa_float_round_mode_32 0
		.amdhsa_float_round_mode_16_64 0
		.amdhsa_float_denorm_mode_32 3
		.amdhsa_float_denorm_mode_16_64 3
		.amdhsa_fp16_overflow 0
		.amdhsa_memory_ordered 1
		.amdhsa_forward_progress 1
		.amdhsa_inst_pref_size 88
		.amdhsa_round_robin_scheduling 0
		.amdhsa_exception_fp_ieee_invalid_op 0
		.amdhsa_exception_fp_denorm_src 0
		.amdhsa_exception_fp_ieee_div_zero 0
		.amdhsa_exception_fp_ieee_overflow 0
		.amdhsa_exception_fp_ieee_underflow 0
		.amdhsa_exception_fp_ieee_inexact 0
		.amdhsa_exception_int_div_zero 0
	.end_amdhsa_kernel
	.section	.text._ZN7rocprim17ROCPRIM_400000_NS6detail17trampoline_kernelINS0_14default_configENS1_25partition_config_selectorILNS1_17partition_subalgoE8ElNS0_10empty_typeEbEEZZNS1_14partition_implILS5_8ELb0ES3_jPlPS6_PKS6_NS0_5tupleIJS9_S6_EEENSD_IJSA_SA_EEENS0_18inequality_wrapperIZN2at6native12_GLOBAL__N_124unique_dim_cuda_templateIbEESt5tupleIJNSH_6TensorESM_SM_EERKSM_lbbbEUlllE0_EEPmJS6_EEE10hipError_tPvRmT3_T4_T5_T6_T7_T9_mT8_P12ihipStream_tbDpT10_ENKUlT_T0_E_clISt17integral_constantIbLb0EES1B_IbLb1EEEEDaS17_S18_EUlS17_E_NS1_11comp_targetILNS1_3genE0ELNS1_11target_archE4294967295ELNS1_3gpuE0ELNS1_3repE0EEENS1_30default_config_static_selectorELNS0_4arch9wavefront6targetE0EEEvT1_,"axG",@progbits,_ZN7rocprim17ROCPRIM_400000_NS6detail17trampoline_kernelINS0_14default_configENS1_25partition_config_selectorILNS1_17partition_subalgoE8ElNS0_10empty_typeEbEEZZNS1_14partition_implILS5_8ELb0ES3_jPlPS6_PKS6_NS0_5tupleIJS9_S6_EEENSD_IJSA_SA_EEENS0_18inequality_wrapperIZN2at6native12_GLOBAL__N_124unique_dim_cuda_templateIbEESt5tupleIJNSH_6TensorESM_SM_EERKSM_lbbbEUlllE0_EEPmJS6_EEE10hipError_tPvRmT3_T4_T5_T6_T7_T9_mT8_P12ihipStream_tbDpT10_ENKUlT_T0_E_clISt17integral_constantIbLb0EES1B_IbLb1EEEEDaS17_S18_EUlS17_E_NS1_11comp_targetILNS1_3genE0ELNS1_11target_archE4294967295ELNS1_3gpuE0ELNS1_3repE0EEENS1_30default_config_static_selectorELNS0_4arch9wavefront6targetE0EEEvT1_,comdat
.Lfunc_end1075:
	.size	_ZN7rocprim17ROCPRIM_400000_NS6detail17trampoline_kernelINS0_14default_configENS1_25partition_config_selectorILNS1_17partition_subalgoE8ElNS0_10empty_typeEbEEZZNS1_14partition_implILS5_8ELb0ES3_jPlPS6_PKS6_NS0_5tupleIJS9_S6_EEENSD_IJSA_SA_EEENS0_18inequality_wrapperIZN2at6native12_GLOBAL__N_124unique_dim_cuda_templateIbEESt5tupleIJNSH_6TensorESM_SM_EERKSM_lbbbEUlllE0_EEPmJS6_EEE10hipError_tPvRmT3_T4_T5_T6_T7_T9_mT8_P12ihipStream_tbDpT10_ENKUlT_T0_E_clISt17integral_constantIbLb0EES1B_IbLb1EEEEDaS17_S18_EUlS17_E_NS1_11comp_targetILNS1_3genE0ELNS1_11target_archE4294967295ELNS1_3gpuE0ELNS1_3repE0EEENS1_30default_config_static_selectorELNS0_4arch9wavefront6targetE0EEEvT1_, .Lfunc_end1075-_ZN7rocprim17ROCPRIM_400000_NS6detail17trampoline_kernelINS0_14default_configENS1_25partition_config_selectorILNS1_17partition_subalgoE8ElNS0_10empty_typeEbEEZZNS1_14partition_implILS5_8ELb0ES3_jPlPS6_PKS6_NS0_5tupleIJS9_S6_EEENSD_IJSA_SA_EEENS0_18inequality_wrapperIZN2at6native12_GLOBAL__N_124unique_dim_cuda_templateIbEESt5tupleIJNSH_6TensorESM_SM_EERKSM_lbbbEUlllE0_EEPmJS6_EEE10hipError_tPvRmT3_T4_T5_T6_T7_T9_mT8_P12ihipStream_tbDpT10_ENKUlT_T0_E_clISt17integral_constantIbLb0EES1B_IbLb1EEEEDaS17_S18_EUlS17_E_NS1_11comp_targetILNS1_3genE0ELNS1_11target_archE4294967295ELNS1_3gpuE0ELNS1_3repE0EEENS1_30default_config_static_selectorELNS0_4arch9wavefront6targetE0EEEvT1_
                                        ; -- End function
	.set _ZN7rocprim17ROCPRIM_400000_NS6detail17trampoline_kernelINS0_14default_configENS1_25partition_config_selectorILNS1_17partition_subalgoE8ElNS0_10empty_typeEbEEZZNS1_14partition_implILS5_8ELb0ES3_jPlPS6_PKS6_NS0_5tupleIJS9_S6_EEENSD_IJSA_SA_EEENS0_18inequality_wrapperIZN2at6native12_GLOBAL__N_124unique_dim_cuda_templateIbEESt5tupleIJNSH_6TensorESM_SM_EERKSM_lbbbEUlllE0_EEPmJS6_EEE10hipError_tPvRmT3_T4_T5_T6_T7_T9_mT8_P12ihipStream_tbDpT10_ENKUlT_T0_E_clISt17integral_constantIbLb0EES1B_IbLb1EEEEDaS17_S18_EUlS17_E_NS1_11comp_targetILNS1_3genE0ELNS1_11target_archE4294967295ELNS1_3gpuE0ELNS1_3repE0EEENS1_30default_config_static_selectorELNS0_4arch9wavefront6targetE0EEEvT1_.num_vgpr, 53
	.set _ZN7rocprim17ROCPRIM_400000_NS6detail17trampoline_kernelINS0_14default_configENS1_25partition_config_selectorILNS1_17partition_subalgoE8ElNS0_10empty_typeEbEEZZNS1_14partition_implILS5_8ELb0ES3_jPlPS6_PKS6_NS0_5tupleIJS9_S6_EEENSD_IJSA_SA_EEENS0_18inequality_wrapperIZN2at6native12_GLOBAL__N_124unique_dim_cuda_templateIbEESt5tupleIJNSH_6TensorESM_SM_EERKSM_lbbbEUlllE0_EEPmJS6_EEE10hipError_tPvRmT3_T4_T5_T6_T7_T9_mT8_P12ihipStream_tbDpT10_ENKUlT_T0_E_clISt17integral_constantIbLb0EES1B_IbLb1EEEEDaS17_S18_EUlS17_E_NS1_11comp_targetILNS1_3genE0ELNS1_11target_archE4294967295ELNS1_3gpuE0ELNS1_3repE0EEENS1_30default_config_static_selectorELNS0_4arch9wavefront6targetE0EEEvT1_.num_agpr, 0
	.set _ZN7rocprim17ROCPRIM_400000_NS6detail17trampoline_kernelINS0_14default_configENS1_25partition_config_selectorILNS1_17partition_subalgoE8ElNS0_10empty_typeEbEEZZNS1_14partition_implILS5_8ELb0ES3_jPlPS6_PKS6_NS0_5tupleIJS9_S6_EEENSD_IJSA_SA_EEENS0_18inequality_wrapperIZN2at6native12_GLOBAL__N_124unique_dim_cuda_templateIbEESt5tupleIJNSH_6TensorESM_SM_EERKSM_lbbbEUlllE0_EEPmJS6_EEE10hipError_tPvRmT3_T4_T5_T6_T7_T9_mT8_P12ihipStream_tbDpT10_ENKUlT_T0_E_clISt17integral_constantIbLb0EES1B_IbLb1EEEEDaS17_S18_EUlS17_E_NS1_11comp_targetILNS1_3genE0ELNS1_11target_archE4294967295ELNS1_3gpuE0ELNS1_3repE0EEENS1_30default_config_static_selectorELNS0_4arch9wavefront6targetE0EEEvT1_.numbered_sgpr, 35
	.set _ZN7rocprim17ROCPRIM_400000_NS6detail17trampoline_kernelINS0_14default_configENS1_25partition_config_selectorILNS1_17partition_subalgoE8ElNS0_10empty_typeEbEEZZNS1_14partition_implILS5_8ELb0ES3_jPlPS6_PKS6_NS0_5tupleIJS9_S6_EEENSD_IJSA_SA_EEENS0_18inequality_wrapperIZN2at6native12_GLOBAL__N_124unique_dim_cuda_templateIbEESt5tupleIJNSH_6TensorESM_SM_EERKSM_lbbbEUlllE0_EEPmJS6_EEE10hipError_tPvRmT3_T4_T5_T6_T7_T9_mT8_P12ihipStream_tbDpT10_ENKUlT_T0_E_clISt17integral_constantIbLb0EES1B_IbLb1EEEEDaS17_S18_EUlS17_E_NS1_11comp_targetILNS1_3genE0ELNS1_11target_archE4294967295ELNS1_3gpuE0ELNS1_3repE0EEENS1_30default_config_static_selectorELNS0_4arch9wavefront6targetE0EEEvT1_.num_named_barrier, 0
	.set _ZN7rocprim17ROCPRIM_400000_NS6detail17trampoline_kernelINS0_14default_configENS1_25partition_config_selectorILNS1_17partition_subalgoE8ElNS0_10empty_typeEbEEZZNS1_14partition_implILS5_8ELb0ES3_jPlPS6_PKS6_NS0_5tupleIJS9_S6_EEENSD_IJSA_SA_EEENS0_18inequality_wrapperIZN2at6native12_GLOBAL__N_124unique_dim_cuda_templateIbEESt5tupleIJNSH_6TensorESM_SM_EERKSM_lbbbEUlllE0_EEPmJS6_EEE10hipError_tPvRmT3_T4_T5_T6_T7_T9_mT8_P12ihipStream_tbDpT10_ENKUlT_T0_E_clISt17integral_constantIbLb0EES1B_IbLb1EEEEDaS17_S18_EUlS17_E_NS1_11comp_targetILNS1_3genE0ELNS1_11target_archE4294967295ELNS1_3gpuE0ELNS1_3repE0EEENS1_30default_config_static_selectorELNS0_4arch9wavefront6targetE0EEEvT1_.private_seg_size, 0
	.set _ZN7rocprim17ROCPRIM_400000_NS6detail17trampoline_kernelINS0_14default_configENS1_25partition_config_selectorILNS1_17partition_subalgoE8ElNS0_10empty_typeEbEEZZNS1_14partition_implILS5_8ELb0ES3_jPlPS6_PKS6_NS0_5tupleIJS9_S6_EEENSD_IJSA_SA_EEENS0_18inequality_wrapperIZN2at6native12_GLOBAL__N_124unique_dim_cuda_templateIbEESt5tupleIJNSH_6TensorESM_SM_EERKSM_lbbbEUlllE0_EEPmJS6_EEE10hipError_tPvRmT3_T4_T5_T6_T7_T9_mT8_P12ihipStream_tbDpT10_ENKUlT_T0_E_clISt17integral_constantIbLb0EES1B_IbLb1EEEEDaS17_S18_EUlS17_E_NS1_11comp_targetILNS1_3genE0ELNS1_11target_archE4294967295ELNS1_3gpuE0ELNS1_3repE0EEENS1_30default_config_static_selectorELNS0_4arch9wavefront6targetE0EEEvT1_.uses_vcc, 1
	.set _ZN7rocprim17ROCPRIM_400000_NS6detail17trampoline_kernelINS0_14default_configENS1_25partition_config_selectorILNS1_17partition_subalgoE8ElNS0_10empty_typeEbEEZZNS1_14partition_implILS5_8ELb0ES3_jPlPS6_PKS6_NS0_5tupleIJS9_S6_EEENSD_IJSA_SA_EEENS0_18inequality_wrapperIZN2at6native12_GLOBAL__N_124unique_dim_cuda_templateIbEESt5tupleIJNSH_6TensorESM_SM_EERKSM_lbbbEUlllE0_EEPmJS6_EEE10hipError_tPvRmT3_T4_T5_T6_T7_T9_mT8_P12ihipStream_tbDpT10_ENKUlT_T0_E_clISt17integral_constantIbLb0EES1B_IbLb1EEEEDaS17_S18_EUlS17_E_NS1_11comp_targetILNS1_3genE0ELNS1_11target_archE4294967295ELNS1_3gpuE0ELNS1_3repE0EEENS1_30default_config_static_selectorELNS0_4arch9wavefront6targetE0EEEvT1_.uses_flat_scratch, 0
	.set _ZN7rocprim17ROCPRIM_400000_NS6detail17trampoline_kernelINS0_14default_configENS1_25partition_config_selectorILNS1_17partition_subalgoE8ElNS0_10empty_typeEbEEZZNS1_14partition_implILS5_8ELb0ES3_jPlPS6_PKS6_NS0_5tupleIJS9_S6_EEENSD_IJSA_SA_EEENS0_18inequality_wrapperIZN2at6native12_GLOBAL__N_124unique_dim_cuda_templateIbEESt5tupleIJNSH_6TensorESM_SM_EERKSM_lbbbEUlllE0_EEPmJS6_EEE10hipError_tPvRmT3_T4_T5_T6_T7_T9_mT8_P12ihipStream_tbDpT10_ENKUlT_T0_E_clISt17integral_constantIbLb0EES1B_IbLb1EEEEDaS17_S18_EUlS17_E_NS1_11comp_targetILNS1_3genE0ELNS1_11target_archE4294967295ELNS1_3gpuE0ELNS1_3repE0EEENS1_30default_config_static_selectorELNS0_4arch9wavefront6targetE0EEEvT1_.has_dyn_sized_stack, 0
	.set _ZN7rocprim17ROCPRIM_400000_NS6detail17trampoline_kernelINS0_14default_configENS1_25partition_config_selectorILNS1_17partition_subalgoE8ElNS0_10empty_typeEbEEZZNS1_14partition_implILS5_8ELb0ES3_jPlPS6_PKS6_NS0_5tupleIJS9_S6_EEENSD_IJSA_SA_EEENS0_18inequality_wrapperIZN2at6native12_GLOBAL__N_124unique_dim_cuda_templateIbEESt5tupleIJNSH_6TensorESM_SM_EERKSM_lbbbEUlllE0_EEPmJS6_EEE10hipError_tPvRmT3_T4_T5_T6_T7_T9_mT8_P12ihipStream_tbDpT10_ENKUlT_T0_E_clISt17integral_constantIbLb0EES1B_IbLb1EEEEDaS17_S18_EUlS17_E_NS1_11comp_targetILNS1_3genE0ELNS1_11target_archE4294967295ELNS1_3gpuE0ELNS1_3repE0EEENS1_30default_config_static_selectorELNS0_4arch9wavefront6targetE0EEEvT1_.has_recursion, 0
	.set _ZN7rocprim17ROCPRIM_400000_NS6detail17trampoline_kernelINS0_14default_configENS1_25partition_config_selectorILNS1_17partition_subalgoE8ElNS0_10empty_typeEbEEZZNS1_14partition_implILS5_8ELb0ES3_jPlPS6_PKS6_NS0_5tupleIJS9_S6_EEENSD_IJSA_SA_EEENS0_18inequality_wrapperIZN2at6native12_GLOBAL__N_124unique_dim_cuda_templateIbEESt5tupleIJNSH_6TensorESM_SM_EERKSM_lbbbEUlllE0_EEPmJS6_EEE10hipError_tPvRmT3_T4_T5_T6_T7_T9_mT8_P12ihipStream_tbDpT10_ENKUlT_T0_E_clISt17integral_constantIbLb0EES1B_IbLb1EEEEDaS17_S18_EUlS17_E_NS1_11comp_targetILNS1_3genE0ELNS1_11target_archE4294967295ELNS1_3gpuE0ELNS1_3repE0EEENS1_30default_config_static_selectorELNS0_4arch9wavefront6targetE0EEEvT1_.has_indirect_call, 0
	.section	.AMDGPU.csdata,"",@progbits
; Kernel info:
; codeLenInByte = 11184
; TotalNumSgprs: 37
; NumVgprs: 53
; ScratchSize: 0
; MemoryBound: 0
; FloatMode: 240
; IeeeMode: 1
; LDSByteSize: 28680 bytes/workgroup (compile time only)
; SGPRBlocks: 0
; VGPRBlocks: 3
; NumSGPRsForWavesPerEU: 37
; NumVGPRsForWavesPerEU: 53
; NamedBarCnt: 0
; Occupancy: 16
; WaveLimiterHint : 1
; COMPUTE_PGM_RSRC2:SCRATCH_EN: 0
; COMPUTE_PGM_RSRC2:USER_SGPR: 2
; COMPUTE_PGM_RSRC2:TRAP_HANDLER: 0
; COMPUTE_PGM_RSRC2:TGID_X_EN: 1
; COMPUTE_PGM_RSRC2:TGID_Y_EN: 0
; COMPUTE_PGM_RSRC2:TGID_Z_EN: 0
; COMPUTE_PGM_RSRC2:TIDIG_COMP_CNT: 0
	.section	.text._ZN7rocprim17ROCPRIM_400000_NS6detail17trampoline_kernelINS0_14default_configENS1_25partition_config_selectorILNS1_17partition_subalgoE8ElNS0_10empty_typeEbEEZZNS1_14partition_implILS5_8ELb0ES3_jPlPS6_PKS6_NS0_5tupleIJS9_S6_EEENSD_IJSA_SA_EEENS0_18inequality_wrapperIZN2at6native12_GLOBAL__N_124unique_dim_cuda_templateIbEESt5tupleIJNSH_6TensorESM_SM_EERKSM_lbbbEUlllE0_EEPmJS6_EEE10hipError_tPvRmT3_T4_T5_T6_T7_T9_mT8_P12ihipStream_tbDpT10_ENKUlT_T0_E_clISt17integral_constantIbLb0EES1B_IbLb1EEEEDaS17_S18_EUlS17_E_NS1_11comp_targetILNS1_3genE5ELNS1_11target_archE942ELNS1_3gpuE9ELNS1_3repE0EEENS1_30default_config_static_selectorELNS0_4arch9wavefront6targetE0EEEvT1_,"axG",@progbits,_ZN7rocprim17ROCPRIM_400000_NS6detail17trampoline_kernelINS0_14default_configENS1_25partition_config_selectorILNS1_17partition_subalgoE8ElNS0_10empty_typeEbEEZZNS1_14partition_implILS5_8ELb0ES3_jPlPS6_PKS6_NS0_5tupleIJS9_S6_EEENSD_IJSA_SA_EEENS0_18inequality_wrapperIZN2at6native12_GLOBAL__N_124unique_dim_cuda_templateIbEESt5tupleIJNSH_6TensorESM_SM_EERKSM_lbbbEUlllE0_EEPmJS6_EEE10hipError_tPvRmT3_T4_T5_T6_T7_T9_mT8_P12ihipStream_tbDpT10_ENKUlT_T0_E_clISt17integral_constantIbLb0EES1B_IbLb1EEEEDaS17_S18_EUlS17_E_NS1_11comp_targetILNS1_3genE5ELNS1_11target_archE942ELNS1_3gpuE9ELNS1_3repE0EEENS1_30default_config_static_selectorELNS0_4arch9wavefront6targetE0EEEvT1_,comdat
	.globl	_ZN7rocprim17ROCPRIM_400000_NS6detail17trampoline_kernelINS0_14default_configENS1_25partition_config_selectorILNS1_17partition_subalgoE8ElNS0_10empty_typeEbEEZZNS1_14partition_implILS5_8ELb0ES3_jPlPS6_PKS6_NS0_5tupleIJS9_S6_EEENSD_IJSA_SA_EEENS0_18inequality_wrapperIZN2at6native12_GLOBAL__N_124unique_dim_cuda_templateIbEESt5tupleIJNSH_6TensorESM_SM_EERKSM_lbbbEUlllE0_EEPmJS6_EEE10hipError_tPvRmT3_T4_T5_T6_T7_T9_mT8_P12ihipStream_tbDpT10_ENKUlT_T0_E_clISt17integral_constantIbLb0EES1B_IbLb1EEEEDaS17_S18_EUlS17_E_NS1_11comp_targetILNS1_3genE5ELNS1_11target_archE942ELNS1_3gpuE9ELNS1_3repE0EEENS1_30default_config_static_selectorELNS0_4arch9wavefront6targetE0EEEvT1_ ; -- Begin function _ZN7rocprim17ROCPRIM_400000_NS6detail17trampoline_kernelINS0_14default_configENS1_25partition_config_selectorILNS1_17partition_subalgoE8ElNS0_10empty_typeEbEEZZNS1_14partition_implILS5_8ELb0ES3_jPlPS6_PKS6_NS0_5tupleIJS9_S6_EEENSD_IJSA_SA_EEENS0_18inequality_wrapperIZN2at6native12_GLOBAL__N_124unique_dim_cuda_templateIbEESt5tupleIJNSH_6TensorESM_SM_EERKSM_lbbbEUlllE0_EEPmJS6_EEE10hipError_tPvRmT3_T4_T5_T6_T7_T9_mT8_P12ihipStream_tbDpT10_ENKUlT_T0_E_clISt17integral_constantIbLb0EES1B_IbLb1EEEEDaS17_S18_EUlS17_E_NS1_11comp_targetILNS1_3genE5ELNS1_11target_archE942ELNS1_3gpuE9ELNS1_3repE0EEENS1_30default_config_static_selectorELNS0_4arch9wavefront6targetE0EEEvT1_
	.p2align	8
	.type	_ZN7rocprim17ROCPRIM_400000_NS6detail17trampoline_kernelINS0_14default_configENS1_25partition_config_selectorILNS1_17partition_subalgoE8ElNS0_10empty_typeEbEEZZNS1_14partition_implILS5_8ELb0ES3_jPlPS6_PKS6_NS0_5tupleIJS9_S6_EEENSD_IJSA_SA_EEENS0_18inequality_wrapperIZN2at6native12_GLOBAL__N_124unique_dim_cuda_templateIbEESt5tupleIJNSH_6TensorESM_SM_EERKSM_lbbbEUlllE0_EEPmJS6_EEE10hipError_tPvRmT3_T4_T5_T6_T7_T9_mT8_P12ihipStream_tbDpT10_ENKUlT_T0_E_clISt17integral_constantIbLb0EES1B_IbLb1EEEEDaS17_S18_EUlS17_E_NS1_11comp_targetILNS1_3genE5ELNS1_11target_archE942ELNS1_3gpuE9ELNS1_3repE0EEENS1_30default_config_static_selectorELNS0_4arch9wavefront6targetE0EEEvT1_,@function
_ZN7rocprim17ROCPRIM_400000_NS6detail17trampoline_kernelINS0_14default_configENS1_25partition_config_selectorILNS1_17partition_subalgoE8ElNS0_10empty_typeEbEEZZNS1_14partition_implILS5_8ELb0ES3_jPlPS6_PKS6_NS0_5tupleIJS9_S6_EEENSD_IJSA_SA_EEENS0_18inequality_wrapperIZN2at6native12_GLOBAL__N_124unique_dim_cuda_templateIbEESt5tupleIJNSH_6TensorESM_SM_EERKSM_lbbbEUlllE0_EEPmJS6_EEE10hipError_tPvRmT3_T4_T5_T6_T7_T9_mT8_P12ihipStream_tbDpT10_ENKUlT_T0_E_clISt17integral_constantIbLb0EES1B_IbLb1EEEEDaS17_S18_EUlS17_E_NS1_11comp_targetILNS1_3genE5ELNS1_11target_archE942ELNS1_3gpuE9ELNS1_3repE0EEENS1_30default_config_static_selectorELNS0_4arch9wavefront6targetE0EEEvT1_: ; @_ZN7rocprim17ROCPRIM_400000_NS6detail17trampoline_kernelINS0_14default_configENS1_25partition_config_selectorILNS1_17partition_subalgoE8ElNS0_10empty_typeEbEEZZNS1_14partition_implILS5_8ELb0ES3_jPlPS6_PKS6_NS0_5tupleIJS9_S6_EEENSD_IJSA_SA_EEENS0_18inequality_wrapperIZN2at6native12_GLOBAL__N_124unique_dim_cuda_templateIbEESt5tupleIJNSH_6TensorESM_SM_EERKSM_lbbbEUlllE0_EEPmJS6_EEE10hipError_tPvRmT3_T4_T5_T6_T7_T9_mT8_P12ihipStream_tbDpT10_ENKUlT_T0_E_clISt17integral_constantIbLb0EES1B_IbLb1EEEEDaS17_S18_EUlS17_E_NS1_11comp_targetILNS1_3genE5ELNS1_11target_archE942ELNS1_3gpuE9ELNS1_3repE0EEENS1_30default_config_static_selectorELNS0_4arch9wavefront6targetE0EEEvT1_
; %bb.0:
	.section	.rodata,"a",@progbits
	.p2align	6, 0x0
	.amdhsa_kernel _ZN7rocprim17ROCPRIM_400000_NS6detail17trampoline_kernelINS0_14default_configENS1_25partition_config_selectorILNS1_17partition_subalgoE8ElNS0_10empty_typeEbEEZZNS1_14partition_implILS5_8ELb0ES3_jPlPS6_PKS6_NS0_5tupleIJS9_S6_EEENSD_IJSA_SA_EEENS0_18inequality_wrapperIZN2at6native12_GLOBAL__N_124unique_dim_cuda_templateIbEESt5tupleIJNSH_6TensorESM_SM_EERKSM_lbbbEUlllE0_EEPmJS6_EEE10hipError_tPvRmT3_T4_T5_T6_T7_T9_mT8_P12ihipStream_tbDpT10_ENKUlT_T0_E_clISt17integral_constantIbLb0EES1B_IbLb1EEEEDaS17_S18_EUlS17_E_NS1_11comp_targetILNS1_3genE5ELNS1_11target_archE942ELNS1_3gpuE9ELNS1_3repE0EEENS1_30default_config_static_selectorELNS0_4arch9wavefront6targetE0EEEvT1_
		.amdhsa_group_segment_fixed_size 0
		.amdhsa_private_segment_fixed_size 0
		.amdhsa_kernarg_size 136
		.amdhsa_user_sgpr_count 2
		.amdhsa_user_sgpr_dispatch_ptr 0
		.amdhsa_user_sgpr_queue_ptr 0
		.amdhsa_user_sgpr_kernarg_segment_ptr 1
		.amdhsa_user_sgpr_dispatch_id 0
		.amdhsa_user_sgpr_kernarg_preload_length 0
		.amdhsa_user_sgpr_kernarg_preload_offset 0
		.amdhsa_user_sgpr_private_segment_size 0
		.amdhsa_wavefront_size32 1
		.amdhsa_uses_dynamic_stack 0
		.amdhsa_enable_private_segment 0
		.amdhsa_system_sgpr_workgroup_id_x 1
		.amdhsa_system_sgpr_workgroup_id_y 0
		.amdhsa_system_sgpr_workgroup_id_z 0
		.amdhsa_system_sgpr_workgroup_info 0
		.amdhsa_system_vgpr_workitem_id 0
		.amdhsa_next_free_vgpr 1
		.amdhsa_next_free_sgpr 1
		.amdhsa_named_barrier_count 0
		.amdhsa_reserve_vcc 0
		.amdhsa_float_round_mode_32 0
		.amdhsa_float_round_mode_16_64 0
		.amdhsa_float_denorm_mode_32 3
		.amdhsa_float_denorm_mode_16_64 3
		.amdhsa_fp16_overflow 0
		.amdhsa_memory_ordered 1
		.amdhsa_forward_progress 1
		.amdhsa_inst_pref_size 0
		.amdhsa_round_robin_scheduling 0
		.amdhsa_exception_fp_ieee_invalid_op 0
		.amdhsa_exception_fp_denorm_src 0
		.amdhsa_exception_fp_ieee_div_zero 0
		.amdhsa_exception_fp_ieee_overflow 0
		.amdhsa_exception_fp_ieee_underflow 0
		.amdhsa_exception_fp_ieee_inexact 0
		.amdhsa_exception_int_div_zero 0
	.end_amdhsa_kernel
	.section	.text._ZN7rocprim17ROCPRIM_400000_NS6detail17trampoline_kernelINS0_14default_configENS1_25partition_config_selectorILNS1_17partition_subalgoE8ElNS0_10empty_typeEbEEZZNS1_14partition_implILS5_8ELb0ES3_jPlPS6_PKS6_NS0_5tupleIJS9_S6_EEENSD_IJSA_SA_EEENS0_18inequality_wrapperIZN2at6native12_GLOBAL__N_124unique_dim_cuda_templateIbEESt5tupleIJNSH_6TensorESM_SM_EERKSM_lbbbEUlllE0_EEPmJS6_EEE10hipError_tPvRmT3_T4_T5_T6_T7_T9_mT8_P12ihipStream_tbDpT10_ENKUlT_T0_E_clISt17integral_constantIbLb0EES1B_IbLb1EEEEDaS17_S18_EUlS17_E_NS1_11comp_targetILNS1_3genE5ELNS1_11target_archE942ELNS1_3gpuE9ELNS1_3repE0EEENS1_30default_config_static_selectorELNS0_4arch9wavefront6targetE0EEEvT1_,"axG",@progbits,_ZN7rocprim17ROCPRIM_400000_NS6detail17trampoline_kernelINS0_14default_configENS1_25partition_config_selectorILNS1_17partition_subalgoE8ElNS0_10empty_typeEbEEZZNS1_14partition_implILS5_8ELb0ES3_jPlPS6_PKS6_NS0_5tupleIJS9_S6_EEENSD_IJSA_SA_EEENS0_18inequality_wrapperIZN2at6native12_GLOBAL__N_124unique_dim_cuda_templateIbEESt5tupleIJNSH_6TensorESM_SM_EERKSM_lbbbEUlllE0_EEPmJS6_EEE10hipError_tPvRmT3_T4_T5_T6_T7_T9_mT8_P12ihipStream_tbDpT10_ENKUlT_T0_E_clISt17integral_constantIbLb0EES1B_IbLb1EEEEDaS17_S18_EUlS17_E_NS1_11comp_targetILNS1_3genE5ELNS1_11target_archE942ELNS1_3gpuE9ELNS1_3repE0EEENS1_30default_config_static_selectorELNS0_4arch9wavefront6targetE0EEEvT1_,comdat
.Lfunc_end1076:
	.size	_ZN7rocprim17ROCPRIM_400000_NS6detail17trampoline_kernelINS0_14default_configENS1_25partition_config_selectorILNS1_17partition_subalgoE8ElNS0_10empty_typeEbEEZZNS1_14partition_implILS5_8ELb0ES3_jPlPS6_PKS6_NS0_5tupleIJS9_S6_EEENSD_IJSA_SA_EEENS0_18inequality_wrapperIZN2at6native12_GLOBAL__N_124unique_dim_cuda_templateIbEESt5tupleIJNSH_6TensorESM_SM_EERKSM_lbbbEUlllE0_EEPmJS6_EEE10hipError_tPvRmT3_T4_T5_T6_T7_T9_mT8_P12ihipStream_tbDpT10_ENKUlT_T0_E_clISt17integral_constantIbLb0EES1B_IbLb1EEEEDaS17_S18_EUlS17_E_NS1_11comp_targetILNS1_3genE5ELNS1_11target_archE942ELNS1_3gpuE9ELNS1_3repE0EEENS1_30default_config_static_selectorELNS0_4arch9wavefront6targetE0EEEvT1_, .Lfunc_end1076-_ZN7rocprim17ROCPRIM_400000_NS6detail17trampoline_kernelINS0_14default_configENS1_25partition_config_selectorILNS1_17partition_subalgoE8ElNS0_10empty_typeEbEEZZNS1_14partition_implILS5_8ELb0ES3_jPlPS6_PKS6_NS0_5tupleIJS9_S6_EEENSD_IJSA_SA_EEENS0_18inequality_wrapperIZN2at6native12_GLOBAL__N_124unique_dim_cuda_templateIbEESt5tupleIJNSH_6TensorESM_SM_EERKSM_lbbbEUlllE0_EEPmJS6_EEE10hipError_tPvRmT3_T4_T5_T6_T7_T9_mT8_P12ihipStream_tbDpT10_ENKUlT_T0_E_clISt17integral_constantIbLb0EES1B_IbLb1EEEEDaS17_S18_EUlS17_E_NS1_11comp_targetILNS1_3genE5ELNS1_11target_archE942ELNS1_3gpuE9ELNS1_3repE0EEENS1_30default_config_static_selectorELNS0_4arch9wavefront6targetE0EEEvT1_
                                        ; -- End function
	.set _ZN7rocprim17ROCPRIM_400000_NS6detail17trampoline_kernelINS0_14default_configENS1_25partition_config_selectorILNS1_17partition_subalgoE8ElNS0_10empty_typeEbEEZZNS1_14partition_implILS5_8ELb0ES3_jPlPS6_PKS6_NS0_5tupleIJS9_S6_EEENSD_IJSA_SA_EEENS0_18inequality_wrapperIZN2at6native12_GLOBAL__N_124unique_dim_cuda_templateIbEESt5tupleIJNSH_6TensorESM_SM_EERKSM_lbbbEUlllE0_EEPmJS6_EEE10hipError_tPvRmT3_T4_T5_T6_T7_T9_mT8_P12ihipStream_tbDpT10_ENKUlT_T0_E_clISt17integral_constantIbLb0EES1B_IbLb1EEEEDaS17_S18_EUlS17_E_NS1_11comp_targetILNS1_3genE5ELNS1_11target_archE942ELNS1_3gpuE9ELNS1_3repE0EEENS1_30default_config_static_selectorELNS0_4arch9wavefront6targetE0EEEvT1_.num_vgpr, 0
	.set _ZN7rocprim17ROCPRIM_400000_NS6detail17trampoline_kernelINS0_14default_configENS1_25partition_config_selectorILNS1_17partition_subalgoE8ElNS0_10empty_typeEbEEZZNS1_14partition_implILS5_8ELb0ES3_jPlPS6_PKS6_NS0_5tupleIJS9_S6_EEENSD_IJSA_SA_EEENS0_18inequality_wrapperIZN2at6native12_GLOBAL__N_124unique_dim_cuda_templateIbEESt5tupleIJNSH_6TensorESM_SM_EERKSM_lbbbEUlllE0_EEPmJS6_EEE10hipError_tPvRmT3_T4_T5_T6_T7_T9_mT8_P12ihipStream_tbDpT10_ENKUlT_T0_E_clISt17integral_constantIbLb0EES1B_IbLb1EEEEDaS17_S18_EUlS17_E_NS1_11comp_targetILNS1_3genE5ELNS1_11target_archE942ELNS1_3gpuE9ELNS1_3repE0EEENS1_30default_config_static_selectorELNS0_4arch9wavefront6targetE0EEEvT1_.num_agpr, 0
	.set _ZN7rocprim17ROCPRIM_400000_NS6detail17trampoline_kernelINS0_14default_configENS1_25partition_config_selectorILNS1_17partition_subalgoE8ElNS0_10empty_typeEbEEZZNS1_14partition_implILS5_8ELb0ES3_jPlPS6_PKS6_NS0_5tupleIJS9_S6_EEENSD_IJSA_SA_EEENS0_18inequality_wrapperIZN2at6native12_GLOBAL__N_124unique_dim_cuda_templateIbEESt5tupleIJNSH_6TensorESM_SM_EERKSM_lbbbEUlllE0_EEPmJS6_EEE10hipError_tPvRmT3_T4_T5_T6_T7_T9_mT8_P12ihipStream_tbDpT10_ENKUlT_T0_E_clISt17integral_constantIbLb0EES1B_IbLb1EEEEDaS17_S18_EUlS17_E_NS1_11comp_targetILNS1_3genE5ELNS1_11target_archE942ELNS1_3gpuE9ELNS1_3repE0EEENS1_30default_config_static_selectorELNS0_4arch9wavefront6targetE0EEEvT1_.numbered_sgpr, 0
	.set _ZN7rocprim17ROCPRIM_400000_NS6detail17trampoline_kernelINS0_14default_configENS1_25partition_config_selectorILNS1_17partition_subalgoE8ElNS0_10empty_typeEbEEZZNS1_14partition_implILS5_8ELb0ES3_jPlPS6_PKS6_NS0_5tupleIJS9_S6_EEENSD_IJSA_SA_EEENS0_18inequality_wrapperIZN2at6native12_GLOBAL__N_124unique_dim_cuda_templateIbEESt5tupleIJNSH_6TensorESM_SM_EERKSM_lbbbEUlllE0_EEPmJS6_EEE10hipError_tPvRmT3_T4_T5_T6_T7_T9_mT8_P12ihipStream_tbDpT10_ENKUlT_T0_E_clISt17integral_constantIbLb0EES1B_IbLb1EEEEDaS17_S18_EUlS17_E_NS1_11comp_targetILNS1_3genE5ELNS1_11target_archE942ELNS1_3gpuE9ELNS1_3repE0EEENS1_30default_config_static_selectorELNS0_4arch9wavefront6targetE0EEEvT1_.num_named_barrier, 0
	.set _ZN7rocprim17ROCPRIM_400000_NS6detail17trampoline_kernelINS0_14default_configENS1_25partition_config_selectorILNS1_17partition_subalgoE8ElNS0_10empty_typeEbEEZZNS1_14partition_implILS5_8ELb0ES3_jPlPS6_PKS6_NS0_5tupleIJS9_S6_EEENSD_IJSA_SA_EEENS0_18inequality_wrapperIZN2at6native12_GLOBAL__N_124unique_dim_cuda_templateIbEESt5tupleIJNSH_6TensorESM_SM_EERKSM_lbbbEUlllE0_EEPmJS6_EEE10hipError_tPvRmT3_T4_T5_T6_T7_T9_mT8_P12ihipStream_tbDpT10_ENKUlT_T0_E_clISt17integral_constantIbLb0EES1B_IbLb1EEEEDaS17_S18_EUlS17_E_NS1_11comp_targetILNS1_3genE5ELNS1_11target_archE942ELNS1_3gpuE9ELNS1_3repE0EEENS1_30default_config_static_selectorELNS0_4arch9wavefront6targetE0EEEvT1_.private_seg_size, 0
	.set _ZN7rocprim17ROCPRIM_400000_NS6detail17trampoline_kernelINS0_14default_configENS1_25partition_config_selectorILNS1_17partition_subalgoE8ElNS0_10empty_typeEbEEZZNS1_14partition_implILS5_8ELb0ES3_jPlPS6_PKS6_NS0_5tupleIJS9_S6_EEENSD_IJSA_SA_EEENS0_18inequality_wrapperIZN2at6native12_GLOBAL__N_124unique_dim_cuda_templateIbEESt5tupleIJNSH_6TensorESM_SM_EERKSM_lbbbEUlllE0_EEPmJS6_EEE10hipError_tPvRmT3_T4_T5_T6_T7_T9_mT8_P12ihipStream_tbDpT10_ENKUlT_T0_E_clISt17integral_constantIbLb0EES1B_IbLb1EEEEDaS17_S18_EUlS17_E_NS1_11comp_targetILNS1_3genE5ELNS1_11target_archE942ELNS1_3gpuE9ELNS1_3repE0EEENS1_30default_config_static_selectorELNS0_4arch9wavefront6targetE0EEEvT1_.uses_vcc, 0
	.set _ZN7rocprim17ROCPRIM_400000_NS6detail17trampoline_kernelINS0_14default_configENS1_25partition_config_selectorILNS1_17partition_subalgoE8ElNS0_10empty_typeEbEEZZNS1_14partition_implILS5_8ELb0ES3_jPlPS6_PKS6_NS0_5tupleIJS9_S6_EEENSD_IJSA_SA_EEENS0_18inequality_wrapperIZN2at6native12_GLOBAL__N_124unique_dim_cuda_templateIbEESt5tupleIJNSH_6TensorESM_SM_EERKSM_lbbbEUlllE0_EEPmJS6_EEE10hipError_tPvRmT3_T4_T5_T6_T7_T9_mT8_P12ihipStream_tbDpT10_ENKUlT_T0_E_clISt17integral_constantIbLb0EES1B_IbLb1EEEEDaS17_S18_EUlS17_E_NS1_11comp_targetILNS1_3genE5ELNS1_11target_archE942ELNS1_3gpuE9ELNS1_3repE0EEENS1_30default_config_static_selectorELNS0_4arch9wavefront6targetE0EEEvT1_.uses_flat_scratch, 0
	.set _ZN7rocprim17ROCPRIM_400000_NS6detail17trampoline_kernelINS0_14default_configENS1_25partition_config_selectorILNS1_17partition_subalgoE8ElNS0_10empty_typeEbEEZZNS1_14partition_implILS5_8ELb0ES3_jPlPS6_PKS6_NS0_5tupleIJS9_S6_EEENSD_IJSA_SA_EEENS0_18inequality_wrapperIZN2at6native12_GLOBAL__N_124unique_dim_cuda_templateIbEESt5tupleIJNSH_6TensorESM_SM_EERKSM_lbbbEUlllE0_EEPmJS6_EEE10hipError_tPvRmT3_T4_T5_T6_T7_T9_mT8_P12ihipStream_tbDpT10_ENKUlT_T0_E_clISt17integral_constantIbLb0EES1B_IbLb1EEEEDaS17_S18_EUlS17_E_NS1_11comp_targetILNS1_3genE5ELNS1_11target_archE942ELNS1_3gpuE9ELNS1_3repE0EEENS1_30default_config_static_selectorELNS0_4arch9wavefront6targetE0EEEvT1_.has_dyn_sized_stack, 0
	.set _ZN7rocprim17ROCPRIM_400000_NS6detail17trampoline_kernelINS0_14default_configENS1_25partition_config_selectorILNS1_17partition_subalgoE8ElNS0_10empty_typeEbEEZZNS1_14partition_implILS5_8ELb0ES3_jPlPS6_PKS6_NS0_5tupleIJS9_S6_EEENSD_IJSA_SA_EEENS0_18inequality_wrapperIZN2at6native12_GLOBAL__N_124unique_dim_cuda_templateIbEESt5tupleIJNSH_6TensorESM_SM_EERKSM_lbbbEUlllE0_EEPmJS6_EEE10hipError_tPvRmT3_T4_T5_T6_T7_T9_mT8_P12ihipStream_tbDpT10_ENKUlT_T0_E_clISt17integral_constantIbLb0EES1B_IbLb1EEEEDaS17_S18_EUlS17_E_NS1_11comp_targetILNS1_3genE5ELNS1_11target_archE942ELNS1_3gpuE9ELNS1_3repE0EEENS1_30default_config_static_selectorELNS0_4arch9wavefront6targetE0EEEvT1_.has_recursion, 0
	.set _ZN7rocprim17ROCPRIM_400000_NS6detail17trampoline_kernelINS0_14default_configENS1_25partition_config_selectorILNS1_17partition_subalgoE8ElNS0_10empty_typeEbEEZZNS1_14partition_implILS5_8ELb0ES3_jPlPS6_PKS6_NS0_5tupleIJS9_S6_EEENSD_IJSA_SA_EEENS0_18inequality_wrapperIZN2at6native12_GLOBAL__N_124unique_dim_cuda_templateIbEESt5tupleIJNSH_6TensorESM_SM_EERKSM_lbbbEUlllE0_EEPmJS6_EEE10hipError_tPvRmT3_T4_T5_T6_T7_T9_mT8_P12ihipStream_tbDpT10_ENKUlT_T0_E_clISt17integral_constantIbLb0EES1B_IbLb1EEEEDaS17_S18_EUlS17_E_NS1_11comp_targetILNS1_3genE5ELNS1_11target_archE942ELNS1_3gpuE9ELNS1_3repE0EEENS1_30default_config_static_selectorELNS0_4arch9wavefront6targetE0EEEvT1_.has_indirect_call, 0
	.section	.AMDGPU.csdata,"",@progbits
; Kernel info:
; codeLenInByte = 0
; TotalNumSgprs: 0
; NumVgprs: 0
; ScratchSize: 0
; MemoryBound: 0
; FloatMode: 240
; IeeeMode: 1
; LDSByteSize: 0 bytes/workgroup (compile time only)
; SGPRBlocks: 0
; VGPRBlocks: 0
; NumSGPRsForWavesPerEU: 1
; NumVGPRsForWavesPerEU: 1
; NamedBarCnt: 0
; Occupancy: 16
; WaveLimiterHint : 0
; COMPUTE_PGM_RSRC2:SCRATCH_EN: 0
; COMPUTE_PGM_RSRC2:USER_SGPR: 2
; COMPUTE_PGM_RSRC2:TRAP_HANDLER: 0
; COMPUTE_PGM_RSRC2:TGID_X_EN: 1
; COMPUTE_PGM_RSRC2:TGID_Y_EN: 0
; COMPUTE_PGM_RSRC2:TGID_Z_EN: 0
; COMPUTE_PGM_RSRC2:TIDIG_COMP_CNT: 0
	.section	.text._ZN7rocprim17ROCPRIM_400000_NS6detail17trampoline_kernelINS0_14default_configENS1_25partition_config_selectorILNS1_17partition_subalgoE8ElNS0_10empty_typeEbEEZZNS1_14partition_implILS5_8ELb0ES3_jPlPS6_PKS6_NS0_5tupleIJS9_S6_EEENSD_IJSA_SA_EEENS0_18inequality_wrapperIZN2at6native12_GLOBAL__N_124unique_dim_cuda_templateIbEESt5tupleIJNSH_6TensorESM_SM_EERKSM_lbbbEUlllE0_EEPmJS6_EEE10hipError_tPvRmT3_T4_T5_T6_T7_T9_mT8_P12ihipStream_tbDpT10_ENKUlT_T0_E_clISt17integral_constantIbLb0EES1B_IbLb1EEEEDaS17_S18_EUlS17_E_NS1_11comp_targetILNS1_3genE4ELNS1_11target_archE910ELNS1_3gpuE8ELNS1_3repE0EEENS1_30default_config_static_selectorELNS0_4arch9wavefront6targetE0EEEvT1_,"axG",@progbits,_ZN7rocprim17ROCPRIM_400000_NS6detail17trampoline_kernelINS0_14default_configENS1_25partition_config_selectorILNS1_17partition_subalgoE8ElNS0_10empty_typeEbEEZZNS1_14partition_implILS5_8ELb0ES3_jPlPS6_PKS6_NS0_5tupleIJS9_S6_EEENSD_IJSA_SA_EEENS0_18inequality_wrapperIZN2at6native12_GLOBAL__N_124unique_dim_cuda_templateIbEESt5tupleIJNSH_6TensorESM_SM_EERKSM_lbbbEUlllE0_EEPmJS6_EEE10hipError_tPvRmT3_T4_T5_T6_T7_T9_mT8_P12ihipStream_tbDpT10_ENKUlT_T0_E_clISt17integral_constantIbLb0EES1B_IbLb1EEEEDaS17_S18_EUlS17_E_NS1_11comp_targetILNS1_3genE4ELNS1_11target_archE910ELNS1_3gpuE8ELNS1_3repE0EEENS1_30default_config_static_selectorELNS0_4arch9wavefront6targetE0EEEvT1_,comdat
	.globl	_ZN7rocprim17ROCPRIM_400000_NS6detail17trampoline_kernelINS0_14default_configENS1_25partition_config_selectorILNS1_17partition_subalgoE8ElNS0_10empty_typeEbEEZZNS1_14partition_implILS5_8ELb0ES3_jPlPS6_PKS6_NS0_5tupleIJS9_S6_EEENSD_IJSA_SA_EEENS0_18inequality_wrapperIZN2at6native12_GLOBAL__N_124unique_dim_cuda_templateIbEESt5tupleIJNSH_6TensorESM_SM_EERKSM_lbbbEUlllE0_EEPmJS6_EEE10hipError_tPvRmT3_T4_T5_T6_T7_T9_mT8_P12ihipStream_tbDpT10_ENKUlT_T0_E_clISt17integral_constantIbLb0EES1B_IbLb1EEEEDaS17_S18_EUlS17_E_NS1_11comp_targetILNS1_3genE4ELNS1_11target_archE910ELNS1_3gpuE8ELNS1_3repE0EEENS1_30default_config_static_selectorELNS0_4arch9wavefront6targetE0EEEvT1_ ; -- Begin function _ZN7rocprim17ROCPRIM_400000_NS6detail17trampoline_kernelINS0_14default_configENS1_25partition_config_selectorILNS1_17partition_subalgoE8ElNS0_10empty_typeEbEEZZNS1_14partition_implILS5_8ELb0ES3_jPlPS6_PKS6_NS0_5tupleIJS9_S6_EEENSD_IJSA_SA_EEENS0_18inequality_wrapperIZN2at6native12_GLOBAL__N_124unique_dim_cuda_templateIbEESt5tupleIJNSH_6TensorESM_SM_EERKSM_lbbbEUlllE0_EEPmJS6_EEE10hipError_tPvRmT3_T4_T5_T6_T7_T9_mT8_P12ihipStream_tbDpT10_ENKUlT_T0_E_clISt17integral_constantIbLb0EES1B_IbLb1EEEEDaS17_S18_EUlS17_E_NS1_11comp_targetILNS1_3genE4ELNS1_11target_archE910ELNS1_3gpuE8ELNS1_3repE0EEENS1_30default_config_static_selectorELNS0_4arch9wavefront6targetE0EEEvT1_
	.p2align	8
	.type	_ZN7rocprim17ROCPRIM_400000_NS6detail17trampoline_kernelINS0_14default_configENS1_25partition_config_selectorILNS1_17partition_subalgoE8ElNS0_10empty_typeEbEEZZNS1_14partition_implILS5_8ELb0ES3_jPlPS6_PKS6_NS0_5tupleIJS9_S6_EEENSD_IJSA_SA_EEENS0_18inequality_wrapperIZN2at6native12_GLOBAL__N_124unique_dim_cuda_templateIbEESt5tupleIJNSH_6TensorESM_SM_EERKSM_lbbbEUlllE0_EEPmJS6_EEE10hipError_tPvRmT3_T4_T5_T6_T7_T9_mT8_P12ihipStream_tbDpT10_ENKUlT_T0_E_clISt17integral_constantIbLb0EES1B_IbLb1EEEEDaS17_S18_EUlS17_E_NS1_11comp_targetILNS1_3genE4ELNS1_11target_archE910ELNS1_3gpuE8ELNS1_3repE0EEENS1_30default_config_static_selectorELNS0_4arch9wavefront6targetE0EEEvT1_,@function
_ZN7rocprim17ROCPRIM_400000_NS6detail17trampoline_kernelINS0_14default_configENS1_25partition_config_selectorILNS1_17partition_subalgoE8ElNS0_10empty_typeEbEEZZNS1_14partition_implILS5_8ELb0ES3_jPlPS6_PKS6_NS0_5tupleIJS9_S6_EEENSD_IJSA_SA_EEENS0_18inequality_wrapperIZN2at6native12_GLOBAL__N_124unique_dim_cuda_templateIbEESt5tupleIJNSH_6TensorESM_SM_EERKSM_lbbbEUlllE0_EEPmJS6_EEE10hipError_tPvRmT3_T4_T5_T6_T7_T9_mT8_P12ihipStream_tbDpT10_ENKUlT_T0_E_clISt17integral_constantIbLb0EES1B_IbLb1EEEEDaS17_S18_EUlS17_E_NS1_11comp_targetILNS1_3genE4ELNS1_11target_archE910ELNS1_3gpuE8ELNS1_3repE0EEENS1_30default_config_static_selectorELNS0_4arch9wavefront6targetE0EEEvT1_: ; @_ZN7rocprim17ROCPRIM_400000_NS6detail17trampoline_kernelINS0_14default_configENS1_25partition_config_selectorILNS1_17partition_subalgoE8ElNS0_10empty_typeEbEEZZNS1_14partition_implILS5_8ELb0ES3_jPlPS6_PKS6_NS0_5tupleIJS9_S6_EEENSD_IJSA_SA_EEENS0_18inequality_wrapperIZN2at6native12_GLOBAL__N_124unique_dim_cuda_templateIbEESt5tupleIJNSH_6TensorESM_SM_EERKSM_lbbbEUlllE0_EEPmJS6_EEE10hipError_tPvRmT3_T4_T5_T6_T7_T9_mT8_P12ihipStream_tbDpT10_ENKUlT_T0_E_clISt17integral_constantIbLb0EES1B_IbLb1EEEEDaS17_S18_EUlS17_E_NS1_11comp_targetILNS1_3genE4ELNS1_11target_archE910ELNS1_3gpuE8ELNS1_3repE0EEENS1_30default_config_static_selectorELNS0_4arch9wavefront6targetE0EEEvT1_
; %bb.0:
	.section	.rodata,"a",@progbits
	.p2align	6, 0x0
	.amdhsa_kernel _ZN7rocprim17ROCPRIM_400000_NS6detail17trampoline_kernelINS0_14default_configENS1_25partition_config_selectorILNS1_17partition_subalgoE8ElNS0_10empty_typeEbEEZZNS1_14partition_implILS5_8ELb0ES3_jPlPS6_PKS6_NS0_5tupleIJS9_S6_EEENSD_IJSA_SA_EEENS0_18inequality_wrapperIZN2at6native12_GLOBAL__N_124unique_dim_cuda_templateIbEESt5tupleIJNSH_6TensorESM_SM_EERKSM_lbbbEUlllE0_EEPmJS6_EEE10hipError_tPvRmT3_T4_T5_T6_T7_T9_mT8_P12ihipStream_tbDpT10_ENKUlT_T0_E_clISt17integral_constantIbLb0EES1B_IbLb1EEEEDaS17_S18_EUlS17_E_NS1_11comp_targetILNS1_3genE4ELNS1_11target_archE910ELNS1_3gpuE8ELNS1_3repE0EEENS1_30default_config_static_selectorELNS0_4arch9wavefront6targetE0EEEvT1_
		.amdhsa_group_segment_fixed_size 0
		.amdhsa_private_segment_fixed_size 0
		.amdhsa_kernarg_size 136
		.amdhsa_user_sgpr_count 2
		.amdhsa_user_sgpr_dispatch_ptr 0
		.amdhsa_user_sgpr_queue_ptr 0
		.amdhsa_user_sgpr_kernarg_segment_ptr 1
		.amdhsa_user_sgpr_dispatch_id 0
		.amdhsa_user_sgpr_kernarg_preload_length 0
		.amdhsa_user_sgpr_kernarg_preload_offset 0
		.amdhsa_user_sgpr_private_segment_size 0
		.amdhsa_wavefront_size32 1
		.amdhsa_uses_dynamic_stack 0
		.amdhsa_enable_private_segment 0
		.amdhsa_system_sgpr_workgroup_id_x 1
		.amdhsa_system_sgpr_workgroup_id_y 0
		.amdhsa_system_sgpr_workgroup_id_z 0
		.amdhsa_system_sgpr_workgroup_info 0
		.amdhsa_system_vgpr_workitem_id 0
		.amdhsa_next_free_vgpr 1
		.amdhsa_next_free_sgpr 1
		.amdhsa_named_barrier_count 0
		.amdhsa_reserve_vcc 0
		.amdhsa_float_round_mode_32 0
		.amdhsa_float_round_mode_16_64 0
		.amdhsa_float_denorm_mode_32 3
		.amdhsa_float_denorm_mode_16_64 3
		.amdhsa_fp16_overflow 0
		.amdhsa_memory_ordered 1
		.amdhsa_forward_progress 1
		.amdhsa_inst_pref_size 0
		.amdhsa_round_robin_scheduling 0
		.amdhsa_exception_fp_ieee_invalid_op 0
		.amdhsa_exception_fp_denorm_src 0
		.amdhsa_exception_fp_ieee_div_zero 0
		.amdhsa_exception_fp_ieee_overflow 0
		.amdhsa_exception_fp_ieee_underflow 0
		.amdhsa_exception_fp_ieee_inexact 0
		.amdhsa_exception_int_div_zero 0
	.end_amdhsa_kernel
	.section	.text._ZN7rocprim17ROCPRIM_400000_NS6detail17trampoline_kernelINS0_14default_configENS1_25partition_config_selectorILNS1_17partition_subalgoE8ElNS0_10empty_typeEbEEZZNS1_14partition_implILS5_8ELb0ES3_jPlPS6_PKS6_NS0_5tupleIJS9_S6_EEENSD_IJSA_SA_EEENS0_18inequality_wrapperIZN2at6native12_GLOBAL__N_124unique_dim_cuda_templateIbEESt5tupleIJNSH_6TensorESM_SM_EERKSM_lbbbEUlllE0_EEPmJS6_EEE10hipError_tPvRmT3_T4_T5_T6_T7_T9_mT8_P12ihipStream_tbDpT10_ENKUlT_T0_E_clISt17integral_constantIbLb0EES1B_IbLb1EEEEDaS17_S18_EUlS17_E_NS1_11comp_targetILNS1_3genE4ELNS1_11target_archE910ELNS1_3gpuE8ELNS1_3repE0EEENS1_30default_config_static_selectorELNS0_4arch9wavefront6targetE0EEEvT1_,"axG",@progbits,_ZN7rocprim17ROCPRIM_400000_NS6detail17trampoline_kernelINS0_14default_configENS1_25partition_config_selectorILNS1_17partition_subalgoE8ElNS0_10empty_typeEbEEZZNS1_14partition_implILS5_8ELb0ES3_jPlPS6_PKS6_NS0_5tupleIJS9_S6_EEENSD_IJSA_SA_EEENS0_18inequality_wrapperIZN2at6native12_GLOBAL__N_124unique_dim_cuda_templateIbEESt5tupleIJNSH_6TensorESM_SM_EERKSM_lbbbEUlllE0_EEPmJS6_EEE10hipError_tPvRmT3_T4_T5_T6_T7_T9_mT8_P12ihipStream_tbDpT10_ENKUlT_T0_E_clISt17integral_constantIbLb0EES1B_IbLb1EEEEDaS17_S18_EUlS17_E_NS1_11comp_targetILNS1_3genE4ELNS1_11target_archE910ELNS1_3gpuE8ELNS1_3repE0EEENS1_30default_config_static_selectorELNS0_4arch9wavefront6targetE0EEEvT1_,comdat
.Lfunc_end1077:
	.size	_ZN7rocprim17ROCPRIM_400000_NS6detail17trampoline_kernelINS0_14default_configENS1_25partition_config_selectorILNS1_17partition_subalgoE8ElNS0_10empty_typeEbEEZZNS1_14partition_implILS5_8ELb0ES3_jPlPS6_PKS6_NS0_5tupleIJS9_S6_EEENSD_IJSA_SA_EEENS0_18inequality_wrapperIZN2at6native12_GLOBAL__N_124unique_dim_cuda_templateIbEESt5tupleIJNSH_6TensorESM_SM_EERKSM_lbbbEUlllE0_EEPmJS6_EEE10hipError_tPvRmT3_T4_T5_T6_T7_T9_mT8_P12ihipStream_tbDpT10_ENKUlT_T0_E_clISt17integral_constantIbLb0EES1B_IbLb1EEEEDaS17_S18_EUlS17_E_NS1_11comp_targetILNS1_3genE4ELNS1_11target_archE910ELNS1_3gpuE8ELNS1_3repE0EEENS1_30default_config_static_selectorELNS0_4arch9wavefront6targetE0EEEvT1_, .Lfunc_end1077-_ZN7rocprim17ROCPRIM_400000_NS6detail17trampoline_kernelINS0_14default_configENS1_25partition_config_selectorILNS1_17partition_subalgoE8ElNS0_10empty_typeEbEEZZNS1_14partition_implILS5_8ELb0ES3_jPlPS6_PKS6_NS0_5tupleIJS9_S6_EEENSD_IJSA_SA_EEENS0_18inequality_wrapperIZN2at6native12_GLOBAL__N_124unique_dim_cuda_templateIbEESt5tupleIJNSH_6TensorESM_SM_EERKSM_lbbbEUlllE0_EEPmJS6_EEE10hipError_tPvRmT3_T4_T5_T6_T7_T9_mT8_P12ihipStream_tbDpT10_ENKUlT_T0_E_clISt17integral_constantIbLb0EES1B_IbLb1EEEEDaS17_S18_EUlS17_E_NS1_11comp_targetILNS1_3genE4ELNS1_11target_archE910ELNS1_3gpuE8ELNS1_3repE0EEENS1_30default_config_static_selectorELNS0_4arch9wavefront6targetE0EEEvT1_
                                        ; -- End function
	.set _ZN7rocprim17ROCPRIM_400000_NS6detail17trampoline_kernelINS0_14default_configENS1_25partition_config_selectorILNS1_17partition_subalgoE8ElNS0_10empty_typeEbEEZZNS1_14partition_implILS5_8ELb0ES3_jPlPS6_PKS6_NS0_5tupleIJS9_S6_EEENSD_IJSA_SA_EEENS0_18inequality_wrapperIZN2at6native12_GLOBAL__N_124unique_dim_cuda_templateIbEESt5tupleIJNSH_6TensorESM_SM_EERKSM_lbbbEUlllE0_EEPmJS6_EEE10hipError_tPvRmT3_T4_T5_T6_T7_T9_mT8_P12ihipStream_tbDpT10_ENKUlT_T0_E_clISt17integral_constantIbLb0EES1B_IbLb1EEEEDaS17_S18_EUlS17_E_NS1_11comp_targetILNS1_3genE4ELNS1_11target_archE910ELNS1_3gpuE8ELNS1_3repE0EEENS1_30default_config_static_selectorELNS0_4arch9wavefront6targetE0EEEvT1_.num_vgpr, 0
	.set _ZN7rocprim17ROCPRIM_400000_NS6detail17trampoline_kernelINS0_14default_configENS1_25partition_config_selectorILNS1_17partition_subalgoE8ElNS0_10empty_typeEbEEZZNS1_14partition_implILS5_8ELb0ES3_jPlPS6_PKS6_NS0_5tupleIJS9_S6_EEENSD_IJSA_SA_EEENS0_18inequality_wrapperIZN2at6native12_GLOBAL__N_124unique_dim_cuda_templateIbEESt5tupleIJNSH_6TensorESM_SM_EERKSM_lbbbEUlllE0_EEPmJS6_EEE10hipError_tPvRmT3_T4_T5_T6_T7_T9_mT8_P12ihipStream_tbDpT10_ENKUlT_T0_E_clISt17integral_constantIbLb0EES1B_IbLb1EEEEDaS17_S18_EUlS17_E_NS1_11comp_targetILNS1_3genE4ELNS1_11target_archE910ELNS1_3gpuE8ELNS1_3repE0EEENS1_30default_config_static_selectorELNS0_4arch9wavefront6targetE0EEEvT1_.num_agpr, 0
	.set _ZN7rocprim17ROCPRIM_400000_NS6detail17trampoline_kernelINS0_14default_configENS1_25partition_config_selectorILNS1_17partition_subalgoE8ElNS0_10empty_typeEbEEZZNS1_14partition_implILS5_8ELb0ES3_jPlPS6_PKS6_NS0_5tupleIJS9_S6_EEENSD_IJSA_SA_EEENS0_18inequality_wrapperIZN2at6native12_GLOBAL__N_124unique_dim_cuda_templateIbEESt5tupleIJNSH_6TensorESM_SM_EERKSM_lbbbEUlllE0_EEPmJS6_EEE10hipError_tPvRmT3_T4_T5_T6_T7_T9_mT8_P12ihipStream_tbDpT10_ENKUlT_T0_E_clISt17integral_constantIbLb0EES1B_IbLb1EEEEDaS17_S18_EUlS17_E_NS1_11comp_targetILNS1_3genE4ELNS1_11target_archE910ELNS1_3gpuE8ELNS1_3repE0EEENS1_30default_config_static_selectorELNS0_4arch9wavefront6targetE0EEEvT1_.numbered_sgpr, 0
	.set _ZN7rocprim17ROCPRIM_400000_NS6detail17trampoline_kernelINS0_14default_configENS1_25partition_config_selectorILNS1_17partition_subalgoE8ElNS0_10empty_typeEbEEZZNS1_14partition_implILS5_8ELb0ES3_jPlPS6_PKS6_NS0_5tupleIJS9_S6_EEENSD_IJSA_SA_EEENS0_18inequality_wrapperIZN2at6native12_GLOBAL__N_124unique_dim_cuda_templateIbEESt5tupleIJNSH_6TensorESM_SM_EERKSM_lbbbEUlllE0_EEPmJS6_EEE10hipError_tPvRmT3_T4_T5_T6_T7_T9_mT8_P12ihipStream_tbDpT10_ENKUlT_T0_E_clISt17integral_constantIbLb0EES1B_IbLb1EEEEDaS17_S18_EUlS17_E_NS1_11comp_targetILNS1_3genE4ELNS1_11target_archE910ELNS1_3gpuE8ELNS1_3repE0EEENS1_30default_config_static_selectorELNS0_4arch9wavefront6targetE0EEEvT1_.num_named_barrier, 0
	.set _ZN7rocprim17ROCPRIM_400000_NS6detail17trampoline_kernelINS0_14default_configENS1_25partition_config_selectorILNS1_17partition_subalgoE8ElNS0_10empty_typeEbEEZZNS1_14partition_implILS5_8ELb0ES3_jPlPS6_PKS6_NS0_5tupleIJS9_S6_EEENSD_IJSA_SA_EEENS0_18inequality_wrapperIZN2at6native12_GLOBAL__N_124unique_dim_cuda_templateIbEESt5tupleIJNSH_6TensorESM_SM_EERKSM_lbbbEUlllE0_EEPmJS6_EEE10hipError_tPvRmT3_T4_T5_T6_T7_T9_mT8_P12ihipStream_tbDpT10_ENKUlT_T0_E_clISt17integral_constantIbLb0EES1B_IbLb1EEEEDaS17_S18_EUlS17_E_NS1_11comp_targetILNS1_3genE4ELNS1_11target_archE910ELNS1_3gpuE8ELNS1_3repE0EEENS1_30default_config_static_selectorELNS0_4arch9wavefront6targetE0EEEvT1_.private_seg_size, 0
	.set _ZN7rocprim17ROCPRIM_400000_NS6detail17trampoline_kernelINS0_14default_configENS1_25partition_config_selectorILNS1_17partition_subalgoE8ElNS0_10empty_typeEbEEZZNS1_14partition_implILS5_8ELb0ES3_jPlPS6_PKS6_NS0_5tupleIJS9_S6_EEENSD_IJSA_SA_EEENS0_18inequality_wrapperIZN2at6native12_GLOBAL__N_124unique_dim_cuda_templateIbEESt5tupleIJNSH_6TensorESM_SM_EERKSM_lbbbEUlllE0_EEPmJS6_EEE10hipError_tPvRmT3_T4_T5_T6_T7_T9_mT8_P12ihipStream_tbDpT10_ENKUlT_T0_E_clISt17integral_constantIbLb0EES1B_IbLb1EEEEDaS17_S18_EUlS17_E_NS1_11comp_targetILNS1_3genE4ELNS1_11target_archE910ELNS1_3gpuE8ELNS1_3repE0EEENS1_30default_config_static_selectorELNS0_4arch9wavefront6targetE0EEEvT1_.uses_vcc, 0
	.set _ZN7rocprim17ROCPRIM_400000_NS6detail17trampoline_kernelINS0_14default_configENS1_25partition_config_selectorILNS1_17partition_subalgoE8ElNS0_10empty_typeEbEEZZNS1_14partition_implILS5_8ELb0ES3_jPlPS6_PKS6_NS0_5tupleIJS9_S6_EEENSD_IJSA_SA_EEENS0_18inequality_wrapperIZN2at6native12_GLOBAL__N_124unique_dim_cuda_templateIbEESt5tupleIJNSH_6TensorESM_SM_EERKSM_lbbbEUlllE0_EEPmJS6_EEE10hipError_tPvRmT3_T4_T5_T6_T7_T9_mT8_P12ihipStream_tbDpT10_ENKUlT_T0_E_clISt17integral_constantIbLb0EES1B_IbLb1EEEEDaS17_S18_EUlS17_E_NS1_11comp_targetILNS1_3genE4ELNS1_11target_archE910ELNS1_3gpuE8ELNS1_3repE0EEENS1_30default_config_static_selectorELNS0_4arch9wavefront6targetE0EEEvT1_.uses_flat_scratch, 0
	.set _ZN7rocprim17ROCPRIM_400000_NS6detail17trampoline_kernelINS0_14default_configENS1_25partition_config_selectorILNS1_17partition_subalgoE8ElNS0_10empty_typeEbEEZZNS1_14partition_implILS5_8ELb0ES3_jPlPS6_PKS6_NS0_5tupleIJS9_S6_EEENSD_IJSA_SA_EEENS0_18inequality_wrapperIZN2at6native12_GLOBAL__N_124unique_dim_cuda_templateIbEESt5tupleIJNSH_6TensorESM_SM_EERKSM_lbbbEUlllE0_EEPmJS6_EEE10hipError_tPvRmT3_T4_T5_T6_T7_T9_mT8_P12ihipStream_tbDpT10_ENKUlT_T0_E_clISt17integral_constantIbLb0EES1B_IbLb1EEEEDaS17_S18_EUlS17_E_NS1_11comp_targetILNS1_3genE4ELNS1_11target_archE910ELNS1_3gpuE8ELNS1_3repE0EEENS1_30default_config_static_selectorELNS0_4arch9wavefront6targetE0EEEvT1_.has_dyn_sized_stack, 0
	.set _ZN7rocprim17ROCPRIM_400000_NS6detail17trampoline_kernelINS0_14default_configENS1_25partition_config_selectorILNS1_17partition_subalgoE8ElNS0_10empty_typeEbEEZZNS1_14partition_implILS5_8ELb0ES3_jPlPS6_PKS6_NS0_5tupleIJS9_S6_EEENSD_IJSA_SA_EEENS0_18inequality_wrapperIZN2at6native12_GLOBAL__N_124unique_dim_cuda_templateIbEESt5tupleIJNSH_6TensorESM_SM_EERKSM_lbbbEUlllE0_EEPmJS6_EEE10hipError_tPvRmT3_T4_T5_T6_T7_T9_mT8_P12ihipStream_tbDpT10_ENKUlT_T0_E_clISt17integral_constantIbLb0EES1B_IbLb1EEEEDaS17_S18_EUlS17_E_NS1_11comp_targetILNS1_3genE4ELNS1_11target_archE910ELNS1_3gpuE8ELNS1_3repE0EEENS1_30default_config_static_selectorELNS0_4arch9wavefront6targetE0EEEvT1_.has_recursion, 0
	.set _ZN7rocprim17ROCPRIM_400000_NS6detail17trampoline_kernelINS0_14default_configENS1_25partition_config_selectorILNS1_17partition_subalgoE8ElNS0_10empty_typeEbEEZZNS1_14partition_implILS5_8ELb0ES3_jPlPS6_PKS6_NS0_5tupleIJS9_S6_EEENSD_IJSA_SA_EEENS0_18inequality_wrapperIZN2at6native12_GLOBAL__N_124unique_dim_cuda_templateIbEESt5tupleIJNSH_6TensorESM_SM_EERKSM_lbbbEUlllE0_EEPmJS6_EEE10hipError_tPvRmT3_T4_T5_T6_T7_T9_mT8_P12ihipStream_tbDpT10_ENKUlT_T0_E_clISt17integral_constantIbLb0EES1B_IbLb1EEEEDaS17_S18_EUlS17_E_NS1_11comp_targetILNS1_3genE4ELNS1_11target_archE910ELNS1_3gpuE8ELNS1_3repE0EEENS1_30default_config_static_selectorELNS0_4arch9wavefront6targetE0EEEvT1_.has_indirect_call, 0
	.section	.AMDGPU.csdata,"",@progbits
; Kernel info:
; codeLenInByte = 0
; TotalNumSgprs: 0
; NumVgprs: 0
; ScratchSize: 0
; MemoryBound: 0
; FloatMode: 240
; IeeeMode: 1
; LDSByteSize: 0 bytes/workgroup (compile time only)
; SGPRBlocks: 0
; VGPRBlocks: 0
; NumSGPRsForWavesPerEU: 1
; NumVGPRsForWavesPerEU: 1
; NamedBarCnt: 0
; Occupancy: 16
; WaveLimiterHint : 0
; COMPUTE_PGM_RSRC2:SCRATCH_EN: 0
; COMPUTE_PGM_RSRC2:USER_SGPR: 2
; COMPUTE_PGM_RSRC2:TRAP_HANDLER: 0
; COMPUTE_PGM_RSRC2:TGID_X_EN: 1
; COMPUTE_PGM_RSRC2:TGID_Y_EN: 0
; COMPUTE_PGM_RSRC2:TGID_Z_EN: 0
; COMPUTE_PGM_RSRC2:TIDIG_COMP_CNT: 0
	.section	.text._ZN7rocprim17ROCPRIM_400000_NS6detail17trampoline_kernelINS0_14default_configENS1_25partition_config_selectorILNS1_17partition_subalgoE8ElNS0_10empty_typeEbEEZZNS1_14partition_implILS5_8ELb0ES3_jPlPS6_PKS6_NS0_5tupleIJS9_S6_EEENSD_IJSA_SA_EEENS0_18inequality_wrapperIZN2at6native12_GLOBAL__N_124unique_dim_cuda_templateIbEESt5tupleIJNSH_6TensorESM_SM_EERKSM_lbbbEUlllE0_EEPmJS6_EEE10hipError_tPvRmT3_T4_T5_T6_T7_T9_mT8_P12ihipStream_tbDpT10_ENKUlT_T0_E_clISt17integral_constantIbLb0EES1B_IbLb1EEEEDaS17_S18_EUlS17_E_NS1_11comp_targetILNS1_3genE3ELNS1_11target_archE908ELNS1_3gpuE7ELNS1_3repE0EEENS1_30default_config_static_selectorELNS0_4arch9wavefront6targetE0EEEvT1_,"axG",@progbits,_ZN7rocprim17ROCPRIM_400000_NS6detail17trampoline_kernelINS0_14default_configENS1_25partition_config_selectorILNS1_17partition_subalgoE8ElNS0_10empty_typeEbEEZZNS1_14partition_implILS5_8ELb0ES3_jPlPS6_PKS6_NS0_5tupleIJS9_S6_EEENSD_IJSA_SA_EEENS0_18inequality_wrapperIZN2at6native12_GLOBAL__N_124unique_dim_cuda_templateIbEESt5tupleIJNSH_6TensorESM_SM_EERKSM_lbbbEUlllE0_EEPmJS6_EEE10hipError_tPvRmT3_T4_T5_T6_T7_T9_mT8_P12ihipStream_tbDpT10_ENKUlT_T0_E_clISt17integral_constantIbLb0EES1B_IbLb1EEEEDaS17_S18_EUlS17_E_NS1_11comp_targetILNS1_3genE3ELNS1_11target_archE908ELNS1_3gpuE7ELNS1_3repE0EEENS1_30default_config_static_selectorELNS0_4arch9wavefront6targetE0EEEvT1_,comdat
	.globl	_ZN7rocprim17ROCPRIM_400000_NS6detail17trampoline_kernelINS0_14default_configENS1_25partition_config_selectorILNS1_17partition_subalgoE8ElNS0_10empty_typeEbEEZZNS1_14partition_implILS5_8ELb0ES3_jPlPS6_PKS6_NS0_5tupleIJS9_S6_EEENSD_IJSA_SA_EEENS0_18inequality_wrapperIZN2at6native12_GLOBAL__N_124unique_dim_cuda_templateIbEESt5tupleIJNSH_6TensorESM_SM_EERKSM_lbbbEUlllE0_EEPmJS6_EEE10hipError_tPvRmT3_T4_T5_T6_T7_T9_mT8_P12ihipStream_tbDpT10_ENKUlT_T0_E_clISt17integral_constantIbLb0EES1B_IbLb1EEEEDaS17_S18_EUlS17_E_NS1_11comp_targetILNS1_3genE3ELNS1_11target_archE908ELNS1_3gpuE7ELNS1_3repE0EEENS1_30default_config_static_selectorELNS0_4arch9wavefront6targetE0EEEvT1_ ; -- Begin function _ZN7rocprim17ROCPRIM_400000_NS6detail17trampoline_kernelINS0_14default_configENS1_25partition_config_selectorILNS1_17partition_subalgoE8ElNS0_10empty_typeEbEEZZNS1_14partition_implILS5_8ELb0ES3_jPlPS6_PKS6_NS0_5tupleIJS9_S6_EEENSD_IJSA_SA_EEENS0_18inequality_wrapperIZN2at6native12_GLOBAL__N_124unique_dim_cuda_templateIbEESt5tupleIJNSH_6TensorESM_SM_EERKSM_lbbbEUlllE0_EEPmJS6_EEE10hipError_tPvRmT3_T4_T5_T6_T7_T9_mT8_P12ihipStream_tbDpT10_ENKUlT_T0_E_clISt17integral_constantIbLb0EES1B_IbLb1EEEEDaS17_S18_EUlS17_E_NS1_11comp_targetILNS1_3genE3ELNS1_11target_archE908ELNS1_3gpuE7ELNS1_3repE0EEENS1_30default_config_static_selectorELNS0_4arch9wavefront6targetE0EEEvT1_
	.p2align	8
	.type	_ZN7rocprim17ROCPRIM_400000_NS6detail17trampoline_kernelINS0_14default_configENS1_25partition_config_selectorILNS1_17partition_subalgoE8ElNS0_10empty_typeEbEEZZNS1_14partition_implILS5_8ELb0ES3_jPlPS6_PKS6_NS0_5tupleIJS9_S6_EEENSD_IJSA_SA_EEENS0_18inequality_wrapperIZN2at6native12_GLOBAL__N_124unique_dim_cuda_templateIbEESt5tupleIJNSH_6TensorESM_SM_EERKSM_lbbbEUlllE0_EEPmJS6_EEE10hipError_tPvRmT3_T4_T5_T6_T7_T9_mT8_P12ihipStream_tbDpT10_ENKUlT_T0_E_clISt17integral_constantIbLb0EES1B_IbLb1EEEEDaS17_S18_EUlS17_E_NS1_11comp_targetILNS1_3genE3ELNS1_11target_archE908ELNS1_3gpuE7ELNS1_3repE0EEENS1_30default_config_static_selectorELNS0_4arch9wavefront6targetE0EEEvT1_,@function
_ZN7rocprim17ROCPRIM_400000_NS6detail17trampoline_kernelINS0_14default_configENS1_25partition_config_selectorILNS1_17partition_subalgoE8ElNS0_10empty_typeEbEEZZNS1_14partition_implILS5_8ELb0ES3_jPlPS6_PKS6_NS0_5tupleIJS9_S6_EEENSD_IJSA_SA_EEENS0_18inequality_wrapperIZN2at6native12_GLOBAL__N_124unique_dim_cuda_templateIbEESt5tupleIJNSH_6TensorESM_SM_EERKSM_lbbbEUlllE0_EEPmJS6_EEE10hipError_tPvRmT3_T4_T5_T6_T7_T9_mT8_P12ihipStream_tbDpT10_ENKUlT_T0_E_clISt17integral_constantIbLb0EES1B_IbLb1EEEEDaS17_S18_EUlS17_E_NS1_11comp_targetILNS1_3genE3ELNS1_11target_archE908ELNS1_3gpuE7ELNS1_3repE0EEENS1_30default_config_static_selectorELNS0_4arch9wavefront6targetE0EEEvT1_: ; @_ZN7rocprim17ROCPRIM_400000_NS6detail17trampoline_kernelINS0_14default_configENS1_25partition_config_selectorILNS1_17partition_subalgoE8ElNS0_10empty_typeEbEEZZNS1_14partition_implILS5_8ELb0ES3_jPlPS6_PKS6_NS0_5tupleIJS9_S6_EEENSD_IJSA_SA_EEENS0_18inequality_wrapperIZN2at6native12_GLOBAL__N_124unique_dim_cuda_templateIbEESt5tupleIJNSH_6TensorESM_SM_EERKSM_lbbbEUlllE0_EEPmJS6_EEE10hipError_tPvRmT3_T4_T5_T6_T7_T9_mT8_P12ihipStream_tbDpT10_ENKUlT_T0_E_clISt17integral_constantIbLb0EES1B_IbLb1EEEEDaS17_S18_EUlS17_E_NS1_11comp_targetILNS1_3genE3ELNS1_11target_archE908ELNS1_3gpuE7ELNS1_3repE0EEENS1_30default_config_static_selectorELNS0_4arch9wavefront6targetE0EEEvT1_
; %bb.0:
	.section	.rodata,"a",@progbits
	.p2align	6, 0x0
	.amdhsa_kernel _ZN7rocprim17ROCPRIM_400000_NS6detail17trampoline_kernelINS0_14default_configENS1_25partition_config_selectorILNS1_17partition_subalgoE8ElNS0_10empty_typeEbEEZZNS1_14partition_implILS5_8ELb0ES3_jPlPS6_PKS6_NS0_5tupleIJS9_S6_EEENSD_IJSA_SA_EEENS0_18inequality_wrapperIZN2at6native12_GLOBAL__N_124unique_dim_cuda_templateIbEESt5tupleIJNSH_6TensorESM_SM_EERKSM_lbbbEUlllE0_EEPmJS6_EEE10hipError_tPvRmT3_T4_T5_T6_T7_T9_mT8_P12ihipStream_tbDpT10_ENKUlT_T0_E_clISt17integral_constantIbLb0EES1B_IbLb1EEEEDaS17_S18_EUlS17_E_NS1_11comp_targetILNS1_3genE3ELNS1_11target_archE908ELNS1_3gpuE7ELNS1_3repE0EEENS1_30default_config_static_selectorELNS0_4arch9wavefront6targetE0EEEvT1_
		.amdhsa_group_segment_fixed_size 0
		.amdhsa_private_segment_fixed_size 0
		.amdhsa_kernarg_size 136
		.amdhsa_user_sgpr_count 2
		.amdhsa_user_sgpr_dispatch_ptr 0
		.amdhsa_user_sgpr_queue_ptr 0
		.amdhsa_user_sgpr_kernarg_segment_ptr 1
		.amdhsa_user_sgpr_dispatch_id 0
		.amdhsa_user_sgpr_kernarg_preload_length 0
		.amdhsa_user_sgpr_kernarg_preload_offset 0
		.amdhsa_user_sgpr_private_segment_size 0
		.amdhsa_wavefront_size32 1
		.amdhsa_uses_dynamic_stack 0
		.amdhsa_enable_private_segment 0
		.amdhsa_system_sgpr_workgroup_id_x 1
		.amdhsa_system_sgpr_workgroup_id_y 0
		.amdhsa_system_sgpr_workgroup_id_z 0
		.amdhsa_system_sgpr_workgroup_info 0
		.amdhsa_system_vgpr_workitem_id 0
		.amdhsa_next_free_vgpr 1
		.amdhsa_next_free_sgpr 1
		.amdhsa_named_barrier_count 0
		.amdhsa_reserve_vcc 0
		.amdhsa_float_round_mode_32 0
		.amdhsa_float_round_mode_16_64 0
		.amdhsa_float_denorm_mode_32 3
		.amdhsa_float_denorm_mode_16_64 3
		.amdhsa_fp16_overflow 0
		.amdhsa_memory_ordered 1
		.amdhsa_forward_progress 1
		.amdhsa_inst_pref_size 0
		.amdhsa_round_robin_scheduling 0
		.amdhsa_exception_fp_ieee_invalid_op 0
		.amdhsa_exception_fp_denorm_src 0
		.amdhsa_exception_fp_ieee_div_zero 0
		.amdhsa_exception_fp_ieee_overflow 0
		.amdhsa_exception_fp_ieee_underflow 0
		.amdhsa_exception_fp_ieee_inexact 0
		.amdhsa_exception_int_div_zero 0
	.end_amdhsa_kernel
	.section	.text._ZN7rocprim17ROCPRIM_400000_NS6detail17trampoline_kernelINS0_14default_configENS1_25partition_config_selectorILNS1_17partition_subalgoE8ElNS0_10empty_typeEbEEZZNS1_14partition_implILS5_8ELb0ES3_jPlPS6_PKS6_NS0_5tupleIJS9_S6_EEENSD_IJSA_SA_EEENS0_18inequality_wrapperIZN2at6native12_GLOBAL__N_124unique_dim_cuda_templateIbEESt5tupleIJNSH_6TensorESM_SM_EERKSM_lbbbEUlllE0_EEPmJS6_EEE10hipError_tPvRmT3_T4_T5_T6_T7_T9_mT8_P12ihipStream_tbDpT10_ENKUlT_T0_E_clISt17integral_constantIbLb0EES1B_IbLb1EEEEDaS17_S18_EUlS17_E_NS1_11comp_targetILNS1_3genE3ELNS1_11target_archE908ELNS1_3gpuE7ELNS1_3repE0EEENS1_30default_config_static_selectorELNS0_4arch9wavefront6targetE0EEEvT1_,"axG",@progbits,_ZN7rocprim17ROCPRIM_400000_NS6detail17trampoline_kernelINS0_14default_configENS1_25partition_config_selectorILNS1_17partition_subalgoE8ElNS0_10empty_typeEbEEZZNS1_14partition_implILS5_8ELb0ES3_jPlPS6_PKS6_NS0_5tupleIJS9_S6_EEENSD_IJSA_SA_EEENS0_18inequality_wrapperIZN2at6native12_GLOBAL__N_124unique_dim_cuda_templateIbEESt5tupleIJNSH_6TensorESM_SM_EERKSM_lbbbEUlllE0_EEPmJS6_EEE10hipError_tPvRmT3_T4_T5_T6_T7_T9_mT8_P12ihipStream_tbDpT10_ENKUlT_T0_E_clISt17integral_constantIbLb0EES1B_IbLb1EEEEDaS17_S18_EUlS17_E_NS1_11comp_targetILNS1_3genE3ELNS1_11target_archE908ELNS1_3gpuE7ELNS1_3repE0EEENS1_30default_config_static_selectorELNS0_4arch9wavefront6targetE0EEEvT1_,comdat
.Lfunc_end1078:
	.size	_ZN7rocprim17ROCPRIM_400000_NS6detail17trampoline_kernelINS0_14default_configENS1_25partition_config_selectorILNS1_17partition_subalgoE8ElNS0_10empty_typeEbEEZZNS1_14partition_implILS5_8ELb0ES3_jPlPS6_PKS6_NS0_5tupleIJS9_S6_EEENSD_IJSA_SA_EEENS0_18inequality_wrapperIZN2at6native12_GLOBAL__N_124unique_dim_cuda_templateIbEESt5tupleIJNSH_6TensorESM_SM_EERKSM_lbbbEUlllE0_EEPmJS6_EEE10hipError_tPvRmT3_T4_T5_T6_T7_T9_mT8_P12ihipStream_tbDpT10_ENKUlT_T0_E_clISt17integral_constantIbLb0EES1B_IbLb1EEEEDaS17_S18_EUlS17_E_NS1_11comp_targetILNS1_3genE3ELNS1_11target_archE908ELNS1_3gpuE7ELNS1_3repE0EEENS1_30default_config_static_selectorELNS0_4arch9wavefront6targetE0EEEvT1_, .Lfunc_end1078-_ZN7rocprim17ROCPRIM_400000_NS6detail17trampoline_kernelINS0_14default_configENS1_25partition_config_selectorILNS1_17partition_subalgoE8ElNS0_10empty_typeEbEEZZNS1_14partition_implILS5_8ELb0ES3_jPlPS6_PKS6_NS0_5tupleIJS9_S6_EEENSD_IJSA_SA_EEENS0_18inequality_wrapperIZN2at6native12_GLOBAL__N_124unique_dim_cuda_templateIbEESt5tupleIJNSH_6TensorESM_SM_EERKSM_lbbbEUlllE0_EEPmJS6_EEE10hipError_tPvRmT3_T4_T5_T6_T7_T9_mT8_P12ihipStream_tbDpT10_ENKUlT_T0_E_clISt17integral_constantIbLb0EES1B_IbLb1EEEEDaS17_S18_EUlS17_E_NS1_11comp_targetILNS1_3genE3ELNS1_11target_archE908ELNS1_3gpuE7ELNS1_3repE0EEENS1_30default_config_static_selectorELNS0_4arch9wavefront6targetE0EEEvT1_
                                        ; -- End function
	.set _ZN7rocprim17ROCPRIM_400000_NS6detail17trampoline_kernelINS0_14default_configENS1_25partition_config_selectorILNS1_17partition_subalgoE8ElNS0_10empty_typeEbEEZZNS1_14partition_implILS5_8ELb0ES3_jPlPS6_PKS6_NS0_5tupleIJS9_S6_EEENSD_IJSA_SA_EEENS0_18inequality_wrapperIZN2at6native12_GLOBAL__N_124unique_dim_cuda_templateIbEESt5tupleIJNSH_6TensorESM_SM_EERKSM_lbbbEUlllE0_EEPmJS6_EEE10hipError_tPvRmT3_T4_T5_T6_T7_T9_mT8_P12ihipStream_tbDpT10_ENKUlT_T0_E_clISt17integral_constantIbLb0EES1B_IbLb1EEEEDaS17_S18_EUlS17_E_NS1_11comp_targetILNS1_3genE3ELNS1_11target_archE908ELNS1_3gpuE7ELNS1_3repE0EEENS1_30default_config_static_selectorELNS0_4arch9wavefront6targetE0EEEvT1_.num_vgpr, 0
	.set _ZN7rocprim17ROCPRIM_400000_NS6detail17trampoline_kernelINS0_14default_configENS1_25partition_config_selectorILNS1_17partition_subalgoE8ElNS0_10empty_typeEbEEZZNS1_14partition_implILS5_8ELb0ES3_jPlPS6_PKS6_NS0_5tupleIJS9_S6_EEENSD_IJSA_SA_EEENS0_18inequality_wrapperIZN2at6native12_GLOBAL__N_124unique_dim_cuda_templateIbEESt5tupleIJNSH_6TensorESM_SM_EERKSM_lbbbEUlllE0_EEPmJS6_EEE10hipError_tPvRmT3_T4_T5_T6_T7_T9_mT8_P12ihipStream_tbDpT10_ENKUlT_T0_E_clISt17integral_constantIbLb0EES1B_IbLb1EEEEDaS17_S18_EUlS17_E_NS1_11comp_targetILNS1_3genE3ELNS1_11target_archE908ELNS1_3gpuE7ELNS1_3repE0EEENS1_30default_config_static_selectorELNS0_4arch9wavefront6targetE0EEEvT1_.num_agpr, 0
	.set _ZN7rocprim17ROCPRIM_400000_NS6detail17trampoline_kernelINS0_14default_configENS1_25partition_config_selectorILNS1_17partition_subalgoE8ElNS0_10empty_typeEbEEZZNS1_14partition_implILS5_8ELb0ES3_jPlPS6_PKS6_NS0_5tupleIJS9_S6_EEENSD_IJSA_SA_EEENS0_18inequality_wrapperIZN2at6native12_GLOBAL__N_124unique_dim_cuda_templateIbEESt5tupleIJNSH_6TensorESM_SM_EERKSM_lbbbEUlllE0_EEPmJS6_EEE10hipError_tPvRmT3_T4_T5_T6_T7_T9_mT8_P12ihipStream_tbDpT10_ENKUlT_T0_E_clISt17integral_constantIbLb0EES1B_IbLb1EEEEDaS17_S18_EUlS17_E_NS1_11comp_targetILNS1_3genE3ELNS1_11target_archE908ELNS1_3gpuE7ELNS1_3repE0EEENS1_30default_config_static_selectorELNS0_4arch9wavefront6targetE0EEEvT1_.numbered_sgpr, 0
	.set _ZN7rocprim17ROCPRIM_400000_NS6detail17trampoline_kernelINS0_14default_configENS1_25partition_config_selectorILNS1_17partition_subalgoE8ElNS0_10empty_typeEbEEZZNS1_14partition_implILS5_8ELb0ES3_jPlPS6_PKS6_NS0_5tupleIJS9_S6_EEENSD_IJSA_SA_EEENS0_18inequality_wrapperIZN2at6native12_GLOBAL__N_124unique_dim_cuda_templateIbEESt5tupleIJNSH_6TensorESM_SM_EERKSM_lbbbEUlllE0_EEPmJS6_EEE10hipError_tPvRmT3_T4_T5_T6_T7_T9_mT8_P12ihipStream_tbDpT10_ENKUlT_T0_E_clISt17integral_constantIbLb0EES1B_IbLb1EEEEDaS17_S18_EUlS17_E_NS1_11comp_targetILNS1_3genE3ELNS1_11target_archE908ELNS1_3gpuE7ELNS1_3repE0EEENS1_30default_config_static_selectorELNS0_4arch9wavefront6targetE0EEEvT1_.num_named_barrier, 0
	.set _ZN7rocprim17ROCPRIM_400000_NS6detail17trampoline_kernelINS0_14default_configENS1_25partition_config_selectorILNS1_17partition_subalgoE8ElNS0_10empty_typeEbEEZZNS1_14partition_implILS5_8ELb0ES3_jPlPS6_PKS6_NS0_5tupleIJS9_S6_EEENSD_IJSA_SA_EEENS0_18inequality_wrapperIZN2at6native12_GLOBAL__N_124unique_dim_cuda_templateIbEESt5tupleIJNSH_6TensorESM_SM_EERKSM_lbbbEUlllE0_EEPmJS6_EEE10hipError_tPvRmT3_T4_T5_T6_T7_T9_mT8_P12ihipStream_tbDpT10_ENKUlT_T0_E_clISt17integral_constantIbLb0EES1B_IbLb1EEEEDaS17_S18_EUlS17_E_NS1_11comp_targetILNS1_3genE3ELNS1_11target_archE908ELNS1_3gpuE7ELNS1_3repE0EEENS1_30default_config_static_selectorELNS0_4arch9wavefront6targetE0EEEvT1_.private_seg_size, 0
	.set _ZN7rocprim17ROCPRIM_400000_NS6detail17trampoline_kernelINS0_14default_configENS1_25partition_config_selectorILNS1_17partition_subalgoE8ElNS0_10empty_typeEbEEZZNS1_14partition_implILS5_8ELb0ES3_jPlPS6_PKS6_NS0_5tupleIJS9_S6_EEENSD_IJSA_SA_EEENS0_18inequality_wrapperIZN2at6native12_GLOBAL__N_124unique_dim_cuda_templateIbEESt5tupleIJNSH_6TensorESM_SM_EERKSM_lbbbEUlllE0_EEPmJS6_EEE10hipError_tPvRmT3_T4_T5_T6_T7_T9_mT8_P12ihipStream_tbDpT10_ENKUlT_T0_E_clISt17integral_constantIbLb0EES1B_IbLb1EEEEDaS17_S18_EUlS17_E_NS1_11comp_targetILNS1_3genE3ELNS1_11target_archE908ELNS1_3gpuE7ELNS1_3repE0EEENS1_30default_config_static_selectorELNS0_4arch9wavefront6targetE0EEEvT1_.uses_vcc, 0
	.set _ZN7rocprim17ROCPRIM_400000_NS6detail17trampoline_kernelINS0_14default_configENS1_25partition_config_selectorILNS1_17partition_subalgoE8ElNS0_10empty_typeEbEEZZNS1_14partition_implILS5_8ELb0ES3_jPlPS6_PKS6_NS0_5tupleIJS9_S6_EEENSD_IJSA_SA_EEENS0_18inequality_wrapperIZN2at6native12_GLOBAL__N_124unique_dim_cuda_templateIbEESt5tupleIJNSH_6TensorESM_SM_EERKSM_lbbbEUlllE0_EEPmJS6_EEE10hipError_tPvRmT3_T4_T5_T6_T7_T9_mT8_P12ihipStream_tbDpT10_ENKUlT_T0_E_clISt17integral_constantIbLb0EES1B_IbLb1EEEEDaS17_S18_EUlS17_E_NS1_11comp_targetILNS1_3genE3ELNS1_11target_archE908ELNS1_3gpuE7ELNS1_3repE0EEENS1_30default_config_static_selectorELNS0_4arch9wavefront6targetE0EEEvT1_.uses_flat_scratch, 0
	.set _ZN7rocprim17ROCPRIM_400000_NS6detail17trampoline_kernelINS0_14default_configENS1_25partition_config_selectorILNS1_17partition_subalgoE8ElNS0_10empty_typeEbEEZZNS1_14partition_implILS5_8ELb0ES3_jPlPS6_PKS6_NS0_5tupleIJS9_S6_EEENSD_IJSA_SA_EEENS0_18inequality_wrapperIZN2at6native12_GLOBAL__N_124unique_dim_cuda_templateIbEESt5tupleIJNSH_6TensorESM_SM_EERKSM_lbbbEUlllE0_EEPmJS6_EEE10hipError_tPvRmT3_T4_T5_T6_T7_T9_mT8_P12ihipStream_tbDpT10_ENKUlT_T0_E_clISt17integral_constantIbLb0EES1B_IbLb1EEEEDaS17_S18_EUlS17_E_NS1_11comp_targetILNS1_3genE3ELNS1_11target_archE908ELNS1_3gpuE7ELNS1_3repE0EEENS1_30default_config_static_selectorELNS0_4arch9wavefront6targetE0EEEvT1_.has_dyn_sized_stack, 0
	.set _ZN7rocprim17ROCPRIM_400000_NS6detail17trampoline_kernelINS0_14default_configENS1_25partition_config_selectorILNS1_17partition_subalgoE8ElNS0_10empty_typeEbEEZZNS1_14partition_implILS5_8ELb0ES3_jPlPS6_PKS6_NS0_5tupleIJS9_S6_EEENSD_IJSA_SA_EEENS0_18inequality_wrapperIZN2at6native12_GLOBAL__N_124unique_dim_cuda_templateIbEESt5tupleIJNSH_6TensorESM_SM_EERKSM_lbbbEUlllE0_EEPmJS6_EEE10hipError_tPvRmT3_T4_T5_T6_T7_T9_mT8_P12ihipStream_tbDpT10_ENKUlT_T0_E_clISt17integral_constantIbLb0EES1B_IbLb1EEEEDaS17_S18_EUlS17_E_NS1_11comp_targetILNS1_3genE3ELNS1_11target_archE908ELNS1_3gpuE7ELNS1_3repE0EEENS1_30default_config_static_selectorELNS0_4arch9wavefront6targetE0EEEvT1_.has_recursion, 0
	.set _ZN7rocprim17ROCPRIM_400000_NS6detail17trampoline_kernelINS0_14default_configENS1_25partition_config_selectorILNS1_17partition_subalgoE8ElNS0_10empty_typeEbEEZZNS1_14partition_implILS5_8ELb0ES3_jPlPS6_PKS6_NS0_5tupleIJS9_S6_EEENSD_IJSA_SA_EEENS0_18inequality_wrapperIZN2at6native12_GLOBAL__N_124unique_dim_cuda_templateIbEESt5tupleIJNSH_6TensorESM_SM_EERKSM_lbbbEUlllE0_EEPmJS6_EEE10hipError_tPvRmT3_T4_T5_T6_T7_T9_mT8_P12ihipStream_tbDpT10_ENKUlT_T0_E_clISt17integral_constantIbLb0EES1B_IbLb1EEEEDaS17_S18_EUlS17_E_NS1_11comp_targetILNS1_3genE3ELNS1_11target_archE908ELNS1_3gpuE7ELNS1_3repE0EEENS1_30default_config_static_selectorELNS0_4arch9wavefront6targetE0EEEvT1_.has_indirect_call, 0
	.section	.AMDGPU.csdata,"",@progbits
; Kernel info:
; codeLenInByte = 0
; TotalNumSgprs: 0
; NumVgprs: 0
; ScratchSize: 0
; MemoryBound: 0
; FloatMode: 240
; IeeeMode: 1
; LDSByteSize: 0 bytes/workgroup (compile time only)
; SGPRBlocks: 0
; VGPRBlocks: 0
; NumSGPRsForWavesPerEU: 1
; NumVGPRsForWavesPerEU: 1
; NamedBarCnt: 0
; Occupancy: 16
; WaveLimiterHint : 0
; COMPUTE_PGM_RSRC2:SCRATCH_EN: 0
; COMPUTE_PGM_RSRC2:USER_SGPR: 2
; COMPUTE_PGM_RSRC2:TRAP_HANDLER: 0
; COMPUTE_PGM_RSRC2:TGID_X_EN: 1
; COMPUTE_PGM_RSRC2:TGID_Y_EN: 0
; COMPUTE_PGM_RSRC2:TGID_Z_EN: 0
; COMPUTE_PGM_RSRC2:TIDIG_COMP_CNT: 0
	.section	.text._ZN7rocprim17ROCPRIM_400000_NS6detail17trampoline_kernelINS0_14default_configENS1_25partition_config_selectorILNS1_17partition_subalgoE8ElNS0_10empty_typeEbEEZZNS1_14partition_implILS5_8ELb0ES3_jPlPS6_PKS6_NS0_5tupleIJS9_S6_EEENSD_IJSA_SA_EEENS0_18inequality_wrapperIZN2at6native12_GLOBAL__N_124unique_dim_cuda_templateIbEESt5tupleIJNSH_6TensorESM_SM_EERKSM_lbbbEUlllE0_EEPmJS6_EEE10hipError_tPvRmT3_T4_T5_T6_T7_T9_mT8_P12ihipStream_tbDpT10_ENKUlT_T0_E_clISt17integral_constantIbLb0EES1B_IbLb1EEEEDaS17_S18_EUlS17_E_NS1_11comp_targetILNS1_3genE2ELNS1_11target_archE906ELNS1_3gpuE6ELNS1_3repE0EEENS1_30default_config_static_selectorELNS0_4arch9wavefront6targetE0EEEvT1_,"axG",@progbits,_ZN7rocprim17ROCPRIM_400000_NS6detail17trampoline_kernelINS0_14default_configENS1_25partition_config_selectorILNS1_17partition_subalgoE8ElNS0_10empty_typeEbEEZZNS1_14partition_implILS5_8ELb0ES3_jPlPS6_PKS6_NS0_5tupleIJS9_S6_EEENSD_IJSA_SA_EEENS0_18inequality_wrapperIZN2at6native12_GLOBAL__N_124unique_dim_cuda_templateIbEESt5tupleIJNSH_6TensorESM_SM_EERKSM_lbbbEUlllE0_EEPmJS6_EEE10hipError_tPvRmT3_T4_T5_T6_T7_T9_mT8_P12ihipStream_tbDpT10_ENKUlT_T0_E_clISt17integral_constantIbLb0EES1B_IbLb1EEEEDaS17_S18_EUlS17_E_NS1_11comp_targetILNS1_3genE2ELNS1_11target_archE906ELNS1_3gpuE6ELNS1_3repE0EEENS1_30default_config_static_selectorELNS0_4arch9wavefront6targetE0EEEvT1_,comdat
	.globl	_ZN7rocprim17ROCPRIM_400000_NS6detail17trampoline_kernelINS0_14default_configENS1_25partition_config_selectorILNS1_17partition_subalgoE8ElNS0_10empty_typeEbEEZZNS1_14partition_implILS5_8ELb0ES3_jPlPS6_PKS6_NS0_5tupleIJS9_S6_EEENSD_IJSA_SA_EEENS0_18inequality_wrapperIZN2at6native12_GLOBAL__N_124unique_dim_cuda_templateIbEESt5tupleIJNSH_6TensorESM_SM_EERKSM_lbbbEUlllE0_EEPmJS6_EEE10hipError_tPvRmT3_T4_T5_T6_T7_T9_mT8_P12ihipStream_tbDpT10_ENKUlT_T0_E_clISt17integral_constantIbLb0EES1B_IbLb1EEEEDaS17_S18_EUlS17_E_NS1_11comp_targetILNS1_3genE2ELNS1_11target_archE906ELNS1_3gpuE6ELNS1_3repE0EEENS1_30default_config_static_selectorELNS0_4arch9wavefront6targetE0EEEvT1_ ; -- Begin function _ZN7rocprim17ROCPRIM_400000_NS6detail17trampoline_kernelINS0_14default_configENS1_25partition_config_selectorILNS1_17partition_subalgoE8ElNS0_10empty_typeEbEEZZNS1_14partition_implILS5_8ELb0ES3_jPlPS6_PKS6_NS0_5tupleIJS9_S6_EEENSD_IJSA_SA_EEENS0_18inequality_wrapperIZN2at6native12_GLOBAL__N_124unique_dim_cuda_templateIbEESt5tupleIJNSH_6TensorESM_SM_EERKSM_lbbbEUlllE0_EEPmJS6_EEE10hipError_tPvRmT3_T4_T5_T6_T7_T9_mT8_P12ihipStream_tbDpT10_ENKUlT_T0_E_clISt17integral_constantIbLb0EES1B_IbLb1EEEEDaS17_S18_EUlS17_E_NS1_11comp_targetILNS1_3genE2ELNS1_11target_archE906ELNS1_3gpuE6ELNS1_3repE0EEENS1_30default_config_static_selectorELNS0_4arch9wavefront6targetE0EEEvT1_
	.p2align	8
	.type	_ZN7rocprim17ROCPRIM_400000_NS6detail17trampoline_kernelINS0_14default_configENS1_25partition_config_selectorILNS1_17partition_subalgoE8ElNS0_10empty_typeEbEEZZNS1_14partition_implILS5_8ELb0ES3_jPlPS6_PKS6_NS0_5tupleIJS9_S6_EEENSD_IJSA_SA_EEENS0_18inequality_wrapperIZN2at6native12_GLOBAL__N_124unique_dim_cuda_templateIbEESt5tupleIJNSH_6TensorESM_SM_EERKSM_lbbbEUlllE0_EEPmJS6_EEE10hipError_tPvRmT3_T4_T5_T6_T7_T9_mT8_P12ihipStream_tbDpT10_ENKUlT_T0_E_clISt17integral_constantIbLb0EES1B_IbLb1EEEEDaS17_S18_EUlS17_E_NS1_11comp_targetILNS1_3genE2ELNS1_11target_archE906ELNS1_3gpuE6ELNS1_3repE0EEENS1_30default_config_static_selectorELNS0_4arch9wavefront6targetE0EEEvT1_,@function
_ZN7rocprim17ROCPRIM_400000_NS6detail17trampoline_kernelINS0_14default_configENS1_25partition_config_selectorILNS1_17partition_subalgoE8ElNS0_10empty_typeEbEEZZNS1_14partition_implILS5_8ELb0ES3_jPlPS6_PKS6_NS0_5tupleIJS9_S6_EEENSD_IJSA_SA_EEENS0_18inequality_wrapperIZN2at6native12_GLOBAL__N_124unique_dim_cuda_templateIbEESt5tupleIJNSH_6TensorESM_SM_EERKSM_lbbbEUlllE0_EEPmJS6_EEE10hipError_tPvRmT3_T4_T5_T6_T7_T9_mT8_P12ihipStream_tbDpT10_ENKUlT_T0_E_clISt17integral_constantIbLb0EES1B_IbLb1EEEEDaS17_S18_EUlS17_E_NS1_11comp_targetILNS1_3genE2ELNS1_11target_archE906ELNS1_3gpuE6ELNS1_3repE0EEENS1_30default_config_static_selectorELNS0_4arch9wavefront6targetE0EEEvT1_: ; @_ZN7rocprim17ROCPRIM_400000_NS6detail17trampoline_kernelINS0_14default_configENS1_25partition_config_selectorILNS1_17partition_subalgoE8ElNS0_10empty_typeEbEEZZNS1_14partition_implILS5_8ELb0ES3_jPlPS6_PKS6_NS0_5tupleIJS9_S6_EEENSD_IJSA_SA_EEENS0_18inequality_wrapperIZN2at6native12_GLOBAL__N_124unique_dim_cuda_templateIbEESt5tupleIJNSH_6TensorESM_SM_EERKSM_lbbbEUlllE0_EEPmJS6_EEE10hipError_tPvRmT3_T4_T5_T6_T7_T9_mT8_P12ihipStream_tbDpT10_ENKUlT_T0_E_clISt17integral_constantIbLb0EES1B_IbLb1EEEEDaS17_S18_EUlS17_E_NS1_11comp_targetILNS1_3genE2ELNS1_11target_archE906ELNS1_3gpuE6ELNS1_3repE0EEENS1_30default_config_static_selectorELNS0_4arch9wavefront6targetE0EEEvT1_
; %bb.0:
	.section	.rodata,"a",@progbits
	.p2align	6, 0x0
	.amdhsa_kernel _ZN7rocprim17ROCPRIM_400000_NS6detail17trampoline_kernelINS0_14default_configENS1_25partition_config_selectorILNS1_17partition_subalgoE8ElNS0_10empty_typeEbEEZZNS1_14partition_implILS5_8ELb0ES3_jPlPS6_PKS6_NS0_5tupleIJS9_S6_EEENSD_IJSA_SA_EEENS0_18inequality_wrapperIZN2at6native12_GLOBAL__N_124unique_dim_cuda_templateIbEESt5tupleIJNSH_6TensorESM_SM_EERKSM_lbbbEUlllE0_EEPmJS6_EEE10hipError_tPvRmT3_T4_T5_T6_T7_T9_mT8_P12ihipStream_tbDpT10_ENKUlT_T0_E_clISt17integral_constantIbLb0EES1B_IbLb1EEEEDaS17_S18_EUlS17_E_NS1_11comp_targetILNS1_3genE2ELNS1_11target_archE906ELNS1_3gpuE6ELNS1_3repE0EEENS1_30default_config_static_selectorELNS0_4arch9wavefront6targetE0EEEvT1_
		.amdhsa_group_segment_fixed_size 0
		.amdhsa_private_segment_fixed_size 0
		.amdhsa_kernarg_size 136
		.amdhsa_user_sgpr_count 2
		.amdhsa_user_sgpr_dispatch_ptr 0
		.amdhsa_user_sgpr_queue_ptr 0
		.amdhsa_user_sgpr_kernarg_segment_ptr 1
		.amdhsa_user_sgpr_dispatch_id 0
		.amdhsa_user_sgpr_kernarg_preload_length 0
		.amdhsa_user_sgpr_kernarg_preload_offset 0
		.amdhsa_user_sgpr_private_segment_size 0
		.amdhsa_wavefront_size32 1
		.amdhsa_uses_dynamic_stack 0
		.amdhsa_enable_private_segment 0
		.amdhsa_system_sgpr_workgroup_id_x 1
		.amdhsa_system_sgpr_workgroup_id_y 0
		.amdhsa_system_sgpr_workgroup_id_z 0
		.amdhsa_system_sgpr_workgroup_info 0
		.amdhsa_system_vgpr_workitem_id 0
		.amdhsa_next_free_vgpr 1
		.amdhsa_next_free_sgpr 1
		.amdhsa_named_barrier_count 0
		.amdhsa_reserve_vcc 0
		.amdhsa_float_round_mode_32 0
		.amdhsa_float_round_mode_16_64 0
		.amdhsa_float_denorm_mode_32 3
		.amdhsa_float_denorm_mode_16_64 3
		.amdhsa_fp16_overflow 0
		.amdhsa_memory_ordered 1
		.amdhsa_forward_progress 1
		.amdhsa_inst_pref_size 0
		.amdhsa_round_robin_scheduling 0
		.amdhsa_exception_fp_ieee_invalid_op 0
		.amdhsa_exception_fp_denorm_src 0
		.amdhsa_exception_fp_ieee_div_zero 0
		.amdhsa_exception_fp_ieee_overflow 0
		.amdhsa_exception_fp_ieee_underflow 0
		.amdhsa_exception_fp_ieee_inexact 0
		.amdhsa_exception_int_div_zero 0
	.end_amdhsa_kernel
	.section	.text._ZN7rocprim17ROCPRIM_400000_NS6detail17trampoline_kernelINS0_14default_configENS1_25partition_config_selectorILNS1_17partition_subalgoE8ElNS0_10empty_typeEbEEZZNS1_14partition_implILS5_8ELb0ES3_jPlPS6_PKS6_NS0_5tupleIJS9_S6_EEENSD_IJSA_SA_EEENS0_18inequality_wrapperIZN2at6native12_GLOBAL__N_124unique_dim_cuda_templateIbEESt5tupleIJNSH_6TensorESM_SM_EERKSM_lbbbEUlllE0_EEPmJS6_EEE10hipError_tPvRmT3_T4_T5_T6_T7_T9_mT8_P12ihipStream_tbDpT10_ENKUlT_T0_E_clISt17integral_constantIbLb0EES1B_IbLb1EEEEDaS17_S18_EUlS17_E_NS1_11comp_targetILNS1_3genE2ELNS1_11target_archE906ELNS1_3gpuE6ELNS1_3repE0EEENS1_30default_config_static_selectorELNS0_4arch9wavefront6targetE0EEEvT1_,"axG",@progbits,_ZN7rocprim17ROCPRIM_400000_NS6detail17trampoline_kernelINS0_14default_configENS1_25partition_config_selectorILNS1_17partition_subalgoE8ElNS0_10empty_typeEbEEZZNS1_14partition_implILS5_8ELb0ES3_jPlPS6_PKS6_NS0_5tupleIJS9_S6_EEENSD_IJSA_SA_EEENS0_18inequality_wrapperIZN2at6native12_GLOBAL__N_124unique_dim_cuda_templateIbEESt5tupleIJNSH_6TensorESM_SM_EERKSM_lbbbEUlllE0_EEPmJS6_EEE10hipError_tPvRmT3_T4_T5_T6_T7_T9_mT8_P12ihipStream_tbDpT10_ENKUlT_T0_E_clISt17integral_constantIbLb0EES1B_IbLb1EEEEDaS17_S18_EUlS17_E_NS1_11comp_targetILNS1_3genE2ELNS1_11target_archE906ELNS1_3gpuE6ELNS1_3repE0EEENS1_30default_config_static_selectorELNS0_4arch9wavefront6targetE0EEEvT1_,comdat
.Lfunc_end1079:
	.size	_ZN7rocprim17ROCPRIM_400000_NS6detail17trampoline_kernelINS0_14default_configENS1_25partition_config_selectorILNS1_17partition_subalgoE8ElNS0_10empty_typeEbEEZZNS1_14partition_implILS5_8ELb0ES3_jPlPS6_PKS6_NS0_5tupleIJS9_S6_EEENSD_IJSA_SA_EEENS0_18inequality_wrapperIZN2at6native12_GLOBAL__N_124unique_dim_cuda_templateIbEESt5tupleIJNSH_6TensorESM_SM_EERKSM_lbbbEUlllE0_EEPmJS6_EEE10hipError_tPvRmT3_T4_T5_T6_T7_T9_mT8_P12ihipStream_tbDpT10_ENKUlT_T0_E_clISt17integral_constantIbLb0EES1B_IbLb1EEEEDaS17_S18_EUlS17_E_NS1_11comp_targetILNS1_3genE2ELNS1_11target_archE906ELNS1_3gpuE6ELNS1_3repE0EEENS1_30default_config_static_selectorELNS0_4arch9wavefront6targetE0EEEvT1_, .Lfunc_end1079-_ZN7rocprim17ROCPRIM_400000_NS6detail17trampoline_kernelINS0_14default_configENS1_25partition_config_selectorILNS1_17partition_subalgoE8ElNS0_10empty_typeEbEEZZNS1_14partition_implILS5_8ELb0ES3_jPlPS6_PKS6_NS0_5tupleIJS9_S6_EEENSD_IJSA_SA_EEENS0_18inequality_wrapperIZN2at6native12_GLOBAL__N_124unique_dim_cuda_templateIbEESt5tupleIJNSH_6TensorESM_SM_EERKSM_lbbbEUlllE0_EEPmJS6_EEE10hipError_tPvRmT3_T4_T5_T6_T7_T9_mT8_P12ihipStream_tbDpT10_ENKUlT_T0_E_clISt17integral_constantIbLb0EES1B_IbLb1EEEEDaS17_S18_EUlS17_E_NS1_11comp_targetILNS1_3genE2ELNS1_11target_archE906ELNS1_3gpuE6ELNS1_3repE0EEENS1_30default_config_static_selectorELNS0_4arch9wavefront6targetE0EEEvT1_
                                        ; -- End function
	.set _ZN7rocprim17ROCPRIM_400000_NS6detail17trampoline_kernelINS0_14default_configENS1_25partition_config_selectorILNS1_17partition_subalgoE8ElNS0_10empty_typeEbEEZZNS1_14partition_implILS5_8ELb0ES3_jPlPS6_PKS6_NS0_5tupleIJS9_S6_EEENSD_IJSA_SA_EEENS0_18inequality_wrapperIZN2at6native12_GLOBAL__N_124unique_dim_cuda_templateIbEESt5tupleIJNSH_6TensorESM_SM_EERKSM_lbbbEUlllE0_EEPmJS6_EEE10hipError_tPvRmT3_T4_T5_T6_T7_T9_mT8_P12ihipStream_tbDpT10_ENKUlT_T0_E_clISt17integral_constantIbLb0EES1B_IbLb1EEEEDaS17_S18_EUlS17_E_NS1_11comp_targetILNS1_3genE2ELNS1_11target_archE906ELNS1_3gpuE6ELNS1_3repE0EEENS1_30default_config_static_selectorELNS0_4arch9wavefront6targetE0EEEvT1_.num_vgpr, 0
	.set _ZN7rocprim17ROCPRIM_400000_NS6detail17trampoline_kernelINS0_14default_configENS1_25partition_config_selectorILNS1_17partition_subalgoE8ElNS0_10empty_typeEbEEZZNS1_14partition_implILS5_8ELb0ES3_jPlPS6_PKS6_NS0_5tupleIJS9_S6_EEENSD_IJSA_SA_EEENS0_18inequality_wrapperIZN2at6native12_GLOBAL__N_124unique_dim_cuda_templateIbEESt5tupleIJNSH_6TensorESM_SM_EERKSM_lbbbEUlllE0_EEPmJS6_EEE10hipError_tPvRmT3_T4_T5_T6_T7_T9_mT8_P12ihipStream_tbDpT10_ENKUlT_T0_E_clISt17integral_constantIbLb0EES1B_IbLb1EEEEDaS17_S18_EUlS17_E_NS1_11comp_targetILNS1_3genE2ELNS1_11target_archE906ELNS1_3gpuE6ELNS1_3repE0EEENS1_30default_config_static_selectorELNS0_4arch9wavefront6targetE0EEEvT1_.num_agpr, 0
	.set _ZN7rocprim17ROCPRIM_400000_NS6detail17trampoline_kernelINS0_14default_configENS1_25partition_config_selectorILNS1_17partition_subalgoE8ElNS0_10empty_typeEbEEZZNS1_14partition_implILS5_8ELb0ES3_jPlPS6_PKS6_NS0_5tupleIJS9_S6_EEENSD_IJSA_SA_EEENS0_18inequality_wrapperIZN2at6native12_GLOBAL__N_124unique_dim_cuda_templateIbEESt5tupleIJNSH_6TensorESM_SM_EERKSM_lbbbEUlllE0_EEPmJS6_EEE10hipError_tPvRmT3_T4_T5_T6_T7_T9_mT8_P12ihipStream_tbDpT10_ENKUlT_T0_E_clISt17integral_constantIbLb0EES1B_IbLb1EEEEDaS17_S18_EUlS17_E_NS1_11comp_targetILNS1_3genE2ELNS1_11target_archE906ELNS1_3gpuE6ELNS1_3repE0EEENS1_30default_config_static_selectorELNS0_4arch9wavefront6targetE0EEEvT1_.numbered_sgpr, 0
	.set _ZN7rocprim17ROCPRIM_400000_NS6detail17trampoline_kernelINS0_14default_configENS1_25partition_config_selectorILNS1_17partition_subalgoE8ElNS0_10empty_typeEbEEZZNS1_14partition_implILS5_8ELb0ES3_jPlPS6_PKS6_NS0_5tupleIJS9_S6_EEENSD_IJSA_SA_EEENS0_18inequality_wrapperIZN2at6native12_GLOBAL__N_124unique_dim_cuda_templateIbEESt5tupleIJNSH_6TensorESM_SM_EERKSM_lbbbEUlllE0_EEPmJS6_EEE10hipError_tPvRmT3_T4_T5_T6_T7_T9_mT8_P12ihipStream_tbDpT10_ENKUlT_T0_E_clISt17integral_constantIbLb0EES1B_IbLb1EEEEDaS17_S18_EUlS17_E_NS1_11comp_targetILNS1_3genE2ELNS1_11target_archE906ELNS1_3gpuE6ELNS1_3repE0EEENS1_30default_config_static_selectorELNS0_4arch9wavefront6targetE0EEEvT1_.num_named_barrier, 0
	.set _ZN7rocprim17ROCPRIM_400000_NS6detail17trampoline_kernelINS0_14default_configENS1_25partition_config_selectorILNS1_17partition_subalgoE8ElNS0_10empty_typeEbEEZZNS1_14partition_implILS5_8ELb0ES3_jPlPS6_PKS6_NS0_5tupleIJS9_S6_EEENSD_IJSA_SA_EEENS0_18inequality_wrapperIZN2at6native12_GLOBAL__N_124unique_dim_cuda_templateIbEESt5tupleIJNSH_6TensorESM_SM_EERKSM_lbbbEUlllE0_EEPmJS6_EEE10hipError_tPvRmT3_T4_T5_T6_T7_T9_mT8_P12ihipStream_tbDpT10_ENKUlT_T0_E_clISt17integral_constantIbLb0EES1B_IbLb1EEEEDaS17_S18_EUlS17_E_NS1_11comp_targetILNS1_3genE2ELNS1_11target_archE906ELNS1_3gpuE6ELNS1_3repE0EEENS1_30default_config_static_selectorELNS0_4arch9wavefront6targetE0EEEvT1_.private_seg_size, 0
	.set _ZN7rocprim17ROCPRIM_400000_NS6detail17trampoline_kernelINS0_14default_configENS1_25partition_config_selectorILNS1_17partition_subalgoE8ElNS0_10empty_typeEbEEZZNS1_14partition_implILS5_8ELb0ES3_jPlPS6_PKS6_NS0_5tupleIJS9_S6_EEENSD_IJSA_SA_EEENS0_18inequality_wrapperIZN2at6native12_GLOBAL__N_124unique_dim_cuda_templateIbEESt5tupleIJNSH_6TensorESM_SM_EERKSM_lbbbEUlllE0_EEPmJS6_EEE10hipError_tPvRmT3_T4_T5_T6_T7_T9_mT8_P12ihipStream_tbDpT10_ENKUlT_T0_E_clISt17integral_constantIbLb0EES1B_IbLb1EEEEDaS17_S18_EUlS17_E_NS1_11comp_targetILNS1_3genE2ELNS1_11target_archE906ELNS1_3gpuE6ELNS1_3repE0EEENS1_30default_config_static_selectorELNS0_4arch9wavefront6targetE0EEEvT1_.uses_vcc, 0
	.set _ZN7rocprim17ROCPRIM_400000_NS6detail17trampoline_kernelINS0_14default_configENS1_25partition_config_selectorILNS1_17partition_subalgoE8ElNS0_10empty_typeEbEEZZNS1_14partition_implILS5_8ELb0ES3_jPlPS6_PKS6_NS0_5tupleIJS9_S6_EEENSD_IJSA_SA_EEENS0_18inequality_wrapperIZN2at6native12_GLOBAL__N_124unique_dim_cuda_templateIbEESt5tupleIJNSH_6TensorESM_SM_EERKSM_lbbbEUlllE0_EEPmJS6_EEE10hipError_tPvRmT3_T4_T5_T6_T7_T9_mT8_P12ihipStream_tbDpT10_ENKUlT_T0_E_clISt17integral_constantIbLb0EES1B_IbLb1EEEEDaS17_S18_EUlS17_E_NS1_11comp_targetILNS1_3genE2ELNS1_11target_archE906ELNS1_3gpuE6ELNS1_3repE0EEENS1_30default_config_static_selectorELNS0_4arch9wavefront6targetE0EEEvT1_.uses_flat_scratch, 0
	.set _ZN7rocprim17ROCPRIM_400000_NS6detail17trampoline_kernelINS0_14default_configENS1_25partition_config_selectorILNS1_17partition_subalgoE8ElNS0_10empty_typeEbEEZZNS1_14partition_implILS5_8ELb0ES3_jPlPS6_PKS6_NS0_5tupleIJS9_S6_EEENSD_IJSA_SA_EEENS0_18inequality_wrapperIZN2at6native12_GLOBAL__N_124unique_dim_cuda_templateIbEESt5tupleIJNSH_6TensorESM_SM_EERKSM_lbbbEUlllE0_EEPmJS6_EEE10hipError_tPvRmT3_T4_T5_T6_T7_T9_mT8_P12ihipStream_tbDpT10_ENKUlT_T0_E_clISt17integral_constantIbLb0EES1B_IbLb1EEEEDaS17_S18_EUlS17_E_NS1_11comp_targetILNS1_3genE2ELNS1_11target_archE906ELNS1_3gpuE6ELNS1_3repE0EEENS1_30default_config_static_selectorELNS0_4arch9wavefront6targetE0EEEvT1_.has_dyn_sized_stack, 0
	.set _ZN7rocprim17ROCPRIM_400000_NS6detail17trampoline_kernelINS0_14default_configENS1_25partition_config_selectorILNS1_17partition_subalgoE8ElNS0_10empty_typeEbEEZZNS1_14partition_implILS5_8ELb0ES3_jPlPS6_PKS6_NS0_5tupleIJS9_S6_EEENSD_IJSA_SA_EEENS0_18inequality_wrapperIZN2at6native12_GLOBAL__N_124unique_dim_cuda_templateIbEESt5tupleIJNSH_6TensorESM_SM_EERKSM_lbbbEUlllE0_EEPmJS6_EEE10hipError_tPvRmT3_T4_T5_T6_T7_T9_mT8_P12ihipStream_tbDpT10_ENKUlT_T0_E_clISt17integral_constantIbLb0EES1B_IbLb1EEEEDaS17_S18_EUlS17_E_NS1_11comp_targetILNS1_3genE2ELNS1_11target_archE906ELNS1_3gpuE6ELNS1_3repE0EEENS1_30default_config_static_selectorELNS0_4arch9wavefront6targetE0EEEvT1_.has_recursion, 0
	.set _ZN7rocprim17ROCPRIM_400000_NS6detail17trampoline_kernelINS0_14default_configENS1_25partition_config_selectorILNS1_17partition_subalgoE8ElNS0_10empty_typeEbEEZZNS1_14partition_implILS5_8ELb0ES3_jPlPS6_PKS6_NS0_5tupleIJS9_S6_EEENSD_IJSA_SA_EEENS0_18inequality_wrapperIZN2at6native12_GLOBAL__N_124unique_dim_cuda_templateIbEESt5tupleIJNSH_6TensorESM_SM_EERKSM_lbbbEUlllE0_EEPmJS6_EEE10hipError_tPvRmT3_T4_T5_T6_T7_T9_mT8_P12ihipStream_tbDpT10_ENKUlT_T0_E_clISt17integral_constantIbLb0EES1B_IbLb1EEEEDaS17_S18_EUlS17_E_NS1_11comp_targetILNS1_3genE2ELNS1_11target_archE906ELNS1_3gpuE6ELNS1_3repE0EEENS1_30default_config_static_selectorELNS0_4arch9wavefront6targetE0EEEvT1_.has_indirect_call, 0
	.section	.AMDGPU.csdata,"",@progbits
; Kernel info:
; codeLenInByte = 0
; TotalNumSgprs: 0
; NumVgprs: 0
; ScratchSize: 0
; MemoryBound: 0
; FloatMode: 240
; IeeeMode: 1
; LDSByteSize: 0 bytes/workgroup (compile time only)
; SGPRBlocks: 0
; VGPRBlocks: 0
; NumSGPRsForWavesPerEU: 1
; NumVGPRsForWavesPerEU: 1
; NamedBarCnt: 0
; Occupancy: 16
; WaveLimiterHint : 0
; COMPUTE_PGM_RSRC2:SCRATCH_EN: 0
; COMPUTE_PGM_RSRC2:USER_SGPR: 2
; COMPUTE_PGM_RSRC2:TRAP_HANDLER: 0
; COMPUTE_PGM_RSRC2:TGID_X_EN: 1
; COMPUTE_PGM_RSRC2:TGID_Y_EN: 0
; COMPUTE_PGM_RSRC2:TGID_Z_EN: 0
; COMPUTE_PGM_RSRC2:TIDIG_COMP_CNT: 0
	.section	.text._ZN7rocprim17ROCPRIM_400000_NS6detail17trampoline_kernelINS0_14default_configENS1_25partition_config_selectorILNS1_17partition_subalgoE8ElNS0_10empty_typeEbEEZZNS1_14partition_implILS5_8ELb0ES3_jPlPS6_PKS6_NS0_5tupleIJS9_S6_EEENSD_IJSA_SA_EEENS0_18inequality_wrapperIZN2at6native12_GLOBAL__N_124unique_dim_cuda_templateIbEESt5tupleIJNSH_6TensorESM_SM_EERKSM_lbbbEUlllE0_EEPmJS6_EEE10hipError_tPvRmT3_T4_T5_T6_T7_T9_mT8_P12ihipStream_tbDpT10_ENKUlT_T0_E_clISt17integral_constantIbLb0EES1B_IbLb1EEEEDaS17_S18_EUlS17_E_NS1_11comp_targetILNS1_3genE10ELNS1_11target_archE1200ELNS1_3gpuE4ELNS1_3repE0EEENS1_30default_config_static_selectorELNS0_4arch9wavefront6targetE0EEEvT1_,"axG",@progbits,_ZN7rocprim17ROCPRIM_400000_NS6detail17trampoline_kernelINS0_14default_configENS1_25partition_config_selectorILNS1_17partition_subalgoE8ElNS0_10empty_typeEbEEZZNS1_14partition_implILS5_8ELb0ES3_jPlPS6_PKS6_NS0_5tupleIJS9_S6_EEENSD_IJSA_SA_EEENS0_18inequality_wrapperIZN2at6native12_GLOBAL__N_124unique_dim_cuda_templateIbEESt5tupleIJNSH_6TensorESM_SM_EERKSM_lbbbEUlllE0_EEPmJS6_EEE10hipError_tPvRmT3_T4_T5_T6_T7_T9_mT8_P12ihipStream_tbDpT10_ENKUlT_T0_E_clISt17integral_constantIbLb0EES1B_IbLb1EEEEDaS17_S18_EUlS17_E_NS1_11comp_targetILNS1_3genE10ELNS1_11target_archE1200ELNS1_3gpuE4ELNS1_3repE0EEENS1_30default_config_static_selectorELNS0_4arch9wavefront6targetE0EEEvT1_,comdat
	.globl	_ZN7rocprim17ROCPRIM_400000_NS6detail17trampoline_kernelINS0_14default_configENS1_25partition_config_selectorILNS1_17partition_subalgoE8ElNS0_10empty_typeEbEEZZNS1_14partition_implILS5_8ELb0ES3_jPlPS6_PKS6_NS0_5tupleIJS9_S6_EEENSD_IJSA_SA_EEENS0_18inequality_wrapperIZN2at6native12_GLOBAL__N_124unique_dim_cuda_templateIbEESt5tupleIJNSH_6TensorESM_SM_EERKSM_lbbbEUlllE0_EEPmJS6_EEE10hipError_tPvRmT3_T4_T5_T6_T7_T9_mT8_P12ihipStream_tbDpT10_ENKUlT_T0_E_clISt17integral_constantIbLb0EES1B_IbLb1EEEEDaS17_S18_EUlS17_E_NS1_11comp_targetILNS1_3genE10ELNS1_11target_archE1200ELNS1_3gpuE4ELNS1_3repE0EEENS1_30default_config_static_selectorELNS0_4arch9wavefront6targetE0EEEvT1_ ; -- Begin function _ZN7rocprim17ROCPRIM_400000_NS6detail17trampoline_kernelINS0_14default_configENS1_25partition_config_selectorILNS1_17partition_subalgoE8ElNS0_10empty_typeEbEEZZNS1_14partition_implILS5_8ELb0ES3_jPlPS6_PKS6_NS0_5tupleIJS9_S6_EEENSD_IJSA_SA_EEENS0_18inequality_wrapperIZN2at6native12_GLOBAL__N_124unique_dim_cuda_templateIbEESt5tupleIJNSH_6TensorESM_SM_EERKSM_lbbbEUlllE0_EEPmJS6_EEE10hipError_tPvRmT3_T4_T5_T6_T7_T9_mT8_P12ihipStream_tbDpT10_ENKUlT_T0_E_clISt17integral_constantIbLb0EES1B_IbLb1EEEEDaS17_S18_EUlS17_E_NS1_11comp_targetILNS1_3genE10ELNS1_11target_archE1200ELNS1_3gpuE4ELNS1_3repE0EEENS1_30default_config_static_selectorELNS0_4arch9wavefront6targetE0EEEvT1_
	.p2align	8
	.type	_ZN7rocprim17ROCPRIM_400000_NS6detail17trampoline_kernelINS0_14default_configENS1_25partition_config_selectorILNS1_17partition_subalgoE8ElNS0_10empty_typeEbEEZZNS1_14partition_implILS5_8ELb0ES3_jPlPS6_PKS6_NS0_5tupleIJS9_S6_EEENSD_IJSA_SA_EEENS0_18inequality_wrapperIZN2at6native12_GLOBAL__N_124unique_dim_cuda_templateIbEESt5tupleIJNSH_6TensorESM_SM_EERKSM_lbbbEUlllE0_EEPmJS6_EEE10hipError_tPvRmT3_T4_T5_T6_T7_T9_mT8_P12ihipStream_tbDpT10_ENKUlT_T0_E_clISt17integral_constantIbLb0EES1B_IbLb1EEEEDaS17_S18_EUlS17_E_NS1_11comp_targetILNS1_3genE10ELNS1_11target_archE1200ELNS1_3gpuE4ELNS1_3repE0EEENS1_30default_config_static_selectorELNS0_4arch9wavefront6targetE0EEEvT1_,@function
_ZN7rocprim17ROCPRIM_400000_NS6detail17trampoline_kernelINS0_14default_configENS1_25partition_config_selectorILNS1_17partition_subalgoE8ElNS0_10empty_typeEbEEZZNS1_14partition_implILS5_8ELb0ES3_jPlPS6_PKS6_NS0_5tupleIJS9_S6_EEENSD_IJSA_SA_EEENS0_18inequality_wrapperIZN2at6native12_GLOBAL__N_124unique_dim_cuda_templateIbEESt5tupleIJNSH_6TensorESM_SM_EERKSM_lbbbEUlllE0_EEPmJS6_EEE10hipError_tPvRmT3_T4_T5_T6_T7_T9_mT8_P12ihipStream_tbDpT10_ENKUlT_T0_E_clISt17integral_constantIbLb0EES1B_IbLb1EEEEDaS17_S18_EUlS17_E_NS1_11comp_targetILNS1_3genE10ELNS1_11target_archE1200ELNS1_3gpuE4ELNS1_3repE0EEENS1_30default_config_static_selectorELNS0_4arch9wavefront6targetE0EEEvT1_: ; @_ZN7rocprim17ROCPRIM_400000_NS6detail17trampoline_kernelINS0_14default_configENS1_25partition_config_selectorILNS1_17partition_subalgoE8ElNS0_10empty_typeEbEEZZNS1_14partition_implILS5_8ELb0ES3_jPlPS6_PKS6_NS0_5tupleIJS9_S6_EEENSD_IJSA_SA_EEENS0_18inequality_wrapperIZN2at6native12_GLOBAL__N_124unique_dim_cuda_templateIbEESt5tupleIJNSH_6TensorESM_SM_EERKSM_lbbbEUlllE0_EEPmJS6_EEE10hipError_tPvRmT3_T4_T5_T6_T7_T9_mT8_P12ihipStream_tbDpT10_ENKUlT_T0_E_clISt17integral_constantIbLb0EES1B_IbLb1EEEEDaS17_S18_EUlS17_E_NS1_11comp_targetILNS1_3genE10ELNS1_11target_archE1200ELNS1_3gpuE4ELNS1_3repE0EEENS1_30default_config_static_selectorELNS0_4arch9wavefront6targetE0EEEvT1_
; %bb.0:
	.section	.rodata,"a",@progbits
	.p2align	6, 0x0
	.amdhsa_kernel _ZN7rocprim17ROCPRIM_400000_NS6detail17trampoline_kernelINS0_14default_configENS1_25partition_config_selectorILNS1_17partition_subalgoE8ElNS0_10empty_typeEbEEZZNS1_14partition_implILS5_8ELb0ES3_jPlPS6_PKS6_NS0_5tupleIJS9_S6_EEENSD_IJSA_SA_EEENS0_18inequality_wrapperIZN2at6native12_GLOBAL__N_124unique_dim_cuda_templateIbEESt5tupleIJNSH_6TensorESM_SM_EERKSM_lbbbEUlllE0_EEPmJS6_EEE10hipError_tPvRmT3_T4_T5_T6_T7_T9_mT8_P12ihipStream_tbDpT10_ENKUlT_T0_E_clISt17integral_constantIbLb0EES1B_IbLb1EEEEDaS17_S18_EUlS17_E_NS1_11comp_targetILNS1_3genE10ELNS1_11target_archE1200ELNS1_3gpuE4ELNS1_3repE0EEENS1_30default_config_static_selectorELNS0_4arch9wavefront6targetE0EEEvT1_
		.amdhsa_group_segment_fixed_size 0
		.amdhsa_private_segment_fixed_size 0
		.amdhsa_kernarg_size 136
		.amdhsa_user_sgpr_count 2
		.amdhsa_user_sgpr_dispatch_ptr 0
		.amdhsa_user_sgpr_queue_ptr 0
		.amdhsa_user_sgpr_kernarg_segment_ptr 1
		.amdhsa_user_sgpr_dispatch_id 0
		.amdhsa_user_sgpr_kernarg_preload_length 0
		.amdhsa_user_sgpr_kernarg_preload_offset 0
		.amdhsa_user_sgpr_private_segment_size 0
		.amdhsa_wavefront_size32 1
		.amdhsa_uses_dynamic_stack 0
		.amdhsa_enable_private_segment 0
		.amdhsa_system_sgpr_workgroup_id_x 1
		.amdhsa_system_sgpr_workgroup_id_y 0
		.amdhsa_system_sgpr_workgroup_id_z 0
		.amdhsa_system_sgpr_workgroup_info 0
		.amdhsa_system_vgpr_workitem_id 0
		.amdhsa_next_free_vgpr 1
		.amdhsa_next_free_sgpr 1
		.amdhsa_named_barrier_count 0
		.amdhsa_reserve_vcc 0
		.amdhsa_float_round_mode_32 0
		.amdhsa_float_round_mode_16_64 0
		.amdhsa_float_denorm_mode_32 3
		.amdhsa_float_denorm_mode_16_64 3
		.amdhsa_fp16_overflow 0
		.amdhsa_memory_ordered 1
		.amdhsa_forward_progress 1
		.amdhsa_inst_pref_size 0
		.amdhsa_round_robin_scheduling 0
		.amdhsa_exception_fp_ieee_invalid_op 0
		.amdhsa_exception_fp_denorm_src 0
		.amdhsa_exception_fp_ieee_div_zero 0
		.amdhsa_exception_fp_ieee_overflow 0
		.amdhsa_exception_fp_ieee_underflow 0
		.amdhsa_exception_fp_ieee_inexact 0
		.amdhsa_exception_int_div_zero 0
	.end_amdhsa_kernel
	.section	.text._ZN7rocprim17ROCPRIM_400000_NS6detail17trampoline_kernelINS0_14default_configENS1_25partition_config_selectorILNS1_17partition_subalgoE8ElNS0_10empty_typeEbEEZZNS1_14partition_implILS5_8ELb0ES3_jPlPS6_PKS6_NS0_5tupleIJS9_S6_EEENSD_IJSA_SA_EEENS0_18inequality_wrapperIZN2at6native12_GLOBAL__N_124unique_dim_cuda_templateIbEESt5tupleIJNSH_6TensorESM_SM_EERKSM_lbbbEUlllE0_EEPmJS6_EEE10hipError_tPvRmT3_T4_T5_T6_T7_T9_mT8_P12ihipStream_tbDpT10_ENKUlT_T0_E_clISt17integral_constantIbLb0EES1B_IbLb1EEEEDaS17_S18_EUlS17_E_NS1_11comp_targetILNS1_3genE10ELNS1_11target_archE1200ELNS1_3gpuE4ELNS1_3repE0EEENS1_30default_config_static_selectorELNS0_4arch9wavefront6targetE0EEEvT1_,"axG",@progbits,_ZN7rocprim17ROCPRIM_400000_NS6detail17trampoline_kernelINS0_14default_configENS1_25partition_config_selectorILNS1_17partition_subalgoE8ElNS0_10empty_typeEbEEZZNS1_14partition_implILS5_8ELb0ES3_jPlPS6_PKS6_NS0_5tupleIJS9_S6_EEENSD_IJSA_SA_EEENS0_18inequality_wrapperIZN2at6native12_GLOBAL__N_124unique_dim_cuda_templateIbEESt5tupleIJNSH_6TensorESM_SM_EERKSM_lbbbEUlllE0_EEPmJS6_EEE10hipError_tPvRmT3_T4_T5_T6_T7_T9_mT8_P12ihipStream_tbDpT10_ENKUlT_T0_E_clISt17integral_constantIbLb0EES1B_IbLb1EEEEDaS17_S18_EUlS17_E_NS1_11comp_targetILNS1_3genE10ELNS1_11target_archE1200ELNS1_3gpuE4ELNS1_3repE0EEENS1_30default_config_static_selectorELNS0_4arch9wavefront6targetE0EEEvT1_,comdat
.Lfunc_end1080:
	.size	_ZN7rocprim17ROCPRIM_400000_NS6detail17trampoline_kernelINS0_14default_configENS1_25partition_config_selectorILNS1_17partition_subalgoE8ElNS0_10empty_typeEbEEZZNS1_14partition_implILS5_8ELb0ES3_jPlPS6_PKS6_NS0_5tupleIJS9_S6_EEENSD_IJSA_SA_EEENS0_18inequality_wrapperIZN2at6native12_GLOBAL__N_124unique_dim_cuda_templateIbEESt5tupleIJNSH_6TensorESM_SM_EERKSM_lbbbEUlllE0_EEPmJS6_EEE10hipError_tPvRmT3_T4_T5_T6_T7_T9_mT8_P12ihipStream_tbDpT10_ENKUlT_T0_E_clISt17integral_constantIbLb0EES1B_IbLb1EEEEDaS17_S18_EUlS17_E_NS1_11comp_targetILNS1_3genE10ELNS1_11target_archE1200ELNS1_3gpuE4ELNS1_3repE0EEENS1_30default_config_static_selectorELNS0_4arch9wavefront6targetE0EEEvT1_, .Lfunc_end1080-_ZN7rocprim17ROCPRIM_400000_NS6detail17trampoline_kernelINS0_14default_configENS1_25partition_config_selectorILNS1_17partition_subalgoE8ElNS0_10empty_typeEbEEZZNS1_14partition_implILS5_8ELb0ES3_jPlPS6_PKS6_NS0_5tupleIJS9_S6_EEENSD_IJSA_SA_EEENS0_18inequality_wrapperIZN2at6native12_GLOBAL__N_124unique_dim_cuda_templateIbEESt5tupleIJNSH_6TensorESM_SM_EERKSM_lbbbEUlllE0_EEPmJS6_EEE10hipError_tPvRmT3_T4_T5_T6_T7_T9_mT8_P12ihipStream_tbDpT10_ENKUlT_T0_E_clISt17integral_constantIbLb0EES1B_IbLb1EEEEDaS17_S18_EUlS17_E_NS1_11comp_targetILNS1_3genE10ELNS1_11target_archE1200ELNS1_3gpuE4ELNS1_3repE0EEENS1_30default_config_static_selectorELNS0_4arch9wavefront6targetE0EEEvT1_
                                        ; -- End function
	.set _ZN7rocprim17ROCPRIM_400000_NS6detail17trampoline_kernelINS0_14default_configENS1_25partition_config_selectorILNS1_17partition_subalgoE8ElNS0_10empty_typeEbEEZZNS1_14partition_implILS5_8ELb0ES3_jPlPS6_PKS6_NS0_5tupleIJS9_S6_EEENSD_IJSA_SA_EEENS0_18inequality_wrapperIZN2at6native12_GLOBAL__N_124unique_dim_cuda_templateIbEESt5tupleIJNSH_6TensorESM_SM_EERKSM_lbbbEUlllE0_EEPmJS6_EEE10hipError_tPvRmT3_T4_T5_T6_T7_T9_mT8_P12ihipStream_tbDpT10_ENKUlT_T0_E_clISt17integral_constantIbLb0EES1B_IbLb1EEEEDaS17_S18_EUlS17_E_NS1_11comp_targetILNS1_3genE10ELNS1_11target_archE1200ELNS1_3gpuE4ELNS1_3repE0EEENS1_30default_config_static_selectorELNS0_4arch9wavefront6targetE0EEEvT1_.num_vgpr, 0
	.set _ZN7rocprim17ROCPRIM_400000_NS6detail17trampoline_kernelINS0_14default_configENS1_25partition_config_selectorILNS1_17partition_subalgoE8ElNS0_10empty_typeEbEEZZNS1_14partition_implILS5_8ELb0ES3_jPlPS6_PKS6_NS0_5tupleIJS9_S6_EEENSD_IJSA_SA_EEENS0_18inequality_wrapperIZN2at6native12_GLOBAL__N_124unique_dim_cuda_templateIbEESt5tupleIJNSH_6TensorESM_SM_EERKSM_lbbbEUlllE0_EEPmJS6_EEE10hipError_tPvRmT3_T4_T5_T6_T7_T9_mT8_P12ihipStream_tbDpT10_ENKUlT_T0_E_clISt17integral_constantIbLb0EES1B_IbLb1EEEEDaS17_S18_EUlS17_E_NS1_11comp_targetILNS1_3genE10ELNS1_11target_archE1200ELNS1_3gpuE4ELNS1_3repE0EEENS1_30default_config_static_selectorELNS0_4arch9wavefront6targetE0EEEvT1_.num_agpr, 0
	.set _ZN7rocprim17ROCPRIM_400000_NS6detail17trampoline_kernelINS0_14default_configENS1_25partition_config_selectorILNS1_17partition_subalgoE8ElNS0_10empty_typeEbEEZZNS1_14partition_implILS5_8ELb0ES3_jPlPS6_PKS6_NS0_5tupleIJS9_S6_EEENSD_IJSA_SA_EEENS0_18inequality_wrapperIZN2at6native12_GLOBAL__N_124unique_dim_cuda_templateIbEESt5tupleIJNSH_6TensorESM_SM_EERKSM_lbbbEUlllE0_EEPmJS6_EEE10hipError_tPvRmT3_T4_T5_T6_T7_T9_mT8_P12ihipStream_tbDpT10_ENKUlT_T0_E_clISt17integral_constantIbLb0EES1B_IbLb1EEEEDaS17_S18_EUlS17_E_NS1_11comp_targetILNS1_3genE10ELNS1_11target_archE1200ELNS1_3gpuE4ELNS1_3repE0EEENS1_30default_config_static_selectorELNS0_4arch9wavefront6targetE0EEEvT1_.numbered_sgpr, 0
	.set _ZN7rocprim17ROCPRIM_400000_NS6detail17trampoline_kernelINS0_14default_configENS1_25partition_config_selectorILNS1_17partition_subalgoE8ElNS0_10empty_typeEbEEZZNS1_14partition_implILS5_8ELb0ES3_jPlPS6_PKS6_NS0_5tupleIJS9_S6_EEENSD_IJSA_SA_EEENS0_18inequality_wrapperIZN2at6native12_GLOBAL__N_124unique_dim_cuda_templateIbEESt5tupleIJNSH_6TensorESM_SM_EERKSM_lbbbEUlllE0_EEPmJS6_EEE10hipError_tPvRmT3_T4_T5_T6_T7_T9_mT8_P12ihipStream_tbDpT10_ENKUlT_T0_E_clISt17integral_constantIbLb0EES1B_IbLb1EEEEDaS17_S18_EUlS17_E_NS1_11comp_targetILNS1_3genE10ELNS1_11target_archE1200ELNS1_3gpuE4ELNS1_3repE0EEENS1_30default_config_static_selectorELNS0_4arch9wavefront6targetE0EEEvT1_.num_named_barrier, 0
	.set _ZN7rocprim17ROCPRIM_400000_NS6detail17trampoline_kernelINS0_14default_configENS1_25partition_config_selectorILNS1_17partition_subalgoE8ElNS0_10empty_typeEbEEZZNS1_14partition_implILS5_8ELb0ES3_jPlPS6_PKS6_NS0_5tupleIJS9_S6_EEENSD_IJSA_SA_EEENS0_18inequality_wrapperIZN2at6native12_GLOBAL__N_124unique_dim_cuda_templateIbEESt5tupleIJNSH_6TensorESM_SM_EERKSM_lbbbEUlllE0_EEPmJS6_EEE10hipError_tPvRmT3_T4_T5_T6_T7_T9_mT8_P12ihipStream_tbDpT10_ENKUlT_T0_E_clISt17integral_constantIbLb0EES1B_IbLb1EEEEDaS17_S18_EUlS17_E_NS1_11comp_targetILNS1_3genE10ELNS1_11target_archE1200ELNS1_3gpuE4ELNS1_3repE0EEENS1_30default_config_static_selectorELNS0_4arch9wavefront6targetE0EEEvT1_.private_seg_size, 0
	.set _ZN7rocprim17ROCPRIM_400000_NS6detail17trampoline_kernelINS0_14default_configENS1_25partition_config_selectorILNS1_17partition_subalgoE8ElNS0_10empty_typeEbEEZZNS1_14partition_implILS5_8ELb0ES3_jPlPS6_PKS6_NS0_5tupleIJS9_S6_EEENSD_IJSA_SA_EEENS0_18inequality_wrapperIZN2at6native12_GLOBAL__N_124unique_dim_cuda_templateIbEESt5tupleIJNSH_6TensorESM_SM_EERKSM_lbbbEUlllE0_EEPmJS6_EEE10hipError_tPvRmT3_T4_T5_T6_T7_T9_mT8_P12ihipStream_tbDpT10_ENKUlT_T0_E_clISt17integral_constantIbLb0EES1B_IbLb1EEEEDaS17_S18_EUlS17_E_NS1_11comp_targetILNS1_3genE10ELNS1_11target_archE1200ELNS1_3gpuE4ELNS1_3repE0EEENS1_30default_config_static_selectorELNS0_4arch9wavefront6targetE0EEEvT1_.uses_vcc, 0
	.set _ZN7rocprim17ROCPRIM_400000_NS6detail17trampoline_kernelINS0_14default_configENS1_25partition_config_selectorILNS1_17partition_subalgoE8ElNS0_10empty_typeEbEEZZNS1_14partition_implILS5_8ELb0ES3_jPlPS6_PKS6_NS0_5tupleIJS9_S6_EEENSD_IJSA_SA_EEENS0_18inequality_wrapperIZN2at6native12_GLOBAL__N_124unique_dim_cuda_templateIbEESt5tupleIJNSH_6TensorESM_SM_EERKSM_lbbbEUlllE0_EEPmJS6_EEE10hipError_tPvRmT3_T4_T5_T6_T7_T9_mT8_P12ihipStream_tbDpT10_ENKUlT_T0_E_clISt17integral_constantIbLb0EES1B_IbLb1EEEEDaS17_S18_EUlS17_E_NS1_11comp_targetILNS1_3genE10ELNS1_11target_archE1200ELNS1_3gpuE4ELNS1_3repE0EEENS1_30default_config_static_selectorELNS0_4arch9wavefront6targetE0EEEvT1_.uses_flat_scratch, 0
	.set _ZN7rocprim17ROCPRIM_400000_NS6detail17trampoline_kernelINS0_14default_configENS1_25partition_config_selectorILNS1_17partition_subalgoE8ElNS0_10empty_typeEbEEZZNS1_14partition_implILS5_8ELb0ES3_jPlPS6_PKS6_NS0_5tupleIJS9_S6_EEENSD_IJSA_SA_EEENS0_18inequality_wrapperIZN2at6native12_GLOBAL__N_124unique_dim_cuda_templateIbEESt5tupleIJNSH_6TensorESM_SM_EERKSM_lbbbEUlllE0_EEPmJS6_EEE10hipError_tPvRmT3_T4_T5_T6_T7_T9_mT8_P12ihipStream_tbDpT10_ENKUlT_T0_E_clISt17integral_constantIbLb0EES1B_IbLb1EEEEDaS17_S18_EUlS17_E_NS1_11comp_targetILNS1_3genE10ELNS1_11target_archE1200ELNS1_3gpuE4ELNS1_3repE0EEENS1_30default_config_static_selectorELNS0_4arch9wavefront6targetE0EEEvT1_.has_dyn_sized_stack, 0
	.set _ZN7rocprim17ROCPRIM_400000_NS6detail17trampoline_kernelINS0_14default_configENS1_25partition_config_selectorILNS1_17partition_subalgoE8ElNS0_10empty_typeEbEEZZNS1_14partition_implILS5_8ELb0ES3_jPlPS6_PKS6_NS0_5tupleIJS9_S6_EEENSD_IJSA_SA_EEENS0_18inequality_wrapperIZN2at6native12_GLOBAL__N_124unique_dim_cuda_templateIbEESt5tupleIJNSH_6TensorESM_SM_EERKSM_lbbbEUlllE0_EEPmJS6_EEE10hipError_tPvRmT3_T4_T5_T6_T7_T9_mT8_P12ihipStream_tbDpT10_ENKUlT_T0_E_clISt17integral_constantIbLb0EES1B_IbLb1EEEEDaS17_S18_EUlS17_E_NS1_11comp_targetILNS1_3genE10ELNS1_11target_archE1200ELNS1_3gpuE4ELNS1_3repE0EEENS1_30default_config_static_selectorELNS0_4arch9wavefront6targetE0EEEvT1_.has_recursion, 0
	.set _ZN7rocprim17ROCPRIM_400000_NS6detail17trampoline_kernelINS0_14default_configENS1_25partition_config_selectorILNS1_17partition_subalgoE8ElNS0_10empty_typeEbEEZZNS1_14partition_implILS5_8ELb0ES3_jPlPS6_PKS6_NS0_5tupleIJS9_S6_EEENSD_IJSA_SA_EEENS0_18inequality_wrapperIZN2at6native12_GLOBAL__N_124unique_dim_cuda_templateIbEESt5tupleIJNSH_6TensorESM_SM_EERKSM_lbbbEUlllE0_EEPmJS6_EEE10hipError_tPvRmT3_T4_T5_T6_T7_T9_mT8_P12ihipStream_tbDpT10_ENKUlT_T0_E_clISt17integral_constantIbLb0EES1B_IbLb1EEEEDaS17_S18_EUlS17_E_NS1_11comp_targetILNS1_3genE10ELNS1_11target_archE1200ELNS1_3gpuE4ELNS1_3repE0EEENS1_30default_config_static_selectorELNS0_4arch9wavefront6targetE0EEEvT1_.has_indirect_call, 0
	.section	.AMDGPU.csdata,"",@progbits
; Kernel info:
; codeLenInByte = 0
; TotalNumSgprs: 0
; NumVgprs: 0
; ScratchSize: 0
; MemoryBound: 0
; FloatMode: 240
; IeeeMode: 1
; LDSByteSize: 0 bytes/workgroup (compile time only)
; SGPRBlocks: 0
; VGPRBlocks: 0
; NumSGPRsForWavesPerEU: 1
; NumVGPRsForWavesPerEU: 1
; NamedBarCnt: 0
; Occupancy: 16
; WaveLimiterHint : 0
; COMPUTE_PGM_RSRC2:SCRATCH_EN: 0
; COMPUTE_PGM_RSRC2:USER_SGPR: 2
; COMPUTE_PGM_RSRC2:TRAP_HANDLER: 0
; COMPUTE_PGM_RSRC2:TGID_X_EN: 1
; COMPUTE_PGM_RSRC2:TGID_Y_EN: 0
; COMPUTE_PGM_RSRC2:TGID_Z_EN: 0
; COMPUTE_PGM_RSRC2:TIDIG_COMP_CNT: 0
	.section	.text._ZN7rocprim17ROCPRIM_400000_NS6detail17trampoline_kernelINS0_14default_configENS1_25partition_config_selectorILNS1_17partition_subalgoE8ElNS0_10empty_typeEbEEZZNS1_14partition_implILS5_8ELb0ES3_jPlPS6_PKS6_NS0_5tupleIJS9_S6_EEENSD_IJSA_SA_EEENS0_18inequality_wrapperIZN2at6native12_GLOBAL__N_124unique_dim_cuda_templateIbEESt5tupleIJNSH_6TensorESM_SM_EERKSM_lbbbEUlllE0_EEPmJS6_EEE10hipError_tPvRmT3_T4_T5_T6_T7_T9_mT8_P12ihipStream_tbDpT10_ENKUlT_T0_E_clISt17integral_constantIbLb0EES1B_IbLb1EEEEDaS17_S18_EUlS17_E_NS1_11comp_targetILNS1_3genE9ELNS1_11target_archE1100ELNS1_3gpuE3ELNS1_3repE0EEENS1_30default_config_static_selectorELNS0_4arch9wavefront6targetE0EEEvT1_,"axG",@progbits,_ZN7rocprim17ROCPRIM_400000_NS6detail17trampoline_kernelINS0_14default_configENS1_25partition_config_selectorILNS1_17partition_subalgoE8ElNS0_10empty_typeEbEEZZNS1_14partition_implILS5_8ELb0ES3_jPlPS6_PKS6_NS0_5tupleIJS9_S6_EEENSD_IJSA_SA_EEENS0_18inequality_wrapperIZN2at6native12_GLOBAL__N_124unique_dim_cuda_templateIbEESt5tupleIJNSH_6TensorESM_SM_EERKSM_lbbbEUlllE0_EEPmJS6_EEE10hipError_tPvRmT3_T4_T5_T6_T7_T9_mT8_P12ihipStream_tbDpT10_ENKUlT_T0_E_clISt17integral_constantIbLb0EES1B_IbLb1EEEEDaS17_S18_EUlS17_E_NS1_11comp_targetILNS1_3genE9ELNS1_11target_archE1100ELNS1_3gpuE3ELNS1_3repE0EEENS1_30default_config_static_selectorELNS0_4arch9wavefront6targetE0EEEvT1_,comdat
	.globl	_ZN7rocprim17ROCPRIM_400000_NS6detail17trampoline_kernelINS0_14default_configENS1_25partition_config_selectorILNS1_17partition_subalgoE8ElNS0_10empty_typeEbEEZZNS1_14partition_implILS5_8ELb0ES3_jPlPS6_PKS6_NS0_5tupleIJS9_S6_EEENSD_IJSA_SA_EEENS0_18inequality_wrapperIZN2at6native12_GLOBAL__N_124unique_dim_cuda_templateIbEESt5tupleIJNSH_6TensorESM_SM_EERKSM_lbbbEUlllE0_EEPmJS6_EEE10hipError_tPvRmT3_T4_T5_T6_T7_T9_mT8_P12ihipStream_tbDpT10_ENKUlT_T0_E_clISt17integral_constantIbLb0EES1B_IbLb1EEEEDaS17_S18_EUlS17_E_NS1_11comp_targetILNS1_3genE9ELNS1_11target_archE1100ELNS1_3gpuE3ELNS1_3repE0EEENS1_30default_config_static_selectorELNS0_4arch9wavefront6targetE0EEEvT1_ ; -- Begin function _ZN7rocprim17ROCPRIM_400000_NS6detail17trampoline_kernelINS0_14default_configENS1_25partition_config_selectorILNS1_17partition_subalgoE8ElNS0_10empty_typeEbEEZZNS1_14partition_implILS5_8ELb0ES3_jPlPS6_PKS6_NS0_5tupleIJS9_S6_EEENSD_IJSA_SA_EEENS0_18inequality_wrapperIZN2at6native12_GLOBAL__N_124unique_dim_cuda_templateIbEESt5tupleIJNSH_6TensorESM_SM_EERKSM_lbbbEUlllE0_EEPmJS6_EEE10hipError_tPvRmT3_T4_T5_T6_T7_T9_mT8_P12ihipStream_tbDpT10_ENKUlT_T0_E_clISt17integral_constantIbLb0EES1B_IbLb1EEEEDaS17_S18_EUlS17_E_NS1_11comp_targetILNS1_3genE9ELNS1_11target_archE1100ELNS1_3gpuE3ELNS1_3repE0EEENS1_30default_config_static_selectorELNS0_4arch9wavefront6targetE0EEEvT1_
	.p2align	8
	.type	_ZN7rocprim17ROCPRIM_400000_NS6detail17trampoline_kernelINS0_14default_configENS1_25partition_config_selectorILNS1_17partition_subalgoE8ElNS0_10empty_typeEbEEZZNS1_14partition_implILS5_8ELb0ES3_jPlPS6_PKS6_NS0_5tupleIJS9_S6_EEENSD_IJSA_SA_EEENS0_18inequality_wrapperIZN2at6native12_GLOBAL__N_124unique_dim_cuda_templateIbEESt5tupleIJNSH_6TensorESM_SM_EERKSM_lbbbEUlllE0_EEPmJS6_EEE10hipError_tPvRmT3_T4_T5_T6_T7_T9_mT8_P12ihipStream_tbDpT10_ENKUlT_T0_E_clISt17integral_constantIbLb0EES1B_IbLb1EEEEDaS17_S18_EUlS17_E_NS1_11comp_targetILNS1_3genE9ELNS1_11target_archE1100ELNS1_3gpuE3ELNS1_3repE0EEENS1_30default_config_static_selectorELNS0_4arch9wavefront6targetE0EEEvT1_,@function
_ZN7rocprim17ROCPRIM_400000_NS6detail17trampoline_kernelINS0_14default_configENS1_25partition_config_selectorILNS1_17partition_subalgoE8ElNS0_10empty_typeEbEEZZNS1_14partition_implILS5_8ELb0ES3_jPlPS6_PKS6_NS0_5tupleIJS9_S6_EEENSD_IJSA_SA_EEENS0_18inequality_wrapperIZN2at6native12_GLOBAL__N_124unique_dim_cuda_templateIbEESt5tupleIJNSH_6TensorESM_SM_EERKSM_lbbbEUlllE0_EEPmJS6_EEE10hipError_tPvRmT3_T4_T5_T6_T7_T9_mT8_P12ihipStream_tbDpT10_ENKUlT_T0_E_clISt17integral_constantIbLb0EES1B_IbLb1EEEEDaS17_S18_EUlS17_E_NS1_11comp_targetILNS1_3genE9ELNS1_11target_archE1100ELNS1_3gpuE3ELNS1_3repE0EEENS1_30default_config_static_selectorELNS0_4arch9wavefront6targetE0EEEvT1_: ; @_ZN7rocprim17ROCPRIM_400000_NS6detail17trampoline_kernelINS0_14default_configENS1_25partition_config_selectorILNS1_17partition_subalgoE8ElNS0_10empty_typeEbEEZZNS1_14partition_implILS5_8ELb0ES3_jPlPS6_PKS6_NS0_5tupleIJS9_S6_EEENSD_IJSA_SA_EEENS0_18inequality_wrapperIZN2at6native12_GLOBAL__N_124unique_dim_cuda_templateIbEESt5tupleIJNSH_6TensorESM_SM_EERKSM_lbbbEUlllE0_EEPmJS6_EEE10hipError_tPvRmT3_T4_T5_T6_T7_T9_mT8_P12ihipStream_tbDpT10_ENKUlT_T0_E_clISt17integral_constantIbLb0EES1B_IbLb1EEEEDaS17_S18_EUlS17_E_NS1_11comp_targetILNS1_3genE9ELNS1_11target_archE1100ELNS1_3gpuE3ELNS1_3repE0EEENS1_30default_config_static_selectorELNS0_4arch9wavefront6targetE0EEEvT1_
; %bb.0:
	.section	.rodata,"a",@progbits
	.p2align	6, 0x0
	.amdhsa_kernel _ZN7rocprim17ROCPRIM_400000_NS6detail17trampoline_kernelINS0_14default_configENS1_25partition_config_selectorILNS1_17partition_subalgoE8ElNS0_10empty_typeEbEEZZNS1_14partition_implILS5_8ELb0ES3_jPlPS6_PKS6_NS0_5tupleIJS9_S6_EEENSD_IJSA_SA_EEENS0_18inequality_wrapperIZN2at6native12_GLOBAL__N_124unique_dim_cuda_templateIbEESt5tupleIJNSH_6TensorESM_SM_EERKSM_lbbbEUlllE0_EEPmJS6_EEE10hipError_tPvRmT3_T4_T5_T6_T7_T9_mT8_P12ihipStream_tbDpT10_ENKUlT_T0_E_clISt17integral_constantIbLb0EES1B_IbLb1EEEEDaS17_S18_EUlS17_E_NS1_11comp_targetILNS1_3genE9ELNS1_11target_archE1100ELNS1_3gpuE3ELNS1_3repE0EEENS1_30default_config_static_selectorELNS0_4arch9wavefront6targetE0EEEvT1_
		.amdhsa_group_segment_fixed_size 0
		.amdhsa_private_segment_fixed_size 0
		.amdhsa_kernarg_size 136
		.amdhsa_user_sgpr_count 2
		.amdhsa_user_sgpr_dispatch_ptr 0
		.amdhsa_user_sgpr_queue_ptr 0
		.amdhsa_user_sgpr_kernarg_segment_ptr 1
		.amdhsa_user_sgpr_dispatch_id 0
		.amdhsa_user_sgpr_kernarg_preload_length 0
		.amdhsa_user_sgpr_kernarg_preload_offset 0
		.amdhsa_user_sgpr_private_segment_size 0
		.amdhsa_wavefront_size32 1
		.amdhsa_uses_dynamic_stack 0
		.amdhsa_enable_private_segment 0
		.amdhsa_system_sgpr_workgroup_id_x 1
		.amdhsa_system_sgpr_workgroup_id_y 0
		.amdhsa_system_sgpr_workgroup_id_z 0
		.amdhsa_system_sgpr_workgroup_info 0
		.amdhsa_system_vgpr_workitem_id 0
		.amdhsa_next_free_vgpr 1
		.amdhsa_next_free_sgpr 1
		.amdhsa_named_barrier_count 0
		.amdhsa_reserve_vcc 0
		.amdhsa_float_round_mode_32 0
		.amdhsa_float_round_mode_16_64 0
		.amdhsa_float_denorm_mode_32 3
		.amdhsa_float_denorm_mode_16_64 3
		.amdhsa_fp16_overflow 0
		.amdhsa_memory_ordered 1
		.amdhsa_forward_progress 1
		.amdhsa_inst_pref_size 0
		.amdhsa_round_robin_scheduling 0
		.amdhsa_exception_fp_ieee_invalid_op 0
		.amdhsa_exception_fp_denorm_src 0
		.amdhsa_exception_fp_ieee_div_zero 0
		.amdhsa_exception_fp_ieee_overflow 0
		.amdhsa_exception_fp_ieee_underflow 0
		.amdhsa_exception_fp_ieee_inexact 0
		.amdhsa_exception_int_div_zero 0
	.end_amdhsa_kernel
	.section	.text._ZN7rocprim17ROCPRIM_400000_NS6detail17trampoline_kernelINS0_14default_configENS1_25partition_config_selectorILNS1_17partition_subalgoE8ElNS0_10empty_typeEbEEZZNS1_14partition_implILS5_8ELb0ES3_jPlPS6_PKS6_NS0_5tupleIJS9_S6_EEENSD_IJSA_SA_EEENS0_18inequality_wrapperIZN2at6native12_GLOBAL__N_124unique_dim_cuda_templateIbEESt5tupleIJNSH_6TensorESM_SM_EERKSM_lbbbEUlllE0_EEPmJS6_EEE10hipError_tPvRmT3_T4_T5_T6_T7_T9_mT8_P12ihipStream_tbDpT10_ENKUlT_T0_E_clISt17integral_constantIbLb0EES1B_IbLb1EEEEDaS17_S18_EUlS17_E_NS1_11comp_targetILNS1_3genE9ELNS1_11target_archE1100ELNS1_3gpuE3ELNS1_3repE0EEENS1_30default_config_static_selectorELNS0_4arch9wavefront6targetE0EEEvT1_,"axG",@progbits,_ZN7rocprim17ROCPRIM_400000_NS6detail17trampoline_kernelINS0_14default_configENS1_25partition_config_selectorILNS1_17partition_subalgoE8ElNS0_10empty_typeEbEEZZNS1_14partition_implILS5_8ELb0ES3_jPlPS6_PKS6_NS0_5tupleIJS9_S6_EEENSD_IJSA_SA_EEENS0_18inequality_wrapperIZN2at6native12_GLOBAL__N_124unique_dim_cuda_templateIbEESt5tupleIJNSH_6TensorESM_SM_EERKSM_lbbbEUlllE0_EEPmJS6_EEE10hipError_tPvRmT3_T4_T5_T6_T7_T9_mT8_P12ihipStream_tbDpT10_ENKUlT_T0_E_clISt17integral_constantIbLb0EES1B_IbLb1EEEEDaS17_S18_EUlS17_E_NS1_11comp_targetILNS1_3genE9ELNS1_11target_archE1100ELNS1_3gpuE3ELNS1_3repE0EEENS1_30default_config_static_selectorELNS0_4arch9wavefront6targetE0EEEvT1_,comdat
.Lfunc_end1081:
	.size	_ZN7rocprim17ROCPRIM_400000_NS6detail17trampoline_kernelINS0_14default_configENS1_25partition_config_selectorILNS1_17partition_subalgoE8ElNS0_10empty_typeEbEEZZNS1_14partition_implILS5_8ELb0ES3_jPlPS6_PKS6_NS0_5tupleIJS9_S6_EEENSD_IJSA_SA_EEENS0_18inequality_wrapperIZN2at6native12_GLOBAL__N_124unique_dim_cuda_templateIbEESt5tupleIJNSH_6TensorESM_SM_EERKSM_lbbbEUlllE0_EEPmJS6_EEE10hipError_tPvRmT3_T4_T5_T6_T7_T9_mT8_P12ihipStream_tbDpT10_ENKUlT_T0_E_clISt17integral_constantIbLb0EES1B_IbLb1EEEEDaS17_S18_EUlS17_E_NS1_11comp_targetILNS1_3genE9ELNS1_11target_archE1100ELNS1_3gpuE3ELNS1_3repE0EEENS1_30default_config_static_selectorELNS0_4arch9wavefront6targetE0EEEvT1_, .Lfunc_end1081-_ZN7rocprim17ROCPRIM_400000_NS6detail17trampoline_kernelINS0_14default_configENS1_25partition_config_selectorILNS1_17partition_subalgoE8ElNS0_10empty_typeEbEEZZNS1_14partition_implILS5_8ELb0ES3_jPlPS6_PKS6_NS0_5tupleIJS9_S6_EEENSD_IJSA_SA_EEENS0_18inequality_wrapperIZN2at6native12_GLOBAL__N_124unique_dim_cuda_templateIbEESt5tupleIJNSH_6TensorESM_SM_EERKSM_lbbbEUlllE0_EEPmJS6_EEE10hipError_tPvRmT3_T4_T5_T6_T7_T9_mT8_P12ihipStream_tbDpT10_ENKUlT_T0_E_clISt17integral_constantIbLb0EES1B_IbLb1EEEEDaS17_S18_EUlS17_E_NS1_11comp_targetILNS1_3genE9ELNS1_11target_archE1100ELNS1_3gpuE3ELNS1_3repE0EEENS1_30default_config_static_selectorELNS0_4arch9wavefront6targetE0EEEvT1_
                                        ; -- End function
	.set _ZN7rocprim17ROCPRIM_400000_NS6detail17trampoline_kernelINS0_14default_configENS1_25partition_config_selectorILNS1_17partition_subalgoE8ElNS0_10empty_typeEbEEZZNS1_14partition_implILS5_8ELb0ES3_jPlPS6_PKS6_NS0_5tupleIJS9_S6_EEENSD_IJSA_SA_EEENS0_18inequality_wrapperIZN2at6native12_GLOBAL__N_124unique_dim_cuda_templateIbEESt5tupleIJNSH_6TensorESM_SM_EERKSM_lbbbEUlllE0_EEPmJS6_EEE10hipError_tPvRmT3_T4_T5_T6_T7_T9_mT8_P12ihipStream_tbDpT10_ENKUlT_T0_E_clISt17integral_constantIbLb0EES1B_IbLb1EEEEDaS17_S18_EUlS17_E_NS1_11comp_targetILNS1_3genE9ELNS1_11target_archE1100ELNS1_3gpuE3ELNS1_3repE0EEENS1_30default_config_static_selectorELNS0_4arch9wavefront6targetE0EEEvT1_.num_vgpr, 0
	.set _ZN7rocprim17ROCPRIM_400000_NS6detail17trampoline_kernelINS0_14default_configENS1_25partition_config_selectorILNS1_17partition_subalgoE8ElNS0_10empty_typeEbEEZZNS1_14partition_implILS5_8ELb0ES3_jPlPS6_PKS6_NS0_5tupleIJS9_S6_EEENSD_IJSA_SA_EEENS0_18inequality_wrapperIZN2at6native12_GLOBAL__N_124unique_dim_cuda_templateIbEESt5tupleIJNSH_6TensorESM_SM_EERKSM_lbbbEUlllE0_EEPmJS6_EEE10hipError_tPvRmT3_T4_T5_T6_T7_T9_mT8_P12ihipStream_tbDpT10_ENKUlT_T0_E_clISt17integral_constantIbLb0EES1B_IbLb1EEEEDaS17_S18_EUlS17_E_NS1_11comp_targetILNS1_3genE9ELNS1_11target_archE1100ELNS1_3gpuE3ELNS1_3repE0EEENS1_30default_config_static_selectorELNS0_4arch9wavefront6targetE0EEEvT1_.num_agpr, 0
	.set _ZN7rocprim17ROCPRIM_400000_NS6detail17trampoline_kernelINS0_14default_configENS1_25partition_config_selectorILNS1_17partition_subalgoE8ElNS0_10empty_typeEbEEZZNS1_14partition_implILS5_8ELb0ES3_jPlPS6_PKS6_NS0_5tupleIJS9_S6_EEENSD_IJSA_SA_EEENS0_18inequality_wrapperIZN2at6native12_GLOBAL__N_124unique_dim_cuda_templateIbEESt5tupleIJNSH_6TensorESM_SM_EERKSM_lbbbEUlllE0_EEPmJS6_EEE10hipError_tPvRmT3_T4_T5_T6_T7_T9_mT8_P12ihipStream_tbDpT10_ENKUlT_T0_E_clISt17integral_constantIbLb0EES1B_IbLb1EEEEDaS17_S18_EUlS17_E_NS1_11comp_targetILNS1_3genE9ELNS1_11target_archE1100ELNS1_3gpuE3ELNS1_3repE0EEENS1_30default_config_static_selectorELNS0_4arch9wavefront6targetE0EEEvT1_.numbered_sgpr, 0
	.set _ZN7rocprim17ROCPRIM_400000_NS6detail17trampoline_kernelINS0_14default_configENS1_25partition_config_selectorILNS1_17partition_subalgoE8ElNS0_10empty_typeEbEEZZNS1_14partition_implILS5_8ELb0ES3_jPlPS6_PKS6_NS0_5tupleIJS9_S6_EEENSD_IJSA_SA_EEENS0_18inequality_wrapperIZN2at6native12_GLOBAL__N_124unique_dim_cuda_templateIbEESt5tupleIJNSH_6TensorESM_SM_EERKSM_lbbbEUlllE0_EEPmJS6_EEE10hipError_tPvRmT3_T4_T5_T6_T7_T9_mT8_P12ihipStream_tbDpT10_ENKUlT_T0_E_clISt17integral_constantIbLb0EES1B_IbLb1EEEEDaS17_S18_EUlS17_E_NS1_11comp_targetILNS1_3genE9ELNS1_11target_archE1100ELNS1_3gpuE3ELNS1_3repE0EEENS1_30default_config_static_selectorELNS0_4arch9wavefront6targetE0EEEvT1_.num_named_barrier, 0
	.set _ZN7rocprim17ROCPRIM_400000_NS6detail17trampoline_kernelINS0_14default_configENS1_25partition_config_selectorILNS1_17partition_subalgoE8ElNS0_10empty_typeEbEEZZNS1_14partition_implILS5_8ELb0ES3_jPlPS6_PKS6_NS0_5tupleIJS9_S6_EEENSD_IJSA_SA_EEENS0_18inequality_wrapperIZN2at6native12_GLOBAL__N_124unique_dim_cuda_templateIbEESt5tupleIJNSH_6TensorESM_SM_EERKSM_lbbbEUlllE0_EEPmJS6_EEE10hipError_tPvRmT3_T4_T5_T6_T7_T9_mT8_P12ihipStream_tbDpT10_ENKUlT_T0_E_clISt17integral_constantIbLb0EES1B_IbLb1EEEEDaS17_S18_EUlS17_E_NS1_11comp_targetILNS1_3genE9ELNS1_11target_archE1100ELNS1_3gpuE3ELNS1_3repE0EEENS1_30default_config_static_selectorELNS0_4arch9wavefront6targetE0EEEvT1_.private_seg_size, 0
	.set _ZN7rocprim17ROCPRIM_400000_NS6detail17trampoline_kernelINS0_14default_configENS1_25partition_config_selectorILNS1_17partition_subalgoE8ElNS0_10empty_typeEbEEZZNS1_14partition_implILS5_8ELb0ES3_jPlPS6_PKS6_NS0_5tupleIJS9_S6_EEENSD_IJSA_SA_EEENS0_18inequality_wrapperIZN2at6native12_GLOBAL__N_124unique_dim_cuda_templateIbEESt5tupleIJNSH_6TensorESM_SM_EERKSM_lbbbEUlllE0_EEPmJS6_EEE10hipError_tPvRmT3_T4_T5_T6_T7_T9_mT8_P12ihipStream_tbDpT10_ENKUlT_T0_E_clISt17integral_constantIbLb0EES1B_IbLb1EEEEDaS17_S18_EUlS17_E_NS1_11comp_targetILNS1_3genE9ELNS1_11target_archE1100ELNS1_3gpuE3ELNS1_3repE0EEENS1_30default_config_static_selectorELNS0_4arch9wavefront6targetE0EEEvT1_.uses_vcc, 0
	.set _ZN7rocprim17ROCPRIM_400000_NS6detail17trampoline_kernelINS0_14default_configENS1_25partition_config_selectorILNS1_17partition_subalgoE8ElNS0_10empty_typeEbEEZZNS1_14partition_implILS5_8ELb0ES3_jPlPS6_PKS6_NS0_5tupleIJS9_S6_EEENSD_IJSA_SA_EEENS0_18inequality_wrapperIZN2at6native12_GLOBAL__N_124unique_dim_cuda_templateIbEESt5tupleIJNSH_6TensorESM_SM_EERKSM_lbbbEUlllE0_EEPmJS6_EEE10hipError_tPvRmT3_T4_T5_T6_T7_T9_mT8_P12ihipStream_tbDpT10_ENKUlT_T0_E_clISt17integral_constantIbLb0EES1B_IbLb1EEEEDaS17_S18_EUlS17_E_NS1_11comp_targetILNS1_3genE9ELNS1_11target_archE1100ELNS1_3gpuE3ELNS1_3repE0EEENS1_30default_config_static_selectorELNS0_4arch9wavefront6targetE0EEEvT1_.uses_flat_scratch, 0
	.set _ZN7rocprim17ROCPRIM_400000_NS6detail17trampoline_kernelINS0_14default_configENS1_25partition_config_selectorILNS1_17partition_subalgoE8ElNS0_10empty_typeEbEEZZNS1_14partition_implILS5_8ELb0ES3_jPlPS6_PKS6_NS0_5tupleIJS9_S6_EEENSD_IJSA_SA_EEENS0_18inequality_wrapperIZN2at6native12_GLOBAL__N_124unique_dim_cuda_templateIbEESt5tupleIJNSH_6TensorESM_SM_EERKSM_lbbbEUlllE0_EEPmJS6_EEE10hipError_tPvRmT3_T4_T5_T6_T7_T9_mT8_P12ihipStream_tbDpT10_ENKUlT_T0_E_clISt17integral_constantIbLb0EES1B_IbLb1EEEEDaS17_S18_EUlS17_E_NS1_11comp_targetILNS1_3genE9ELNS1_11target_archE1100ELNS1_3gpuE3ELNS1_3repE0EEENS1_30default_config_static_selectorELNS0_4arch9wavefront6targetE0EEEvT1_.has_dyn_sized_stack, 0
	.set _ZN7rocprim17ROCPRIM_400000_NS6detail17trampoline_kernelINS0_14default_configENS1_25partition_config_selectorILNS1_17partition_subalgoE8ElNS0_10empty_typeEbEEZZNS1_14partition_implILS5_8ELb0ES3_jPlPS6_PKS6_NS0_5tupleIJS9_S6_EEENSD_IJSA_SA_EEENS0_18inequality_wrapperIZN2at6native12_GLOBAL__N_124unique_dim_cuda_templateIbEESt5tupleIJNSH_6TensorESM_SM_EERKSM_lbbbEUlllE0_EEPmJS6_EEE10hipError_tPvRmT3_T4_T5_T6_T7_T9_mT8_P12ihipStream_tbDpT10_ENKUlT_T0_E_clISt17integral_constantIbLb0EES1B_IbLb1EEEEDaS17_S18_EUlS17_E_NS1_11comp_targetILNS1_3genE9ELNS1_11target_archE1100ELNS1_3gpuE3ELNS1_3repE0EEENS1_30default_config_static_selectorELNS0_4arch9wavefront6targetE0EEEvT1_.has_recursion, 0
	.set _ZN7rocprim17ROCPRIM_400000_NS6detail17trampoline_kernelINS0_14default_configENS1_25partition_config_selectorILNS1_17partition_subalgoE8ElNS0_10empty_typeEbEEZZNS1_14partition_implILS5_8ELb0ES3_jPlPS6_PKS6_NS0_5tupleIJS9_S6_EEENSD_IJSA_SA_EEENS0_18inequality_wrapperIZN2at6native12_GLOBAL__N_124unique_dim_cuda_templateIbEESt5tupleIJNSH_6TensorESM_SM_EERKSM_lbbbEUlllE0_EEPmJS6_EEE10hipError_tPvRmT3_T4_T5_T6_T7_T9_mT8_P12ihipStream_tbDpT10_ENKUlT_T0_E_clISt17integral_constantIbLb0EES1B_IbLb1EEEEDaS17_S18_EUlS17_E_NS1_11comp_targetILNS1_3genE9ELNS1_11target_archE1100ELNS1_3gpuE3ELNS1_3repE0EEENS1_30default_config_static_selectorELNS0_4arch9wavefront6targetE0EEEvT1_.has_indirect_call, 0
	.section	.AMDGPU.csdata,"",@progbits
; Kernel info:
; codeLenInByte = 0
; TotalNumSgprs: 0
; NumVgprs: 0
; ScratchSize: 0
; MemoryBound: 0
; FloatMode: 240
; IeeeMode: 1
; LDSByteSize: 0 bytes/workgroup (compile time only)
; SGPRBlocks: 0
; VGPRBlocks: 0
; NumSGPRsForWavesPerEU: 1
; NumVGPRsForWavesPerEU: 1
; NamedBarCnt: 0
; Occupancy: 16
; WaveLimiterHint : 0
; COMPUTE_PGM_RSRC2:SCRATCH_EN: 0
; COMPUTE_PGM_RSRC2:USER_SGPR: 2
; COMPUTE_PGM_RSRC2:TRAP_HANDLER: 0
; COMPUTE_PGM_RSRC2:TGID_X_EN: 1
; COMPUTE_PGM_RSRC2:TGID_Y_EN: 0
; COMPUTE_PGM_RSRC2:TGID_Z_EN: 0
; COMPUTE_PGM_RSRC2:TIDIG_COMP_CNT: 0
	.section	.text._ZN7rocprim17ROCPRIM_400000_NS6detail17trampoline_kernelINS0_14default_configENS1_25partition_config_selectorILNS1_17partition_subalgoE8ElNS0_10empty_typeEbEEZZNS1_14partition_implILS5_8ELb0ES3_jPlPS6_PKS6_NS0_5tupleIJS9_S6_EEENSD_IJSA_SA_EEENS0_18inequality_wrapperIZN2at6native12_GLOBAL__N_124unique_dim_cuda_templateIbEESt5tupleIJNSH_6TensorESM_SM_EERKSM_lbbbEUlllE0_EEPmJS6_EEE10hipError_tPvRmT3_T4_T5_T6_T7_T9_mT8_P12ihipStream_tbDpT10_ENKUlT_T0_E_clISt17integral_constantIbLb0EES1B_IbLb1EEEEDaS17_S18_EUlS17_E_NS1_11comp_targetILNS1_3genE8ELNS1_11target_archE1030ELNS1_3gpuE2ELNS1_3repE0EEENS1_30default_config_static_selectorELNS0_4arch9wavefront6targetE0EEEvT1_,"axG",@progbits,_ZN7rocprim17ROCPRIM_400000_NS6detail17trampoline_kernelINS0_14default_configENS1_25partition_config_selectorILNS1_17partition_subalgoE8ElNS0_10empty_typeEbEEZZNS1_14partition_implILS5_8ELb0ES3_jPlPS6_PKS6_NS0_5tupleIJS9_S6_EEENSD_IJSA_SA_EEENS0_18inequality_wrapperIZN2at6native12_GLOBAL__N_124unique_dim_cuda_templateIbEESt5tupleIJNSH_6TensorESM_SM_EERKSM_lbbbEUlllE0_EEPmJS6_EEE10hipError_tPvRmT3_T4_T5_T6_T7_T9_mT8_P12ihipStream_tbDpT10_ENKUlT_T0_E_clISt17integral_constantIbLb0EES1B_IbLb1EEEEDaS17_S18_EUlS17_E_NS1_11comp_targetILNS1_3genE8ELNS1_11target_archE1030ELNS1_3gpuE2ELNS1_3repE0EEENS1_30default_config_static_selectorELNS0_4arch9wavefront6targetE0EEEvT1_,comdat
	.globl	_ZN7rocprim17ROCPRIM_400000_NS6detail17trampoline_kernelINS0_14default_configENS1_25partition_config_selectorILNS1_17partition_subalgoE8ElNS0_10empty_typeEbEEZZNS1_14partition_implILS5_8ELb0ES3_jPlPS6_PKS6_NS0_5tupleIJS9_S6_EEENSD_IJSA_SA_EEENS0_18inequality_wrapperIZN2at6native12_GLOBAL__N_124unique_dim_cuda_templateIbEESt5tupleIJNSH_6TensorESM_SM_EERKSM_lbbbEUlllE0_EEPmJS6_EEE10hipError_tPvRmT3_T4_T5_T6_T7_T9_mT8_P12ihipStream_tbDpT10_ENKUlT_T0_E_clISt17integral_constantIbLb0EES1B_IbLb1EEEEDaS17_S18_EUlS17_E_NS1_11comp_targetILNS1_3genE8ELNS1_11target_archE1030ELNS1_3gpuE2ELNS1_3repE0EEENS1_30default_config_static_selectorELNS0_4arch9wavefront6targetE0EEEvT1_ ; -- Begin function _ZN7rocprim17ROCPRIM_400000_NS6detail17trampoline_kernelINS0_14default_configENS1_25partition_config_selectorILNS1_17partition_subalgoE8ElNS0_10empty_typeEbEEZZNS1_14partition_implILS5_8ELb0ES3_jPlPS6_PKS6_NS0_5tupleIJS9_S6_EEENSD_IJSA_SA_EEENS0_18inequality_wrapperIZN2at6native12_GLOBAL__N_124unique_dim_cuda_templateIbEESt5tupleIJNSH_6TensorESM_SM_EERKSM_lbbbEUlllE0_EEPmJS6_EEE10hipError_tPvRmT3_T4_T5_T6_T7_T9_mT8_P12ihipStream_tbDpT10_ENKUlT_T0_E_clISt17integral_constantIbLb0EES1B_IbLb1EEEEDaS17_S18_EUlS17_E_NS1_11comp_targetILNS1_3genE8ELNS1_11target_archE1030ELNS1_3gpuE2ELNS1_3repE0EEENS1_30default_config_static_selectorELNS0_4arch9wavefront6targetE0EEEvT1_
	.p2align	8
	.type	_ZN7rocprim17ROCPRIM_400000_NS6detail17trampoline_kernelINS0_14default_configENS1_25partition_config_selectorILNS1_17partition_subalgoE8ElNS0_10empty_typeEbEEZZNS1_14partition_implILS5_8ELb0ES3_jPlPS6_PKS6_NS0_5tupleIJS9_S6_EEENSD_IJSA_SA_EEENS0_18inequality_wrapperIZN2at6native12_GLOBAL__N_124unique_dim_cuda_templateIbEESt5tupleIJNSH_6TensorESM_SM_EERKSM_lbbbEUlllE0_EEPmJS6_EEE10hipError_tPvRmT3_T4_T5_T6_T7_T9_mT8_P12ihipStream_tbDpT10_ENKUlT_T0_E_clISt17integral_constantIbLb0EES1B_IbLb1EEEEDaS17_S18_EUlS17_E_NS1_11comp_targetILNS1_3genE8ELNS1_11target_archE1030ELNS1_3gpuE2ELNS1_3repE0EEENS1_30default_config_static_selectorELNS0_4arch9wavefront6targetE0EEEvT1_,@function
_ZN7rocprim17ROCPRIM_400000_NS6detail17trampoline_kernelINS0_14default_configENS1_25partition_config_selectorILNS1_17partition_subalgoE8ElNS0_10empty_typeEbEEZZNS1_14partition_implILS5_8ELb0ES3_jPlPS6_PKS6_NS0_5tupleIJS9_S6_EEENSD_IJSA_SA_EEENS0_18inequality_wrapperIZN2at6native12_GLOBAL__N_124unique_dim_cuda_templateIbEESt5tupleIJNSH_6TensorESM_SM_EERKSM_lbbbEUlllE0_EEPmJS6_EEE10hipError_tPvRmT3_T4_T5_T6_T7_T9_mT8_P12ihipStream_tbDpT10_ENKUlT_T0_E_clISt17integral_constantIbLb0EES1B_IbLb1EEEEDaS17_S18_EUlS17_E_NS1_11comp_targetILNS1_3genE8ELNS1_11target_archE1030ELNS1_3gpuE2ELNS1_3repE0EEENS1_30default_config_static_selectorELNS0_4arch9wavefront6targetE0EEEvT1_: ; @_ZN7rocprim17ROCPRIM_400000_NS6detail17trampoline_kernelINS0_14default_configENS1_25partition_config_selectorILNS1_17partition_subalgoE8ElNS0_10empty_typeEbEEZZNS1_14partition_implILS5_8ELb0ES3_jPlPS6_PKS6_NS0_5tupleIJS9_S6_EEENSD_IJSA_SA_EEENS0_18inequality_wrapperIZN2at6native12_GLOBAL__N_124unique_dim_cuda_templateIbEESt5tupleIJNSH_6TensorESM_SM_EERKSM_lbbbEUlllE0_EEPmJS6_EEE10hipError_tPvRmT3_T4_T5_T6_T7_T9_mT8_P12ihipStream_tbDpT10_ENKUlT_T0_E_clISt17integral_constantIbLb0EES1B_IbLb1EEEEDaS17_S18_EUlS17_E_NS1_11comp_targetILNS1_3genE8ELNS1_11target_archE1030ELNS1_3gpuE2ELNS1_3repE0EEENS1_30default_config_static_selectorELNS0_4arch9wavefront6targetE0EEEvT1_
; %bb.0:
	.section	.rodata,"a",@progbits
	.p2align	6, 0x0
	.amdhsa_kernel _ZN7rocprim17ROCPRIM_400000_NS6detail17trampoline_kernelINS0_14default_configENS1_25partition_config_selectorILNS1_17partition_subalgoE8ElNS0_10empty_typeEbEEZZNS1_14partition_implILS5_8ELb0ES3_jPlPS6_PKS6_NS0_5tupleIJS9_S6_EEENSD_IJSA_SA_EEENS0_18inequality_wrapperIZN2at6native12_GLOBAL__N_124unique_dim_cuda_templateIbEESt5tupleIJNSH_6TensorESM_SM_EERKSM_lbbbEUlllE0_EEPmJS6_EEE10hipError_tPvRmT3_T4_T5_T6_T7_T9_mT8_P12ihipStream_tbDpT10_ENKUlT_T0_E_clISt17integral_constantIbLb0EES1B_IbLb1EEEEDaS17_S18_EUlS17_E_NS1_11comp_targetILNS1_3genE8ELNS1_11target_archE1030ELNS1_3gpuE2ELNS1_3repE0EEENS1_30default_config_static_selectorELNS0_4arch9wavefront6targetE0EEEvT1_
		.amdhsa_group_segment_fixed_size 0
		.amdhsa_private_segment_fixed_size 0
		.amdhsa_kernarg_size 136
		.amdhsa_user_sgpr_count 2
		.amdhsa_user_sgpr_dispatch_ptr 0
		.amdhsa_user_sgpr_queue_ptr 0
		.amdhsa_user_sgpr_kernarg_segment_ptr 1
		.amdhsa_user_sgpr_dispatch_id 0
		.amdhsa_user_sgpr_kernarg_preload_length 0
		.amdhsa_user_sgpr_kernarg_preload_offset 0
		.amdhsa_user_sgpr_private_segment_size 0
		.amdhsa_wavefront_size32 1
		.amdhsa_uses_dynamic_stack 0
		.amdhsa_enable_private_segment 0
		.amdhsa_system_sgpr_workgroup_id_x 1
		.amdhsa_system_sgpr_workgroup_id_y 0
		.amdhsa_system_sgpr_workgroup_id_z 0
		.amdhsa_system_sgpr_workgroup_info 0
		.amdhsa_system_vgpr_workitem_id 0
		.amdhsa_next_free_vgpr 1
		.amdhsa_next_free_sgpr 1
		.amdhsa_named_barrier_count 0
		.amdhsa_reserve_vcc 0
		.amdhsa_float_round_mode_32 0
		.amdhsa_float_round_mode_16_64 0
		.amdhsa_float_denorm_mode_32 3
		.amdhsa_float_denorm_mode_16_64 3
		.amdhsa_fp16_overflow 0
		.amdhsa_memory_ordered 1
		.amdhsa_forward_progress 1
		.amdhsa_inst_pref_size 0
		.amdhsa_round_robin_scheduling 0
		.amdhsa_exception_fp_ieee_invalid_op 0
		.amdhsa_exception_fp_denorm_src 0
		.amdhsa_exception_fp_ieee_div_zero 0
		.amdhsa_exception_fp_ieee_overflow 0
		.amdhsa_exception_fp_ieee_underflow 0
		.amdhsa_exception_fp_ieee_inexact 0
		.amdhsa_exception_int_div_zero 0
	.end_amdhsa_kernel
	.section	.text._ZN7rocprim17ROCPRIM_400000_NS6detail17trampoline_kernelINS0_14default_configENS1_25partition_config_selectorILNS1_17partition_subalgoE8ElNS0_10empty_typeEbEEZZNS1_14partition_implILS5_8ELb0ES3_jPlPS6_PKS6_NS0_5tupleIJS9_S6_EEENSD_IJSA_SA_EEENS0_18inequality_wrapperIZN2at6native12_GLOBAL__N_124unique_dim_cuda_templateIbEESt5tupleIJNSH_6TensorESM_SM_EERKSM_lbbbEUlllE0_EEPmJS6_EEE10hipError_tPvRmT3_T4_T5_T6_T7_T9_mT8_P12ihipStream_tbDpT10_ENKUlT_T0_E_clISt17integral_constantIbLb0EES1B_IbLb1EEEEDaS17_S18_EUlS17_E_NS1_11comp_targetILNS1_3genE8ELNS1_11target_archE1030ELNS1_3gpuE2ELNS1_3repE0EEENS1_30default_config_static_selectorELNS0_4arch9wavefront6targetE0EEEvT1_,"axG",@progbits,_ZN7rocprim17ROCPRIM_400000_NS6detail17trampoline_kernelINS0_14default_configENS1_25partition_config_selectorILNS1_17partition_subalgoE8ElNS0_10empty_typeEbEEZZNS1_14partition_implILS5_8ELb0ES3_jPlPS6_PKS6_NS0_5tupleIJS9_S6_EEENSD_IJSA_SA_EEENS0_18inequality_wrapperIZN2at6native12_GLOBAL__N_124unique_dim_cuda_templateIbEESt5tupleIJNSH_6TensorESM_SM_EERKSM_lbbbEUlllE0_EEPmJS6_EEE10hipError_tPvRmT3_T4_T5_T6_T7_T9_mT8_P12ihipStream_tbDpT10_ENKUlT_T0_E_clISt17integral_constantIbLb0EES1B_IbLb1EEEEDaS17_S18_EUlS17_E_NS1_11comp_targetILNS1_3genE8ELNS1_11target_archE1030ELNS1_3gpuE2ELNS1_3repE0EEENS1_30default_config_static_selectorELNS0_4arch9wavefront6targetE0EEEvT1_,comdat
.Lfunc_end1082:
	.size	_ZN7rocprim17ROCPRIM_400000_NS6detail17trampoline_kernelINS0_14default_configENS1_25partition_config_selectorILNS1_17partition_subalgoE8ElNS0_10empty_typeEbEEZZNS1_14partition_implILS5_8ELb0ES3_jPlPS6_PKS6_NS0_5tupleIJS9_S6_EEENSD_IJSA_SA_EEENS0_18inequality_wrapperIZN2at6native12_GLOBAL__N_124unique_dim_cuda_templateIbEESt5tupleIJNSH_6TensorESM_SM_EERKSM_lbbbEUlllE0_EEPmJS6_EEE10hipError_tPvRmT3_T4_T5_T6_T7_T9_mT8_P12ihipStream_tbDpT10_ENKUlT_T0_E_clISt17integral_constantIbLb0EES1B_IbLb1EEEEDaS17_S18_EUlS17_E_NS1_11comp_targetILNS1_3genE8ELNS1_11target_archE1030ELNS1_3gpuE2ELNS1_3repE0EEENS1_30default_config_static_selectorELNS0_4arch9wavefront6targetE0EEEvT1_, .Lfunc_end1082-_ZN7rocprim17ROCPRIM_400000_NS6detail17trampoline_kernelINS0_14default_configENS1_25partition_config_selectorILNS1_17partition_subalgoE8ElNS0_10empty_typeEbEEZZNS1_14partition_implILS5_8ELb0ES3_jPlPS6_PKS6_NS0_5tupleIJS9_S6_EEENSD_IJSA_SA_EEENS0_18inequality_wrapperIZN2at6native12_GLOBAL__N_124unique_dim_cuda_templateIbEESt5tupleIJNSH_6TensorESM_SM_EERKSM_lbbbEUlllE0_EEPmJS6_EEE10hipError_tPvRmT3_T4_T5_T6_T7_T9_mT8_P12ihipStream_tbDpT10_ENKUlT_T0_E_clISt17integral_constantIbLb0EES1B_IbLb1EEEEDaS17_S18_EUlS17_E_NS1_11comp_targetILNS1_3genE8ELNS1_11target_archE1030ELNS1_3gpuE2ELNS1_3repE0EEENS1_30default_config_static_selectorELNS0_4arch9wavefront6targetE0EEEvT1_
                                        ; -- End function
	.set _ZN7rocprim17ROCPRIM_400000_NS6detail17trampoline_kernelINS0_14default_configENS1_25partition_config_selectorILNS1_17partition_subalgoE8ElNS0_10empty_typeEbEEZZNS1_14partition_implILS5_8ELb0ES3_jPlPS6_PKS6_NS0_5tupleIJS9_S6_EEENSD_IJSA_SA_EEENS0_18inequality_wrapperIZN2at6native12_GLOBAL__N_124unique_dim_cuda_templateIbEESt5tupleIJNSH_6TensorESM_SM_EERKSM_lbbbEUlllE0_EEPmJS6_EEE10hipError_tPvRmT3_T4_T5_T6_T7_T9_mT8_P12ihipStream_tbDpT10_ENKUlT_T0_E_clISt17integral_constantIbLb0EES1B_IbLb1EEEEDaS17_S18_EUlS17_E_NS1_11comp_targetILNS1_3genE8ELNS1_11target_archE1030ELNS1_3gpuE2ELNS1_3repE0EEENS1_30default_config_static_selectorELNS0_4arch9wavefront6targetE0EEEvT1_.num_vgpr, 0
	.set _ZN7rocprim17ROCPRIM_400000_NS6detail17trampoline_kernelINS0_14default_configENS1_25partition_config_selectorILNS1_17partition_subalgoE8ElNS0_10empty_typeEbEEZZNS1_14partition_implILS5_8ELb0ES3_jPlPS6_PKS6_NS0_5tupleIJS9_S6_EEENSD_IJSA_SA_EEENS0_18inequality_wrapperIZN2at6native12_GLOBAL__N_124unique_dim_cuda_templateIbEESt5tupleIJNSH_6TensorESM_SM_EERKSM_lbbbEUlllE0_EEPmJS6_EEE10hipError_tPvRmT3_T4_T5_T6_T7_T9_mT8_P12ihipStream_tbDpT10_ENKUlT_T0_E_clISt17integral_constantIbLb0EES1B_IbLb1EEEEDaS17_S18_EUlS17_E_NS1_11comp_targetILNS1_3genE8ELNS1_11target_archE1030ELNS1_3gpuE2ELNS1_3repE0EEENS1_30default_config_static_selectorELNS0_4arch9wavefront6targetE0EEEvT1_.num_agpr, 0
	.set _ZN7rocprim17ROCPRIM_400000_NS6detail17trampoline_kernelINS0_14default_configENS1_25partition_config_selectorILNS1_17partition_subalgoE8ElNS0_10empty_typeEbEEZZNS1_14partition_implILS5_8ELb0ES3_jPlPS6_PKS6_NS0_5tupleIJS9_S6_EEENSD_IJSA_SA_EEENS0_18inequality_wrapperIZN2at6native12_GLOBAL__N_124unique_dim_cuda_templateIbEESt5tupleIJNSH_6TensorESM_SM_EERKSM_lbbbEUlllE0_EEPmJS6_EEE10hipError_tPvRmT3_T4_T5_T6_T7_T9_mT8_P12ihipStream_tbDpT10_ENKUlT_T0_E_clISt17integral_constantIbLb0EES1B_IbLb1EEEEDaS17_S18_EUlS17_E_NS1_11comp_targetILNS1_3genE8ELNS1_11target_archE1030ELNS1_3gpuE2ELNS1_3repE0EEENS1_30default_config_static_selectorELNS0_4arch9wavefront6targetE0EEEvT1_.numbered_sgpr, 0
	.set _ZN7rocprim17ROCPRIM_400000_NS6detail17trampoline_kernelINS0_14default_configENS1_25partition_config_selectorILNS1_17partition_subalgoE8ElNS0_10empty_typeEbEEZZNS1_14partition_implILS5_8ELb0ES3_jPlPS6_PKS6_NS0_5tupleIJS9_S6_EEENSD_IJSA_SA_EEENS0_18inequality_wrapperIZN2at6native12_GLOBAL__N_124unique_dim_cuda_templateIbEESt5tupleIJNSH_6TensorESM_SM_EERKSM_lbbbEUlllE0_EEPmJS6_EEE10hipError_tPvRmT3_T4_T5_T6_T7_T9_mT8_P12ihipStream_tbDpT10_ENKUlT_T0_E_clISt17integral_constantIbLb0EES1B_IbLb1EEEEDaS17_S18_EUlS17_E_NS1_11comp_targetILNS1_3genE8ELNS1_11target_archE1030ELNS1_3gpuE2ELNS1_3repE0EEENS1_30default_config_static_selectorELNS0_4arch9wavefront6targetE0EEEvT1_.num_named_barrier, 0
	.set _ZN7rocprim17ROCPRIM_400000_NS6detail17trampoline_kernelINS0_14default_configENS1_25partition_config_selectorILNS1_17partition_subalgoE8ElNS0_10empty_typeEbEEZZNS1_14partition_implILS5_8ELb0ES3_jPlPS6_PKS6_NS0_5tupleIJS9_S6_EEENSD_IJSA_SA_EEENS0_18inequality_wrapperIZN2at6native12_GLOBAL__N_124unique_dim_cuda_templateIbEESt5tupleIJNSH_6TensorESM_SM_EERKSM_lbbbEUlllE0_EEPmJS6_EEE10hipError_tPvRmT3_T4_T5_T6_T7_T9_mT8_P12ihipStream_tbDpT10_ENKUlT_T0_E_clISt17integral_constantIbLb0EES1B_IbLb1EEEEDaS17_S18_EUlS17_E_NS1_11comp_targetILNS1_3genE8ELNS1_11target_archE1030ELNS1_3gpuE2ELNS1_3repE0EEENS1_30default_config_static_selectorELNS0_4arch9wavefront6targetE0EEEvT1_.private_seg_size, 0
	.set _ZN7rocprim17ROCPRIM_400000_NS6detail17trampoline_kernelINS0_14default_configENS1_25partition_config_selectorILNS1_17partition_subalgoE8ElNS0_10empty_typeEbEEZZNS1_14partition_implILS5_8ELb0ES3_jPlPS6_PKS6_NS0_5tupleIJS9_S6_EEENSD_IJSA_SA_EEENS0_18inequality_wrapperIZN2at6native12_GLOBAL__N_124unique_dim_cuda_templateIbEESt5tupleIJNSH_6TensorESM_SM_EERKSM_lbbbEUlllE0_EEPmJS6_EEE10hipError_tPvRmT3_T4_T5_T6_T7_T9_mT8_P12ihipStream_tbDpT10_ENKUlT_T0_E_clISt17integral_constantIbLb0EES1B_IbLb1EEEEDaS17_S18_EUlS17_E_NS1_11comp_targetILNS1_3genE8ELNS1_11target_archE1030ELNS1_3gpuE2ELNS1_3repE0EEENS1_30default_config_static_selectorELNS0_4arch9wavefront6targetE0EEEvT1_.uses_vcc, 0
	.set _ZN7rocprim17ROCPRIM_400000_NS6detail17trampoline_kernelINS0_14default_configENS1_25partition_config_selectorILNS1_17partition_subalgoE8ElNS0_10empty_typeEbEEZZNS1_14partition_implILS5_8ELb0ES3_jPlPS6_PKS6_NS0_5tupleIJS9_S6_EEENSD_IJSA_SA_EEENS0_18inequality_wrapperIZN2at6native12_GLOBAL__N_124unique_dim_cuda_templateIbEESt5tupleIJNSH_6TensorESM_SM_EERKSM_lbbbEUlllE0_EEPmJS6_EEE10hipError_tPvRmT3_T4_T5_T6_T7_T9_mT8_P12ihipStream_tbDpT10_ENKUlT_T0_E_clISt17integral_constantIbLb0EES1B_IbLb1EEEEDaS17_S18_EUlS17_E_NS1_11comp_targetILNS1_3genE8ELNS1_11target_archE1030ELNS1_3gpuE2ELNS1_3repE0EEENS1_30default_config_static_selectorELNS0_4arch9wavefront6targetE0EEEvT1_.uses_flat_scratch, 0
	.set _ZN7rocprim17ROCPRIM_400000_NS6detail17trampoline_kernelINS0_14default_configENS1_25partition_config_selectorILNS1_17partition_subalgoE8ElNS0_10empty_typeEbEEZZNS1_14partition_implILS5_8ELb0ES3_jPlPS6_PKS6_NS0_5tupleIJS9_S6_EEENSD_IJSA_SA_EEENS0_18inequality_wrapperIZN2at6native12_GLOBAL__N_124unique_dim_cuda_templateIbEESt5tupleIJNSH_6TensorESM_SM_EERKSM_lbbbEUlllE0_EEPmJS6_EEE10hipError_tPvRmT3_T4_T5_T6_T7_T9_mT8_P12ihipStream_tbDpT10_ENKUlT_T0_E_clISt17integral_constantIbLb0EES1B_IbLb1EEEEDaS17_S18_EUlS17_E_NS1_11comp_targetILNS1_3genE8ELNS1_11target_archE1030ELNS1_3gpuE2ELNS1_3repE0EEENS1_30default_config_static_selectorELNS0_4arch9wavefront6targetE0EEEvT1_.has_dyn_sized_stack, 0
	.set _ZN7rocprim17ROCPRIM_400000_NS6detail17trampoline_kernelINS0_14default_configENS1_25partition_config_selectorILNS1_17partition_subalgoE8ElNS0_10empty_typeEbEEZZNS1_14partition_implILS5_8ELb0ES3_jPlPS6_PKS6_NS0_5tupleIJS9_S6_EEENSD_IJSA_SA_EEENS0_18inequality_wrapperIZN2at6native12_GLOBAL__N_124unique_dim_cuda_templateIbEESt5tupleIJNSH_6TensorESM_SM_EERKSM_lbbbEUlllE0_EEPmJS6_EEE10hipError_tPvRmT3_T4_T5_T6_T7_T9_mT8_P12ihipStream_tbDpT10_ENKUlT_T0_E_clISt17integral_constantIbLb0EES1B_IbLb1EEEEDaS17_S18_EUlS17_E_NS1_11comp_targetILNS1_3genE8ELNS1_11target_archE1030ELNS1_3gpuE2ELNS1_3repE0EEENS1_30default_config_static_selectorELNS0_4arch9wavefront6targetE0EEEvT1_.has_recursion, 0
	.set _ZN7rocprim17ROCPRIM_400000_NS6detail17trampoline_kernelINS0_14default_configENS1_25partition_config_selectorILNS1_17partition_subalgoE8ElNS0_10empty_typeEbEEZZNS1_14partition_implILS5_8ELb0ES3_jPlPS6_PKS6_NS0_5tupleIJS9_S6_EEENSD_IJSA_SA_EEENS0_18inequality_wrapperIZN2at6native12_GLOBAL__N_124unique_dim_cuda_templateIbEESt5tupleIJNSH_6TensorESM_SM_EERKSM_lbbbEUlllE0_EEPmJS6_EEE10hipError_tPvRmT3_T4_T5_T6_T7_T9_mT8_P12ihipStream_tbDpT10_ENKUlT_T0_E_clISt17integral_constantIbLb0EES1B_IbLb1EEEEDaS17_S18_EUlS17_E_NS1_11comp_targetILNS1_3genE8ELNS1_11target_archE1030ELNS1_3gpuE2ELNS1_3repE0EEENS1_30default_config_static_selectorELNS0_4arch9wavefront6targetE0EEEvT1_.has_indirect_call, 0
	.section	.AMDGPU.csdata,"",@progbits
; Kernel info:
; codeLenInByte = 0
; TotalNumSgprs: 0
; NumVgprs: 0
; ScratchSize: 0
; MemoryBound: 0
; FloatMode: 240
; IeeeMode: 1
; LDSByteSize: 0 bytes/workgroup (compile time only)
; SGPRBlocks: 0
; VGPRBlocks: 0
; NumSGPRsForWavesPerEU: 1
; NumVGPRsForWavesPerEU: 1
; NamedBarCnt: 0
; Occupancy: 16
; WaveLimiterHint : 0
; COMPUTE_PGM_RSRC2:SCRATCH_EN: 0
; COMPUTE_PGM_RSRC2:USER_SGPR: 2
; COMPUTE_PGM_RSRC2:TRAP_HANDLER: 0
; COMPUTE_PGM_RSRC2:TGID_X_EN: 1
; COMPUTE_PGM_RSRC2:TGID_Y_EN: 0
; COMPUTE_PGM_RSRC2:TGID_Z_EN: 0
; COMPUTE_PGM_RSRC2:TIDIG_COMP_CNT: 0
	.section	.text._ZN7rocprim17ROCPRIM_400000_NS6detail17trampoline_kernelINS0_14default_configENS1_25partition_config_selectorILNS1_17partition_subalgoE9EllbEEZZNS1_14partition_implILS5_9ELb0ES3_jPlS8_PNS0_10empty_typeENS0_5tupleIJS8_S9_EEENSB_IJS8_SA_EEENS0_18inequality_wrapperIZN2at6native12_GLOBAL__N_124unique_dim_cuda_templateIbEESt5tupleIJNSF_6TensorESK_SK_EERKSK_lbbbEUlllE0_EEPmJS9_EEE10hipError_tPvRmT3_T4_T5_T6_T7_T9_mT8_P12ihipStream_tbDpT10_ENKUlT_T0_E_clISt17integral_constantIbLb0EES1A_EEDaS15_S16_EUlS15_E_NS1_11comp_targetILNS1_3genE0ELNS1_11target_archE4294967295ELNS1_3gpuE0ELNS1_3repE0EEENS1_30default_config_static_selectorELNS0_4arch9wavefront6targetE0EEEvT1_,"axG",@progbits,_ZN7rocprim17ROCPRIM_400000_NS6detail17trampoline_kernelINS0_14default_configENS1_25partition_config_selectorILNS1_17partition_subalgoE9EllbEEZZNS1_14partition_implILS5_9ELb0ES3_jPlS8_PNS0_10empty_typeENS0_5tupleIJS8_S9_EEENSB_IJS8_SA_EEENS0_18inequality_wrapperIZN2at6native12_GLOBAL__N_124unique_dim_cuda_templateIbEESt5tupleIJNSF_6TensorESK_SK_EERKSK_lbbbEUlllE0_EEPmJS9_EEE10hipError_tPvRmT3_T4_T5_T6_T7_T9_mT8_P12ihipStream_tbDpT10_ENKUlT_T0_E_clISt17integral_constantIbLb0EES1A_EEDaS15_S16_EUlS15_E_NS1_11comp_targetILNS1_3genE0ELNS1_11target_archE4294967295ELNS1_3gpuE0ELNS1_3repE0EEENS1_30default_config_static_selectorELNS0_4arch9wavefront6targetE0EEEvT1_,comdat
	.globl	_ZN7rocprim17ROCPRIM_400000_NS6detail17trampoline_kernelINS0_14default_configENS1_25partition_config_selectorILNS1_17partition_subalgoE9EllbEEZZNS1_14partition_implILS5_9ELb0ES3_jPlS8_PNS0_10empty_typeENS0_5tupleIJS8_S9_EEENSB_IJS8_SA_EEENS0_18inequality_wrapperIZN2at6native12_GLOBAL__N_124unique_dim_cuda_templateIbEESt5tupleIJNSF_6TensorESK_SK_EERKSK_lbbbEUlllE0_EEPmJS9_EEE10hipError_tPvRmT3_T4_T5_T6_T7_T9_mT8_P12ihipStream_tbDpT10_ENKUlT_T0_E_clISt17integral_constantIbLb0EES1A_EEDaS15_S16_EUlS15_E_NS1_11comp_targetILNS1_3genE0ELNS1_11target_archE4294967295ELNS1_3gpuE0ELNS1_3repE0EEENS1_30default_config_static_selectorELNS0_4arch9wavefront6targetE0EEEvT1_ ; -- Begin function _ZN7rocprim17ROCPRIM_400000_NS6detail17trampoline_kernelINS0_14default_configENS1_25partition_config_selectorILNS1_17partition_subalgoE9EllbEEZZNS1_14partition_implILS5_9ELb0ES3_jPlS8_PNS0_10empty_typeENS0_5tupleIJS8_S9_EEENSB_IJS8_SA_EEENS0_18inequality_wrapperIZN2at6native12_GLOBAL__N_124unique_dim_cuda_templateIbEESt5tupleIJNSF_6TensorESK_SK_EERKSK_lbbbEUlllE0_EEPmJS9_EEE10hipError_tPvRmT3_T4_T5_T6_T7_T9_mT8_P12ihipStream_tbDpT10_ENKUlT_T0_E_clISt17integral_constantIbLb0EES1A_EEDaS15_S16_EUlS15_E_NS1_11comp_targetILNS1_3genE0ELNS1_11target_archE4294967295ELNS1_3gpuE0ELNS1_3repE0EEENS1_30default_config_static_selectorELNS0_4arch9wavefront6targetE0EEEvT1_
	.p2align	8
	.type	_ZN7rocprim17ROCPRIM_400000_NS6detail17trampoline_kernelINS0_14default_configENS1_25partition_config_selectorILNS1_17partition_subalgoE9EllbEEZZNS1_14partition_implILS5_9ELb0ES3_jPlS8_PNS0_10empty_typeENS0_5tupleIJS8_S9_EEENSB_IJS8_SA_EEENS0_18inequality_wrapperIZN2at6native12_GLOBAL__N_124unique_dim_cuda_templateIbEESt5tupleIJNSF_6TensorESK_SK_EERKSK_lbbbEUlllE0_EEPmJS9_EEE10hipError_tPvRmT3_T4_T5_T6_T7_T9_mT8_P12ihipStream_tbDpT10_ENKUlT_T0_E_clISt17integral_constantIbLb0EES1A_EEDaS15_S16_EUlS15_E_NS1_11comp_targetILNS1_3genE0ELNS1_11target_archE4294967295ELNS1_3gpuE0ELNS1_3repE0EEENS1_30default_config_static_selectorELNS0_4arch9wavefront6targetE0EEEvT1_,@function
_ZN7rocprim17ROCPRIM_400000_NS6detail17trampoline_kernelINS0_14default_configENS1_25partition_config_selectorILNS1_17partition_subalgoE9EllbEEZZNS1_14partition_implILS5_9ELb0ES3_jPlS8_PNS0_10empty_typeENS0_5tupleIJS8_S9_EEENSB_IJS8_SA_EEENS0_18inequality_wrapperIZN2at6native12_GLOBAL__N_124unique_dim_cuda_templateIbEESt5tupleIJNSF_6TensorESK_SK_EERKSK_lbbbEUlllE0_EEPmJS9_EEE10hipError_tPvRmT3_T4_T5_T6_T7_T9_mT8_P12ihipStream_tbDpT10_ENKUlT_T0_E_clISt17integral_constantIbLb0EES1A_EEDaS15_S16_EUlS15_E_NS1_11comp_targetILNS1_3genE0ELNS1_11target_archE4294967295ELNS1_3gpuE0ELNS1_3repE0EEENS1_30default_config_static_selectorELNS0_4arch9wavefront6targetE0EEEvT1_: ; @_ZN7rocprim17ROCPRIM_400000_NS6detail17trampoline_kernelINS0_14default_configENS1_25partition_config_selectorILNS1_17partition_subalgoE9EllbEEZZNS1_14partition_implILS5_9ELb0ES3_jPlS8_PNS0_10empty_typeENS0_5tupleIJS8_S9_EEENSB_IJS8_SA_EEENS0_18inequality_wrapperIZN2at6native12_GLOBAL__N_124unique_dim_cuda_templateIbEESt5tupleIJNSF_6TensorESK_SK_EERKSK_lbbbEUlllE0_EEPmJS9_EEE10hipError_tPvRmT3_T4_T5_T6_T7_T9_mT8_P12ihipStream_tbDpT10_ENKUlT_T0_E_clISt17integral_constantIbLb0EES1A_EEDaS15_S16_EUlS15_E_NS1_11comp_targetILNS1_3genE0ELNS1_11target_archE4294967295ELNS1_3gpuE0ELNS1_3repE0EEENS1_30default_config_static_selectorELNS0_4arch9wavefront6targetE0EEEvT1_
; %bb.0:
	s_clause 0x2
	s_load_b128 s[4:7], s[0:1], 0x8
	s_load_b256 s[12:19], s[0:1], 0x40
	s_load_b32 s2, s[0:1], 0x70
	s_bfe_u32 s10, ttmp6, 0x4000c
	s_and_b32 s8, ttmp6, 15
	s_add_co_i32 s10, s10, 1
	s_load_b64 s[20:21], s[0:1], 0x18
	s_mul_i32 s10, ttmp9, s10
	s_getreg_b32 s24, hwreg(HW_REG_IB_STS2, 6, 4)
	s_add_co_i32 s10, s8, s10
	s_mov_b32 s9, 0
	v_dual_mov_b32 v1, v0 :: v_dual_lshlrev_b32 v34, 3, v0
	s_mov_b32 s11, s9
	s_mov_b32 s3, -1
	s_wait_kmcnt 0x0
	s_lshl_b64 s[22:23], s[6:7], 3
	s_load_b64 s[14:15], s[14:15], 0x0
	s_mul_i32 s8, s2, 0x280
	s_cmp_eq_u32 s24, 0
	s_add_nc_u64 s[24:25], s[6:7], s[8:9]
	s_cselect_b32 s26, ttmp9, s10
	s_add_co_i32 s8, s8, s6
	v_cmp_le_u64_e64 s9, s[16:17], s[24:25]
	s_sub_co_i32 s27, s16, s8
	s_add_co_i32 s2, s2, -1
	s_addk_co_i32 s27, 0x280
	s_cmp_eq_u32 s26, s2
	s_mul_i32 s10, s26, 0x280
	s_cselect_b32 s24, -1, 0
	s_add_nc_u64 s[4:5], s[4:5], s[22:23]
	s_and_b32 s28, s24, s9
	s_lshl_b64 s[16:17], s[10:11], 3
	s_xor_b32 s25, s28, -1
	s_add_nc_u64 s[4:5], s[4:5], s[16:17]
	s_and_b32 vcc_lo, exec_lo, s25
	s_cbranch_vccz .LBB1083_2
; %bb.1:
	s_clause 0x4
	global_load_b64 v[2:3], v0, s[4:5] scale_offset
	global_load_b64 v[4:5], v0, s[4:5] offset:1024 scale_offset
	global_load_b64 v[6:7], v0, s[4:5] offset:2048 scale_offset
	;; [unrolled: 1-line block ×4, first 2 shown]
	v_lshlrev_b32_e32 v12, 3, v0
	s_mov_b32 s3, 0
	s_wait_loadcnt 0x3
	ds_store_2addr_stride64_b64 v12, v[2:3], v[4:5] offset1:2
	s_wait_loadcnt 0x1
	ds_store_2addr_stride64_b64 v12, v[6:7], v[8:9] offset0:4 offset1:6
	s_wait_loadcnt 0x0
	ds_store_b64 v12, v[10:11] offset:4096
	s_wait_dscnt 0x0
	s_barrier_signal -1
	s_barrier_wait -1
.LBB1083_2:
	s_load_b128 s[8:11], s[0:1], 0x60
	v_cmp_gt_u32_e64 s2, s27, v0
	s_and_not1_b32 vcc_lo, exec_lo, s3
	s_cbranch_vccnz .LBB1083_14
; %bb.3:
	v_mov_b32_e32 v2, 0
	s_delay_alu instid0(VALU_DEP_1)
	v_dual_mov_b32 v3, v2 :: v_dual_mov_b32 v4, v2
	v_dual_mov_b32 v5, v2 :: v_dual_mov_b32 v6, v2
	v_dual_mov_b32 v7, v2 :: v_dual_mov_b32 v8, v2
	v_dual_mov_b32 v9, v2 :: v_dual_mov_b32 v10, v2
	v_mov_b32_e32 v11, v2
	s_and_saveexec_b32 s3, s2
	s_cbranch_execz .LBB1083_5
; %bb.4:
	global_load_b64 v[4:5], v0, s[4:5] scale_offset
	v_dual_mov_b32 v6, v2 :: v_dual_mov_b32 v7, v2
	v_dual_mov_b32 v8, v2 :: v_dual_mov_b32 v9, v2
	;; [unrolled: 1-line block ×4, first 2 shown]
	s_wait_loadcnt 0x0
	v_mov_b64_e32 v[2:3], v[4:5]
	v_mov_b64_e32 v[4:5], v[6:7]
	;; [unrolled: 1-line block ×8, first 2 shown]
.LBB1083_5:
	s_or_b32 exec_lo, exec_lo, s3
	v_or_b32_e32 v12, 0x80, v0
	s_mov_b32 s2, exec_lo
	s_delay_alu instid0(VALU_DEP_1)
	v_cmpx_gt_u32_e64 s27, v12
	s_cbranch_execz .LBB1083_7
; %bb.6:
	global_load_b64 v[4:5], v0, s[4:5] offset:1024 scale_offset
.LBB1083_7:
	s_wait_xcnt 0x0
	s_or_b32 exec_lo, exec_lo, s2
	v_or_b32_e32 v12, 0x100, v0
	s_mov_b32 s2, exec_lo
	s_delay_alu instid0(VALU_DEP_1)
	v_cmpx_gt_u32_e64 s27, v12
	s_cbranch_execz .LBB1083_9
; %bb.8:
	global_load_b64 v[6:7], v0, s[4:5] offset:2048 scale_offset
.LBB1083_9:
	s_wait_xcnt 0x0
	;; [unrolled: 10-line block ×4, first 2 shown]
	s_or_b32 exec_lo, exec_lo, s2
	v_lshlrev_b32_e32 v12, 3, v0
	s_wait_loadcnt 0x0
	ds_store_2addr_stride64_b64 v12, v[2:3], v[4:5] offset1:2
	ds_store_2addr_stride64_b64 v12, v[6:7], v[8:9] offset0:4 offset1:6
	ds_store_b64 v12, v[10:11] offset:4096
	s_wait_dscnt 0x0
	s_barrier_signal -1
	s_barrier_wait -1
.LBB1083_14:
	v_mul_u32_u24_e32 v30, 5, v0
	s_add_nc_u64 s[2:3], s[20:21], s[22:23]
	s_and_b32 vcc_lo, exec_lo, s25
	s_add_nc_u64 s[2:3], s[2:3], s[16:17]
	s_delay_alu instid0(VALU_DEP_1)
	v_lshlrev_b32_e32 v28, 3, v30
	s_mov_b32 s16, -1
	ds_load_2addr_b64 v[14:17], v28 offset1:1
	ds_load_2addr_b64 v[10:13], v28 offset0:2 offset1:3
	ds_load_b64 v[20:21], v28 offset:32
	s_wait_dscnt 0x0
	s_barrier_signal -1
	s_barrier_wait -1
	s_cbranch_vccz .LBB1083_16
; %bb.15:
	s_clause 0x4
	global_load_b64 v[2:3], v0, s[2:3] scale_offset
	global_load_b64 v[4:5], v0, s[2:3] offset:1024 scale_offset
	global_load_b64 v[6:7], v0, s[2:3] offset:2048 scale_offset
	;; [unrolled: 1-line block ×4, first 2 shown]
	v_lshlrev_b32_e32 v22, 3, v0
	s_mov_b32 s16, 0
	s_wait_loadcnt 0x3
	ds_store_2addr_stride64_b64 v22, v[2:3], v[4:5] offset1:2
	s_wait_loadcnt 0x1
	ds_store_2addr_stride64_b64 v22, v[6:7], v[8:9] offset0:4 offset1:6
	s_wait_loadcnt 0x0
	ds_store_b64 v22, v[18:19] offset:4096
	s_wait_dscnt 0x0
	s_barrier_signal -1
	s_barrier_wait -1
.LBB1083_16:
	s_and_not1_b32 vcc_lo, exec_lo, s16
	s_cbranch_vccnz .LBB1083_28
; %bb.17:
	s_mov_b32 s16, exec_lo
                                        ; implicit-def: $vgpr2_vgpr3
	v_cmpx_gt_u32_e64 s27, v0
	s_cbranch_execz .LBB1083_19
; %bb.18:
	global_load_b64 v[2:3], v0, s[2:3] scale_offset
.LBB1083_19:
	s_wait_xcnt 0x0
	s_or_b32 exec_lo, exec_lo, s16
	v_or_b32_e32 v4, 0x80, v0
	s_delay_alu instid0(VALU_DEP_1)
	v_cmp_gt_u32_e32 vcc_lo, s27, v4
                                        ; implicit-def: $vgpr4_vgpr5
	s_and_saveexec_b32 s16, vcc_lo
	s_cbranch_execz .LBB1083_21
; %bb.20:
	global_load_b64 v[4:5], v0, s[2:3] offset:1024 scale_offset
.LBB1083_21:
	s_wait_xcnt 0x0
	s_or_b32 exec_lo, exec_lo, s16
	v_or_b32_e32 v6, 0x100, v0
	s_delay_alu instid0(VALU_DEP_1)
	v_cmp_gt_u32_e32 vcc_lo, s27, v6
                                        ; implicit-def: $vgpr6_vgpr7
	s_and_saveexec_b32 s16, vcc_lo
	s_cbranch_execz .LBB1083_23
; %bb.22:
	global_load_b64 v[6:7], v0, s[2:3] offset:2048 scale_offset
.LBB1083_23:
	s_wait_xcnt 0x0
	s_or_b32 exec_lo, exec_lo, s16
	v_or_b32_e32 v8, 0x180, v0
	s_delay_alu instid0(VALU_DEP_1)
	v_cmp_gt_u32_e32 vcc_lo, s27, v8
                                        ; implicit-def: $vgpr8_vgpr9
	s_and_saveexec_b32 s16, vcc_lo
	s_cbranch_execz .LBB1083_25
; %bb.24:
	global_load_b64 v[8:9], v0, s[2:3] offset:3072 scale_offset
.LBB1083_25:
	s_wait_xcnt 0x0
	s_or_b32 exec_lo, exec_lo, s16
	v_or_b32_e32 v18, 0x200, v0
	s_delay_alu instid0(VALU_DEP_1)
	v_cmp_gt_u32_e32 vcc_lo, s27, v18
                                        ; implicit-def: $vgpr18_vgpr19
	s_and_saveexec_b32 s16, vcc_lo
	s_cbranch_execz .LBB1083_27
; %bb.26:
	global_load_b64 v[18:19], v0, s[2:3] offset:4096 scale_offset
.LBB1083_27:
	s_wait_xcnt 0x0
	s_or_b32 exec_lo, exec_lo, s16
	v_lshlrev_b32_e32 v22, 5, v0
	s_delay_alu instid0(VALU_DEP_1)
	v_sub_nc_u32_e32 v22, v28, v22
	s_wait_loadcnt 0x0
	ds_store_2addr_stride64_b64 v22, v[2:3], v[4:5] offset1:2
	ds_store_2addr_stride64_b64 v22, v[6:7], v[8:9] offset0:4 offset1:6
	ds_store_b64 v22, v[18:19] offset:4096
	s_wait_dscnt 0x0
	s_barrier_signal -1
	s_barrier_wait -1
.LBB1083_28:
	ds_load_b64 v[18:19], v28 offset:32
	ds_load_2addr_b64 v[2:5], v28 offset0:2 offset1:3
	ds_load_2addr_b64 v[6:9], v28 offset1:1
	s_cmp_lg_u32 s26, 0
	v_cmp_lt_i64_e64 s21, s[18:19], 1
	s_cselect_b32 s20, -1, 0
	s_cmp_lg_u64 s[6:7], 0
	s_wait_dscnt 0x0
	s_cselect_b32 s2, -1, 0
	s_barrier_signal -1
	s_or_b32 s3, s20, s2
	v_cmp_gt_i64_e64 s2, s[18:19], 0
	s_and_b32 vcc_lo, exec_lo, s3
	s_mov_b32 s3, 0
	s_barrier_wait -1
	s_cbranch_vccz .LBB1083_37
; %bb.29:
	s_add_nc_u64 s[4:5], s[4:5], -8
	v_lshlrev_b32_e32 v29, 3, v0
	s_load_b64 s[4:5], s[4:5], 0x0
	s_and_b32 vcc_lo, exec_lo, s25
	ds_store_b64 v29, v[20:21]
	s_cbranch_vccz .LBB1083_39
; %bb.30:
	v_cndmask_b32_e64 v31, 0, 1, s2
	s_and_not1_b32 vcc_lo, exec_lo, s2
	s_cbranch_vccnz .LBB1083_40
; %bb.31:
	s_wait_kmcnt 0x0
	v_mad_nc_u64_u32 v[22:23], v12, s18, s[8:9]
	v_mad_nc_u64_u32 v[24:25], v20, s18, s[8:9]
	s_add_nc_u64 s[6:7], s[18:19], -1
                                        ; implicit-def: $sgpr22
	s_delay_alu instid0(SALU_CYCLE_1) | instskip(NEXT) | instid1(VALU_DEP_2)
	s_mov_b64 s[16:17], s[6:7]
	v_mad_u32 v23, v13, s18, v23
	s_delay_alu instid0(VALU_DEP_2) | instskip(NEXT) | instid1(VALU_DEP_2)
	v_mad_u32 v25, v21, s18, v25
	v_mad_u32 v23, v12, s19, v23
	s_delay_alu instid0(VALU_DEP_2) | instskip(NEXT) | instid1(VALU_DEP_2)
	v_mad_u32 v25, v20, s19, v25
	v_mov_b64_e32 v[26:27], v[22:23]
.LBB1083_32:                            ; =>This Inner Loop Header: Depth=1
	global_load_u8 v32, v[26:27], off
	global_load_u8 v33, v[24:25], off
	s_wait_xcnt 0x1
	v_add_nc_u64_e32 v[26:27], 1, v[26:27]
	s_wait_xcnt 0x0
	v_add_nc_u64_e32 v[24:25], 1, v[24:25]
	s_wait_loadcnt 0x1
	v_cmp_ne_u16_e32 vcc_lo, 0, v32
	s_wait_loadcnt 0x0
	v_cmp_ne_u16_e64 s2, 0, v33
	s_xor_b32 s2, vcc_lo, s2
	s_cmp_eq_u64 s[16:17], 0
	s_add_nc_u64 s[16:17], s[16:17], -1
	s_cselect_b32 s23, -1, 0
	s_delay_alu instid0(SALU_CYCLE_1) | instskip(NEXT) | instid1(SALU_CYCLE_1)
	s_or_b32 s23, s2, s23
	s_and_b32 s23, exec_lo, s23
	s_delay_alu instid0(SALU_CYCLE_1) | instskip(SKIP_2) | instid1(SALU_CYCLE_1)
	s_or_b32 s3, s23, s3
	s_and_not1_b32 s22, s22, exec_lo
	s_and_b32 s2, s2, exec_lo
	s_or_b32 s22, s22, s2
	s_and_not1_b32 exec_lo, exec_lo, s3
	s_cbranch_execnz .LBB1083_32
; %bb.33:
	s_or_b32 exec_lo, exec_lo, s3
	v_mad_nc_u64_u32 v[24:25], v10, s18, s[8:9]
	s_mov_b32 s16, 0
                                        ; implicit-def: $sgpr3
	s_delay_alu instid0(VALU_DEP_1) | instskip(NEXT) | instid1(VALU_DEP_1)
	v_mad_u32 v25, v11, s18, v25
	v_mad_u32 v25, v10, s19, v25
.LBB1083_34:                            ; =>This Inner Loop Header: Depth=1
	global_load_u8 v26, v[24:25], off
	global_load_u8 v27, v[22:23], off
	s_wait_xcnt 0x1
	v_add_nc_u64_e32 v[24:25], 1, v[24:25]
	s_wait_xcnt 0x0
	v_add_nc_u64_e32 v[22:23], 1, v[22:23]
	s_wait_loadcnt 0x1
	v_cmp_ne_u16_e32 vcc_lo, 0, v26
	s_wait_loadcnt 0x0
	v_cmp_ne_u16_e64 s2, 0, v27
	s_xor_b32 s2, vcc_lo, s2
	s_cmp_eq_u64 s[6:7], 0
	s_add_nc_u64 s[6:7], s[6:7], -1
	s_cselect_b32 s17, -1, 0
	s_delay_alu instid0(SALU_CYCLE_1) | instskip(NEXT) | instid1(SALU_CYCLE_1)
	s_or_b32 s17, s2, s17
	s_and_b32 s17, exec_lo, s17
	s_delay_alu instid0(SALU_CYCLE_1) | instskip(SKIP_2) | instid1(SALU_CYCLE_1)
	s_or_b32 s16, s17, s16
	s_and_not1_b32 s3, s3, exec_lo
	s_and_b32 s2, s2, exec_lo
	s_or_b32 s3, s3, s2
	s_and_not1_b32 exec_lo, exec_lo, s16
	s_cbranch_execnz .LBB1083_34
; %bb.35:
	s_or_b32 exec_lo, exec_lo, s16
	v_cndmask_b32_e64 v35, 0, 1, s22
	v_cmp_ne_u32_e32 vcc_lo, 1, v31
	s_cbranch_vccz .LBB1083_41
.LBB1083_36:
	v_mov_b32_e32 v22, 0
	s_mov_b32 s16, 0
	s_branch .LBB1083_46
.LBB1083_37:
                                        ; implicit-def: $sgpr17
                                        ; implicit-def: $vgpr35
                                        ; implicit-def: $vgpr25
	s_branch .LBB1083_77
.LBB1083_38:
                                        ; implicit-def: $vgpr24
                                        ; implicit-def: $vgpr23
                                        ; implicit-def: $vgpr36
                                        ; implicit-def: $vgpr22
	s_branch .LBB1083_122
.LBB1083_39:
                                        ; implicit-def: $sgpr17
                                        ; implicit-def: $vgpr35
                                        ; implicit-def: $vgpr25
	s_cbranch_execnz .LBB1083_53
	s_branch .LBB1083_76
.LBB1083_40:
	v_mov_b32_e32 v35, 0
	s_delay_alu instid0(VALU_DEP_2)
	v_cmp_ne_u32_e32 vcc_lo, 1, v31
	s_cbranch_vccnz .LBB1083_36
.LBB1083_41:
	s_wait_kmcnt 0x0
	v_mad_nc_u64_u32 v[22:23], v16, s18, s[8:9]
	v_mad_nc_u64_u32 v[24:25], v10, s18, s[8:9]
	s_add_nc_u64 s[6:7], s[18:19], -1
	s_mov_b32 s23, 0
	s_mov_b64 s[16:17], s[6:7]
                                        ; implicit-def: $sgpr22
	s_delay_alu instid0(VALU_DEP_2) | instskip(NEXT) | instid1(VALU_DEP_2)
	v_mad_u32 v23, v17, s18, v23
	v_mad_u32 v25, v11, s18, v25
	s_delay_alu instid0(VALU_DEP_2) | instskip(NEXT) | instid1(VALU_DEP_2)
	v_mad_u32 v23, v16, s19, v23
	v_mad_u32 v25, v10, s19, v25
	s_delay_alu instid0(VALU_DEP_2)
	v_mov_b64_e32 v[26:27], v[22:23]
.LBB1083_42:                            ; =>This Inner Loop Header: Depth=1
	global_load_u8 v32, v[26:27], off
	global_load_u8 v33, v[24:25], off
	s_wait_xcnt 0x1
	v_add_nc_u64_e32 v[26:27], 1, v[26:27]
	s_wait_xcnt 0x0
	v_add_nc_u64_e32 v[24:25], 1, v[24:25]
	s_wait_loadcnt 0x1
	v_cmp_ne_u16_e32 vcc_lo, 0, v32
	s_wait_loadcnt 0x0
	v_cmp_ne_u16_e64 s2, 0, v33
	s_xor_b32 s2, vcc_lo, s2
	s_cmp_eq_u64 s[16:17], 0
	s_add_nc_u64 s[16:17], s[16:17], -1
	s_cselect_b32 s29, -1, 0
	s_delay_alu instid0(SALU_CYCLE_1) | instskip(NEXT) | instid1(SALU_CYCLE_1)
	s_or_b32 s29, s2, s29
	s_and_b32 s29, exec_lo, s29
	s_delay_alu instid0(SALU_CYCLE_1) | instskip(SKIP_2) | instid1(SALU_CYCLE_1)
	s_or_b32 s23, s29, s23
	s_and_not1_b32 s22, s22, exec_lo
	s_and_b32 s2, s2, exec_lo
	s_or_b32 s22, s22, s2
	s_and_not1_b32 exec_lo, exec_lo, s23
	s_cbranch_execnz .LBB1083_42
; %bb.43:
	s_or_b32 exec_lo, exec_lo, s23
	v_mad_nc_u64_u32 v[24:25], v14, s18, s[8:9]
	s_mov_b32 s17, 0
                                        ; implicit-def: $sgpr16
	s_delay_alu instid0(VALU_DEP_1) | instskip(NEXT) | instid1(VALU_DEP_1)
	v_mad_u32 v25, v15, s18, v25
	v_mad_u32 v25, v14, s19, v25
.LBB1083_44:                            ; =>This Inner Loop Header: Depth=1
	global_load_u8 v26, v[24:25], off
	global_load_u8 v27, v[22:23], off
	s_wait_xcnt 0x1
	v_add_nc_u64_e32 v[24:25], 1, v[24:25]
	s_wait_xcnt 0x0
	v_add_nc_u64_e32 v[22:23], 1, v[22:23]
	s_wait_loadcnt 0x1
	v_cmp_ne_u16_e32 vcc_lo, 0, v26
	s_wait_loadcnt 0x0
	v_cmp_ne_u16_e64 s2, 0, v27
	s_xor_b32 s2, vcc_lo, s2
	s_cmp_eq_u64 s[6:7], 0
	s_add_nc_u64 s[6:7], s[6:7], -1
	s_cselect_b32 s23, -1, 0
	s_delay_alu instid0(SALU_CYCLE_1) | instskip(NEXT) | instid1(SALU_CYCLE_1)
	s_or_b32 s23, s2, s23
	s_and_b32 s23, exec_lo, s23
	s_delay_alu instid0(SALU_CYCLE_1) | instskip(SKIP_2) | instid1(SALU_CYCLE_1)
	s_or_b32 s17, s23, s17
	s_and_not1_b32 s16, s16, exec_lo
	s_and_b32 s2, s2, exec_lo
	s_or_b32 s16, s16, s2
	s_and_not1_b32 exec_lo, exec_lo, s17
	s_cbranch_execnz .LBB1083_44
; %bb.45:
	s_or_b32 exec_lo, exec_lo, s17
	v_cndmask_b32_e64 v22, 0, 1, s22
.LBB1083_46:
	s_wait_kmcnt 0x0
	v_mov_b64_e32 v[26:27], s[4:5]
	s_mov_b32 s17, 0
	s_mov_b32 s2, exec_lo
	s_wait_dscnt 0x0
	s_barrier_signal -1
	s_barrier_wait -1
	v_cmpx_ne_u32_e32 0, v0
; %bb.47:
	v_add_nc_u32_e32 v23, -8, v29
	ds_load_b64 v[26:27], v23
; %bb.48:
	s_or_b32 exec_lo, exec_lo, s2
	v_cndmask_b32_e64 v23, 0, 1, s3
	v_cndmask_b32_e64 v24, 0, 1, s16
	v_cmp_ne_u32_e32 vcc_lo, 1, v31
	s_delay_alu instid0(VALU_DEP_3) | instskip(NEXT) | instid1(VALU_DEP_3)
	v_lshlrev_b16 v23, 8, v23
	v_lshlrev_b16 v24, 8, v24
	s_delay_alu instid0(VALU_DEP_2) | instskip(NEXT) | instid1(VALU_DEP_2)
	v_or_b32_e32 v22, v22, v23
	v_and_b32_e32 v31, 0xffff, v24
	s_delay_alu instid0(VALU_DEP_2)
	v_lshlrev_b32_e32 v32, 16, v22
	s_cbranch_vccnz .LBB1083_52
; %bb.49:
	s_wait_dscnt 0x0
	v_mad_nc_u64_u32 v[22:23], v26, s18, s[8:9]
	v_mad_nc_u64_u32 v[24:25], v14, s18, s[8:9]
	s_add_nc_u64 s[6:7], s[18:19], -1
	s_mov_b32 s3, 0
                                        ; implicit-def: $sgpr17
	s_delay_alu instid0(VALU_DEP_2) | instskip(NEXT) | instid1(VALU_DEP_2)
	v_mad_u32 v23, v27, s18, v23
	v_mad_u32 v25, v15, s18, v25
	s_delay_alu instid0(VALU_DEP_2) | instskip(NEXT) | instid1(VALU_DEP_2)
	v_mad_u32 v23, v26, s19, v23
	v_mad_u32 v25, v14, s19, v25
.LBB1083_50:                            ; =>This Inner Loop Header: Depth=1
	global_load_u8 v26, v[22:23], off
	global_load_u8 v27, v[24:25], off
	s_wait_xcnt 0x1
	v_add_nc_u64_e32 v[22:23], 1, v[22:23]
	s_wait_xcnt 0x0
	v_add_nc_u64_e32 v[24:25], 1, v[24:25]
	s_wait_loadcnt 0x1
	v_cmp_ne_u16_e32 vcc_lo, 0, v26
	s_wait_loadcnt 0x0
	v_cmp_ne_u16_e64 s2, 0, v27
	s_xor_b32 s2, vcc_lo, s2
	s_cmp_eq_u64 s[6:7], 0
	s_add_nc_u64 s[6:7], s[6:7], -1
	s_cselect_b32 s16, -1, 0
	s_delay_alu instid0(SALU_CYCLE_1) | instskip(NEXT) | instid1(SALU_CYCLE_1)
	s_or_b32 s16, s2, s16
	s_and_b32 s16, exec_lo, s16
	s_delay_alu instid0(SALU_CYCLE_1) | instskip(SKIP_2) | instid1(SALU_CYCLE_1)
	s_or_b32 s3, s16, s3
	s_and_not1_b32 s16, s17, exec_lo
	s_and_b32 s2, s2, exec_lo
	s_or_b32 s17, s16, s2
	s_and_not1_b32 exec_lo, exec_lo, s3
	s_cbranch_execnz .LBB1083_50
; %bb.51:
	s_or_b32 exec_lo, exec_lo, s3
.LBB1083_52:
	s_delay_alu instid0(VALU_DEP_1)
	v_or_b32_e32 v25, v31, v32
	s_branch .LBB1083_76
.LBB1083_53:
	v_add_nc_u32_e32 v22, 4, v30
	s_xor_b32 s16, s21, -1
	s_mov_b32 s3, 0
	s_delay_alu instid0(VALU_DEP_1) | instskip(SKIP_1) | instid1(SALU_CYCLE_1)
	v_cmp_gt_u32_e32 vcc_lo, s27, v22
	s_and_b32 s2, vcc_lo, s16
	s_and_saveexec_b32 s17, s2
	s_cbranch_execz .LBB1083_57
; %bb.54:
	s_wait_kmcnt 0x0
	v_mad_nc_u64_u32 v[22:23], v12, s18, s[8:9]
	v_mad_nc_u64_u32 v[24:25], v20, s18, s[8:9]
	s_add_nc_u64 s[6:7], s[18:19], -1
                                        ; implicit-def: $sgpr21
	s_delay_alu instid0(VALU_DEP_2) | instskip(NEXT) | instid1(VALU_DEP_2)
	v_mad_u32 v23, v13, s18, v23
	v_mad_u32 v25, v21, s18, v25
	s_delay_alu instid0(VALU_DEP_2) | instskip(NEXT) | instid1(VALU_DEP_2)
	v_mad_u32 v23, v12, s19, v23
	v_mad_u32 v25, v20, s19, v25
.LBB1083_55:                            ; =>This Inner Loop Header: Depth=1
	s_wait_dscnt 0x0
	global_load_u8 v26, v[22:23], off
	global_load_u8 v27, v[24:25], off
	s_wait_xcnt 0x1
	v_add_nc_u64_e32 v[22:23], 1, v[22:23]
	s_wait_xcnt 0x0
	v_add_nc_u64_e32 v[24:25], 1, v[24:25]
	s_wait_loadcnt 0x1
	v_cmp_ne_u16_e32 vcc_lo, 0, v26
	s_wait_loadcnt 0x0
	v_cmp_ne_u16_e64 s2, 0, v27
	s_xor_b32 s2, vcc_lo, s2
	s_cmp_eq_u64 s[6:7], 0
	s_add_nc_u64 s[6:7], s[6:7], -1
	s_cselect_b32 s22, -1, 0
	s_delay_alu instid0(SALU_CYCLE_1) | instskip(NEXT) | instid1(SALU_CYCLE_1)
	s_or_b32 s22, s2, s22
	s_and_b32 s22, exec_lo, s22
	s_delay_alu instid0(SALU_CYCLE_1) | instskip(SKIP_2) | instid1(SALU_CYCLE_1)
	s_or_b32 s3, s22, s3
	s_and_not1_b32 s21, s21, exec_lo
	s_and_b32 s2, s2, exec_lo
	s_or_b32 s21, s21, s2
	s_and_not1_b32 exec_lo, exec_lo, s3
	s_cbranch_execnz .LBB1083_55
; %bb.56:
	s_or_b32 exec_lo, exec_lo, s3
	s_delay_alu instid0(SALU_CYCLE_1)
	s_and_b32 s3, s21, exec_lo
.LBB1083_57:
	s_or_b32 exec_lo, exec_lo, s17
	v_add_nc_u32_e32 v22, 3, v30
	s_mov_b32 s21, 0
	s_delay_alu instid0(VALU_DEP_1) | instskip(SKIP_1) | instid1(SALU_CYCLE_1)
	v_cmp_gt_u32_e32 vcc_lo, s27, v22
	s_and_b32 s2, vcc_lo, s16
	s_and_saveexec_b32 s17, s2
	s_cbranch_execz .LBB1083_61
; %bb.58:
	s_wait_kmcnt 0x0
	v_mad_nc_u64_u32 v[22:23], v10, s18, s[8:9]
	v_mad_nc_u64_u32 v[24:25], v12, s18, s[8:9]
	s_add_nc_u64 s[6:7], s[18:19], -1
                                        ; implicit-def: $sgpr22
	s_delay_alu instid0(VALU_DEP_2) | instskip(NEXT) | instid1(VALU_DEP_2)
	v_mad_u32 v23, v11, s18, v23
	v_mad_u32 v25, v13, s18, v25
	s_delay_alu instid0(VALU_DEP_2) | instskip(NEXT) | instid1(VALU_DEP_2)
	v_mad_u32 v23, v10, s19, v23
	v_mad_u32 v25, v12, s19, v25
.LBB1083_59:                            ; =>This Inner Loop Header: Depth=1
	s_wait_dscnt 0x0
	global_load_u8 v26, v[22:23], off
	global_load_u8 v27, v[24:25], off
	s_wait_xcnt 0x1
	v_add_nc_u64_e32 v[22:23], 1, v[22:23]
	s_wait_xcnt 0x0
	v_add_nc_u64_e32 v[24:25], 1, v[24:25]
	s_wait_loadcnt 0x1
	v_cmp_ne_u16_e32 vcc_lo, 0, v26
	s_wait_loadcnt 0x0
	v_cmp_ne_u16_e64 s2, 0, v27
	s_xor_b32 s2, vcc_lo, s2
	s_cmp_eq_u64 s[6:7], 0
	s_add_nc_u64 s[6:7], s[6:7], -1
	s_cselect_b32 s23, -1, 0
	s_delay_alu instid0(SALU_CYCLE_1) | instskip(NEXT) | instid1(SALU_CYCLE_1)
	s_or_b32 s23, s2, s23
	s_and_b32 s23, exec_lo, s23
	s_delay_alu instid0(SALU_CYCLE_1) | instskip(SKIP_2) | instid1(SALU_CYCLE_1)
	s_or_b32 s21, s23, s21
	s_and_not1_b32 s22, s22, exec_lo
	s_and_b32 s2, s2, exec_lo
	s_or_b32 s22, s22, s2
	s_and_not1_b32 exec_lo, exec_lo, s21
	s_cbranch_execnz .LBB1083_59
; %bb.60:
	s_or_b32 exec_lo, exec_lo, s21
	s_delay_alu instid0(SALU_CYCLE_1)
	s_and_b32 s21, s22, exec_lo
.LBB1083_61:
	s_or_b32 exec_lo, exec_lo, s17
	v_add_nc_u32_e32 v22, 2, v30
	s_mov_b32 s22, 0
	s_delay_alu instid0(VALU_DEP_1) | instskip(SKIP_1) | instid1(SALU_CYCLE_1)
	v_cmp_gt_u32_e32 vcc_lo, s27, v22
	s_and_b32 s2, vcc_lo, s16
	s_and_saveexec_b32 s17, s2
	s_cbranch_execz .LBB1083_65
; %bb.62:
	s_wait_kmcnt 0x0
	v_mad_nc_u64_u32 v[22:23], v16, s18, s[8:9]
	v_mad_nc_u64_u32 v[24:25], v10, s18, s[8:9]
	s_add_nc_u64 s[6:7], s[18:19], -1
                                        ; implicit-def: $sgpr23
	s_delay_alu instid0(VALU_DEP_2) | instskip(NEXT) | instid1(VALU_DEP_2)
	v_mad_u32 v23, v17, s18, v23
	v_mad_u32 v25, v11, s18, v25
	s_delay_alu instid0(VALU_DEP_2) | instskip(NEXT) | instid1(VALU_DEP_2)
	v_mad_u32 v23, v16, s19, v23
	v_mad_u32 v25, v10, s19, v25
.LBB1083_63:                            ; =>This Inner Loop Header: Depth=1
	s_wait_dscnt 0x0
	global_load_u8 v26, v[22:23], off
	global_load_u8 v27, v[24:25], off
	s_wait_xcnt 0x1
	v_add_nc_u64_e32 v[22:23], 1, v[22:23]
	s_wait_xcnt 0x0
	v_add_nc_u64_e32 v[24:25], 1, v[24:25]
	s_wait_loadcnt 0x1
	v_cmp_ne_u16_e32 vcc_lo, 0, v26
	s_wait_loadcnt 0x0
	v_cmp_ne_u16_e64 s2, 0, v27
	s_xor_b32 s2, vcc_lo, s2
	s_cmp_eq_u64 s[6:7], 0
	s_add_nc_u64 s[6:7], s[6:7], -1
	s_cselect_b32 s29, -1, 0
	s_delay_alu instid0(SALU_CYCLE_1) | instskip(NEXT) | instid1(SALU_CYCLE_1)
	s_or_b32 s29, s2, s29
	s_and_b32 s29, exec_lo, s29
	s_delay_alu instid0(SALU_CYCLE_1) | instskip(SKIP_2) | instid1(SALU_CYCLE_1)
	s_or_b32 s22, s29, s22
	s_and_not1_b32 s23, s23, exec_lo
	s_and_b32 s2, s2, exec_lo
	s_or_b32 s23, s23, s2
	s_and_not1_b32 exec_lo, exec_lo, s22
	s_cbranch_execnz .LBB1083_63
; %bb.64:
	s_or_b32 exec_lo, exec_lo, s22
	s_delay_alu instid0(SALU_CYCLE_1)
	s_and_b32 s22, s23, exec_lo
.LBB1083_65:
	s_or_b32 exec_lo, exec_lo, s17
	v_add_nc_u32_e32 v22, 1, v30
	s_mov_b32 s2, 0
	s_delay_alu instid0(VALU_DEP_1) | instskip(SKIP_1) | instid1(SALU_CYCLE_1)
	v_cmp_gt_u32_e32 vcc_lo, s27, v22
	s_and_b32 s6, vcc_lo, s16
	s_and_saveexec_b32 s17, s6
	s_cbranch_execz .LBB1083_69
; %bb.66:
	s_wait_kmcnt 0x0
	v_mad_nc_u64_u32 v[22:23], v14, s18, s[8:9]
	v_mad_nc_u64_u32 v[24:25], v16, s18, s[8:9]
	s_add_nc_u64 s[6:7], s[18:19], -1
	s_mov_b32 s23, 0
                                        ; implicit-def: $sgpr29
	s_delay_alu instid0(VALU_DEP_2) | instskip(NEXT) | instid1(VALU_DEP_2)
	v_mad_u32 v23, v15, s18, v23
	v_mad_u32 v25, v17, s18, v25
	s_delay_alu instid0(VALU_DEP_2) | instskip(NEXT) | instid1(VALU_DEP_2)
	v_mad_u32 v23, v14, s19, v23
	v_mad_u32 v25, v16, s19, v25
.LBB1083_67:                            ; =>This Inner Loop Header: Depth=1
	s_wait_dscnt 0x0
	global_load_u8 v26, v[22:23], off
	global_load_u8 v27, v[24:25], off
	s_wait_xcnt 0x1
	v_add_nc_u64_e32 v[22:23], 1, v[22:23]
	s_wait_xcnt 0x0
	v_add_nc_u64_e32 v[24:25], 1, v[24:25]
	s_wait_loadcnt 0x1
	v_cmp_ne_u16_e32 vcc_lo, 0, v26
	s_wait_loadcnt 0x0
	v_cmp_ne_u16_e64 s2, 0, v27
	s_xor_b32 s2, vcc_lo, s2
	s_cmp_eq_u64 s[6:7], 0
	s_add_nc_u64 s[6:7], s[6:7], -1
	s_cselect_b32 s30, -1, 0
	s_delay_alu instid0(SALU_CYCLE_1) | instskip(NEXT) | instid1(SALU_CYCLE_1)
	s_or_b32 s30, s2, s30
	s_and_b32 s30, exec_lo, s30
	s_delay_alu instid0(SALU_CYCLE_1) | instskip(SKIP_2) | instid1(SALU_CYCLE_1)
	s_or_b32 s23, s30, s23
	s_and_not1_b32 s29, s29, exec_lo
	s_and_b32 s2, s2, exec_lo
	s_or_b32 s29, s29, s2
	s_and_not1_b32 exec_lo, exec_lo, s23
	s_cbranch_execnz .LBB1083_67
; %bb.68:
	s_or_b32 exec_lo, exec_lo, s23
	s_delay_alu instid0(SALU_CYCLE_1)
	s_and_b32 s2, s29, exec_lo
.LBB1083_69:
	s_or_b32 exec_lo, exec_lo, s17
	s_wait_dscnt 0x0
	s_wait_kmcnt 0x0
	v_mov_b64_e32 v[26:27], s[4:5]
	s_mov_b32 s17, 0
	s_mov_b32 s4, exec_lo
	s_barrier_signal -1
	s_barrier_wait -1
	v_cmpx_ne_u32_e32 0, v0
; %bb.70:
	v_add_nc_u32_e32 v22, -8, v29
	ds_load_b64 v[26:27], v22
; %bb.71:
	s_or_b32 exec_lo, exec_lo, s4
	v_cndmask_b32_e64 v22, 0, 1, s21
	v_cndmask_b32_e64 v23, 0, 1, s22
	;; [unrolled: 1-line block ×3, first 2 shown]
	v_cmp_gt_u32_e32 vcc_lo, s27, v30
	s_delay_alu instid0(VALU_DEP_4) | instskip(NEXT) | instid1(VALU_DEP_3)
	v_lshlrev_b16 v22, 8, v22
	v_lshlrev_b16 v24, 8, v24
	s_and_b32 s2, vcc_lo, s16
	s_delay_alu instid0(VALU_DEP_2) | instskip(NEXT) | instid1(VALU_DEP_2)
	v_or_b32_e32 v22, v23, v22
	v_and_b32_e32 v29, 0xffff, v24
	s_delay_alu instid0(VALU_DEP_2)
	v_lshlrev_b32_e32 v31, 16, v22
	s_and_saveexec_b32 s6, s2
	s_cbranch_execz .LBB1083_75
; %bb.72:
	s_wait_dscnt 0x0
	v_mad_nc_u64_u32 v[22:23], v26, s18, s[8:9]
	v_mad_nc_u64_u32 v[24:25], v14, s18, s[8:9]
	s_add_nc_u64 s[4:5], s[18:19], -1
	s_mov_b32 s7, 0
                                        ; implicit-def: $sgpr16
	s_delay_alu instid0(VALU_DEP_2) | instskip(NEXT) | instid1(VALU_DEP_2)
	v_mad_u32 v23, v27, s18, v23
	v_mad_u32 v25, v15, s18, v25
	s_delay_alu instid0(VALU_DEP_2) | instskip(NEXT) | instid1(VALU_DEP_2)
	v_mad_u32 v23, v26, s19, v23
	v_mad_u32 v25, v14, s19, v25
.LBB1083_73:                            ; =>This Inner Loop Header: Depth=1
	global_load_u8 v26, v[22:23], off
	global_load_u8 v27, v[24:25], off
	s_wait_xcnt 0x1
	v_add_nc_u64_e32 v[22:23], 1, v[22:23]
	s_wait_xcnt 0x0
	v_add_nc_u64_e32 v[24:25], 1, v[24:25]
	s_wait_loadcnt 0x1
	v_cmp_ne_u16_e32 vcc_lo, 0, v26
	s_wait_loadcnt 0x0
	v_cmp_ne_u16_e64 s2, 0, v27
	s_xor_b32 s2, vcc_lo, s2
	s_cmp_eq_u64 s[4:5], 0
	s_add_nc_u64 s[4:5], s[4:5], -1
	s_cselect_b32 s17, -1, 0
	s_delay_alu instid0(SALU_CYCLE_1) | instskip(NEXT) | instid1(SALU_CYCLE_1)
	s_or_b32 s17, s2, s17
	s_and_b32 s17, exec_lo, s17
	s_delay_alu instid0(SALU_CYCLE_1) | instskip(SKIP_2) | instid1(SALU_CYCLE_1)
	s_or_b32 s7, s17, s7
	s_and_not1_b32 s16, s16, exec_lo
	s_and_b32 s2, s2, exec_lo
	s_or_b32 s16, s16, s2
	s_and_not1_b32 exec_lo, exec_lo, s7
	s_cbranch_execnz .LBB1083_73
; %bb.74:
	s_or_b32 exec_lo, exec_lo, s7
	s_delay_alu instid0(SALU_CYCLE_1)
	s_and_b32 s17, s16, exec_lo
.LBB1083_75:
	s_or_b32 exec_lo, exec_lo, s6
	v_cndmask_b32_e64 v35, 0, 1, s3
	v_or_b32_e32 v25, v29, v31
.LBB1083_76:
	s_mov_b32 s3, -1
	s_cbranch_execnz .LBB1083_38
.LBB1083_77:
	v_lshlrev_b32_e32 v22, 5, v0
	v_cmp_lt_i64_e64 s16, s[18:19], 1
	v_cmp_gt_i64_e64 s2, s[18:19], 0
	s_and_b32 vcc_lo, exec_lo, s25
	v_sub_nc_u32_e32 v31, v28, v22
	ds_store_b64 v31, v[20:21]
	s_cbranch_vccz .LBB1083_85
; %bb.78:
	v_cndmask_b32_e64 v28, 0, 1, s2
	s_and_not1_b32 vcc_lo, exec_lo, s2
	s_cbranch_vccnz .LBB1083_86
; %bb.79:
	s_wait_kmcnt 0x0
	v_mad_nc_u64_u32 v[22:23], v12, s18, s[8:9]
	v_mad_nc_u64_u32 v[24:25], v20, s18, s[8:9]
	s_add_nc_u64 s[4:5], s[18:19], -1
	s_mov_b32 s17, 0
	s_mov_b64 s[6:7], s[4:5]
                                        ; implicit-def: $sgpr21
	s_delay_alu instid0(VALU_DEP_2) | instskip(NEXT) | instid1(VALU_DEP_2)
	v_mad_u32 v23, v13, s18, v23
	v_mad_u32 v25, v21, s18, v25
	s_delay_alu instid0(VALU_DEP_2) | instskip(NEXT) | instid1(VALU_DEP_2)
	v_mad_u32 v23, v12, s19, v23
	v_mad_u32 v25, v20, s19, v25
	s_wait_dscnt 0x1
	s_delay_alu instid0(VALU_DEP_2)
	v_mov_b64_e32 v[26:27], v[22:23]
.LBB1083_80:                            ; =>This Inner Loop Header: Depth=1
	global_load_u8 v29, v[26:27], off
	global_load_u8 v32, v[24:25], off
	s_wait_xcnt 0x1
	v_add_nc_u64_e32 v[26:27], 1, v[26:27]
	s_wait_xcnt 0x0
	v_add_nc_u64_e32 v[24:25], 1, v[24:25]
	s_wait_loadcnt 0x1
	v_cmp_ne_u16_e32 vcc_lo, 0, v29
	s_wait_loadcnt 0x0
	v_cmp_ne_u16_e64 s2, 0, v32
	s_xor_b32 s2, vcc_lo, s2
	s_cmp_eq_u64 s[6:7], 0
	s_add_nc_u64 s[6:7], s[6:7], -1
	s_cselect_b32 s22, -1, 0
	s_delay_alu instid0(SALU_CYCLE_1) | instskip(NEXT) | instid1(SALU_CYCLE_1)
	s_or_b32 s22, s2, s22
	s_and_b32 s22, exec_lo, s22
	s_delay_alu instid0(SALU_CYCLE_1) | instskip(SKIP_2) | instid1(SALU_CYCLE_1)
	s_or_b32 s17, s22, s17
	s_and_not1_b32 s21, s21, exec_lo
	s_and_b32 s2, s2, exec_lo
	s_or_b32 s21, s21, s2
	s_and_not1_b32 exec_lo, exec_lo, s17
	s_cbranch_execnz .LBB1083_80
; %bb.81:
	s_or_b32 exec_lo, exec_lo, s17
	v_mad_nc_u64_u32 v[24:25], v10, s18, s[8:9]
	s_mov_b32 s6, 0
                                        ; implicit-def: $sgpr17
	s_delay_alu instid0(VALU_DEP_1) | instskip(NEXT) | instid1(VALU_DEP_1)
	v_mad_u32 v25, v11, s18, v25
	v_mad_u32 v25, v10, s19, v25
.LBB1083_82:                            ; =>This Inner Loop Header: Depth=1
	global_load_u8 v26, v[24:25], off
	global_load_u8 v27, v[22:23], off
	s_wait_xcnt 0x1
	v_add_nc_u64_e32 v[24:25], 1, v[24:25]
	s_wait_xcnt 0x0
	v_add_nc_u64_e32 v[22:23], 1, v[22:23]
	s_wait_loadcnt 0x1
	v_cmp_ne_u16_e32 vcc_lo, 0, v26
	s_wait_loadcnt 0x0
	v_cmp_ne_u16_e64 s2, 0, v27
	s_xor_b32 s2, vcc_lo, s2
	s_cmp_eq_u64 s[4:5], 0
	s_add_nc_u64 s[4:5], s[4:5], -1
	s_cselect_b32 s7, -1, 0
	s_delay_alu instid0(SALU_CYCLE_1) | instskip(NEXT) | instid1(SALU_CYCLE_1)
	s_or_b32 s7, s2, s7
	s_and_b32 s7, exec_lo, s7
	s_delay_alu instid0(SALU_CYCLE_1) | instskip(SKIP_2) | instid1(SALU_CYCLE_1)
	s_or_b32 s6, s7, s6
	s_and_not1_b32 s7, s17, exec_lo
	s_and_b32 s2, s2, exec_lo
	s_or_b32 s17, s7, s2
	s_and_not1_b32 exec_lo, exec_lo, s6
	s_cbranch_execnz .LBB1083_82
; %bb.83:
	s_or_b32 exec_lo, exec_lo, s6
	v_cndmask_b32_e64 v35, 0, 1, s21
	v_cmp_ne_u32_e32 vcc_lo, 1, v28
	s_cbranch_vccz .LBB1083_87
.LBB1083_84:
	v_mov_b32_e32 v36, 0
	s_mov_b32 s6, 0
	s_branch .LBB1083_92
.LBB1083_85:
                                        ; implicit-def: $sgpr17
                                        ; implicit-def: $vgpr35
                                        ; implicit-def: $vgpr25
                                        ; implicit-def: $vgpr24
                                        ; implicit-def: $vgpr23
                                        ; implicit-def: $vgpr36
                                        ; implicit-def: $vgpr22
	s_cbranch_execnz .LBB1083_99
	s_branch .LBB1083_122
.LBB1083_86:
	v_mov_b32_e32 v35, 0
	s_mov_b32 s17, 0
	v_cmp_ne_u32_e32 vcc_lo, 1, v28
	s_cbranch_vccnz .LBB1083_84
.LBB1083_87:
	s_wait_kmcnt 0x0
	v_mad_nc_u64_u32 v[22:23], v16, s18, s[8:9]
	v_mad_nc_u64_u32 v[24:25], v10, s18, s[8:9]
	s_add_nc_u64 s[4:5], s[18:19], -1
	s_mov_b32 s22, 0
	s_mov_b64 s[6:7], s[4:5]
                                        ; implicit-def: $sgpr21
	s_delay_alu instid0(VALU_DEP_2) | instskip(NEXT) | instid1(VALU_DEP_2)
	v_mad_u32 v23, v17, s18, v23
	v_mad_u32 v25, v11, s18, v25
	s_delay_alu instid0(VALU_DEP_2) | instskip(NEXT) | instid1(VALU_DEP_2)
	v_mad_u32 v23, v16, s19, v23
	v_mad_u32 v25, v10, s19, v25
	s_wait_dscnt 0x1
	s_delay_alu instid0(VALU_DEP_2)
	v_mov_b64_e32 v[26:27], v[22:23]
.LBB1083_88:                            ; =>This Inner Loop Header: Depth=1
	global_load_u8 v29, v[26:27], off
	global_load_u8 v32, v[24:25], off
	s_wait_xcnt 0x1
	v_add_nc_u64_e32 v[26:27], 1, v[26:27]
	s_wait_xcnt 0x0
	v_add_nc_u64_e32 v[24:25], 1, v[24:25]
	s_wait_loadcnt 0x1
	v_cmp_ne_u16_e32 vcc_lo, 0, v29
	s_wait_loadcnt 0x0
	v_cmp_ne_u16_e64 s2, 0, v32
	s_xor_b32 s2, vcc_lo, s2
	s_cmp_eq_u64 s[6:7], 0
	s_add_nc_u64 s[6:7], s[6:7], -1
	s_cselect_b32 s23, -1, 0
	s_delay_alu instid0(SALU_CYCLE_1) | instskip(NEXT) | instid1(SALU_CYCLE_1)
	s_or_b32 s23, s2, s23
	s_and_b32 s23, exec_lo, s23
	s_delay_alu instid0(SALU_CYCLE_1) | instskip(SKIP_2) | instid1(SALU_CYCLE_1)
	s_or_b32 s22, s23, s22
	s_and_not1_b32 s21, s21, exec_lo
	s_and_b32 s2, s2, exec_lo
	s_or_b32 s21, s21, s2
	s_and_not1_b32 exec_lo, exec_lo, s22
	s_cbranch_execnz .LBB1083_88
; %bb.89:
	s_or_b32 exec_lo, exec_lo, s22
	v_mad_nc_u64_u32 v[24:25], v14, s18, s[8:9]
	s_mov_b32 s7, 0
                                        ; implicit-def: $sgpr6
	s_delay_alu instid0(VALU_DEP_1) | instskip(NEXT) | instid1(VALU_DEP_1)
	v_mad_u32 v25, v15, s18, v25
	v_mad_u32 v25, v14, s19, v25
.LBB1083_90:                            ; =>This Inner Loop Header: Depth=1
	global_load_u8 v26, v[24:25], off
	global_load_u8 v27, v[22:23], off
	s_wait_xcnt 0x1
	v_add_nc_u64_e32 v[24:25], 1, v[24:25]
	s_wait_xcnt 0x0
	v_add_nc_u64_e32 v[22:23], 1, v[22:23]
	s_wait_loadcnt 0x1
	v_cmp_ne_u16_e32 vcc_lo, 0, v26
	s_wait_loadcnt 0x0
	v_cmp_ne_u16_e64 s2, 0, v27
	s_xor_b32 s2, vcc_lo, s2
	s_cmp_eq_u64 s[4:5], 0
	s_add_nc_u64 s[4:5], s[4:5], -1
	s_cselect_b32 s22, -1, 0
	s_delay_alu instid0(SALU_CYCLE_1) | instskip(NEXT) | instid1(SALU_CYCLE_1)
	s_or_b32 s22, s2, s22
	s_and_b32 s22, exec_lo, s22
	s_delay_alu instid0(SALU_CYCLE_1) | instskip(SKIP_2) | instid1(SALU_CYCLE_1)
	s_or_b32 s7, s22, s7
	s_and_not1_b32 s6, s6, exec_lo
	s_and_b32 s2, s2, exec_lo
	s_or_b32 s6, s6, s2
	s_and_not1_b32 exec_lo, exec_lo, s7
	s_cbranch_execnz .LBB1083_90
; %bb.91:
	s_or_b32 exec_lo, exec_lo, s7
	v_cndmask_b32_e64 v36, 0, 1, s21
.LBB1083_92:
	v_cndmask_b32_e64 v22, 0, 1, s17
	v_cndmask_b32_e64 v23, 0, 1, s6
	v_mov_b32_e32 v24, 1
	s_mov_b32 s6, 0
	s_wait_dscnt 0x0
	s_barrier_signal -1
	s_barrier_wait -1
                                        ; implicit-def: $sgpr17
                                        ; implicit-def: $vgpr25
	s_mov_b32 s2, exec_lo
	v_cmpx_ne_u32_e32 0, v0
	s_xor_b32 s7, exec_lo, s2
	s_cbranch_execz .LBB1083_98
; %bb.93:
	v_lshlrev_b16 v25, 8, v23
	v_lshlrev_b16 v26, 8, v22
	v_cmp_ne_u32_e32 vcc_lo, 1, v28
	s_mov_b32 s17, 0
	s_delay_alu instid0(VALU_DEP_2) | instskip(SKIP_1) | instid1(VALU_DEP_2)
	v_or_b32_e32 v26, v36, v26
	v_or_b32_e32 v25, 1, v25
	v_lshlrev_b32_e32 v26, 16, v26
	s_delay_alu instid0(VALU_DEP_2) | instskip(NEXT) | instid1(VALU_DEP_1)
	v_and_b32_e32 v25, 0xffff, v25
	v_or_b32_e32 v25, v25, v26
	s_cbranch_vccnz .LBB1083_97
; %bb.94:
	v_add_nc_u32_e32 v26, -8, v31
	s_wait_kmcnt 0x0
	v_mad_nc_u64_u32 v[28:29], v14, s18, s[8:9]
	s_add_nc_u64 s[4:5], s[18:19], -1
	s_mov_b32 s21, 0
                                        ; implicit-def: $sgpr17
	ds_load_b64 v[32:33], v26
	v_mad_u32 v29, v15, s18, v29
	s_delay_alu instid0(VALU_DEP_1) | instskip(SKIP_2) | instid1(VALU_DEP_1)
	v_mad_u32 v29, v14, s19, v29
	s_wait_dscnt 0x0
	v_mad_nc_u64_u32 v[26:27], v32, s18, s[8:9]
	v_mad_u32 v27, v33, s18, v27
	s_delay_alu instid0(VALU_DEP_1)
	v_mad_u32 v27, v32, s19, v27
.LBB1083_95:                            ; =>This Inner Loop Header: Depth=1
	global_load_u8 v32, v[26:27], off
	global_load_u8 v33, v[28:29], off
	s_wait_xcnt 0x1
	v_add_nc_u64_e32 v[26:27], 1, v[26:27]
	s_wait_xcnt 0x0
	v_add_nc_u64_e32 v[28:29], 1, v[28:29]
	s_wait_loadcnt 0x1
	v_cmp_ne_u16_e32 vcc_lo, 0, v32
	s_wait_loadcnt 0x0
	v_cmp_ne_u16_e64 s2, 0, v33
	s_xor_b32 s2, vcc_lo, s2
	s_cmp_eq_u64 s[4:5], 0
	s_add_nc_u64 s[4:5], s[4:5], -1
	s_cselect_b32 s22, -1, 0
	s_delay_alu instid0(SALU_CYCLE_1) | instskip(NEXT) | instid1(SALU_CYCLE_1)
	s_or_b32 s22, s2, s22
	s_and_b32 s22, exec_lo, s22
	s_delay_alu instid0(SALU_CYCLE_1) | instskip(SKIP_2) | instid1(SALU_CYCLE_1)
	s_or_b32 s21, s22, s21
	s_and_not1_b32 s17, s17, exec_lo
	s_and_b32 s2, s2, exec_lo
	s_or_b32 s17, s17, s2
	s_and_not1_b32 exec_lo, exec_lo, s21
	s_cbranch_execnz .LBB1083_95
; %bb.96:
	s_or_b32 exec_lo, exec_lo, s21
.LBB1083_97:
	s_delay_alu instid0(VALU_DEP_1)
	v_perm_b32 v25, v25, v25, 0x3020104
	s_or_b32 s3, s3, exec_lo
.LBB1083_98:
	s_or_b32 exec_lo, exec_lo, s7
	s_delay_alu instid0(SALU_CYCLE_1)
	s_and_b32 vcc_lo, exec_lo, s6
	s_cbranch_vccz .LBB1083_122
.LBB1083_99:
	v_add_nc_u32_e32 v24, 4, v30
	s_wait_kmcnt 0x0
	v_mad_nc_u64_u32 v[22:23], v12, s18, s[8:9]
	s_xor_b32 s6, s16, -1
	s_mov_b32 s7, 0
	v_cmp_gt_u32_e32 vcc_lo, s27, v24
	s_and_b32 s2, vcc_lo, s6
	s_delay_alu instid0(SALU_CYCLE_1)
	s_and_saveexec_b32 s16, s2
	s_cbranch_execz .LBB1083_103
; %bb.100:
	v_mad_nc_u64_u32 v[24:25], v20, s18, s[8:9]
	s_wait_dscnt 0x1
	s_delay_alu instid0(VALU_DEP_3) | instskip(SKIP_1) | instid1(VALU_DEP_2)
	v_mad_u32 v26, v13, s18, v23
	s_add_nc_u64 s[4:5], s[18:19], -1
                                        ; implicit-def: $sgpr17
	v_mad_u32 v25, v21, s18, v25
	s_delay_alu instid0(VALU_DEP_2) | instskip(SKIP_1) | instid1(VALU_DEP_3)
	v_mad_u32 v27, v12, s19, v26
	v_mov_b32_e32 v26, v22
	v_mad_u32 v25, v20, s19, v25
.LBB1083_101:                           ; =>This Inner Loop Header: Depth=1
	global_load_u8 v28, v[26:27], off
	global_load_u8 v29, v[24:25], off
	s_wait_xcnt 0x1
	v_add_nc_u64_e32 v[26:27], 1, v[26:27]
	s_wait_xcnt 0x0
	v_add_nc_u64_e32 v[24:25], 1, v[24:25]
	s_wait_loadcnt 0x1
	v_cmp_ne_u16_e32 vcc_lo, 0, v28
	s_wait_loadcnt 0x0
	v_cmp_ne_u16_e64 s2, 0, v29
	s_xor_b32 s2, vcc_lo, s2
	s_cmp_eq_u64 s[4:5], 0
	s_add_nc_u64 s[4:5], s[4:5], -1
	s_cselect_b32 s21, -1, 0
	s_delay_alu instid0(SALU_CYCLE_1) | instskip(NEXT) | instid1(SALU_CYCLE_1)
	s_or_b32 s21, s2, s21
	s_and_b32 s21, exec_lo, s21
	s_delay_alu instid0(SALU_CYCLE_1) | instskip(SKIP_2) | instid1(SALU_CYCLE_1)
	s_or_b32 s7, s21, s7
	s_and_not1_b32 s17, s17, exec_lo
	s_and_b32 s2, s2, exec_lo
	s_or_b32 s17, s17, s2
	s_and_not1_b32 exec_lo, exec_lo, s7
	s_cbranch_execnz .LBB1083_101
; %bb.102:
	s_or_b32 exec_lo, exec_lo, s7
	s_delay_alu instid0(SALU_CYCLE_1)
	s_and_b32 s7, s17, exec_lo
.LBB1083_103:
	s_or_b32 exec_lo, exec_lo, s16
	s_wait_dscnt 0x1
	v_add_nc_u32_e32 v26, 3, v30
	v_mad_nc_u64_u32 v[24:25], v10, s18, s[8:9]
	s_mov_b32 s16, 0
	s_delay_alu instid0(VALU_DEP_2) | instskip(SKIP_1) | instid1(SALU_CYCLE_1)
	v_cmp_gt_u32_e32 vcc_lo, s27, v26
	s_and_b32 s2, vcc_lo, s6
	s_and_saveexec_b32 s17, s2
	s_cbranch_execz .LBB1083_107
; %bb.104:
	s_delay_alu instid0(VALU_DEP_2) | instskip(SKIP_2) | instid1(VALU_DEP_2)
	v_mad_u32 v26, v11, s18, v25
	v_mad_u32 v23, v13, s18, v23
	s_add_nc_u64 s[4:5], s[18:19], -1
                                        ; implicit-def: $sgpr21
	v_mad_u32 v27, v10, s19, v26
	s_delay_alu instid0(VALU_DEP_2)
	v_mad_u32 v23, v12, s19, v23
	v_mov_b32_e32 v26, v24
.LBB1083_105:                           ; =>This Inner Loop Header: Depth=1
	global_load_u8 v28, v[26:27], off
	global_load_u8 v29, v[22:23], off
	s_wait_xcnt 0x1
	v_add_nc_u64_e32 v[26:27], 1, v[26:27]
	s_wait_xcnt 0x0
	v_add_nc_u64_e32 v[22:23], 1, v[22:23]
	s_wait_loadcnt 0x1
	v_cmp_ne_u16_e32 vcc_lo, 0, v28
	s_wait_loadcnt 0x0
	v_cmp_ne_u16_e64 s2, 0, v29
	s_xor_b32 s2, vcc_lo, s2
	s_cmp_eq_u64 s[4:5], 0
	s_add_nc_u64 s[4:5], s[4:5], -1
	s_cselect_b32 s22, -1, 0
	s_delay_alu instid0(SALU_CYCLE_1) | instskip(NEXT) | instid1(SALU_CYCLE_1)
	s_or_b32 s22, s2, s22
	s_and_b32 s22, exec_lo, s22
	s_delay_alu instid0(SALU_CYCLE_1) | instskip(SKIP_2) | instid1(SALU_CYCLE_1)
	s_or_b32 s16, s22, s16
	s_and_not1_b32 s21, s21, exec_lo
	s_and_b32 s2, s2, exec_lo
	s_or_b32 s21, s21, s2
	s_and_not1_b32 exec_lo, exec_lo, s16
	s_cbranch_execnz .LBB1083_105
; %bb.106:
	s_or_b32 exec_lo, exec_lo, s16
	s_delay_alu instid0(SALU_CYCLE_1)
	s_and_b32 s16, s21, exec_lo
.LBB1083_107:
	s_or_b32 exec_lo, exec_lo, s17
	v_add_nc_u32_e32 v26, 2, v30
	v_mad_nc_u64_u32 v[22:23], v16, s18, s[8:9]
	s_mov_b32 s17, 0
	s_delay_alu instid0(VALU_DEP_2) | instskip(SKIP_1) | instid1(SALU_CYCLE_1)
	v_cmp_gt_u32_e32 vcc_lo, s27, v26
	s_and_b32 s2, vcc_lo, s6
	s_and_saveexec_b32 s21, s2
	s_cbranch_execz .LBB1083_111
; %bb.108:
	s_delay_alu instid0(VALU_DEP_2) | instskip(SKIP_2) | instid1(VALU_DEP_2)
	v_mad_u32 v26, v17, s18, v23
	v_mad_u32 v25, v11, s18, v25
	s_add_nc_u64 s[4:5], s[18:19], -1
                                        ; implicit-def: $sgpr22
	v_mad_u32 v27, v16, s19, v26
	s_delay_alu instid0(VALU_DEP_2)
	v_mad_u32 v25, v10, s19, v25
	v_mov_b32_e32 v26, v22
.LBB1083_109:                           ; =>This Inner Loop Header: Depth=1
	global_load_u8 v28, v[26:27], off
	global_load_u8 v29, v[24:25], off
	s_wait_xcnt 0x1
	v_add_nc_u64_e32 v[26:27], 1, v[26:27]
	s_wait_xcnt 0x0
	v_add_nc_u64_e32 v[24:25], 1, v[24:25]
	s_wait_loadcnt 0x1
	v_cmp_ne_u16_e32 vcc_lo, 0, v28
	s_wait_loadcnt 0x0
	v_cmp_ne_u16_e64 s2, 0, v29
	s_xor_b32 s2, vcc_lo, s2
	s_cmp_eq_u64 s[4:5], 0
	s_add_nc_u64 s[4:5], s[4:5], -1
	s_cselect_b32 s23, -1, 0
	s_delay_alu instid0(SALU_CYCLE_1) | instskip(NEXT) | instid1(SALU_CYCLE_1)
	s_or_b32 s23, s2, s23
	s_and_b32 s23, exec_lo, s23
	s_delay_alu instid0(SALU_CYCLE_1) | instskip(SKIP_2) | instid1(SALU_CYCLE_1)
	s_or_b32 s17, s23, s17
	s_and_not1_b32 s22, s22, exec_lo
	s_and_b32 s2, s2, exec_lo
	s_or_b32 s22, s22, s2
	s_and_not1_b32 exec_lo, exec_lo, s17
	s_cbranch_execnz .LBB1083_109
; %bb.110:
	s_or_b32 exec_lo, exec_lo, s17
	s_delay_alu instid0(SALU_CYCLE_1)
	s_and_b32 s17, s22, exec_lo
.LBB1083_111:
	s_or_b32 exec_lo, exec_lo, s21
	v_add_nc_u32_e32 v24, 1, v30
	s_mov_b32 s2, 0
	s_delay_alu instid0(VALU_DEP_1) | instskip(SKIP_1) | instid1(SALU_CYCLE_1)
	v_cmp_gt_u32_e32 vcc_lo, s27, v24
	s_and_b32 s4, vcc_lo, s6
	s_and_saveexec_b32 s21, s4
	s_cbranch_execz .LBB1083_115
; %bb.112:
	v_mad_nc_u64_u32 v[24:25], v14, s18, s[8:9]
	v_mad_u32 v23, v17, s18, v23
	s_add_nc_u64 s[4:5], s[18:19], -1
	s_mov_b32 s22, 0
                                        ; implicit-def: $sgpr23
	s_delay_alu instid0(VALU_DEP_2) | instskip(NEXT) | instid1(VALU_DEP_2)
	v_mad_u32 v25, v15, s18, v25
	v_mad_u32 v23, v16, s19, v23
	s_delay_alu instid0(VALU_DEP_2)
	v_mad_u32 v25, v14, s19, v25
.LBB1083_113:                           ; =>This Inner Loop Header: Depth=1
	global_load_u8 v26, v[24:25], off
	global_load_u8 v27, v[22:23], off
	s_wait_xcnt 0x1
	v_add_nc_u64_e32 v[24:25], 1, v[24:25]
	s_wait_xcnt 0x0
	v_add_nc_u64_e32 v[22:23], 1, v[22:23]
	s_wait_loadcnt 0x1
	v_cmp_ne_u16_e32 vcc_lo, 0, v26
	s_wait_loadcnt 0x0
	v_cmp_ne_u16_e64 s2, 0, v27
	s_xor_b32 s2, vcc_lo, s2
	s_cmp_eq_u64 s[4:5], 0
	s_add_nc_u64 s[4:5], s[4:5], -1
	s_cselect_b32 s29, -1, 0
	s_delay_alu instid0(SALU_CYCLE_1) | instskip(NEXT) | instid1(SALU_CYCLE_1)
	s_or_b32 s29, s2, s29
	s_and_b32 s29, exec_lo, s29
	s_delay_alu instid0(SALU_CYCLE_1) | instskip(SKIP_2) | instid1(SALU_CYCLE_1)
	s_or_b32 s22, s29, s22
	s_and_not1_b32 s23, s23, exec_lo
	s_and_b32 s2, s2, exec_lo
	s_or_b32 s23, s23, s2
	s_and_not1_b32 exec_lo, exec_lo, s22
	s_cbranch_execnz .LBB1083_113
; %bb.114:
	s_or_b32 exec_lo, exec_lo, s22
	s_delay_alu instid0(SALU_CYCLE_1)
	s_and_b32 s2, s23, exec_lo
.LBB1083_115:
	s_or_b32 exec_lo, exec_lo, s21
	v_cndmask_b32_e64 v35, 0, 1, s7
	v_cndmask_b32_e64 v36, 0, 1, s17
	;; [unrolled: 1-line block ×4, first 2 shown]
	v_mov_b32_e32 v24, 1
	s_mov_b32 s17, 0
	s_mov_b32 s7, exec_lo
	s_wait_dscnt 0x0
	s_barrier_signal -1
	s_barrier_wait -1
                                        ; implicit-def: $vgpr25
	v_cmpx_ne_u32_e32 0, v0
	s_cbranch_execz .LBB1083_121
; %bb.116:
	v_lshlrev_b16 v25, 8, v23
	v_lshlrev_b16 v26, 8, v22
	v_cmp_gt_u32_e32 vcc_lo, s27, v30
	s_delay_alu instid0(VALU_DEP_2) | instskip(NEXT) | instid1(VALU_DEP_4)
	v_or_b32_e32 v26, v36, v26
	v_or_b32_e32 v25, 1, v25
	s_and_b32 s2, vcc_lo, s6
	s_delay_alu instid0(VALU_DEP_2) | instskip(NEXT) | instid1(VALU_DEP_2)
	v_lshlrev_b32_e32 v26, 16, v26
	v_and_b32_e32 v25, 0xffff, v25
	s_delay_alu instid0(VALU_DEP_1)
	v_or_b32_e32 v25, v25, v26
	s_and_saveexec_b32 s6, s2
	s_cbranch_execz .LBB1083_120
; %bb.117:
	v_add_nc_u32_e32 v26, -8, v31
	v_mad_nc_u64_u32 v[28:29], v14, s18, s[8:9]
	s_add_nc_u64 s[4:5], s[18:19], -1
	ds_load_b64 v[32:33], v26
	v_mad_u32 v29, v15, s18, v29
	s_delay_alu instid0(VALU_DEP_1) | instskip(SKIP_3) | instid1(VALU_DEP_1)
	v_mad_u32 v29, v14, s19, v29
	s_wait_dscnt 0x0
	v_mad_nc_u64_u32 v[26:27], v32, s18, s[8:9]
	s_mov_b32 s8, 0
                                        ; implicit-def: $sgpr9
	v_mad_u32 v27, v33, s18, v27
	s_delay_alu instid0(VALU_DEP_1)
	v_mad_u32 v27, v32, s19, v27
.LBB1083_118:                           ; =>This Inner Loop Header: Depth=1
	global_load_u8 v31, v[26:27], off
	global_load_u8 v32, v[28:29], off
	s_wait_xcnt 0x1
	v_add_nc_u64_e32 v[26:27], 1, v[26:27]
	s_wait_xcnt 0x0
	v_add_nc_u64_e32 v[28:29], 1, v[28:29]
	s_wait_loadcnt 0x1
	v_cmp_ne_u16_e32 vcc_lo, 0, v31
	s_wait_loadcnt 0x0
	v_cmp_ne_u16_e64 s2, 0, v32
	s_xor_b32 s2, vcc_lo, s2
	s_cmp_eq_u64 s[4:5], 0
	s_add_nc_u64 s[4:5], s[4:5], -1
	s_cselect_b32 s16, -1, 0
	s_delay_alu instid0(SALU_CYCLE_1) | instskip(NEXT) | instid1(SALU_CYCLE_1)
	s_or_b32 s16, s2, s16
	s_and_b32 s16, exec_lo, s16
	s_delay_alu instid0(SALU_CYCLE_1) | instskip(SKIP_2) | instid1(SALU_CYCLE_1)
	s_or_b32 s8, s16, s8
	s_and_not1_b32 s9, s9, exec_lo
	s_and_b32 s2, s2, exec_lo
	s_or_b32 s9, s9, s2
	s_and_not1_b32 exec_lo, exec_lo, s8
	s_cbranch_execnz .LBB1083_118
; %bb.119:
	s_or_b32 exec_lo, exec_lo, s8
	s_delay_alu instid0(SALU_CYCLE_1)
	s_and_b32 s17, s9, exec_lo
.LBB1083_120:
	s_or_b32 exec_lo, exec_lo, s6
	s_delay_alu instid0(VALU_DEP_1)
	v_perm_b32 v25, v25, v25, 0x3020104
	s_or_b32 s3, s3, exec_lo
.LBB1083_121:
	s_or_b32 exec_lo, exec_lo, s7
.LBB1083_122:
	s_and_saveexec_b32 s2, s3
; %bb.123:
	s_delay_alu instid0(VALU_DEP_1)
	v_dual_lshrrev_b32 v22, 24, v25 :: v_dual_lshrrev_b32 v36, 16, v25
	v_lshrrev_b32_e32 v23, 8, v25
	v_cndmask_b32_e64 v24, 0, 1, s17
; %bb.124:
	s_or_b32 exec_lo, exec_lo, s2
	s_delay_alu instid0(SALU_CYCLE_1)
	s_and_not1_b32 vcc_lo, exec_lo, s28
	s_cbranch_vccnz .LBB1083_128
; %bb.125:
	s_delay_alu instid0(VALU_DEP_1)
	v_perm_b32 v23, v24, v23, 0xc0c0004
	v_perm_b32 v22, v36, v22, 0xc0c0004
	v_cmp_gt_u32_e32 vcc_lo, s27, v30
	s_wait_dscnt 0x0
	v_dual_add_nc_u32 v24, 1, v30 :: v_dual_add_nc_u32 v26, 4, v30
	v_and_b32_e32 v35, 0xff, v35
	v_lshl_or_b32 v22, v22, 16, v23
	s_mov_b32 s2, exec_lo
	s_delay_alu instid0(VALU_DEP_2) | instskip(NEXT) | instid1(VALU_DEP_2)
	v_and_b32_e32 v25, 0xffff, v35
	v_cndmask_b32_e32 v23, 0, v22, vcc_lo
	v_cmp_gt_u32_e32 vcc_lo, s27, v24
	v_add_nc_u32_e32 v24, 2, v30
	s_delay_alu instid0(VALU_DEP_3) | instskip(NEXT) | instid1(VALU_DEP_1)
	v_and_b32_e32 v23, 0xff, v23
	v_cndmask_b32_e32 v23, v23, v22, vcc_lo
	s_delay_alu instid0(VALU_DEP_3) | instskip(SKIP_1) | instid1(VALU_DEP_3)
	v_cmp_gt_u32_e32 vcc_lo, s27, v24
	v_add_nc_u32_e32 v24, 3, v30
	v_and_b32_e32 v23, 0xffff, v23
	s_delay_alu instid0(VALU_DEP_1) | instskip(NEXT) | instid1(VALU_DEP_3)
	v_cndmask_b32_e32 v23, v23, v22, vcc_lo
	v_cmp_gt_u32_e32 vcc_lo, s27, v24
	s_delay_alu instid0(VALU_DEP_2) | instskip(NEXT) | instid1(VALU_DEP_1)
	v_and_b32_e32 v23, 0xffffff, v23
	v_cndmask_b32_e32 v24, v23, v22, vcc_lo
	s_delay_alu instid0(VALU_DEP_1)
	v_lshrrev_b64 v[22:23], 24, v[24:25]
	v_dual_lshrrev_b32 v36, 16, v24 :: v_dual_lshrrev_b32 v23, 8, v24
	v_cmpx_le_u32_e64 s27, v26
; %bb.126:
	v_mov_b32_e32 v35, 0
; %bb.127:
	s_or_b32 exec_lo, exec_lo, s2
.LBB1083_128:
	s_delay_alu instid0(VALU_DEP_1)
	v_and_b32_e32 v25, 0xff, v24
	v_and_b32_e32 v37, 0xff, v23
	;; [unrolled: 1-line block ×3, first 2 shown]
	v_mbcnt_lo_u32_b32 v40, -1, 0
	v_and_b32_e32 v39, 0xff, v22
	s_wait_dscnt 0x0
	v_and_b32_e32 v26, 0xff, v35
	s_wait_kmcnt 0x0
	v_readfirstlane_b32 s8, v0
	v_add3_u32 v27, v37, v25, v38
	v_and_b32_e32 v28, 15, v40
	s_and_b32 vcc_lo, exec_lo, s20
	v_lshrrev_b32_e32 v41, 5, v0
	s_mov_b32 s9, -1
	v_add3_u32 v42, v27, v39, v26
	v_and_b32_e32 v26, 16, v40
	v_or_b32_e32 v27, 31, v0
	v_cmp_eq_u32_e64 s4, 0, v28
	v_cmp_lt_u32_e64 s6, 1, v28
	v_cmp_lt_u32_e64 s7, 3, v28
	;; [unrolled: 1-line block ×3, first 2 shown]
	v_cmp_eq_u32_e64 s3, 0, v26
	v_cmp_eq_u32_e64 s2, v0, v27
	s_barrier_signal -1
	s_barrier_wait -1
                                        ; implicit-def: $vgpr28
                                        ; implicit-def: $vgpr29
                                        ; implicit-def: $vgpr30
                                        ; implicit-def: $vgpr31
                                        ; implicit-def: $vgpr32
                                        ; implicit-def: $vgpr26
	s_cbranch_vccz .LBB1083_155
; %bb.129:
	v_mov_b32_dpp v26, v42 row_shr:1 row_mask:0xf bank_mask:0xf
	s_delay_alu instid0(VALU_DEP_1) | instskip(NEXT) | instid1(VALU_DEP_1)
	v_cndmask_b32_e64 v26, v26, 0, s4
	v_add_nc_u32_e32 v26, v26, v42
	s_delay_alu instid0(VALU_DEP_1) | instskip(NEXT) | instid1(VALU_DEP_1)
	v_mov_b32_dpp v27, v26 row_shr:2 row_mask:0xf bank_mask:0xf
	v_cndmask_b32_e64 v27, 0, v27, s6
	s_delay_alu instid0(VALU_DEP_1) | instskip(NEXT) | instid1(VALU_DEP_1)
	v_add_nc_u32_e32 v26, v26, v27
	v_mov_b32_dpp v27, v26 row_shr:4 row_mask:0xf bank_mask:0xf
	s_delay_alu instid0(VALU_DEP_1) | instskip(NEXT) | instid1(VALU_DEP_1)
	v_cndmask_b32_e64 v27, 0, v27, s7
	v_add_nc_u32_e32 v26, v26, v27
	s_delay_alu instid0(VALU_DEP_1) | instskip(NEXT) | instid1(VALU_DEP_1)
	v_mov_b32_dpp v27, v26 row_shr:8 row_mask:0xf bank_mask:0xf
	v_cndmask_b32_e64 v27, 0, v27, s5
	s_delay_alu instid0(VALU_DEP_1) | instskip(SKIP_3) | instid1(VALU_DEP_1)
	v_add_nc_u32_e32 v26, v26, v27
	ds_swizzle_b32 v27, v26 offset:swizzle(BROADCAST,32,15)
	s_wait_dscnt 0x0
	v_cndmask_b32_e64 v27, v27, 0, s3
	v_add_nc_u32_e32 v26, v26, v27
	s_and_saveexec_b32 s8, s2
; %bb.130:
	v_lshlrev_b32_e32 v27, 2, v41
	ds_store_b32 v27, v26
; %bb.131:
	s_or_b32 exec_lo, exec_lo, s8
	s_delay_alu instid0(SALU_CYCLE_1)
	s_mov_b32 s8, exec_lo
	s_wait_dscnt 0x0
	s_barrier_signal -1
	s_barrier_wait -1
	v_cmpx_gt_u32_e32 4, v0
	s_cbranch_execz .LBB1083_133
; %bb.132:
	v_and_b32_e32 v29, 3, v40
	s_delay_alu instid0(VALU_DEP_1) | instskip(SKIP_4) | instid1(VALU_DEP_1)
	v_cmp_ne_u32_e32 vcc_lo, 0, v29
	v_lshlrev_b32_e32 v27, 2, v0
	ds_load_b32 v28, v27
	s_wait_dscnt 0x0
	v_mov_b32_dpp v30, v28 row_shr:1 row_mask:0xf bank_mask:0xf
	v_cndmask_b32_e32 v30, 0, v30, vcc_lo
	v_cmp_lt_u32_e32 vcc_lo, 1, v29
	s_delay_alu instid0(VALU_DEP_2) | instskip(NEXT) | instid1(VALU_DEP_1)
	v_add_nc_u32_e32 v28, v30, v28
	v_mov_b32_dpp v30, v28 row_shr:2 row_mask:0xf bank_mask:0xf
	s_delay_alu instid0(VALU_DEP_1) | instskip(NEXT) | instid1(VALU_DEP_1)
	v_cndmask_b32_e32 v29, 0, v30, vcc_lo
	v_add_nc_u32_e32 v28, v28, v29
	ds_store_b32 v27, v28
.LBB1083_133:
	s_or_b32 exec_lo, exec_lo, s8
	s_delay_alu instid0(SALU_CYCLE_1)
	s_mov_b32 s9, exec_lo
	v_cmp_gt_u32_e32 vcc_lo, 32, v0
	s_wait_dscnt 0x0
	s_barrier_signal -1
	s_barrier_wait -1
                                        ; implicit-def: $vgpr43
	v_cmpx_lt_u32_e32 31, v0
	s_cbranch_execz .LBB1083_135
; %bb.134:
	v_lshl_add_u32 v27, v41, 2, -4
	ds_load_b32 v43, v27
	s_wait_dscnt 0x0
	v_add_nc_u32_e32 v26, v43, v26
.LBB1083_135:
	s_or_b32 exec_lo, exec_lo, s9
	v_sub_co_u32 v27, s8, v40, 1
	s_delay_alu instid0(VALU_DEP_1) | instskip(NEXT) | instid1(VALU_DEP_1)
	v_cmp_gt_i32_e64 s9, 0, v27
	v_cndmask_b32_e64 v27, v27, v40, s9
	s_delay_alu instid0(VALU_DEP_1)
	v_lshlrev_b32_e32 v27, 2, v27
	ds_bpermute_b32 v44, v27, v26
	s_and_saveexec_b32 s9, vcc_lo
	s_cbranch_execz .LBB1083_154
; %bb.136:
	v_mov_b32_e32 v33, 0
	ds_load_b32 v26, v33 offset:12
	s_and_saveexec_b32 s16, s8
	s_cbranch_execz .LBB1083_138
; %bb.137:
	s_add_co_i32 s17, s26, 32
	s_delay_alu instid0(SALU_CYCLE_1)
	v_dual_mov_b32 v27, 1 :: v_dual_mov_b32 v28, s17
	s_wait_dscnt 0x0
	global_store_b64 v28, v[26:27], s[10:11] scale_offset scope:SCOPE_DEV
.LBB1083_138:
	s_wait_xcnt 0x0
	s_or_b32 exec_lo, exec_lo, s16
	v_xad_u32 v28, v40, -1, s26
	s_mov_b32 s17, 0
	s_mov_b32 s16, exec_lo
	s_delay_alu instid0(VALU_DEP_1) | instskip(SKIP_4) | instid1(VALU_DEP_1)
	v_add_nc_u32_e32 v32, 32, v28
	global_load_b64 v[30:31], v32, s[10:11] scale_offset scope:SCOPE_DEV
	s_wait_loadcnt 0x0
	v_and_b32_e32 v27, 0xff, v31
	s_wait_xcnt 0x0
	v_cmpx_eq_u16_e32 0, v27
	s_cbranch_execz .LBB1083_142
; %bb.139:
	v_lshl_add_u64 v[32:33], v[32:33], 3, s[10:11]
.LBB1083_140:                           ; =>This Inner Loop Header: Depth=1
	global_load_b64 v[30:31], v[32:33], off scope:SCOPE_DEV
	s_wait_loadcnt 0x0
	v_and_b32_e32 v27, 0xff, v31
	s_delay_alu instid0(VALU_DEP_1)
	v_cmp_ne_u16_e32 vcc_lo, 0, v27
	s_or_b32 s17, vcc_lo, s17
	s_wait_xcnt 0x0
	s_and_not1_b32 exec_lo, exec_lo, s17
	s_cbranch_execnz .LBB1083_140
; %bb.141:
	s_or_b32 exec_lo, exec_lo, s17
.LBB1083_142:
	s_delay_alu instid0(SALU_CYCLE_1)
	s_or_b32 exec_lo, exec_lo, s16
	v_cmp_ne_u32_e32 vcc_lo, 31, v40
	v_lshlrev_b32_e64 v46, v40, -1
	v_lshl_or_b32 v53, v40, 2, 64
	v_dual_add_nc_u32 v48, 2, v40 :: v_dual_add_nc_u32 v50, 4, v40
	v_add_co_ci_u32_e64 v27, null, 0, v40, vcc_lo
	v_dual_add_nc_u32 v52, 8, v40 :: v_dual_add_nc_u32 v54, 16, v40
	s_delay_alu instid0(VALU_DEP_2)
	v_lshlrev_b32_e32 v45, 2, v27
	v_and_b32_e32 v27, 0xff, v31
	ds_bpermute_b32 v29, v45, v30
	v_cmp_eq_u16_e32 vcc_lo, 2, v27
	v_and_or_b32 v27, vcc_lo, v46, 0x80000000
	v_cmp_gt_u32_e32 vcc_lo, 30, v40
	s_delay_alu instid0(VALU_DEP_2) | instskip(SKIP_1) | instid1(VALU_DEP_2)
	v_ctz_i32_b32_e32 v27, v27
	v_cndmask_b32_e64 v32, 0, 2, vcc_lo
	v_cmp_lt_u32_e32 vcc_lo, v40, v27
	s_delay_alu instid0(VALU_DEP_2) | instskip(SKIP_3) | instid1(VALU_DEP_2)
	v_add_lshl_u32 v47, v32, v40, 2
	s_wait_dscnt 0x0
	v_cndmask_b32_e32 v29, 0, v29, vcc_lo
	v_cmp_gt_u32_e32 vcc_lo, 28, v40
	v_add_nc_u32_e32 v29, v29, v30
	v_cndmask_b32_e64 v32, 0, 4, vcc_lo
	v_cmp_le_u32_e32 vcc_lo, v48, v27
	ds_bpermute_b32 v30, v47, v29
	v_add_lshl_u32 v49, v32, v40, 2
	s_wait_dscnt 0x0
	v_cndmask_b32_e32 v30, 0, v30, vcc_lo
	v_cmp_gt_u32_e32 vcc_lo, 24, v40
	v_cndmask_b32_e64 v32, 0, 8, vcc_lo
	v_cmp_le_u32_e32 vcc_lo, v50, v27
	s_delay_alu instid0(VALU_DEP_4) | instskip(NEXT) | instid1(VALU_DEP_3)
	v_add_nc_u32_e32 v29, v29, v30
	v_add_lshl_u32 v51, v32, v40, 2
	ds_bpermute_b32 v30, v49, v29
	s_wait_dscnt 0x0
	v_cndmask_b32_e32 v30, 0, v30, vcc_lo
	v_cmp_le_u32_e32 vcc_lo, v52, v27
	s_delay_alu instid0(VALU_DEP_2) | instskip(SKIP_4) | instid1(VALU_DEP_2)
	v_add_nc_u32_e32 v29, v29, v30
	ds_bpermute_b32 v30, v51, v29
	s_wait_dscnt 0x0
	v_cndmask_b32_e32 v30, 0, v30, vcc_lo
	v_cmp_le_u32_e32 vcc_lo, v54, v27
	v_add_nc_u32_e32 v29, v29, v30
	ds_bpermute_b32 v30, v53, v29
	s_wait_dscnt 0x0
	v_cndmask_b32_e32 v27, 0, v30, vcc_lo
	s_delay_alu instid0(VALU_DEP_1)
	v_dual_mov_b32 v29, 0 :: v_dual_add_nc_u32 v30, v29, v27
	s_branch .LBB1083_145
.LBB1083_143:                           ;   in Loop: Header=BB1083_145 Depth=1
	s_or_b32 exec_lo, exec_lo, s16
	v_and_b32_e32 v32, 0xff, v31
	ds_bpermute_b32 v33, v45, v30
	v_subrev_nc_u32_e32 v28, 32, v28
	s_mov_b32 s16, 0
	v_cmp_eq_u16_e32 vcc_lo, 2, v32
	v_and_or_b32 v32, vcc_lo, v46, 0x80000000
	s_delay_alu instid0(VALU_DEP_1) | instskip(NEXT) | instid1(VALU_DEP_1)
	v_ctz_i32_b32_e32 v32, v32
	v_cmp_lt_u32_e32 vcc_lo, v40, v32
	s_wait_dscnt 0x0
	v_cndmask_b32_e32 v33, 0, v33, vcc_lo
	v_cmp_le_u32_e32 vcc_lo, v48, v32
	s_delay_alu instid0(VALU_DEP_2) | instskip(SKIP_4) | instid1(VALU_DEP_2)
	v_add_nc_u32_e32 v30, v33, v30
	ds_bpermute_b32 v33, v47, v30
	s_wait_dscnt 0x0
	v_cndmask_b32_e32 v33, 0, v33, vcc_lo
	v_cmp_le_u32_e32 vcc_lo, v50, v32
	v_add_nc_u32_e32 v30, v30, v33
	ds_bpermute_b32 v33, v49, v30
	s_wait_dscnt 0x0
	v_cndmask_b32_e32 v33, 0, v33, vcc_lo
	v_cmp_le_u32_e32 vcc_lo, v52, v32
	s_delay_alu instid0(VALU_DEP_2) | instskip(SKIP_4) | instid1(VALU_DEP_2)
	v_add_nc_u32_e32 v30, v30, v33
	ds_bpermute_b32 v33, v51, v30
	s_wait_dscnt 0x0
	v_cndmask_b32_e32 v33, 0, v33, vcc_lo
	v_cmp_le_u32_e32 vcc_lo, v54, v32
	v_add_nc_u32_e32 v30, v30, v33
	ds_bpermute_b32 v33, v53, v30
	s_wait_dscnt 0x0
	v_cndmask_b32_e32 v32, 0, v33, vcc_lo
	s_delay_alu instid0(VALU_DEP_1)
	v_add3_u32 v30, v32, v27, v30
.LBB1083_144:                           ;   in Loop: Header=BB1083_145 Depth=1
	s_and_b32 vcc_lo, exec_lo, s16
	s_cbranch_vccnz .LBB1083_150
.LBB1083_145:                           ; =>This Loop Header: Depth=1
                                        ;     Child Loop BB1083_148 Depth 2
	v_and_b32_e32 v27, 0xff, v31
	s_mov_b32 s16, -1
                                        ; implicit-def: $vgpr31
	s_delay_alu instid0(VALU_DEP_1)
	v_cmp_ne_u16_e32 vcc_lo, 2, v27
	v_mov_b32_e32 v27, v30
                                        ; implicit-def: $vgpr30
	s_cmp_lg_u32 vcc_lo, exec_lo
	s_cbranch_scc1 .LBB1083_144
; %bb.146:                              ;   in Loop: Header=BB1083_145 Depth=1
	global_load_b64 v[30:31], v28, s[10:11] scale_offset scope:SCOPE_DEV
	s_mov_b32 s16, exec_lo
	s_wait_loadcnt 0x0
	v_and_b32_e32 v32, 0xff, v31
	s_wait_xcnt 0x0
	s_delay_alu instid0(VALU_DEP_1)
	v_cmpx_eq_u16_e32 0, v32
	s_cbranch_execz .LBB1083_143
; %bb.147:                              ;   in Loop: Header=BB1083_145 Depth=1
	v_lshl_add_u64 v[32:33], v[28:29], 3, s[10:11]
	s_mov_b32 s17, 0
.LBB1083_148:                           ;   Parent Loop BB1083_145 Depth=1
                                        ; =>  This Inner Loop Header: Depth=2
	global_load_b64 v[30:31], v[32:33], off scope:SCOPE_DEV
	s_wait_loadcnt 0x0
	v_and_b32_e32 v55, 0xff, v31
	s_delay_alu instid0(VALU_DEP_1)
	v_cmp_ne_u16_e32 vcc_lo, 0, v55
	s_or_b32 s17, vcc_lo, s17
	s_wait_xcnt 0x0
	s_and_not1_b32 exec_lo, exec_lo, s17
	s_cbranch_execnz .LBB1083_148
; %bb.149:                              ;   in Loop: Header=BB1083_145 Depth=1
	s_or_b32 exec_lo, exec_lo, s17
	s_branch .LBB1083_143
.LBB1083_150:
	s_and_saveexec_b32 s16, s8
	s_cbranch_execz .LBB1083_152
; %bb.151:
	s_add_co_i32 s17, s26, 32
	v_dual_mov_b32 v29, 2 :: v_dual_add_nc_u32 v28, v27, v26
	v_dual_mov_b32 v30, s17 :: v_dual_mov_b32 v31, 0
	global_store_b64 v30, v[28:29], s[10:11] scale_offset scope:SCOPE_DEV
	ds_store_b64 v31, v[26:27] offset:5120
.LBB1083_152:
	s_wait_xcnt 0x0
	s_or_b32 exec_lo, exec_lo, s16
	v_cmp_eq_u32_e32 vcc_lo, 0, v0
	s_and_b32 exec_lo, exec_lo, vcc_lo
; %bb.153:
	v_mov_b32_e32 v26, 0
	ds_store_b32 v26, v27 offset:12
.LBB1083_154:
	s_or_b32 exec_lo, exec_lo, s9
	s_wait_dscnt 0x0
	v_dual_mov_b32 v26, 0 :: v_dual_cndmask_b32 v28, v44, v43, s8
	s_wait_storecnt 0x0
	s_barrier_signal -1
	s_barrier_wait -1
	ds_load_b32 v27, v26 offset:12
	v_cmp_ne_u32_e32 vcc_lo, 0, v0
	s_wait_dscnt 0x0
	s_barrier_signal -1
	s_barrier_wait -1
	v_cndmask_b32_e32 v28, 0, v28, vcc_lo
	s_mov_b32 s9, 0
	s_delay_alu instid0(VALU_DEP_1) | instskip(SKIP_2) | instid1(VALU_DEP_1)
	v_add_nc_u32_e32 v32, v27, v28
	ds_load_b64 v[26:27], v26 offset:5120
	v_add_nc_u32_e32 v31, v32, v25
	v_add_nc_u32_e32 v30, v31, v37
	s_delay_alu instid0(VALU_DEP_1) | instskip(NEXT) | instid1(VALU_DEP_1)
	v_add_nc_u32_e32 v29, v30, v38
	v_add_nc_u32_e32 v28, v29, v39
	s_wait_dscnt 0x0
	v_readfirstlane_b32 s8, v27
.LBB1083_155:
	s_and_b32 vcc_lo, exec_lo, s9
	s_cbranch_vccz .LBB1083_165
; %bb.156:
	v_mov_b32_dpp v26, v42 row_shr:1 row_mask:0xf bank_mask:0xf
	s_delay_alu instid0(VALU_DEP_1) | instskip(NEXT) | instid1(VALU_DEP_1)
	v_cndmask_b32_e64 v26, v26, 0, s4
	v_add_nc_u32_e32 v26, v26, v42
	s_delay_alu instid0(VALU_DEP_1) | instskip(NEXT) | instid1(VALU_DEP_1)
	v_mov_b32_dpp v27, v26 row_shr:2 row_mask:0xf bank_mask:0xf
	v_cndmask_b32_e64 v27, 0, v27, s6
	s_delay_alu instid0(VALU_DEP_1) | instskip(NEXT) | instid1(VALU_DEP_1)
	v_add_nc_u32_e32 v26, v26, v27
	v_mov_b32_dpp v27, v26 row_shr:4 row_mask:0xf bank_mask:0xf
	s_delay_alu instid0(VALU_DEP_1) | instskip(NEXT) | instid1(VALU_DEP_1)
	v_cndmask_b32_e64 v27, 0, v27, s7
	v_add_nc_u32_e32 v26, v26, v27
	s_delay_alu instid0(VALU_DEP_1) | instskip(NEXT) | instid1(VALU_DEP_1)
	v_mov_b32_dpp v27, v26 row_shr:8 row_mask:0xf bank_mask:0xf
	v_cndmask_b32_e64 v27, 0, v27, s5
	s_delay_alu instid0(VALU_DEP_1) | instskip(SKIP_3) | instid1(VALU_DEP_1)
	v_add_nc_u32_e32 v26, v26, v27
	ds_swizzle_b32 v27, v26 offset:swizzle(BROADCAST,32,15)
	s_wait_dscnt 0x0
	v_cndmask_b32_e64 v27, v27, 0, s3
	v_add_nc_u32_e32 v26, v26, v27
	s_and_saveexec_b32 s3, s2
; %bb.157:
	v_lshlrev_b32_e32 v27, 2, v41
	ds_store_b32 v27, v26
; %bb.158:
	s_or_b32 exec_lo, exec_lo, s3
	s_delay_alu instid0(SALU_CYCLE_1)
	s_mov_b32 s2, exec_lo
	s_wait_dscnt 0x0
	s_barrier_signal -1
	s_barrier_wait -1
	v_cmpx_gt_u32_e32 4, v0
	s_cbranch_execz .LBB1083_160
; %bb.159:
	v_and_b32_e32 v29, 3, v40
	s_delay_alu instid0(VALU_DEP_1) | instskip(SKIP_4) | instid1(VALU_DEP_1)
	v_cmp_ne_u32_e32 vcc_lo, 0, v29
	v_lshlrev_b32_e32 v27, 2, v0
	ds_load_b32 v28, v27
	s_wait_dscnt 0x0
	v_mov_b32_dpp v30, v28 row_shr:1 row_mask:0xf bank_mask:0xf
	v_cndmask_b32_e32 v30, 0, v30, vcc_lo
	v_cmp_lt_u32_e32 vcc_lo, 1, v29
	s_delay_alu instid0(VALU_DEP_2) | instskip(NEXT) | instid1(VALU_DEP_1)
	v_add_nc_u32_e32 v28, v30, v28
	v_mov_b32_dpp v30, v28 row_shr:2 row_mask:0xf bank_mask:0xf
	s_delay_alu instid0(VALU_DEP_1) | instskip(NEXT) | instid1(VALU_DEP_1)
	v_cndmask_b32_e32 v29, 0, v30, vcc_lo
	v_add_nc_u32_e32 v28, v28, v29
	ds_store_b32 v27, v28
.LBB1083_160:
	s_or_b32 exec_lo, exec_lo, s2
	v_dual_mov_b32 v27, 0 :: v_dual_mov_b32 v28, 0
	s_mov_b32 s2, exec_lo
	s_wait_dscnt 0x0
	s_barrier_signal -1
	s_barrier_wait -1
	v_cmpx_lt_u32_e32 31, v0
; %bb.161:
	v_lshl_add_u32 v28, v41, 2, -4
	ds_load_b32 v28, v28
; %bb.162:
	s_or_b32 exec_lo, exec_lo, s2
	v_sub_co_u32 v29, vcc_lo, v40, 1
	s_mov_b32 s8, 0
	s_wait_dscnt 0x0
	v_add_nc_u32_e32 v26, v28, v26
	v_cmp_gt_i32_e64 s2, 0, v29
	s_delay_alu instid0(VALU_DEP_1) | instskip(SKIP_1) | instid1(VALU_DEP_2)
	v_cndmask_b32_e64 v29, v29, v40, s2
	v_cmp_eq_u32_e64 s2, 0, v0
	v_lshlrev_b32_e32 v29, 2, v29
	ds_bpermute_b32 v29, v29, v26
	ds_load_b32 v26, v27 offset:12
	s_and_saveexec_b32 s3, s2
	s_cbranch_execz .LBB1083_164
; %bb.163:
	v_dual_mov_b32 v30, 0 :: v_dual_mov_b32 v27, 2
	s_wait_dscnt 0x0
	global_store_b64 v30, v[26:27], s[10:11] offset:256 scope:SCOPE_DEV
.LBB1083_164:
	s_wait_xcnt 0x0
	s_or_b32 exec_lo, exec_lo, s3
	s_wait_dscnt 0x1
	v_cndmask_b32_e32 v27, v29, v28, vcc_lo
	s_wait_storecnt_dscnt 0x0
	s_barrier_signal -1
	s_barrier_wait -1
	s_delay_alu instid0(VALU_DEP_1) | instskip(NEXT) | instid1(VALU_DEP_1)
	v_cndmask_b32_e64 v32, v27, 0, s2
	v_add_nc_u32_e32 v31, v32, v25
	s_delay_alu instid0(VALU_DEP_1) | instskip(NEXT) | instid1(VALU_DEP_1)
	v_add_nc_u32_e32 v30, v31, v37
	v_add_nc_u32_e32 v29, v30, v38
	s_delay_alu instid0(VALU_DEP_1)
	v_add_nc_u32_e32 v28, v29, v39
.LBB1083_165:
	s_load_b128 s[4:7], s[0:1], 0x28
	s_delay_alu instid0(VALU_DEP_1)
	v_dual_add_nc_u32 v25, s8, v26 :: v_dual_bitop2_b32 v24, 1, v24 bitop3:0x40
	s_wait_xcnt 0x0
	v_cmp_gt_u32_e64 s0, 0x81, v26
	s_mov_b32 s3, -1
	v_cmp_lt_u32_e64 s1, v32, v25
	v_cmp_eq_u32_e64 s2, 1, v24
	s_and_b32 vcc_lo, exec_lo, s0
	s_cbranch_vccz .LBB1083_177
; %bb.166:
	s_or_b32 s1, s25, s1
	s_delay_alu instid0(SALU_CYCLE_1) | instskip(NEXT) | instid1(SALU_CYCLE_1)
	s_and_b32 s2, s1, s2
	s_and_saveexec_b32 s1, s2
	s_cbranch_execz .LBB1083_168
; %bb.167:
	s_lshl_b64 s[2:3], s[14:15], 3
	s_wait_kmcnt 0x0
	s_add_nc_u64 s[2:3], s[4:5], s[2:3]
	global_store_b64 v32, v[14:15], s[2:3] scale_offset
.LBB1083_168:
	s_wait_xcnt 0x0
	s_or_b32 exec_lo, exec_lo, s1
	v_and_b32_e32 v27, 1, v23
	v_cmp_lt_u32_e32 vcc_lo, v31, v25
	s_delay_alu instid0(VALU_DEP_2) | instskip(SKIP_1) | instid1(SALU_CYCLE_1)
	v_cmp_eq_u32_e64 s1, 1, v27
	s_or_b32 s2, s25, vcc_lo
	s_and_b32 s2, s2, s1
	s_delay_alu instid0(SALU_CYCLE_1)
	s_and_saveexec_b32 s1, s2
	s_cbranch_execz .LBB1083_170
; %bb.169:
	s_lshl_b64 s[2:3], s[14:15], 3
	s_wait_kmcnt 0x0
	s_add_nc_u64 s[2:3], s[4:5], s[2:3]
	global_store_b64 v31, v[16:17], s[2:3] scale_offset
.LBB1083_170:
	s_wait_xcnt 0x0
	s_or_b32 exec_lo, exec_lo, s1
	v_and_b32_e32 v27, 1, v36
	v_cmp_lt_u32_e32 vcc_lo, v30, v25
	s_delay_alu instid0(VALU_DEP_2) | instskip(SKIP_1) | instid1(SALU_CYCLE_1)
	v_cmp_eq_u32_e64 s1, 1, v27
	s_or_b32 s2, s25, vcc_lo
	s_and_b32 s2, s2, s1
	s_delay_alu instid0(SALU_CYCLE_1)
	;; [unrolled: 17-line block ×4, first 2 shown]
	s_and_saveexec_b32 s1, s2
	s_cbranch_execz .LBB1083_176
; %bb.175:
	s_lshl_b64 s[2:3], s[14:15], 3
	s_wait_kmcnt 0x0
	s_add_nc_u64 s[2:3], s[4:5], s[2:3]
	global_store_b64 v28, v[20:21], s[2:3] scale_offset
.LBB1083_176:
	s_wait_xcnt 0x0
	s_or_b32 exec_lo, exec_lo, s1
	s_mov_b32 s3, 0
.LBB1083_177:
	s_delay_alu instid0(SALU_CYCLE_1)
	s_and_b32 vcc_lo, exec_lo, s3
	s_cbranch_vccz .LBB1083_191
; %bb.178:
	s_mov_b32 s1, exec_lo
	v_cmpx_eq_u32_e32 1, v24
; %bb.179:
	v_subrev_nc_u32_e32 v27, s8, v32
	s_delay_alu instid0(VALU_DEP_1)
	v_lshlrev_b32_e32 v27, 3, v27
	ds_store_b64 v27, v[14:15]
; %bb.180:
	s_or_b32 exec_lo, exec_lo, s1
	v_and_b32_e32 v14, 1, v23
	s_mov_b32 s1, exec_lo
	s_delay_alu instid0(VALU_DEP_1)
	v_cmpx_eq_u32_e32 1, v14
; %bb.181:
	v_subrev_nc_u32_e32 v14, s8, v31
	s_delay_alu instid0(VALU_DEP_1)
	v_lshlrev_b32_e32 v14, 3, v14
	ds_store_b64 v14, v[16:17]
; %bb.182:
	s_or_b32 exec_lo, exec_lo, s1
	v_and_b32_e32 v14, 1, v36
	s_mov_b32 s1, exec_lo
	s_delay_alu instid0(VALU_DEP_1)
	;; [unrolled: 11-line block ×4, first 2 shown]
	v_cmpx_eq_u32_e32 1, v10
; %bb.187:
	v_subrev_nc_u32_e32 v10, s8, v28
	s_delay_alu instid0(VALU_DEP_1)
	v_lshlrev_b32_e32 v10, 3, v10
	ds_store_b64 v10, v[20:21]
; %bb.188:
	s_or_b32 exec_lo, exec_lo, s1
	s_mov_b32 s9, 0
	v_dual_mov_b32 v11, v1 :: v_dual_lshlrev_b32 v10, 3, v0
	s_lshl_b64 s[2:3], s[8:9], 3
	s_wait_storecnt_dscnt 0x0
	s_wait_kmcnt 0x0
	s_add_nc_u64 s[2:3], s[4:5], s[2:3]
	s_lshl_b64 s[4:5], s[14:15], 3
	s_barrier_signal -1
	s_add_nc_u64 s[2:3], s[2:3], s[4:5]
	s_barrier_wait -1
.LBB1083_189:                           ; =>This Inner Loop Header: Depth=1
	ds_load_b64 v[12:13], v10
	v_add_nc_u32_e32 v10, 0x400, v10
	s_wait_dscnt 0x0
	global_store_b64 v11, v[12:13], s[2:3] scale_offset
	s_wait_xcnt 0x0
	v_add_nc_u32_e32 v11, 0x80, v11
	s_delay_alu instid0(VALU_DEP_1) | instskip(SKIP_1) | instid1(SALU_CYCLE_1)
	v_cmp_ge_u32_e32 vcc_lo, v11, v26
	s_or_b32 s9, vcc_lo, s9
	s_and_not1_b32 exec_lo, exec_lo, s9
	s_cbranch_execnz .LBB1083_189
; %bb.190:
	s_or_b32 exec_lo, exec_lo, s9
.LBB1083_191:
	s_delay_alu instid0(SALU_CYCLE_1)
	s_and_b32 vcc_lo, exec_lo, s0
	s_mov_b32 s0, -1
	s_wait_storecnt 0x0
	s_barrier_signal -1
	s_barrier_wait -1
	s_cbranch_vccz .LBB1083_203
; %bb.192:
	v_cmp_lt_u32_e32 vcc_lo, v32, v25
	v_cmp_eq_u32_e64 s0, 1, v24
	s_or_b32 s1, s25, vcc_lo
	s_delay_alu instid0(SALU_CYCLE_1) | instskip(NEXT) | instid1(SALU_CYCLE_1)
	s_and_b32 s1, s1, s0
	s_and_saveexec_b32 s0, s1
	s_cbranch_execz .LBB1083_194
; %bb.193:
	s_lshl_b64 s[2:3], s[14:15], 3
	s_wait_kmcnt 0x0
	s_add_nc_u64 s[2:3], s[6:7], s[2:3]
	global_store_b64 v32, v[6:7], s[2:3] scale_offset
.LBB1083_194:
	s_wait_xcnt 0x0
	s_or_b32 exec_lo, exec_lo, s0
	v_and_b32_e32 v10, 1, v23
	v_cmp_lt_u32_e32 vcc_lo, v31, v25
	s_delay_alu instid0(VALU_DEP_2) | instskip(SKIP_1) | instid1(SALU_CYCLE_1)
	v_cmp_eq_u32_e64 s0, 1, v10
	s_or_b32 s1, s25, vcc_lo
	s_and_b32 s1, s1, s0
	s_delay_alu instid0(SALU_CYCLE_1)
	s_and_saveexec_b32 s0, s1
	s_cbranch_execz .LBB1083_196
; %bb.195:
	s_lshl_b64 s[2:3], s[14:15], 3
	s_wait_kmcnt 0x0
	s_add_nc_u64 s[2:3], s[6:7], s[2:3]
	global_store_b64 v31, v[8:9], s[2:3] scale_offset
.LBB1083_196:
	s_wait_xcnt 0x0
	s_or_b32 exec_lo, exec_lo, s0
	v_and_b32_e32 v10, 1, v36
	v_cmp_lt_u32_e32 vcc_lo, v30, v25
	s_delay_alu instid0(VALU_DEP_2) | instskip(SKIP_1) | instid1(SALU_CYCLE_1)
	v_cmp_eq_u32_e64 s0, 1, v10
	s_or_b32 s1, s25, vcc_lo
	s_and_b32 s1, s1, s0
	s_delay_alu instid0(SALU_CYCLE_1)
	s_and_saveexec_b32 s0, s1
	s_cbranch_execz .LBB1083_198
; %bb.197:
	s_lshl_b64 s[2:3], s[14:15], 3
	s_wait_kmcnt 0x0
	s_add_nc_u64 s[2:3], s[6:7], s[2:3]
	global_store_b64 v30, v[2:3], s[2:3] scale_offset
.LBB1083_198:
	s_wait_xcnt 0x0
	s_or_b32 exec_lo, exec_lo, s0
	v_and_b32_e32 v10, 1, v22
	v_cmp_lt_u32_e32 vcc_lo, v29, v25
	s_delay_alu instid0(VALU_DEP_2) | instskip(SKIP_1) | instid1(SALU_CYCLE_1)
	v_cmp_eq_u32_e64 s0, 1, v10
	s_or_b32 s1, s25, vcc_lo
	s_and_b32 s1, s1, s0
	s_delay_alu instid0(SALU_CYCLE_1)
	s_and_saveexec_b32 s0, s1
	s_cbranch_execz .LBB1083_200
; %bb.199:
	s_lshl_b64 s[2:3], s[14:15], 3
	s_wait_kmcnt 0x0
	s_add_nc_u64 s[2:3], s[6:7], s[2:3]
	global_store_b64 v29, v[4:5], s[2:3] scale_offset
.LBB1083_200:
	s_wait_xcnt 0x0
	s_or_b32 exec_lo, exec_lo, s0
	v_and_b32_e32 v10, 1, v35
	v_cmp_lt_u32_e32 vcc_lo, v28, v25
	s_delay_alu instid0(VALU_DEP_2) | instskip(SKIP_1) | instid1(SALU_CYCLE_1)
	v_cmp_eq_u32_e64 s0, 1, v10
	s_or_b32 s1, s25, vcc_lo
	s_and_b32 s1, s1, s0
	s_delay_alu instid0(SALU_CYCLE_1)
	s_and_saveexec_b32 s0, s1
	s_cbranch_execz .LBB1083_202
; %bb.201:
	s_lshl_b64 s[2:3], s[14:15], 3
	s_wait_kmcnt 0x0
	s_add_nc_u64 s[2:3], s[6:7], s[2:3]
	global_store_b64 v28, v[18:19], s[2:3] scale_offset
.LBB1083_202:
	s_wait_xcnt 0x0
	s_or_b32 exec_lo, exec_lo, s0
	s_mov_b32 s0, 0
.LBB1083_203:
	s_delay_alu instid0(SALU_CYCLE_1)
	s_and_b32 vcc_lo, exec_lo, s0
	s_cbranch_vccz .LBB1083_217
; %bb.204:
	s_mov_b32 s0, exec_lo
	v_cmpx_eq_u32_e32 1, v24
; %bb.205:
	v_subrev_nc_u32_e32 v10, s8, v32
	s_delay_alu instid0(VALU_DEP_1)
	v_lshlrev_b32_e32 v10, 3, v10
	ds_store_b64 v10, v[6:7]
; %bb.206:
	s_or_b32 exec_lo, exec_lo, s0
	v_and_b32_e32 v6, 1, v23
	s_mov_b32 s0, exec_lo
	s_delay_alu instid0(VALU_DEP_1)
	v_cmpx_eq_u32_e32 1, v6
; %bb.207:
	v_subrev_nc_u32_e32 v6, s8, v31
	s_delay_alu instid0(VALU_DEP_1)
	v_lshlrev_b32_e32 v6, 3, v6
	ds_store_b64 v6, v[8:9]
; %bb.208:
	s_or_b32 exec_lo, exec_lo, s0
	v_and_b32_e32 v6, 1, v36
	s_mov_b32 s0, exec_lo
	s_delay_alu instid0(VALU_DEP_1)
	;; [unrolled: 11-line block ×4, first 2 shown]
	v_cmpx_eq_u32_e32 1, v2
; %bb.213:
	v_subrev_nc_u32_e32 v2, s8, v28
	s_delay_alu instid0(VALU_DEP_1)
	v_lshlrev_b32_e32 v2, 3, v2
	ds_store_b64 v2, v[18:19]
; %bb.214:
	s_or_b32 exec_lo, exec_lo, s0
	s_mov_b32 s9, 0
	s_lshl_b64 s[2:3], s[14:15], 3
	s_lshl_b64 s[0:1], s[8:9], 3
	s_wait_storecnt_dscnt 0x0
	s_wait_kmcnt 0x0
	s_add_nc_u64 s[0:1], s[6:7], s[0:1]
	s_barrier_signal -1
	s_add_nc_u64 s[0:1], s[0:1], s[2:3]
	s_barrier_wait -1
.LBB1083_215:                           ; =>This Inner Loop Header: Depth=1
	ds_load_b64 v[2:3], v34
	v_add_nc_u32_e32 v34, 0x400, v34
	s_wait_dscnt 0x0
	global_store_b64 v1, v[2:3], s[0:1] scale_offset
	s_wait_xcnt 0x0
	v_add_nc_u32_e32 v1, 0x80, v1
	s_delay_alu instid0(VALU_DEP_1) | instskip(SKIP_1) | instid1(SALU_CYCLE_1)
	v_cmp_ge_u32_e32 vcc_lo, v1, v26
	s_or_b32 s9, vcc_lo, s9
	s_and_not1_b32 exec_lo, exec_lo, s9
	s_cbranch_execnz .LBB1083_215
; %bb.216:
	s_or_b32 exec_lo, exec_lo, s9
.LBB1083_217:
	v_cmp_eq_u32_e32 vcc_lo, 0, v0
	s_mov_b32 s9, 0
	s_and_b32 s0, vcc_lo, s24
	s_delay_alu instid0(SALU_CYCLE_1)
	s_and_saveexec_b32 s1, s0
	s_cbranch_execz .LBB1083_219
; %bb.218:
	v_mov_b32_e32 v27, 0
	s_delay_alu instid0(VALU_DEP_1) | instskip(NEXT) | instid1(VALU_DEP_1)
	v_add_nc_u64_e32 v[0:1], s[14:15], v[26:27]
	v_add_nc_u64_e32 v[0:1], s[8:9], v[0:1]
	global_store_b64 v27, v[0:1], s[12:13]
.LBB1083_219:
	s_endpgm
	.section	.rodata,"a",@progbits
	.p2align	6, 0x0
	.amdhsa_kernel _ZN7rocprim17ROCPRIM_400000_NS6detail17trampoline_kernelINS0_14default_configENS1_25partition_config_selectorILNS1_17partition_subalgoE9EllbEEZZNS1_14partition_implILS5_9ELb0ES3_jPlS8_PNS0_10empty_typeENS0_5tupleIJS8_S9_EEENSB_IJS8_SA_EEENS0_18inequality_wrapperIZN2at6native12_GLOBAL__N_124unique_dim_cuda_templateIbEESt5tupleIJNSF_6TensorESK_SK_EERKSK_lbbbEUlllE0_EEPmJS9_EEE10hipError_tPvRmT3_T4_T5_T6_T7_T9_mT8_P12ihipStream_tbDpT10_ENKUlT_T0_E_clISt17integral_constantIbLb0EES1A_EEDaS15_S16_EUlS15_E_NS1_11comp_targetILNS1_3genE0ELNS1_11target_archE4294967295ELNS1_3gpuE0ELNS1_3repE0EEENS1_30default_config_static_selectorELNS0_4arch9wavefront6targetE0EEEvT1_
		.amdhsa_group_segment_fixed_size 5128
		.amdhsa_private_segment_fixed_size 0
		.amdhsa_kernarg_size 120
		.amdhsa_user_sgpr_count 2
		.amdhsa_user_sgpr_dispatch_ptr 0
		.amdhsa_user_sgpr_queue_ptr 0
		.amdhsa_user_sgpr_kernarg_segment_ptr 1
		.amdhsa_user_sgpr_dispatch_id 0
		.amdhsa_user_sgpr_kernarg_preload_length 0
		.amdhsa_user_sgpr_kernarg_preload_offset 0
		.amdhsa_user_sgpr_private_segment_size 0
		.amdhsa_wavefront_size32 1
		.amdhsa_uses_dynamic_stack 0
		.amdhsa_enable_private_segment 0
		.amdhsa_system_sgpr_workgroup_id_x 1
		.amdhsa_system_sgpr_workgroup_id_y 0
		.amdhsa_system_sgpr_workgroup_id_z 0
		.amdhsa_system_sgpr_workgroup_info 0
		.amdhsa_system_vgpr_workitem_id 0
		.amdhsa_next_free_vgpr 56
		.amdhsa_next_free_sgpr 31
		.amdhsa_named_barrier_count 0
		.amdhsa_reserve_vcc 1
		.amdhsa_float_round_mode_32 0
		.amdhsa_float_round_mode_16_64 0
		.amdhsa_float_denorm_mode_32 3
		.amdhsa_float_denorm_mode_16_64 3
		.amdhsa_fp16_overflow 0
		.amdhsa_memory_ordered 1
		.amdhsa_forward_progress 1
		.amdhsa_inst_pref_size 77
		.amdhsa_round_robin_scheduling 0
		.amdhsa_exception_fp_ieee_invalid_op 0
		.amdhsa_exception_fp_denorm_src 0
		.amdhsa_exception_fp_ieee_div_zero 0
		.amdhsa_exception_fp_ieee_overflow 0
		.amdhsa_exception_fp_ieee_underflow 0
		.amdhsa_exception_fp_ieee_inexact 0
		.amdhsa_exception_int_div_zero 0
	.end_amdhsa_kernel
	.section	.text._ZN7rocprim17ROCPRIM_400000_NS6detail17trampoline_kernelINS0_14default_configENS1_25partition_config_selectorILNS1_17partition_subalgoE9EllbEEZZNS1_14partition_implILS5_9ELb0ES3_jPlS8_PNS0_10empty_typeENS0_5tupleIJS8_S9_EEENSB_IJS8_SA_EEENS0_18inequality_wrapperIZN2at6native12_GLOBAL__N_124unique_dim_cuda_templateIbEESt5tupleIJNSF_6TensorESK_SK_EERKSK_lbbbEUlllE0_EEPmJS9_EEE10hipError_tPvRmT3_T4_T5_T6_T7_T9_mT8_P12ihipStream_tbDpT10_ENKUlT_T0_E_clISt17integral_constantIbLb0EES1A_EEDaS15_S16_EUlS15_E_NS1_11comp_targetILNS1_3genE0ELNS1_11target_archE4294967295ELNS1_3gpuE0ELNS1_3repE0EEENS1_30default_config_static_selectorELNS0_4arch9wavefront6targetE0EEEvT1_,"axG",@progbits,_ZN7rocprim17ROCPRIM_400000_NS6detail17trampoline_kernelINS0_14default_configENS1_25partition_config_selectorILNS1_17partition_subalgoE9EllbEEZZNS1_14partition_implILS5_9ELb0ES3_jPlS8_PNS0_10empty_typeENS0_5tupleIJS8_S9_EEENSB_IJS8_SA_EEENS0_18inequality_wrapperIZN2at6native12_GLOBAL__N_124unique_dim_cuda_templateIbEESt5tupleIJNSF_6TensorESK_SK_EERKSK_lbbbEUlllE0_EEPmJS9_EEE10hipError_tPvRmT3_T4_T5_T6_T7_T9_mT8_P12ihipStream_tbDpT10_ENKUlT_T0_E_clISt17integral_constantIbLb0EES1A_EEDaS15_S16_EUlS15_E_NS1_11comp_targetILNS1_3genE0ELNS1_11target_archE4294967295ELNS1_3gpuE0ELNS1_3repE0EEENS1_30default_config_static_selectorELNS0_4arch9wavefront6targetE0EEEvT1_,comdat
.Lfunc_end1083:
	.size	_ZN7rocprim17ROCPRIM_400000_NS6detail17trampoline_kernelINS0_14default_configENS1_25partition_config_selectorILNS1_17partition_subalgoE9EllbEEZZNS1_14partition_implILS5_9ELb0ES3_jPlS8_PNS0_10empty_typeENS0_5tupleIJS8_S9_EEENSB_IJS8_SA_EEENS0_18inequality_wrapperIZN2at6native12_GLOBAL__N_124unique_dim_cuda_templateIbEESt5tupleIJNSF_6TensorESK_SK_EERKSK_lbbbEUlllE0_EEPmJS9_EEE10hipError_tPvRmT3_T4_T5_T6_T7_T9_mT8_P12ihipStream_tbDpT10_ENKUlT_T0_E_clISt17integral_constantIbLb0EES1A_EEDaS15_S16_EUlS15_E_NS1_11comp_targetILNS1_3genE0ELNS1_11target_archE4294967295ELNS1_3gpuE0ELNS1_3repE0EEENS1_30default_config_static_selectorELNS0_4arch9wavefront6targetE0EEEvT1_, .Lfunc_end1083-_ZN7rocprim17ROCPRIM_400000_NS6detail17trampoline_kernelINS0_14default_configENS1_25partition_config_selectorILNS1_17partition_subalgoE9EllbEEZZNS1_14partition_implILS5_9ELb0ES3_jPlS8_PNS0_10empty_typeENS0_5tupleIJS8_S9_EEENSB_IJS8_SA_EEENS0_18inequality_wrapperIZN2at6native12_GLOBAL__N_124unique_dim_cuda_templateIbEESt5tupleIJNSF_6TensorESK_SK_EERKSK_lbbbEUlllE0_EEPmJS9_EEE10hipError_tPvRmT3_T4_T5_T6_T7_T9_mT8_P12ihipStream_tbDpT10_ENKUlT_T0_E_clISt17integral_constantIbLb0EES1A_EEDaS15_S16_EUlS15_E_NS1_11comp_targetILNS1_3genE0ELNS1_11target_archE4294967295ELNS1_3gpuE0ELNS1_3repE0EEENS1_30default_config_static_selectorELNS0_4arch9wavefront6targetE0EEEvT1_
                                        ; -- End function
	.set _ZN7rocprim17ROCPRIM_400000_NS6detail17trampoline_kernelINS0_14default_configENS1_25partition_config_selectorILNS1_17partition_subalgoE9EllbEEZZNS1_14partition_implILS5_9ELb0ES3_jPlS8_PNS0_10empty_typeENS0_5tupleIJS8_S9_EEENSB_IJS8_SA_EEENS0_18inequality_wrapperIZN2at6native12_GLOBAL__N_124unique_dim_cuda_templateIbEESt5tupleIJNSF_6TensorESK_SK_EERKSK_lbbbEUlllE0_EEPmJS9_EEE10hipError_tPvRmT3_T4_T5_T6_T7_T9_mT8_P12ihipStream_tbDpT10_ENKUlT_T0_E_clISt17integral_constantIbLb0EES1A_EEDaS15_S16_EUlS15_E_NS1_11comp_targetILNS1_3genE0ELNS1_11target_archE4294967295ELNS1_3gpuE0ELNS1_3repE0EEENS1_30default_config_static_selectorELNS0_4arch9wavefront6targetE0EEEvT1_.num_vgpr, 56
	.set _ZN7rocprim17ROCPRIM_400000_NS6detail17trampoline_kernelINS0_14default_configENS1_25partition_config_selectorILNS1_17partition_subalgoE9EllbEEZZNS1_14partition_implILS5_9ELb0ES3_jPlS8_PNS0_10empty_typeENS0_5tupleIJS8_S9_EEENSB_IJS8_SA_EEENS0_18inequality_wrapperIZN2at6native12_GLOBAL__N_124unique_dim_cuda_templateIbEESt5tupleIJNSF_6TensorESK_SK_EERKSK_lbbbEUlllE0_EEPmJS9_EEE10hipError_tPvRmT3_T4_T5_T6_T7_T9_mT8_P12ihipStream_tbDpT10_ENKUlT_T0_E_clISt17integral_constantIbLb0EES1A_EEDaS15_S16_EUlS15_E_NS1_11comp_targetILNS1_3genE0ELNS1_11target_archE4294967295ELNS1_3gpuE0ELNS1_3repE0EEENS1_30default_config_static_selectorELNS0_4arch9wavefront6targetE0EEEvT1_.num_agpr, 0
	.set _ZN7rocprim17ROCPRIM_400000_NS6detail17trampoline_kernelINS0_14default_configENS1_25partition_config_selectorILNS1_17partition_subalgoE9EllbEEZZNS1_14partition_implILS5_9ELb0ES3_jPlS8_PNS0_10empty_typeENS0_5tupleIJS8_S9_EEENSB_IJS8_SA_EEENS0_18inequality_wrapperIZN2at6native12_GLOBAL__N_124unique_dim_cuda_templateIbEESt5tupleIJNSF_6TensorESK_SK_EERKSK_lbbbEUlllE0_EEPmJS9_EEE10hipError_tPvRmT3_T4_T5_T6_T7_T9_mT8_P12ihipStream_tbDpT10_ENKUlT_T0_E_clISt17integral_constantIbLb0EES1A_EEDaS15_S16_EUlS15_E_NS1_11comp_targetILNS1_3genE0ELNS1_11target_archE4294967295ELNS1_3gpuE0ELNS1_3repE0EEENS1_30default_config_static_selectorELNS0_4arch9wavefront6targetE0EEEvT1_.numbered_sgpr, 31
	.set _ZN7rocprim17ROCPRIM_400000_NS6detail17trampoline_kernelINS0_14default_configENS1_25partition_config_selectorILNS1_17partition_subalgoE9EllbEEZZNS1_14partition_implILS5_9ELb0ES3_jPlS8_PNS0_10empty_typeENS0_5tupleIJS8_S9_EEENSB_IJS8_SA_EEENS0_18inequality_wrapperIZN2at6native12_GLOBAL__N_124unique_dim_cuda_templateIbEESt5tupleIJNSF_6TensorESK_SK_EERKSK_lbbbEUlllE0_EEPmJS9_EEE10hipError_tPvRmT3_T4_T5_T6_T7_T9_mT8_P12ihipStream_tbDpT10_ENKUlT_T0_E_clISt17integral_constantIbLb0EES1A_EEDaS15_S16_EUlS15_E_NS1_11comp_targetILNS1_3genE0ELNS1_11target_archE4294967295ELNS1_3gpuE0ELNS1_3repE0EEENS1_30default_config_static_selectorELNS0_4arch9wavefront6targetE0EEEvT1_.num_named_barrier, 0
	.set _ZN7rocprim17ROCPRIM_400000_NS6detail17trampoline_kernelINS0_14default_configENS1_25partition_config_selectorILNS1_17partition_subalgoE9EllbEEZZNS1_14partition_implILS5_9ELb0ES3_jPlS8_PNS0_10empty_typeENS0_5tupleIJS8_S9_EEENSB_IJS8_SA_EEENS0_18inequality_wrapperIZN2at6native12_GLOBAL__N_124unique_dim_cuda_templateIbEESt5tupleIJNSF_6TensorESK_SK_EERKSK_lbbbEUlllE0_EEPmJS9_EEE10hipError_tPvRmT3_T4_T5_T6_T7_T9_mT8_P12ihipStream_tbDpT10_ENKUlT_T0_E_clISt17integral_constantIbLb0EES1A_EEDaS15_S16_EUlS15_E_NS1_11comp_targetILNS1_3genE0ELNS1_11target_archE4294967295ELNS1_3gpuE0ELNS1_3repE0EEENS1_30default_config_static_selectorELNS0_4arch9wavefront6targetE0EEEvT1_.private_seg_size, 0
	.set _ZN7rocprim17ROCPRIM_400000_NS6detail17trampoline_kernelINS0_14default_configENS1_25partition_config_selectorILNS1_17partition_subalgoE9EllbEEZZNS1_14partition_implILS5_9ELb0ES3_jPlS8_PNS0_10empty_typeENS0_5tupleIJS8_S9_EEENSB_IJS8_SA_EEENS0_18inequality_wrapperIZN2at6native12_GLOBAL__N_124unique_dim_cuda_templateIbEESt5tupleIJNSF_6TensorESK_SK_EERKSK_lbbbEUlllE0_EEPmJS9_EEE10hipError_tPvRmT3_T4_T5_T6_T7_T9_mT8_P12ihipStream_tbDpT10_ENKUlT_T0_E_clISt17integral_constantIbLb0EES1A_EEDaS15_S16_EUlS15_E_NS1_11comp_targetILNS1_3genE0ELNS1_11target_archE4294967295ELNS1_3gpuE0ELNS1_3repE0EEENS1_30default_config_static_selectorELNS0_4arch9wavefront6targetE0EEEvT1_.uses_vcc, 1
	.set _ZN7rocprim17ROCPRIM_400000_NS6detail17trampoline_kernelINS0_14default_configENS1_25partition_config_selectorILNS1_17partition_subalgoE9EllbEEZZNS1_14partition_implILS5_9ELb0ES3_jPlS8_PNS0_10empty_typeENS0_5tupleIJS8_S9_EEENSB_IJS8_SA_EEENS0_18inequality_wrapperIZN2at6native12_GLOBAL__N_124unique_dim_cuda_templateIbEESt5tupleIJNSF_6TensorESK_SK_EERKSK_lbbbEUlllE0_EEPmJS9_EEE10hipError_tPvRmT3_T4_T5_T6_T7_T9_mT8_P12ihipStream_tbDpT10_ENKUlT_T0_E_clISt17integral_constantIbLb0EES1A_EEDaS15_S16_EUlS15_E_NS1_11comp_targetILNS1_3genE0ELNS1_11target_archE4294967295ELNS1_3gpuE0ELNS1_3repE0EEENS1_30default_config_static_selectorELNS0_4arch9wavefront6targetE0EEEvT1_.uses_flat_scratch, 0
	.set _ZN7rocprim17ROCPRIM_400000_NS6detail17trampoline_kernelINS0_14default_configENS1_25partition_config_selectorILNS1_17partition_subalgoE9EllbEEZZNS1_14partition_implILS5_9ELb0ES3_jPlS8_PNS0_10empty_typeENS0_5tupleIJS8_S9_EEENSB_IJS8_SA_EEENS0_18inequality_wrapperIZN2at6native12_GLOBAL__N_124unique_dim_cuda_templateIbEESt5tupleIJNSF_6TensorESK_SK_EERKSK_lbbbEUlllE0_EEPmJS9_EEE10hipError_tPvRmT3_T4_T5_T6_T7_T9_mT8_P12ihipStream_tbDpT10_ENKUlT_T0_E_clISt17integral_constantIbLb0EES1A_EEDaS15_S16_EUlS15_E_NS1_11comp_targetILNS1_3genE0ELNS1_11target_archE4294967295ELNS1_3gpuE0ELNS1_3repE0EEENS1_30default_config_static_selectorELNS0_4arch9wavefront6targetE0EEEvT1_.has_dyn_sized_stack, 0
	.set _ZN7rocprim17ROCPRIM_400000_NS6detail17trampoline_kernelINS0_14default_configENS1_25partition_config_selectorILNS1_17partition_subalgoE9EllbEEZZNS1_14partition_implILS5_9ELb0ES3_jPlS8_PNS0_10empty_typeENS0_5tupleIJS8_S9_EEENSB_IJS8_SA_EEENS0_18inequality_wrapperIZN2at6native12_GLOBAL__N_124unique_dim_cuda_templateIbEESt5tupleIJNSF_6TensorESK_SK_EERKSK_lbbbEUlllE0_EEPmJS9_EEE10hipError_tPvRmT3_T4_T5_T6_T7_T9_mT8_P12ihipStream_tbDpT10_ENKUlT_T0_E_clISt17integral_constantIbLb0EES1A_EEDaS15_S16_EUlS15_E_NS1_11comp_targetILNS1_3genE0ELNS1_11target_archE4294967295ELNS1_3gpuE0ELNS1_3repE0EEENS1_30default_config_static_selectorELNS0_4arch9wavefront6targetE0EEEvT1_.has_recursion, 0
	.set _ZN7rocprim17ROCPRIM_400000_NS6detail17trampoline_kernelINS0_14default_configENS1_25partition_config_selectorILNS1_17partition_subalgoE9EllbEEZZNS1_14partition_implILS5_9ELb0ES3_jPlS8_PNS0_10empty_typeENS0_5tupleIJS8_S9_EEENSB_IJS8_SA_EEENS0_18inequality_wrapperIZN2at6native12_GLOBAL__N_124unique_dim_cuda_templateIbEESt5tupleIJNSF_6TensorESK_SK_EERKSK_lbbbEUlllE0_EEPmJS9_EEE10hipError_tPvRmT3_T4_T5_T6_T7_T9_mT8_P12ihipStream_tbDpT10_ENKUlT_T0_E_clISt17integral_constantIbLb0EES1A_EEDaS15_S16_EUlS15_E_NS1_11comp_targetILNS1_3genE0ELNS1_11target_archE4294967295ELNS1_3gpuE0ELNS1_3repE0EEENS1_30default_config_static_selectorELNS0_4arch9wavefront6targetE0EEEvT1_.has_indirect_call, 0
	.section	.AMDGPU.csdata,"",@progbits
; Kernel info:
; codeLenInByte = 9824
; TotalNumSgprs: 33
; NumVgprs: 56
; ScratchSize: 0
; MemoryBound: 0
; FloatMode: 240
; IeeeMode: 1
; LDSByteSize: 5128 bytes/workgroup (compile time only)
; SGPRBlocks: 0
; VGPRBlocks: 3
; NumSGPRsForWavesPerEU: 33
; NumVGPRsForWavesPerEU: 56
; NamedBarCnt: 0
; Occupancy: 16
; WaveLimiterHint : 1
; COMPUTE_PGM_RSRC2:SCRATCH_EN: 0
; COMPUTE_PGM_RSRC2:USER_SGPR: 2
; COMPUTE_PGM_RSRC2:TRAP_HANDLER: 0
; COMPUTE_PGM_RSRC2:TGID_X_EN: 1
; COMPUTE_PGM_RSRC2:TGID_Y_EN: 0
; COMPUTE_PGM_RSRC2:TGID_Z_EN: 0
; COMPUTE_PGM_RSRC2:TIDIG_COMP_CNT: 0
	.section	.text._ZN7rocprim17ROCPRIM_400000_NS6detail17trampoline_kernelINS0_14default_configENS1_25partition_config_selectorILNS1_17partition_subalgoE9EllbEEZZNS1_14partition_implILS5_9ELb0ES3_jPlS8_PNS0_10empty_typeENS0_5tupleIJS8_S9_EEENSB_IJS8_SA_EEENS0_18inequality_wrapperIZN2at6native12_GLOBAL__N_124unique_dim_cuda_templateIbEESt5tupleIJNSF_6TensorESK_SK_EERKSK_lbbbEUlllE0_EEPmJS9_EEE10hipError_tPvRmT3_T4_T5_T6_T7_T9_mT8_P12ihipStream_tbDpT10_ENKUlT_T0_E_clISt17integral_constantIbLb0EES1A_EEDaS15_S16_EUlS15_E_NS1_11comp_targetILNS1_3genE5ELNS1_11target_archE942ELNS1_3gpuE9ELNS1_3repE0EEENS1_30default_config_static_selectorELNS0_4arch9wavefront6targetE0EEEvT1_,"axG",@progbits,_ZN7rocprim17ROCPRIM_400000_NS6detail17trampoline_kernelINS0_14default_configENS1_25partition_config_selectorILNS1_17partition_subalgoE9EllbEEZZNS1_14partition_implILS5_9ELb0ES3_jPlS8_PNS0_10empty_typeENS0_5tupleIJS8_S9_EEENSB_IJS8_SA_EEENS0_18inequality_wrapperIZN2at6native12_GLOBAL__N_124unique_dim_cuda_templateIbEESt5tupleIJNSF_6TensorESK_SK_EERKSK_lbbbEUlllE0_EEPmJS9_EEE10hipError_tPvRmT3_T4_T5_T6_T7_T9_mT8_P12ihipStream_tbDpT10_ENKUlT_T0_E_clISt17integral_constantIbLb0EES1A_EEDaS15_S16_EUlS15_E_NS1_11comp_targetILNS1_3genE5ELNS1_11target_archE942ELNS1_3gpuE9ELNS1_3repE0EEENS1_30default_config_static_selectorELNS0_4arch9wavefront6targetE0EEEvT1_,comdat
	.globl	_ZN7rocprim17ROCPRIM_400000_NS6detail17trampoline_kernelINS0_14default_configENS1_25partition_config_selectorILNS1_17partition_subalgoE9EllbEEZZNS1_14partition_implILS5_9ELb0ES3_jPlS8_PNS0_10empty_typeENS0_5tupleIJS8_S9_EEENSB_IJS8_SA_EEENS0_18inequality_wrapperIZN2at6native12_GLOBAL__N_124unique_dim_cuda_templateIbEESt5tupleIJNSF_6TensorESK_SK_EERKSK_lbbbEUlllE0_EEPmJS9_EEE10hipError_tPvRmT3_T4_T5_T6_T7_T9_mT8_P12ihipStream_tbDpT10_ENKUlT_T0_E_clISt17integral_constantIbLb0EES1A_EEDaS15_S16_EUlS15_E_NS1_11comp_targetILNS1_3genE5ELNS1_11target_archE942ELNS1_3gpuE9ELNS1_3repE0EEENS1_30default_config_static_selectorELNS0_4arch9wavefront6targetE0EEEvT1_ ; -- Begin function _ZN7rocprim17ROCPRIM_400000_NS6detail17trampoline_kernelINS0_14default_configENS1_25partition_config_selectorILNS1_17partition_subalgoE9EllbEEZZNS1_14partition_implILS5_9ELb0ES3_jPlS8_PNS0_10empty_typeENS0_5tupleIJS8_S9_EEENSB_IJS8_SA_EEENS0_18inequality_wrapperIZN2at6native12_GLOBAL__N_124unique_dim_cuda_templateIbEESt5tupleIJNSF_6TensorESK_SK_EERKSK_lbbbEUlllE0_EEPmJS9_EEE10hipError_tPvRmT3_T4_T5_T6_T7_T9_mT8_P12ihipStream_tbDpT10_ENKUlT_T0_E_clISt17integral_constantIbLb0EES1A_EEDaS15_S16_EUlS15_E_NS1_11comp_targetILNS1_3genE5ELNS1_11target_archE942ELNS1_3gpuE9ELNS1_3repE0EEENS1_30default_config_static_selectorELNS0_4arch9wavefront6targetE0EEEvT1_
	.p2align	8
	.type	_ZN7rocprim17ROCPRIM_400000_NS6detail17trampoline_kernelINS0_14default_configENS1_25partition_config_selectorILNS1_17partition_subalgoE9EllbEEZZNS1_14partition_implILS5_9ELb0ES3_jPlS8_PNS0_10empty_typeENS0_5tupleIJS8_S9_EEENSB_IJS8_SA_EEENS0_18inequality_wrapperIZN2at6native12_GLOBAL__N_124unique_dim_cuda_templateIbEESt5tupleIJNSF_6TensorESK_SK_EERKSK_lbbbEUlllE0_EEPmJS9_EEE10hipError_tPvRmT3_T4_T5_T6_T7_T9_mT8_P12ihipStream_tbDpT10_ENKUlT_T0_E_clISt17integral_constantIbLb0EES1A_EEDaS15_S16_EUlS15_E_NS1_11comp_targetILNS1_3genE5ELNS1_11target_archE942ELNS1_3gpuE9ELNS1_3repE0EEENS1_30default_config_static_selectorELNS0_4arch9wavefront6targetE0EEEvT1_,@function
_ZN7rocprim17ROCPRIM_400000_NS6detail17trampoline_kernelINS0_14default_configENS1_25partition_config_selectorILNS1_17partition_subalgoE9EllbEEZZNS1_14partition_implILS5_9ELb0ES3_jPlS8_PNS0_10empty_typeENS0_5tupleIJS8_S9_EEENSB_IJS8_SA_EEENS0_18inequality_wrapperIZN2at6native12_GLOBAL__N_124unique_dim_cuda_templateIbEESt5tupleIJNSF_6TensorESK_SK_EERKSK_lbbbEUlllE0_EEPmJS9_EEE10hipError_tPvRmT3_T4_T5_T6_T7_T9_mT8_P12ihipStream_tbDpT10_ENKUlT_T0_E_clISt17integral_constantIbLb0EES1A_EEDaS15_S16_EUlS15_E_NS1_11comp_targetILNS1_3genE5ELNS1_11target_archE942ELNS1_3gpuE9ELNS1_3repE0EEENS1_30default_config_static_selectorELNS0_4arch9wavefront6targetE0EEEvT1_: ; @_ZN7rocprim17ROCPRIM_400000_NS6detail17trampoline_kernelINS0_14default_configENS1_25partition_config_selectorILNS1_17partition_subalgoE9EllbEEZZNS1_14partition_implILS5_9ELb0ES3_jPlS8_PNS0_10empty_typeENS0_5tupleIJS8_S9_EEENSB_IJS8_SA_EEENS0_18inequality_wrapperIZN2at6native12_GLOBAL__N_124unique_dim_cuda_templateIbEESt5tupleIJNSF_6TensorESK_SK_EERKSK_lbbbEUlllE0_EEPmJS9_EEE10hipError_tPvRmT3_T4_T5_T6_T7_T9_mT8_P12ihipStream_tbDpT10_ENKUlT_T0_E_clISt17integral_constantIbLb0EES1A_EEDaS15_S16_EUlS15_E_NS1_11comp_targetILNS1_3genE5ELNS1_11target_archE942ELNS1_3gpuE9ELNS1_3repE0EEENS1_30default_config_static_selectorELNS0_4arch9wavefront6targetE0EEEvT1_
; %bb.0:
	.section	.rodata,"a",@progbits
	.p2align	6, 0x0
	.amdhsa_kernel _ZN7rocprim17ROCPRIM_400000_NS6detail17trampoline_kernelINS0_14default_configENS1_25partition_config_selectorILNS1_17partition_subalgoE9EllbEEZZNS1_14partition_implILS5_9ELb0ES3_jPlS8_PNS0_10empty_typeENS0_5tupleIJS8_S9_EEENSB_IJS8_SA_EEENS0_18inequality_wrapperIZN2at6native12_GLOBAL__N_124unique_dim_cuda_templateIbEESt5tupleIJNSF_6TensorESK_SK_EERKSK_lbbbEUlllE0_EEPmJS9_EEE10hipError_tPvRmT3_T4_T5_T6_T7_T9_mT8_P12ihipStream_tbDpT10_ENKUlT_T0_E_clISt17integral_constantIbLb0EES1A_EEDaS15_S16_EUlS15_E_NS1_11comp_targetILNS1_3genE5ELNS1_11target_archE942ELNS1_3gpuE9ELNS1_3repE0EEENS1_30default_config_static_selectorELNS0_4arch9wavefront6targetE0EEEvT1_
		.amdhsa_group_segment_fixed_size 0
		.amdhsa_private_segment_fixed_size 0
		.amdhsa_kernarg_size 120
		.amdhsa_user_sgpr_count 2
		.amdhsa_user_sgpr_dispatch_ptr 0
		.amdhsa_user_sgpr_queue_ptr 0
		.amdhsa_user_sgpr_kernarg_segment_ptr 1
		.amdhsa_user_sgpr_dispatch_id 0
		.amdhsa_user_sgpr_kernarg_preload_length 0
		.amdhsa_user_sgpr_kernarg_preload_offset 0
		.amdhsa_user_sgpr_private_segment_size 0
		.amdhsa_wavefront_size32 1
		.amdhsa_uses_dynamic_stack 0
		.amdhsa_enable_private_segment 0
		.amdhsa_system_sgpr_workgroup_id_x 1
		.amdhsa_system_sgpr_workgroup_id_y 0
		.amdhsa_system_sgpr_workgroup_id_z 0
		.amdhsa_system_sgpr_workgroup_info 0
		.amdhsa_system_vgpr_workitem_id 0
		.amdhsa_next_free_vgpr 1
		.amdhsa_next_free_sgpr 1
		.amdhsa_named_barrier_count 0
		.amdhsa_reserve_vcc 0
		.amdhsa_float_round_mode_32 0
		.amdhsa_float_round_mode_16_64 0
		.amdhsa_float_denorm_mode_32 3
		.amdhsa_float_denorm_mode_16_64 3
		.amdhsa_fp16_overflow 0
		.amdhsa_memory_ordered 1
		.amdhsa_forward_progress 1
		.amdhsa_inst_pref_size 0
		.amdhsa_round_robin_scheduling 0
		.amdhsa_exception_fp_ieee_invalid_op 0
		.amdhsa_exception_fp_denorm_src 0
		.amdhsa_exception_fp_ieee_div_zero 0
		.amdhsa_exception_fp_ieee_overflow 0
		.amdhsa_exception_fp_ieee_underflow 0
		.amdhsa_exception_fp_ieee_inexact 0
		.amdhsa_exception_int_div_zero 0
	.end_amdhsa_kernel
	.section	.text._ZN7rocprim17ROCPRIM_400000_NS6detail17trampoline_kernelINS0_14default_configENS1_25partition_config_selectorILNS1_17partition_subalgoE9EllbEEZZNS1_14partition_implILS5_9ELb0ES3_jPlS8_PNS0_10empty_typeENS0_5tupleIJS8_S9_EEENSB_IJS8_SA_EEENS0_18inequality_wrapperIZN2at6native12_GLOBAL__N_124unique_dim_cuda_templateIbEESt5tupleIJNSF_6TensorESK_SK_EERKSK_lbbbEUlllE0_EEPmJS9_EEE10hipError_tPvRmT3_T4_T5_T6_T7_T9_mT8_P12ihipStream_tbDpT10_ENKUlT_T0_E_clISt17integral_constantIbLb0EES1A_EEDaS15_S16_EUlS15_E_NS1_11comp_targetILNS1_3genE5ELNS1_11target_archE942ELNS1_3gpuE9ELNS1_3repE0EEENS1_30default_config_static_selectorELNS0_4arch9wavefront6targetE0EEEvT1_,"axG",@progbits,_ZN7rocprim17ROCPRIM_400000_NS6detail17trampoline_kernelINS0_14default_configENS1_25partition_config_selectorILNS1_17partition_subalgoE9EllbEEZZNS1_14partition_implILS5_9ELb0ES3_jPlS8_PNS0_10empty_typeENS0_5tupleIJS8_S9_EEENSB_IJS8_SA_EEENS0_18inequality_wrapperIZN2at6native12_GLOBAL__N_124unique_dim_cuda_templateIbEESt5tupleIJNSF_6TensorESK_SK_EERKSK_lbbbEUlllE0_EEPmJS9_EEE10hipError_tPvRmT3_T4_T5_T6_T7_T9_mT8_P12ihipStream_tbDpT10_ENKUlT_T0_E_clISt17integral_constantIbLb0EES1A_EEDaS15_S16_EUlS15_E_NS1_11comp_targetILNS1_3genE5ELNS1_11target_archE942ELNS1_3gpuE9ELNS1_3repE0EEENS1_30default_config_static_selectorELNS0_4arch9wavefront6targetE0EEEvT1_,comdat
.Lfunc_end1084:
	.size	_ZN7rocprim17ROCPRIM_400000_NS6detail17trampoline_kernelINS0_14default_configENS1_25partition_config_selectorILNS1_17partition_subalgoE9EllbEEZZNS1_14partition_implILS5_9ELb0ES3_jPlS8_PNS0_10empty_typeENS0_5tupleIJS8_S9_EEENSB_IJS8_SA_EEENS0_18inequality_wrapperIZN2at6native12_GLOBAL__N_124unique_dim_cuda_templateIbEESt5tupleIJNSF_6TensorESK_SK_EERKSK_lbbbEUlllE0_EEPmJS9_EEE10hipError_tPvRmT3_T4_T5_T6_T7_T9_mT8_P12ihipStream_tbDpT10_ENKUlT_T0_E_clISt17integral_constantIbLb0EES1A_EEDaS15_S16_EUlS15_E_NS1_11comp_targetILNS1_3genE5ELNS1_11target_archE942ELNS1_3gpuE9ELNS1_3repE0EEENS1_30default_config_static_selectorELNS0_4arch9wavefront6targetE0EEEvT1_, .Lfunc_end1084-_ZN7rocprim17ROCPRIM_400000_NS6detail17trampoline_kernelINS0_14default_configENS1_25partition_config_selectorILNS1_17partition_subalgoE9EllbEEZZNS1_14partition_implILS5_9ELb0ES3_jPlS8_PNS0_10empty_typeENS0_5tupleIJS8_S9_EEENSB_IJS8_SA_EEENS0_18inequality_wrapperIZN2at6native12_GLOBAL__N_124unique_dim_cuda_templateIbEESt5tupleIJNSF_6TensorESK_SK_EERKSK_lbbbEUlllE0_EEPmJS9_EEE10hipError_tPvRmT3_T4_T5_T6_T7_T9_mT8_P12ihipStream_tbDpT10_ENKUlT_T0_E_clISt17integral_constantIbLb0EES1A_EEDaS15_S16_EUlS15_E_NS1_11comp_targetILNS1_3genE5ELNS1_11target_archE942ELNS1_3gpuE9ELNS1_3repE0EEENS1_30default_config_static_selectorELNS0_4arch9wavefront6targetE0EEEvT1_
                                        ; -- End function
	.set _ZN7rocprim17ROCPRIM_400000_NS6detail17trampoline_kernelINS0_14default_configENS1_25partition_config_selectorILNS1_17partition_subalgoE9EllbEEZZNS1_14partition_implILS5_9ELb0ES3_jPlS8_PNS0_10empty_typeENS0_5tupleIJS8_S9_EEENSB_IJS8_SA_EEENS0_18inequality_wrapperIZN2at6native12_GLOBAL__N_124unique_dim_cuda_templateIbEESt5tupleIJNSF_6TensorESK_SK_EERKSK_lbbbEUlllE0_EEPmJS9_EEE10hipError_tPvRmT3_T4_T5_T6_T7_T9_mT8_P12ihipStream_tbDpT10_ENKUlT_T0_E_clISt17integral_constantIbLb0EES1A_EEDaS15_S16_EUlS15_E_NS1_11comp_targetILNS1_3genE5ELNS1_11target_archE942ELNS1_3gpuE9ELNS1_3repE0EEENS1_30default_config_static_selectorELNS0_4arch9wavefront6targetE0EEEvT1_.num_vgpr, 0
	.set _ZN7rocprim17ROCPRIM_400000_NS6detail17trampoline_kernelINS0_14default_configENS1_25partition_config_selectorILNS1_17partition_subalgoE9EllbEEZZNS1_14partition_implILS5_9ELb0ES3_jPlS8_PNS0_10empty_typeENS0_5tupleIJS8_S9_EEENSB_IJS8_SA_EEENS0_18inequality_wrapperIZN2at6native12_GLOBAL__N_124unique_dim_cuda_templateIbEESt5tupleIJNSF_6TensorESK_SK_EERKSK_lbbbEUlllE0_EEPmJS9_EEE10hipError_tPvRmT3_T4_T5_T6_T7_T9_mT8_P12ihipStream_tbDpT10_ENKUlT_T0_E_clISt17integral_constantIbLb0EES1A_EEDaS15_S16_EUlS15_E_NS1_11comp_targetILNS1_3genE5ELNS1_11target_archE942ELNS1_3gpuE9ELNS1_3repE0EEENS1_30default_config_static_selectorELNS0_4arch9wavefront6targetE0EEEvT1_.num_agpr, 0
	.set _ZN7rocprim17ROCPRIM_400000_NS6detail17trampoline_kernelINS0_14default_configENS1_25partition_config_selectorILNS1_17partition_subalgoE9EllbEEZZNS1_14partition_implILS5_9ELb0ES3_jPlS8_PNS0_10empty_typeENS0_5tupleIJS8_S9_EEENSB_IJS8_SA_EEENS0_18inequality_wrapperIZN2at6native12_GLOBAL__N_124unique_dim_cuda_templateIbEESt5tupleIJNSF_6TensorESK_SK_EERKSK_lbbbEUlllE0_EEPmJS9_EEE10hipError_tPvRmT3_T4_T5_T6_T7_T9_mT8_P12ihipStream_tbDpT10_ENKUlT_T0_E_clISt17integral_constantIbLb0EES1A_EEDaS15_S16_EUlS15_E_NS1_11comp_targetILNS1_3genE5ELNS1_11target_archE942ELNS1_3gpuE9ELNS1_3repE0EEENS1_30default_config_static_selectorELNS0_4arch9wavefront6targetE0EEEvT1_.numbered_sgpr, 0
	.set _ZN7rocprim17ROCPRIM_400000_NS6detail17trampoline_kernelINS0_14default_configENS1_25partition_config_selectorILNS1_17partition_subalgoE9EllbEEZZNS1_14partition_implILS5_9ELb0ES3_jPlS8_PNS0_10empty_typeENS0_5tupleIJS8_S9_EEENSB_IJS8_SA_EEENS0_18inequality_wrapperIZN2at6native12_GLOBAL__N_124unique_dim_cuda_templateIbEESt5tupleIJNSF_6TensorESK_SK_EERKSK_lbbbEUlllE0_EEPmJS9_EEE10hipError_tPvRmT3_T4_T5_T6_T7_T9_mT8_P12ihipStream_tbDpT10_ENKUlT_T0_E_clISt17integral_constantIbLb0EES1A_EEDaS15_S16_EUlS15_E_NS1_11comp_targetILNS1_3genE5ELNS1_11target_archE942ELNS1_3gpuE9ELNS1_3repE0EEENS1_30default_config_static_selectorELNS0_4arch9wavefront6targetE0EEEvT1_.num_named_barrier, 0
	.set _ZN7rocprim17ROCPRIM_400000_NS6detail17trampoline_kernelINS0_14default_configENS1_25partition_config_selectorILNS1_17partition_subalgoE9EllbEEZZNS1_14partition_implILS5_9ELb0ES3_jPlS8_PNS0_10empty_typeENS0_5tupleIJS8_S9_EEENSB_IJS8_SA_EEENS0_18inequality_wrapperIZN2at6native12_GLOBAL__N_124unique_dim_cuda_templateIbEESt5tupleIJNSF_6TensorESK_SK_EERKSK_lbbbEUlllE0_EEPmJS9_EEE10hipError_tPvRmT3_T4_T5_T6_T7_T9_mT8_P12ihipStream_tbDpT10_ENKUlT_T0_E_clISt17integral_constantIbLb0EES1A_EEDaS15_S16_EUlS15_E_NS1_11comp_targetILNS1_3genE5ELNS1_11target_archE942ELNS1_3gpuE9ELNS1_3repE0EEENS1_30default_config_static_selectorELNS0_4arch9wavefront6targetE0EEEvT1_.private_seg_size, 0
	.set _ZN7rocprim17ROCPRIM_400000_NS6detail17trampoline_kernelINS0_14default_configENS1_25partition_config_selectorILNS1_17partition_subalgoE9EllbEEZZNS1_14partition_implILS5_9ELb0ES3_jPlS8_PNS0_10empty_typeENS0_5tupleIJS8_S9_EEENSB_IJS8_SA_EEENS0_18inequality_wrapperIZN2at6native12_GLOBAL__N_124unique_dim_cuda_templateIbEESt5tupleIJNSF_6TensorESK_SK_EERKSK_lbbbEUlllE0_EEPmJS9_EEE10hipError_tPvRmT3_T4_T5_T6_T7_T9_mT8_P12ihipStream_tbDpT10_ENKUlT_T0_E_clISt17integral_constantIbLb0EES1A_EEDaS15_S16_EUlS15_E_NS1_11comp_targetILNS1_3genE5ELNS1_11target_archE942ELNS1_3gpuE9ELNS1_3repE0EEENS1_30default_config_static_selectorELNS0_4arch9wavefront6targetE0EEEvT1_.uses_vcc, 0
	.set _ZN7rocprim17ROCPRIM_400000_NS6detail17trampoline_kernelINS0_14default_configENS1_25partition_config_selectorILNS1_17partition_subalgoE9EllbEEZZNS1_14partition_implILS5_9ELb0ES3_jPlS8_PNS0_10empty_typeENS0_5tupleIJS8_S9_EEENSB_IJS8_SA_EEENS0_18inequality_wrapperIZN2at6native12_GLOBAL__N_124unique_dim_cuda_templateIbEESt5tupleIJNSF_6TensorESK_SK_EERKSK_lbbbEUlllE0_EEPmJS9_EEE10hipError_tPvRmT3_T4_T5_T6_T7_T9_mT8_P12ihipStream_tbDpT10_ENKUlT_T0_E_clISt17integral_constantIbLb0EES1A_EEDaS15_S16_EUlS15_E_NS1_11comp_targetILNS1_3genE5ELNS1_11target_archE942ELNS1_3gpuE9ELNS1_3repE0EEENS1_30default_config_static_selectorELNS0_4arch9wavefront6targetE0EEEvT1_.uses_flat_scratch, 0
	.set _ZN7rocprim17ROCPRIM_400000_NS6detail17trampoline_kernelINS0_14default_configENS1_25partition_config_selectorILNS1_17partition_subalgoE9EllbEEZZNS1_14partition_implILS5_9ELb0ES3_jPlS8_PNS0_10empty_typeENS0_5tupleIJS8_S9_EEENSB_IJS8_SA_EEENS0_18inequality_wrapperIZN2at6native12_GLOBAL__N_124unique_dim_cuda_templateIbEESt5tupleIJNSF_6TensorESK_SK_EERKSK_lbbbEUlllE0_EEPmJS9_EEE10hipError_tPvRmT3_T4_T5_T6_T7_T9_mT8_P12ihipStream_tbDpT10_ENKUlT_T0_E_clISt17integral_constantIbLb0EES1A_EEDaS15_S16_EUlS15_E_NS1_11comp_targetILNS1_3genE5ELNS1_11target_archE942ELNS1_3gpuE9ELNS1_3repE0EEENS1_30default_config_static_selectorELNS0_4arch9wavefront6targetE0EEEvT1_.has_dyn_sized_stack, 0
	.set _ZN7rocprim17ROCPRIM_400000_NS6detail17trampoline_kernelINS0_14default_configENS1_25partition_config_selectorILNS1_17partition_subalgoE9EllbEEZZNS1_14partition_implILS5_9ELb0ES3_jPlS8_PNS0_10empty_typeENS0_5tupleIJS8_S9_EEENSB_IJS8_SA_EEENS0_18inequality_wrapperIZN2at6native12_GLOBAL__N_124unique_dim_cuda_templateIbEESt5tupleIJNSF_6TensorESK_SK_EERKSK_lbbbEUlllE0_EEPmJS9_EEE10hipError_tPvRmT3_T4_T5_T6_T7_T9_mT8_P12ihipStream_tbDpT10_ENKUlT_T0_E_clISt17integral_constantIbLb0EES1A_EEDaS15_S16_EUlS15_E_NS1_11comp_targetILNS1_3genE5ELNS1_11target_archE942ELNS1_3gpuE9ELNS1_3repE0EEENS1_30default_config_static_selectorELNS0_4arch9wavefront6targetE0EEEvT1_.has_recursion, 0
	.set _ZN7rocprim17ROCPRIM_400000_NS6detail17trampoline_kernelINS0_14default_configENS1_25partition_config_selectorILNS1_17partition_subalgoE9EllbEEZZNS1_14partition_implILS5_9ELb0ES3_jPlS8_PNS0_10empty_typeENS0_5tupleIJS8_S9_EEENSB_IJS8_SA_EEENS0_18inequality_wrapperIZN2at6native12_GLOBAL__N_124unique_dim_cuda_templateIbEESt5tupleIJNSF_6TensorESK_SK_EERKSK_lbbbEUlllE0_EEPmJS9_EEE10hipError_tPvRmT3_T4_T5_T6_T7_T9_mT8_P12ihipStream_tbDpT10_ENKUlT_T0_E_clISt17integral_constantIbLb0EES1A_EEDaS15_S16_EUlS15_E_NS1_11comp_targetILNS1_3genE5ELNS1_11target_archE942ELNS1_3gpuE9ELNS1_3repE0EEENS1_30default_config_static_selectorELNS0_4arch9wavefront6targetE0EEEvT1_.has_indirect_call, 0
	.section	.AMDGPU.csdata,"",@progbits
; Kernel info:
; codeLenInByte = 0
; TotalNumSgprs: 0
; NumVgprs: 0
; ScratchSize: 0
; MemoryBound: 0
; FloatMode: 240
; IeeeMode: 1
; LDSByteSize: 0 bytes/workgroup (compile time only)
; SGPRBlocks: 0
; VGPRBlocks: 0
; NumSGPRsForWavesPerEU: 1
; NumVGPRsForWavesPerEU: 1
; NamedBarCnt: 0
; Occupancy: 16
; WaveLimiterHint : 0
; COMPUTE_PGM_RSRC2:SCRATCH_EN: 0
; COMPUTE_PGM_RSRC2:USER_SGPR: 2
; COMPUTE_PGM_RSRC2:TRAP_HANDLER: 0
; COMPUTE_PGM_RSRC2:TGID_X_EN: 1
; COMPUTE_PGM_RSRC2:TGID_Y_EN: 0
; COMPUTE_PGM_RSRC2:TGID_Z_EN: 0
; COMPUTE_PGM_RSRC2:TIDIG_COMP_CNT: 0
	.section	.text._ZN7rocprim17ROCPRIM_400000_NS6detail17trampoline_kernelINS0_14default_configENS1_25partition_config_selectorILNS1_17partition_subalgoE9EllbEEZZNS1_14partition_implILS5_9ELb0ES3_jPlS8_PNS0_10empty_typeENS0_5tupleIJS8_S9_EEENSB_IJS8_SA_EEENS0_18inequality_wrapperIZN2at6native12_GLOBAL__N_124unique_dim_cuda_templateIbEESt5tupleIJNSF_6TensorESK_SK_EERKSK_lbbbEUlllE0_EEPmJS9_EEE10hipError_tPvRmT3_T4_T5_T6_T7_T9_mT8_P12ihipStream_tbDpT10_ENKUlT_T0_E_clISt17integral_constantIbLb0EES1A_EEDaS15_S16_EUlS15_E_NS1_11comp_targetILNS1_3genE4ELNS1_11target_archE910ELNS1_3gpuE8ELNS1_3repE0EEENS1_30default_config_static_selectorELNS0_4arch9wavefront6targetE0EEEvT1_,"axG",@progbits,_ZN7rocprim17ROCPRIM_400000_NS6detail17trampoline_kernelINS0_14default_configENS1_25partition_config_selectorILNS1_17partition_subalgoE9EllbEEZZNS1_14partition_implILS5_9ELb0ES3_jPlS8_PNS0_10empty_typeENS0_5tupleIJS8_S9_EEENSB_IJS8_SA_EEENS0_18inequality_wrapperIZN2at6native12_GLOBAL__N_124unique_dim_cuda_templateIbEESt5tupleIJNSF_6TensorESK_SK_EERKSK_lbbbEUlllE0_EEPmJS9_EEE10hipError_tPvRmT3_T4_T5_T6_T7_T9_mT8_P12ihipStream_tbDpT10_ENKUlT_T0_E_clISt17integral_constantIbLb0EES1A_EEDaS15_S16_EUlS15_E_NS1_11comp_targetILNS1_3genE4ELNS1_11target_archE910ELNS1_3gpuE8ELNS1_3repE0EEENS1_30default_config_static_selectorELNS0_4arch9wavefront6targetE0EEEvT1_,comdat
	.globl	_ZN7rocprim17ROCPRIM_400000_NS6detail17trampoline_kernelINS0_14default_configENS1_25partition_config_selectorILNS1_17partition_subalgoE9EllbEEZZNS1_14partition_implILS5_9ELb0ES3_jPlS8_PNS0_10empty_typeENS0_5tupleIJS8_S9_EEENSB_IJS8_SA_EEENS0_18inequality_wrapperIZN2at6native12_GLOBAL__N_124unique_dim_cuda_templateIbEESt5tupleIJNSF_6TensorESK_SK_EERKSK_lbbbEUlllE0_EEPmJS9_EEE10hipError_tPvRmT3_T4_T5_T6_T7_T9_mT8_P12ihipStream_tbDpT10_ENKUlT_T0_E_clISt17integral_constantIbLb0EES1A_EEDaS15_S16_EUlS15_E_NS1_11comp_targetILNS1_3genE4ELNS1_11target_archE910ELNS1_3gpuE8ELNS1_3repE0EEENS1_30default_config_static_selectorELNS0_4arch9wavefront6targetE0EEEvT1_ ; -- Begin function _ZN7rocprim17ROCPRIM_400000_NS6detail17trampoline_kernelINS0_14default_configENS1_25partition_config_selectorILNS1_17partition_subalgoE9EllbEEZZNS1_14partition_implILS5_9ELb0ES3_jPlS8_PNS0_10empty_typeENS0_5tupleIJS8_S9_EEENSB_IJS8_SA_EEENS0_18inequality_wrapperIZN2at6native12_GLOBAL__N_124unique_dim_cuda_templateIbEESt5tupleIJNSF_6TensorESK_SK_EERKSK_lbbbEUlllE0_EEPmJS9_EEE10hipError_tPvRmT3_T4_T5_T6_T7_T9_mT8_P12ihipStream_tbDpT10_ENKUlT_T0_E_clISt17integral_constantIbLb0EES1A_EEDaS15_S16_EUlS15_E_NS1_11comp_targetILNS1_3genE4ELNS1_11target_archE910ELNS1_3gpuE8ELNS1_3repE0EEENS1_30default_config_static_selectorELNS0_4arch9wavefront6targetE0EEEvT1_
	.p2align	8
	.type	_ZN7rocprim17ROCPRIM_400000_NS6detail17trampoline_kernelINS0_14default_configENS1_25partition_config_selectorILNS1_17partition_subalgoE9EllbEEZZNS1_14partition_implILS5_9ELb0ES3_jPlS8_PNS0_10empty_typeENS0_5tupleIJS8_S9_EEENSB_IJS8_SA_EEENS0_18inequality_wrapperIZN2at6native12_GLOBAL__N_124unique_dim_cuda_templateIbEESt5tupleIJNSF_6TensorESK_SK_EERKSK_lbbbEUlllE0_EEPmJS9_EEE10hipError_tPvRmT3_T4_T5_T6_T7_T9_mT8_P12ihipStream_tbDpT10_ENKUlT_T0_E_clISt17integral_constantIbLb0EES1A_EEDaS15_S16_EUlS15_E_NS1_11comp_targetILNS1_3genE4ELNS1_11target_archE910ELNS1_3gpuE8ELNS1_3repE0EEENS1_30default_config_static_selectorELNS0_4arch9wavefront6targetE0EEEvT1_,@function
_ZN7rocprim17ROCPRIM_400000_NS6detail17trampoline_kernelINS0_14default_configENS1_25partition_config_selectorILNS1_17partition_subalgoE9EllbEEZZNS1_14partition_implILS5_9ELb0ES3_jPlS8_PNS0_10empty_typeENS0_5tupleIJS8_S9_EEENSB_IJS8_SA_EEENS0_18inequality_wrapperIZN2at6native12_GLOBAL__N_124unique_dim_cuda_templateIbEESt5tupleIJNSF_6TensorESK_SK_EERKSK_lbbbEUlllE0_EEPmJS9_EEE10hipError_tPvRmT3_T4_T5_T6_T7_T9_mT8_P12ihipStream_tbDpT10_ENKUlT_T0_E_clISt17integral_constantIbLb0EES1A_EEDaS15_S16_EUlS15_E_NS1_11comp_targetILNS1_3genE4ELNS1_11target_archE910ELNS1_3gpuE8ELNS1_3repE0EEENS1_30default_config_static_selectorELNS0_4arch9wavefront6targetE0EEEvT1_: ; @_ZN7rocprim17ROCPRIM_400000_NS6detail17trampoline_kernelINS0_14default_configENS1_25partition_config_selectorILNS1_17partition_subalgoE9EllbEEZZNS1_14partition_implILS5_9ELb0ES3_jPlS8_PNS0_10empty_typeENS0_5tupleIJS8_S9_EEENSB_IJS8_SA_EEENS0_18inequality_wrapperIZN2at6native12_GLOBAL__N_124unique_dim_cuda_templateIbEESt5tupleIJNSF_6TensorESK_SK_EERKSK_lbbbEUlllE0_EEPmJS9_EEE10hipError_tPvRmT3_T4_T5_T6_T7_T9_mT8_P12ihipStream_tbDpT10_ENKUlT_T0_E_clISt17integral_constantIbLb0EES1A_EEDaS15_S16_EUlS15_E_NS1_11comp_targetILNS1_3genE4ELNS1_11target_archE910ELNS1_3gpuE8ELNS1_3repE0EEENS1_30default_config_static_selectorELNS0_4arch9wavefront6targetE0EEEvT1_
; %bb.0:
	.section	.rodata,"a",@progbits
	.p2align	6, 0x0
	.amdhsa_kernel _ZN7rocprim17ROCPRIM_400000_NS6detail17trampoline_kernelINS0_14default_configENS1_25partition_config_selectorILNS1_17partition_subalgoE9EllbEEZZNS1_14partition_implILS5_9ELb0ES3_jPlS8_PNS0_10empty_typeENS0_5tupleIJS8_S9_EEENSB_IJS8_SA_EEENS0_18inequality_wrapperIZN2at6native12_GLOBAL__N_124unique_dim_cuda_templateIbEESt5tupleIJNSF_6TensorESK_SK_EERKSK_lbbbEUlllE0_EEPmJS9_EEE10hipError_tPvRmT3_T4_T5_T6_T7_T9_mT8_P12ihipStream_tbDpT10_ENKUlT_T0_E_clISt17integral_constantIbLb0EES1A_EEDaS15_S16_EUlS15_E_NS1_11comp_targetILNS1_3genE4ELNS1_11target_archE910ELNS1_3gpuE8ELNS1_3repE0EEENS1_30default_config_static_selectorELNS0_4arch9wavefront6targetE0EEEvT1_
		.amdhsa_group_segment_fixed_size 0
		.amdhsa_private_segment_fixed_size 0
		.amdhsa_kernarg_size 120
		.amdhsa_user_sgpr_count 2
		.amdhsa_user_sgpr_dispatch_ptr 0
		.amdhsa_user_sgpr_queue_ptr 0
		.amdhsa_user_sgpr_kernarg_segment_ptr 1
		.amdhsa_user_sgpr_dispatch_id 0
		.amdhsa_user_sgpr_kernarg_preload_length 0
		.amdhsa_user_sgpr_kernarg_preload_offset 0
		.amdhsa_user_sgpr_private_segment_size 0
		.amdhsa_wavefront_size32 1
		.amdhsa_uses_dynamic_stack 0
		.amdhsa_enable_private_segment 0
		.amdhsa_system_sgpr_workgroup_id_x 1
		.amdhsa_system_sgpr_workgroup_id_y 0
		.amdhsa_system_sgpr_workgroup_id_z 0
		.amdhsa_system_sgpr_workgroup_info 0
		.amdhsa_system_vgpr_workitem_id 0
		.amdhsa_next_free_vgpr 1
		.amdhsa_next_free_sgpr 1
		.amdhsa_named_barrier_count 0
		.amdhsa_reserve_vcc 0
		.amdhsa_float_round_mode_32 0
		.amdhsa_float_round_mode_16_64 0
		.amdhsa_float_denorm_mode_32 3
		.amdhsa_float_denorm_mode_16_64 3
		.amdhsa_fp16_overflow 0
		.amdhsa_memory_ordered 1
		.amdhsa_forward_progress 1
		.amdhsa_inst_pref_size 0
		.amdhsa_round_robin_scheduling 0
		.amdhsa_exception_fp_ieee_invalid_op 0
		.amdhsa_exception_fp_denorm_src 0
		.amdhsa_exception_fp_ieee_div_zero 0
		.amdhsa_exception_fp_ieee_overflow 0
		.amdhsa_exception_fp_ieee_underflow 0
		.amdhsa_exception_fp_ieee_inexact 0
		.amdhsa_exception_int_div_zero 0
	.end_amdhsa_kernel
	.section	.text._ZN7rocprim17ROCPRIM_400000_NS6detail17trampoline_kernelINS0_14default_configENS1_25partition_config_selectorILNS1_17partition_subalgoE9EllbEEZZNS1_14partition_implILS5_9ELb0ES3_jPlS8_PNS0_10empty_typeENS0_5tupleIJS8_S9_EEENSB_IJS8_SA_EEENS0_18inequality_wrapperIZN2at6native12_GLOBAL__N_124unique_dim_cuda_templateIbEESt5tupleIJNSF_6TensorESK_SK_EERKSK_lbbbEUlllE0_EEPmJS9_EEE10hipError_tPvRmT3_T4_T5_T6_T7_T9_mT8_P12ihipStream_tbDpT10_ENKUlT_T0_E_clISt17integral_constantIbLb0EES1A_EEDaS15_S16_EUlS15_E_NS1_11comp_targetILNS1_3genE4ELNS1_11target_archE910ELNS1_3gpuE8ELNS1_3repE0EEENS1_30default_config_static_selectorELNS0_4arch9wavefront6targetE0EEEvT1_,"axG",@progbits,_ZN7rocprim17ROCPRIM_400000_NS6detail17trampoline_kernelINS0_14default_configENS1_25partition_config_selectorILNS1_17partition_subalgoE9EllbEEZZNS1_14partition_implILS5_9ELb0ES3_jPlS8_PNS0_10empty_typeENS0_5tupleIJS8_S9_EEENSB_IJS8_SA_EEENS0_18inequality_wrapperIZN2at6native12_GLOBAL__N_124unique_dim_cuda_templateIbEESt5tupleIJNSF_6TensorESK_SK_EERKSK_lbbbEUlllE0_EEPmJS9_EEE10hipError_tPvRmT3_T4_T5_T6_T7_T9_mT8_P12ihipStream_tbDpT10_ENKUlT_T0_E_clISt17integral_constantIbLb0EES1A_EEDaS15_S16_EUlS15_E_NS1_11comp_targetILNS1_3genE4ELNS1_11target_archE910ELNS1_3gpuE8ELNS1_3repE0EEENS1_30default_config_static_selectorELNS0_4arch9wavefront6targetE0EEEvT1_,comdat
.Lfunc_end1085:
	.size	_ZN7rocprim17ROCPRIM_400000_NS6detail17trampoline_kernelINS0_14default_configENS1_25partition_config_selectorILNS1_17partition_subalgoE9EllbEEZZNS1_14partition_implILS5_9ELb0ES3_jPlS8_PNS0_10empty_typeENS0_5tupleIJS8_S9_EEENSB_IJS8_SA_EEENS0_18inequality_wrapperIZN2at6native12_GLOBAL__N_124unique_dim_cuda_templateIbEESt5tupleIJNSF_6TensorESK_SK_EERKSK_lbbbEUlllE0_EEPmJS9_EEE10hipError_tPvRmT3_T4_T5_T6_T7_T9_mT8_P12ihipStream_tbDpT10_ENKUlT_T0_E_clISt17integral_constantIbLb0EES1A_EEDaS15_S16_EUlS15_E_NS1_11comp_targetILNS1_3genE4ELNS1_11target_archE910ELNS1_3gpuE8ELNS1_3repE0EEENS1_30default_config_static_selectorELNS0_4arch9wavefront6targetE0EEEvT1_, .Lfunc_end1085-_ZN7rocprim17ROCPRIM_400000_NS6detail17trampoline_kernelINS0_14default_configENS1_25partition_config_selectorILNS1_17partition_subalgoE9EllbEEZZNS1_14partition_implILS5_9ELb0ES3_jPlS8_PNS0_10empty_typeENS0_5tupleIJS8_S9_EEENSB_IJS8_SA_EEENS0_18inequality_wrapperIZN2at6native12_GLOBAL__N_124unique_dim_cuda_templateIbEESt5tupleIJNSF_6TensorESK_SK_EERKSK_lbbbEUlllE0_EEPmJS9_EEE10hipError_tPvRmT3_T4_T5_T6_T7_T9_mT8_P12ihipStream_tbDpT10_ENKUlT_T0_E_clISt17integral_constantIbLb0EES1A_EEDaS15_S16_EUlS15_E_NS1_11comp_targetILNS1_3genE4ELNS1_11target_archE910ELNS1_3gpuE8ELNS1_3repE0EEENS1_30default_config_static_selectorELNS0_4arch9wavefront6targetE0EEEvT1_
                                        ; -- End function
	.set _ZN7rocprim17ROCPRIM_400000_NS6detail17trampoline_kernelINS0_14default_configENS1_25partition_config_selectorILNS1_17partition_subalgoE9EllbEEZZNS1_14partition_implILS5_9ELb0ES3_jPlS8_PNS0_10empty_typeENS0_5tupleIJS8_S9_EEENSB_IJS8_SA_EEENS0_18inequality_wrapperIZN2at6native12_GLOBAL__N_124unique_dim_cuda_templateIbEESt5tupleIJNSF_6TensorESK_SK_EERKSK_lbbbEUlllE0_EEPmJS9_EEE10hipError_tPvRmT3_T4_T5_T6_T7_T9_mT8_P12ihipStream_tbDpT10_ENKUlT_T0_E_clISt17integral_constantIbLb0EES1A_EEDaS15_S16_EUlS15_E_NS1_11comp_targetILNS1_3genE4ELNS1_11target_archE910ELNS1_3gpuE8ELNS1_3repE0EEENS1_30default_config_static_selectorELNS0_4arch9wavefront6targetE0EEEvT1_.num_vgpr, 0
	.set _ZN7rocprim17ROCPRIM_400000_NS6detail17trampoline_kernelINS0_14default_configENS1_25partition_config_selectorILNS1_17partition_subalgoE9EllbEEZZNS1_14partition_implILS5_9ELb0ES3_jPlS8_PNS0_10empty_typeENS0_5tupleIJS8_S9_EEENSB_IJS8_SA_EEENS0_18inequality_wrapperIZN2at6native12_GLOBAL__N_124unique_dim_cuda_templateIbEESt5tupleIJNSF_6TensorESK_SK_EERKSK_lbbbEUlllE0_EEPmJS9_EEE10hipError_tPvRmT3_T4_T5_T6_T7_T9_mT8_P12ihipStream_tbDpT10_ENKUlT_T0_E_clISt17integral_constantIbLb0EES1A_EEDaS15_S16_EUlS15_E_NS1_11comp_targetILNS1_3genE4ELNS1_11target_archE910ELNS1_3gpuE8ELNS1_3repE0EEENS1_30default_config_static_selectorELNS0_4arch9wavefront6targetE0EEEvT1_.num_agpr, 0
	.set _ZN7rocprim17ROCPRIM_400000_NS6detail17trampoline_kernelINS0_14default_configENS1_25partition_config_selectorILNS1_17partition_subalgoE9EllbEEZZNS1_14partition_implILS5_9ELb0ES3_jPlS8_PNS0_10empty_typeENS0_5tupleIJS8_S9_EEENSB_IJS8_SA_EEENS0_18inequality_wrapperIZN2at6native12_GLOBAL__N_124unique_dim_cuda_templateIbEESt5tupleIJNSF_6TensorESK_SK_EERKSK_lbbbEUlllE0_EEPmJS9_EEE10hipError_tPvRmT3_T4_T5_T6_T7_T9_mT8_P12ihipStream_tbDpT10_ENKUlT_T0_E_clISt17integral_constantIbLb0EES1A_EEDaS15_S16_EUlS15_E_NS1_11comp_targetILNS1_3genE4ELNS1_11target_archE910ELNS1_3gpuE8ELNS1_3repE0EEENS1_30default_config_static_selectorELNS0_4arch9wavefront6targetE0EEEvT1_.numbered_sgpr, 0
	.set _ZN7rocprim17ROCPRIM_400000_NS6detail17trampoline_kernelINS0_14default_configENS1_25partition_config_selectorILNS1_17partition_subalgoE9EllbEEZZNS1_14partition_implILS5_9ELb0ES3_jPlS8_PNS0_10empty_typeENS0_5tupleIJS8_S9_EEENSB_IJS8_SA_EEENS0_18inequality_wrapperIZN2at6native12_GLOBAL__N_124unique_dim_cuda_templateIbEESt5tupleIJNSF_6TensorESK_SK_EERKSK_lbbbEUlllE0_EEPmJS9_EEE10hipError_tPvRmT3_T4_T5_T6_T7_T9_mT8_P12ihipStream_tbDpT10_ENKUlT_T0_E_clISt17integral_constantIbLb0EES1A_EEDaS15_S16_EUlS15_E_NS1_11comp_targetILNS1_3genE4ELNS1_11target_archE910ELNS1_3gpuE8ELNS1_3repE0EEENS1_30default_config_static_selectorELNS0_4arch9wavefront6targetE0EEEvT1_.num_named_barrier, 0
	.set _ZN7rocprim17ROCPRIM_400000_NS6detail17trampoline_kernelINS0_14default_configENS1_25partition_config_selectorILNS1_17partition_subalgoE9EllbEEZZNS1_14partition_implILS5_9ELb0ES3_jPlS8_PNS0_10empty_typeENS0_5tupleIJS8_S9_EEENSB_IJS8_SA_EEENS0_18inequality_wrapperIZN2at6native12_GLOBAL__N_124unique_dim_cuda_templateIbEESt5tupleIJNSF_6TensorESK_SK_EERKSK_lbbbEUlllE0_EEPmJS9_EEE10hipError_tPvRmT3_T4_T5_T6_T7_T9_mT8_P12ihipStream_tbDpT10_ENKUlT_T0_E_clISt17integral_constantIbLb0EES1A_EEDaS15_S16_EUlS15_E_NS1_11comp_targetILNS1_3genE4ELNS1_11target_archE910ELNS1_3gpuE8ELNS1_3repE0EEENS1_30default_config_static_selectorELNS0_4arch9wavefront6targetE0EEEvT1_.private_seg_size, 0
	.set _ZN7rocprim17ROCPRIM_400000_NS6detail17trampoline_kernelINS0_14default_configENS1_25partition_config_selectorILNS1_17partition_subalgoE9EllbEEZZNS1_14partition_implILS5_9ELb0ES3_jPlS8_PNS0_10empty_typeENS0_5tupleIJS8_S9_EEENSB_IJS8_SA_EEENS0_18inequality_wrapperIZN2at6native12_GLOBAL__N_124unique_dim_cuda_templateIbEESt5tupleIJNSF_6TensorESK_SK_EERKSK_lbbbEUlllE0_EEPmJS9_EEE10hipError_tPvRmT3_T4_T5_T6_T7_T9_mT8_P12ihipStream_tbDpT10_ENKUlT_T0_E_clISt17integral_constantIbLb0EES1A_EEDaS15_S16_EUlS15_E_NS1_11comp_targetILNS1_3genE4ELNS1_11target_archE910ELNS1_3gpuE8ELNS1_3repE0EEENS1_30default_config_static_selectorELNS0_4arch9wavefront6targetE0EEEvT1_.uses_vcc, 0
	.set _ZN7rocprim17ROCPRIM_400000_NS6detail17trampoline_kernelINS0_14default_configENS1_25partition_config_selectorILNS1_17partition_subalgoE9EllbEEZZNS1_14partition_implILS5_9ELb0ES3_jPlS8_PNS0_10empty_typeENS0_5tupleIJS8_S9_EEENSB_IJS8_SA_EEENS0_18inequality_wrapperIZN2at6native12_GLOBAL__N_124unique_dim_cuda_templateIbEESt5tupleIJNSF_6TensorESK_SK_EERKSK_lbbbEUlllE0_EEPmJS9_EEE10hipError_tPvRmT3_T4_T5_T6_T7_T9_mT8_P12ihipStream_tbDpT10_ENKUlT_T0_E_clISt17integral_constantIbLb0EES1A_EEDaS15_S16_EUlS15_E_NS1_11comp_targetILNS1_3genE4ELNS1_11target_archE910ELNS1_3gpuE8ELNS1_3repE0EEENS1_30default_config_static_selectorELNS0_4arch9wavefront6targetE0EEEvT1_.uses_flat_scratch, 0
	.set _ZN7rocprim17ROCPRIM_400000_NS6detail17trampoline_kernelINS0_14default_configENS1_25partition_config_selectorILNS1_17partition_subalgoE9EllbEEZZNS1_14partition_implILS5_9ELb0ES3_jPlS8_PNS0_10empty_typeENS0_5tupleIJS8_S9_EEENSB_IJS8_SA_EEENS0_18inequality_wrapperIZN2at6native12_GLOBAL__N_124unique_dim_cuda_templateIbEESt5tupleIJNSF_6TensorESK_SK_EERKSK_lbbbEUlllE0_EEPmJS9_EEE10hipError_tPvRmT3_T4_T5_T6_T7_T9_mT8_P12ihipStream_tbDpT10_ENKUlT_T0_E_clISt17integral_constantIbLb0EES1A_EEDaS15_S16_EUlS15_E_NS1_11comp_targetILNS1_3genE4ELNS1_11target_archE910ELNS1_3gpuE8ELNS1_3repE0EEENS1_30default_config_static_selectorELNS0_4arch9wavefront6targetE0EEEvT1_.has_dyn_sized_stack, 0
	.set _ZN7rocprim17ROCPRIM_400000_NS6detail17trampoline_kernelINS0_14default_configENS1_25partition_config_selectorILNS1_17partition_subalgoE9EllbEEZZNS1_14partition_implILS5_9ELb0ES3_jPlS8_PNS0_10empty_typeENS0_5tupleIJS8_S9_EEENSB_IJS8_SA_EEENS0_18inequality_wrapperIZN2at6native12_GLOBAL__N_124unique_dim_cuda_templateIbEESt5tupleIJNSF_6TensorESK_SK_EERKSK_lbbbEUlllE0_EEPmJS9_EEE10hipError_tPvRmT3_T4_T5_T6_T7_T9_mT8_P12ihipStream_tbDpT10_ENKUlT_T0_E_clISt17integral_constantIbLb0EES1A_EEDaS15_S16_EUlS15_E_NS1_11comp_targetILNS1_3genE4ELNS1_11target_archE910ELNS1_3gpuE8ELNS1_3repE0EEENS1_30default_config_static_selectorELNS0_4arch9wavefront6targetE0EEEvT1_.has_recursion, 0
	.set _ZN7rocprim17ROCPRIM_400000_NS6detail17trampoline_kernelINS0_14default_configENS1_25partition_config_selectorILNS1_17partition_subalgoE9EllbEEZZNS1_14partition_implILS5_9ELb0ES3_jPlS8_PNS0_10empty_typeENS0_5tupleIJS8_S9_EEENSB_IJS8_SA_EEENS0_18inequality_wrapperIZN2at6native12_GLOBAL__N_124unique_dim_cuda_templateIbEESt5tupleIJNSF_6TensorESK_SK_EERKSK_lbbbEUlllE0_EEPmJS9_EEE10hipError_tPvRmT3_T4_T5_T6_T7_T9_mT8_P12ihipStream_tbDpT10_ENKUlT_T0_E_clISt17integral_constantIbLb0EES1A_EEDaS15_S16_EUlS15_E_NS1_11comp_targetILNS1_3genE4ELNS1_11target_archE910ELNS1_3gpuE8ELNS1_3repE0EEENS1_30default_config_static_selectorELNS0_4arch9wavefront6targetE0EEEvT1_.has_indirect_call, 0
	.section	.AMDGPU.csdata,"",@progbits
; Kernel info:
; codeLenInByte = 0
; TotalNumSgprs: 0
; NumVgprs: 0
; ScratchSize: 0
; MemoryBound: 0
; FloatMode: 240
; IeeeMode: 1
; LDSByteSize: 0 bytes/workgroup (compile time only)
; SGPRBlocks: 0
; VGPRBlocks: 0
; NumSGPRsForWavesPerEU: 1
; NumVGPRsForWavesPerEU: 1
; NamedBarCnt: 0
; Occupancy: 16
; WaveLimiterHint : 0
; COMPUTE_PGM_RSRC2:SCRATCH_EN: 0
; COMPUTE_PGM_RSRC2:USER_SGPR: 2
; COMPUTE_PGM_RSRC2:TRAP_HANDLER: 0
; COMPUTE_PGM_RSRC2:TGID_X_EN: 1
; COMPUTE_PGM_RSRC2:TGID_Y_EN: 0
; COMPUTE_PGM_RSRC2:TGID_Z_EN: 0
; COMPUTE_PGM_RSRC2:TIDIG_COMP_CNT: 0
	.section	.text._ZN7rocprim17ROCPRIM_400000_NS6detail17trampoline_kernelINS0_14default_configENS1_25partition_config_selectorILNS1_17partition_subalgoE9EllbEEZZNS1_14partition_implILS5_9ELb0ES3_jPlS8_PNS0_10empty_typeENS0_5tupleIJS8_S9_EEENSB_IJS8_SA_EEENS0_18inequality_wrapperIZN2at6native12_GLOBAL__N_124unique_dim_cuda_templateIbEESt5tupleIJNSF_6TensorESK_SK_EERKSK_lbbbEUlllE0_EEPmJS9_EEE10hipError_tPvRmT3_T4_T5_T6_T7_T9_mT8_P12ihipStream_tbDpT10_ENKUlT_T0_E_clISt17integral_constantIbLb0EES1A_EEDaS15_S16_EUlS15_E_NS1_11comp_targetILNS1_3genE3ELNS1_11target_archE908ELNS1_3gpuE7ELNS1_3repE0EEENS1_30default_config_static_selectorELNS0_4arch9wavefront6targetE0EEEvT1_,"axG",@progbits,_ZN7rocprim17ROCPRIM_400000_NS6detail17trampoline_kernelINS0_14default_configENS1_25partition_config_selectorILNS1_17partition_subalgoE9EllbEEZZNS1_14partition_implILS5_9ELb0ES3_jPlS8_PNS0_10empty_typeENS0_5tupleIJS8_S9_EEENSB_IJS8_SA_EEENS0_18inequality_wrapperIZN2at6native12_GLOBAL__N_124unique_dim_cuda_templateIbEESt5tupleIJNSF_6TensorESK_SK_EERKSK_lbbbEUlllE0_EEPmJS9_EEE10hipError_tPvRmT3_T4_T5_T6_T7_T9_mT8_P12ihipStream_tbDpT10_ENKUlT_T0_E_clISt17integral_constantIbLb0EES1A_EEDaS15_S16_EUlS15_E_NS1_11comp_targetILNS1_3genE3ELNS1_11target_archE908ELNS1_3gpuE7ELNS1_3repE0EEENS1_30default_config_static_selectorELNS0_4arch9wavefront6targetE0EEEvT1_,comdat
	.globl	_ZN7rocprim17ROCPRIM_400000_NS6detail17trampoline_kernelINS0_14default_configENS1_25partition_config_selectorILNS1_17partition_subalgoE9EllbEEZZNS1_14partition_implILS5_9ELb0ES3_jPlS8_PNS0_10empty_typeENS0_5tupleIJS8_S9_EEENSB_IJS8_SA_EEENS0_18inequality_wrapperIZN2at6native12_GLOBAL__N_124unique_dim_cuda_templateIbEESt5tupleIJNSF_6TensorESK_SK_EERKSK_lbbbEUlllE0_EEPmJS9_EEE10hipError_tPvRmT3_T4_T5_T6_T7_T9_mT8_P12ihipStream_tbDpT10_ENKUlT_T0_E_clISt17integral_constantIbLb0EES1A_EEDaS15_S16_EUlS15_E_NS1_11comp_targetILNS1_3genE3ELNS1_11target_archE908ELNS1_3gpuE7ELNS1_3repE0EEENS1_30default_config_static_selectorELNS0_4arch9wavefront6targetE0EEEvT1_ ; -- Begin function _ZN7rocprim17ROCPRIM_400000_NS6detail17trampoline_kernelINS0_14default_configENS1_25partition_config_selectorILNS1_17partition_subalgoE9EllbEEZZNS1_14partition_implILS5_9ELb0ES3_jPlS8_PNS0_10empty_typeENS0_5tupleIJS8_S9_EEENSB_IJS8_SA_EEENS0_18inequality_wrapperIZN2at6native12_GLOBAL__N_124unique_dim_cuda_templateIbEESt5tupleIJNSF_6TensorESK_SK_EERKSK_lbbbEUlllE0_EEPmJS9_EEE10hipError_tPvRmT3_T4_T5_T6_T7_T9_mT8_P12ihipStream_tbDpT10_ENKUlT_T0_E_clISt17integral_constantIbLb0EES1A_EEDaS15_S16_EUlS15_E_NS1_11comp_targetILNS1_3genE3ELNS1_11target_archE908ELNS1_3gpuE7ELNS1_3repE0EEENS1_30default_config_static_selectorELNS0_4arch9wavefront6targetE0EEEvT1_
	.p2align	8
	.type	_ZN7rocprim17ROCPRIM_400000_NS6detail17trampoline_kernelINS0_14default_configENS1_25partition_config_selectorILNS1_17partition_subalgoE9EllbEEZZNS1_14partition_implILS5_9ELb0ES3_jPlS8_PNS0_10empty_typeENS0_5tupleIJS8_S9_EEENSB_IJS8_SA_EEENS0_18inequality_wrapperIZN2at6native12_GLOBAL__N_124unique_dim_cuda_templateIbEESt5tupleIJNSF_6TensorESK_SK_EERKSK_lbbbEUlllE0_EEPmJS9_EEE10hipError_tPvRmT3_T4_T5_T6_T7_T9_mT8_P12ihipStream_tbDpT10_ENKUlT_T0_E_clISt17integral_constantIbLb0EES1A_EEDaS15_S16_EUlS15_E_NS1_11comp_targetILNS1_3genE3ELNS1_11target_archE908ELNS1_3gpuE7ELNS1_3repE0EEENS1_30default_config_static_selectorELNS0_4arch9wavefront6targetE0EEEvT1_,@function
_ZN7rocprim17ROCPRIM_400000_NS6detail17trampoline_kernelINS0_14default_configENS1_25partition_config_selectorILNS1_17partition_subalgoE9EllbEEZZNS1_14partition_implILS5_9ELb0ES3_jPlS8_PNS0_10empty_typeENS0_5tupleIJS8_S9_EEENSB_IJS8_SA_EEENS0_18inequality_wrapperIZN2at6native12_GLOBAL__N_124unique_dim_cuda_templateIbEESt5tupleIJNSF_6TensorESK_SK_EERKSK_lbbbEUlllE0_EEPmJS9_EEE10hipError_tPvRmT3_T4_T5_T6_T7_T9_mT8_P12ihipStream_tbDpT10_ENKUlT_T0_E_clISt17integral_constantIbLb0EES1A_EEDaS15_S16_EUlS15_E_NS1_11comp_targetILNS1_3genE3ELNS1_11target_archE908ELNS1_3gpuE7ELNS1_3repE0EEENS1_30default_config_static_selectorELNS0_4arch9wavefront6targetE0EEEvT1_: ; @_ZN7rocprim17ROCPRIM_400000_NS6detail17trampoline_kernelINS0_14default_configENS1_25partition_config_selectorILNS1_17partition_subalgoE9EllbEEZZNS1_14partition_implILS5_9ELb0ES3_jPlS8_PNS0_10empty_typeENS0_5tupleIJS8_S9_EEENSB_IJS8_SA_EEENS0_18inequality_wrapperIZN2at6native12_GLOBAL__N_124unique_dim_cuda_templateIbEESt5tupleIJNSF_6TensorESK_SK_EERKSK_lbbbEUlllE0_EEPmJS9_EEE10hipError_tPvRmT3_T4_T5_T6_T7_T9_mT8_P12ihipStream_tbDpT10_ENKUlT_T0_E_clISt17integral_constantIbLb0EES1A_EEDaS15_S16_EUlS15_E_NS1_11comp_targetILNS1_3genE3ELNS1_11target_archE908ELNS1_3gpuE7ELNS1_3repE0EEENS1_30default_config_static_selectorELNS0_4arch9wavefront6targetE0EEEvT1_
; %bb.0:
	.section	.rodata,"a",@progbits
	.p2align	6, 0x0
	.amdhsa_kernel _ZN7rocprim17ROCPRIM_400000_NS6detail17trampoline_kernelINS0_14default_configENS1_25partition_config_selectorILNS1_17partition_subalgoE9EllbEEZZNS1_14partition_implILS5_9ELb0ES3_jPlS8_PNS0_10empty_typeENS0_5tupleIJS8_S9_EEENSB_IJS8_SA_EEENS0_18inequality_wrapperIZN2at6native12_GLOBAL__N_124unique_dim_cuda_templateIbEESt5tupleIJNSF_6TensorESK_SK_EERKSK_lbbbEUlllE0_EEPmJS9_EEE10hipError_tPvRmT3_T4_T5_T6_T7_T9_mT8_P12ihipStream_tbDpT10_ENKUlT_T0_E_clISt17integral_constantIbLb0EES1A_EEDaS15_S16_EUlS15_E_NS1_11comp_targetILNS1_3genE3ELNS1_11target_archE908ELNS1_3gpuE7ELNS1_3repE0EEENS1_30default_config_static_selectorELNS0_4arch9wavefront6targetE0EEEvT1_
		.amdhsa_group_segment_fixed_size 0
		.amdhsa_private_segment_fixed_size 0
		.amdhsa_kernarg_size 120
		.amdhsa_user_sgpr_count 2
		.amdhsa_user_sgpr_dispatch_ptr 0
		.amdhsa_user_sgpr_queue_ptr 0
		.amdhsa_user_sgpr_kernarg_segment_ptr 1
		.amdhsa_user_sgpr_dispatch_id 0
		.amdhsa_user_sgpr_kernarg_preload_length 0
		.amdhsa_user_sgpr_kernarg_preload_offset 0
		.amdhsa_user_sgpr_private_segment_size 0
		.amdhsa_wavefront_size32 1
		.amdhsa_uses_dynamic_stack 0
		.amdhsa_enable_private_segment 0
		.amdhsa_system_sgpr_workgroup_id_x 1
		.amdhsa_system_sgpr_workgroup_id_y 0
		.amdhsa_system_sgpr_workgroup_id_z 0
		.amdhsa_system_sgpr_workgroup_info 0
		.amdhsa_system_vgpr_workitem_id 0
		.amdhsa_next_free_vgpr 1
		.amdhsa_next_free_sgpr 1
		.amdhsa_named_barrier_count 0
		.amdhsa_reserve_vcc 0
		.amdhsa_float_round_mode_32 0
		.amdhsa_float_round_mode_16_64 0
		.amdhsa_float_denorm_mode_32 3
		.amdhsa_float_denorm_mode_16_64 3
		.amdhsa_fp16_overflow 0
		.amdhsa_memory_ordered 1
		.amdhsa_forward_progress 1
		.amdhsa_inst_pref_size 0
		.amdhsa_round_robin_scheduling 0
		.amdhsa_exception_fp_ieee_invalid_op 0
		.amdhsa_exception_fp_denorm_src 0
		.amdhsa_exception_fp_ieee_div_zero 0
		.amdhsa_exception_fp_ieee_overflow 0
		.amdhsa_exception_fp_ieee_underflow 0
		.amdhsa_exception_fp_ieee_inexact 0
		.amdhsa_exception_int_div_zero 0
	.end_amdhsa_kernel
	.section	.text._ZN7rocprim17ROCPRIM_400000_NS6detail17trampoline_kernelINS0_14default_configENS1_25partition_config_selectorILNS1_17partition_subalgoE9EllbEEZZNS1_14partition_implILS5_9ELb0ES3_jPlS8_PNS0_10empty_typeENS0_5tupleIJS8_S9_EEENSB_IJS8_SA_EEENS0_18inequality_wrapperIZN2at6native12_GLOBAL__N_124unique_dim_cuda_templateIbEESt5tupleIJNSF_6TensorESK_SK_EERKSK_lbbbEUlllE0_EEPmJS9_EEE10hipError_tPvRmT3_T4_T5_T6_T7_T9_mT8_P12ihipStream_tbDpT10_ENKUlT_T0_E_clISt17integral_constantIbLb0EES1A_EEDaS15_S16_EUlS15_E_NS1_11comp_targetILNS1_3genE3ELNS1_11target_archE908ELNS1_3gpuE7ELNS1_3repE0EEENS1_30default_config_static_selectorELNS0_4arch9wavefront6targetE0EEEvT1_,"axG",@progbits,_ZN7rocprim17ROCPRIM_400000_NS6detail17trampoline_kernelINS0_14default_configENS1_25partition_config_selectorILNS1_17partition_subalgoE9EllbEEZZNS1_14partition_implILS5_9ELb0ES3_jPlS8_PNS0_10empty_typeENS0_5tupleIJS8_S9_EEENSB_IJS8_SA_EEENS0_18inequality_wrapperIZN2at6native12_GLOBAL__N_124unique_dim_cuda_templateIbEESt5tupleIJNSF_6TensorESK_SK_EERKSK_lbbbEUlllE0_EEPmJS9_EEE10hipError_tPvRmT3_T4_T5_T6_T7_T9_mT8_P12ihipStream_tbDpT10_ENKUlT_T0_E_clISt17integral_constantIbLb0EES1A_EEDaS15_S16_EUlS15_E_NS1_11comp_targetILNS1_3genE3ELNS1_11target_archE908ELNS1_3gpuE7ELNS1_3repE0EEENS1_30default_config_static_selectorELNS0_4arch9wavefront6targetE0EEEvT1_,comdat
.Lfunc_end1086:
	.size	_ZN7rocprim17ROCPRIM_400000_NS6detail17trampoline_kernelINS0_14default_configENS1_25partition_config_selectorILNS1_17partition_subalgoE9EllbEEZZNS1_14partition_implILS5_9ELb0ES3_jPlS8_PNS0_10empty_typeENS0_5tupleIJS8_S9_EEENSB_IJS8_SA_EEENS0_18inequality_wrapperIZN2at6native12_GLOBAL__N_124unique_dim_cuda_templateIbEESt5tupleIJNSF_6TensorESK_SK_EERKSK_lbbbEUlllE0_EEPmJS9_EEE10hipError_tPvRmT3_T4_T5_T6_T7_T9_mT8_P12ihipStream_tbDpT10_ENKUlT_T0_E_clISt17integral_constantIbLb0EES1A_EEDaS15_S16_EUlS15_E_NS1_11comp_targetILNS1_3genE3ELNS1_11target_archE908ELNS1_3gpuE7ELNS1_3repE0EEENS1_30default_config_static_selectorELNS0_4arch9wavefront6targetE0EEEvT1_, .Lfunc_end1086-_ZN7rocprim17ROCPRIM_400000_NS6detail17trampoline_kernelINS0_14default_configENS1_25partition_config_selectorILNS1_17partition_subalgoE9EllbEEZZNS1_14partition_implILS5_9ELb0ES3_jPlS8_PNS0_10empty_typeENS0_5tupleIJS8_S9_EEENSB_IJS8_SA_EEENS0_18inequality_wrapperIZN2at6native12_GLOBAL__N_124unique_dim_cuda_templateIbEESt5tupleIJNSF_6TensorESK_SK_EERKSK_lbbbEUlllE0_EEPmJS9_EEE10hipError_tPvRmT3_T4_T5_T6_T7_T9_mT8_P12ihipStream_tbDpT10_ENKUlT_T0_E_clISt17integral_constantIbLb0EES1A_EEDaS15_S16_EUlS15_E_NS1_11comp_targetILNS1_3genE3ELNS1_11target_archE908ELNS1_3gpuE7ELNS1_3repE0EEENS1_30default_config_static_selectorELNS0_4arch9wavefront6targetE0EEEvT1_
                                        ; -- End function
	.set _ZN7rocprim17ROCPRIM_400000_NS6detail17trampoline_kernelINS0_14default_configENS1_25partition_config_selectorILNS1_17partition_subalgoE9EllbEEZZNS1_14partition_implILS5_9ELb0ES3_jPlS8_PNS0_10empty_typeENS0_5tupleIJS8_S9_EEENSB_IJS8_SA_EEENS0_18inequality_wrapperIZN2at6native12_GLOBAL__N_124unique_dim_cuda_templateIbEESt5tupleIJNSF_6TensorESK_SK_EERKSK_lbbbEUlllE0_EEPmJS9_EEE10hipError_tPvRmT3_T4_T5_T6_T7_T9_mT8_P12ihipStream_tbDpT10_ENKUlT_T0_E_clISt17integral_constantIbLb0EES1A_EEDaS15_S16_EUlS15_E_NS1_11comp_targetILNS1_3genE3ELNS1_11target_archE908ELNS1_3gpuE7ELNS1_3repE0EEENS1_30default_config_static_selectorELNS0_4arch9wavefront6targetE0EEEvT1_.num_vgpr, 0
	.set _ZN7rocprim17ROCPRIM_400000_NS6detail17trampoline_kernelINS0_14default_configENS1_25partition_config_selectorILNS1_17partition_subalgoE9EllbEEZZNS1_14partition_implILS5_9ELb0ES3_jPlS8_PNS0_10empty_typeENS0_5tupleIJS8_S9_EEENSB_IJS8_SA_EEENS0_18inequality_wrapperIZN2at6native12_GLOBAL__N_124unique_dim_cuda_templateIbEESt5tupleIJNSF_6TensorESK_SK_EERKSK_lbbbEUlllE0_EEPmJS9_EEE10hipError_tPvRmT3_T4_T5_T6_T7_T9_mT8_P12ihipStream_tbDpT10_ENKUlT_T0_E_clISt17integral_constantIbLb0EES1A_EEDaS15_S16_EUlS15_E_NS1_11comp_targetILNS1_3genE3ELNS1_11target_archE908ELNS1_3gpuE7ELNS1_3repE0EEENS1_30default_config_static_selectorELNS0_4arch9wavefront6targetE0EEEvT1_.num_agpr, 0
	.set _ZN7rocprim17ROCPRIM_400000_NS6detail17trampoline_kernelINS0_14default_configENS1_25partition_config_selectorILNS1_17partition_subalgoE9EllbEEZZNS1_14partition_implILS5_9ELb0ES3_jPlS8_PNS0_10empty_typeENS0_5tupleIJS8_S9_EEENSB_IJS8_SA_EEENS0_18inequality_wrapperIZN2at6native12_GLOBAL__N_124unique_dim_cuda_templateIbEESt5tupleIJNSF_6TensorESK_SK_EERKSK_lbbbEUlllE0_EEPmJS9_EEE10hipError_tPvRmT3_T4_T5_T6_T7_T9_mT8_P12ihipStream_tbDpT10_ENKUlT_T0_E_clISt17integral_constantIbLb0EES1A_EEDaS15_S16_EUlS15_E_NS1_11comp_targetILNS1_3genE3ELNS1_11target_archE908ELNS1_3gpuE7ELNS1_3repE0EEENS1_30default_config_static_selectorELNS0_4arch9wavefront6targetE0EEEvT1_.numbered_sgpr, 0
	.set _ZN7rocprim17ROCPRIM_400000_NS6detail17trampoline_kernelINS0_14default_configENS1_25partition_config_selectorILNS1_17partition_subalgoE9EllbEEZZNS1_14partition_implILS5_9ELb0ES3_jPlS8_PNS0_10empty_typeENS0_5tupleIJS8_S9_EEENSB_IJS8_SA_EEENS0_18inequality_wrapperIZN2at6native12_GLOBAL__N_124unique_dim_cuda_templateIbEESt5tupleIJNSF_6TensorESK_SK_EERKSK_lbbbEUlllE0_EEPmJS9_EEE10hipError_tPvRmT3_T4_T5_T6_T7_T9_mT8_P12ihipStream_tbDpT10_ENKUlT_T0_E_clISt17integral_constantIbLb0EES1A_EEDaS15_S16_EUlS15_E_NS1_11comp_targetILNS1_3genE3ELNS1_11target_archE908ELNS1_3gpuE7ELNS1_3repE0EEENS1_30default_config_static_selectorELNS0_4arch9wavefront6targetE0EEEvT1_.num_named_barrier, 0
	.set _ZN7rocprim17ROCPRIM_400000_NS6detail17trampoline_kernelINS0_14default_configENS1_25partition_config_selectorILNS1_17partition_subalgoE9EllbEEZZNS1_14partition_implILS5_9ELb0ES3_jPlS8_PNS0_10empty_typeENS0_5tupleIJS8_S9_EEENSB_IJS8_SA_EEENS0_18inequality_wrapperIZN2at6native12_GLOBAL__N_124unique_dim_cuda_templateIbEESt5tupleIJNSF_6TensorESK_SK_EERKSK_lbbbEUlllE0_EEPmJS9_EEE10hipError_tPvRmT3_T4_T5_T6_T7_T9_mT8_P12ihipStream_tbDpT10_ENKUlT_T0_E_clISt17integral_constantIbLb0EES1A_EEDaS15_S16_EUlS15_E_NS1_11comp_targetILNS1_3genE3ELNS1_11target_archE908ELNS1_3gpuE7ELNS1_3repE0EEENS1_30default_config_static_selectorELNS0_4arch9wavefront6targetE0EEEvT1_.private_seg_size, 0
	.set _ZN7rocprim17ROCPRIM_400000_NS6detail17trampoline_kernelINS0_14default_configENS1_25partition_config_selectorILNS1_17partition_subalgoE9EllbEEZZNS1_14partition_implILS5_9ELb0ES3_jPlS8_PNS0_10empty_typeENS0_5tupleIJS8_S9_EEENSB_IJS8_SA_EEENS0_18inequality_wrapperIZN2at6native12_GLOBAL__N_124unique_dim_cuda_templateIbEESt5tupleIJNSF_6TensorESK_SK_EERKSK_lbbbEUlllE0_EEPmJS9_EEE10hipError_tPvRmT3_T4_T5_T6_T7_T9_mT8_P12ihipStream_tbDpT10_ENKUlT_T0_E_clISt17integral_constantIbLb0EES1A_EEDaS15_S16_EUlS15_E_NS1_11comp_targetILNS1_3genE3ELNS1_11target_archE908ELNS1_3gpuE7ELNS1_3repE0EEENS1_30default_config_static_selectorELNS0_4arch9wavefront6targetE0EEEvT1_.uses_vcc, 0
	.set _ZN7rocprim17ROCPRIM_400000_NS6detail17trampoline_kernelINS0_14default_configENS1_25partition_config_selectorILNS1_17partition_subalgoE9EllbEEZZNS1_14partition_implILS5_9ELb0ES3_jPlS8_PNS0_10empty_typeENS0_5tupleIJS8_S9_EEENSB_IJS8_SA_EEENS0_18inequality_wrapperIZN2at6native12_GLOBAL__N_124unique_dim_cuda_templateIbEESt5tupleIJNSF_6TensorESK_SK_EERKSK_lbbbEUlllE0_EEPmJS9_EEE10hipError_tPvRmT3_T4_T5_T6_T7_T9_mT8_P12ihipStream_tbDpT10_ENKUlT_T0_E_clISt17integral_constantIbLb0EES1A_EEDaS15_S16_EUlS15_E_NS1_11comp_targetILNS1_3genE3ELNS1_11target_archE908ELNS1_3gpuE7ELNS1_3repE0EEENS1_30default_config_static_selectorELNS0_4arch9wavefront6targetE0EEEvT1_.uses_flat_scratch, 0
	.set _ZN7rocprim17ROCPRIM_400000_NS6detail17trampoline_kernelINS0_14default_configENS1_25partition_config_selectorILNS1_17partition_subalgoE9EllbEEZZNS1_14partition_implILS5_9ELb0ES3_jPlS8_PNS0_10empty_typeENS0_5tupleIJS8_S9_EEENSB_IJS8_SA_EEENS0_18inequality_wrapperIZN2at6native12_GLOBAL__N_124unique_dim_cuda_templateIbEESt5tupleIJNSF_6TensorESK_SK_EERKSK_lbbbEUlllE0_EEPmJS9_EEE10hipError_tPvRmT3_T4_T5_T6_T7_T9_mT8_P12ihipStream_tbDpT10_ENKUlT_T0_E_clISt17integral_constantIbLb0EES1A_EEDaS15_S16_EUlS15_E_NS1_11comp_targetILNS1_3genE3ELNS1_11target_archE908ELNS1_3gpuE7ELNS1_3repE0EEENS1_30default_config_static_selectorELNS0_4arch9wavefront6targetE0EEEvT1_.has_dyn_sized_stack, 0
	.set _ZN7rocprim17ROCPRIM_400000_NS6detail17trampoline_kernelINS0_14default_configENS1_25partition_config_selectorILNS1_17partition_subalgoE9EllbEEZZNS1_14partition_implILS5_9ELb0ES3_jPlS8_PNS0_10empty_typeENS0_5tupleIJS8_S9_EEENSB_IJS8_SA_EEENS0_18inequality_wrapperIZN2at6native12_GLOBAL__N_124unique_dim_cuda_templateIbEESt5tupleIJNSF_6TensorESK_SK_EERKSK_lbbbEUlllE0_EEPmJS9_EEE10hipError_tPvRmT3_T4_T5_T6_T7_T9_mT8_P12ihipStream_tbDpT10_ENKUlT_T0_E_clISt17integral_constantIbLb0EES1A_EEDaS15_S16_EUlS15_E_NS1_11comp_targetILNS1_3genE3ELNS1_11target_archE908ELNS1_3gpuE7ELNS1_3repE0EEENS1_30default_config_static_selectorELNS0_4arch9wavefront6targetE0EEEvT1_.has_recursion, 0
	.set _ZN7rocprim17ROCPRIM_400000_NS6detail17trampoline_kernelINS0_14default_configENS1_25partition_config_selectorILNS1_17partition_subalgoE9EllbEEZZNS1_14partition_implILS5_9ELb0ES3_jPlS8_PNS0_10empty_typeENS0_5tupleIJS8_S9_EEENSB_IJS8_SA_EEENS0_18inequality_wrapperIZN2at6native12_GLOBAL__N_124unique_dim_cuda_templateIbEESt5tupleIJNSF_6TensorESK_SK_EERKSK_lbbbEUlllE0_EEPmJS9_EEE10hipError_tPvRmT3_T4_T5_T6_T7_T9_mT8_P12ihipStream_tbDpT10_ENKUlT_T0_E_clISt17integral_constantIbLb0EES1A_EEDaS15_S16_EUlS15_E_NS1_11comp_targetILNS1_3genE3ELNS1_11target_archE908ELNS1_3gpuE7ELNS1_3repE0EEENS1_30default_config_static_selectorELNS0_4arch9wavefront6targetE0EEEvT1_.has_indirect_call, 0
	.section	.AMDGPU.csdata,"",@progbits
; Kernel info:
; codeLenInByte = 0
; TotalNumSgprs: 0
; NumVgprs: 0
; ScratchSize: 0
; MemoryBound: 0
; FloatMode: 240
; IeeeMode: 1
; LDSByteSize: 0 bytes/workgroup (compile time only)
; SGPRBlocks: 0
; VGPRBlocks: 0
; NumSGPRsForWavesPerEU: 1
; NumVGPRsForWavesPerEU: 1
; NamedBarCnt: 0
; Occupancy: 16
; WaveLimiterHint : 0
; COMPUTE_PGM_RSRC2:SCRATCH_EN: 0
; COMPUTE_PGM_RSRC2:USER_SGPR: 2
; COMPUTE_PGM_RSRC2:TRAP_HANDLER: 0
; COMPUTE_PGM_RSRC2:TGID_X_EN: 1
; COMPUTE_PGM_RSRC2:TGID_Y_EN: 0
; COMPUTE_PGM_RSRC2:TGID_Z_EN: 0
; COMPUTE_PGM_RSRC2:TIDIG_COMP_CNT: 0
	.section	.text._ZN7rocprim17ROCPRIM_400000_NS6detail17trampoline_kernelINS0_14default_configENS1_25partition_config_selectorILNS1_17partition_subalgoE9EllbEEZZNS1_14partition_implILS5_9ELb0ES3_jPlS8_PNS0_10empty_typeENS0_5tupleIJS8_S9_EEENSB_IJS8_SA_EEENS0_18inequality_wrapperIZN2at6native12_GLOBAL__N_124unique_dim_cuda_templateIbEESt5tupleIJNSF_6TensorESK_SK_EERKSK_lbbbEUlllE0_EEPmJS9_EEE10hipError_tPvRmT3_T4_T5_T6_T7_T9_mT8_P12ihipStream_tbDpT10_ENKUlT_T0_E_clISt17integral_constantIbLb0EES1A_EEDaS15_S16_EUlS15_E_NS1_11comp_targetILNS1_3genE2ELNS1_11target_archE906ELNS1_3gpuE6ELNS1_3repE0EEENS1_30default_config_static_selectorELNS0_4arch9wavefront6targetE0EEEvT1_,"axG",@progbits,_ZN7rocprim17ROCPRIM_400000_NS6detail17trampoline_kernelINS0_14default_configENS1_25partition_config_selectorILNS1_17partition_subalgoE9EllbEEZZNS1_14partition_implILS5_9ELb0ES3_jPlS8_PNS0_10empty_typeENS0_5tupleIJS8_S9_EEENSB_IJS8_SA_EEENS0_18inequality_wrapperIZN2at6native12_GLOBAL__N_124unique_dim_cuda_templateIbEESt5tupleIJNSF_6TensorESK_SK_EERKSK_lbbbEUlllE0_EEPmJS9_EEE10hipError_tPvRmT3_T4_T5_T6_T7_T9_mT8_P12ihipStream_tbDpT10_ENKUlT_T0_E_clISt17integral_constantIbLb0EES1A_EEDaS15_S16_EUlS15_E_NS1_11comp_targetILNS1_3genE2ELNS1_11target_archE906ELNS1_3gpuE6ELNS1_3repE0EEENS1_30default_config_static_selectorELNS0_4arch9wavefront6targetE0EEEvT1_,comdat
	.globl	_ZN7rocprim17ROCPRIM_400000_NS6detail17trampoline_kernelINS0_14default_configENS1_25partition_config_selectorILNS1_17partition_subalgoE9EllbEEZZNS1_14partition_implILS5_9ELb0ES3_jPlS8_PNS0_10empty_typeENS0_5tupleIJS8_S9_EEENSB_IJS8_SA_EEENS0_18inequality_wrapperIZN2at6native12_GLOBAL__N_124unique_dim_cuda_templateIbEESt5tupleIJNSF_6TensorESK_SK_EERKSK_lbbbEUlllE0_EEPmJS9_EEE10hipError_tPvRmT3_T4_T5_T6_T7_T9_mT8_P12ihipStream_tbDpT10_ENKUlT_T0_E_clISt17integral_constantIbLb0EES1A_EEDaS15_S16_EUlS15_E_NS1_11comp_targetILNS1_3genE2ELNS1_11target_archE906ELNS1_3gpuE6ELNS1_3repE0EEENS1_30default_config_static_selectorELNS0_4arch9wavefront6targetE0EEEvT1_ ; -- Begin function _ZN7rocprim17ROCPRIM_400000_NS6detail17trampoline_kernelINS0_14default_configENS1_25partition_config_selectorILNS1_17partition_subalgoE9EllbEEZZNS1_14partition_implILS5_9ELb0ES3_jPlS8_PNS0_10empty_typeENS0_5tupleIJS8_S9_EEENSB_IJS8_SA_EEENS0_18inequality_wrapperIZN2at6native12_GLOBAL__N_124unique_dim_cuda_templateIbEESt5tupleIJNSF_6TensorESK_SK_EERKSK_lbbbEUlllE0_EEPmJS9_EEE10hipError_tPvRmT3_T4_T5_T6_T7_T9_mT8_P12ihipStream_tbDpT10_ENKUlT_T0_E_clISt17integral_constantIbLb0EES1A_EEDaS15_S16_EUlS15_E_NS1_11comp_targetILNS1_3genE2ELNS1_11target_archE906ELNS1_3gpuE6ELNS1_3repE0EEENS1_30default_config_static_selectorELNS0_4arch9wavefront6targetE0EEEvT1_
	.p2align	8
	.type	_ZN7rocprim17ROCPRIM_400000_NS6detail17trampoline_kernelINS0_14default_configENS1_25partition_config_selectorILNS1_17partition_subalgoE9EllbEEZZNS1_14partition_implILS5_9ELb0ES3_jPlS8_PNS0_10empty_typeENS0_5tupleIJS8_S9_EEENSB_IJS8_SA_EEENS0_18inequality_wrapperIZN2at6native12_GLOBAL__N_124unique_dim_cuda_templateIbEESt5tupleIJNSF_6TensorESK_SK_EERKSK_lbbbEUlllE0_EEPmJS9_EEE10hipError_tPvRmT3_T4_T5_T6_T7_T9_mT8_P12ihipStream_tbDpT10_ENKUlT_T0_E_clISt17integral_constantIbLb0EES1A_EEDaS15_S16_EUlS15_E_NS1_11comp_targetILNS1_3genE2ELNS1_11target_archE906ELNS1_3gpuE6ELNS1_3repE0EEENS1_30default_config_static_selectorELNS0_4arch9wavefront6targetE0EEEvT1_,@function
_ZN7rocprim17ROCPRIM_400000_NS6detail17trampoline_kernelINS0_14default_configENS1_25partition_config_selectorILNS1_17partition_subalgoE9EllbEEZZNS1_14partition_implILS5_9ELb0ES3_jPlS8_PNS0_10empty_typeENS0_5tupleIJS8_S9_EEENSB_IJS8_SA_EEENS0_18inequality_wrapperIZN2at6native12_GLOBAL__N_124unique_dim_cuda_templateIbEESt5tupleIJNSF_6TensorESK_SK_EERKSK_lbbbEUlllE0_EEPmJS9_EEE10hipError_tPvRmT3_T4_T5_T6_T7_T9_mT8_P12ihipStream_tbDpT10_ENKUlT_T0_E_clISt17integral_constantIbLb0EES1A_EEDaS15_S16_EUlS15_E_NS1_11comp_targetILNS1_3genE2ELNS1_11target_archE906ELNS1_3gpuE6ELNS1_3repE0EEENS1_30default_config_static_selectorELNS0_4arch9wavefront6targetE0EEEvT1_: ; @_ZN7rocprim17ROCPRIM_400000_NS6detail17trampoline_kernelINS0_14default_configENS1_25partition_config_selectorILNS1_17partition_subalgoE9EllbEEZZNS1_14partition_implILS5_9ELb0ES3_jPlS8_PNS0_10empty_typeENS0_5tupleIJS8_S9_EEENSB_IJS8_SA_EEENS0_18inequality_wrapperIZN2at6native12_GLOBAL__N_124unique_dim_cuda_templateIbEESt5tupleIJNSF_6TensorESK_SK_EERKSK_lbbbEUlllE0_EEPmJS9_EEE10hipError_tPvRmT3_T4_T5_T6_T7_T9_mT8_P12ihipStream_tbDpT10_ENKUlT_T0_E_clISt17integral_constantIbLb0EES1A_EEDaS15_S16_EUlS15_E_NS1_11comp_targetILNS1_3genE2ELNS1_11target_archE906ELNS1_3gpuE6ELNS1_3repE0EEENS1_30default_config_static_selectorELNS0_4arch9wavefront6targetE0EEEvT1_
; %bb.0:
	.section	.rodata,"a",@progbits
	.p2align	6, 0x0
	.amdhsa_kernel _ZN7rocprim17ROCPRIM_400000_NS6detail17trampoline_kernelINS0_14default_configENS1_25partition_config_selectorILNS1_17partition_subalgoE9EllbEEZZNS1_14partition_implILS5_9ELb0ES3_jPlS8_PNS0_10empty_typeENS0_5tupleIJS8_S9_EEENSB_IJS8_SA_EEENS0_18inequality_wrapperIZN2at6native12_GLOBAL__N_124unique_dim_cuda_templateIbEESt5tupleIJNSF_6TensorESK_SK_EERKSK_lbbbEUlllE0_EEPmJS9_EEE10hipError_tPvRmT3_T4_T5_T6_T7_T9_mT8_P12ihipStream_tbDpT10_ENKUlT_T0_E_clISt17integral_constantIbLb0EES1A_EEDaS15_S16_EUlS15_E_NS1_11comp_targetILNS1_3genE2ELNS1_11target_archE906ELNS1_3gpuE6ELNS1_3repE0EEENS1_30default_config_static_selectorELNS0_4arch9wavefront6targetE0EEEvT1_
		.amdhsa_group_segment_fixed_size 0
		.amdhsa_private_segment_fixed_size 0
		.amdhsa_kernarg_size 120
		.amdhsa_user_sgpr_count 2
		.amdhsa_user_sgpr_dispatch_ptr 0
		.amdhsa_user_sgpr_queue_ptr 0
		.amdhsa_user_sgpr_kernarg_segment_ptr 1
		.amdhsa_user_sgpr_dispatch_id 0
		.amdhsa_user_sgpr_kernarg_preload_length 0
		.amdhsa_user_sgpr_kernarg_preload_offset 0
		.amdhsa_user_sgpr_private_segment_size 0
		.amdhsa_wavefront_size32 1
		.amdhsa_uses_dynamic_stack 0
		.amdhsa_enable_private_segment 0
		.amdhsa_system_sgpr_workgroup_id_x 1
		.amdhsa_system_sgpr_workgroup_id_y 0
		.amdhsa_system_sgpr_workgroup_id_z 0
		.amdhsa_system_sgpr_workgroup_info 0
		.amdhsa_system_vgpr_workitem_id 0
		.amdhsa_next_free_vgpr 1
		.amdhsa_next_free_sgpr 1
		.amdhsa_named_barrier_count 0
		.amdhsa_reserve_vcc 0
		.amdhsa_float_round_mode_32 0
		.amdhsa_float_round_mode_16_64 0
		.amdhsa_float_denorm_mode_32 3
		.amdhsa_float_denorm_mode_16_64 3
		.amdhsa_fp16_overflow 0
		.amdhsa_memory_ordered 1
		.amdhsa_forward_progress 1
		.amdhsa_inst_pref_size 0
		.amdhsa_round_robin_scheduling 0
		.amdhsa_exception_fp_ieee_invalid_op 0
		.amdhsa_exception_fp_denorm_src 0
		.amdhsa_exception_fp_ieee_div_zero 0
		.amdhsa_exception_fp_ieee_overflow 0
		.amdhsa_exception_fp_ieee_underflow 0
		.amdhsa_exception_fp_ieee_inexact 0
		.amdhsa_exception_int_div_zero 0
	.end_amdhsa_kernel
	.section	.text._ZN7rocprim17ROCPRIM_400000_NS6detail17trampoline_kernelINS0_14default_configENS1_25partition_config_selectorILNS1_17partition_subalgoE9EllbEEZZNS1_14partition_implILS5_9ELb0ES3_jPlS8_PNS0_10empty_typeENS0_5tupleIJS8_S9_EEENSB_IJS8_SA_EEENS0_18inequality_wrapperIZN2at6native12_GLOBAL__N_124unique_dim_cuda_templateIbEESt5tupleIJNSF_6TensorESK_SK_EERKSK_lbbbEUlllE0_EEPmJS9_EEE10hipError_tPvRmT3_T4_T5_T6_T7_T9_mT8_P12ihipStream_tbDpT10_ENKUlT_T0_E_clISt17integral_constantIbLb0EES1A_EEDaS15_S16_EUlS15_E_NS1_11comp_targetILNS1_3genE2ELNS1_11target_archE906ELNS1_3gpuE6ELNS1_3repE0EEENS1_30default_config_static_selectorELNS0_4arch9wavefront6targetE0EEEvT1_,"axG",@progbits,_ZN7rocprim17ROCPRIM_400000_NS6detail17trampoline_kernelINS0_14default_configENS1_25partition_config_selectorILNS1_17partition_subalgoE9EllbEEZZNS1_14partition_implILS5_9ELb0ES3_jPlS8_PNS0_10empty_typeENS0_5tupleIJS8_S9_EEENSB_IJS8_SA_EEENS0_18inequality_wrapperIZN2at6native12_GLOBAL__N_124unique_dim_cuda_templateIbEESt5tupleIJNSF_6TensorESK_SK_EERKSK_lbbbEUlllE0_EEPmJS9_EEE10hipError_tPvRmT3_T4_T5_T6_T7_T9_mT8_P12ihipStream_tbDpT10_ENKUlT_T0_E_clISt17integral_constantIbLb0EES1A_EEDaS15_S16_EUlS15_E_NS1_11comp_targetILNS1_3genE2ELNS1_11target_archE906ELNS1_3gpuE6ELNS1_3repE0EEENS1_30default_config_static_selectorELNS0_4arch9wavefront6targetE0EEEvT1_,comdat
.Lfunc_end1087:
	.size	_ZN7rocprim17ROCPRIM_400000_NS6detail17trampoline_kernelINS0_14default_configENS1_25partition_config_selectorILNS1_17partition_subalgoE9EllbEEZZNS1_14partition_implILS5_9ELb0ES3_jPlS8_PNS0_10empty_typeENS0_5tupleIJS8_S9_EEENSB_IJS8_SA_EEENS0_18inequality_wrapperIZN2at6native12_GLOBAL__N_124unique_dim_cuda_templateIbEESt5tupleIJNSF_6TensorESK_SK_EERKSK_lbbbEUlllE0_EEPmJS9_EEE10hipError_tPvRmT3_T4_T5_T6_T7_T9_mT8_P12ihipStream_tbDpT10_ENKUlT_T0_E_clISt17integral_constantIbLb0EES1A_EEDaS15_S16_EUlS15_E_NS1_11comp_targetILNS1_3genE2ELNS1_11target_archE906ELNS1_3gpuE6ELNS1_3repE0EEENS1_30default_config_static_selectorELNS0_4arch9wavefront6targetE0EEEvT1_, .Lfunc_end1087-_ZN7rocprim17ROCPRIM_400000_NS6detail17trampoline_kernelINS0_14default_configENS1_25partition_config_selectorILNS1_17partition_subalgoE9EllbEEZZNS1_14partition_implILS5_9ELb0ES3_jPlS8_PNS0_10empty_typeENS0_5tupleIJS8_S9_EEENSB_IJS8_SA_EEENS0_18inequality_wrapperIZN2at6native12_GLOBAL__N_124unique_dim_cuda_templateIbEESt5tupleIJNSF_6TensorESK_SK_EERKSK_lbbbEUlllE0_EEPmJS9_EEE10hipError_tPvRmT3_T4_T5_T6_T7_T9_mT8_P12ihipStream_tbDpT10_ENKUlT_T0_E_clISt17integral_constantIbLb0EES1A_EEDaS15_S16_EUlS15_E_NS1_11comp_targetILNS1_3genE2ELNS1_11target_archE906ELNS1_3gpuE6ELNS1_3repE0EEENS1_30default_config_static_selectorELNS0_4arch9wavefront6targetE0EEEvT1_
                                        ; -- End function
	.set _ZN7rocprim17ROCPRIM_400000_NS6detail17trampoline_kernelINS0_14default_configENS1_25partition_config_selectorILNS1_17partition_subalgoE9EllbEEZZNS1_14partition_implILS5_9ELb0ES3_jPlS8_PNS0_10empty_typeENS0_5tupleIJS8_S9_EEENSB_IJS8_SA_EEENS0_18inequality_wrapperIZN2at6native12_GLOBAL__N_124unique_dim_cuda_templateIbEESt5tupleIJNSF_6TensorESK_SK_EERKSK_lbbbEUlllE0_EEPmJS9_EEE10hipError_tPvRmT3_T4_T5_T6_T7_T9_mT8_P12ihipStream_tbDpT10_ENKUlT_T0_E_clISt17integral_constantIbLb0EES1A_EEDaS15_S16_EUlS15_E_NS1_11comp_targetILNS1_3genE2ELNS1_11target_archE906ELNS1_3gpuE6ELNS1_3repE0EEENS1_30default_config_static_selectorELNS0_4arch9wavefront6targetE0EEEvT1_.num_vgpr, 0
	.set _ZN7rocprim17ROCPRIM_400000_NS6detail17trampoline_kernelINS0_14default_configENS1_25partition_config_selectorILNS1_17partition_subalgoE9EllbEEZZNS1_14partition_implILS5_9ELb0ES3_jPlS8_PNS0_10empty_typeENS0_5tupleIJS8_S9_EEENSB_IJS8_SA_EEENS0_18inequality_wrapperIZN2at6native12_GLOBAL__N_124unique_dim_cuda_templateIbEESt5tupleIJNSF_6TensorESK_SK_EERKSK_lbbbEUlllE0_EEPmJS9_EEE10hipError_tPvRmT3_T4_T5_T6_T7_T9_mT8_P12ihipStream_tbDpT10_ENKUlT_T0_E_clISt17integral_constantIbLb0EES1A_EEDaS15_S16_EUlS15_E_NS1_11comp_targetILNS1_3genE2ELNS1_11target_archE906ELNS1_3gpuE6ELNS1_3repE0EEENS1_30default_config_static_selectorELNS0_4arch9wavefront6targetE0EEEvT1_.num_agpr, 0
	.set _ZN7rocprim17ROCPRIM_400000_NS6detail17trampoline_kernelINS0_14default_configENS1_25partition_config_selectorILNS1_17partition_subalgoE9EllbEEZZNS1_14partition_implILS5_9ELb0ES3_jPlS8_PNS0_10empty_typeENS0_5tupleIJS8_S9_EEENSB_IJS8_SA_EEENS0_18inequality_wrapperIZN2at6native12_GLOBAL__N_124unique_dim_cuda_templateIbEESt5tupleIJNSF_6TensorESK_SK_EERKSK_lbbbEUlllE0_EEPmJS9_EEE10hipError_tPvRmT3_T4_T5_T6_T7_T9_mT8_P12ihipStream_tbDpT10_ENKUlT_T0_E_clISt17integral_constantIbLb0EES1A_EEDaS15_S16_EUlS15_E_NS1_11comp_targetILNS1_3genE2ELNS1_11target_archE906ELNS1_3gpuE6ELNS1_3repE0EEENS1_30default_config_static_selectorELNS0_4arch9wavefront6targetE0EEEvT1_.numbered_sgpr, 0
	.set _ZN7rocprim17ROCPRIM_400000_NS6detail17trampoline_kernelINS0_14default_configENS1_25partition_config_selectorILNS1_17partition_subalgoE9EllbEEZZNS1_14partition_implILS5_9ELb0ES3_jPlS8_PNS0_10empty_typeENS0_5tupleIJS8_S9_EEENSB_IJS8_SA_EEENS0_18inequality_wrapperIZN2at6native12_GLOBAL__N_124unique_dim_cuda_templateIbEESt5tupleIJNSF_6TensorESK_SK_EERKSK_lbbbEUlllE0_EEPmJS9_EEE10hipError_tPvRmT3_T4_T5_T6_T7_T9_mT8_P12ihipStream_tbDpT10_ENKUlT_T0_E_clISt17integral_constantIbLb0EES1A_EEDaS15_S16_EUlS15_E_NS1_11comp_targetILNS1_3genE2ELNS1_11target_archE906ELNS1_3gpuE6ELNS1_3repE0EEENS1_30default_config_static_selectorELNS0_4arch9wavefront6targetE0EEEvT1_.num_named_barrier, 0
	.set _ZN7rocprim17ROCPRIM_400000_NS6detail17trampoline_kernelINS0_14default_configENS1_25partition_config_selectorILNS1_17partition_subalgoE9EllbEEZZNS1_14partition_implILS5_9ELb0ES3_jPlS8_PNS0_10empty_typeENS0_5tupleIJS8_S9_EEENSB_IJS8_SA_EEENS0_18inequality_wrapperIZN2at6native12_GLOBAL__N_124unique_dim_cuda_templateIbEESt5tupleIJNSF_6TensorESK_SK_EERKSK_lbbbEUlllE0_EEPmJS9_EEE10hipError_tPvRmT3_T4_T5_T6_T7_T9_mT8_P12ihipStream_tbDpT10_ENKUlT_T0_E_clISt17integral_constantIbLb0EES1A_EEDaS15_S16_EUlS15_E_NS1_11comp_targetILNS1_3genE2ELNS1_11target_archE906ELNS1_3gpuE6ELNS1_3repE0EEENS1_30default_config_static_selectorELNS0_4arch9wavefront6targetE0EEEvT1_.private_seg_size, 0
	.set _ZN7rocprim17ROCPRIM_400000_NS6detail17trampoline_kernelINS0_14default_configENS1_25partition_config_selectorILNS1_17partition_subalgoE9EllbEEZZNS1_14partition_implILS5_9ELb0ES3_jPlS8_PNS0_10empty_typeENS0_5tupleIJS8_S9_EEENSB_IJS8_SA_EEENS0_18inequality_wrapperIZN2at6native12_GLOBAL__N_124unique_dim_cuda_templateIbEESt5tupleIJNSF_6TensorESK_SK_EERKSK_lbbbEUlllE0_EEPmJS9_EEE10hipError_tPvRmT3_T4_T5_T6_T7_T9_mT8_P12ihipStream_tbDpT10_ENKUlT_T0_E_clISt17integral_constantIbLb0EES1A_EEDaS15_S16_EUlS15_E_NS1_11comp_targetILNS1_3genE2ELNS1_11target_archE906ELNS1_3gpuE6ELNS1_3repE0EEENS1_30default_config_static_selectorELNS0_4arch9wavefront6targetE0EEEvT1_.uses_vcc, 0
	.set _ZN7rocprim17ROCPRIM_400000_NS6detail17trampoline_kernelINS0_14default_configENS1_25partition_config_selectorILNS1_17partition_subalgoE9EllbEEZZNS1_14partition_implILS5_9ELb0ES3_jPlS8_PNS0_10empty_typeENS0_5tupleIJS8_S9_EEENSB_IJS8_SA_EEENS0_18inequality_wrapperIZN2at6native12_GLOBAL__N_124unique_dim_cuda_templateIbEESt5tupleIJNSF_6TensorESK_SK_EERKSK_lbbbEUlllE0_EEPmJS9_EEE10hipError_tPvRmT3_T4_T5_T6_T7_T9_mT8_P12ihipStream_tbDpT10_ENKUlT_T0_E_clISt17integral_constantIbLb0EES1A_EEDaS15_S16_EUlS15_E_NS1_11comp_targetILNS1_3genE2ELNS1_11target_archE906ELNS1_3gpuE6ELNS1_3repE0EEENS1_30default_config_static_selectorELNS0_4arch9wavefront6targetE0EEEvT1_.uses_flat_scratch, 0
	.set _ZN7rocprim17ROCPRIM_400000_NS6detail17trampoline_kernelINS0_14default_configENS1_25partition_config_selectorILNS1_17partition_subalgoE9EllbEEZZNS1_14partition_implILS5_9ELb0ES3_jPlS8_PNS0_10empty_typeENS0_5tupleIJS8_S9_EEENSB_IJS8_SA_EEENS0_18inequality_wrapperIZN2at6native12_GLOBAL__N_124unique_dim_cuda_templateIbEESt5tupleIJNSF_6TensorESK_SK_EERKSK_lbbbEUlllE0_EEPmJS9_EEE10hipError_tPvRmT3_T4_T5_T6_T7_T9_mT8_P12ihipStream_tbDpT10_ENKUlT_T0_E_clISt17integral_constantIbLb0EES1A_EEDaS15_S16_EUlS15_E_NS1_11comp_targetILNS1_3genE2ELNS1_11target_archE906ELNS1_3gpuE6ELNS1_3repE0EEENS1_30default_config_static_selectorELNS0_4arch9wavefront6targetE0EEEvT1_.has_dyn_sized_stack, 0
	.set _ZN7rocprim17ROCPRIM_400000_NS6detail17trampoline_kernelINS0_14default_configENS1_25partition_config_selectorILNS1_17partition_subalgoE9EllbEEZZNS1_14partition_implILS5_9ELb0ES3_jPlS8_PNS0_10empty_typeENS0_5tupleIJS8_S9_EEENSB_IJS8_SA_EEENS0_18inequality_wrapperIZN2at6native12_GLOBAL__N_124unique_dim_cuda_templateIbEESt5tupleIJNSF_6TensorESK_SK_EERKSK_lbbbEUlllE0_EEPmJS9_EEE10hipError_tPvRmT3_T4_T5_T6_T7_T9_mT8_P12ihipStream_tbDpT10_ENKUlT_T0_E_clISt17integral_constantIbLb0EES1A_EEDaS15_S16_EUlS15_E_NS1_11comp_targetILNS1_3genE2ELNS1_11target_archE906ELNS1_3gpuE6ELNS1_3repE0EEENS1_30default_config_static_selectorELNS0_4arch9wavefront6targetE0EEEvT1_.has_recursion, 0
	.set _ZN7rocprim17ROCPRIM_400000_NS6detail17trampoline_kernelINS0_14default_configENS1_25partition_config_selectorILNS1_17partition_subalgoE9EllbEEZZNS1_14partition_implILS5_9ELb0ES3_jPlS8_PNS0_10empty_typeENS0_5tupleIJS8_S9_EEENSB_IJS8_SA_EEENS0_18inequality_wrapperIZN2at6native12_GLOBAL__N_124unique_dim_cuda_templateIbEESt5tupleIJNSF_6TensorESK_SK_EERKSK_lbbbEUlllE0_EEPmJS9_EEE10hipError_tPvRmT3_T4_T5_T6_T7_T9_mT8_P12ihipStream_tbDpT10_ENKUlT_T0_E_clISt17integral_constantIbLb0EES1A_EEDaS15_S16_EUlS15_E_NS1_11comp_targetILNS1_3genE2ELNS1_11target_archE906ELNS1_3gpuE6ELNS1_3repE0EEENS1_30default_config_static_selectorELNS0_4arch9wavefront6targetE0EEEvT1_.has_indirect_call, 0
	.section	.AMDGPU.csdata,"",@progbits
; Kernel info:
; codeLenInByte = 0
; TotalNumSgprs: 0
; NumVgprs: 0
; ScratchSize: 0
; MemoryBound: 0
; FloatMode: 240
; IeeeMode: 1
; LDSByteSize: 0 bytes/workgroup (compile time only)
; SGPRBlocks: 0
; VGPRBlocks: 0
; NumSGPRsForWavesPerEU: 1
; NumVGPRsForWavesPerEU: 1
; NamedBarCnt: 0
; Occupancy: 16
; WaveLimiterHint : 0
; COMPUTE_PGM_RSRC2:SCRATCH_EN: 0
; COMPUTE_PGM_RSRC2:USER_SGPR: 2
; COMPUTE_PGM_RSRC2:TRAP_HANDLER: 0
; COMPUTE_PGM_RSRC2:TGID_X_EN: 1
; COMPUTE_PGM_RSRC2:TGID_Y_EN: 0
; COMPUTE_PGM_RSRC2:TGID_Z_EN: 0
; COMPUTE_PGM_RSRC2:TIDIG_COMP_CNT: 0
	.section	.text._ZN7rocprim17ROCPRIM_400000_NS6detail17trampoline_kernelINS0_14default_configENS1_25partition_config_selectorILNS1_17partition_subalgoE9EllbEEZZNS1_14partition_implILS5_9ELb0ES3_jPlS8_PNS0_10empty_typeENS0_5tupleIJS8_S9_EEENSB_IJS8_SA_EEENS0_18inequality_wrapperIZN2at6native12_GLOBAL__N_124unique_dim_cuda_templateIbEESt5tupleIJNSF_6TensorESK_SK_EERKSK_lbbbEUlllE0_EEPmJS9_EEE10hipError_tPvRmT3_T4_T5_T6_T7_T9_mT8_P12ihipStream_tbDpT10_ENKUlT_T0_E_clISt17integral_constantIbLb0EES1A_EEDaS15_S16_EUlS15_E_NS1_11comp_targetILNS1_3genE10ELNS1_11target_archE1200ELNS1_3gpuE4ELNS1_3repE0EEENS1_30default_config_static_selectorELNS0_4arch9wavefront6targetE0EEEvT1_,"axG",@progbits,_ZN7rocprim17ROCPRIM_400000_NS6detail17trampoline_kernelINS0_14default_configENS1_25partition_config_selectorILNS1_17partition_subalgoE9EllbEEZZNS1_14partition_implILS5_9ELb0ES3_jPlS8_PNS0_10empty_typeENS0_5tupleIJS8_S9_EEENSB_IJS8_SA_EEENS0_18inequality_wrapperIZN2at6native12_GLOBAL__N_124unique_dim_cuda_templateIbEESt5tupleIJNSF_6TensorESK_SK_EERKSK_lbbbEUlllE0_EEPmJS9_EEE10hipError_tPvRmT3_T4_T5_T6_T7_T9_mT8_P12ihipStream_tbDpT10_ENKUlT_T0_E_clISt17integral_constantIbLb0EES1A_EEDaS15_S16_EUlS15_E_NS1_11comp_targetILNS1_3genE10ELNS1_11target_archE1200ELNS1_3gpuE4ELNS1_3repE0EEENS1_30default_config_static_selectorELNS0_4arch9wavefront6targetE0EEEvT1_,comdat
	.globl	_ZN7rocprim17ROCPRIM_400000_NS6detail17trampoline_kernelINS0_14default_configENS1_25partition_config_selectorILNS1_17partition_subalgoE9EllbEEZZNS1_14partition_implILS5_9ELb0ES3_jPlS8_PNS0_10empty_typeENS0_5tupleIJS8_S9_EEENSB_IJS8_SA_EEENS0_18inequality_wrapperIZN2at6native12_GLOBAL__N_124unique_dim_cuda_templateIbEESt5tupleIJNSF_6TensorESK_SK_EERKSK_lbbbEUlllE0_EEPmJS9_EEE10hipError_tPvRmT3_T4_T5_T6_T7_T9_mT8_P12ihipStream_tbDpT10_ENKUlT_T0_E_clISt17integral_constantIbLb0EES1A_EEDaS15_S16_EUlS15_E_NS1_11comp_targetILNS1_3genE10ELNS1_11target_archE1200ELNS1_3gpuE4ELNS1_3repE0EEENS1_30default_config_static_selectorELNS0_4arch9wavefront6targetE0EEEvT1_ ; -- Begin function _ZN7rocprim17ROCPRIM_400000_NS6detail17trampoline_kernelINS0_14default_configENS1_25partition_config_selectorILNS1_17partition_subalgoE9EllbEEZZNS1_14partition_implILS5_9ELb0ES3_jPlS8_PNS0_10empty_typeENS0_5tupleIJS8_S9_EEENSB_IJS8_SA_EEENS0_18inequality_wrapperIZN2at6native12_GLOBAL__N_124unique_dim_cuda_templateIbEESt5tupleIJNSF_6TensorESK_SK_EERKSK_lbbbEUlllE0_EEPmJS9_EEE10hipError_tPvRmT3_T4_T5_T6_T7_T9_mT8_P12ihipStream_tbDpT10_ENKUlT_T0_E_clISt17integral_constantIbLb0EES1A_EEDaS15_S16_EUlS15_E_NS1_11comp_targetILNS1_3genE10ELNS1_11target_archE1200ELNS1_3gpuE4ELNS1_3repE0EEENS1_30default_config_static_selectorELNS0_4arch9wavefront6targetE0EEEvT1_
	.p2align	8
	.type	_ZN7rocprim17ROCPRIM_400000_NS6detail17trampoline_kernelINS0_14default_configENS1_25partition_config_selectorILNS1_17partition_subalgoE9EllbEEZZNS1_14partition_implILS5_9ELb0ES3_jPlS8_PNS0_10empty_typeENS0_5tupleIJS8_S9_EEENSB_IJS8_SA_EEENS0_18inequality_wrapperIZN2at6native12_GLOBAL__N_124unique_dim_cuda_templateIbEESt5tupleIJNSF_6TensorESK_SK_EERKSK_lbbbEUlllE0_EEPmJS9_EEE10hipError_tPvRmT3_T4_T5_T6_T7_T9_mT8_P12ihipStream_tbDpT10_ENKUlT_T0_E_clISt17integral_constantIbLb0EES1A_EEDaS15_S16_EUlS15_E_NS1_11comp_targetILNS1_3genE10ELNS1_11target_archE1200ELNS1_3gpuE4ELNS1_3repE0EEENS1_30default_config_static_selectorELNS0_4arch9wavefront6targetE0EEEvT1_,@function
_ZN7rocprim17ROCPRIM_400000_NS6detail17trampoline_kernelINS0_14default_configENS1_25partition_config_selectorILNS1_17partition_subalgoE9EllbEEZZNS1_14partition_implILS5_9ELb0ES3_jPlS8_PNS0_10empty_typeENS0_5tupleIJS8_S9_EEENSB_IJS8_SA_EEENS0_18inequality_wrapperIZN2at6native12_GLOBAL__N_124unique_dim_cuda_templateIbEESt5tupleIJNSF_6TensorESK_SK_EERKSK_lbbbEUlllE0_EEPmJS9_EEE10hipError_tPvRmT3_T4_T5_T6_T7_T9_mT8_P12ihipStream_tbDpT10_ENKUlT_T0_E_clISt17integral_constantIbLb0EES1A_EEDaS15_S16_EUlS15_E_NS1_11comp_targetILNS1_3genE10ELNS1_11target_archE1200ELNS1_3gpuE4ELNS1_3repE0EEENS1_30default_config_static_selectorELNS0_4arch9wavefront6targetE0EEEvT1_: ; @_ZN7rocprim17ROCPRIM_400000_NS6detail17trampoline_kernelINS0_14default_configENS1_25partition_config_selectorILNS1_17partition_subalgoE9EllbEEZZNS1_14partition_implILS5_9ELb0ES3_jPlS8_PNS0_10empty_typeENS0_5tupleIJS8_S9_EEENSB_IJS8_SA_EEENS0_18inequality_wrapperIZN2at6native12_GLOBAL__N_124unique_dim_cuda_templateIbEESt5tupleIJNSF_6TensorESK_SK_EERKSK_lbbbEUlllE0_EEPmJS9_EEE10hipError_tPvRmT3_T4_T5_T6_T7_T9_mT8_P12ihipStream_tbDpT10_ENKUlT_T0_E_clISt17integral_constantIbLb0EES1A_EEDaS15_S16_EUlS15_E_NS1_11comp_targetILNS1_3genE10ELNS1_11target_archE1200ELNS1_3gpuE4ELNS1_3repE0EEENS1_30default_config_static_selectorELNS0_4arch9wavefront6targetE0EEEvT1_
; %bb.0:
	.section	.rodata,"a",@progbits
	.p2align	6, 0x0
	.amdhsa_kernel _ZN7rocprim17ROCPRIM_400000_NS6detail17trampoline_kernelINS0_14default_configENS1_25partition_config_selectorILNS1_17partition_subalgoE9EllbEEZZNS1_14partition_implILS5_9ELb0ES3_jPlS8_PNS0_10empty_typeENS0_5tupleIJS8_S9_EEENSB_IJS8_SA_EEENS0_18inequality_wrapperIZN2at6native12_GLOBAL__N_124unique_dim_cuda_templateIbEESt5tupleIJNSF_6TensorESK_SK_EERKSK_lbbbEUlllE0_EEPmJS9_EEE10hipError_tPvRmT3_T4_T5_T6_T7_T9_mT8_P12ihipStream_tbDpT10_ENKUlT_T0_E_clISt17integral_constantIbLb0EES1A_EEDaS15_S16_EUlS15_E_NS1_11comp_targetILNS1_3genE10ELNS1_11target_archE1200ELNS1_3gpuE4ELNS1_3repE0EEENS1_30default_config_static_selectorELNS0_4arch9wavefront6targetE0EEEvT1_
		.amdhsa_group_segment_fixed_size 0
		.amdhsa_private_segment_fixed_size 0
		.amdhsa_kernarg_size 120
		.amdhsa_user_sgpr_count 2
		.amdhsa_user_sgpr_dispatch_ptr 0
		.amdhsa_user_sgpr_queue_ptr 0
		.amdhsa_user_sgpr_kernarg_segment_ptr 1
		.amdhsa_user_sgpr_dispatch_id 0
		.amdhsa_user_sgpr_kernarg_preload_length 0
		.amdhsa_user_sgpr_kernarg_preload_offset 0
		.amdhsa_user_sgpr_private_segment_size 0
		.amdhsa_wavefront_size32 1
		.amdhsa_uses_dynamic_stack 0
		.amdhsa_enable_private_segment 0
		.amdhsa_system_sgpr_workgroup_id_x 1
		.amdhsa_system_sgpr_workgroup_id_y 0
		.amdhsa_system_sgpr_workgroup_id_z 0
		.amdhsa_system_sgpr_workgroup_info 0
		.amdhsa_system_vgpr_workitem_id 0
		.amdhsa_next_free_vgpr 1
		.amdhsa_next_free_sgpr 1
		.amdhsa_named_barrier_count 0
		.amdhsa_reserve_vcc 0
		.amdhsa_float_round_mode_32 0
		.amdhsa_float_round_mode_16_64 0
		.amdhsa_float_denorm_mode_32 3
		.amdhsa_float_denorm_mode_16_64 3
		.amdhsa_fp16_overflow 0
		.amdhsa_memory_ordered 1
		.amdhsa_forward_progress 1
		.amdhsa_inst_pref_size 0
		.amdhsa_round_robin_scheduling 0
		.amdhsa_exception_fp_ieee_invalid_op 0
		.amdhsa_exception_fp_denorm_src 0
		.amdhsa_exception_fp_ieee_div_zero 0
		.amdhsa_exception_fp_ieee_overflow 0
		.amdhsa_exception_fp_ieee_underflow 0
		.amdhsa_exception_fp_ieee_inexact 0
		.amdhsa_exception_int_div_zero 0
	.end_amdhsa_kernel
	.section	.text._ZN7rocprim17ROCPRIM_400000_NS6detail17trampoline_kernelINS0_14default_configENS1_25partition_config_selectorILNS1_17partition_subalgoE9EllbEEZZNS1_14partition_implILS5_9ELb0ES3_jPlS8_PNS0_10empty_typeENS0_5tupleIJS8_S9_EEENSB_IJS8_SA_EEENS0_18inequality_wrapperIZN2at6native12_GLOBAL__N_124unique_dim_cuda_templateIbEESt5tupleIJNSF_6TensorESK_SK_EERKSK_lbbbEUlllE0_EEPmJS9_EEE10hipError_tPvRmT3_T4_T5_T6_T7_T9_mT8_P12ihipStream_tbDpT10_ENKUlT_T0_E_clISt17integral_constantIbLb0EES1A_EEDaS15_S16_EUlS15_E_NS1_11comp_targetILNS1_3genE10ELNS1_11target_archE1200ELNS1_3gpuE4ELNS1_3repE0EEENS1_30default_config_static_selectorELNS0_4arch9wavefront6targetE0EEEvT1_,"axG",@progbits,_ZN7rocprim17ROCPRIM_400000_NS6detail17trampoline_kernelINS0_14default_configENS1_25partition_config_selectorILNS1_17partition_subalgoE9EllbEEZZNS1_14partition_implILS5_9ELb0ES3_jPlS8_PNS0_10empty_typeENS0_5tupleIJS8_S9_EEENSB_IJS8_SA_EEENS0_18inequality_wrapperIZN2at6native12_GLOBAL__N_124unique_dim_cuda_templateIbEESt5tupleIJNSF_6TensorESK_SK_EERKSK_lbbbEUlllE0_EEPmJS9_EEE10hipError_tPvRmT3_T4_T5_T6_T7_T9_mT8_P12ihipStream_tbDpT10_ENKUlT_T0_E_clISt17integral_constantIbLb0EES1A_EEDaS15_S16_EUlS15_E_NS1_11comp_targetILNS1_3genE10ELNS1_11target_archE1200ELNS1_3gpuE4ELNS1_3repE0EEENS1_30default_config_static_selectorELNS0_4arch9wavefront6targetE0EEEvT1_,comdat
.Lfunc_end1088:
	.size	_ZN7rocprim17ROCPRIM_400000_NS6detail17trampoline_kernelINS0_14default_configENS1_25partition_config_selectorILNS1_17partition_subalgoE9EllbEEZZNS1_14partition_implILS5_9ELb0ES3_jPlS8_PNS0_10empty_typeENS0_5tupleIJS8_S9_EEENSB_IJS8_SA_EEENS0_18inequality_wrapperIZN2at6native12_GLOBAL__N_124unique_dim_cuda_templateIbEESt5tupleIJNSF_6TensorESK_SK_EERKSK_lbbbEUlllE0_EEPmJS9_EEE10hipError_tPvRmT3_T4_T5_T6_T7_T9_mT8_P12ihipStream_tbDpT10_ENKUlT_T0_E_clISt17integral_constantIbLb0EES1A_EEDaS15_S16_EUlS15_E_NS1_11comp_targetILNS1_3genE10ELNS1_11target_archE1200ELNS1_3gpuE4ELNS1_3repE0EEENS1_30default_config_static_selectorELNS0_4arch9wavefront6targetE0EEEvT1_, .Lfunc_end1088-_ZN7rocprim17ROCPRIM_400000_NS6detail17trampoline_kernelINS0_14default_configENS1_25partition_config_selectorILNS1_17partition_subalgoE9EllbEEZZNS1_14partition_implILS5_9ELb0ES3_jPlS8_PNS0_10empty_typeENS0_5tupleIJS8_S9_EEENSB_IJS8_SA_EEENS0_18inequality_wrapperIZN2at6native12_GLOBAL__N_124unique_dim_cuda_templateIbEESt5tupleIJNSF_6TensorESK_SK_EERKSK_lbbbEUlllE0_EEPmJS9_EEE10hipError_tPvRmT3_T4_T5_T6_T7_T9_mT8_P12ihipStream_tbDpT10_ENKUlT_T0_E_clISt17integral_constantIbLb0EES1A_EEDaS15_S16_EUlS15_E_NS1_11comp_targetILNS1_3genE10ELNS1_11target_archE1200ELNS1_3gpuE4ELNS1_3repE0EEENS1_30default_config_static_selectorELNS0_4arch9wavefront6targetE0EEEvT1_
                                        ; -- End function
	.set _ZN7rocprim17ROCPRIM_400000_NS6detail17trampoline_kernelINS0_14default_configENS1_25partition_config_selectorILNS1_17partition_subalgoE9EllbEEZZNS1_14partition_implILS5_9ELb0ES3_jPlS8_PNS0_10empty_typeENS0_5tupleIJS8_S9_EEENSB_IJS8_SA_EEENS0_18inequality_wrapperIZN2at6native12_GLOBAL__N_124unique_dim_cuda_templateIbEESt5tupleIJNSF_6TensorESK_SK_EERKSK_lbbbEUlllE0_EEPmJS9_EEE10hipError_tPvRmT3_T4_T5_T6_T7_T9_mT8_P12ihipStream_tbDpT10_ENKUlT_T0_E_clISt17integral_constantIbLb0EES1A_EEDaS15_S16_EUlS15_E_NS1_11comp_targetILNS1_3genE10ELNS1_11target_archE1200ELNS1_3gpuE4ELNS1_3repE0EEENS1_30default_config_static_selectorELNS0_4arch9wavefront6targetE0EEEvT1_.num_vgpr, 0
	.set _ZN7rocprim17ROCPRIM_400000_NS6detail17trampoline_kernelINS0_14default_configENS1_25partition_config_selectorILNS1_17partition_subalgoE9EllbEEZZNS1_14partition_implILS5_9ELb0ES3_jPlS8_PNS0_10empty_typeENS0_5tupleIJS8_S9_EEENSB_IJS8_SA_EEENS0_18inequality_wrapperIZN2at6native12_GLOBAL__N_124unique_dim_cuda_templateIbEESt5tupleIJNSF_6TensorESK_SK_EERKSK_lbbbEUlllE0_EEPmJS9_EEE10hipError_tPvRmT3_T4_T5_T6_T7_T9_mT8_P12ihipStream_tbDpT10_ENKUlT_T0_E_clISt17integral_constantIbLb0EES1A_EEDaS15_S16_EUlS15_E_NS1_11comp_targetILNS1_3genE10ELNS1_11target_archE1200ELNS1_3gpuE4ELNS1_3repE0EEENS1_30default_config_static_selectorELNS0_4arch9wavefront6targetE0EEEvT1_.num_agpr, 0
	.set _ZN7rocprim17ROCPRIM_400000_NS6detail17trampoline_kernelINS0_14default_configENS1_25partition_config_selectorILNS1_17partition_subalgoE9EllbEEZZNS1_14partition_implILS5_9ELb0ES3_jPlS8_PNS0_10empty_typeENS0_5tupleIJS8_S9_EEENSB_IJS8_SA_EEENS0_18inequality_wrapperIZN2at6native12_GLOBAL__N_124unique_dim_cuda_templateIbEESt5tupleIJNSF_6TensorESK_SK_EERKSK_lbbbEUlllE0_EEPmJS9_EEE10hipError_tPvRmT3_T4_T5_T6_T7_T9_mT8_P12ihipStream_tbDpT10_ENKUlT_T0_E_clISt17integral_constantIbLb0EES1A_EEDaS15_S16_EUlS15_E_NS1_11comp_targetILNS1_3genE10ELNS1_11target_archE1200ELNS1_3gpuE4ELNS1_3repE0EEENS1_30default_config_static_selectorELNS0_4arch9wavefront6targetE0EEEvT1_.numbered_sgpr, 0
	.set _ZN7rocprim17ROCPRIM_400000_NS6detail17trampoline_kernelINS0_14default_configENS1_25partition_config_selectorILNS1_17partition_subalgoE9EllbEEZZNS1_14partition_implILS5_9ELb0ES3_jPlS8_PNS0_10empty_typeENS0_5tupleIJS8_S9_EEENSB_IJS8_SA_EEENS0_18inequality_wrapperIZN2at6native12_GLOBAL__N_124unique_dim_cuda_templateIbEESt5tupleIJNSF_6TensorESK_SK_EERKSK_lbbbEUlllE0_EEPmJS9_EEE10hipError_tPvRmT3_T4_T5_T6_T7_T9_mT8_P12ihipStream_tbDpT10_ENKUlT_T0_E_clISt17integral_constantIbLb0EES1A_EEDaS15_S16_EUlS15_E_NS1_11comp_targetILNS1_3genE10ELNS1_11target_archE1200ELNS1_3gpuE4ELNS1_3repE0EEENS1_30default_config_static_selectorELNS0_4arch9wavefront6targetE0EEEvT1_.num_named_barrier, 0
	.set _ZN7rocprim17ROCPRIM_400000_NS6detail17trampoline_kernelINS0_14default_configENS1_25partition_config_selectorILNS1_17partition_subalgoE9EllbEEZZNS1_14partition_implILS5_9ELb0ES3_jPlS8_PNS0_10empty_typeENS0_5tupleIJS8_S9_EEENSB_IJS8_SA_EEENS0_18inequality_wrapperIZN2at6native12_GLOBAL__N_124unique_dim_cuda_templateIbEESt5tupleIJNSF_6TensorESK_SK_EERKSK_lbbbEUlllE0_EEPmJS9_EEE10hipError_tPvRmT3_T4_T5_T6_T7_T9_mT8_P12ihipStream_tbDpT10_ENKUlT_T0_E_clISt17integral_constantIbLb0EES1A_EEDaS15_S16_EUlS15_E_NS1_11comp_targetILNS1_3genE10ELNS1_11target_archE1200ELNS1_3gpuE4ELNS1_3repE0EEENS1_30default_config_static_selectorELNS0_4arch9wavefront6targetE0EEEvT1_.private_seg_size, 0
	.set _ZN7rocprim17ROCPRIM_400000_NS6detail17trampoline_kernelINS0_14default_configENS1_25partition_config_selectorILNS1_17partition_subalgoE9EllbEEZZNS1_14partition_implILS5_9ELb0ES3_jPlS8_PNS0_10empty_typeENS0_5tupleIJS8_S9_EEENSB_IJS8_SA_EEENS0_18inequality_wrapperIZN2at6native12_GLOBAL__N_124unique_dim_cuda_templateIbEESt5tupleIJNSF_6TensorESK_SK_EERKSK_lbbbEUlllE0_EEPmJS9_EEE10hipError_tPvRmT3_T4_T5_T6_T7_T9_mT8_P12ihipStream_tbDpT10_ENKUlT_T0_E_clISt17integral_constantIbLb0EES1A_EEDaS15_S16_EUlS15_E_NS1_11comp_targetILNS1_3genE10ELNS1_11target_archE1200ELNS1_3gpuE4ELNS1_3repE0EEENS1_30default_config_static_selectorELNS0_4arch9wavefront6targetE0EEEvT1_.uses_vcc, 0
	.set _ZN7rocprim17ROCPRIM_400000_NS6detail17trampoline_kernelINS0_14default_configENS1_25partition_config_selectorILNS1_17partition_subalgoE9EllbEEZZNS1_14partition_implILS5_9ELb0ES3_jPlS8_PNS0_10empty_typeENS0_5tupleIJS8_S9_EEENSB_IJS8_SA_EEENS0_18inequality_wrapperIZN2at6native12_GLOBAL__N_124unique_dim_cuda_templateIbEESt5tupleIJNSF_6TensorESK_SK_EERKSK_lbbbEUlllE0_EEPmJS9_EEE10hipError_tPvRmT3_T4_T5_T6_T7_T9_mT8_P12ihipStream_tbDpT10_ENKUlT_T0_E_clISt17integral_constantIbLb0EES1A_EEDaS15_S16_EUlS15_E_NS1_11comp_targetILNS1_3genE10ELNS1_11target_archE1200ELNS1_3gpuE4ELNS1_3repE0EEENS1_30default_config_static_selectorELNS0_4arch9wavefront6targetE0EEEvT1_.uses_flat_scratch, 0
	.set _ZN7rocprim17ROCPRIM_400000_NS6detail17trampoline_kernelINS0_14default_configENS1_25partition_config_selectorILNS1_17partition_subalgoE9EllbEEZZNS1_14partition_implILS5_9ELb0ES3_jPlS8_PNS0_10empty_typeENS0_5tupleIJS8_S9_EEENSB_IJS8_SA_EEENS0_18inequality_wrapperIZN2at6native12_GLOBAL__N_124unique_dim_cuda_templateIbEESt5tupleIJNSF_6TensorESK_SK_EERKSK_lbbbEUlllE0_EEPmJS9_EEE10hipError_tPvRmT3_T4_T5_T6_T7_T9_mT8_P12ihipStream_tbDpT10_ENKUlT_T0_E_clISt17integral_constantIbLb0EES1A_EEDaS15_S16_EUlS15_E_NS1_11comp_targetILNS1_3genE10ELNS1_11target_archE1200ELNS1_3gpuE4ELNS1_3repE0EEENS1_30default_config_static_selectorELNS0_4arch9wavefront6targetE0EEEvT1_.has_dyn_sized_stack, 0
	.set _ZN7rocprim17ROCPRIM_400000_NS6detail17trampoline_kernelINS0_14default_configENS1_25partition_config_selectorILNS1_17partition_subalgoE9EllbEEZZNS1_14partition_implILS5_9ELb0ES3_jPlS8_PNS0_10empty_typeENS0_5tupleIJS8_S9_EEENSB_IJS8_SA_EEENS0_18inequality_wrapperIZN2at6native12_GLOBAL__N_124unique_dim_cuda_templateIbEESt5tupleIJNSF_6TensorESK_SK_EERKSK_lbbbEUlllE0_EEPmJS9_EEE10hipError_tPvRmT3_T4_T5_T6_T7_T9_mT8_P12ihipStream_tbDpT10_ENKUlT_T0_E_clISt17integral_constantIbLb0EES1A_EEDaS15_S16_EUlS15_E_NS1_11comp_targetILNS1_3genE10ELNS1_11target_archE1200ELNS1_3gpuE4ELNS1_3repE0EEENS1_30default_config_static_selectorELNS0_4arch9wavefront6targetE0EEEvT1_.has_recursion, 0
	.set _ZN7rocprim17ROCPRIM_400000_NS6detail17trampoline_kernelINS0_14default_configENS1_25partition_config_selectorILNS1_17partition_subalgoE9EllbEEZZNS1_14partition_implILS5_9ELb0ES3_jPlS8_PNS0_10empty_typeENS0_5tupleIJS8_S9_EEENSB_IJS8_SA_EEENS0_18inequality_wrapperIZN2at6native12_GLOBAL__N_124unique_dim_cuda_templateIbEESt5tupleIJNSF_6TensorESK_SK_EERKSK_lbbbEUlllE0_EEPmJS9_EEE10hipError_tPvRmT3_T4_T5_T6_T7_T9_mT8_P12ihipStream_tbDpT10_ENKUlT_T0_E_clISt17integral_constantIbLb0EES1A_EEDaS15_S16_EUlS15_E_NS1_11comp_targetILNS1_3genE10ELNS1_11target_archE1200ELNS1_3gpuE4ELNS1_3repE0EEENS1_30default_config_static_selectorELNS0_4arch9wavefront6targetE0EEEvT1_.has_indirect_call, 0
	.section	.AMDGPU.csdata,"",@progbits
; Kernel info:
; codeLenInByte = 0
; TotalNumSgprs: 0
; NumVgprs: 0
; ScratchSize: 0
; MemoryBound: 0
; FloatMode: 240
; IeeeMode: 1
; LDSByteSize: 0 bytes/workgroup (compile time only)
; SGPRBlocks: 0
; VGPRBlocks: 0
; NumSGPRsForWavesPerEU: 1
; NumVGPRsForWavesPerEU: 1
; NamedBarCnt: 0
; Occupancy: 16
; WaveLimiterHint : 0
; COMPUTE_PGM_RSRC2:SCRATCH_EN: 0
; COMPUTE_PGM_RSRC2:USER_SGPR: 2
; COMPUTE_PGM_RSRC2:TRAP_HANDLER: 0
; COMPUTE_PGM_RSRC2:TGID_X_EN: 1
; COMPUTE_PGM_RSRC2:TGID_Y_EN: 0
; COMPUTE_PGM_RSRC2:TGID_Z_EN: 0
; COMPUTE_PGM_RSRC2:TIDIG_COMP_CNT: 0
	.section	.text._ZN7rocprim17ROCPRIM_400000_NS6detail17trampoline_kernelINS0_14default_configENS1_25partition_config_selectorILNS1_17partition_subalgoE9EllbEEZZNS1_14partition_implILS5_9ELb0ES3_jPlS8_PNS0_10empty_typeENS0_5tupleIJS8_S9_EEENSB_IJS8_SA_EEENS0_18inequality_wrapperIZN2at6native12_GLOBAL__N_124unique_dim_cuda_templateIbEESt5tupleIJNSF_6TensorESK_SK_EERKSK_lbbbEUlllE0_EEPmJS9_EEE10hipError_tPvRmT3_T4_T5_T6_T7_T9_mT8_P12ihipStream_tbDpT10_ENKUlT_T0_E_clISt17integral_constantIbLb0EES1A_EEDaS15_S16_EUlS15_E_NS1_11comp_targetILNS1_3genE9ELNS1_11target_archE1100ELNS1_3gpuE3ELNS1_3repE0EEENS1_30default_config_static_selectorELNS0_4arch9wavefront6targetE0EEEvT1_,"axG",@progbits,_ZN7rocprim17ROCPRIM_400000_NS6detail17trampoline_kernelINS0_14default_configENS1_25partition_config_selectorILNS1_17partition_subalgoE9EllbEEZZNS1_14partition_implILS5_9ELb0ES3_jPlS8_PNS0_10empty_typeENS0_5tupleIJS8_S9_EEENSB_IJS8_SA_EEENS0_18inequality_wrapperIZN2at6native12_GLOBAL__N_124unique_dim_cuda_templateIbEESt5tupleIJNSF_6TensorESK_SK_EERKSK_lbbbEUlllE0_EEPmJS9_EEE10hipError_tPvRmT3_T4_T5_T6_T7_T9_mT8_P12ihipStream_tbDpT10_ENKUlT_T0_E_clISt17integral_constantIbLb0EES1A_EEDaS15_S16_EUlS15_E_NS1_11comp_targetILNS1_3genE9ELNS1_11target_archE1100ELNS1_3gpuE3ELNS1_3repE0EEENS1_30default_config_static_selectorELNS0_4arch9wavefront6targetE0EEEvT1_,comdat
	.globl	_ZN7rocprim17ROCPRIM_400000_NS6detail17trampoline_kernelINS0_14default_configENS1_25partition_config_selectorILNS1_17partition_subalgoE9EllbEEZZNS1_14partition_implILS5_9ELb0ES3_jPlS8_PNS0_10empty_typeENS0_5tupleIJS8_S9_EEENSB_IJS8_SA_EEENS0_18inequality_wrapperIZN2at6native12_GLOBAL__N_124unique_dim_cuda_templateIbEESt5tupleIJNSF_6TensorESK_SK_EERKSK_lbbbEUlllE0_EEPmJS9_EEE10hipError_tPvRmT3_T4_T5_T6_T7_T9_mT8_P12ihipStream_tbDpT10_ENKUlT_T0_E_clISt17integral_constantIbLb0EES1A_EEDaS15_S16_EUlS15_E_NS1_11comp_targetILNS1_3genE9ELNS1_11target_archE1100ELNS1_3gpuE3ELNS1_3repE0EEENS1_30default_config_static_selectorELNS0_4arch9wavefront6targetE0EEEvT1_ ; -- Begin function _ZN7rocprim17ROCPRIM_400000_NS6detail17trampoline_kernelINS0_14default_configENS1_25partition_config_selectorILNS1_17partition_subalgoE9EllbEEZZNS1_14partition_implILS5_9ELb0ES3_jPlS8_PNS0_10empty_typeENS0_5tupleIJS8_S9_EEENSB_IJS8_SA_EEENS0_18inequality_wrapperIZN2at6native12_GLOBAL__N_124unique_dim_cuda_templateIbEESt5tupleIJNSF_6TensorESK_SK_EERKSK_lbbbEUlllE0_EEPmJS9_EEE10hipError_tPvRmT3_T4_T5_T6_T7_T9_mT8_P12ihipStream_tbDpT10_ENKUlT_T0_E_clISt17integral_constantIbLb0EES1A_EEDaS15_S16_EUlS15_E_NS1_11comp_targetILNS1_3genE9ELNS1_11target_archE1100ELNS1_3gpuE3ELNS1_3repE0EEENS1_30default_config_static_selectorELNS0_4arch9wavefront6targetE0EEEvT1_
	.p2align	8
	.type	_ZN7rocprim17ROCPRIM_400000_NS6detail17trampoline_kernelINS0_14default_configENS1_25partition_config_selectorILNS1_17partition_subalgoE9EllbEEZZNS1_14partition_implILS5_9ELb0ES3_jPlS8_PNS0_10empty_typeENS0_5tupleIJS8_S9_EEENSB_IJS8_SA_EEENS0_18inequality_wrapperIZN2at6native12_GLOBAL__N_124unique_dim_cuda_templateIbEESt5tupleIJNSF_6TensorESK_SK_EERKSK_lbbbEUlllE0_EEPmJS9_EEE10hipError_tPvRmT3_T4_T5_T6_T7_T9_mT8_P12ihipStream_tbDpT10_ENKUlT_T0_E_clISt17integral_constantIbLb0EES1A_EEDaS15_S16_EUlS15_E_NS1_11comp_targetILNS1_3genE9ELNS1_11target_archE1100ELNS1_3gpuE3ELNS1_3repE0EEENS1_30default_config_static_selectorELNS0_4arch9wavefront6targetE0EEEvT1_,@function
_ZN7rocprim17ROCPRIM_400000_NS6detail17trampoline_kernelINS0_14default_configENS1_25partition_config_selectorILNS1_17partition_subalgoE9EllbEEZZNS1_14partition_implILS5_9ELb0ES3_jPlS8_PNS0_10empty_typeENS0_5tupleIJS8_S9_EEENSB_IJS8_SA_EEENS0_18inequality_wrapperIZN2at6native12_GLOBAL__N_124unique_dim_cuda_templateIbEESt5tupleIJNSF_6TensorESK_SK_EERKSK_lbbbEUlllE0_EEPmJS9_EEE10hipError_tPvRmT3_T4_T5_T6_T7_T9_mT8_P12ihipStream_tbDpT10_ENKUlT_T0_E_clISt17integral_constantIbLb0EES1A_EEDaS15_S16_EUlS15_E_NS1_11comp_targetILNS1_3genE9ELNS1_11target_archE1100ELNS1_3gpuE3ELNS1_3repE0EEENS1_30default_config_static_selectorELNS0_4arch9wavefront6targetE0EEEvT1_: ; @_ZN7rocprim17ROCPRIM_400000_NS6detail17trampoline_kernelINS0_14default_configENS1_25partition_config_selectorILNS1_17partition_subalgoE9EllbEEZZNS1_14partition_implILS5_9ELb0ES3_jPlS8_PNS0_10empty_typeENS0_5tupleIJS8_S9_EEENSB_IJS8_SA_EEENS0_18inequality_wrapperIZN2at6native12_GLOBAL__N_124unique_dim_cuda_templateIbEESt5tupleIJNSF_6TensorESK_SK_EERKSK_lbbbEUlllE0_EEPmJS9_EEE10hipError_tPvRmT3_T4_T5_T6_T7_T9_mT8_P12ihipStream_tbDpT10_ENKUlT_T0_E_clISt17integral_constantIbLb0EES1A_EEDaS15_S16_EUlS15_E_NS1_11comp_targetILNS1_3genE9ELNS1_11target_archE1100ELNS1_3gpuE3ELNS1_3repE0EEENS1_30default_config_static_selectorELNS0_4arch9wavefront6targetE0EEEvT1_
; %bb.0:
	.section	.rodata,"a",@progbits
	.p2align	6, 0x0
	.amdhsa_kernel _ZN7rocprim17ROCPRIM_400000_NS6detail17trampoline_kernelINS0_14default_configENS1_25partition_config_selectorILNS1_17partition_subalgoE9EllbEEZZNS1_14partition_implILS5_9ELb0ES3_jPlS8_PNS0_10empty_typeENS0_5tupleIJS8_S9_EEENSB_IJS8_SA_EEENS0_18inequality_wrapperIZN2at6native12_GLOBAL__N_124unique_dim_cuda_templateIbEESt5tupleIJNSF_6TensorESK_SK_EERKSK_lbbbEUlllE0_EEPmJS9_EEE10hipError_tPvRmT3_T4_T5_T6_T7_T9_mT8_P12ihipStream_tbDpT10_ENKUlT_T0_E_clISt17integral_constantIbLb0EES1A_EEDaS15_S16_EUlS15_E_NS1_11comp_targetILNS1_3genE9ELNS1_11target_archE1100ELNS1_3gpuE3ELNS1_3repE0EEENS1_30default_config_static_selectorELNS0_4arch9wavefront6targetE0EEEvT1_
		.amdhsa_group_segment_fixed_size 0
		.amdhsa_private_segment_fixed_size 0
		.amdhsa_kernarg_size 120
		.amdhsa_user_sgpr_count 2
		.amdhsa_user_sgpr_dispatch_ptr 0
		.amdhsa_user_sgpr_queue_ptr 0
		.amdhsa_user_sgpr_kernarg_segment_ptr 1
		.amdhsa_user_sgpr_dispatch_id 0
		.amdhsa_user_sgpr_kernarg_preload_length 0
		.amdhsa_user_sgpr_kernarg_preload_offset 0
		.amdhsa_user_sgpr_private_segment_size 0
		.amdhsa_wavefront_size32 1
		.amdhsa_uses_dynamic_stack 0
		.amdhsa_enable_private_segment 0
		.amdhsa_system_sgpr_workgroup_id_x 1
		.amdhsa_system_sgpr_workgroup_id_y 0
		.amdhsa_system_sgpr_workgroup_id_z 0
		.amdhsa_system_sgpr_workgroup_info 0
		.amdhsa_system_vgpr_workitem_id 0
		.amdhsa_next_free_vgpr 1
		.amdhsa_next_free_sgpr 1
		.amdhsa_named_barrier_count 0
		.amdhsa_reserve_vcc 0
		.amdhsa_float_round_mode_32 0
		.amdhsa_float_round_mode_16_64 0
		.amdhsa_float_denorm_mode_32 3
		.amdhsa_float_denorm_mode_16_64 3
		.amdhsa_fp16_overflow 0
		.amdhsa_memory_ordered 1
		.amdhsa_forward_progress 1
		.amdhsa_inst_pref_size 0
		.amdhsa_round_robin_scheduling 0
		.amdhsa_exception_fp_ieee_invalid_op 0
		.amdhsa_exception_fp_denorm_src 0
		.amdhsa_exception_fp_ieee_div_zero 0
		.amdhsa_exception_fp_ieee_overflow 0
		.amdhsa_exception_fp_ieee_underflow 0
		.amdhsa_exception_fp_ieee_inexact 0
		.amdhsa_exception_int_div_zero 0
	.end_amdhsa_kernel
	.section	.text._ZN7rocprim17ROCPRIM_400000_NS6detail17trampoline_kernelINS0_14default_configENS1_25partition_config_selectorILNS1_17partition_subalgoE9EllbEEZZNS1_14partition_implILS5_9ELb0ES3_jPlS8_PNS0_10empty_typeENS0_5tupleIJS8_S9_EEENSB_IJS8_SA_EEENS0_18inequality_wrapperIZN2at6native12_GLOBAL__N_124unique_dim_cuda_templateIbEESt5tupleIJNSF_6TensorESK_SK_EERKSK_lbbbEUlllE0_EEPmJS9_EEE10hipError_tPvRmT3_T4_T5_T6_T7_T9_mT8_P12ihipStream_tbDpT10_ENKUlT_T0_E_clISt17integral_constantIbLb0EES1A_EEDaS15_S16_EUlS15_E_NS1_11comp_targetILNS1_3genE9ELNS1_11target_archE1100ELNS1_3gpuE3ELNS1_3repE0EEENS1_30default_config_static_selectorELNS0_4arch9wavefront6targetE0EEEvT1_,"axG",@progbits,_ZN7rocprim17ROCPRIM_400000_NS6detail17trampoline_kernelINS0_14default_configENS1_25partition_config_selectorILNS1_17partition_subalgoE9EllbEEZZNS1_14partition_implILS5_9ELb0ES3_jPlS8_PNS0_10empty_typeENS0_5tupleIJS8_S9_EEENSB_IJS8_SA_EEENS0_18inequality_wrapperIZN2at6native12_GLOBAL__N_124unique_dim_cuda_templateIbEESt5tupleIJNSF_6TensorESK_SK_EERKSK_lbbbEUlllE0_EEPmJS9_EEE10hipError_tPvRmT3_T4_T5_T6_T7_T9_mT8_P12ihipStream_tbDpT10_ENKUlT_T0_E_clISt17integral_constantIbLb0EES1A_EEDaS15_S16_EUlS15_E_NS1_11comp_targetILNS1_3genE9ELNS1_11target_archE1100ELNS1_3gpuE3ELNS1_3repE0EEENS1_30default_config_static_selectorELNS0_4arch9wavefront6targetE0EEEvT1_,comdat
.Lfunc_end1089:
	.size	_ZN7rocprim17ROCPRIM_400000_NS6detail17trampoline_kernelINS0_14default_configENS1_25partition_config_selectorILNS1_17partition_subalgoE9EllbEEZZNS1_14partition_implILS5_9ELb0ES3_jPlS8_PNS0_10empty_typeENS0_5tupleIJS8_S9_EEENSB_IJS8_SA_EEENS0_18inequality_wrapperIZN2at6native12_GLOBAL__N_124unique_dim_cuda_templateIbEESt5tupleIJNSF_6TensorESK_SK_EERKSK_lbbbEUlllE0_EEPmJS9_EEE10hipError_tPvRmT3_T4_T5_T6_T7_T9_mT8_P12ihipStream_tbDpT10_ENKUlT_T0_E_clISt17integral_constantIbLb0EES1A_EEDaS15_S16_EUlS15_E_NS1_11comp_targetILNS1_3genE9ELNS1_11target_archE1100ELNS1_3gpuE3ELNS1_3repE0EEENS1_30default_config_static_selectorELNS0_4arch9wavefront6targetE0EEEvT1_, .Lfunc_end1089-_ZN7rocprim17ROCPRIM_400000_NS6detail17trampoline_kernelINS0_14default_configENS1_25partition_config_selectorILNS1_17partition_subalgoE9EllbEEZZNS1_14partition_implILS5_9ELb0ES3_jPlS8_PNS0_10empty_typeENS0_5tupleIJS8_S9_EEENSB_IJS8_SA_EEENS0_18inequality_wrapperIZN2at6native12_GLOBAL__N_124unique_dim_cuda_templateIbEESt5tupleIJNSF_6TensorESK_SK_EERKSK_lbbbEUlllE0_EEPmJS9_EEE10hipError_tPvRmT3_T4_T5_T6_T7_T9_mT8_P12ihipStream_tbDpT10_ENKUlT_T0_E_clISt17integral_constantIbLb0EES1A_EEDaS15_S16_EUlS15_E_NS1_11comp_targetILNS1_3genE9ELNS1_11target_archE1100ELNS1_3gpuE3ELNS1_3repE0EEENS1_30default_config_static_selectorELNS0_4arch9wavefront6targetE0EEEvT1_
                                        ; -- End function
	.set _ZN7rocprim17ROCPRIM_400000_NS6detail17trampoline_kernelINS0_14default_configENS1_25partition_config_selectorILNS1_17partition_subalgoE9EllbEEZZNS1_14partition_implILS5_9ELb0ES3_jPlS8_PNS0_10empty_typeENS0_5tupleIJS8_S9_EEENSB_IJS8_SA_EEENS0_18inequality_wrapperIZN2at6native12_GLOBAL__N_124unique_dim_cuda_templateIbEESt5tupleIJNSF_6TensorESK_SK_EERKSK_lbbbEUlllE0_EEPmJS9_EEE10hipError_tPvRmT3_T4_T5_T6_T7_T9_mT8_P12ihipStream_tbDpT10_ENKUlT_T0_E_clISt17integral_constantIbLb0EES1A_EEDaS15_S16_EUlS15_E_NS1_11comp_targetILNS1_3genE9ELNS1_11target_archE1100ELNS1_3gpuE3ELNS1_3repE0EEENS1_30default_config_static_selectorELNS0_4arch9wavefront6targetE0EEEvT1_.num_vgpr, 0
	.set _ZN7rocprim17ROCPRIM_400000_NS6detail17trampoline_kernelINS0_14default_configENS1_25partition_config_selectorILNS1_17partition_subalgoE9EllbEEZZNS1_14partition_implILS5_9ELb0ES3_jPlS8_PNS0_10empty_typeENS0_5tupleIJS8_S9_EEENSB_IJS8_SA_EEENS0_18inequality_wrapperIZN2at6native12_GLOBAL__N_124unique_dim_cuda_templateIbEESt5tupleIJNSF_6TensorESK_SK_EERKSK_lbbbEUlllE0_EEPmJS9_EEE10hipError_tPvRmT3_T4_T5_T6_T7_T9_mT8_P12ihipStream_tbDpT10_ENKUlT_T0_E_clISt17integral_constantIbLb0EES1A_EEDaS15_S16_EUlS15_E_NS1_11comp_targetILNS1_3genE9ELNS1_11target_archE1100ELNS1_3gpuE3ELNS1_3repE0EEENS1_30default_config_static_selectorELNS0_4arch9wavefront6targetE0EEEvT1_.num_agpr, 0
	.set _ZN7rocprim17ROCPRIM_400000_NS6detail17trampoline_kernelINS0_14default_configENS1_25partition_config_selectorILNS1_17partition_subalgoE9EllbEEZZNS1_14partition_implILS5_9ELb0ES3_jPlS8_PNS0_10empty_typeENS0_5tupleIJS8_S9_EEENSB_IJS8_SA_EEENS0_18inequality_wrapperIZN2at6native12_GLOBAL__N_124unique_dim_cuda_templateIbEESt5tupleIJNSF_6TensorESK_SK_EERKSK_lbbbEUlllE0_EEPmJS9_EEE10hipError_tPvRmT3_T4_T5_T6_T7_T9_mT8_P12ihipStream_tbDpT10_ENKUlT_T0_E_clISt17integral_constantIbLb0EES1A_EEDaS15_S16_EUlS15_E_NS1_11comp_targetILNS1_3genE9ELNS1_11target_archE1100ELNS1_3gpuE3ELNS1_3repE0EEENS1_30default_config_static_selectorELNS0_4arch9wavefront6targetE0EEEvT1_.numbered_sgpr, 0
	.set _ZN7rocprim17ROCPRIM_400000_NS6detail17trampoline_kernelINS0_14default_configENS1_25partition_config_selectorILNS1_17partition_subalgoE9EllbEEZZNS1_14partition_implILS5_9ELb0ES3_jPlS8_PNS0_10empty_typeENS0_5tupleIJS8_S9_EEENSB_IJS8_SA_EEENS0_18inequality_wrapperIZN2at6native12_GLOBAL__N_124unique_dim_cuda_templateIbEESt5tupleIJNSF_6TensorESK_SK_EERKSK_lbbbEUlllE0_EEPmJS9_EEE10hipError_tPvRmT3_T4_T5_T6_T7_T9_mT8_P12ihipStream_tbDpT10_ENKUlT_T0_E_clISt17integral_constantIbLb0EES1A_EEDaS15_S16_EUlS15_E_NS1_11comp_targetILNS1_3genE9ELNS1_11target_archE1100ELNS1_3gpuE3ELNS1_3repE0EEENS1_30default_config_static_selectorELNS0_4arch9wavefront6targetE0EEEvT1_.num_named_barrier, 0
	.set _ZN7rocprim17ROCPRIM_400000_NS6detail17trampoline_kernelINS0_14default_configENS1_25partition_config_selectorILNS1_17partition_subalgoE9EllbEEZZNS1_14partition_implILS5_9ELb0ES3_jPlS8_PNS0_10empty_typeENS0_5tupleIJS8_S9_EEENSB_IJS8_SA_EEENS0_18inequality_wrapperIZN2at6native12_GLOBAL__N_124unique_dim_cuda_templateIbEESt5tupleIJNSF_6TensorESK_SK_EERKSK_lbbbEUlllE0_EEPmJS9_EEE10hipError_tPvRmT3_T4_T5_T6_T7_T9_mT8_P12ihipStream_tbDpT10_ENKUlT_T0_E_clISt17integral_constantIbLb0EES1A_EEDaS15_S16_EUlS15_E_NS1_11comp_targetILNS1_3genE9ELNS1_11target_archE1100ELNS1_3gpuE3ELNS1_3repE0EEENS1_30default_config_static_selectorELNS0_4arch9wavefront6targetE0EEEvT1_.private_seg_size, 0
	.set _ZN7rocprim17ROCPRIM_400000_NS6detail17trampoline_kernelINS0_14default_configENS1_25partition_config_selectorILNS1_17partition_subalgoE9EllbEEZZNS1_14partition_implILS5_9ELb0ES3_jPlS8_PNS0_10empty_typeENS0_5tupleIJS8_S9_EEENSB_IJS8_SA_EEENS0_18inequality_wrapperIZN2at6native12_GLOBAL__N_124unique_dim_cuda_templateIbEESt5tupleIJNSF_6TensorESK_SK_EERKSK_lbbbEUlllE0_EEPmJS9_EEE10hipError_tPvRmT3_T4_T5_T6_T7_T9_mT8_P12ihipStream_tbDpT10_ENKUlT_T0_E_clISt17integral_constantIbLb0EES1A_EEDaS15_S16_EUlS15_E_NS1_11comp_targetILNS1_3genE9ELNS1_11target_archE1100ELNS1_3gpuE3ELNS1_3repE0EEENS1_30default_config_static_selectorELNS0_4arch9wavefront6targetE0EEEvT1_.uses_vcc, 0
	.set _ZN7rocprim17ROCPRIM_400000_NS6detail17trampoline_kernelINS0_14default_configENS1_25partition_config_selectorILNS1_17partition_subalgoE9EllbEEZZNS1_14partition_implILS5_9ELb0ES3_jPlS8_PNS0_10empty_typeENS0_5tupleIJS8_S9_EEENSB_IJS8_SA_EEENS0_18inequality_wrapperIZN2at6native12_GLOBAL__N_124unique_dim_cuda_templateIbEESt5tupleIJNSF_6TensorESK_SK_EERKSK_lbbbEUlllE0_EEPmJS9_EEE10hipError_tPvRmT3_T4_T5_T6_T7_T9_mT8_P12ihipStream_tbDpT10_ENKUlT_T0_E_clISt17integral_constantIbLb0EES1A_EEDaS15_S16_EUlS15_E_NS1_11comp_targetILNS1_3genE9ELNS1_11target_archE1100ELNS1_3gpuE3ELNS1_3repE0EEENS1_30default_config_static_selectorELNS0_4arch9wavefront6targetE0EEEvT1_.uses_flat_scratch, 0
	.set _ZN7rocprim17ROCPRIM_400000_NS6detail17trampoline_kernelINS0_14default_configENS1_25partition_config_selectorILNS1_17partition_subalgoE9EllbEEZZNS1_14partition_implILS5_9ELb0ES3_jPlS8_PNS0_10empty_typeENS0_5tupleIJS8_S9_EEENSB_IJS8_SA_EEENS0_18inequality_wrapperIZN2at6native12_GLOBAL__N_124unique_dim_cuda_templateIbEESt5tupleIJNSF_6TensorESK_SK_EERKSK_lbbbEUlllE0_EEPmJS9_EEE10hipError_tPvRmT3_T4_T5_T6_T7_T9_mT8_P12ihipStream_tbDpT10_ENKUlT_T0_E_clISt17integral_constantIbLb0EES1A_EEDaS15_S16_EUlS15_E_NS1_11comp_targetILNS1_3genE9ELNS1_11target_archE1100ELNS1_3gpuE3ELNS1_3repE0EEENS1_30default_config_static_selectorELNS0_4arch9wavefront6targetE0EEEvT1_.has_dyn_sized_stack, 0
	.set _ZN7rocprim17ROCPRIM_400000_NS6detail17trampoline_kernelINS0_14default_configENS1_25partition_config_selectorILNS1_17partition_subalgoE9EllbEEZZNS1_14partition_implILS5_9ELb0ES3_jPlS8_PNS0_10empty_typeENS0_5tupleIJS8_S9_EEENSB_IJS8_SA_EEENS0_18inequality_wrapperIZN2at6native12_GLOBAL__N_124unique_dim_cuda_templateIbEESt5tupleIJNSF_6TensorESK_SK_EERKSK_lbbbEUlllE0_EEPmJS9_EEE10hipError_tPvRmT3_T4_T5_T6_T7_T9_mT8_P12ihipStream_tbDpT10_ENKUlT_T0_E_clISt17integral_constantIbLb0EES1A_EEDaS15_S16_EUlS15_E_NS1_11comp_targetILNS1_3genE9ELNS1_11target_archE1100ELNS1_3gpuE3ELNS1_3repE0EEENS1_30default_config_static_selectorELNS0_4arch9wavefront6targetE0EEEvT1_.has_recursion, 0
	.set _ZN7rocprim17ROCPRIM_400000_NS6detail17trampoline_kernelINS0_14default_configENS1_25partition_config_selectorILNS1_17partition_subalgoE9EllbEEZZNS1_14partition_implILS5_9ELb0ES3_jPlS8_PNS0_10empty_typeENS0_5tupleIJS8_S9_EEENSB_IJS8_SA_EEENS0_18inequality_wrapperIZN2at6native12_GLOBAL__N_124unique_dim_cuda_templateIbEESt5tupleIJNSF_6TensorESK_SK_EERKSK_lbbbEUlllE0_EEPmJS9_EEE10hipError_tPvRmT3_T4_T5_T6_T7_T9_mT8_P12ihipStream_tbDpT10_ENKUlT_T0_E_clISt17integral_constantIbLb0EES1A_EEDaS15_S16_EUlS15_E_NS1_11comp_targetILNS1_3genE9ELNS1_11target_archE1100ELNS1_3gpuE3ELNS1_3repE0EEENS1_30default_config_static_selectorELNS0_4arch9wavefront6targetE0EEEvT1_.has_indirect_call, 0
	.section	.AMDGPU.csdata,"",@progbits
; Kernel info:
; codeLenInByte = 0
; TotalNumSgprs: 0
; NumVgprs: 0
; ScratchSize: 0
; MemoryBound: 0
; FloatMode: 240
; IeeeMode: 1
; LDSByteSize: 0 bytes/workgroup (compile time only)
; SGPRBlocks: 0
; VGPRBlocks: 0
; NumSGPRsForWavesPerEU: 1
; NumVGPRsForWavesPerEU: 1
; NamedBarCnt: 0
; Occupancy: 16
; WaveLimiterHint : 0
; COMPUTE_PGM_RSRC2:SCRATCH_EN: 0
; COMPUTE_PGM_RSRC2:USER_SGPR: 2
; COMPUTE_PGM_RSRC2:TRAP_HANDLER: 0
; COMPUTE_PGM_RSRC2:TGID_X_EN: 1
; COMPUTE_PGM_RSRC2:TGID_Y_EN: 0
; COMPUTE_PGM_RSRC2:TGID_Z_EN: 0
; COMPUTE_PGM_RSRC2:TIDIG_COMP_CNT: 0
	.section	.text._ZN7rocprim17ROCPRIM_400000_NS6detail17trampoline_kernelINS0_14default_configENS1_25partition_config_selectorILNS1_17partition_subalgoE9EllbEEZZNS1_14partition_implILS5_9ELb0ES3_jPlS8_PNS0_10empty_typeENS0_5tupleIJS8_S9_EEENSB_IJS8_SA_EEENS0_18inequality_wrapperIZN2at6native12_GLOBAL__N_124unique_dim_cuda_templateIbEESt5tupleIJNSF_6TensorESK_SK_EERKSK_lbbbEUlllE0_EEPmJS9_EEE10hipError_tPvRmT3_T4_T5_T6_T7_T9_mT8_P12ihipStream_tbDpT10_ENKUlT_T0_E_clISt17integral_constantIbLb0EES1A_EEDaS15_S16_EUlS15_E_NS1_11comp_targetILNS1_3genE8ELNS1_11target_archE1030ELNS1_3gpuE2ELNS1_3repE0EEENS1_30default_config_static_selectorELNS0_4arch9wavefront6targetE0EEEvT1_,"axG",@progbits,_ZN7rocprim17ROCPRIM_400000_NS6detail17trampoline_kernelINS0_14default_configENS1_25partition_config_selectorILNS1_17partition_subalgoE9EllbEEZZNS1_14partition_implILS5_9ELb0ES3_jPlS8_PNS0_10empty_typeENS0_5tupleIJS8_S9_EEENSB_IJS8_SA_EEENS0_18inequality_wrapperIZN2at6native12_GLOBAL__N_124unique_dim_cuda_templateIbEESt5tupleIJNSF_6TensorESK_SK_EERKSK_lbbbEUlllE0_EEPmJS9_EEE10hipError_tPvRmT3_T4_T5_T6_T7_T9_mT8_P12ihipStream_tbDpT10_ENKUlT_T0_E_clISt17integral_constantIbLb0EES1A_EEDaS15_S16_EUlS15_E_NS1_11comp_targetILNS1_3genE8ELNS1_11target_archE1030ELNS1_3gpuE2ELNS1_3repE0EEENS1_30default_config_static_selectorELNS0_4arch9wavefront6targetE0EEEvT1_,comdat
	.globl	_ZN7rocprim17ROCPRIM_400000_NS6detail17trampoline_kernelINS0_14default_configENS1_25partition_config_selectorILNS1_17partition_subalgoE9EllbEEZZNS1_14partition_implILS5_9ELb0ES3_jPlS8_PNS0_10empty_typeENS0_5tupleIJS8_S9_EEENSB_IJS8_SA_EEENS0_18inequality_wrapperIZN2at6native12_GLOBAL__N_124unique_dim_cuda_templateIbEESt5tupleIJNSF_6TensorESK_SK_EERKSK_lbbbEUlllE0_EEPmJS9_EEE10hipError_tPvRmT3_T4_T5_T6_T7_T9_mT8_P12ihipStream_tbDpT10_ENKUlT_T0_E_clISt17integral_constantIbLb0EES1A_EEDaS15_S16_EUlS15_E_NS1_11comp_targetILNS1_3genE8ELNS1_11target_archE1030ELNS1_3gpuE2ELNS1_3repE0EEENS1_30default_config_static_selectorELNS0_4arch9wavefront6targetE0EEEvT1_ ; -- Begin function _ZN7rocprim17ROCPRIM_400000_NS6detail17trampoline_kernelINS0_14default_configENS1_25partition_config_selectorILNS1_17partition_subalgoE9EllbEEZZNS1_14partition_implILS5_9ELb0ES3_jPlS8_PNS0_10empty_typeENS0_5tupleIJS8_S9_EEENSB_IJS8_SA_EEENS0_18inequality_wrapperIZN2at6native12_GLOBAL__N_124unique_dim_cuda_templateIbEESt5tupleIJNSF_6TensorESK_SK_EERKSK_lbbbEUlllE0_EEPmJS9_EEE10hipError_tPvRmT3_T4_T5_T6_T7_T9_mT8_P12ihipStream_tbDpT10_ENKUlT_T0_E_clISt17integral_constantIbLb0EES1A_EEDaS15_S16_EUlS15_E_NS1_11comp_targetILNS1_3genE8ELNS1_11target_archE1030ELNS1_3gpuE2ELNS1_3repE0EEENS1_30default_config_static_selectorELNS0_4arch9wavefront6targetE0EEEvT1_
	.p2align	8
	.type	_ZN7rocprim17ROCPRIM_400000_NS6detail17trampoline_kernelINS0_14default_configENS1_25partition_config_selectorILNS1_17partition_subalgoE9EllbEEZZNS1_14partition_implILS5_9ELb0ES3_jPlS8_PNS0_10empty_typeENS0_5tupleIJS8_S9_EEENSB_IJS8_SA_EEENS0_18inequality_wrapperIZN2at6native12_GLOBAL__N_124unique_dim_cuda_templateIbEESt5tupleIJNSF_6TensorESK_SK_EERKSK_lbbbEUlllE0_EEPmJS9_EEE10hipError_tPvRmT3_T4_T5_T6_T7_T9_mT8_P12ihipStream_tbDpT10_ENKUlT_T0_E_clISt17integral_constantIbLb0EES1A_EEDaS15_S16_EUlS15_E_NS1_11comp_targetILNS1_3genE8ELNS1_11target_archE1030ELNS1_3gpuE2ELNS1_3repE0EEENS1_30default_config_static_selectorELNS0_4arch9wavefront6targetE0EEEvT1_,@function
_ZN7rocprim17ROCPRIM_400000_NS6detail17trampoline_kernelINS0_14default_configENS1_25partition_config_selectorILNS1_17partition_subalgoE9EllbEEZZNS1_14partition_implILS5_9ELb0ES3_jPlS8_PNS0_10empty_typeENS0_5tupleIJS8_S9_EEENSB_IJS8_SA_EEENS0_18inequality_wrapperIZN2at6native12_GLOBAL__N_124unique_dim_cuda_templateIbEESt5tupleIJNSF_6TensorESK_SK_EERKSK_lbbbEUlllE0_EEPmJS9_EEE10hipError_tPvRmT3_T4_T5_T6_T7_T9_mT8_P12ihipStream_tbDpT10_ENKUlT_T0_E_clISt17integral_constantIbLb0EES1A_EEDaS15_S16_EUlS15_E_NS1_11comp_targetILNS1_3genE8ELNS1_11target_archE1030ELNS1_3gpuE2ELNS1_3repE0EEENS1_30default_config_static_selectorELNS0_4arch9wavefront6targetE0EEEvT1_: ; @_ZN7rocprim17ROCPRIM_400000_NS6detail17trampoline_kernelINS0_14default_configENS1_25partition_config_selectorILNS1_17partition_subalgoE9EllbEEZZNS1_14partition_implILS5_9ELb0ES3_jPlS8_PNS0_10empty_typeENS0_5tupleIJS8_S9_EEENSB_IJS8_SA_EEENS0_18inequality_wrapperIZN2at6native12_GLOBAL__N_124unique_dim_cuda_templateIbEESt5tupleIJNSF_6TensorESK_SK_EERKSK_lbbbEUlllE0_EEPmJS9_EEE10hipError_tPvRmT3_T4_T5_T6_T7_T9_mT8_P12ihipStream_tbDpT10_ENKUlT_T0_E_clISt17integral_constantIbLb0EES1A_EEDaS15_S16_EUlS15_E_NS1_11comp_targetILNS1_3genE8ELNS1_11target_archE1030ELNS1_3gpuE2ELNS1_3repE0EEENS1_30default_config_static_selectorELNS0_4arch9wavefront6targetE0EEEvT1_
; %bb.0:
	.section	.rodata,"a",@progbits
	.p2align	6, 0x0
	.amdhsa_kernel _ZN7rocprim17ROCPRIM_400000_NS6detail17trampoline_kernelINS0_14default_configENS1_25partition_config_selectorILNS1_17partition_subalgoE9EllbEEZZNS1_14partition_implILS5_9ELb0ES3_jPlS8_PNS0_10empty_typeENS0_5tupleIJS8_S9_EEENSB_IJS8_SA_EEENS0_18inequality_wrapperIZN2at6native12_GLOBAL__N_124unique_dim_cuda_templateIbEESt5tupleIJNSF_6TensorESK_SK_EERKSK_lbbbEUlllE0_EEPmJS9_EEE10hipError_tPvRmT3_T4_T5_T6_T7_T9_mT8_P12ihipStream_tbDpT10_ENKUlT_T0_E_clISt17integral_constantIbLb0EES1A_EEDaS15_S16_EUlS15_E_NS1_11comp_targetILNS1_3genE8ELNS1_11target_archE1030ELNS1_3gpuE2ELNS1_3repE0EEENS1_30default_config_static_selectorELNS0_4arch9wavefront6targetE0EEEvT1_
		.amdhsa_group_segment_fixed_size 0
		.amdhsa_private_segment_fixed_size 0
		.amdhsa_kernarg_size 120
		.amdhsa_user_sgpr_count 2
		.amdhsa_user_sgpr_dispatch_ptr 0
		.amdhsa_user_sgpr_queue_ptr 0
		.amdhsa_user_sgpr_kernarg_segment_ptr 1
		.amdhsa_user_sgpr_dispatch_id 0
		.amdhsa_user_sgpr_kernarg_preload_length 0
		.amdhsa_user_sgpr_kernarg_preload_offset 0
		.amdhsa_user_sgpr_private_segment_size 0
		.amdhsa_wavefront_size32 1
		.amdhsa_uses_dynamic_stack 0
		.amdhsa_enable_private_segment 0
		.amdhsa_system_sgpr_workgroup_id_x 1
		.amdhsa_system_sgpr_workgroup_id_y 0
		.amdhsa_system_sgpr_workgroup_id_z 0
		.amdhsa_system_sgpr_workgroup_info 0
		.amdhsa_system_vgpr_workitem_id 0
		.amdhsa_next_free_vgpr 1
		.amdhsa_next_free_sgpr 1
		.amdhsa_named_barrier_count 0
		.amdhsa_reserve_vcc 0
		.amdhsa_float_round_mode_32 0
		.amdhsa_float_round_mode_16_64 0
		.amdhsa_float_denorm_mode_32 3
		.amdhsa_float_denorm_mode_16_64 3
		.amdhsa_fp16_overflow 0
		.amdhsa_memory_ordered 1
		.amdhsa_forward_progress 1
		.amdhsa_inst_pref_size 0
		.amdhsa_round_robin_scheduling 0
		.amdhsa_exception_fp_ieee_invalid_op 0
		.amdhsa_exception_fp_denorm_src 0
		.amdhsa_exception_fp_ieee_div_zero 0
		.amdhsa_exception_fp_ieee_overflow 0
		.amdhsa_exception_fp_ieee_underflow 0
		.amdhsa_exception_fp_ieee_inexact 0
		.amdhsa_exception_int_div_zero 0
	.end_amdhsa_kernel
	.section	.text._ZN7rocprim17ROCPRIM_400000_NS6detail17trampoline_kernelINS0_14default_configENS1_25partition_config_selectorILNS1_17partition_subalgoE9EllbEEZZNS1_14partition_implILS5_9ELb0ES3_jPlS8_PNS0_10empty_typeENS0_5tupleIJS8_S9_EEENSB_IJS8_SA_EEENS0_18inequality_wrapperIZN2at6native12_GLOBAL__N_124unique_dim_cuda_templateIbEESt5tupleIJNSF_6TensorESK_SK_EERKSK_lbbbEUlllE0_EEPmJS9_EEE10hipError_tPvRmT3_T4_T5_T6_T7_T9_mT8_P12ihipStream_tbDpT10_ENKUlT_T0_E_clISt17integral_constantIbLb0EES1A_EEDaS15_S16_EUlS15_E_NS1_11comp_targetILNS1_3genE8ELNS1_11target_archE1030ELNS1_3gpuE2ELNS1_3repE0EEENS1_30default_config_static_selectorELNS0_4arch9wavefront6targetE0EEEvT1_,"axG",@progbits,_ZN7rocprim17ROCPRIM_400000_NS6detail17trampoline_kernelINS0_14default_configENS1_25partition_config_selectorILNS1_17partition_subalgoE9EllbEEZZNS1_14partition_implILS5_9ELb0ES3_jPlS8_PNS0_10empty_typeENS0_5tupleIJS8_S9_EEENSB_IJS8_SA_EEENS0_18inequality_wrapperIZN2at6native12_GLOBAL__N_124unique_dim_cuda_templateIbEESt5tupleIJNSF_6TensorESK_SK_EERKSK_lbbbEUlllE0_EEPmJS9_EEE10hipError_tPvRmT3_T4_T5_T6_T7_T9_mT8_P12ihipStream_tbDpT10_ENKUlT_T0_E_clISt17integral_constantIbLb0EES1A_EEDaS15_S16_EUlS15_E_NS1_11comp_targetILNS1_3genE8ELNS1_11target_archE1030ELNS1_3gpuE2ELNS1_3repE0EEENS1_30default_config_static_selectorELNS0_4arch9wavefront6targetE0EEEvT1_,comdat
.Lfunc_end1090:
	.size	_ZN7rocprim17ROCPRIM_400000_NS6detail17trampoline_kernelINS0_14default_configENS1_25partition_config_selectorILNS1_17partition_subalgoE9EllbEEZZNS1_14partition_implILS5_9ELb0ES3_jPlS8_PNS0_10empty_typeENS0_5tupleIJS8_S9_EEENSB_IJS8_SA_EEENS0_18inequality_wrapperIZN2at6native12_GLOBAL__N_124unique_dim_cuda_templateIbEESt5tupleIJNSF_6TensorESK_SK_EERKSK_lbbbEUlllE0_EEPmJS9_EEE10hipError_tPvRmT3_T4_T5_T6_T7_T9_mT8_P12ihipStream_tbDpT10_ENKUlT_T0_E_clISt17integral_constantIbLb0EES1A_EEDaS15_S16_EUlS15_E_NS1_11comp_targetILNS1_3genE8ELNS1_11target_archE1030ELNS1_3gpuE2ELNS1_3repE0EEENS1_30default_config_static_selectorELNS0_4arch9wavefront6targetE0EEEvT1_, .Lfunc_end1090-_ZN7rocprim17ROCPRIM_400000_NS6detail17trampoline_kernelINS0_14default_configENS1_25partition_config_selectorILNS1_17partition_subalgoE9EllbEEZZNS1_14partition_implILS5_9ELb0ES3_jPlS8_PNS0_10empty_typeENS0_5tupleIJS8_S9_EEENSB_IJS8_SA_EEENS0_18inequality_wrapperIZN2at6native12_GLOBAL__N_124unique_dim_cuda_templateIbEESt5tupleIJNSF_6TensorESK_SK_EERKSK_lbbbEUlllE0_EEPmJS9_EEE10hipError_tPvRmT3_T4_T5_T6_T7_T9_mT8_P12ihipStream_tbDpT10_ENKUlT_T0_E_clISt17integral_constantIbLb0EES1A_EEDaS15_S16_EUlS15_E_NS1_11comp_targetILNS1_3genE8ELNS1_11target_archE1030ELNS1_3gpuE2ELNS1_3repE0EEENS1_30default_config_static_selectorELNS0_4arch9wavefront6targetE0EEEvT1_
                                        ; -- End function
	.set _ZN7rocprim17ROCPRIM_400000_NS6detail17trampoline_kernelINS0_14default_configENS1_25partition_config_selectorILNS1_17partition_subalgoE9EllbEEZZNS1_14partition_implILS5_9ELb0ES3_jPlS8_PNS0_10empty_typeENS0_5tupleIJS8_S9_EEENSB_IJS8_SA_EEENS0_18inequality_wrapperIZN2at6native12_GLOBAL__N_124unique_dim_cuda_templateIbEESt5tupleIJNSF_6TensorESK_SK_EERKSK_lbbbEUlllE0_EEPmJS9_EEE10hipError_tPvRmT3_T4_T5_T6_T7_T9_mT8_P12ihipStream_tbDpT10_ENKUlT_T0_E_clISt17integral_constantIbLb0EES1A_EEDaS15_S16_EUlS15_E_NS1_11comp_targetILNS1_3genE8ELNS1_11target_archE1030ELNS1_3gpuE2ELNS1_3repE0EEENS1_30default_config_static_selectorELNS0_4arch9wavefront6targetE0EEEvT1_.num_vgpr, 0
	.set _ZN7rocprim17ROCPRIM_400000_NS6detail17trampoline_kernelINS0_14default_configENS1_25partition_config_selectorILNS1_17partition_subalgoE9EllbEEZZNS1_14partition_implILS5_9ELb0ES3_jPlS8_PNS0_10empty_typeENS0_5tupleIJS8_S9_EEENSB_IJS8_SA_EEENS0_18inequality_wrapperIZN2at6native12_GLOBAL__N_124unique_dim_cuda_templateIbEESt5tupleIJNSF_6TensorESK_SK_EERKSK_lbbbEUlllE0_EEPmJS9_EEE10hipError_tPvRmT3_T4_T5_T6_T7_T9_mT8_P12ihipStream_tbDpT10_ENKUlT_T0_E_clISt17integral_constantIbLb0EES1A_EEDaS15_S16_EUlS15_E_NS1_11comp_targetILNS1_3genE8ELNS1_11target_archE1030ELNS1_3gpuE2ELNS1_3repE0EEENS1_30default_config_static_selectorELNS0_4arch9wavefront6targetE0EEEvT1_.num_agpr, 0
	.set _ZN7rocprim17ROCPRIM_400000_NS6detail17trampoline_kernelINS0_14default_configENS1_25partition_config_selectorILNS1_17partition_subalgoE9EllbEEZZNS1_14partition_implILS5_9ELb0ES3_jPlS8_PNS0_10empty_typeENS0_5tupleIJS8_S9_EEENSB_IJS8_SA_EEENS0_18inequality_wrapperIZN2at6native12_GLOBAL__N_124unique_dim_cuda_templateIbEESt5tupleIJNSF_6TensorESK_SK_EERKSK_lbbbEUlllE0_EEPmJS9_EEE10hipError_tPvRmT3_T4_T5_T6_T7_T9_mT8_P12ihipStream_tbDpT10_ENKUlT_T0_E_clISt17integral_constantIbLb0EES1A_EEDaS15_S16_EUlS15_E_NS1_11comp_targetILNS1_3genE8ELNS1_11target_archE1030ELNS1_3gpuE2ELNS1_3repE0EEENS1_30default_config_static_selectorELNS0_4arch9wavefront6targetE0EEEvT1_.numbered_sgpr, 0
	.set _ZN7rocprim17ROCPRIM_400000_NS6detail17trampoline_kernelINS0_14default_configENS1_25partition_config_selectorILNS1_17partition_subalgoE9EllbEEZZNS1_14partition_implILS5_9ELb0ES3_jPlS8_PNS0_10empty_typeENS0_5tupleIJS8_S9_EEENSB_IJS8_SA_EEENS0_18inequality_wrapperIZN2at6native12_GLOBAL__N_124unique_dim_cuda_templateIbEESt5tupleIJNSF_6TensorESK_SK_EERKSK_lbbbEUlllE0_EEPmJS9_EEE10hipError_tPvRmT3_T4_T5_T6_T7_T9_mT8_P12ihipStream_tbDpT10_ENKUlT_T0_E_clISt17integral_constantIbLb0EES1A_EEDaS15_S16_EUlS15_E_NS1_11comp_targetILNS1_3genE8ELNS1_11target_archE1030ELNS1_3gpuE2ELNS1_3repE0EEENS1_30default_config_static_selectorELNS0_4arch9wavefront6targetE0EEEvT1_.num_named_barrier, 0
	.set _ZN7rocprim17ROCPRIM_400000_NS6detail17trampoline_kernelINS0_14default_configENS1_25partition_config_selectorILNS1_17partition_subalgoE9EllbEEZZNS1_14partition_implILS5_9ELb0ES3_jPlS8_PNS0_10empty_typeENS0_5tupleIJS8_S9_EEENSB_IJS8_SA_EEENS0_18inequality_wrapperIZN2at6native12_GLOBAL__N_124unique_dim_cuda_templateIbEESt5tupleIJNSF_6TensorESK_SK_EERKSK_lbbbEUlllE0_EEPmJS9_EEE10hipError_tPvRmT3_T4_T5_T6_T7_T9_mT8_P12ihipStream_tbDpT10_ENKUlT_T0_E_clISt17integral_constantIbLb0EES1A_EEDaS15_S16_EUlS15_E_NS1_11comp_targetILNS1_3genE8ELNS1_11target_archE1030ELNS1_3gpuE2ELNS1_3repE0EEENS1_30default_config_static_selectorELNS0_4arch9wavefront6targetE0EEEvT1_.private_seg_size, 0
	.set _ZN7rocprim17ROCPRIM_400000_NS6detail17trampoline_kernelINS0_14default_configENS1_25partition_config_selectorILNS1_17partition_subalgoE9EllbEEZZNS1_14partition_implILS5_9ELb0ES3_jPlS8_PNS0_10empty_typeENS0_5tupleIJS8_S9_EEENSB_IJS8_SA_EEENS0_18inequality_wrapperIZN2at6native12_GLOBAL__N_124unique_dim_cuda_templateIbEESt5tupleIJNSF_6TensorESK_SK_EERKSK_lbbbEUlllE0_EEPmJS9_EEE10hipError_tPvRmT3_T4_T5_T6_T7_T9_mT8_P12ihipStream_tbDpT10_ENKUlT_T0_E_clISt17integral_constantIbLb0EES1A_EEDaS15_S16_EUlS15_E_NS1_11comp_targetILNS1_3genE8ELNS1_11target_archE1030ELNS1_3gpuE2ELNS1_3repE0EEENS1_30default_config_static_selectorELNS0_4arch9wavefront6targetE0EEEvT1_.uses_vcc, 0
	.set _ZN7rocprim17ROCPRIM_400000_NS6detail17trampoline_kernelINS0_14default_configENS1_25partition_config_selectorILNS1_17partition_subalgoE9EllbEEZZNS1_14partition_implILS5_9ELb0ES3_jPlS8_PNS0_10empty_typeENS0_5tupleIJS8_S9_EEENSB_IJS8_SA_EEENS0_18inequality_wrapperIZN2at6native12_GLOBAL__N_124unique_dim_cuda_templateIbEESt5tupleIJNSF_6TensorESK_SK_EERKSK_lbbbEUlllE0_EEPmJS9_EEE10hipError_tPvRmT3_T4_T5_T6_T7_T9_mT8_P12ihipStream_tbDpT10_ENKUlT_T0_E_clISt17integral_constantIbLb0EES1A_EEDaS15_S16_EUlS15_E_NS1_11comp_targetILNS1_3genE8ELNS1_11target_archE1030ELNS1_3gpuE2ELNS1_3repE0EEENS1_30default_config_static_selectorELNS0_4arch9wavefront6targetE0EEEvT1_.uses_flat_scratch, 0
	.set _ZN7rocprim17ROCPRIM_400000_NS6detail17trampoline_kernelINS0_14default_configENS1_25partition_config_selectorILNS1_17partition_subalgoE9EllbEEZZNS1_14partition_implILS5_9ELb0ES3_jPlS8_PNS0_10empty_typeENS0_5tupleIJS8_S9_EEENSB_IJS8_SA_EEENS0_18inequality_wrapperIZN2at6native12_GLOBAL__N_124unique_dim_cuda_templateIbEESt5tupleIJNSF_6TensorESK_SK_EERKSK_lbbbEUlllE0_EEPmJS9_EEE10hipError_tPvRmT3_T4_T5_T6_T7_T9_mT8_P12ihipStream_tbDpT10_ENKUlT_T0_E_clISt17integral_constantIbLb0EES1A_EEDaS15_S16_EUlS15_E_NS1_11comp_targetILNS1_3genE8ELNS1_11target_archE1030ELNS1_3gpuE2ELNS1_3repE0EEENS1_30default_config_static_selectorELNS0_4arch9wavefront6targetE0EEEvT1_.has_dyn_sized_stack, 0
	.set _ZN7rocprim17ROCPRIM_400000_NS6detail17trampoline_kernelINS0_14default_configENS1_25partition_config_selectorILNS1_17partition_subalgoE9EllbEEZZNS1_14partition_implILS5_9ELb0ES3_jPlS8_PNS0_10empty_typeENS0_5tupleIJS8_S9_EEENSB_IJS8_SA_EEENS0_18inequality_wrapperIZN2at6native12_GLOBAL__N_124unique_dim_cuda_templateIbEESt5tupleIJNSF_6TensorESK_SK_EERKSK_lbbbEUlllE0_EEPmJS9_EEE10hipError_tPvRmT3_T4_T5_T6_T7_T9_mT8_P12ihipStream_tbDpT10_ENKUlT_T0_E_clISt17integral_constantIbLb0EES1A_EEDaS15_S16_EUlS15_E_NS1_11comp_targetILNS1_3genE8ELNS1_11target_archE1030ELNS1_3gpuE2ELNS1_3repE0EEENS1_30default_config_static_selectorELNS0_4arch9wavefront6targetE0EEEvT1_.has_recursion, 0
	.set _ZN7rocprim17ROCPRIM_400000_NS6detail17trampoline_kernelINS0_14default_configENS1_25partition_config_selectorILNS1_17partition_subalgoE9EllbEEZZNS1_14partition_implILS5_9ELb0ES3_jPlS8_PNS0_10empty_typeENS0_5tupleIJS8_S9_EEENSB_IJS8_SA_EEENS0_18inequality_wrapperIZN2at6native12_GLOBAL__N_124unique_dim_cuda_templateIbEESt5tupleIJNSF_6TensorESK_SK_EERKSK_lbbbEUlllE0_EEPmJS9_EEE10hipError_tPvRmT3_T4_T5_T6_T7_T9_mT8_P12ihipStream_tbDpT10_ENKUlT_T0_E_clISt17integral_constantIbLb0EES1A_EEDaS15_S16_EUlS15_E_NS1_11comp_targetILNS1_3genE8ELNS1_11target_archE1030ELNS1_3gpuE2ELNS1_3repE0EEENS1_30default_config_static_selectorELNS0_4arch9wavefront6targetE0EEEvT1_.has_indirect_call, 0
	.section	.AMDGPU.csdata,"",@progbits
; Kernel info:
; codeLenInByte = 0
; TotalNumSgprs: 0
; NumVgprs: 0
; ScratchSize: 0
; MemoryBound: 0
; FloatMode: 240
; IeeeMode: 1
; LDSByteSize: 0 bytes/workgroup (compile time only)
; SGPRBlocks: 0
; VGPRBlocks: 0
; NumSGPRsForWavesPerEU: 1
; NumVGPRsForWavesPerEU: 1
; NamedBarCnt: 0
; Occupancy: 16
; WaveLimiterHint : 0
; COMPUTE_PGM_RSRC2:SCRATCH_EN: 0
; COMPUTE_PGM_RSRC2:USER_SGPR: 2
; COMPUTE_PGM_RSRC2:TRAP_HANDLER: 0
; COMPUTE_PGM_RSRC2:TGID_X_EN: 1
; COMPUTE_PGM_RSRC2:TGID_Y_EN: 0
; COMPUTE_PGM_RSRC2:TGID_Z_EN: 0
; COMPUTE_PGM_RSRC2:TIDIG_COMP_CNT: 0
	.section	.text._ZN7rocprim17ROCPRIM_400000_NS6detail17trampoline_kernelINS0_14default_configENS1_25partition_config_selectorILNS1_17partition_subalgoE9EllbEEZZNS1_14partition_implILS5_9ELb0ES3_jPlS8_PNS0_10empty_typeENS0_5tupleIJS8_S9_EEENSB_IJS8_SA_EEENS0_18inequality_wrapperIZN2at6native12_GLOBAL__N_124unique_dim_cuda_templateIbEESt5tupleIJNSF_6TensorESK_SK_EERKSK_lbbbEUlllE0_EEPmJS9_EEE10hipError_tPvRmT3_T4_T5_T6_T7_T9_mT8_P12ihipStream_tbDpT10_ENKUlT_T0_E_clISt17integral_constantIbLb1EES1A_EEDaS15_S16_EUlS15_E_NS1_11comp_targetILNS1_3genE0ELNS1_11target_archE4294967295ELNS1_3gpuE0ELNS1_3repE0EEENS1_30default_config_static_selectorELNS0_4arch9wavefront6targetE0EEEvT1_,"axG",@progbits,_ZN7rocprim17ROCPRIM_400000_NS6detail17trampoline_kernelINS0_14default_configENS1_25partition_config_selectorILNS1_17partition_subalgoE9EllbEEZZNS1_14partition_implILS5_9ELb0ES3_jPlS8_PNS0_10empty_typeENS0_5tupleIJS8_S9_EEENSB_IJS8_SA_EEENS0_18inequality_wrapperIZN2at6native12_GLOBAL__N_124unique_dim_cuda_templateIbEESt5tupleIJNSF_6TensorESK_SK_EERKSK_lbbbEUlllE0_EEPmJS9_EEE10hipError_tPvRmT3_T4_T5_T6_T7_T9_mT8_P12ihipStream_tbDpT10_ENKUlT_T0_E_clISt17integral_constantIbLb1EES1A_EEDaS15_S16_EUlS15_E_NS1_11comp_targetILNS1_3genE0ELNS1_11target_archE4294967295ELNS1_3gpuE0ELNS1_3repE0EEENS1_30default_config_static_selectorELNS0_4arch9wavefront6targetE0EEEvT1_,comdat
	.globl	_ZN7rocprim17ROCPRIM_400000_NS6detail17trampoline_kernelINS0_14default_configENS1_25partition_config_selectorILNS1_17partition_subalgoE9EllbEEZZNS1_14partition_implILS5_9ELb0ES3_jPlS8_PNS0_10empty_typeENS0_5tupleIJS8_S9_EEENSB_IJS8_SA_EEENS0_18inequality_wrapperIZN2at6native12_GLOBAL__N_124unique_dim_cuda_templateIbEESt5tupleIJNSF_6TensorESK_SK_EERKSK_lbbbEUlllE0_EEPmJS9_EEE10hipError_tPvRmT3_T4_T5_T6_T7_T9_mT8_P12ihipStream_tbDpT10_ENKUlT_T0_E_clISt17integral_constantIbLb1EES1A_EEDaS15_S16_EUlS15_E_NS1_11comp_targetILNS1_3genE0ELNS1_11target_archE4294967295ELNS1_3gpuE0ELNS1_3repE0EEENS1_30default_config_static_selectorELNS0_4arch9wavefront6targetE0EEEvT1_ ; -- Begin function _ZN7rocprim17ROCPRIM_400000_NS6detail17trampoline_kernelINS0_14default_configENS1_25partition_config_selectorILNS1_17partition_subalgoE9EllbEEZZNS1_14partition_implILS5_9ELb0ES3_jPlS8_PNS0_10empty_typeENS0_5tupleIJS8_S9_EEENSB_IJS8_SA_EEENS0_18inequality_wrapperIZN2at6native12_GLOBAL__N_124unique_dim_cuda_templateIbEESt5tupleIJNSF_6TensorESK_SK_EERKSK_lbbbEUlllE0_EEPmJS9_EEE10hipError_tPvRmT3_T4_T5_T6_T7_T9_mT8_P12ihipStream_tbDpT10_ENKUlT_T0_E_clISt17integral_constantIbLb1EES1A_EEDaS15_S16_EUlS15_E_NS1_11comp_targetILNS1_3genE0ELNS1_11target_archE4294967295ELNS1_3gpuE0ELNS1_3repE0EEENS1_30default_config_static_selectorELNS0_4arch9wavefront6targetE0EEEvT1_
	.p2align	8
	.type	_ZN7rocprim17ROCPRIM_400000_NS6detail17trampoline_kernelINS0_14default_configENS1_25partition_config_selectorILNS1_17partition_subalgoE9EllbEEZZNS1_14partition_implILS5_9ELb0ES3_jPlS8_PNS0_10empty_typeENS0_5tupleIJS8_S9_EEENSB_IJS8_SA_EEENS0_18inequality_wrapperIZN2at6native12_GLOBAL__N_124unique_dim_cuda_templateIbEESt5tupleIJNSF_6TensorESK_SK_EERKSK_lbbbEUlllE0_EEPmJS9_EEE10hipError_tPvRmT3_T4_T5_T6_T7_T9_mT8_P12ihipStream_tbDpT10_ENKUlT_T0_E_clISt17integral_constantIbLb1EES1A_EEDaS15_S16_EUlS15_E_NS1_11comp_targetILNS1_3genE0ELNS1_11target_archE4294967295ELNS1_3gpuE0ELNS1_3repE0EEENS1_30default_config_static_selectorELNS0_4arch9wavefront6targetE0EEEvT1_,@function
_ZN7rocprim17ROCPRIM_400000_NS6detail17trampoline_kernelINS0_14default_configENS1_25partition_config_selectorILNS1_17partition_subalgoE9EllbEEZZNS1_14partition_implILS5_9ELb0ES3_jPlS8_PNS0_10empty_typeENS0_5tupleIJS8_S9_EEENSB_IJS8_SA_EEENS0_18inequality_wrapperIZN2at6native12_GLOBAL__N_124unique_dim_cuda_templateIbEESt5tupleIJNSF_6TensorESK_SK_EERKSK_lbbbEUlllE0_EEPmJS9_EEE10hipError_tPvRmT3_T4_T5_T6_T7_T9_mT8_P12ihipStream_tbDpT10_ENKUlT_T0_E_clISt17integral_constantIbLb1EES1A_EEDaS15_S16_EUlS15_E_NS1_11comp_targetILNS1_3genE0ELNS1_11target_archE4294967295ELNS1_3gpuE0ELNS1_3repE0EEENS1_30default_config_static_selectorELNS0_4arch9wavefront6targetE0EEEvT1_: ; @_ZN7rocprim17ROCPRIM_400000_NS6detail17trampoline_kernelINS0_14default_configENS1_25partition_config_selectorILNS1_17partition_subalgoE9EllbEEZZNS1_14partition_implILS5_9ELb0ES3_jPlS8_PNS0_10empty_typeENS0_5tupleIJS8_S9_EEENSB_IJS8_SA_EEENS0_18inequality_wrapperIZN2at6native12_GLOBAL__N_124unique_dim_cuda_templateIbEESt5tupleIJNSF_6TensorESK_SK_EERKSK_lbbbEUlllE0_EEPmJS9_EEE10hipError_tPvRmT3_T4_T5_T6_T7_T9_mT8_P12ihipStream_tbDpT10_ENKUlT_T0_E_clISt17integral_constantIbLb1EES1A_EEDaS15_S16_EUlS15_E_NS1_11comp_targetILNS1_3genE0ELNS1_11target_archE4294967295ELNS1_3gpuE0ELNS1_3repE0EEENS1_30default_config_static_selectorELNS0_4arch9wavefront6targetE0EEEvT1_
; %bb.0:
	s_endpgm
	.section	.rodata,"a",@progbits
	.p2align	6, 0x0
	.amdhsa_kernel _ZN7rocprim17ROCPRIM_400000_NS6detail17trampoline_kernelINS0_14default_configENS1_25partition_config_selectorILNS1_17partition_subalgoE9EllbEEZZNS1_14partition_implILS5_9ELb0ES3_jPlS8_PNS0_10empty_typeENS0_5tupleIJS8_S9_EEENSB_IJS8_SA_EEENS0_18inequality_wrapperIZN2at6native12_GLOBAL__N_124unique_dim_cuda_templateIbEESt5tupleIJNSF_6TensorESK_SK_EERKSK_lbbbEUlllE0_EEPmJS9_EEE10hipError_tPvRmT3_T4_T5_T6_T7_T9_mT8_P12ihipStream_tbDpT10_ENKUlT_T0_E_clISt17integral_constantIbLb1EES1A_EEDaS15_S16_EUlS15_E_NS1_11comp_targetILNS1_3genE0ELNS1_11target_archE4294967295ELNS1_3gpuE0ELNS1_3repE0EEENS1_30default_config_static_selectorELNS0_4arch9wavefront6targetE0EEEvT1_
		.amdhsa_group_segment_fixed_size 0
		.amdhsa_private_segment_fixed_size 0
		.amdhsa_kernarg_size 136
		.amdhsa_user_sgpr_count 2
		.amdhsa_user_sgpr_dispatch_ptr 0
		.amdhsa_user_sgpr_queue_ptr 0
		.amdhsa_user_sgpr_kernarg_segment_ptr 1
		.amdhsa_user_sgpr_dispatch_id 0
		.amdhsa_user_sgpr_kernarg_preload_length 0
		.amdhsa_user_sgpr_kernarg_preload_offset 0
		.amdhsa_user_sgpr_private_segment_size 0
		.amdhsa_wavefront_size32 1
		.amdhsa_uses_dynamic_stack 0
		.amdhsa_enable_private_segment 0
		.amdhsa_system_sgpr_workgroup_id_x 1
		.amdhsa_system_sgpr_workgroup_id_y 0
		.amdhsa_system_sgpr_workgroup_id_z 0
		.amdhsa_system_sgpr_workgroup_info 0
		.amdhsa_system_vgpr_workitem_id 0
		.amdhsa_next_free_vgpr 1
		.amdhsa_next_free_sgpr 1
		.amdhsa_named_barrier_count 0
		.amdhsa_reserve_vcc 0
		.amdhsa_float_round_mode_32 0
		.amdhsa_float_round_mode_16_64 0
		.amdhsa_float_denorm_mode_32 3
		.amdhsa_float_denorm_mode_16_64 3
		.amdhsa_fp16_overflow 0
		.amdhsa_memory_ordered 1
		.amdhsa_forward_progress 1
		.amdhsa_inst_pref_size 1
		.amdhsa_round_robin_scheduling 0
		.amdhsa_exception_fp_ieee_invalid_op 0
		.amdhsa_exception_fp_denorm_src 0
		.amdhsa_exception_fp_ieee_div_zero 0
		.amdhsa_exception_fp_ieee_overflow 0
		.amdhsa_exception_fp_ieee_underflow 0
		.amdhsa_exception_fp_ieee_inexact 0
		.amdhsa_exception_int_div_zero 0
	.end_amdhsa_kernel
	.section	.text._ZN7rocprim17ROCPRIM_400000_NS6detail17trampoline_kernelINS0_14default_configENS1_25partition_config_selectorILNS1_17partition_subalgoE9EllbEEZZNS1_14partition_implILS5_9ELb0ES3_jPlS8_PNS0_10empty_typeENS0_5tupleIJS8_S9_EEENSB_IJS8_SA_EEENS0_18inequality_wrapperIZN2at6native12_GLOBAL__N_124unique_dim_cuda_templateIbEESt5tupleIJNSF_6TensorESK_SK_EERKSK_lbbbEUlllE0_EEPmJS9_EEE10hipError_tPvRmT3_T4_T5_T6_T7_T9_mT8_P12ihipStream_tbDpT10_ENKUlT_T0_E_clISt17integral_constantIbLb1EES1A_EEDaS15_S16_EUlS15_E_NS1_11comp_targetILNS1_3genE0ELNS1_11target_archE4294967295ELNS1_3gpuE0ELNS1_3repE0EEENS1_30default_config_static_selectorELNS0_4arch9wavefront6targetE0EEEvT1_,"axG",@progbits,_ZN7rocprim17ROCPRIM_400000_NS6detail17trampoline_kernelINS0_14default_configENS1_25partition_config_selectorILNS1_17partition_subalgoE9EllbEEZZNS1_14partition_implILS5_9ELb0ES3_jPlS8_PNS0_10empty_typeENS0_5tupleIJS8_S9_EEENSB_IJS8_SA_EEENS0_18inequality_wrapperIZN2at6native12_GLOBAL__N_124unique_dim_cuda_templateIbEESt5tupleIJNSF_6TensorESK_SK_EERKSK_lbbbEUlllE0_EEPmJS9_EEE10hipError_tPvRmT3_T4_T5_T6_T7_T9_mT8_P12ihipStream_tbDpT10_ENKUlT_T0_E_clISt17integral_constantIbLb1EES1A_EEDaS15_S16_EUlS15_E_NS1_11comp_targetILNS1_3genE0ELNS1_11target_archE4294967295ELNS1_3gpuE0ELNS1_3repE0EEENS1_30default_config_static_selectorELNS0_4arch9wavefront6targetE0EEEvT1_,comdat
.Lfunc_end1091:
	.size	_ZN7rocprim17ROCPRIM_400000_NS6detail17trampoline_kernelINS0_14default_configENS1_25partition_config_selectorILNS1_17partition_subalgoE9EllbEEZZNS1_14partition_implILS5_9ELb0ES3_jPlS8_PNS0_10empty_typeENS0_5tupleIJS8_S9_EEENSB_IJS8_SA_EEENS0_18inequality_wrapperIZN2at6native12_GLOBAL__N_124unique_dim_cuda_templateIbEESt5tupleIJNSF_6TensorESK_SK_EERKSK_lbbbEUlllE0_EEPmJS9_EEE10hipError_tPvRmT3_T4_T5_T6_T7_T9_mT8_P12ihipStream_tbDpT10_ENKUlT_T0_E_clISt17integral_constantIbLb1EES1A_EEDaS15_S16_EUlS15_E_NS1_11comp_targetILNS1_3genE0ELNS1_11target_archE4294967295ELNS1_3gpuE0ELNS1_3repE0EEENS1_30default_config_static_selectorELNS0_4arch9wavefront6targetE0EEEvT1_, .Lfunc_end1091-_ZN7rocprim17ROCPRIM_400000_NS6detail17trampoline_kernelINS0_14default_configENS1_25partition_config_selectorILNS1_17partition_subalgoE9EllbEEZZNS1_14partition_implILS5_9ELb0ES3_jPlS8_PNS0_10empty_typeENS0_5tupleIJS8_S9_EEENSB_IJS8_SA_EEENS0_18inequality_wrapperIZN2at6native12_GLOBAL__N_124unique_dim_cuda_templateIbEESt5tupleIJNSF_6TensorESK_SK_EERKSK_lbbbEUlllE0_EEPmJS9_EEE10hipError_tPvRmT3_T4_T5_T6_T7_T9_mT8_P12ihipStream_tbDpT10_ENKUlT_T0_E_clISt17integral_constantIbLb1EES1A_EEDaS15_S16_EUlS15_E_NS1_11comp_targetILNS1_3genE0ELNS1_11target_archE4294967295ELNS1_3gpuE0ELNS1_3repE0EEENS1_30default_config_static_selectorELNS0_4arch9wavefront6targetE0EEEvT1_
                                        ; -- End function
	.set _ZN7rocprim17ROCPRIM_400000_NS6detail17trampoline_kernelINS0_14default_configENS1_25partition_config_selectorILNS1_17partition_subalgoE9EllbEEZZNS1_14partition_implILS5_9ELb0ES3_jPlS8_PNS0_10empty_typeENS0_5tupleIJS8_S9_EEENSB_IJS8_SA_EEENS0_18inequality_wrapperIZN2at6native12_GLOBAL__N_124unique_dim_cuda_templateIbEESt5tupleIJNSF_6TensorESK_SK_EERKSK_lbbbEUlllE0_EEPmJS9_EEE10hipError_tPvRmT3_T4_T5_T6_T7_T9_mT8_P12ihipStream_tbDpT10_ENKUlT_T0_E_clISt17integral_constantIbLb1EES1A_EEDaS15_S16_EUlS15_E_NS1_11comp_targetILNS1_3genE0ELNS1_11target_archE4294967295ELNS1_3gpuE0ELNS1_3repE0EEENS1_30default_config_static_selectorELNS0_4arch9wavefront6targetE0EEEvT1_.num_vgpr, 0
	.set _ZN7rocprim17ROCPRIM_400000_NS6detail17trampoline_kernelINS0_14default_configENS1_25partition_config_selectorILNS1_17partition_subalgoE9EllbEEZZNS1_14partition_implILS5_9ELb0ES3_jPlS8_PNS0_10empty_typeENS0_5tupleIJS8_S9_EEENSB_IJS8_SA_EEENS0_18inequality_wrapperIZN2at6native12_GLOBAL__N_124unique_dim_cuda_templateIbEESt5tupleIJNSF_6TensorESK_SK_EERKSK_lbbbEUlllE0_EEPmJS9_EEE10hipError_tPvRmT3_T4_T5_T6_T7_T9_mT8_P12ihipStream_tbDpT10_ENKUlT_T0_E_clISt17integral_constantIbLb1EES1A_EEDaS15_S16_EUlS15_E_NS1_11comp_targetILNS1_3genE0ELNS1_11target_archE4294967295ELNS1_3gpuE0ELNS1_3repE0EEENS1_30default_config_static_selectorELNS0_4arch9wavefront6targetE0EEEvT1_.num_agpr, 0
	.set _ZN7rocprim17ROCPRIM_400000_NS6detail17trampoline_kernelINS0_14default_configENS1_25partition_config_selectorILNS1_17partition_subalgoE9EllbEEZZNS1_14partition_implILS5_9ELb0ES3_jPlS8_PNS0_10empty_typeENS0_5tupleIJS8_S9_EEENSB_IJS8_SA_EEENS0_18inequality_wrapperIZN2at6native12_GLOBAL__N_124unique_dim_cuda_templateIbEESt5tupleIJNSF_6TensorESK_SK_EERKSK_lbbbEUlllE0_EEPmJS9_EEE10hipError_tPvRmT3_T4_T5_T6_T7_T9_mT8_P12ihipStream_tbDpT10_ENKUlT_T0_E_clISt17integral_constantIbLb1EES1A_EEDaS15_S16_EUlS15_E_NS1_11comp_targetILNS1_3genE0ELNS1_11target_archE4294967295ELNS1_3gpuE0ELNS1_3repE0EEENS1_30default_config_static_selectorELNS0_4arch9wavefront6targetE0EEEvT1_.numbered_sgpr, 0
	.set _ZN7rocprim17ROCPRIM_400000_NS6detail17trampoline_kernelINS0_14default_configENS1_25partition_config_selectorILNS1_17partition_subalgoE9EllbEEZZNS1_14partition_implILS5_9ELb0ES3_jPlS8_PNS0_10empty_typeENS0_5tupleIJS8_S9_EEENSB_IJS8_SA_EEENS0_18inequality_wrapperIZN2at6native12_GLOBAL__N_124unique_dim_cuda_templateIbEESt5tupleIJNSF_6TensorESK_SK_EERKSK_lbbbEUlllE0_EEPmJS9_EEE10hipError_tPvRmT3_T4_T5_T6_T7_T9_mT8_P12ihipStream_tbDpT10_ENKUlT_T0_E_clISt17integral_constantIbLb1EES1A_EEDaS15_S16_EUlS15_E_NS1_11comp_targetILNS1_3genE0ELNS1_11target_archE4294967295ELNS1_3gpuE0ELNS1_3repE0EEENS1_30default_config_static_selectorELNS0_4arch9wavefront6targetE0EEEvT1_.num_named_barrier, 0
	.set _ZN7rocprim17ROCPRIM_400000_NS6detail17trampoline_kernelINS0_14default_configENS1_25partition_config_selectorILNS1_17partition_subalgoE9EllbEEZZNS1_14partition_implILS5_9ELb0ES3_jPlS8_PNS0_10empty_typeENS0_5tupleIJS8_S9_EEENSB_IJS8_SA_EEENS0_18inequality_wrapperIZN2at6native12_GLOBAL__N_124unique_dim_cuda_templateIbEESt5tupleIJNSF_6TensorESK_SK_EERKSK_lbbbEUlllE0_EEPmJS9_EEE10hipError_tPvRmT3_T4_T5_T6_T7_T9_mT8_P12ihipStream_tbDpT10_ENKUlT_T0_E_clISt17integral_constantIbLb1EES1A_EEDaS15_S16_EUlS15_E_NS1_11comp_targetILNS1_3genE0ELNS1_11target_archE4294967295ELNS1_3gpuE0ELNS1_3repE0EEENS1_30default_config_static_selectorELNS0_4arch9wavefront6targetE0EEEvT1_.private_seg_size, 0
	.set _ZN7rocprim17ROCPRIM_400000_NS6detail17trampoline_kernelINS0_14default_configENS1_25partition_config_selectorILNS1_17partition_subalgoE9EllbEEZZNS1_14partition_implILS5_9ELb0ES3_jPlS8_PNS0_10empty_typeENS0_5tupleIJS8_S9_EEENSB_IJS8_SA_EEENS0_18inequality_wrapperIZN2at6native12_GLOBAL__N_124unique_dim_cuda_templateIbEESt5tupleIJNSF_6TensorESK_SK_EERKSK_lbbbEUlllE0_EEPmJS9_EEE10hipError_tPvRmT3_T4_T5_T6_T7_T9_mT8_P12ihipStream_tbDpT10_ENKUlT_T0_E_clISt17integral_constantIbLb1EES1A_EEDaS15_S16_EUlS15_E_NS1_11comp_targetILNS1_3genE0ELNS1_11target_archE4294967295ELNS1_3gpuE0ELNS1_3repE0EEENS1_30default_config_static_selectorELNS0_4arch9wavefront6targetE0EEEvT1_.uses_vcc, 0
	.set _ZN7rocprim17ROCPRIM_400000_NS6detail17trampoline_kernelINS0_14default_configENS1_25partition_config_selectorILNS1_17partition_subalgoE9EllbEEZZNS1_14partition_implILS5_9ELb0ES3_jPlS8_PNS0_10empty_typeENS0_5tupleIJS8_S9_EEENSB_IJS8_SA_EEENS0_18inequality_wrapperIZN2at6native12_GLOBAL__N_124unique_dim_cuda_templateIbEESt5tupleIJNSF_6TensorESK_SK_EERKSK_lbbbEUlllE0_EEPmJS9_EEE10hipError_tPvRmT3_T4_T5_T6_T7_T9_mT8_P12ihipStream_tbDpT10_ENKUlT_T0_E_clISt17integral_constantIbLb1EES1A_EEDaS15_S16_EUlS15_E_NS1_11comp_targetILNS1_3genE0ELNS1_11target_archE4294967295ELNS1_3gpuE0ELNS1_3repE0EEENS1_30default_config_static_selectorELNS0_4arch9wavefront6targetE0EEEvT1_.uses_flat_scratch, 0
	.set _ZN7rocprim17ROCPRIM_400000_NS6detail17trampoline_kernelINS0_14default_configENS1_25partition_config_selectorILNS1_17partition_subalgoE9EllbEEZZNS1_14partition_implILS5_9ELb0ES3_jPlS8_PNS0_10empty_typeENS0_5tupleIJS8_S9_EEENSB_IJS8_SA_EEENS0_18inequality_wrapperIZN2at6native12_GLOBAL__N_124unique_dim_cuda_templateIbEESt5tupleIJNSF_6TensorESK_SK_EERKSK_lbbbEUlllE0_EEPmJS9_EEE10hipError_tPvRmT3_T4_T5_T6_T7_T9_mT8_P12ihipStream_tbDpT10_ENKUlT_T0_E_clISt17integral_constantIbLb1EES1A_EEDaS15_S16_EUlS15_E_NS1_11comp_targetILNS1_3genE0ELNS1_11target_archE4294967295ELNS1_3gpuE0ELNS1_3repE0EEENS1_30default_config_static_selectorELNS0_4arch9wavefront6targetE0EEEvT1_.has_dyn_sized_stack, 0
	.set _ZN7rocprim17ROCPRIM_400000_NS6detail17trampoline_kernelINS0_14default_configENS1_25partition_config_selectorILNS1_17partition_subalgoE9EllbEEZZNS1_14partition_implILS5_9ELb0ES3_jPlS8_PNS0_10empty_typeENS0_5tupleIJS8_S9_EEENSB_IJS8_SA_EEENS0_18inequality_wrapperIZN2at6native12_GLOBAL__N_124unique_dim_cuda_templateIbEESt5tupleIJNSF_6TensorESK_SK_EERKSK_lbbbEUlllE0_EEPmJS9_EEE10hipError_tPvRmT3_T4_T5_T6_T7_T9_mT8_P12ihipStream_tbDpT10_ENKUlT_T0_E_clISt17integral_constantIbLb1EES1A_EEDaS15_S16_EUlS15_E_NS1_11comp_targetILNS1_3genE0ELNS1_11target_archE4294967295ELNS1_3gpuE0ELNS1_3repE0EEENS1_30default_config_static_selectorELNS0_4arch9wavefront6targetE0EEEvT1_.has_recursion, 0
	.set _ZN7rocprim17ROCPRIM_400000_NS6detail17trampoline_kernelINS0_14default_configENS1_25partition_config_selectorILNS1_17partition_subalgoE9EllbEEZZNS1_14partition_implILS5_9ELb0ES3_jPlS8_PNS0_10empty_typeENS0_5tupleIJS8_S9_EEENSB_IJS8_SA_EEENS0_18inequality_wrapperIZN2at6native12_GLOBAL__N_124unique_dim_cuda_templateIbEESt5tupleIJNSF_6TensorESK_SK_EERKSK_lbbbEUlllE0_EEPmJS9_EEE10hipError_tPvRmT3_T4_T5_T6_T7_T9_mT8_P12ihipStream_tbDpT10_ENKUlT_T0_E_clISt17integral_constantIbLb1EES1A_EEDaS15_S16_EUlS15_E_NS1_11comp_targetILNS1_3genE0ELNS1_11target_archE4294967295ELNS1_3gpuE0ELNS1_3repE0EEENS1_30default_config_static_selectorELNS0_4arch9wavefront6targetE0EEEvT1_.has_indirect_call, 0
	.section	.AMDGPU.csdata,"",@progbits
; Kernel info:
; codeLenInByte = 4
; TotalNumSgprs: 0
; NumVgprs: 0
; ScratchSize: 0
; MemoryBound: 0
; FloatMode: 240
; IeeeMode: 1
; LDSByteSize: 0 bytes/workgroup (compile time only)
; SGPRBlocks: 0
; VGPRBlocks: 0
; NumSGPRsForWavesPerEU: 1
; NumVGPRsForWavesPerEU: 1
; NamedBarCnt: 0
; Occupancy: 16
; WaveLimiterHint : 0
; COMPUTE_PGM_RSRC2:SCRATCH_EN: 0
; COMPUTE_PGM_RSRC2:USER_SGPR: 2
; COMPUTE_PGM_RSRC2:TRAP_HANDLER: 0
; COMPUTE_PGM_RSRC2:TGID_X_EN: 1
; COMPUTE_PGM_RSRC2:TGID_Y_EN: 0
; COMPUTE_PGM_RSRC2:TGID_Z_EN: 0
; COMPUTE_PGM_RSRC2:TIDIG_COMP_CNT: 0
	.section	.text._ZN7rocprim17ROCPRIM_400000_NS6detail17trampoline_kernelINS0_14default_configENS1_25partition_config_selectorILNS1_17partition_subalgoE9EllbEEZZNS1_14partition_implILS5_9ELb0ES3_jPlS8_PNS0_10empty_typeENS0_5tupleIJS8_S9_EEENSB_IJS8_SA_EEENS0_18inequality_wrapperIZN2at6native12_GLOBAL__N_124unique_dim_cuda_templateIbEESt5tupleIJNSF_6TensorESK_SK_EERKSK_lbbbEUlllE0_EEPmJS9_EEE10hipError_tPvRmT3_T4_T5_T6_T7_T9_mT8_P12ihipStream_tbDpT10_ENKUlT_T0_E_clISt17integral_constantIbLb1EES1A_EEDaS15_S16_EUlS15_E_NS1_11comp_targetILNS1_3genE5ELNS1_11target_archE942ELNS1_3gpuE9ELNS1_3repE0EEENS1_30default_config_static_selectorELNS0_4arch9wavefront6targetE0EEEvT1_,"axG",@progbits,_ZN7rocprim17ROCPRIM_400000_NS6detail17trampoline_kernelINS0_14default_configENS1_25partition_config_selectorILNS1_17partition_subalgoE9EllbEEZZNS1_14partition_implILS5_9ELb0ES3_jPlS8_PNS0_10empty_typeENS0_5tupleIJS8_S9_EEENSB_IJS8_SA_EEENS0_18inequality_wrapperIZN2at6native12_GLOBAL__N_124unique_dim_cuda_templateIbEESt5tupleIJNSF_6TensorESK_SK_EERKSK_lbbbEUlllE0_EEPmJS9_EEE10hipError_tPvRmT3_T4_T5_T6_T7_T9_mT8_P12ihipStream_tbDpT10_ENKUlT_T0_E_clISt17integral_constantIbLb1EES1A_EEDaS15_S16_EUlS15_E_NS1_11comp_targetILNS1_3genE5ELNS1_11target_archE942ELNS1_3gpuE9ELNS1_3repE0EEENS1_30default_config_static_selectorELNS0_4arch9wavefront6targetE0EEEvT1_,comdat
	.globl	_ZN7rocprim17ROCPRIM_400000_NS6detail17trampoline_kernelINS0_14default_configENS1_25partition_config_selectorILNS1_17partition_subalgoE9EllbEEZZNS1_14partition_implILS5_9ELb0ES3_jPlS8_PNS0_10empty_typeENS0_5tupleIJS8_S9_EEENSB_IJS8_SA_EEENS0_18inequality_wrapperIZN2at6native12_GLOBAL__N_124unique_dim_cuda_templateIbEESt5tupleIJNSF_6TensorESK_SK_EERKSK_lbbbEUlllE0_EEPmJS9_EEE10hipError_tPvRmT3_T4_T5_T6_T7_T9_mT8_P12ihipStream_tbDpT10_ENKUlT_T0_E_clISt17integral_constantIbLb1EES1A_EEDaS15_S16_EUlS15_E_NS1_11comp_targetILNS1_3genE5ELNS1_11target_archE942ELNS1_3gpuE9ELNS1_3repE0EEENS1_30default_config_static_selectorELNS0_4arch9wavefront6targetE0EEEvT1_ ; -- Begin function _ZN7rocprim17ROCPRIM_400000_NS6detail17trampoline_kernelINS0_14default_configENS1_25partition_config_selectorILNS1_17partition_subalgoE9EllbEEZZNS1_14partition_implILS5_9ELb0ES3_jPlS8_PNS0_10empty_typeENS0_5tupleIJS8_S9_EEENSB_IJS8_SA_EEENS0_18inequality_wrapperIZN2at6native12_GLOBAL__N_124unique_dim_cuda_templateIbEESt5tupleIJNSF_6TensorESK_SK_EERKSK_lbbbEUlllE0_EEPmJS9_EEE10hipError_tPvRmT3_T4_T5_T6_T7_T9_mT8_P12ihipStream_tbDpT10_ENKUlT_T0_E_clISt17integral_constantIbLb1EES1A_EEDaS15_S16_EUlS15_E_NS1_11comp_targetILNS1_3genE5ELNS1_11target_archE942ELNS1_3gpuE9ELNS1_3repE0EEENS1_30default_config_static_selectorELNS0_4arch9wavefront6targetE0EEEvT1_
	.p2align	8
	.type	_ZN7rocprim17ROCPRIM_400000_NS6detail17trampoline_kernelINS0_14default_configENS1_25partition_config_selectorILNS1_17partition_subalgoE9EllbEEZZNS1_14partition_implILS5_9ELb0ES3_jPlS8_PNS0_10empty_typeENS0_5tupleIJS8_S9_EEENSB_IJS8_SA_EEENS0_18inequality_wrapperIZN2at6native12_GLOBAL__N_124unique_dim_cuda_templateIbEESt5tupleIJNSF_6TensorESK_SK_EERKSK_lbbbEUlllE0_EEPmJS9_EEE10hipError_tPvRmT3_T4_T5_T6_T7_T9_mT8_P12ihipStream_tbDpT10_ENKUlT_T0_E_clISt17integral_constantIbLb1EES1A_EEDaS15_S16_EUlS15_E_NS1_11comp_targetILNS1_3genE5ELNS1_11target_archE942ELNS1_3gpuE9ELNS1_3repE0EEENS1_30default_config_static_selectorELNS0_4arch9wavefront6targetE0EEEvT1_,@function
_ZN7rocprim17ROCPRIM_400000_NS6detail17trampoline_kernelINS0_14default_configENS1_25partition_config_selectorILNS1_17partition_subalgoE9EllbEEZZNS1_14partition_implILS5_9ELb0ES3_jPlS8_PNS0_10empty_typeENS0_5tupleIJS8_S9_EEENSB_IJS8_SA_EEENS0_18inequality_wrapperIZN2at6native12_GLOBAL__N_124unique_dim_cuda_templateIbEESt5tupleIJNSF_6TensorESK_SK_EERKSK_lbbbEUlllE0_EEPmJS9_EEE10hipError_tPvRmT3_T4_T5_T6_T7_T9_mT8_P12ihipStream_tbDpT10_ENKUlT_T0_E_clISt17integral_constantIbLb1EES1A_EEDaS15_S16_EUlS15_E_NS1_11comp_targetILNS1_3genE5ELNS1_11target_archE942ELNS1_3gpuE9ELNS1_3repE0EEENS1_30default_config_static_selectorELNS0_4arch9wavefront6targetE0EEEvT1_: ; @_ZN7rocprim17ROCPRIM_400000_NS6detail17trampoline_kernelINS0_14default_configENS1_25partition_config_selectorILNS1_17partition_subalgoE9EllbEEZZNS1_14partition_implILS5_9ELb0ES3_jPlS8_PNS0_10empty_typeENS0_5tupleIJS8_S9_EEENSB_IJS8_SA_EEENS0_18inequality_wrapperIZN2at6native12_GLOBAL__N_124unique_dim_cuda_templateIbEESt5tupleIJNSF_6TensorESK_SK_EERKSK_lbbbEUlllE0_EEPmJS9_EEE10hipError_tPvRmT3_T4_T5_T6_T7_T9_mT8_P12ihipStream_tbDpT10_ENKUlT_T0_E_clISt17integral_constantIbLb1EES1A_EEDaS15_S16_EUlS15_E_NS1_11comp_targetILNS1_3genE5ELNS1_11target_archE942ELNS1_3gpuE9ELNS1_3repE0EEENS1_30default_config_static_selectorELNS0_4arch9wavefront6targetE0EEEvT1_
; %bb.0:
	.section	.rodata,"a",@progbits
	.p2align	6, 0x0
	.amdhsa_kernel _ZN7rocprim17ROCPRIM_400000_NS6detail17trampoline_kernelINS0_14default_configENS1_25partition_config_selectorILNS1_17partition_subalgoE9EllbEEZZNS1_14partition_implILS5_9ELb0ES3_jPlS8_PNS0_10empty_typeENS0_5tupleIJS8_S9_EEENSB_IJS8_SA_EEENS0_18inequality_wrapperIZN2at6native12_GLOBAL__N_124unique_dim_cuda_templateIbEESt5tupleIJNSF_6TensorESK_SK_EERKSK_lbbbEUlllE0_EEPmJS9_EEE10hipError_tPvRmT3_T4_T5_T6_T7_T9_mT8_P12ihipStream_tbDpT10_ENKUlT_T0_E_clISt17integral_constantIbLb1EES1A_EEDaS15_S16_EUlS15_E_NS1_11comp_targetILNS1_3genE5ELNS1_11target_archE942ELNS1_3gpuE9ELNS1_3repE0EEENS1_30default_config_static_selectorELNS0_4arch9wavefront6targetE0EEEvT1_
		.amdhsa_group_segment_fixed_size 0
		.amdhsa_private_segment_fixed_size 0
		.amdhsa_kernarg_size 136
		.amdhsa_user_sgpr_count 2
		.amdhsa_user_sgpr_dispatch_ptr 0
		.amdhsa_user_sgpr_queue_ptr 0
		.amdhsa_user_sgpr_kernarg_segment_ptr 1
		.amdhsa_user_sgpr_dispatch_id 0
		.amdhsa_user_sgpr_kernarg_preload_length 0
		.amdhsa_user_sgpr_kernarg_preload_offset 0
		.amdhsa_user_sgpr_private_segment_size 0
		.amdhsa_wavefront_size32 1
		.amdhsa_uses_dynamic_stack 0
		.amdhsa_enable_private_segment 0
		.amdhsa_system_sgpr_workgroup_id_x 1
		.amdhsa_system_sgpr_workgroup_id_y 0
		.amdhsa_system_sgpr_workgroup_id_z 0
		.amdhsa_system_sgpr_workgroup_info 0
		.amdhsa_system_vgpr_workitem_id 0
		.amdhsa_next_free_vgpr 1
		.amdhsa_next_free_sgpr 1
		.amdhsa_named_barrier_count 0
		.amdhsa_reserve_vcc 0
		.amdhsa_float_round_mode_32 0
		.amdhsa_float_round_mode_16_64 0
		.amdhsa_float_denorm_mode_32 3
		.amdhsa_float_denorm_mode_16_64 3
		.amdhsa_fp16_overflow 0
		.amdhsa_memory_ordered 1
		.amdhsa_forward_progress 1
		.amdhsa_inst_pref_size 0
		.amdhsa_round_robin_scheduling 0
		.amdhsa_exception_fp_ieee_invalid_op 0
		.amdhsa_exception_fp_denorm_src 0
		.amdhsa_exception_fp_ieee_div_zero 0
		.amdhsa_exception_fp_ieee_overflow 0
		.amdhsa_exception_fp_ieee_underflow 0
		.amdhsa_exception_fp_ieee_inexact 0
		.amdhsa_exception_int_div_zero 0
	.end_amdhsa_kernel
	.section	.text._ZN7rocprim17ROCPRIM_400000_NS6detail17trampoline_kernelINS0_14default_configENS1_25partition_config_selectorILNS1_17partition_subalgoE9EllbEEZZNS1_14partition_implILS5_9ELb0ES3_jPlS8_PNS0_10empty_typeENS0_5tupleIJS8_S9_EEENSB_IJS8_SA_EEENS0_18inequality_wrapperIZN2at6native12_GLOBAL__N_124unique_dim_cuda_templateIbEESt5tupleIJNSF_6TensorESK_SK_EERKSK_lbbbEUlllE0_EEPmJS9_EEE10hipError_tPvRmT3_T4_T5_T6_T7_T9_mT8_P12ihipStream_tbDpT10_ENKUlT_T0_E_clISt17integral_constantIbLb1EES1A_EEDaS15_S16_EUlS15_E_NS1_11comp_targetILNS1_3genE5ELNS1_11target_archE942ELNS1_3gpuE9ELNS1_3repE0EEENS1_30default_config_static_selectorELNS0_4arch9wavefront6targetE0EEEvT1_,"axG",@progbits,_ZN7rocprim17ROCPRIM_400000_NS6detail17trampoline_kernelINS0_14default_configENS1_25partition_config_selectorILNS1_17partition_subalgoE9EllbEEZZNS1_14partition_implILS5_9ELb0ES3_jPlS8_PNS0_10empty_typeENS0_5tupleIJS8_S9_EEENSB_IJS8_SA_EEENS0_18inequality_wrapperIZN2at6native12_GLOBAL__N_124unique_dim_cuda_templateIbEESt5tupleIJNSF_6TensorESK_SK_EERKSK_lbbbEUlllE0_EEPmJS9_EEE10hipError_tPvRmT3_T4_T5_T6_T7_T9_mT8_P12ihipStream_tbDpT10_ENKUlT_T0_E_clISt17integral_constantIbLb1EES1A_EEDaS15_S16_EUlS15_E_NS1_11comp_targetILNS1_3genE5ELNS1_11target_archE942ELNS1_3gpuE9ELNS1_3repE0EEENS1_30default_config_static_selectorELNS0_4arch9wavefront6targetE0EEEvT1_,comdat
.Lfunc_end1092:
	.size	_ZN7rocprim17ROCPRIM_400000_NS6detail17trampoline_kernelINS0_14default_configENS1_25partition_config_selectorILNS1_17partition_subalgoE9EllbEEZZNS1_14partition_implILS5_9ELb0ES3_jPlS8_PNS0_10empty_typeENS0_5tupleIJS8_S9_EEENSB_IJS8_SA_EEENS0_18inequality_wrapperIZN2at6native12_GLOBAL__N_124unique_dim_cuda_templateIbEESt5tupleIJNSF_6TensorESK_SK_EERKSK_lbbbEUlllE0_EEPmJS9_EEE10hipError_tPvRmT3_T4_T5_T6_T7_T9_mT8_P12ihipStream_tbDpT10_ENKUlT_T0_E_clISt17integral_constantIbLb1EES1A_EEDaS15_S16_EUlS15_E_NS1_11comp_targetILNS1_3genE5ELNS1_11target_archE942ELNS1_3gpuE9ELNS1_3repE0EEENS1_30default_config_static_selectorELNS0_4arch9wavefront6targetE0EEEvT1_, .Lfunc_end1092-_ZN7rocprim17ROCPRIM_400000_NS6detail17trampoline_kernelINS0_14default_configENS1_25partition_config_selectorILNS1_17partition_subalgoE9EllbEEZZNS1_14partition_implILS5_9ELb0ES3_jPlS8_PNS0_10empty_typeENS0_5tupleIJS8_S9_EEENSB_IJS8_SA_EEENS0_18inequality_wrapperIZN2at6native12_GLOBAL__N_124unique_dim_cuda_templateIbEESt5tupleIJNSF_6TensorESK_SK_EERKSK_lbbbEUlllE0_EEPmJS9_EEE10hipError_tPvRmT3_T4_T5_T6_T7_T9_mT8_P12ihipStream_tbDpT10_ENKUlT_T0_E_clISt17integral_constantIbLb1EES1A_EEDaS15_S16_EUlS15_E_NS1_11comp_targetILNS1_3genE5ELNS1_11target_archE942ELNS1_3gpuE9ELNS1_3repE0EEENS1_30default_config_static_selectorELNS0_4arch9wavefront6targetE0EEEvT1_
                                        ; -- End function
	.set _ZN7rocprim17ROCPRIM_400000_NS6detail17trampoline_kernelINS0_14default_configENS1_25partition_config_selectorILNS1_17partition_subalgoE9EllbEEZZNS1_14partition_implILS5_9ELb0ES3_jPlS8_PNS0_10empty_typeENS0_5tupleIJS8_S9_EEENSB_IJS8_SA_EEENS0_18inequality_wrapperIZN2at6native12_GLOBAL__N_124unique_dim_cuda_templateIbEESt5tupleIJNSF_6TensorESK_SK_EERKSK_lbbbEUlllE0_EEPmJS9_EEE10hipError_tPvRmT3_T4_T5_T6_T7_T9_mT8_P12ihipStream_tbDpT10_ENKUlT_T0_E_clISt17integral_constantIbLb1EES1A_EEDaS15_S16_EUlS15_E_NS1_11comp_targetILNS1_3genE5ELNS1_11target_archE942ELNS1_3gpuE9ELNS1_3repE0EEENS1_30default_config_static_selectorELNS0_4arch9wavefront6targetE0EEEvT1_.num_vgpr, 0
	.set _ZN7rocprim17ROCPRIM_400000_NS6detail17trampoline_kernelINS0_14default_configENS1_25partition_config_selectorILNS1_17partition_subalgoE9EllbEEZZNS1_14partition_implILS5_9ELb0ES3_jPlS8_PNS0_10empty_typeENS0_5tupleIJS8_S9_EEENSB_IJS8_SA_EEENS0_18inequality_wrapperIZN2at6native12_GLOBAL__N_124unique_dim_cuda_templateIbEESt5tupleIJNSF_6TensorESK_SK_EERKSK_lbbbEUlllE0_EEPmJS9_EEE10hipError_tPvRmT3_T4_T5_T6_T7_T9_mT8_P12ihipStream_tbDpT10_ENKUlT_T0_E_clISt17integral_constantIbLb1EES1A_EEDaS15_S16_EUlS15_E_NS1_11comp_targetILNS1_3genE5ELNS1_11target_archE942ELNS1_3gpuE9ELNS1_3repE0EEENS1_30default_config_static_selectorELNS0_4arch9wavefront6targetE0EEEvT1_.num_agpr, 0
	.set _ZN7rocprim17ROCPRIM_400000_NS6detail17trampoline_kernelINS0_14default_configENS1_25partition_config_selectorILNS1_17partition_subalgoE9EllbEEZZNS1_14partition_implILS5_9ELb0ES3_jPlS8_PNS0_10empty_typeENS0_5tupleIJS8_S9_EEENSB_IJS8_SA_EEENS0_18inequality_wrapperIZN2at6native12_GLOBAL__N_124unique_dim_cuda_templateIbEESt5tupleIJNSF_6TensorESK_SK_EERKSK_lbbbEUlllE0_EEPmJS9_EEE10hipError_tPvRmT3_T4_T5_T6_T7_T9_mT8_P12ihipStream_tbDpT10_ENKUlT_T0_E_clISt17integral_constantIbLb1EES1A_EEDaS15_S16_EUlS15_E_NS1_11comp_targetILNS1_3genE5ELNS1_11target_archE942ELNS1_3gpuE9ELNS1_3repE0EEENS1_30default_config_static_selectorELNS0_4arch9wavefront6targetE0EEEvT1_.numbered_sgpr, 0
	.set _ZN7rocprim17ROCPRIM_400000_NS6detail17trampoline_kernelINS0_14default_configENS1_25partition_config_selectorILNS1_17partition_subalgoE9EllbEEZZNS1_14partition_implILS5_9ELb0ES3_jPlS8_PNS0_10empty_typeENS0_5tupleIJS8_S9_EEENSB_IJS8_SA_EEENS0_18inequality_wrapperIZN2at6native12_GLOBAL__N_124unique_dim_cuda_templateIbEESt5tupleIJNSF_6TensorESK_SK_EERKSK_lbbbEUlllE0_EEPmJS9_EEE10hipError_tPvRmT3_T4_T5_T6_T7_T9_mT8_P12ihipStream_tbDpT10_ENKUlT_T0_E_clISt17integral_constantIbLb1EES1A_EEDaS15_S16_EUlS15_E_NS1_11comp_targetILNS1_3genE5ELNS1_11target_archE942ELNS1_3gpuE9ELNS1_3repE0EEENS1_30default_config_static_selectorELNS0_4arch9wavefront6targetE0EEEvT1_.num_named_barrier, 0
	.set _ZN7rocprim17ROCPRIM_400000_NS6detail17trampoline_kernelINS0_14default_configENS1_25partition_config_selectorILNS1_17partition_subalgoE9EllbEEZZNS1_14partition_implILS5_9ELb0ES3_jPlS8_PNS0_10empty_typeENS0_5tupleIJS8_S9_EEENSB_IJS8_SA_EEENS0_18inequality_wrapperIZN2at6native12_GLOBAL__N_124unique_dim_cuda_templateIbEESt5tupleIJNSF_6TensorESK_SK_EERKSK_lbbbEUlllE0_EEPmJS9_EEE10hipError_tPvRmT3_T4_T5_T6_T7_T9_mT8_P12ihipStream_tbDpT10_ENKUlT_T0_E_clISt17integral_constantIbLb1EES1A_EEDaS15_S16_EUlS15_E_NS1_11comp_targetILNS1_3genE5ELNS1_11target_archE942ELNS1_3gpuE9ELNS1_3repE0EEENS1_30default_config_static_selectorELNS0_4arch9wavefront6targetE0EEEvT1_.private_seg_size, 0
	.set _ZN7rocprim17ROCPRIM_400000_NS6detail17trampoline_kernelINS0_14default_configENS1_25partition_config_selectorILNS1_17partition_subalgoE9EllbEEZZNS1_14partition_implILS5_9ELb0ES3_jPlS8_PNS0_10empty_typeENS0_5tupleIJS8_S9_EEENSB_IJS8_SA_EEENS0_18inequality_wrapperIZN2at6native12_GLOBAL__N_124unique_dim_cuda_templateIbEESt5tupleIJNSF_6TensorESK_SK_EERKSK_lbbbEUlllE0_EEPmJS9_EEE10hipError_tPvRmT3_T4_T5_T6_T7_T9_mT8_P12ihipStream_tbDpT10_ENKUlT_T0_E_clISt17integral_constantIbLb1EES1A_EEDaS15_S16_EUlS15_E_NS1_11comp_targetILNS1_3genE5ELNS1_11target_archE942ELNS1_3gpuE9ELNS1_3repE0EEENS1_30default_config_static_selectorELNS0_4arch9wavefront6targetE0EEEvT1_.uses_vcc, 0
	.set _ZN7rocprim17ROCPRIM_400000_NS6detail17trampoline_kernelINS0_14default_configENS1_25partition_config_selectorILNS1_17partition_subalgoE9EllbEEZZNS1_14partition_implILS5_9ELb0ES3_jPlS8_PNS0_10empty_typeENS0_5tupleIJS8_S9_EEENSB_IJS8_SA_EEENS0_18inequality_wrapperIZN2at6native12_GLOBAL__N_124unique_dim_cuda_templateIbEESt5tupleIJNSF_6TensorESK_SK_EERKSK_lbbbEUlllE0_EEPmJS9_EEE10hipError_tPvRmT3_T4_T5_T6_T7_T9_mT8_P12ihipStream_tbDpT10_ENKUlT_T0_E_clISt17integral_constantIbLb1EES1A_EEDaS15_S16_EUlS15_E_NS1_11comp_targetILNS1_3genE5ELNS1_11target_archE942ELNS1_3gpuE9ELNS1_3repE0EEENS1_30default_config_static_selectorELNS0_4arch9wavefront6targetE0EEEvT1_.uses_flat_scratch, 0
	.set _ZN7rocprim17ROCPRIM_400000_NS6detail17trampoline_kernelINS0_14default_configENS1_25partition_config_selectorILNS1_17partition_subalgoE9EllbEEZZNS1_14partition_implILS5_9ELb0ES3_jPlS8_PNS0_10empty_typeENS0_5tupleIJS8_S9_EEENSB_IJS8_SA_EEENS0_18inequality_wrapperIZN2at6native12_GLOBAL__N_124unique_dim_cuda_templateIbEESt5tupleIJNSF_6TensorESK_SK_EERKSK_lbbbEUlllE0_EEPmJS9_EEE10hipError_tPvRmT3_T4_T5_T6_T7_T9_mT8_P12ihipStream_tbDpT10_ENKUlT_T0_E_clISt17integral_constantIbLb1EES1A_EEDaS15_S16_EUlS15_E_NS1_11comp_targetILNS1_3genE5ELNS1_11target_archE942ELNS1_3gpuE9ELNS1_3repE0EEENS1_30default_config_static_selectorELNS0_4arch9wavefront6targetE0EEEvT1_.has_dyn_sized_stack, 0
	.set _ZN7rocprim17ROCPRIM_400000_NS6detail17trampoline_kernelINS0_14default_configENS1_25partition_config_selectorILNS1_17partition_subalgoE9EllbEEZZNS1_14partition_implILS5_9ELb0ES3_jPlS8_PNS0_10empty_typeENS0_5tupleIJS8_S9_EEENSB_IJS8_SA_EEENS0_18inequality_wrapperIZN2at6native12_GLOBAL__N_124unique_dim_cuda_templateIbEESt5tupleIJNSF_6TensorESK_SK_EERKSK_lbbbEUlllE0_EEPmJS9_EEE10hipError_tPvRmT3_T4_T5_T6_T7_T9_mT8_P12ihipStream_tbDpT10_ENKUlT_T0_E_clISt17integral_constantIbLb1EES1A_EEDaS15_S16_EUlS15_E_NS1_11comp_targetILNS1_3genE5ELNS1_11target_archE942ELNS1_3gpuE9ELNS1_3repE0EEENS1_30default_config_static_selectorELNS0_4arch9wavefront6targetE0EEEvT1_.has_recursion, 0
	.set _ZN7rocprim17ROCPRIM_400000_NS6detail17trampoline_kernelINS0_14default_configENS1_25partition_config_selectorILNS1_17partition_subalgoE9EllbEEZZNS1_14partition_implILS5_9ELb0ES3_jPlS8_PNS0_10empty_typeENS0_5tupleIJS8_S9_EEENSB_IJS8_SA_EEENS0_18inequality_wrapperIZN2at6native12_GLOBAL__N_124unique_dim_cuda_templateIbEESt5tupleIJNSF_6TensorESK_SK_EERKSK_lbbbEUlllE0_EEPmJS9_EEE10hipError_tPvRmT3_T4_T5_T6_T7_T9_mT8_P12ihipStream_tbDpT10_ENKUlT_T0_E_clISt17integral_constantIbLb1EES1A_EEDaS15_S16_EUlS15_E_NS1_11comp_targetILNS1_3genE5ELNS1_11target_archE942ELNS1_3gpuE9ELNS1_3repE0EEENS1_30default_config_static_selectorELNS0_4arch9wavefront6targetE0EEEvT1_.has_indirect_call, 0
	.section	.AMDGPU.csdata,"",@progbits
; Kernel info:
; codeLenInByte = 0
; TotalNumSgprs: 0
; NumVgprs: 0
; ScratchSize: 0
; MemoryBound: 0
; FloatMode: 240
; IeeeMode: 1
; LDSByteSize: 0 bytes/workgroup (compile time only)
; SGPRBlocks: 0
; VGPRBlocks: 0
; NumSGPRsForWavesPerEU: 1
; NumVGPRsForWavesPerEU: 1
; NamedBarCnt: 0
; Occupancy: 16
; WaveLimiterHint : 0
; COMPUTE_PGM_RSRC2:SCRATCH_EN: 0
; COMPUTE_PGM_RSRC2:USER_SGPR: 2
; COMPUTE_PGM_RSRC2:TRAP_HANDLER: 0
; COMPUTE_PGM_RSRC2:TGID_X_EN: 1
; COMPUTE_PGM_RSRC2:TGID_Y_EN: 0
; COMPUTE_PGM_RSRC2:TGID_Z_EN: 0
; COMPUTE_PGM_RSRC2:TIDIG_COMP_CNT: 0
	.section	.text._ZN7rocprim17ROCPRIM_400000_NS6detail17trampoline_kernelINS0_14default_configENS1_25partition_config_selectorILNS1_17partition_subalgoE9EllbEEZZNS1_14partition_implILS5_9ELb0ES3_jPlS8_PNS0_10empty_typeENS0_5tupleIJS8_S9_EEENSB_IJS8_SA_EEENS0_18inequality_wrapperIZN2at6native12_GLOBAL__N_124unique_dim_cuda_templateIbEESt5tupleIJNSF_6TensorESK_SK_EERKSK_lbbbEUlllE0_EEPmJS9_EEE10hipError_tPvRmT3_T4_T5_T6_T7_T9_mT8_P12ihipStream_tbDpT10_ENKUlT_T0_E_clISt17integral_constantIbLb1EES1A_EEDaS15_S16_EUlS15_E_NS1_11comp_targetILNS1_3genE4ELNS1_11target_archE910ELNS1_3gpuE8ELNS1_3repE0EEENS1_30default_config_static_selectorELNS0_4arch9wavefront6targetE0EEEvT1_,"axG",@progbits,_ZN7rocprim17ROCPRIM_400000_NS6detail17trampoline_kernelINS0_14default_configENS1_25partition_config_selectorILNS1_17partition_subalgoE9EllbEEZZNS1_14partition_implILS5_9ELb0ES3_jPlS8_PNS0_10empty_typeENS0_5tupleIJS8_S9_EEENSB_IJS8_SA_EEENS0_18inequality_wrapperIZN2at6native12_GLOBAL__N_124unique_dim_cuda_templateIbEESt5tupleIJNSF_6TensorESK_SK_EERKSK_lbbbEUlllE0_EEPmJS9_EEE10hipError_tPvRmT3_T4_T5_T6_T7_T9_mT8_P12ihipStream_tbDpT10_ENKUlT_T0_E_clISt17integral_constantIbLb1EES1A_EEDaS15_S16_EUlS15_E_NS1_11comp_targetILNS1_3genE4ELNS1_11target_archE910ELNS1_3gpuE8ELNS1_3repE0EEENS1_30default_config_static_selectorELNS0_4arch9wavefront6targetE0EEEvT1_,comdat
	.globl	_ZN7rocprim17ROCPRIM_400000_NS6detail17trampoline_kernelINS0_14default_configENS1_25partition_config_selectorILNS1_17partition_subalgoE9EllbEEZZNS1_14partition_implILS5_9ELb0ES3_jPlS8_PNS0_10empty_typeENS0_5tupleIJS8_S9_EEENSB_IJS8_SA_EEENS0_18inequality_wrapperIZN2at6native12_GLOBAL__N_124unique_dim_cuda_templateIbEESt5tupleIJNSF_6TensorESK_SK_EERKSK_lbbbEUlllE0_EEPmJS9_EEE10hipError_tPvRmT3_T4_T5_T6_T7_T9_mT8_P12ihipStream_tbDpT10_ENKUlT_T0_E_clISt17integral_constantIbLb1EES1A_EEDaS15_S16_EUlS15_E_NS1_11comp_targetILNS1_3genE4ELNS1_11target_archE910ELNS1_3gpuE8ELNS1_3repE0EEENS1_30default_config_static_selectorELNS0_4arch9wavefront6targetE0EEEvT1_ ; -- Begin function _ZN7rocprim17ROCPRIM_400000_NS6detail17trampoline_kernelINS0_14default_configENS1_25partition_config_selectorILNS1_17partition_subalgoE9EllbEEZZNS1_14partition_implILS5_9ELb0ES3_jPlS8_PNS0_10empty_typeENS0_5tupleIJS8_S9_EEENSB_IJS8_SA_EEENS0_18inequality_wrapperIZN2at6native12_GLOBAL__N_124unique_dim_cuda_templateIbEESt5tupleIJNSF_6TensorESK_SK_EERKSK_lbbbEUlllE0_EEPmJS9_EEE10hipError_tPvRmT3_T4_T5_T6_T7_T9_mT8_P12ihipStream_tbDpT10_ENKUlT_T0_E_clISt17integral_constantIbLb1EES1A_EEDaS15_S16_EUlS15_E_NS1_11comp_targetILNS1_3genE4ELNS1_11target_archE910ELNS1_3gpuE8ELNS1_3repE0EEENS1_30default_config_static_selectorELNS0_4arch9wavefront6targetE0EEEvT1_
	.p2align	8
	.type	_ZN7rocprim17ROCPRIM_400000_NS6detail17trampoline_kernelINS0_14default_configENS1_25partition_config_selectorILNS1_17partition_subalgoE9EllbEEZZNS1_14partition_implILS5_9ELb0ES3_jPlS8_PNS0_10empty_typeENS0_5tupleIJS8_S9_EEENSB_IJS8_SA_EEENS0_18inequality_wrapperIZN2at6native12_GLOBAL__N_124unique_dim_cuda_templateIbEESt5tupleIJNSF_6TensorESK_SK_EERKSK_lbbbEUlllE0_EEPmJS9_EEE10hipError_tPvRmT3_T4_T5_T6_T7_T9_mT8_P12ihipStream_tbDpT10_ENKUlT_T0_E_clISt17integral_constantIbLb1EES1A_EEDaS15_S16_EUlS15_E_NS1_11comp_targetILNS1_3genE4ELNS1_11target_archE910ELNS1_3gpuE8ELNS1_3repE0EEENS1_30default_config_static_selectorELNS0_4arch9wavefront6targetE0EEEvT1_,@function
_ZN7rocprim17ROCPRIM_400000_NS6detail17trampoline_kernelINS0_14default_configENS1_25partition_config_selectorILNS1_17partition_subalgoE9EllbEEZZNS1_14partition_implILS5_9ELb0ES3_jPlS8_PNS0_10empty_typeENS0_5tupleIJS8_S9_EEENSB_IJS8_SA_EEENS0_18inequality_wrapperIZN2at6native12_GLOBAL__N_124unique_dim_cuda_templateIbEESt5tupleIJNSF_6TensorESK_SK_EERKSK_lbbbEUlllE0_EEPmJS9_EEE10hipError_tPvRmT3_T4_T5_T6_T7_T9_mT8_P12ihipStream_tbDpT10_ENKUlT_T0_E_clISt17integral_constantIbLb1EES1A_EEDaS15_S16_EUlS15_E_NS1_11comp_targetILNS1_3genE4ELNS1_11target_archE910ELNS1_3gpuE8ELNS1_3repE0EEENS1_30default_config_static_selectorELNS0_4arch9wavefront6targetE0EEEvT1_: ; @_ZN7rocprim17ROCPRIM_400000_NS6detail17trampoline_kernelINS0_14default_configENS1_25partition_config_selectorILNS1_17partition_subalgoE9EllbEEZZNS1_14partition_implILS5_9ELb0ES3_jPlS8_PNS0_10empty_typeENS0_5tupleIJS8_S9_EEENSB_IJS8_SA_EEENS0_18inequality_wrapperIZN2at6native12_GLOBAL__N_124unique_dim_cuda_templateIbEESt5tupleIJNSF_6TensorESK_SK_EERKSK_lbbbEUlllE0_EEPmJS9_EEE10hipError_tPvRmT3_T4_T5_T6_T7_T9_mT8_P12ihipStream_tbDpT10_ENKUlT_T0_E_clISt17integral_constantIbLb1EES1A_EEDaS15_S16_EUlS15_E_NS1_11comp_targetILNS1_3genE4ELNS1_11target_archE910ELNS1_3gpuE8ELNS1_3repE0EEENS1_30default_config_static_selectorELNS0_4arch9wavefront6targetE0EEEvT1_
; %bb.0:
	.section	.rodata,"a",@progbits
	.p2align	6, 0x0
	.amdhsa_kernel _ZN7rocprim17ROCPRIM_400000_NS6detail17trampoline_kernelINS0_14default_configENS1_25partition_config_selectorILNS1_17partition_subalgoE9EllbEEZZNS1_14partition_implILS5_9ELb0ES3_jPlS8_PNS0_10empty_typeENS0_5tupleIJS8_S9_EEENSB_IJS8_SA_EEENS0_18inequality_wrapperIZN2at6native12_GLOBAL__N_124unique_dim_cuda_templateIbEESt5tupleIJNSF_6TensorESK_SK_EERKSK_lbbbEUlllE0_EEPmJS9_EEE10hipError_tPvRmT3_T4_T5_T6_T7_T9_mT8_P12ihipStream_tbDpT10_ENKUlT_T0_E_clISt17integral_constantIbLb1EES1A_EEDaS15_S16_EUlS15_E_NS1_11comp_targetILNS1_3genE4ELNS1_11target_archE910ELNS1_3gpuE8ELNS1_3repE0EEENS1_30default_config_static_selectorELNS0_4arch9wavefront6targetE0EEEvT1_
		.amdhsa_group_segment_fixed_size 0
		.amdhsa_private_segment_fixed_size 0
		.amdhsa_kernarg_size 136
		.amdhsa_user_sgpr_count 2
		.amdhsa_user_sgpr_dispatch_ptr 0
		.amdhsa_user_sgpr_queue_ptr 0
		.amdhsa_user_sgpr_kernarg_segment_ptr 1
		.amdhsa_user_sgpr_dispatch_id 0
		.amdhsa_user_sgpr_kernarg_preload_length 0
		.amdhsa_user_sgpr_kernarg_preload_offset 0
		.amdhsa_user_sgpr_private_segment_size 0
		.amdhsa_wavefront_size32 1
		.amdhsa_uses_dynamic_stack 0
		.amdhsa_enable_private_segment 0
		.amdhsa_system_sgpr_workgroup_id_x 1
		.amdhsa_system_sgpr_workgroup_id_y 0
		.amdhsa_system_sgpr_workgroup_id_z 0
		.amdhsa_system_sgpr_workgroup_info 0
		.amdhsa_system_vgpr_workitem_id 0
		.amdhsa_next_free_vgpr 1
		.amdhsa_next_free_sgpr 1
		.amdhsa_named_barrier_count 0
		.amdhsa_reserve_vcc 0
		.amdhsa_float_round_mode_32 0
		.amdhsa_float_round_mode_16_64 0
		.amdhsa_float_denorm_mode_32 3
		.amdhsa_float_denorm_mode_16_64 3
		.amdhsa_fp16_overflow 0
		.amdhsa_memory_ordered 1
		.amdhsa_forward_progress 1
		.amdhsa_inst_pref_size 0
		.amdhsa_round_robin_scheduling 0
		.amdhsa_exception_fp_ieee_invalid_op 0
		.amdhsa_exception_fp_denorm_src 0
		.amdhsa_exception_fp_ieee_div_zero 0
		.amdhsa_exception_fp_ieee_overflow 0
		.amdhsa_exception_fp_ieee_underflow 0
		.amdhsa_exception_fp_ieee_inexact 0
		.amdhsa_exception_int_div_zero 0
	.end_amdhsa_kernel
	.section	.text._ZN7rocprim17ROCPRIM_400000_NS6detail17trampoline_kernelINS0_14default_configENS1_25partition_config_selectorILNS1_17partition_subalgoE9EllbEEZZNS1_14partition_implILS5_9ELb0ES3_jPlS8_PNS0_10empty_typeENS0_5tupleIJS8_S9_EEENSB_IJS8_SA_EEENS0_18inequality_wrapperIZN2at6native12_GLOBAL__N_124unique_dim_cuda_templateIbEESt5tupleIJNSF_6TensorESK_SK_EERKSK_lbbbEUlllE0_EEPmJS9_EEE10hipError_tPvRmT3_T4_T5_T6_T7_T9_mT8_P12ihipStream_tbDpT10_ENKUlT_T0_E_clISt17integral_constantIbLb1EES1A_EEDaS15_S16_EUlS15_E_NS1_11comp_targetILNS1_3genE4ELNS1_11target_archE910ELNS1_3gpuE8ELNS1_3repE0EEENS1_30default_config_static_selectorELNS0_4arch9wavefront6targetE0EEEvT1_,"axG",@progbits,_ZN7rocprim17ROCPRIM_400000_NS6detail17trampoline_kernelINS0_14default_configENS1_25partition_config_selectorILNS1_17partition_subalgoE9EllbEEZZNS1_14partition_implILS5_9ELb0ES3_jPlS8_PNS0_10empty_typeENS0_5tupleIJS8_S9_EEENSB_IJS8_SA_EEENS0_18inequality_wrapperIZN2at6native12_GLOBAL__N_124unique_dim_cuda_templateIbEESt5tupleIJNSF_6TensorESK_SK_EERKSK_lbbbEUlllE0_EEPmJS9_EEE10hipError_tPvRmT3_T4_T5_T6_T7_T9_mT8_P12ihipStream_tbDpT10_ENKUlT_T0_E_clISt17integral_constantIbLb1EES1A_EEDaS15_S16_EUlS15_E_NS1_11comp_targetILNS1_3genE4ELNS1_11target_archE910ELNS1_3gpuE8ELNS1_3repE0EEENS1_30default_config_static_selectorELNS0_4arch9wavefront6targetE0EEEvT1_,comdat
.Lfunc_end1093:
	.size	_ZN7rocprim17ROCPRIM_400000_NS6detail17trampoline_kernelINS0_14default_configENS1_25partition_config_selectorILNS1_17partition_subalgoE9EllbEEZZNS1_14partition_implILS5_9ELb0ES3_jPlS8_PNS0_10empty_typeENS0_5tupleIJS8_S9_EEENSB_IJS8_SA_EEENS0_18inequality_wrapperIZN2at6native12_GLOBAL__N_124unique_dim_cuda_templateIbEESt5tupleIJNSF_6TensorESK_SK_EERKSK_lbbbEUlllE0_EEPmJS9_EEE10hipError_tPvRmT3_T4_T5_T6_T7_T9_mT8_P12ihipStream_tbDpT10_ENKUlT_T0_E_clISt17integral_constantIbLb1EES1A_EEDaS15_S16_EUlS15_E_NS1_11comp_targetILNS1_3genE4ELNS1_11target_archE910ELNS1_3gpuE8ELNS1_3repE0EEENS1_30default_config_static_selectorELNS0_4arch9wavefront6targetE0EEEvT1_, .Lfunc_end1093-_ZN7rocprim17ROCPRIM_400000_NS6detail17trampoline_kernelINS0_14default_configENS1_25partition_config_selectorILNS1_17partition_subalgoE9EllbEEZZNS1_14partition_implILS5_9ELb0ES3_jPlS8_PNS0_10empty_typeENS0_5tupleIJS8_S9_EEENSB_IJS8_SA_EEENS0_18inequality_wrapperIZN2at6native12_GLOBAL__N_124unique_dim_cuda_templateIbEESt5tupleIJNSF_6TensorESK_SK_EERKSK_lbbbEUlllE0_EEPmJS9_EEE10hipError_tPvRmT3_T4_T5_T6_T7_T9_mT8_P12ihipStream_tbDpT10_ENKUlT_T0_E_clISt17integral_constantIbLb1EES1A_EEDaS15_S16_EUlS15_E_NS1_11comp_targetILNS1_3genE4ELNS1_11target_archE910ELNS1_3gpuE8ELNS1_3repE0EEENS1_30default_config_static_selectorELNS0_4arch9wavefront6targetE0EEEvT1_
                                        ; -- End function
	.set _ZN7rocprim17ROCPRIM_400000_NS6detail17trampoline_kernelINS0_14default_configENS1_25partition_config_selectorILNS1_17partition_subalgoE9EllbEEZZNS1_14partition_implILS5_9ELb0ES3_jPlS8_PNS0_10empty_typeENS0_5tupleIJS8_S9_EEENSB_IJS8_SA_EEENS0_18inequality_wrapperIZN2at6native12_GLOBAL__N_124unique_dim_cuda_templateIbEESt5tupleIJNSF_6TensorESK_SK_EERKSK_lbbbEUlllE0_EEPmJS9_EEE10hipError_tPvRmT3_T4_T5_T6_T7_T9_mT8_P12ihipStream_tbDpT10_ENKUlT_T0_E_clISt17integral_constantIbLb1EES1A_EEDaS15_S16_EUlS15_E_NS1_11comp_targetILNS1_3genE4ELNS1_11target_archE910ELNS1_3gpuE8ELNS1_3repE0EEENS1_30default_config_static_selectorELNS0_4arch9wavefront6targetE0EEEvT1_.num_vgpr, 0
	.set _ZN7rocprim17ROCPRIM_400000_NS6detail17trampoline_kernelINS0_14default_configENS1_25partition_config_selectorILNS1_17partition_subalgoE9EllbEEZZNS1_14partition_implILS5_9ELb0ES3_jPlS8_PNS0_10empty_typeENS0_5tupleIJS8_S9_EEENSB_IJS8_SA_EEENS0_18inequality_wrapperIZN2at6native12_GLOBAL__N_124unique_dim_cuda_templateIbEESt5tupleIJNSF_6TensorESK_SK_EERKSK_lbbbEUlllE0_EEPmJS9_EEE10hipError_tPvRmT3_T4_T5_T6_T7_T9_mT8_P12ihipStream_tbDpT10_ENKUlT_T0_E_clISt17integral_constantIbLb1EES1A_EEDaS15_S16_EUlS15_E_NS1_11comp_targetILNS1_3genE4ELNS1_11target_archE910ELNS1_3gpuE8ELNS1_3repE0EEENS1_30default_config_static_selectorELNS0_4arch9wavefront6targetE0EEEvT1_.num_agpr, 0
	.set _ZN7rocprim17ROCPRIM_400000_NS6detail17trampoline_kernelINS0_14default_configENS1_25partition_config_selectorILNS1_17partition_subalgoE9EllbEEZZNS1_14partition_implILS5_9ELb0ES3_jPlS8_PNS0_10empty_typeENS0_5tupleIJS8_S9_EEENSB_IJS8_SA_EEENS0_18inequality_wrapperIZN2at6native12_GLOBAL__N_124unique_dim_cuda_templateIbEESt5tupleIJNSF_6TensorESK_SK_EERKSK_lbbbEUlllE0_EEPmJS9_EEE10hipError_tPvRmT3_T4_T5_T6_T7_T9_mT8_P12ihipStream_tbDpT10_ENKUlT_T0_E_clISt17integral_constantIbLb1EES1A_EEDaS15_S16_EUlS15_E_NS1_11comp_targetILNS1_3genE4ELNS1_11target_archE910ELNS1_3gpuE8ELNS1_3repE0EEENS1_30default_config_static_selectorELNS0_4arch9wavefront6targetE0EEEvT1_.numbered_sgpr, 0
	.set _ZN7rocprim17ROCPRIM_400000_NS6detail17trampoline_kernelINS0_14default_configENS1_25partition_config_selectorILNS1_17partition_subalgoE9EllbEEZZNS1_14partition_implILS5_9ELb0ES3_jPlS8_PNS0_10empty_typeENS0_5tupleIJS8_S9_EEENSB_IJS8_SA_EEENS0_18inequality_wrapperIZN2at6native12_GLOBAL__N_124unique_dim_cuda_templateIbEESt5tupleIJNSF_6TensorESK_SK_EERKSK_lbbbEUlllE0_EEPmJS9_EEE10hipError_tPvRmT3_T4_T5_T6_T7_T9_mT8_P12ihipStream_tbDpT10_ENKUlT_T0_E_clISt17integral_constantIbLb1EES1A_EEDaS15_S16_EUlS15_E_NS1_11comp_targetILNS1_3genE4ELNS1_11target_archE910ELNS1_3gpuE8ELNS1_3repE0EEENS1_30default_config_static_selectorELNS0_4arch9wavefront6targetE0EEEvT1_.num_named_barrier, 0
	.set _ZN7rocprim17ROCPRIM_400000_NS6detail17trampoline_kernelINS0_14default_configENS1_25partition_config_selectorILNS1_17partition_subalgoE9EllbEEZZNS1_14partition_implILS5_9ELb0ES3_jPlS8_PNS0_10empty_typeENS0_5tupleIJS8_S9_EEENSB_IJS8_SA_EEENS0_18inequality_wrapperIZN2at6native12_GLOBAL__N_124unique_dim_cuda_templateIbEESt5tupleIJNSF_6TensorESK_SK_EERKSK_lbbbEUlllE0_EEPmJS9_EEE10hipError_tPvRmT3_T4_T5_T6_T7_T9_mT8_P12ihipStream_tbDpT10_ENKUlT_T0_E_clISt17integral_constantIbLb1EES1A_EEDaS15_S16_EUlS15_E_NS1_11comp_targetILNS1_3genE4ELNS1_11target_archE910ELNS1_3gpuE8ELNS1_3repE0EEENS1_30default_config_static_selectorELNS0_4arch9wavefront6targetE0EEEvT1_.private_seg_size, 0
	.set _ZN7rocprim17ROCPRIM_400000_NS6detail17trampoline_kernelINS0_14default_configENS1_25partition_config_selectorILNS1_17partition_subalgoE9EllbEEZZNS1_14partition_implILS5_9ELb0ES3_jPlS8_PNS0_10empty_typeENS0_5tupleIJS8_S9_EEENSB_IJS8_SA_EEENS0_18inequality_wrapperIZN2at6native12_GLOBAL__N_124unique_dim_cuda_templateIbEESt5tupleIJNSF_6TensorESK_SK_EERKSK_lbbbEUlllE0_EEPmJS9_EEE10hipError_tPvRmT3_T4_T5_T6_T7_T9_mT8_P12ihipStream_tbDpT10_ENKUlT_T0_E_clISt17integral_constantIbLb1EES1A_EEDaS15_S16_EUlS15_E_NS1_11comp_targetILNS1_3genE4ELNS1_11target_archE910ELNS1_3gpuE8ELNS1_3repE0EEENS1_30default_config_static_selectorELNS0_4arch9wavefront6targetE0EEEvT1_.uses_vcc, 0
	.set _ZN7rocprim17ROCPRIM_400000_NS6detail17trampoline_kernelINS0_14default_configENS1_25partition_config_selectorILNS1_17partition_subalgoE9EllbEEZZNS1_14partition_implILS5_9ELb0ES3_jPlS8_PNS0_10empty_typeENS0_5tupleIJS8_S9_EEENSB_IJS8_SA_EEENS0_18inequality_wrapperIZN2at6native12_GLOBAL__N_124unique_dim_cuda_templateIbEESt5tupleIJNSF_6TensorESK_SK_EERKSK_lbbbEUlllE0_EEPmJS9_EEE10hipError_tPvRmT3_T4_T5_T6_T7_T9_mT8_P12ihipStream_tbDpT10_ENKUlT_T0_E_clISt17integral_constantIbLb1EES1A_EEDaS15_S16_EUlS15_E_NS1_11comp_targetILNS1_3genE4ELNS1_11target_archE910ELNS1_3gpuE8ELNS1_3repE0EEENS1_30default_config_static_selectorELNS0_4arch9wavefront6targetE0EEEvT1_.uses_flat_scratch, 0
	.set _ZN7rocprim17ROCPRIM_400000_NS6detail17trampoline_kernelINS0_14default_configENS1_25partition_config_selectorILNS1_17partition_subalgoE9EllbEEZZNS1_14partition_implILS5_9ELb0ES3_jPlS8_PNS0_10empty_typeENS0_5tupleIJS8_S9_EEENSB_IJS8_SA_EEENS0_18inequality_wrapperIZN2at6native12_GLOBAL__N_124unique_dim_cuda_templateIbEESt5tupleIJNSF_6TensorESK_SK_EERKSK_lbbbEUlllE0_EEPmJS9_EEE10hipError_tPvRmT3_T4_T5_T6_T7_T9_mT8_P12ihipStream_tbDpT10_ENKUlT_T0_E_clISt17integral_constantIbLb1EES1A_EEDaS15_S16_EUlS15_E_NS1_11comp_targetILNS1_3genE4ELNS1_11target_archE910ELNS1_3gpuE8ELNS1_3repE0EEENS1_30default_config_static_selectorELNS0_4arch9wavefront6targetE0EEEvT1_.has_dyn_sized_stack, 0
	.set _ZN7rocprim17ROCPRIM_400000_NS6detail17trampoline_kernelINS0_14default_configENS1_25partition_config_selectorILNS1_17partition_subalgoE9EllbEEZZNS1_14partition_implILS5_9ELb0ES3_jPlS8_PNS0_10empty_typeENS0_5tupleIJS8_S9_EEENSB_IJS8_SA_EEENS0_18inequality_wrapperIZN2at6native12_GLOBAL__N_124unique_dim_cuda_templateIbEESt5tupleIJNSF_6TensorESK_SK_EERKSK_lbbbEUlllE0_EEPmJS9_EEE10hipError_tPvRmT3_T4_T5_T6_T7_T9_mT8_P12ihipStream_tbDpT10_ENKUlT_T0_E_clISt17integral_constantIbLb1EES1A_EEDaS15_S16_EUlS15_E_NS1_11comp_targetILNS1_3genE4ELNS1_11target_archE910ELNS1_3gpuE8ELNS1_3repE0EEENS1_30default_config_static_selectorELNS0_4arch9wavefront6targetE0EEEvT1_.has_recursion, 0
	.set _ZN7rocprim17ROCPRIM_400000_NS6detail17trampoline_kernelINS0_14default_configENS1_25partition_config_selectorILNS1_17partition_subalgoE9EllbEEZZNS1_14partition_implILS5_9ELb0ES3_jPlS8_PNS0_10empty_typeENS0_5tupleIJS8_S9_EEENSB_IJS8_SA_EEENS0_18inequality_wrapperIZN2at6native12_GLOBAL__N_124unique_dim_cuda_templateIbEESt5tupleIJNSF_6TensorESK_SK_EERKSK_lbbbEUlllE0_EEPmJS9_EEE10hipError_tPvRmT3_T4_T5_T6_T7_T9_mT8_P12ihipStream_tbDpT10_ENKUlT_T0_E_clISt17integral_constantIbLb1EES1A_EEDaS15_S16_EUlS15_E_NS1_11comp_targetILNS1_3genE4ELNS1_11target_archE910ELNS1_3gpuE8ELNS1_3repE0EEENS1_30default_config_static_selectorELNS0_4arch9wavefront6targetE0EEEvT1_.has_indirect_call, 0
	.section	.AMDGPU.csdata,"",@progbits
; Kernel info:
; codeLenInByte = 0
; TotalNumSgprs: 0
; NumVgprs: 0
; ScratchSize: 0
; MemoryBound: 0
; FloatMode: 240
; IeeeMode: 1
; LDSByteSize: 0 bytes/workgroup (compile time only)
; SGPRBlocks: 0
; VGPRBlocks: 0
; NumSGPRsForWavesPerEU: 1
; NumVGPRsForWavesPerEU: 1
; NamedBarCnt: 0
; Occupancy: 16
; WaveLimiterHint : 0
; COMPUTE_PGM_RSRC2:SCRATCH_EN: 0
; COMPUTE_PGM_RSRC2:USER_SGPR: 2
; COMPUTE_PGM_RSRC2:TRAP_HANDLER: 0
; COMPUTE_PGM_RSRC2:TGID_X_EN: 1
; COMPUTE_PGM_RSRC2:TGID_Y_EN: 0
; COMPUTE_PGM_RSRC2:TGID_Z_EN: 0
; COMPUTE_PGM_RSRC2:TIDIG_COMP_CNT: 0
	.section	.text._ZN7rocprim17ROCPRIM_400000_NS6detail17trampoline_kernelINS0_14default_configENS1_25partition_config_selectorILNS1_17partition_subalgoE9EllbEEZZNS1_14partition_implILS5_9ELb0ES3_jPlS8_PNS0_10empty_typeENS0_5tupleIJS8_S9_EEENSB_IJS8_SA_EEENS0_18inequality_wrapperIZN2at6native12_GLOBAL__N_124unique_dim_cuda_templateIbEESt5tupleIJNSF_6TensorESK_SK_EERKSK_lbbbEUlllE0_EEPmJS9_EEE10hipError_tPvRmT3_T4_T5_T6_T7_T9_mT8_P12ihipStream_tbDpT10_ENKUlT_T0_E_clISt17integral_constantIbLb1EES1A_EEDaS15_S16_EUlS15_E_NS1_11comp_targetILNS1_3genE3ELNS1_11target_archE908ELNS1_3gpuE7ELNS1_3repE0EEENS1_30default_config_static_selectorELNS0_4arch9wavefront6targetE0EEEvT1_,"axG",@progbits,_ZN7rocprim17ROCPRIM_400000_NS6detail17trampoline_kernelINS0_14default_configENS1_25partition_config_selectorILNS1_17partition_subalgoE9EllbEEZZNS1_14partition_implILS5_9ELb0ES3_jPlS8_PNS0_10empty_typeENS0_5tupleIJS8_S9_EEENSB_IJS8_SA_EEENS0_18inequality_wrapperIZN2at6native12_GLOBAL__N_124unique_dim_cuda_templateIbEESt5tupleIJNSF_6TensorESK_SK_EERKSK_lbbbEUlllE0_EEPmJS9_EEE10hipError_tPvRmT3_T4_T5_T6_T7_T9_mT8_P12ihipStream_tbDpT10_ENKUlT_T0_E_clISt17integral_constantIbLb1EES1A_EEDaS15_S16_EUlS15_E_NS1_11comp_targetILNS1_3genE3ELNS1_11target_archE908ELNS1_3gpuE7ELNS1_3repE0EEENS1_30default_config_static_selectorELNS0_4arch9wavefront6targetE0EEEvT1_,comdat
	.globl	_ZN7rocprim17ROCPRIM_400000_NS6detail17trampoline_kernelINS0_14default_configENS1_25partition_config_selectorILNS1_17partition_subalgoE9EllbEEZZNS1_14partition_implILS5_9ELb0ES3_jPlS8_PNS0_10empty_typeENS0_5tupleIJS8_S9_EEENSB_IJS8_SA_EEENS0_18inequality_wrapperIZN2at6native12_GLOBAL__N_124unique_dim_cuda_templateIbEESt5tupleIJNSF_6TensorESK_SK_EERKSK_lbbbEUlllE0_EEPmJS9_EEE10hipError_tPvRmT3_T4_T5_T6_T7_T9_mT8_P12ihipStream_tbDpT10_ENKUlT_T0_E_clISt17integral_constantIbLb1EES1A_EEDaS15_S16_EUlS15_E_NS1_11comp_targetILNS1_3genE3ELNS1_11target_archE908ELNS1_3gpuE7ELNS1_3repE0EEENS1_30default_config_static_selectorELNS0_4arch9wavefront6targetE0EEEvT1_ ; -- Begin function _ZN7rocprim17ROCPRIM_400000_NS6detail17trampoline_kernelINS0_14default_configENS1_25partition_config_selectorILNS1_17partition_subalgoE9EllbEEZZNS1_14partition_implILS5_9ELb0ES3_jPlS8_PNS0_10empty_typeENS0_5tupleIJS8_S9_EEENSB_IJS8_SA_EEENS0_18inequality_wrapperIZN2at6native12_GLOBAL__N_124unique_dim_cuda_templateIbEESt5tupleIJNSF_6TensorESK_SK_EERKSK_lbbbEUlllE0_EEPmJS9_EEE10hipError_tPvRmT3_T4_T5_T6_T7_T9_mT8_P12ihipStream_tbDpT10_ENKUlT_T0_E_clISt17integral_constantIbLb1EES1A_EEDaS15_S16_EUlS15_E_NS1_11comp_targetILNS1_3genE3ELNS1_11target_archE908ELNS1_3gpuE7ELNS1_3repE0EEENS1_30default_config_static_selectorELNS0_4arch9wavefront6targetE0EEEvT1_
	.p2align	8
	.type	_ZN7rocprim17ROCPRIM_400000_NS6detail17trampoline_kernelINS0_14default_configENS1_25partition_config_selectorILNS1_17partition_subalgoE9EllbEEZZNS1_14partition_implILS5_9ELb0ES3_jPlS8_PNS0_10empty_typeENS0_5tupleIJS8_S9_EEENSB_IJS8_SA_EEENS0_18inequality_wrapperIZN2at6native12_GLOBAL__N_124unique_dim_cuda_templateIbEESt5tupleIJNSF_6TensorESK_SK_EERKSK_lbbbEUlllE0_EEPmJS9_EEE10hipError_tPvRmT3_T4_T5_T6_T7_T9_mT8_P12ihipStream_tbDpT10_ENKUlT_T0_E_clISt17integral_constantIbLb1EES1A_EEDaS15_S16_EUlS15_E_NS1_11comp_targetILNS1_3genE3ELNS1_11target_archE908ELNS1_3gpuE7ELNS1_3repE0EEENS1_30default_config_static_selectorELNS0_4arch9wavefront6targetE0EEEvT1_,@function
_ZN7rocprim17ROCPRIM_400000_NS6detail17trampoline_kernelINS0_14default_configENS1_25partition_config_selectorILNS1_17partition_subalgoE9EllbEEZZNS1_14partition_implILS5_9ELb0ES3_jPlS8_PNS0_10empty_typeENS0_5tupleIJS8_S9_EEENSB_IJS8_SA_EEENS0_18inequality_wrapperIZN2at6native12_GLOBAL__N_124unique_dim_cuda_templateIbEESt5tupleIJNSF_6TensorESK_SK_EERKSK_lbbbEUlllE0_EEPmJS9_EEE10hipError_tPvRmT3_T4_T5_T6_T7_T9_mT8_P12ihipStream_tbDpT10_ENKUlT_T0_E_clISt17integral_constantIbLb1EES1A_EEDaS15_S16_EUlS15_E_NS1_11comp_targetILNS1_3genE3ELNS1_11target_archE908ELNS1_3gpuE7ELNS1_3repE0EEENS1_30default_config_static_selectorELNS0_4arch9wavefront6targetE0EEEvT1_: ; @_ZN7rocprim17ROCPRIM_400000_NS6detail17trampoline_kernelINS0_14default_configENS1_25partition_config_selectorILNS1_17partition_subalgoE9EllbEEZZNS1_14partition_implILS5_9ELb0ES3_jPlS8_PNS0_10empty_typeENS0_5tupleIJS8_S9_EEENSB_IJS8_SA_EEENS0_18inequality_wrapperIZN2at6native12_GLOBAL__N_124unique_dim_cuda_templateIbEESt5tupleIJNSF_6TensorESK_SK_EERKSK_lbbbEUlllE0_EEPmJS9_EEE10hipError_tPvRmT3_T4_T5_T6_T7_T9_mT8_P12ihipStream_tbDpT10_ENKUlT_T0_E_clISt17integral_constantIbLb1EES1A_EEDaS15_S16_EUlS15_E_NS1_11comp_targetILNS1_3genE3ELNS1_11target_archE908ELNS1_3gpuE7ELNS1_3repE0EEENS1_30default_config_static_selectorELNS0_4arch9wavefront6targetE0EEEvT1_
; %bb.0:
	.section	.rodata,"a",@progbits
	.p2align	6, 0x0
	.amdhsa_kernel _ZN7rocprim17ROCPRIM_400000_NS6detail17trampoline_kernelINS0_14default_configENS1_25partition_config_selectorILNS1_17partition_subalgoE9EllbEEZZNS1_14partition_implILS5_9ELb0ES3_jPlS8_PNS0_10empty_typeENS0_5tupleIJS8_S9_EEENSB_IJS8_SA_EEENS0_18inequality_wrapperIZN2at6native12_GLOBAL__N_124unique_dim_cuda_templateIbEESt5tupleIJNSF_6TensorESK_SK_EERKSK_lbbbEUlllE0_EEPmJS9_EEE10hipError_tPvRmT3_T4_T5_T6_T7_T9_mT8_P12ihipStream_tbDpT10_ENKUlT_T0_E_clISt17integral_constantIbLb1EES1A_EEDaS15_S16_EUlS15_E_NS1_11comp_targetILNS1_3genE3ELNS1_11target_archE908ELNS1_3gpuE7ELNS1_3repE0EEENS1_30default_config_static_selectorELNS0_4arch9wavefront6targetE0EEEvT1_
		.amdhsa_group_segment_fixed_size 0
		.amdhsa_private_segment_fixed_size 0
		.amdhsa_kernarg_size 136
		.amdhsa_user_sgpr_count 2
		.amdhsa_user_sgpr_dispatch_ptr 0
		.amdhsa_user_sgpr_queue_ptr 0
		.amdhsa_user_sgpr_kernarg_segment_ptr 1
		.amdhsa_user_sgpr_dispatch_id 0
		.amdhsa_user_sgpr_kernarg_preload_length 0
		.amdhsa_user_sgpr_kernarg_preload_offset 0
		.amdhsa_user_sgpr_private_segment_size 0
		.amdhsa_wavefront_size32 1
		.amdhsa_uses_dynamic_stack 0
		.amdhsa_enable_private_segment 0
		.amdhsa_system_sgpr_workgroup_id_x 1
		.amdhsa_system_sgpr_workgroup_id_y 0
		.amdhsa_system_sgpr_workgroup_id_z 0
		.amdhsa_system_sgpr_workgroup_info 0
		.amdhsa_system_vgpr_workitem_id 0
		.amdhsa_next_free_vgpr 1
		.amdhsa_next_free_sgpr 1
		.amdhsa_named_barrier_count 0
		.amdhsa_reserve_vcc 0
		.amdhsa_float_round_mode_32 0
		.amdhsa_float_round_mode_16_64 0
		.amdhsa_float_denorm_mode_32 3
		.amdhsa_float_denorm_mode_16_64 3
		.amdhsa_fp16_overflow 0
		.amdhsa_memory_ordered 1
		.amdhsa_forward_progress 1
		.amdhsa_inst_pref_size 0
		.amdhsa_round_robin_scheduling 0
		.amdhsa_exception_fp_ieee_invalid_op 0
		.amdhsa_exception_fp_denorm_src 0
		.amdhsa_exception_fp_ieee_div_zero 0
		.amdhsa_exception_fp_ieee_overflow 0
		.amdhsa_exception_fp_ieee_underflow 0
		.amdhsa_exception_fp_ieee_inexact 0
		.amdhsa_exception_int_div_zero 0
	.end_amdhsa_kernel
	.section	.text._ZN7rocprim17ROCPRIM_400000_NS6detail17trampoline_kernelINS0_14default_configENS1_25partition_config_selectorILNS1_17partition_subalgoE9EllbEEZZNS1_14partition_implILS5_9ELb0ES3_jPlS8_PNS0_10empty_typeENS0_5tupleIJS8_S9_EEENSB_IJS8_SA_EEENS0_18inequality_wrapperIZN2at6native12_GLOBAL__N_124unique_dim_cuda_templateIbEESt5tupleIJNSF_6TensorESK_SK_EERKSK_lbbbEUlllE0_EEPmJS9_EEE10hipError_tPvRmT3_T4_T5_T6_T7_T9_mT8_P12ihipStream_tbDpT10_ENKUlT_T0_E_clISt17integral_constantIbLb1EES1A_EEDaS15_S16_EUlS15_E_NS1_11comp_targetILNS1_3genE3ELNS1_11target_archE908ELNS1_3gpuE7ELNS1_3repE0EEENS1_30default_config_static_selectorELNS0_4arch9wavefront6targetE0EEEvT1_,"axG",@progbits,_ZN7rocprim17ROCPRIM_400000_NS6detail17trampoline_kernelINS0_14default_configENS1_25partition_config_selectorILNS1_17partition_subalgoE9EllbEEZZNS1_14partition_implILS5_9ELb0ES3_jPlS8_PNS0_10empty_typeENS0_5tupleIJS8_S9_EEENSB_IJS8_SA_EEENS0_18inequality_wrapperIZN2at6native12_GLOBAL__N_124unique_dim_cuda_templateIbEESt5tupleIJNSF_6TensorESK_SK_EERKSK_lbbbEUlllE0_EEPmJS9_EEE10hipError_tPvRmT3_T4_T5_T6_T7_T9_mT8_P12ihipStream_tbDpT10_ENKUlT_T0_E_clISt17integral_constantIbLb1EES1A_EEDaS15_S16_EUlS15_E_NS1_11comp_targetILNS1_3genE3ELNS1_11target_archE908ELNS1_3gpuE7ELNS1_3repE0EEENS1_30default_config_static_selectorELNS0_4arch9wavefront6targetE0EEEvT1_,comdat
.Lfunc_end1094:
	.size	_ZN7rocprim17ROCPRIM_400000_NS6detail17trampoline_kernelINS0_14default_configENS1_25partition_config_selectorILNS1_17partition_subalgoE9EllbEEZZNS1_14partition_implILS5_9ELb0ES3_jPlS8_PNS0_10empty_typeENS0_5tupleIJS8_S9_EEENSB_IJS8_SA_EEENS0_18inequality_wrapperIZN2at6native12_GLOBAL__N_124unique_dim_cuda_templateIbEESt5tupleIJNSF_6TensorESK_SK_EERKSK_lbbbEUlllE0_EEPmJS9_EEE10hipError_tPvRmT3_T4_T5_T6_T7_T9_mT8_P12ihipStream_tbDpT10_ENKUlT_T0_E_clISt17integral_constantIbLb1EES1A_EEDaS15_S16_EUlS15_E_NS1_11comp_targetILNS1_3genE3ELNS1_11target_archE908ELNS1_3gpuE7ELNS1_3repE0EEENS1_30default_config_static_selectorELNS0_4arch9wavefront6targetE0EEEvT1_, .Lfunc_end1094-_ZN7rocprim17ROCPRIM_400000_NS6detail17trampoline_kernelINS0_14default_configENS1_25partition_config_selectorILNS1_17partition_subalgoE9EllbEEZZNS1_14partition_implILS5_9ELb0ES3_jPlS8_PNS0_10empty_typeENS0_5tupleIJS8_S9_EEENSB_IJS8_SA_EEENS0_18inequality_wrapperIZN2at6native12_GLOBAL__N_124unique_dim_cuda_templateIbEESt5tupleIJNSF_6TensorESK_SK_EERKSK_lbbbEUlllE0_EEPmJS9_EEE10hipError_tPvRmT3_T4_T5_T6_T7_T9_mT8_P12ihipStream_tbDpT10_ENKUlT_T0_E_clISt17integral_constantIbLb1EES1A_EEDaS15_S16_EUlS15_E_NS1_11comp_targetILNS1_3genE3ELNS1_11target_archE908ELNS1_3gpuE7ELNS1_3repE0EEENS1_30default_config_static_selectorELNS0_4arch9wavefront6targetE0EEEvT1_
                                        ; -- End function
	.set _ZN7rocprim17ROCPRIM_400000_NS6detail17trampoline_kernelINS0_14default_configENS1_25partition_config_selectorILNS1_17partition_subalgoE9EllbEEZZNS1_14partition_implILS5_9ELb0ES3_jPlS8_PNS0_10empty_typeENS0_5tupleIJS8_S9_EEENSB_IJS8_SA_EEENS0_18inequality_wrapperIZN2at6native12_GLOBAL__N_124unique_dim_cuda_templateIbEESt5tupleIJNSF_6TensorESK_SK_EERKSK_lbbbEUlllE0_EEPmJS9_EEE10hipError_tPvRmT3_T4_T5_T6_T7_T9_mT8_P12ihipStream_tbDpT10_ENKUlT_T0_E_clISt17integral_constantIbLb1EES1A_EEDaS15_S16_EUlS15_E_NS1_11comp_targetILNS1_3genE3ELNS1_11target_archE908ELNS1_3gpuE7ELNS1_3repE0EEENS1_30default_config_static_selectorELNS0_4arch9wavefront6targetE0EEEvT1_.num_vgpr, 0
	.set _ZN7rocprim17ROCPRIM_400000_NS6detail17trampoline_kernelINS0_14default_configENS1_25partition_config_selectorILNS1_17partition_subalgoE9EllbEEZZNS1_14partition_implILS5_9ELb0ES3_jPlS8_PNS0_10empty_typeENS0_5tupleIJS8_S9_EEENSB_IJS8_SA_EEENS0_18inequality_wrapperIZN2at6native12_GLOBAL__N_124unique_dim_cuda_templateIbEESt5tupleIJNSF_6TensorESK_SK_EERKSK_lbbbEUlllE0_EEPmJS9_EEE10hipError_tPvRmT3_T4_T5_T6_T7_T9_mT8_P12ihipStream_tbDpT10_ENKUlT_T0_E_clISt17integral_constantIbLb1EES1A_EEDaS15_S16_EUlS15_E_NS1_11comp_targetILNS1_3genE3ELNS1_11target_archE908ELNS1_3gpuE7ELNS1_3repE0EEENS1_30default_config_static_selectorELNS0_4arch9wavefront6targetE0EEEvT1_.num_agpr, 0
	.set _ZN7rocprim17ROCPRIM_400000_NS6detail17trampoline_kernelINS0_14default_configENS1_25partition_config_selectorILNS1_17partition_subalgoE9EllbEEZZNS1_14partition_implILS5_9ELb0ES3_jPlS8_PNS0_10empty_typeENS0_5tupleIJS8_S9_EEENSB_IJS8_SA_EEENS0_18inequality_wrapperIZN2at6native12_GLOBAL__N_124unique_dim_cuda_templateIbEESt5tupleIJNSF_6TensorESK_SK_EERKSK_lbbbEUlllE0_EEPmJS9_EEE10hipError_tPvRmT3_T4_T5_T6_T7_T9_mT8_P12ihipStream_tbDpT10_ENKUlT_T0_E_clISt17integral_constantIbLb1EES1A_EEDaS15_S16_EUlS15_E_NS1_11comp_targetILNS1_3genE3ELNS1_11target_archE908ELNS1_3gpuE7ELNS1_3repE0EEENS1_30default_config_static_selectorELNS0_4arch9wavefront6targetE0EEEvT1_.numbered_sgpr, 0
	.set _ZN7rocprim17ROCPRIM_400000_NS6detail17trampoline_kernelINS0_14default_configENS1_25partition_config_selectorILNS1_17partition_subalgoE9EllbEEZZNS1_14partition_implILS5_9ELb0ES3_jPlS8_PNS0_10empty_typeENS0_5tupleIJS8_S9_EEENSB_IJS8_SA_EEENS0_18inequality_wrapperIZN2at6native12_GLOBAL__N_124unique_dim_cuda_templateIbEESt5tupleIJNSF_6TensorESK_SK_EERKSK_lbbbEUlllE0_EEPmJS9_EEE10hipError_tPvRmT3_T4_T5_T6_T7_T9_mT8_P12ihipStream_tbDpT10_ENKUlT_T0_E_clISt17integral_constantIbLb1EES1A_EEDaS15_S16_EUlS15_E_NS1_11comp_targetILNS1_3genE3ELNS1_11target_archE908ELNS1_3gpuE7ELNS1_3repE0EEENS1_30default_config_static_selectorELNS0_4arch9wavefront6targetE0EEEvT1_.num_named_barrier, 0
	.set _ZN7rocprim17ROCPRIM_400000_NS6detail17trampoline_kernelINS0_14default_configENS1_25partition_config_selectorILNS1_17partition_subalgoE9EllbEEZZNS1_14partition_implILS5_9ELb0ES3_jPlS8_PNS0_10empty_typeENS0_5tupleIJS8_S9_EEENSB_IJS8_SA_EEENS0_18inequality_wrapperIZN2at6native12_GLOBAL__N_124unique_dim_cuda_templateIbEESt5tupleIJNSF_6TensorESK_SK_EERKSK_lbbbEUlllE0_EEPmJS9_EEE10hipError_tPvRmT3_T4_T5_T6_T7_T9_mT8_P12ihipStream_tbDpT10_ENKUlT_T0_E_clISt17integral_constantIbLb1EES1A_EEDaS15_S16_EUlS15_E_NS1_11comp_targetILNS1_3genE3ELNS1_11target_archE908ELNS1_3gpuE7ELNS1_3repE0EEENS1_30default_config_static_selectorELNS0_4arch9wavefront6targetE0EEEvT1_.private_seg_size, 0
	.set _ZN7rocprim17ROCPRIM_400000_NS6detail17trampoline_kernelINS0_14default_configENS1_25partition_config_selectorILNS1_17partition_subalgoE9EllbEEZZNS1_14partition_implILS5_9ELb0ES3_jPlS8_PNS0_10empty_typeENS0_5tupleIJS8_S9_EEENSB_IJS8_SA_EEENS0_18inequality_wrapperIZN2at6native12_GLOBAL__N_124unique_dim_cuda_templateIbEESt5tupleIJNSF_6TensorESK_SK_EERKSK_lbbbEUlllE0_EEPmJS9_EEE10hipError_tPvRmT3_T4_T5_T6_T7_T9_mT8_P12ihipStream_tbDpT10_ENKUlT_T0_E_clISt17integral_constantIbLb1EES1A_EEDaS15_S16_EUlS15_E_NS1_11comp_targetILNS1_3genE3ELNS1_11target_archE908ELNS1_3gpuE7ELNS1_3repE0EEENS1_30default_config_static_selectorELNS0_4arch9wavefront6targetE0EEEvT1_.uses_vcc, 0
	.set _ZN7rocprim17ROCPRIM_400000_NS6detail17trampoline_kernelINS0_14default_configENS1_25partition_config_selectorILNS1_17partition_subalgoE9EllbEEZZNS1_14partition_implILS5_9ELb0ES3_jPlS8_PNS0_10empty_typeENS0_5tupleIJS8_S9_EEENSB_IJS8_SA_EEENS0_18inequality_wrapperIZN2at6native12_GLOBAL__N_124unique_dim_cuda_templateIbEESt5tupleIJNSF_6TensorESK_SK_EERKSK_lbbbEUlllE0_EEPmJS9_EEE10hipError_tPvRmT3_T4_T5_T6_T7_T9_mT8_P12ihipStream_tbDpT10_ENKUlT_T0_E_clISt17integral_constantIbLb1EES1A_EEDaS15_S16_EUlS15_E_NS1_11comp_targetILNS1_3genE3ELNS1_11target_archE908ELNS1_3gpuE7ELNS1_3repE0EEENS1_30default_config_static_selectorELNS0_4arch9wavefront6targetE0EEEvT1_.uses_flat_scratch, 0
	.set _ZN7rocprim17ROCPRIM_400000_NS6detail17trampoline_kernelINS0_14default_configENS1_25partition_config_selectorILNS1_17partition_subalgoE9EllbEEZZNS1_14partition_implILS5_9ELb0ES3_jPlS8_PNS0_10empty_typeENS0_5tupleIJS8_S9_EEENSB_IJS8_SA_EEENS0_18inequality_wrapperIZN2at6native12_GLOBAL__N_124unique_dim_cuda_templateIbEESt5tupleIJNSF_6TensorESK_SK_EERKSK_lbbbEUlllE0_EEPmJS9_EEE10hipError_tPvRmT3_T4_T5_T6_T7_T9_mT8_P12ihipStream_tbDpT10_ENKUlT_T0_E_clISt17integral_constantIbLb1EES1A_EEDaS15_S16_EUlS15_E_NS1_11comp_targetILNS1_3genE3ELNS1_11target_archE908ELNS1_3gpuE7ELNS1_3repE0EEENS1_30default_config_static_selectorELNS0_4arch9wavefront6targetE0EEEvT1_.has_dyn_sized_stack, 0
	.set _ZN7rocprim17ROCPRIM_400000_NS6detail17trampoline_kernelINS0_14default_configENS1_25partition_config_selectorILNS1_17partition_subalgoE9EllbEEZZNS1_14partition_implILS5_9ELb0ES3_jPlS8_PNS0_10empty_typeENS0_5tupleIJS8_S9_EEENSB_IJS8_SA_EEENS0_18inequality_wrapperIZN2at6native12_GLOBAL__N_124unique_dim_cuda_templateIbEESt5tupleIJNSF_6TensorESK_SK_EERKSK_lbbbEUlllE0_EEPmJS9_EEE10hipError_tPvRmT3_T4_T5_T6_T7_T9_mT8_P12ihipStream_tbDpT10_ENKUlT_T0_E_clISt17integral_constantIbLb1EES1A_EEDaS15_S16_EUlS15_E_NS1_11comp_targetILNS1_3genE3ELNS1_11target_archE908ELNS1_3gpuE7ELNS1_3repE0EEENS1_30default_config_static_selectorELNS0_4arch9wavefront6targetE0EEEvT1_.has_recursion, 0
	.set _ZN7rocprim17ROCPRIM_400000_NS6detail17trampoline_kernelINS0_14default_configENS1_25partition_config_selectorILNS1_17partition_subalgoE9EllbEEZZNS1_14partition_implILS5_9ELb0ES3_jPlS8_PNS0_10empty_typeENS0_5tupleIJS8_S9_EEENSB_IJS8_SA_EEENS0_18inequality_wrapperIZN2at6native12_GLOBAL__N_124unique_dim_cuda_templateIbEESt5tupleIJNSF_6TensorESK_SK_EERKSK_lbbbEUlllE0_EEPmJS9_EEE10hipError_tPvRmT3_T4_T5_T6_T7_T9_mT8_P12ihipStream_tbDpT10_ENKUlT_T0_E_clISt17integral_constantIbLb1EES1A_EEDaS15_S16_EUlS15_E_NS1_11comp_targetILNS1_3genE3ELNS1_11target_archE908ELNS1_3gpuE7ELNS1_3repE0EEENS1_30default_config_static_selectorELNS0_4arch9wavefront6targetE0EEEvT1_.has_indirect_call, 0
	.section	.AMDGPU.csdata,"",@progbits
; Kernel info:
; codeLenInByte = 0
; TotalNumSgprs: 0
; NumVgprs: 0
; ScratchSize: 0
; MemoryBound: 0
; FloatMode: 240
; IeeeMode: 1
; LDSByteSize: 0 bytes/workgroup (compile time only)
; SGPRBlocks: 0
; VGPRBlocks: 0
; NumSGPRsForWavesPerEU: 1
; NumVGPRsForWavesPerEU: 1
; NamedBarCnt: 0
; Occupancy: 16
; WaveLimiterHint : 0
; COMPUTE_PGM_RSRC2:SCRATCH_EN: 0
; COMPUTE_PGM_RSRC2:USER_SGPR: 2
; COMPUTE_PGM_RSRC2:TRAP_HANDLER: 0
; COMPUTE_PGM_RSRC2:TGID_X_EN: 1
; COMPUTE_PGM_RSRC2:TGID_Y_EN: 0
; COMPUTE_PGM_RSRC2:TGID_Z_EN: 0
; COMPUTE_PGM_RSRC2:TIDIG_COMP_CNT: 0
	.section	.text._ZN7rocprim17ROCPRIM_400000_NS6detail17trampoline_kernelINS0_14default_configENS1_25partition_config_selectorILNS1_17partition_subalgoE9EllbEEZZNS1_14partition_implILS5_9ELb0ES3_jPlS8_PNS0_10empty_typeENS0_5tupleIJS8_S9_EEENSB_IJS8_SA_EEENS0_18inequality_wrapperIZN2at6native12_GLOBAL__N_124unique_dim_cuda_templateIbEESt5tupleIJNSF_6TensorESK_SK_EERKSK_lbbbEUlllE0_EEPmJS9_EEE10hipError_tPvRmT3_T4_T5_T6_T7_T9_mT8_P12ihipStream_tbDpT10_ENKUlT_T0_E_clISt17integral_constantIbLb1EES1A_EEDaS15_S16_EUlS15_E_NS1_11comp_targetILNS1_3genE2ELNS1_11target_archE906ELNS1_3gpuE6ELNS1_3repE0EEENS1_30default_config_static_selectorELNS0_4arch9wavefront6targetE0EEEvT1_,"axG",@progbits,_ZN7rocprim17ROCPRIM_400000_NS6detail17trampoline_kernelINS0_14default_configENS1_25partition_config_selectorILNS1_17partition_subalgoE9EllbEEZZNS1_14partition_implILS5_9ELb0ES3_jPlS8_PNS0_10empty_typeENS0_5tupleIJS8_S9_EEENSB_IJS8_SA_EEENS0_18inequality_wrapperIZN2at6native12_GLOBAL__N_124unique_dim_cuda_templateIbEESt5tupleIJNSF_6TensorESK_SK_EERKSK_lbbbEUlllE0_EEPmJS9_EEE10hipError_tPvRmT3_T4_T5_T6_T7_T9_mT8_P12ihipStream_tbDpT10_ENKUlT_T0_E_clISt17integral_constantIbLb1EES1A_EEDaS15_S16_EUlS15_E_NS1_11comp_targetILNS1_3genE2ELNS1_11target_archE906ELNS1_3gpuE6ELNS1_3repE0EEENS1_30default_config_static_selectorELNS0_4arch9wavefront6targetE0EEEvT1_,comdat
	.globl	_ZN7rocprim17ROCPRIM_400000_NS6detail17trampoline_kernelINS0_14default_configENS1_25partition_config_selectorILNS1_17partition_subalgoE9EllbEEZZNS1_14partition_implILS5_9ELb0ES3_jPlS8_PNS0_10empty_typeENS0_5tupleIJS8_S9_EEENSB_IJS8_SA_EEENS0_18inequality_wrapperIZN2at6native12_GLOBAL__N_124unique_dim_cuda_templateIbEESt5tupleIJNSF_6TensorESK_SK_EERKSK_lbbbEUlllE0_EEPmJS9_EEE10hipError_tPvRmT3_T4_T5_T6_T7_T9_mT8_P12ihipStream_tbDpT10_ENKUlT_T0_E_clISt17integral_constantIbLb1EES1A_EEDaS15_S16_EUlS15_E_NS1_11comp_targetILNS1_3genE2ELNS1_11target_archE906ELNS1_3gpuE6ELNS1_3repE0EEENS1_30default_config_static_selectorELNS0_4arch9wavefront6targetE0EEEvT1_ ; -- Begin function _ZN7rocprim17ROCPRIM_400000_NS6detail17trampoline_kernelINS0_14default_configENS1_25partition_config_selectorILNS1_17partition_subalgoE9EllbEEZZNS1_14partition_implILS5_9ELb0ES3_jPlS8_PNS0_10empty_typeENS0_5tupleIJS8_S9_EEENSB_IJS8_SA_EEENS0_18inequality_wrapperIZN2at6native12_GLOBAL__N_124unique_dim_cuda_templateIbEESt5tupleIJNSF_6TensorESK_SK_EERKSK_lbbbEUlllE0_EEPmJS9_EEE10hipError_tPvRmT3_T4_T5_T6_T7_T9_mT8_P12ihipStream_tbDpT10_ENKUlT_T0_E_clISt17integral_constantIbLb1EES1A_EEDaS15_S16_EUlS15_E_NS1_11comp_targetILNS1_3genE2ELNS1_11target_archE906ELNS1_3gpuE6ELNS1_3repE0EEENS1_30default_config_static_selectorELNS0_4arch9wavefront6targetE0EEEvT1_
	.p2align	8
	.type	_ZN7rocprim17ROCPRIM_400000_NS6detail17trampoline_kernelINS0_14default_configENS1_25partition_config_selectorILNS1_17partition_subalgoE9EllbEEZZNS1_14partition_implILS5_9ELb0ES3_jPlS8_PNS0_10empty_typeENS0_5tupleIJS8_S9_EEENSB_IJS8_SA_EEENS0_18inequality_wrapperIZN2at6native12_GLOBAL__N_124unique_dim_cuda_templateIbEESt5tupleIJNSF_6TensorESK_SK_EERKSK_lbbbEUlllE0_EEPmJS9_EEE10hipError_tPvRmT3_T4_T5_T6_T7_T9_mT8_P12ihipStream_tbDpT10_ENKUlT_T0_E_clISt17integral_constantIbLb1EES1A_EEDaS15_S16_EUlS15_E_NS1_11comp_targetILNS1_3genE2ELNS1_11target_archE906ELNS1_3gpuE6ELNS1_3repE0EEENS1_30default_config_static_selectorELNS0_4arch9wavefront6targetE0EEEvT1_,@function
_ZN7rocprim17ROCPRIM_400000_NS6detail17trampoline_kernelINS0_14default_configENS1_25partition_config_selectorILNS1_17partition_subalgoE9EllbEEZZNS1_14partition_implILS5_9ELb0ES3_jPlS8_PNS0_10empty_typeENS0_5tupleIJS8_S9_EEENSB_IJS8_SA_EEENS0_18inequality_wrapperIZN2at6native12_GLOBAL__N_124unique_dim_cuda_templateIbEESt5tupleIJNSF_6TensorESK_SK_EERKSK_lbbbEUlllE0_EEPmJS9_EEE10hipError_tPvRmT3_T4_T5_T6_T7_T9_mT8_P12ihipStream_tbDpT10_ENKUlT_T0_E_clISt17integral_constantIbLb1EES1A_EEDaS15_S16_EUlS15_E_NS1_11comp_targetILNS1_3genE2ELNS1_11target_archE906ELNS1_3gpuE6ELNS1_3repE0EEENS1_30default_config_static_selectorELNS0_4arch9wavefront6targetE0EEEvT1_: ; @_ZN7rocprim17ROCPRIM_400000_NS6detail17trampoline_kernelINS0_14default_configENS1_25partition_config_selectorILNS1_17partition_subalgoE9EllbEEZZNS1_14partition_implILS5_9ELb0ES3_jPlS8_PNS0_10empty_typeENS0_5tupleIJS8_S9_EEENSB_IJS8_SA_EEENS0_18inequality_wrapperIZN2at6native12_GLOBAL__N_124unique_dim_cuda_templateIbEESt5tupleIJNSF_6TensorESK_SK_EERKSK_lbbbEUlllE0_EEPmJS9_EEE10hipError_tPvRmT3_T4_T5_T6_T7_T9_mT8_P12ihipStream_tbDpT10_ENKUlT_T0_E_clISt17integral_constantIbLb1EES1A_EEDaS15_S16_EUlS15_E_NS1_11comp_targetILNS1_3genE2ELNS1_11target_archE906ELNS1_3gpuE6ELNS1_3repE0EEENS1_30default_config_static_selectorELNS0_4arch9wavefront6targetE0EEEvT1_
; %bb.0:
	.section	.rodata,"a",@progbits
	.p2align	6, 0x0
	.amdhsa_kernel _ZN7rocprim17ROCPRIM_400000_NS6detail17trampoline_kernelINS0_14default_configENS1_25partition_config_selectorILNS1_17partition_subalgoE9EllbEEZZNS1_14partition_implILS5_9ELb0ES3_jPlS8_PNS0_10empty_typeENS0_5tupleIJS8_S9_EEENSB_IJS8_SA_EEENS0_18inequality_wrapperIZN2at6native12_GLOBAL__N_124unique_dim_cuda_templateIbEESt5tupleIJNSF_6TensorESK_SK_EERKSK_lbbbEUlllE0_EEPmJS9_EEE10hipError_tPvRmT3_T4_T5_T6_T7_T9_mT8_P12ihipStream_tbDpT10_ENKUlT_T0_E_clISt17integral_constantIbLb1EES1A_EEDaS15_S16_EUlS15_E_NS1_11comp_targetILNS1_3genE2ELNS1_11target_archE906ELNS1_3gpuE6ELNS1_3repE0EEENS1_30default_config_static_selectorELNS0_4arch9wavefront6targetE0EEEvT1_
		.amdhsa_group_segment_fixed_size 0
		.amdhsa_private_segment_fixed_size 0
		.amdhsa_kernarg_size 136
		.amdhsa_user_sgpr_count 2
		.amdhsa_user_sgpr_dispatch_ptr 0
		.amdhsa_user_sgpr_queue_ptr 0
		.amdhsa_user_sgpr_kernarg_segment_ptr 1
		.amdhsa_user_sgpr_dispatch_id 0
		.amdhsa_user_sgpr_kernarg_preload_length 0
		.amdhsa_user_sgpr_kernarg_preload_offset 0
		.amdhsa_user_sgpr_private_segment_size 0
		.amdhsa_wavefront_size32 1
		.amdhsa_uses_dynamic_stack 0
		.amdhsa_enable_private_segment 0
		.amdhsa_system_sgpr_workgroup_id_x 1
		.amdhsa_system_sgpr_workgroup_id_y 0
		.amdhsa_system_sgpr_workgroup_id_z 0
		.amdhsa_system_sgpr_workgroup_info 0
		.amdhsa_system_vgpr_workitem_id 0
		.amdhsa_next_free_vgpr 1
		.amdhsa_next_free_sgpr 1
		.amdhsa_named_barrier_count 0
		.amdhsa_reserve_vcc 0
		.amdhsa_float_round_mode_32 0
		.amdhsa_float_round_mode_16_64 0
		.amdhsa_float_denorm_mode_32 3
		.amdhsa_float_denorm_mode_16_64 3
		.amdhsa_fp16_overflow 0
		.amdhsa_memory_ordered 1
		.amdhsa_forward_progress 1
		.amdhsa_inst_pref_size 0
		.amdhsa_round_robin_scheduling 0
		.amdhsa_exception_fp_ieee_invalid_op 0
		.amdhsa_exception_fp_denorm_src 0
		.amdhsa_exception_fp_ieee_div_zero 0
		.amdhsa_exception_fp_ieee_overflow 0
		.amdhsa_exception_fp_ieee_underflow 0
		.amdhsa_exception_fp_ieee_inexact 0
		.amdhsa_exception_int_div_zero 0
	.end_amdhsa_kernel
	.section	.text._ZN7rocprim17ROCPRIM_400000_NS6detail17trampoline_kernelINS0_14default_configENS1_25partition_config_selectorILNS1_17partition_subalgoE9EllbEEZZNS1_14partition_implILS5_9ELb0ES3_jPlS8_PNS0_10empty_typeENS0_5tupleIJS8_S9_EEENSB_IJS8_SA_EEENS0_18inequality_wrapperIZN2at6native12_GLOBAL__N_124unique_dim_cuda_templateIbEESt5tupleIJNSF_6TensorESK_SK_EERKSK_lbbbEUlllE0_EEPmJS9_EEE10hipError_tPvRmT3_T4_T5_T6_T7_T9_mT8_P12ihipStream_tbDpT10_ENKUlT_T0_E_clISt17integral_constantIbLb1EES1A_EEDaS15_S16_EUlS15_E_NS1_11comp_targetILNS1_3genE2ELNS1_11target_archE906ELNS1_3gpuE6ELNS1_3repE0EEENS1_30default_config_static_selectorELNS0_4arch9wavefront6targetE0EEEvT1_,"axG",@progbits,_ZN7rocprim17ROCPRIM_400000_NS6detail17trampoline_kernelINS0_14default_configENS1_25partition_config_selectorILNS1_17partition_subalgoE9EllbEEZZNS1_14partition_implILS5_9ELb0ES3_jPlS8_PNS0_10empty_typeENS0_5tupleIJS8_S9_EEENSB_IJS8_SA_EEENS0_18inequality_wrapperIZN2at6native12_GLOBAL__N_124unique_dim_cuda_templateIbEESt5tupleIJNSF_6TensorESK_SK_EERKSK_lbbbEUlllE0_EEPmJS9_EEE10hipError_tPvRmT3_T4_T5_T6_T7_T9_mT8_P12ihipStream_tbDpT10_ENKUlT_T0_E_clISt17integral_constantIbLb1EES1A_EEDaS15_S16_EUlS15_E_NS1_11comp_targetILNS1_3genE2ELNS1_11target_archE906ELNS1_3gpuE6ELNS1_3repE0EEENS1_30default_config_static_selectorELNS0_4arch9wavefront6targetE0EEEvT1_,comdat
.Lfunc_end1095:
	.size	_ZN7rocprim17ROCPRIM_400000_NS6detail17trampoline_kernelINS0_14default_configENS1_25partition_config_selectorILNS1_17partition_subalgoE9EllbEEZZNS1_14partition_implILS5_9ELb0ES3_jPlS8_PNS0_10empty_typeENS0_5tupleIJS8_S9_EEENSB_IJS8_SA_EEENS0_18inequality_wrapperIZN2at6native12_GLOBAL__N_124unique_dim_cuda_templateIbEESt5tupleIJNSF_6TensorESK_SK_EERKSK_lbbbEUlllE0_EEPmJS9_EEE10hipError_tPvRmT3_T4_T5_T6_T7_T9_mT8_P12ihipStream_tbDpT10_ENKUlT_T0_E_clISt17integral_constantIbLb1EES1A_EEDaS15_S16_EUlS15_E_NS1_11comp_targetILNS1_3genE2ELNS1_11target_archE906ELNS1_3gpuE6ELNS1_3repE0EEENS1_30default_config_static_selectorELNS0_4arch9wavefront6targetE0EEEvT1_, .Lfunc_end1095-_ZN7rocprim17ROCPRIM_400000_NS6detail17trampoline_kernelINS0_14default_configENS1_25partition_config_selectorILNS1_17partition_subalgoE9EllbEEZZNS1_14partition_implILS5_9ELb0ES3_jPlS8_PNS0_10empty_typeENS0_5tupleIJS8_S9_EEENSB_IJS8_SA_EEENS0_18inequality_wrapperIZN2at6native12_GLOBAL__N_124unique_dim_cuda_templateIbEESt5tupleIJNSF_6TensorESK_SK_EERKSK_lbbbEUlllE0_EEPmJS9_EEE10hipError_tPvRmT3_T4_T5_T6_T7_T9_mT8_P12ihipStream_tbDpT10_ENKUlT_T0_E_clISt17integral_constantIbLb1EES1A_EEDaS15_S16_EUlS15_E_NS1_11comp_targetILNS1_3genE2ELNS1_11target_archE906ELNS1_3gpuE6ELNS1_3repE0EEENS1_30default_config_static_selectorELNS0_4arch9wavefront6targetE0EEEvT1_
                                        ; -- End function
	.set _ZN7rocprim17ROCPRIM_400000_NS6detail17trampoline_kernelINS0_14default_configENS1_25partition_config_selectorILNS1_17partition_subalgoE9EllbEEZZNS1_14partition_implILS5_9ELb0ES3_jPlS8_PNS0_10empty_typeENS0_5tupleIJS8_S9_EEENSB_IJS8_SA_EEENS0_18inequality_wrapperIZN2at6native12_GLOBAL__N_124unique_dim_cuda_templateIbEESt5tupleIJNSF_6TensorESK_SK_EERKSK_lbbbEUlllE0_EEPmJS9_EEE10hipError_tPvRmT3_T4_T5_T6_T7_T9_mT8_P12ihipStream_tbDpT10_ENKUlT_T0_E_clISt17integral_constantIbLb1EES1A_EEDaS15_S16_EUlS15_E_NS1_11comp_targetILNS1_3genE2ELNS1_11target_archE906ELNS1_3gpuE6ELNS1_3repE0EEENS1_30default_config_static_selectorELNS0_4arch9wavefront6targetE0EEEvT1_.num_vgpr, 0
	.set _ZN7rocprim17ROCPRIM_400000_NS6detail17trampoline_kernelINS0_14default_configENS1_25partition_config_selectorILNS1_17partition_subalgoE9EllbEEZZNS1_14partition_implILS5_9ELb0ES3_jPlS8_PNS0_10empty_typeENS0_5tupleIJS8_S9_EEENSB_IJS8_SA_EEENS0_18inequality_wrapperIZN2at6native12_GLOBAL__N_124unique_dim_cuda_templateIbEESt5tupleIJNSF_6TensorESK_SK_EERKSK_lbbbEUlllE0_EEPmJS9_EEE10hipError_tPvRmT3_T4_T5_T6_T7_T9_mT8_P12ihipStream_tbDpT10_ENKUlT_T0_E_clISt17integral_constantIbLb1EES1A_EEDaS15_S16_EUlS15_E_NS1_11comp_targetILNS1_3genE2ELNS1_11target_archE906ELNS1_3gpuE6ELNS1_3repE0EEENS1_30default_config_static_selectorELNS0_4arch9wavefront6targetE0EEEvT1_.num_agpr, 0
	.set _ZN7rocprim17ROCPRIM_400000_NS6detail17trampoline_kernelINS0_14default_configENS1_25partition_config_selectorILNS1_17partition_subalgoE9EllbEEZZNS1_14partition_implILS5_9ELb0ES3_jPlS8_PNS0_10empty_typeENS0_5tupleIJS8_S9_EEENSB_IJS8_SA_EEENS0_18inequality_wrapperIZN2at6native12_GLOBAL__N_124unique_dim_cuda_templateIbEESt5tupleIJNSF_6TensorESK_SK_EERKSK_lbbbEUlllE0_EEPmJS9_EEE10hipError_tPvRmT3_T4_T5_T6_T7_T9_mT8_P12ihipStream_tbDpT10_ENKUlT_T0_E_clISt17integral_constantIbLb1EES1A_EEDaS15_S16_EUlS15_E_NS1_11comp_targetILNS1_3genE2ELNS1_11target_archE906ELNS1_3gpuE6ELNS1_3repE0EEENS1_30default_config_static_selectorELNS0_4arch9wavefront6targetE0EEEvT1_.numbered_sgpr, 0
	.set _ZN7rocprim17ROCPRIM_400000_NS6detail17trampoline_kernelINS0_14default_configENS1_25partition_config_selectorILNS1_17partition_subalgoE9EllbEEZZNS1_14partition_implILS5_9ELb0ES3_jPlS8_PNS0_10empty_typeENS0_5tupleIJS8_S9_EEENSB_IJS8_SA_EEENS0_18inequality_wrapperIZN2at6native12_GLOBAL__N_124unique_dim_cuda_templateIbEESt5tupleIJNSF_6TensorESK_SK_EERKSK_lbbbEUlllE0_EEPmJS9_EEE10hipError_tPvRmT3_T4_T5_T6_T7_T9_mT8_P12ihipStream_tbDpT10_ENKUlT_T0_E_clISt17integral_constantIbLb1EES1A_EEDaS15_S16_EUlS15_E_NS1_11comp_targetILNS1_3genE2ELNS1_11target_archE906ELNS1_3gpuE6ELNS1_3repE0EEENS1_30default_config_static_selectorELNS0_4arch9wavefront6targetE0EEEvT1_.num_named_barrier, 0
	.set _ZN7rocprim17ROCPRIM_400000_NS6detail17trampoline_kernelINS0_14default_configENS1_25partition_config_selectorILNS1_17partition_subalgoE9EllbEEZZNS1_14partition_implILS5_9ELb0ES3_jPlS8_PNS0_10empty_typeENS0_5tupleIJS8_S9_EEENSB_IJS8_SA_EEENS0_18inequality_wrapperIZN2at6native12_GLOBAL__N_124unique_dim_cuda_templateIbEESt5tupleIJNSF_6TensorESK_SK_EERKSK_lbbbEUlllE0_EEPmJS9_EEE10hipError_tPvRmT3_T4_T5_T6_T7_T9_mT8_P12ihipStream_tbDpT10_ENKUlT_T0_E_clISt17integral_constantIbLb1EES1A_EEDaS15_S16_EUlS15_E_NS1_11comp_targetILNS1_3genE2ELNS1_11target_archE906ELNS1_3gpuE6ELNS1_3repE0EEENS1_30default_config_static_selectorELNS0_4arch9wavefront6targetE0EEEvT1_.private_seg_size, 0
	.set _ZN7rocprim17ROCPRIM_400000_NS6detail17trampoline_kernelINS0_14default_configENS1_25partition_config_selectorILNS1_17partition_subalgoE9EllbEEZZNS1_14partition_implILS5_9ELb0ES3_jPlS8_PNS0_10empty_typeENS0_5tupleIJS8_S9_EEENSB_IJS8_SA_EEENS0_18inequality_wrapperIZN2at6native12_GLOBAL__N_124unique_dim_cuda_templateIbEESt5tupleIJNSF_6TensorESK_SK_EERKSK_lbbbEUlllE0_EEPmJS9_EEE10hipError_tPvRmT3_T4_T5_T6_T7_T9_mT8_P12ihipStream_tbDpT10_ENKUlT_T0_E_clISt17integral_constantIbLb1EES1A_EEDaS15_S16_EUlS15_E_NS1_11comp_targetILNS1_3genE2ELNS1_11target_archE906ELNS1_3gpuE6ELNS1_3repE0EEENS1_30default_config_static_selectorELNS0_4arch9wavefront6targetE0EEEvT1_.uses_vcc, 0
	.set _ZN7rocprim17ROCPRIM_400000_NS6detail17trampoline_kernelINS0_14default_configENS1_25partition_config_selectorILNS1_17partition_subalgoE9EllbEEZZNS1_14partition_implILS5_9ELb0ES3_jPlS8_PNS0_10empty_typeENS0_5tupleIJS8_S9_EEENSB_IJS8_SA_EEENS0_18inequality_wrapperIZN2at6native12_GLOBAL__N_124unique_dim_cuda_templateIbEESt5tupleIJNSF_6TensorESK_SK_EERKSK_lbbbEUlllE0_EEPmJS9_EEE10hipError_tPvRmT3_T4_T5_T6_T7_T9_mT8_P12ihipStream_tbDpT10_ENKUlT_T0_E_clISt17integral_constantIbLb1EES1A_EEDaS15_S16_EUlS15_E_NS1_11comp_targetILNS1_3genE2ELNS1_11target_archE906ELNS1_3gpuE6ELNS1_3repE0EEENS1_30default_config_static_selectorELNS0_4arch9wavefront6targetE0EEEvT1_.uses_flat_scratch, 0
	.set _ZN7rocprim17ROCPRIM_400000_NS6detail17trampoline_kernelINS0_14default_configENS1_25partition_config_selectorILNS1_17partition_subalgoE9EllbEEZZNS1_14partition_implILS5_9ELb0ES3_jPlS8_PNS0_10empty_typeENS0_5tupleIJS8_S9_EEENSB_IJS8_SA_EEENS0_18inequality_wrapperIZN2at6native12_GLOBAL__N_124unique_dim_cuda_templateIbEESt5tupleIJNSF_6TensorESK_SK_EERKSK_lbbbEUlllE0_EEPmJS9_EEE10hipError_tPvRmT3_T4_T5_T6_T7_T9_mT8_P12ihipStream_tbDpT10_ENKUlT_T0_E_clISt17integral_constantIbLb1EES1A_EEDaS15_S16_EUlS15_E_NS1_11comp_targetILNS1_3genE2ELNS1_11target_archE906ELNS1_3gpuE6ELNS1_3repE0EEENS1_30default_config_static_selectorELNS0_4arch9wavefront6targetE0EEEvT1_.has_dyn_sized_stack, 0
	.set _ZN7rocprim17ROCPRIM_400000_NS6detail17trampoline_kernelINS0_14default_configENS1_25partition_config_selectorILNS1_17partition_subalgoE9EllbEEZZNS1_14partition_implILS5_9ELb0ES3_jPlS8_PNS0_10empty_typeENS0_5tupleIJS8_S9_EEENSB_IJS8_SA_EEENS0_18inequality_wrapperIZN2at6native12_GLOBAL__N_124unique_dim_cuda_templateIbEESt5tupleIJNSF_6TensorESK_SK_EERKSK_lbbbEUlllE0_EEPmJS9_EEE10hipError_tPvRmT3_T4_T5_T6_T7_T9_mT8_P12ihipStream_tbDpT10_ENKUlT_T0_E_clISt17integral_constantIbLb1EES1A_EEDaS15_S16_EUlS15_E_NS1_11comp_targetILNS1_3genE2ELNS1_11target_archE906ELNS1_3gpuE6ELNS1_3repE0EEENS1_30default_config_static_selectorELNS0_4arch9wavefront6targetE0EEEvT1_.has_recursion, 0
	.set _ZN7rocprim17ROCPRIM_400000_NS6detail17trampoline_kernelINS0_14default_configENS1_25partition_config_selectorILNS1_17partition_subalgoE9EllbEEZZNS1_14partition_implILS5_9ELb0ES3_jPlS8_PNS0_10empty_typeENS0_5tupleIJS8_S9_EEENSB_IJS8_SA_EEENS0_18inequality_wrapperIZN2at6native12_GLOBAL__N_124unique_dim_cuda_templateIbEESt5tupleIJNSF_6TensorESK_SK_EERKSK_lbbbEUlllE0_EEPmJS9_EEE10hipError_tPvRmT3_T4_T5_T6_T7_T9_mT8_P12ihipStream_tbDpT10_ENKUlT_T0_E_clISt17integral_constantIbLb1EES1A_EEDaS15_S16_EUlS15_E_NS1_11comp_targetILNS1_3genE2ELNS1_11target_archE906ELNS1_3gpuE6ELNS1_3repE0EEENS1_30default_config_static_selectorELNS0_4arch9wavefront6targetE0EEEvT1_.has_indirect_call, 0
	.section	.AMDGPU.csdata,"",@progbits
; Kernel info:
; codeLenInByte = 0
; TotalNumSgprs: 0
; NumVgprs: 0
; ScratchSize: 0
; MemoryBound: 0
; FloatMode: 240
; IeeeMode: 1
; LDSByteSize: 0 bytes/workgroup (compile time only)
; SGPRBlocks: 0
; VGPRBlocks: 0
; NumSGPRsForWavesPerEU: 1
; NumVGPRsForWavesPerEU: 1
; NamedBarCnt: 0
; Occupancy: 16
; WaveLimiterHint : 0
; COMPUTE_PGM_RSRC2:SCRATCH_EN: 0
; COMPUTE_PGM_RSRC2:USER_SGPR: 2
; COMPUTE_PGM_RSRC2:TRAP_HANDLER: 0
; COMPUTE_PGM_RSRC2:TGID_X_EN: 1
; COMPUTE_PGM_RSRC2:TGID_Y_EN: 0
; COMPUTE_PGM_RSRC2:TGID_Z_EN: 0
; COMPUTE_PGM_RSRC2:TIDIG_COMP_CNT: 0
	.section	.text._ZN7rocprim17ROCPRIM_400000_NS6detail17trampoline_kernelINS0_14default_configENS1_25partition_config_selectorILNS1_17partition_subalgoE9EllbEEZZNS1_14partition_implILS5_9ELb0ES3_jPlS8_PNS0_10empty_typeENS0_5tupleIJS8_S9_EEENSB_IJS8_SA_EEENS0_18inequality_wrapperIZN2at6native12_GLOBAL__N_124unique_dim_cuda_templateIbEESt5tupleIJNSF_6TensorESK_SK_EERKSK_lbbbEUlllE0_EEPmJS9_EEE10hipError_tPvRmT3_T4_T5_T6_T7_T9_mT8_P12ihipStream_tbDpT10_ENKUlT_T0_E_clISt17integral_constantIbLb1EES1A_EEDaS15_S16_EUlS15_E_NS1_11comp_targetILNS1_3genE10ELNS1_11target_archE1200ELNS1_3gpuE4ELNS1_3repE0EEENS1_30default_config_static_selectorELNS0_4arch9wavefront6targetE0EEEvT1_,"axG",@progbits,_ZN7rocprim17ROCPRIM_400000_NS6detail17trampoline_kernelINS0_14default_configENS1_25partition_config_selectorILNS1_17partition_subalgoE9EllbEEZZNS1_14partition_implILS5_9ELb0ES3_jPlS8_PNS0_10empty_typeENS0_5tupleIJS8_S9_EEENSB_IJS8_SA_EEENS0_18inequality_wrapperIZN2at6native12_GLOBAL__N_124unique_dim_cuda_templateIbEESt5tupleIJNSF_6TensorESK_SK_EERKSK_lbbbEUlllE0_EEPmJS9_EEE10hipError_tPvRmT3_T4_T5_T6_T7_T9_mT8_P12ihipStream_tbDpT10_ENKUlT_T0_E_clISt17integral_constantIbLb1EES1A_EEDaS15_S16_EUlS15_E_NS1_11comp_targetILNS1_3genE10ELNS1_11target_archE1200ELNS1_3gpuE4ELNS1_3repE0EEENS1_30default_config_static_selectorELNS0_4arch9wavefront6targetE0EEEvT1_,comdat
	.globl	_ZN7rocprim17ROCPRIM_400000_NS6detail17trampoline_kernelINS0_14default_configENS1_25partition_config_selectorILNS1_17partition_subalgoE9EllbEEZZNS1_14partition_implILS5_9ELb0ES3_jPlS8_PNS0_10empty_typeENS0_5tupleIJS8_S9_EEENSB_IJS8_SA_EEENS0_18inequality_wrapperIZN2at6native12_GLOBAL__N_124unique_dim_cuda_templateIbEESt5tupleIJNSF_6TensorESK_SK_EERKSK_lbbbEUlllE0_EEPmJS9_EEE10hipError_tPvRmT3_T4_T5_T6_T7_T9_mT8_P12ihipStream_tbDpT10_ENKUlT_T0_E_clISt17integral_constantIbLb1EES1A_EEDaS15_S16_EUlS15_E_NS1_11comp_targetILNS1_3genE10ELNS1_11target_archE1200ELNS1_3gpuE4ELNS1_3repE0EEENS1_30default_config_static_selectorELNS0_4arch9wavefront6targetE0EEEvT1_ ; -- Begin function _ZN7rocprim17ROCPRIM_400000_NS6detail17trampoline_kernelINS0_14default_configENS1_25partition_config_selectorILNS1_17partition_subalgoE9EllbEEZZNS1_14partition_implILS5_9ELb0ES3_jPlS8_PNS0_10empty_typeENS0_5tupleIJS8_S9_EEENSB_IJS8_SA_EEENS0_18inequality_wrapperIZN2at6native12_GLOBAL__N_124unique_dim_cuda_templateIbEESt5tupleIJNSF_6TensorESK_SK_EERKSK_lbbbEUlllE0_EEPmJS9_EEE10hipError_tPvRmT3_T4_T5_T6_T7_T9_mT8_P12ihipStream_tbDpT10_ENKUlT_T0_E_clISt17integral_constantIbLb1EES1A_EEDaS15_S16_EUlS15_E_NS1_11comp_targetILNS1_3genE10ELNS1_11target_archE1200ELNS1_3gpuE4ELNS1_3repE0EEENS1_30default_config_static_selectorELNS0_4arch9wavefront6targetE0EEEvT1_
	.p2align	8
	.type	_ZN7rocprim17ROCPRIM_400000_NS6detail17trampoline_kernelINS0_14default_configENS1_25partition_config_selectorILNS1_17partition_subalgoE9EllbEEZZNS1_14partition_implILS5_9ELb0ES3_jPlS8_PNS0_10empty_typeENS0_5tupleIJS8_S9_EEENSB_IJS8_SA_EEENS0_18inequality_wrapperIZN2at6native12_GLOBAL__N_124unique_dim_cuda_templateIbEESt5tupleIJNSF_6TensorESK_SK_EERKSK_lbbbEUlllE0_EEPmJS9_EEE10hipError_tPvRmT3_T4_T5_T6_T7_T9_mT8_P12ihipStream_tbDpT10_ENKUlT_T0_E_clISt17integral_constantIbLb1EES1A_EEDaS15_S16_EUlS15_E_NS1_11comp_targetILNS1_3genE10ELNS1_11target_archE1200ELNS1_3gpuE4ELNS1_3repE0EEENS1_30default_config_static_selectorELNS0_4arch9wavefront6targetE0EEEvT1_,@function
_ZN7rocprim17ROCPRIM_400000_NS6detail17trampoline_kernelINS0_14default_configENS1_25partition_config_selectorILNS1_17partition_subalgoE9EllbEEZZNS1_14partition_implILS5_9ELb0ES3_jPlS8_PNS0_10empty_typeENS0_5tupleIJS8_S9_EEENSB_IJS8_SA_EEENS0_18inequality_wrapperIZN2at6native12_GLOBAL__N_124unique_dim_cuda_templateIbEESt5tupleIJNSF_6TensorESK_SK_EERKSK_lbbbEUlllE0_EEPmJS9_EEE10hipError_tPvRmT3_T4_T5_T6_T7_T9_mT8_P12ihipStream_tbDpT10_ENKUlT_T0_E_clISt17integral_constantIbLb1EES1A_EEDaS15_S16_EUlS15_E_NS1_11comp_targetILNS1_3genE10ELNS1_11target_archE1200ELNS1_3gpuE4ELNS1_3repE0EEENS1_30default_config_static_selectorELNS0_4arch9wavefront6targetE0EEEvT1_: ; @_ZN7rocprim17ROCPRIM_400000_NS6detail17trampoline_kernelINS0_14default_configENS1_25partition_config_selectorILNS1_17partition_subalgoE9EllbEEZZNS1_14partition_implILS5_9ELb0ES3_jPlS8_PNS0_10empty_typeENS0_5tupleIJS8_S9_EEENSB_IJS8_SA_EEENS0_18inequality_wrapperIZN2at6native12_GLOBAL__N_124unique_dim_cuda_templateIbEESt5tupleIJNSF_6TensorESK_SK_EERKSK_lbbbEUlllE0_EEPmJS9_EEE10hipError_tPvRmT3_T4_T5_T6_T7_T9_mT8_P12ihipStream_tbDpT10_ENKUlT_T0_E_clISt17integral_constantIbLb1EES1A_EEDaS15_S16_EUlS15_E_NS1_11comp_targetILNS1_3genE10ELNS1_11target_archE1200ELNS1_3gpuE4ELNS1_3repE0EEENS1_30default_config_static_selectorELNS0_4arch9wavefront6targetE0EEEvT1_
; %bb.0:
	.section	.rodata,"a",@progbits
	.p2align	6, 0x0
	.amdhsa_kernel _ZN7rocprim17ROCPRIM_400000_NS6detail17trampoline_kernelINS0_14default_configENS1_25partition_config_selectorILNS1_17partition_subalgoE9EllbEEZZNS1_14partition_implILS5_9ELb0ES3_jPlS8_PNS0_10empty_typeENS0_5tupleIJS8_S9_EEENSB_IJS8_SA_EEENS0_18inequality_wrapperIZN2at6native12_GLOBAL__N_124unique_dim_cuda_templateIbEESt5tupleIJNSF_6TensorESK_SK_EERKSK_lbbbEUlllE0_EEPmJS9_EEE10hipError_tPvRmT3_T4_T5_T6_T7_T9_mT8_P12ihipStream_tbDpT10_ENKUlT_T0_E_clISt17integral_constantIbLb1EES1A_EEDaS15_S16_EUlS15_E_NS1_11comp_targetILNS1_3genE10ELNS1_11target_archE1200ELNS1_3gpuE4ELNS1_3repE0EEENS1_30default_config_static_selectorELNS0_4arch9wavefront6targetE0EEEvT1_
		.amdhsa_group_segment_fixed_size 0
		.amdhsa_private_segment_fixed_size 0
		.amdhsa_kernarg_size 136
		.amdhsa_user_sgpr_count 2
		.amdhsa_user_sgpr_dispatch_ptr 0
		.amdhsa_user_sgpr_queue_ptr 0
		.amdhsa_user_sgpr_kernarg_segment_ptr 1
		.amdhsa_user_sgpr_dispatch_id 0
		.amdhsa_user_sgpr_kernarg_preload_length 0
		.amdhsa_user_sgpr_kernarg_preload_offset 0
		.amdhsa_user_sgpr_private_segment_size 0
		.amdhsa_wavefront_size32 1
		.amdhsa_uses_dynamic_stack 0
		.amdhsa_enable_private_segment 0
		.amdhsa_system_sgpr_workgroup_id_x 1
		.amdhsa_system_sgpr_workgroup_id_y 0
		.amdhsa_system_sgpr_workgroup_id_z 0
		.amdhsa_system_sgpr_workgroup_info 0
		.amdhsa_system_vgpr_workitem_id 0
		.amdhsa_next_free_vgpr 1
		.amdhsa_next_free_sgpr 1
		.amdhsa_named_barrier_count 0
		.amdhsa_reserve_vcc 0
		.amdhsa_float_round_mode_32 0
		.amdhsa_float_round_mode_16_64 0
		.amdhsa_float_denorm_mode_32 3
		.amdhsa_float_denorm_mode_16_64 3
		.amdhsa_fp16_overflow 0
		.amdhsa_memory_ordered 1
		.amdhsa_forward_progress 1
		.amdhsa_inst_pref_size 0
		.amdhsa_round_robin_scheduling 0
		.amdhsa_exception_fp_ieee_invalid_op 0
		.amdhsa_exception_fp_denorm_src 0
		.amdhsa_exception_fp_ieee_div_zero 0
		.amdhsa_exception_fp_ieee_overflow 0
		.amdhsa_exception_fp_ieee_underflow 0
		.amdhsa_exception_fp_ieee_inexact 0
		.amdhsa_exception_int_div_zero 0
	.end_amdhsa_kernel
	.section	.text._ZN7rocprim17ROCPRIM_400000_NS6detail17trampoline_kernelINS0_14default_configENS1_25partition_config_selectorILNS1_17partition_subalgoE9EllbEEZZNS1_14partition_implILS5_9ELb0ES3_jPlS8_PNS0_10empty_typeENS0_5tupleIJS8_S9_EEENSB_IJS8_SA_EEENS0_18inequality_wrapperIZN2at6native12_GLOBAL__N_124unique_dim_cuda_templateIbEESt5tupleIJNSF_6TensorESK_SK_EERKSK_lbbbEUlllE0_EEPmJS9_EEE10hipError_tPvRmT3_T4_T5_T6_T7_T9_mT8_P12ihipStream_tbDpT10_ENKUlT_T0_E_clISt17integral_constantIbLb1EES1A_EEDaS15_S16_EUlS15_E_NS1_11comp_targetILNS1_3genE10ELNS1_11target_archE1200ELNS1_3gpuE4ELNS1_3repE0EEENS1_30default_config_static_selectorELNS0_4arch9wavefront6targetE0EEEvT1_,"axG",@progbits,_ZN7rocprim17ROCPRIM_400000_NS6detail17trampoline_kernelINS0_14default_configENS1_25partition_config_selectorILNS1_17partition_subalgoE9EllbEEZZNS1_14partition_implILS5_9ELb0ES3_jPlS8_PNS0_10empty_typeENS0_5tupleIJS8_S9_EEENSB_IJS8_SA_EEENS0_18inequality_wrapperIZN2at6native12_GLOBAL__N_124unique_dim_cuda_templateIbEESt5tupleIJNSF_6TensorESK_SK_EERKSK_lbbbEUlllE0_EEPmJS9_EEE10hipError_tPvRmT3_T4_T5_T6_T7_T9_mT8_P12ihipStream_tbDpT10_ENKUlT_T0_E_clISt17integral_constantIbLb1EES1A_EEDaS15_S16_EUlS15_E_NS1_11comp_targetILNS1_3genE10ELNS1_11target_archE1200ELNS1_3gpuE4ELNS1_3repE0EEENS1_30default_config_static_selectorELNS0_4arch9wavefront6targetE0EEEvT1_,comdat
.Lfunc_end1096:
	.size	_ZN7rocprim17ROCPRIM_400000_NS6detail17trampoline_kernelINS0_14default_configENS1_25partition_config_selectorILNS1_17partition_subalgoE9EllbEEZZNS1_14partition_implILS5_9ELb0ES3_jPlS8_PNS0_10empty_typeENS0_5tupleIJS8_S9_EEENSB_IJS8_SA_EEENS0_18inequality_wrapperIZN2at6native12_GLOBAL__N_124unique_dim_cuda_templateIbEESt5tupleIJNSF_6TensorESK_SK_EERKSK_lbbbEUlllE0_EEPmJS9_EEE10hipError_tPvRmT3_T4_T5_T6_T7_T9_mT8_P12ihipStream_tbDpT10_ENKUlT_T0_E_clISt17integral_constantIbLb1EES1A_EEDaS15_S16_EUlS15_E_NS1_11comp_targetILNS1_3genE10ELNS1_11target_archE1200ELNS1_3gpuE4ELNS1_3repE0EEENS1_30default_config_static_selectorELNS0_4arch9wavefront6targetE0EEEvT1_, .Lfunc_end1096-_ZN7rocprim17ROCPRIM_400000_NS6detail17trampoline_kernelINS0_14default_configENS1_25partition_config_selectorILNS1_17partition_subalgoE9EllbEEZZNS1_14partition_implILS5_9ELb0ES3_jPlS8_PNS0_10empty_typeENS0_5tupleIJS8_S9_EEENSB_IJS8_SA_EEENS0_18inequality_wrapperIZN2at6native12_GLOBAL__N_124unique_dim_cuda_templateIbEESt5tupleIJNSF_6TensorESK_SK_EERKSK_lbbbEUlllE0_EEPmJS9_EEE10hipError_tPvRmT3_T4_T5_T6_T7_T9_mT8_P12ihipStream_tbDpT10_ENKUlT_T0_E_clISt17integral_constantIbLb1EES1A_EEDaS15_S16_EUlS15_E_NS1_11comp_targetILNS1_3genE10ELNS1_11target_archE1200ELNS1_3gpuE4ELNS1_3repE0EEENS1_30default_config_static_selectorELNS0_4arch9wavefront6targetE0EEEvT1_
                                        ; -- End function
	.set _ZN7rocprim17ROCPRIM_400000_NS6detail17trampoline_kernelINS0_14default_configENS1_25partition_config_selectorILNS1_17partition_subalgoE9EllbEEZZNS1_14partition_implILS5_9ELb0ES3_jPlS8_PNS0_10empty_typeENS0_5tupleIJS8_S9_EEENSB_IJS8_SA_EEENS0_18inequality_wrapperIZN2at6native12_GLOBAL__N_124unique_dim_cuda_templateIbEESt5tupleIJNSF_6TensorESK_SK_EERKSK_lbbbEUlllE0_EEPmJS9_EEE10hipError_tPvRmT3_T4_T5_T6_T7_T9_mT8_P12ihipStream_tbDpT10_ENKUlT_T0_E_clISt17integral_constantIbLb1EES1A_EEDaS15_S16_EUlS15_E_NS1_11comp_targetILNS1_3genE10ELNS1_11target_archE1200ELNS1_3gpuE4ELNS1_3repE0EEENS1_30default_config_static_selectorELNS0_4arch9wavefront6targetE0EEEvT1_.num_vgpr, 0
	.set _ZN7rocprim17ROCPRIM_400000_NS6detail17trampoline_kernelINS0_14default_configENS1_25partition_config_selectorILNS1_17partition_subalgoE9EllbEEZZNS1_14partition_implILS5_9ELb0ES3_jPlS8_PNS0_10empty_typeENS0_5tupleIJS8_S9_EEENSB_IJS8_SA_EEENS0_18inequality_wrapperIZN2at6native12_GLOBAL__N_124unique_dim_cuda_templateIbEESt5tupleIJNSF_6TensorESK_SK_EERKSK_lbbbEUlllE0_EEPmJS9_EEE10hipError_tPvRmT3_T4_T5_T6_T7_T9_mT8_P12ihipStream_tbDpT10_ENKUlT_T0_E_clISt17integral_constantIbLb1EES1A_EEDaS15_S16_EUlS15_E_NS1_11comp_targetILNS1_3genE10ELNS1_11target_archE1200ELNS1_3gpuE4ELNS1_3repE0EEENS1_30default_config_static_selectorELNS0_4arch9wavefront6targetE0EEEvT1_.num_agpr, 0
	.set _ZN7rocprim17ROCPRIM_400000_NS6detail17trampoline_kernelINS0_14default_configENS1_25partition_config_selectorILNS1_17partition_subalgoE9EllbEEZZNS1_14partition_implILS5_9ELb0ES3_jPlS8_PNS0_10empty_typeENS0_5tupleIJS8_S9_EEENSB_IJS8_SA_EEENS0_18inequality_wrapperIZN2at6native12_GLOBAL__N_124unique_dim_cuda_templateIbEESt5tupleIJNSF_6TensorESK_SK_EERKSK_lbbbEUlllE0_EEPmJS9_EEE10hipError_tPvRmT3_T4_T5_T6_T7_T9_mT8_P12ihipStream_tbDpT10_ENKUlT_T0_E_clISt17integral_constantIbLb1EES1A_EEDaS15_S16_EUlS15_E_NS1_11comp_targetILNS1_3genE10ELNS1_11target_archE1200ELNS1_3gpuE4ELNS1_3repE0EEENS1_30default_config_static_selectorELNS0_4arch9wavefront6targetE0EEEvT1_.numbered_sgpr, 0
	.set _ZN7rocprim17ROCPRIM_400000_NS6detail17trampoline_kernelINS0_14default_configENS1_25partition_config_selectorILNS1_17partition_subalgoE9EllbEEZZNS1_14partition_implILS5_9ELb0ES3_jPlS8_PNS0_10empty_typeENS0_5tupleIJS8_S9_EEENSB_IJS8_SA_EEENS0_18inequality_wrapperIZN2at6native12_GLOBAL__N_124unique_dim_cuda_templateIbEESt5tupleIJNSF_6TensorESK_SK_EERKSK_lbbbEUlllE0_EEPmJS9_EEE10hipError_tPvRmT3_T4_T5_T6_T7_T9_mT8_P12ihipStream_tbDpT10_ENKUlT_T0_E_clISt17integral_constantIbLb1EES1A_EEDaS15_S16_EUlS15_E_NS1_11comp_targetILNS1_3genE10ELNS1_11target_archE1200ELNS1_3gpuE4ELNS1_3repE0EEENS1_30default_config_static_selectorELNS0_4arch9wavefront6targetE0EEEvT1_.num_named_barrier, 0
	.set _ZN7rocprim17ROCPRIM_400000_NS6detail17trampoline_kernelINS0_14default_configENS1_25partition_config_selectorILNS1_17partition_subalgoE9EllbEEZZNS1_14partition_implILS5_9ELb0ES3_jPlS8_PNS0_10empty_typeENS0_5tupleIJS8_S9_EEENSB_IJS8_SA_EEENS0_18inequality_wrapperIZN2at6native12_GLOBAL__N_124unique_dim_cuda_templateIbEESt5tupleIJNSF_6TensorESK_SK_EERKSK_lbbbEUlllE0_EEPmJS9_EEE10hipError_tPvRmT3_T4_T5_T6_T7_T9_mT8_P12ihipStream_tbDpT10_ENKUlT_T0_E_clISt17integral_constantIbLb1EES1A_EEDaS15_S16_EUlS15_E_NS1_11comp_targetILNS1_3genE10ELNS1_11target_archE1200ELNS1_3gpuE4ELNS1_3repE0EEENS1_30default_config_static_selectorELNS0_4arch9wavefront6targetE0EEEvT1_.private_seg_size, 0
	.set _ZN7rocprim17ROCPRIM_400000_NS6detail17trampoline_kernelINS0_14default_configENS1_25partition_config_selectorILNS1_17partition_subalgoE9EllbEEZZNS1_14partition_implILS5_9ELb0ES3_jPlS8_PNS0_10empty_typeENS0_5tupleIJS8_S9_EEENSB_IJS8_SA_EEENS0_18inequality_wrapperIZN2at6native12_GLOBAL__N_124unique_dim_cuda_templateIbEESt5tupleIJNSF_6TensorESK_SK_EERKSK_lbbbEUlllE0_EEPmJS9_EEE10hipError_tPvRmT3_T4_T5_T6_T7_T9_mT8_P12ihipStream_tbDpT10_ENKUlT_T0_E_clISt17integral_constantIbLb1EES1A_EEDaS15_S16_EUlS15_E_NS1_11comp_targetILNS1_3genE10ELNS1_11target_archE1200ELNS1_3gpuE4ELNS1_3repE0EEENS1_30default_config_static_selectorELNS0_4arch9wavefront6targetE0EEEvT1_.uses_vcc, 0
	.set _ZN7rocprim17ROCPRIM_400000_NS6detail17trampoline_kernelINS0_14default_configENS1_25partition_config_selectorILNS1_17partition_subalgoE9EllbEEZZNS1_14partition_implILS5_9ELb0ES3_jPlS8_PNS0_10empty_typeENS0_5tupleIJS8_S9_EEENSB_IJS8_SA_EEENS0_18inequality_wrapperIZN2at6native12_GLOBAL__N_124unique_dim_cuda_templateIbEESt5tupleIJNSF_6TensorESK_SK_EERKSK_lbbbEUlllE0_EEPmJS9_EEE10hipError_tPvRmT3_T4_T5_T6_T7_T9_mT8_P12ihipStream_tbDpT10_ENKUlT_T0_E_clISt17integral_constantIbLb1EES1A_EEDaS15_S16_EUlS15_E_NS1_11comp_targetILNS1_3genE10ELNS1_11target_archE1200ELNS1_3gpuE4ELNS1_3repE0EEENS1_30default_config_static_selectorELNS0_4arch9wavefront6targetE0EEEvT1_.uses_flat_scratch, 0
	.set _ZN7rocprim17ROCPRIM_400000_NS6detail17trampoline_kernelINS0_14default_configENS1_25partition_config_selectorILNS1_17partition_subalgoE9EllbEEZZNS1_14partition_implILS5_9ELb0ES3_jPlS8_PNS0_10empty_typeENS0_5tupleIJS8_S9_EEENSB_IJS8_SA_EEENS0_18inequality_wrapperIZN2at6native12_GLOBAL__N_124unique_dim_cuda_templateIbEESt5tupleIJNSF_6TensorESK_SK_EERKSK_lbbbEUlllE0_EEPmJS9_EEE10hipError_tPvRmT3_T4_T5_T6_T7_T9_mT8_P12ihipStream_tbDpT10_ENKUlT_T0_E_clISt17integral_constantIbLb1EES1A_EEDaS15_S16_EUlS15_E_NS1_11comp_targetILNS1_3genE10ELNS1_11target_archE1200ELNS1_3gpuE4ELNS1_3repE0EEENS1_30default_config_static_selectorELNS0_4arch9wavefront6targetE0EEEvT1_.has_dyn_sized_stack, 0
	.set _ZN7rocprim17ROCPRIM_400000_NS6detail17trampoline_kernelINS0_14default_configENS1_25partition_config_selectorILNS1_17partition_subalgoE9EllbEEZZNS1_14partition_implILS5_9ELb0ES3_jPlS8_PNS0_10empty_typeENS0_5tupleIJS8_S9_EEENSB_IJS8_SA_EEENS0_18inequality_wrapperIZN2at6native12_GLOBAL__N_124unique_dim_cuda_templateIbEESt5tupleIJNSF_6TensorESK_SK_EERKSK_lbbbEUlllE0_EEPmJS9_EEE10hipError_tPvRmT3_T4_T5_T6_T7_T9_mT8_P12ihipStream_tbDpT10_ENKUlT_T0_E_clISt17integral_constantIbLb1EES1A_EEDaS15_S16_EUlS15_E_NS1_11comp_targetILNS1_3genE10ELNS1_11target_archE1200ELNS1_3gpuE4ELNS1_3repE0EEENS1_30default_config_static_selectorELNS0_4arch9wavefront6targetE0EEEvT1_.has_recursion, 0
	.set _ZN7rocprim17ROCPRIM_400000_NS6detail17trampoline_kernelINS0_14default_configENS1_25partition_config_selectorILNS1_17partition_subalgoE9EllbEEZZNS1_14partition_implILS5_9ELb0ES3_jPlS8_PNS0_10empty_typeENS0_5tupleIJS8_S9_EEENSB_IJS8_SA_EEENS0_18inequality_wrapperIZN2at6native12_GLOBAL__N_124unique_dim_cuda_templateIbEESt5tupleIJNSF_6TensorESK_SK_EERKSK_lbbbEUlllE0_EEPmJS9_EEE10hipError_tPvRmT3_T4_T5_T6_T7_T9_mT8_P12ihipStream_tbDpT10_ENKUlT_T0_E_clISt17integral_constantIbLb1EES1A_EEDaS15_S16_EUlS15_E_NS1_11comp_targetILNS1_3genE10ELNS1_11target_archE1200ELNS1_3gpuE4ELNS1_3repE0EEENS1_30default_config_static_selectorELNS0_4arch9wavefront6targetE0EEEvT1_.has_indirect_call, 0
	.section	.AMDGPU.csdata,"",@progbits
; Kernel info:
; codeLenInByte = 0
; TotalNumSgprs: 0
; NumVgprs: 0
; ScratchSize: 0
; MemoryBound: 0
; FloatMode: 240
; IeeeMode: 1
; LDSByteSize: 0 bytes/workgroup (compile time only)
; SGPRBlocks: 0
; VGPRBlocks: 0
; NumSGPRsForWavesPerEU: 1
; NumVGPRsForWavesPerEU: 1
; NamedBarCnt: 0
; Occupancy: 16
; WaveLimiterHint : 0
; COMPUTE_PGM_RSRC2:SCRATCH_EN: 0
; COMPUTE_PGM_RSRC2:USER_SGPR: 2
; COMPUTE_PGM_RSRC2:TRAP_HANDLER: 0
; COMPUTE_PGM_RSRC2:TGID_X_EN: 1
; COMPUTE_PGM_RSRC2:TGID_Y_EN: 0
; COMPUTE_PGM_RSRC2:TGID_Z_EN: 0
; COMPUTE_PGM_RSRC2:TIDIG_COMP_CNT: 0
	.section	.text._ZN7rocprim17ROCPRIM_400000_NS6detail17trampoline_kernelINS0_14default_configENS1_25partition_config_selectorILNS1_17partition_subalgoE9EllbEEZZNS1_14partition_implILS5_9ELb0ES3_jPlS8_PNS0_10empty_typeENS0_5tupleIJS8_S9_EEENSB_IJS8_SA_EEENS0_18inequality_wrapperIZN2at6native12_GLOBAL__N_124unique_dim_cuda_templateIbEESt5tupleIJNSF_6TensorESK_SK_EERKSK_lbbbEUlllE0_EEPmJS9_EEE10hipError_tPvRmT3_T4_T5_T6_T7_T9_mT8_P12ihipStream_tbDpT10_ENKUlT_T0_E_clISt17integral_constantIbLb1EES1A_EEDaS15_S16_EUlS15_E_NS1_11comp_targetILNS1_3genE9ELNS1_11target_archE1100ELNS1_3gpuE3ELNS1_3repE0EEENS1_30default_config_static_selectorELNS0_4arch9wavefront6targetE0EEEvT1_,"axG",@progbits,_ZN7rocprim17ROCPRIM_400000_NS6detail17trampoline_kernelINS0_14default_configENS1_25partition_config_selectorILNS1_17partition_subalgoE9EllbEEZZNS1_14partition_implILS5_9ELb0ES3_jPlS8_PNS0_10empty_typeENS0_5tupleIJS8_S9_EEENSB_IJS8_SA_EEENS0_18inequality_wrapperIZN2at6native12_GLOBAL__N_124unique_dim_cuda_templateIbEESt5tupleIJNSF_6TensorESK_SK_EERKSK_lbbbEUlllE0_EEPmJS9_EEE10hipError_tPvRmT3_T4_T5_T6_T7_T9_mT8_P12ihipStream_tbDpT10_ENKUlT_T0_E_clISt17integral_constantIbLb1EES1A_EEDaS15_S16_EUlS15_E_NS1_11comp_targetILNS1_3genE9ELNS1_11target_archE1100ELNS1_3gpuE3ELNS1_3repE0EEENS1_30default_config_static_selectorELNS0_4arch9wavefront6targetE0EEEvT1_,comdat
	.globl	_ZN7rocprim17ROCPRIM_400000_NS6detail17trampoline_kernelINS0_14default_configENS1_25partition_config_selectorILNS1_17partition_subalgoE9EllbEEZZNS1_14partition_implILS5_9ELb0ES3_jPlS8_PNS0_10empty_typeENS0_5tupleIJS8_S9_EEENSB_IJS8_SA_EEENS0_18inequality_wrapperIZN2at6native12_GLOBAL__N_124unique_dim_cuda_templateIbEESt5tupleIJNSF_6TensorESK_SK_EERKSK_lbbbEUlllE0_EEPmJS9_EEE10hipError_tPvRmT3_T4_T5_T6_T7_T9_mT8_P12ihipStream_tbDpT10_ENKUlT_T0_E_clISt17integral_constantIbLb1EES1A_EEDaS15_S16_EUlS15_E_NS1_11comp_targetILNS1_3genE9ELNS1_11target_archE1100ELNS1_3gpuE3ELNS1_3repE0EEENS1_30default_config_static_selectorELNS0_4arch9wavefront6targetE0EEEvT1_ ; -- Begin function _ZN7rocprim17ROCPRIM_400000_NS6detail17trampoline_kernelINS0_14default_configENS1_25partition_config_selectorILNS1_17partition_subalgoE9EllbEEZZNS1_14partition_implILS5_9ELb0ES3_jPlS8_PNS0_10empty_typeENS0_5tupleIJS8_S9_EEENSB_IJS8_SA_EEENS0_18inequality_wrapperIZN2at6native12_GLOBAL__N_124unique_dim_cuda_templateIbEESt5tupleIJNSF_6TensorESK_SK_EERKSK_lbbbEUlllE0_EEPmJS9_EEE10hipError_tPvRmT3_T4_T5_T6_T7_T9_mT8_P12ihipStream_tbDpT10_ENKUlT_T0_E_clISt17integral_constantIbLb1EES1A_EEDaS15_S16_EUlS15_E_NS1_11comp_targetILNS1_3genE9ELNS1_11target_archE1100ELNS1_3gpuE3ELNS1_3repE0EEENS1_30default_config_static_selectorELNS0_4arch9wavefront6targetE0EEEvT1_
	.p2align	8
	.type	_ZN7rocprim17ROCPRIM_400000_NS6detail17trampoline_kernelINS0_14default_configENS1_25partition_config_selectorILNS1_17partition_subalgoE9EllbEEZZNS1_14partition_implILS5_9ELb0ES3_jPlS8_PNS0_10empty_typeENS0_5tupleIJS8_S9_EEENSB_IJS8_SA_EEENS0_18inequality_wrapperIZN2at6native12_GLOBAL__N_124unique_dim_cuda_templateIbEESt5tupleIJNSF_6TensorESK_SK_EERKSK_lbbbEUlllE0_EEPmJS9_EEE10hipError_tPvRmT3_T4_T5_T6_T7_T9_mT8_P12ihipStream_tbDpT10_ENKUlT_T0_E_clISt17integral_constantIbLb1EES1A_EEDaS15_S16_EUlS15_E_NS1_11comp_targetILNS1_3genE9ELNS1_11target_archE1100ELNS1_3gpuE3ELNS1_3repE0EEENS1_30default_config_static_selectorELNS0_4arch9wavefront6targetE0EEEvT1_,@function
_ZN7rocprim17ROCPRIM_400000_NS6detail17trampoline_kernelINS0_14default_configENS1_25partition_config_selectorILNS1_17partition_subalgoE9EllbEEZZNS1_14partition_implILS5_9ELb0ES3_jPlS8_PNS0_10empty_typeENS0_5tupleIJS8_S9_EEENSB_IJS8_SA_EEENS0_18inequality_wrapperIZN2at6native12_GLOBAL__N_124unique_dim_cuda_templateIbEESt5tupleIJNSF_6TensorESK_SK_EERKSK_lbbbEUlllE0_EEPmJS9_EEE10hipError_tPvRmT3_T4_T5_T6_T7_T9_mT8_P12ihipStream_tbDpT10_ENKUlT_T0_E_clISt17integral_constantIbLb1EES1A_EEDaS15_S16_EUlS15_E_NS1_11comp_targetILNS1_3genE9ELNS1_11target_archE1100ELNS1_3gpuE3ELNS1_3repE0EEENS1_30default_config_static_selectorELNS0_4arch9wavefront6targetE0EEEvT1_: ; @_ZN7rocprim17ROCPRIM_400000_NS6detail17trampoline_kernelINS0_14default_configENS1_25partition_config_selectorILNS1_17partition_subalgoE9EllbEEZZNS1_14partition_implILS5_9ELb0ES3_jPlS8_PNS0_10empty_typeENS0_5tupleIJS8_S9_EEENSB_IJS8_SA_EEENS0_18inequality_wrapperIZN2at6native12_GLOBAL__N_124unique_dim_cuda_templateIbEESt5tupleIJNSF_6TensorESK_SK_EERKSK_lbbbEUlllE0_EEPmJS9_EEE10hipError_tPvRmT3_T4_T5_T6_T7_T9_mT8_P12ihipStream_tbDpT10_ENKUlT_T0_E_clISt17integral_constantIbLb1EES1A_EEDaS15_S16_EUlS15_E_NS1_11comp_targetILNS1_3genE9ELNS1_11target_archE1100ELNS1_3gpuE3ELNS1_3repE0EEENS1_30default_config_static_selectorELNS0_4arch9wavefront6targetE0EEEvT1_
; %bb.0:
	.section	.rodata,"a",@progbits
	.p2align	6, 0x0
	.amdhsa_kernel _ZN7rocprim17ROCPRIM_400000_NS6detail17trampoline_kernelINS0_14default_configENS1_25partition_config_selectorILNS1_17partition_subalgoE9EllbEEZZNS1_14partition_implILS5_9ELb0ES3_jPlS8_PNS0_10empty_typeENS0_5tupleIJS8_S9_EEENSB_IJS8_SA_EEENS0_18inequality_wrapperIZN2at6native12_GLOBAL__N_124unique_dim_cuda_templateIbEESt5tupleIJNSF_6TensorESK_SK_EERKSK_lbbbEUlllE0_EEPmJS9_EEE10hipError_tPvRmT3_T4_T5_T6_T7_T9_mT8_P12ihipStream_tbDpT10_ENKUlT_T0_E_clISt17integral_constantIbLb1EES1A_EEDaS15_S16_EUlS15_E_NS1_11comp_targetILNS1_3genE9ELNS1_11target_archE1100ELNS1_3gpuE3ELNS1_3repE0EEENS1_30default_config_static_selectorELNS0_4arch9wavefront6targetE0EEEvT1_
		.amdhsa_group_segment_fixed_size 0
		.amdhsa_private_segment_fixed_size 0
		.amdhsa_kernarg_size 136
		.amdhsa_user_sgpr_count 2
		.amdhsa_user_sgpr_dispatch_ptr 0
		.amdhsa_user_sgpr_queue_ptr 0
		.amdhsa_user_sgpr_kernarg_segment_ptr 1
		.amdhsa_user_sgpr_dispatch_id 0
		.amdhsa_user_sgpr_kernarg_preload_length 0
		.amdhsa_user_sgpr_kernarg_preload_offset 0
		.amdhsa_user_sgpr_private_segment_size 0
		.amdhsa_wavefront_size32 1
		.amdhsa_uses_dynamic_stack 0
		.amdhsa_enable_private_segment 0
		.amdhsa_system_sgpr_workgroup_id_x 1
		.amdhsa_system_sgpr_workgroup_id_y 0
		.amdhsa_system_sgpr_workgroup_id_z 0
		.amdhsa_system_sgpr_workgroup_info 0
		.amdhsa_system_vgpr_workitem_id 0
		.amdhsa_next_free_vgpr 1
		.amdhsa_next_free_sgpr 1
		.amdhsa_named_barrier_count 0
		.amdhsa_reserve_vcc 0
		.amdhsa_float_round_mode_32 0
		.amdhsa_float_round_mode_16_64 0
		.amdhsa_float_denorm_mode_32 3
		.amdhsa_float_denorm_mode_16_64 3
		.amdhsa_fp16_overflow 0
		.amdhsa_memory_ordered 1
		.amdhsa_forward_progress 1
		.amdhsa_inst_pref_size 0
		.amdhsa_round_robin_scheduling 0
		.amdhsa_exception_fp_ieee_invalid_op 0
		.amdhsa_exception_fp_denorm_src 0
		.amdhsa_exception_fp_ieee_div_zero 0
		.amdhsa_exception_fp_ieee_overflow 0
		.amdhsa_exception_fp_ieee_underflow 0
		.amdhsa_exception_fp_ieee_inexact 0
		.amdhsa_exception_int_div_zero 0
	.end_amdhsa_kernel
	.section	.text._ZN7rocprim17ROCPRIM_400000_NS6detail17trampoline_kernelINS0_14default_configENS1_25partition_config_selectorILNS1_17partition_subalgoE9EllbEEZZNS1_14partition_implILS5_9ELb0ES3_jPlS8_PNS0_10empty_typeENS0_5tupleIJS8_S9_EEENSB_IJS8_SA_EEENS0_18inequality_wrapperIZN2at6native12_GLOBAL__N_124unique_dim_cuda_templateIbEESt5tupleIJNSF_6TensorESK_SK_EERKSK_lbbbEUlllE0_EEPmJS9_EEE10hipError_tPvRmT3_T4_T5_T6_T7_T9_mT8_P12ihipStream_tbDpT10_ENKUlT_T0_E_clISt17integral_constantIbLb1EES1A_EEDaS15_S16_EUlS15_E_NS1_11comp_targetILNS1_3genE9ELNS1_11target_archE1100ELNS1_3gpuE3ELNS1_3repE0EEENS1_30default_config_static_selectorELNS0_4arch9wavefront6targetE0EEEvT1_,"axG",@progbits,_ZN7rocprim17ROCPRIM_400000_NS6detail17trampoline_kernelINS0_14default_configENS1_25partition_config_selectorILNS1_17partition_subalgoE9EllbEEZZNS1_14partition_implILS5_9ELb0ES3_jPlS8_PNS0_10empty_typeENS0_5tupleIJS8_S9_EEENSB_IJS8_SA_EEENS0_18inequality_wrapperIZN2at6native12_GLOBAL__N_124unique_dim_cuda_templateIbEESt5tupleIJNSF_6TensorESK_SK_EERKSK_lbbbEUlllE0_EEPmJS9_EEE10hipError_tPvRmT3_T4_T5_T6_T7_T9_mT8_P12ihipStream_tbDpT10_ENKUlT_T0_E_clISt17integral_constantIbLb1EES1A_EEDaS15_S16_EUlS15_E_NS1_11comp_targetILNS1_3genE9ELNS1_11target_archE1100ELNS1_3gpuE3ELNS1_3repE0EEENS1_30default_config_static_selectorELNS0_4arch9wavefront6targetE0EEEvT1_,comdat
.Lfunc_end1097:
	.size	_ZN7rocprim17ROCPRIM_400000_NS6detail17trampoline_kernelINS0_14default_configENS1_25partition_config_selectorILNS1_17partition_subalgoE9EllbEEZZNS1_14partition_implILS5_9ELb0ES3_jPlS8_PNS0_10empty_typeENS0_5tupleIJS8_S9_EEENSB_IJS8_SA_EEENS0_18inequality_wrapperIZN2at6native12_GLOBAL__N_124unique_dim_cuda_templateIbEESt5tupleIJNSF_6TensorESK_SK_EERKSK_lbbbEUlllE0_EEPmJS9_EEE10hipError_tPvRmT3_T4_T5_T6_T7_T9_mT8_P12ihipStream_tbDpT10_ENKUlT_T0_E_clISt17integral_constantIbLb1EES1A_EEDaS15_S16_EUlS15_E_NS1_11comp_targetILNS1_3genE9ELNS1_11target_archE1100ELNS1_3gpuE3ELNS1_3repE0EEENS1_30default_config_static_selectorELNS0_4arch9wavefront6targetE0EEEvT1_, .Lfunc_end1097-_ZN7rocprim17ROCPRIM_400000_NS6detail17trampoline_kernelINS0_14default_configENS1_25partition_config_selectorILNS1_17partition_subalgoE9EllbEEZZNS1_14partition_implILS5_9ELb0ES3_jPlS8_PNS0_10empty_typeENS0_5tupleIJS8_S9_EEENSB_IJS8_SA_EEENS0_18inequality_wrapperIZN2at6native12_GLOBAL__N_124unique_dim_cuda_templateIbEESt5tupleIJNSF_6TensorESK_SK_EERKSK_lbbbEUlllE0_EEPmJS9_EEE10hipError_tPvRmT3_T4_T5_T6_T7_T9_mT8_P12ihipStream_tbDpT10_ENKUlT_T0_E_clISt17integral_constantIbLb1EES1A_EEDaS15_S16_EUlS15_E_NS1_11comp_targetILNS1_3genE9ELNS1_11target_archE1100ELNS1_3gpuE3ELNS1_3repE0EEENS1_30default_config_static_selectorELNS0_4arch9wavefront6targetE0EEEvT1_
                                        ; -- End function
	.set _ZN7rocprim17ROCPRIM_400000_NS6detail17trampoline_kernelINS0_14default_configENS1_25partition_config_selectorILNS1_17partition_subalgoE9EllbEEZZNS1_14partition_implILS5_9ELb0ES3_jPlS8_PNS0_10empty_typeENS0_5tupleIJS8_S9_EEENSB_IJS8_SA_EEENS0_18inequality_wrapperIZN2at6native12_GLOBAL__N_124unique_dim_cuda_templateIbEESt5tupleIJNSF_6TensorESK_SK_EERKSK_lbbbEUlllE0_EEPmJS9_EEE10hipError_tPvRmT3_T4_T5_T6_T7_T9_mT8_P12ihipStream_tbDpT10_ENKUlT_T0_E_clISt17integral_constantIbLb1EES1A_EEDaS15_S16_EUlS15_E_NS1_11comp_targetILNS1_3genE9ELNS1_11target_archE1100ELNS1_3gpuE3ELNS1_3repE0EEENS1_30default_config_static_selectorELNS0_4arch9wavefront6targetE0EEEvT1_.num_vgpr, 0
	.set _ZN7rocprim17ROCPRIM_400000_NS6detail17trampoline_kernelINS0_14default_configENS1_25partition_config_selectorILNS1_17partition_subalgoE9EllbEEZZNS1_14partition_implILS5_9ELb0ES3_jPlS8_PNS0_10empty_typeENS0_5tupleIJS8_S9_EEENSB_IJS8_SA_EEENS0_18inequality_wrapperIZN2at6native12_GLOBAL__N_124unique_dim_cuda_templateIbEESt5tupleIJNSF_6TensorESK_SK_EERKSK_lbbbEUlllE0_EEPmJS9_EEE10hipError_tPvRmT3_T4_T5_T6_T7_T9_mT8_P12ihipStream_tbDpT10_ENKUlT_T0_E_clISt17integral_constantIbLb1EES1A_EEDaS15_S16_EUlS15_E_NS1_11comp_targetILNS1_3genE9ELNS1_11target_archE1100ELNS1_3gpuE3ELNS1_3repE0EEENS1_30default_config_static_selectorELNS0_4arch9wavefront6targetE0EEEvT1_.num_agpr, 0
	.set _ZN7rocprim17ROCPRIM_400000_NS6detail17trampoline_kernelINS0_14default_configENS1_25partition_config_selectorILNS1_17partition_subalgoE9EllbEEZZNS1_14partition_implILS5_9ELb0ES3_jPlS8_PNS0_10empty_typeENS0_5tupleIJS8_S9_EEENSB_IJS8_SA_EEENS0_18inequality_wrapperIZN2at6native12_GLOBAL__N_124unique_dim_cuda_templateIbEESt5tupleIJNSF_6TensorESK_SK_EERKSK_lbbbEUlllE0_EEPmJS9_EEE10hipError_tPvRmT3_T4_T5_T6_T7_T9_mT8_P12ihipStream_tbDpT10_ENKUlT_T0_E_clISt17integral_constantIbLb1EES1A_EEDaS15_S16_EUlS15_E_NS1_11comp_targetILNS1_3genE9ELNS1_11target_archE1100ELNS1_3gpuE3ELNS1_3repE0EEENS1_30default_config_static_selectorELNS0_4arch9wavefront6targetE0EEEvT1_.numbered_sgpr, 0
	.set _ZN7rocprim17ROCPRIM_400000_NS6detail17trampoline_kernelINS0_14default_configENS1_25partition_config_selectorILNS1_17partition_subalgoE9EllbEEZZNS1_14partition_implILS5_9ELb0ES3_jPlS8_PNS0_10empty_typeENS0_5tupleIJS8_S9_EEENSB_IJS8_SA_EEENS0_18inequality_wrapperIZN2at6native12_GLOBAL__N_124unique_dim_cuda_templateIbEESt5tupleIJNSF_6TensorESK_SK_EERKSK_lbbbEUlllE0_EEPmJS9_EEE10hipError_tPvRmT3_T4_T5_T6_T7_T9_mT8_P12ihipStream_tbDpT10_ENKUlT_T0_E_clISt17integral_constantIbLb1EES1A_EEDaS15_S16_EUlS15_E_NS1_11comp_targetILNS1_3genE9ELNS1_11target_archE1100ELNS1_3gpuE3ELNS1_3repE0EEENS1_30default_config_static_selectorELNS0_4arch9wavefront6targetE0EEEvT1_.num_named_barrier, 0
	.set _ZN7rocprim17ROCPRIM_400000_NS6detail17trampoline_kernelINS0_14default_configENS1_25partition_config_selectorILNS1_17partition_subalgoE9EllbEEZZNS1_14partition_implILS5_9ELb0ES3_jPlS8_PNS0_10empty_typeENS0_5tupleIJS8_S9_EEENSB_IJS8_SA_EEENS0_18inequality_wrapperIZN2at6native12_GLOBAL__N_124unique_dim_cuda_templateIbEESt5tupleIJNSF_6TensorESK_SK_EERKSK_lbbbEUlllE0_EEPmJS9_EEE10hipError_tPvRmT3_T4_T5_T6_T7_T9_mT8_P12ihipStream_tbDpT10_ENKUlT_T0_E_clISt17integral_constantIbLb1EES1A_EEDaS15_S16_EUlS15_E_NS1_11comp_targetILNS1_3genE9ELNS1_11target_archE1100ELNS1_3gpuE3ELNS1_3repE0EEENS1_30default_config_static_selectorELNS0_4arch9wavefront6targetE0EEEvT1_.private_seg_size, 0
	.set _ZN7rocprim17ROCPRIM_400000_NS6detail17trampoline_kernelINS0_14default_configENS1_25partition_config_selectorILNS1_17partition_subalgoE9EllbEEZZNS1_14partition_implILS5_9ELb0ES3_jPlS8_PNS0_10empty_typeENS0_5tupleIJS8_S9_EEENSB_IJS8_SA_EEENS0_18inequality_wrapperIZN2at6native12_GLOBAL__N_124unique_dim_cuda_templateIbEESt5tupleIJNSF_6TensorESK_SK_EERKSK_lbbbEUlllE0_EEPmJS9_EEE10hipError_tPvRmT3_T4_T5_T6_T7_T9_mT8_P12ihipStream_tbDpT10_ENKUlT_T0_E_clISt17integral_constantIbLb1EES1A_EEDaS15_S16_EUlS15_E_NS1_11comp_targetILNS1_3genE9ELNS1_11target_archE1100ELNS1_3gpuE3ELNS1_3repE0EEENS1_30default_config_static_selectorELNS0_4arch9wavefront6targetE0EEEvT1_.uses_vcc, 0
	.set _ZN7rocprim17ROCPRIM_400000_NS6detail17trampoline_kernelINS0_14default_configENS1_25partition_config_selectorILNS1_17partition_subalgoE9EllbEEZZNS1_14partition_implILS5_9ELb0ES3_jPlS8_PNS0_10empty_typeENS0_5tupleIJS8_S9_EEENSB_IJS8_SA_EEENS0_18inequality_wrapperIZN2at6native12_GLOBAL__N_124unique_dim_cuda_templateIbEESt5tupleIJNSF_6TensorESK_SK_EERKSK_lbbbEUlllE0_EEPmJS9_EEE10hipError_tPvRmT3_T4_T5_T6_T7_T9_mT8_P12ihipStream_tbDpT10_ENKUlT_T0_E_clISt17integral_constantIbLb1EES1A_EEDaS15_S16_EUlS15_E_NS1_11comp_targetILNS1_3genE9ELNS1_11target_archE1100ELNS1_3gpuE3ELNS1_3repE0EEENS1_30default_config_static_selectorELNS0_4arch9wavefront6targetE0EEEvT1_.uses_flat_scratch, 0
	.set _ZN7rocprim17ROCPRIM_400000_NS6detail17trampoline_kernelINS0_14default_configENS1_25partition_config_selectorILNS1_17partition_subalgoE9EllbEEZZNS1_14partition_implILS5_9ELb0ES3_jPlS8_PNS0_10empty_typeENS0_5tupleIJS8_S9_EEENSB_IJS8_SA_EEENS0_18inequality_wrapperIZN2at6native12_GLOBAL__N_124unique_dim_cuda_templateIbEESt5tupleIJNSF_6TensorESK_SK_EERKSK_lbbbEUlllE0_EEPmJS9_EEE10hipError_tPvRmT3_T4_T5_T6_T7_T9_mT8_P12ihipStream_tbDpT10_ENKUlT_T0_E_clISt17integral_constantIbLb1EES1A_EEDaS15_S16_EUlS15_E_NS1_11comp_targetILNS1_3genE9ELNS1_11target_archE1100ELNS1_3gpuE3ELNS1_3repE0EEENS1_30default_config_static_selectorELNS0_4arch9wavefront6targetE0EEEvT1_.has_dyn_sized_stack, 0
	.set _ZN7rocprim17ROCPRIM_400000_NS6detail17trampoline_kernelINS0_14default_configENS1_25partition_config_selectorILNS1_17partition_subalgoE9EllbEEZZNS1_14partition_implILS5_9ELb0ES3_jPlS8_PNS0_10empty_typeENS0_5tupleIJS8_S9_EEENSB_IJS8_SA_EEENS0_18inequality_wrapperIZN2at6native12_GLOBAL__N_124unique_dim_cuda_templateIbEESt5tupleIJNSF_6TensorESK_SK_EERKSK_lbbbEUlllE0_EEPmJS9_EEE10hipError_tPvRmT3_T4_T5_T6_T7_T9_mT8_P12ihipStream_tbDpT10_ENKUlT_T0_E_clISt17integral_constantIbLb1EES1A_EEDaS15_S16_EUlS15_E_NS1_11comp_targetILNS1_3genE9ELNS1_11target_archE1100ELNS1_3gpuE3ELNS1_3repE0EEENS1_30default_config_static_selectorELNS0_4arch9wavefront6targetE0EEEvT1_.has_recursion, 0
	.set _ZN7rocprim17ROCPRIM_400000_NS6detail17trampoline_kernelINS0_14default_configENS1_25partition_config_selectorILNS1_17partition_subalgoE9EllbEEZZNS1_14partition_implILS5_9ELb0ES3_jPlS8_PNS0_10empty_typeENS0_5tupleIJS8_S9_EEENSB_IJS8_SA_EEENS0_18inequality_wrapperIZN2at6native12_GLOBAL__N_124unique_dim_cuda_templateIbEESt5tupleIJNSF_6TensorESK_SK_EERKSK_lbbbEUlllE0_EEPmJS9_EEE10hipError_tPvRmT3_T4_T5_T6_T7_T9_mT8_P12ihipStream_tbDpT10_ENKUlT_T0_E_clISt17integral_constantIbLb1EES1A_EEDaS15_S16_EUlS15_E_NS1_11comp_targetILNS1_3genE9ELNS1_11target_archE1100ELNS1_3gpuE3ELNS1_3repE0EEENS1_30default_config_static_selectorELNS0_4arch9wavefront6targetE0EEEvT1_.has_indirect_call, 0
	.section	.AMDGPU.csdata,"",@progbits
; Kernel info:
; codeLenInByte = 0
; TotalNumSgprs: 0
; NumVgprs: 0
; ScratchSize: 0
; MemoryBound: 0
; FloatMode: 240
; IeeeMode: 1
; LDSByteSize: 0 bytes/workgroup (compile time only)
; SGPRBlocks: 0
; VGPRBlocks: 0
; NumSGPRsForWavesPerEU: 1
; NumVGPRsForWavesPerEU: 1
; NamedBarCnt: 0
; Occupancy: 16
; WaveLimiterHint : 0
; COMPUTE_PGM_RSRC2:SCRATCH_EN: 0
; COMPUTE_PGM_RSRC2:USER_SGPR: 2
; COMPUTE_PGM_RSRC2:TRAP_HANDLER: 0
; COMPUTE_PGM_RSRC2:TGID_X_EN: 1
; COMPUTE_PGM_RSRC2:TGID_Y_EN: 0
; COMPUTE_PGM_RSRC2:TGID_Z_EN: 0
; COMPUTE_PGM_RSRC2:TIDIG_COMP_CNT: 0
	.section	.text._ZN7rocprim17ROCPRIM_400000_NS6detail17trampoline_kernelINS0_14default_configENS1_25partition_config_selectorILNS1_17partition_subalgoE9EllbEEZZNS1_14partition_implILS5_9ELb0ES3_jPlS8_PNS0_10empty_typeENS0_5tupleIJS8_S9_EEENSB_IJS8_SA_EEENS0_18inequality_wrapperIZN2at6native12_GLOBAL__N_124unique_dim_cuda_templateIbEESt5tupleIJNSF_6TensorESK_SK_EERKSK_lbbbEUlllE0_EEPmJS9_EEE10hipError_tPvRmT3_T4_T5_T6_T7_T9_mT8_P12ihipStream_tbDpT10_ENKUlT_T0_E_clISt17integral_constantIbLb1EES1A_EEDaS15_S16_EUlS15_E_NS1_11comp_targetILNS1_3genE8ELNS1_11target_archE1030ELNS1_3gpuE2ELNS1_3repE0EEENS1_30default_config_static_selectorELNS0_4arch9wavefront6targetE0EEEvT1_,"axG",@progbits,_ZN7rocprim17ROCPRIM_400000_NS6detail17trampoline_kernelINS0_14default_configENS1_25partition_config_selectorILNS1_17partition_subalgoE9EllbEEZZNS1_14partition_implILS5_9ELb0ES3_jPlS8_PNS0_10empty_typeENS0_5tupleIJS8_S9_EEENSB_IJS8_SA_EEENS0_18inequality_wrapperIZN2at6native12_GLOBAL__N_124unique_dim_cuda_templateIbEESt5tupleIJNSF_6TensorESK_SK_EERKSK_lbbbEUlllE0_EEPmJS9_EEE10hipError_tPvRmT3_T4_T5_T6_T7_T9_mT8_P12ihipStream_tbDpT10_ENKUlT_T0_E_clISt17integral_constantIbLb1EES1A_EEDaS15_S16_EUlS15_E_NS1_11comp_targetILNS1_3genE8ELNS1_11target_archE1030ELNS1_3gpuE2ELNS1_3repE0EEENS1_30default_config_static_selectorELNS0_4arch9wavefront6targetE0EEEvT1_,comdat
	.globl	_ZN7rocprim17ROCPRIM_400000_NS6detail17trampoline_kernelINS0_14default_configENS1_25partition_config_selectorILNS1_17partition_subalgoE9EllbEEZZNS1_14partition_implILS5_9ELb0ES3_jPlS8_PNS0_10empty_typeENS0_5tupleIJS8_S9_EEENSB_IJS8_SA_EEENS0_18inequality_wrapperIZN2at6native12_GLOBAL__N_124unique_dim_cuda_templateIbEESt5tupleIJNSF_6TensorESK_SK_EERKSK_lbbbEUlllE0_EEPmJS9_EEE10hipError_tPvRmT3_T4_T5_T6_T7_T9_mT8_P12ihipStream_tbDpT10_ENKUlT_T0_E_clISt17integral_constantIbLb1EES1A_EEDaS15_S16_EUlS15_E_NS1_11comp_targetILNS1_3genE8ELNS1_11target_archE1030ELNS1_3gpuE2ELNS1_3repE0EEENS1_30default_config_static_selectorELNS0_4arch9wavefront6targetE0EEEvT1_ ; -- Begin function _ZN7rocprim17ROCPRIM_400000_NS6detail17trampoline_kernelINS0_14default_configENS1_25partition_config_selectorILNS1_17partition_subalgoE9EllbEEZZNS1_14partition_implILS5_9ELb0ES3_jPlS8_PNS0_10empty_typeENS0_5tupleIJS8_S9_EEENSB_IJS8_SA_EEENS0_18inequality_wrapperIZN2at6native12_GLOBAL__N_124unique_dim_cuda_templateIbEESt5tupleIJNSF_6TensorESK_SK_EERKSK_lbbbEUlllE0_EEPmJS9_EEE10hipError_tPvRmT3_T4_T5_T6_T7_T9_mT8_P12ihipStream_tbDpT10_ENKUlT_T0_E_clISt17integral_constantIbLb1EES1A_EEDaS15_S16_EUlS15_E_NS1_11comp_targetILNS1_3genE8ELNS1_11target_archE1030ELNS1_3gpuE2ELNS1_3repE0EEENS1_30default_config_static_selectorELNS0_4arch9wavefront6targetE0EEEvT1_
	.p2align	8
	.type	_ZN7rocprim17ROCPRIM_400000_NS6detail17trampoline_kernelINS0_14default_configENS1_25partition_config_selectorILNS1_17partition_subalgoE9EllbEEZZNS1_14partition_implILS5_9ELb0ES3_jPlS8_PNS0_10empty_typeENS0_5tupleIJS8_S9_EEENSB_IJS8_SA_EEENS0_18inequality_wrapperIZN2at6native12_GLOBAL__N_124unique_dim_cuda_templateIbEESt5tupleIJNSF_6TensorESK_SK_EERKSK_lbbbEUlllE0_EEPmJS9_EEE10hipError_tPvRmT3_T4_T5_T6_T7_T9_mT8_P12ihipStream_tbDpT10_ENKUlT_T0_E_clISt17integral_constantIbLb1EES1A_EEDaS15_S16_EUlS15_E_NS1_11comp_targetILNS1_3genE8ELNS1_11target_archE1030ELNS1_3gpuE2ELNS1_3repE0EEENS1_30default_config_static_selectorELNS0_4arch9wavefront6targetE0EEEvT1_,@function
_ZN7rocprim17ROCPRIM_400000_NS6detail17trampoline_kernelINS0_14default_configENS1_25partition_config_selectorILNS1_17partition_subalgoE9EllbEEZZNS1_14partition_implILS5_9ELb0ES3_jPlS8_PNS0_10empty_typeENS0_5tupleIJS8_S9_EEENSB_IJS8_SA_EEENS0_18inequality_wrapperIZN2at6native12_GLOBAL__N_124unique_dim_cuda_templateIbEESt5tupleIJNSF_6TensorESK_SK_EERKSK_lbbbEUlllE0_EEPmJS9_EEE10hipError_tPvRmT3_T4_T5_T6_T7_T9_mT8_P12ihipStream_tbDpT10_ENKUlT_T0_E_clISt17integral_constantIbLb1EES1A_EEDaS15_S16_EUlS15_E_NS1_11comp_targetILNS1_3genE8ELNS1_11target_archE1030ELNS1_3gpuE2ELNS1_3repE0EEENS1_30default_config_static_selectorELNS0_4arch9wavefront6targetE0EEEvT1_: ; @_ZN7rocprim17ROCPRIM_400000_NS6detail17trampoline_kernelINS0_14default_configENS1_25partition_config_selectorILNS1_17partition_subalgoE9EllbEEZZNS1_14partition_implILS5_9ELb0ES3_jPlS8_PNS0_10empty_typeENS0_5tupleIJS8_S9_EEENSB_IJS8_SA_EEENS0_18inequality_wrapperIZN2at6native12_GLOBAL__N_124unique_dim_cuda_templateIbEESt5tupleIJNSF_6TensorESK_SK_EERKSK_lbbbEUlllE0_EEPmJS9_EEE10hipError_tPvRmT3_T4_T5_T6_T7_T9_mT8_P12ihipStream_tbDpT10_ENKUlT_T0_E_clISt17integral_constantIbLb1EES1A_EEDaS15_S16_EUlS15_E_NS1_11comp_targetILNS1_3genE8ELNS1_11target_archE1030ELNS1_3gpuE2ELNS1_3repE0EEENS1_30default_config_static_selectorELNS0_4arch9wavefront6targetE0EEEvT1_
; %bb.0:
	.section	.rodata,"a",@progbits
	.p2align	6, 0x0
	.amdhsa_kernel _ZN7rocprim17ROCPRIM_400000_NS6detail17trampoline_kernelINS0_14default_configENS1_25partition_config_selectorILNS1_17partition_subalgoE9EllbEEZZNS1_14partition_implILS5_9ELb0ES3_jPlS8_PNS0_10empty_typeENS0_5tupleIJS8_S9_EEENSB_IJS8_SA_EEENS0_18inequality_wrapperIZN2at6native12_GLOBAL__N_124unique_dim_cuda_templateIbEESt5tupleIJNSF_6TensorESK_SK_EERKSK_lbbbEUlllE0_EEPmJS9_EEE10hipError_tPvRmT3_T4_T5_T6_T7_T9_mT8_P12ihipStream_tbDpT10_ENKUlT_T0_E_clISt17integral_constantIbLb1EES1A_EEDaS15_S16_EUlS15_E_NS1_11comp_targetILNS1_3genE8ELNS1_11target_archE1030ELNS1_3gpuE2ELNS1_3repE0EEENS1_30default_config_static_selectorELNS0_4arch9wavefront6targetE0EEEvT1_
		.amdhsa_group_segment_fixed_size 0
		.amdhsa_private_segment_fixed_size 0
		.amdhsa_kernarg_size 136
		.amdhsa_user_sgpr_count 2
		.amdhsa_user_sgpr_dispatch_ptr 0
		.amdhsa_user_sgpr_queue_ptr 0
		.amdhsa_user_sgpr_kernarg_segment_ptr 1
		.amdhsa_user_sgpr_dispatch_id 0
		.amdhsa_user_sgpr_kernarg_preload_length 0
		.amdhsa_user_sgpr_kernarg_preload_offset 0
		.amdhsa_user_sgpr_private_segment_size 0
		.amdhsa_wavefront_size32 1
		.amdhsa_uses_dynamic_stack 0
		.amdhsa_enable_private_segment 0
		.amdhsa_system_sgpr_workgroup_id_x 1
		.amdhsa_system_sgpr_workgroup_id_y 0
		.amdhsa_system_sgpr_workgroup_id_z 0
		.amdhsa_system_sgpr_workgroup_info 0
		.amdhsa_system_vgpr_workitem_id 0
		.amdhsa_next_free_vgpr 1
		.amdhsa_next_free_sgpr 1
		.amdhsa_named_barrier_count 0
		.amdhsa_reserve_vcc 0
		.amdhsa_float_round_mode_32 0
		.amdhsa_float_round_mode_16_64 0
		.amdhsa_float_denorm_mode_32 3
		.amdhsa_float_denorm_mode_16_64 3
		.amdhsa_fp16_overflow 0
		.amdhsa_memory_ordered 1
		.amdhsa_forward_progress 1
		.amdhsa_inst_pref_size 0
		.amdhsa_round_robin_scheduling 0
		.amdhsa_exception_fp_ieee_invalid_op 0
		.amdhsa_exception_fp_denorm_src 0
		.amdhsa_exception_fp_ieee_div_zero 0
		.amdhsa_exception_fp_ieee_overflow 0
		.amdhsa_exception_fp_ieee_underflow 0
		.amdhsa_exception_fp_ieee_inexact 0
		.amdhsa_exception_int_div_zero 0
	.end_amdhsa_kernel
	.section	.text._ZN7rocprim17ROCPRIM_400000_NS6detail17trampoline_kernelINS0_14default_configENS1_25partition_config_selectorILNS1_17partition_subalgoE9EllbEEZZNS1_14partition_implILS5_9ELb0ES3_jPlS8_PNS0_10empty_typeENS0_5tupleIJS8_S9_EEENSB_IJS8_SA_EEENS0_18inequality_wrapperIZN2at6native12_GLOBAL__N_124unique_dim_cuda_templateIbEESt5tupleIJNSF_6TensorESK_SK_EERKSK_lbbbEUlllE0_EEPmJS9_EEE10hipError_tPvRmT3_T4_T5_T6_T7_T9_mT8_P12ihipStream_tbDpT10_ENKUlT_T0_E_clISt17integral_constantIbLb1EES1A_EEDaS15_S16_EUlS15_E_NS1_11comp_targetILNS1_3genE8ELNS1_11target_archE1030ELNS1_3gpuE2ELNS1_3repE0EEENS1_30default_config_static_selectorELNS0_4arch9wavefront6targetE0EEEvT1_,"axG",@progbits,_ZN7rocprim17ROCPRIM_400000_NS6detail17trampoline_kernelINS0_14default_configENS1_25partition_config_selectorILNS1_17partition_subalgoE9EllbEEZZNS1_14partition_implILS5_9ELb0ES3_jPlS8_PNS0_10empty_typeENS0_5tupleIJS8_S9_EEENSB_IJS8_SA_EEENS0_18inequality_wrapperIZN2at6native12_GLOBAL__N_124unique_dim_cuda_templateIbEESt5tupleIJNSF_6TensorESK_SK_EERKSK_lbbbEUlllE0_EEPmJS9_EEE10hipError_tPvRmT3_T4_T5_T6_T7_T9_mT8_P12ihipStream_tbDpT10_ENKUlT_T0_E_clISt17integral_constantIbLb1EES1A_EEDaS15_S16_EUlS15_E_NS1_11comp_targetILNS1_3genE8ELNS1_11target_archE1030ELNS1_3gpuE2ELNS1_3repE0EEENS1_30default_config_static_selectorELNS0_4arch9wavefront6targetE0EEEvT1_,comdat
.Lfunc_end1098:
	.size	_ZN7rocprim17ROCPRIM_400000_NS6detail17trampoline_kernelINS0_14default_configENS1_25partition_config_selectorILNS1_17partition_subalgoE9EllbEEZZNS1_14partition_implILS5_9ELb0ES3_jPlS8_PNS0_10empty_typeENS0_5tupleIJS8_S9_EEENSB_IJS8_SA_EEENS0_18inequality_wrapperIZN2at6native12_GLOBAL__N_124unique_dim_cuda_templateIbEESt5tupleIJNSF_6TensorESK_SK_EERKSK_lbbbEUlllE0_EEPmJS9_EEE10hipError_tPvRmT3_T4_T5_T6_T7_T9_mT8_P12ihipStream_tbDpT10_ENKUlT_T0_E_clISt17integral_constantIbLb1EES1A_EEDaS15_S16_EUlS15_E_NS1_11comp_targetILNS1_3genE8ELNS1_11target_archE1030ELNS1_3gpuE2ELNS1_3repE0EEENS1_30default_config_static_selectorELNS0_4arch9wavefront6targetE0EEEvT1_, .Lfunc_end1098-_ZN7rocprim17ROCPRIM_400000_NS6detail17trampoline_kernelINS0_14default_configENS1_25partition_config_selectorILNS1_17partition_subalgoE9EllbEEZZNS1_14partition_implILS5_9ELb0ES3_jPlS8_PNS0_10empty_typeENS0_5tupleIJS8_S9_EEENSB_IJS8_SA_EEENS0_18inequality_wrapperIZN2at6native12_GLOBAL__N_124unique_dim_cuda_templateIbEESt5tupleIJNSF_6TensorESK_SK_EERKSK_lbbbEUlllE0_EEPmJS9_EEE10hipError_tPvRmT3_T4_T5_T6_T7_T9_mT8_P12ihipStream_tbDpT10_ENKUlT_T0_E_clISt17integral_constantIbLb1EES1A_EEDaS15_S16_EUlS15_E_NS1_11comp_targetILNS1_3genE8ELNS1_11target_archE1030ELNS1_3gpuE2ELNS1_3repE0EEENS1_30default_config_static_selectorELNS0_4arch9wavefront6targetE0EEEvT1_
                                        ; -- End function
	.set _ZN7rocprim17ROCPRIM_400000_NS6detail17trampoline_kernelINS0_14default_configENS1_25partition_config_selectorILNS1_17partition_subalgoE9EllbEEZZNS1_14partition_implILS5_9ELb0ES3_jPlS8_PNS0_10empty_typeENS0_5tupleIJS8_S9_EEENSB_IJS8_SA_EEENS0_18inequality_wrapperIZN2at6native12_GLOBAL__N_124unique_dim_cuda_templateIbEESt5tupleIJNSF_6TensorESK_SK_EERKSK_lbbbEUlllE0_EEPmJS9_EEE10hipError_tPvRmT3_T4_T5_T6_T7_T9_mT8_P12ihipStream_tbDpT10_ENKUlT_T0_E_clISt17integral_constantIbLb1EES1A_EEDaS15_S16_EUlS15_E_NS1_11comp_targetILNS1_3genE8ELNS1_11target_archE1030ELNS1_3gpuE2ELNS1_3repE0EEENS1_30default_config_static_selectorELNS0_4arch9wavefront6targetE0EEEvT1_.num_vgpr, 0
	.set _ZN7rocprim17ROCPRIM_400000_NS6detail17trampoline_kernelINS0_14default_configENS1_25partition_config_selectorILNS1_17partition_subalgoE9EllbEEZZNS1_14partition_implILS5_9ELb0ES3_jPlS8_PNS0_10empty_typeENS0_5tupleIJS8_S9_EEENSB_IJS8_SA_EEENS0_18inequality_wrapperIZN2at6native12_GLOBAL__N_124unique_dim_cuda_templateIbEESt5tupleIJNSF_6TensorESK_SK_EERKSK_lbbbEUlllE0_EEPmJS9_EEE10hipError_tPvRmT3_T4_T5_T6_T7_T9_mT8_P12ihipStream_tbDpT10_ENKUlT_T0_E_clISt17integral_constantIbLb1EES1A_EEDaS15_S16_EUlS15_E_NS1_11comp_targetILNS1_3genE8ELNS1_11target_archE1030ELNS1_3gpuE2ELNS1_3repE0EEENS1_30default_config_static_selectorELNS0_4arch9wavefront6targetE0EEEvT1_.num_agpr, 0
	.set _ZN7rocprim17ROCPRIM_400000_NS6detail17trampoline_kernelINS0_14default_configENS1_25partition_config_selectorILNS1_17partition_subalgoE9EllbEEZZNS1_14partition_implILS5_9ELb0ES3_jPlS8_PNS0_10empty_typeENS0_5tupleIJS8_S9_EEENSB_IJS8_SA_EEENS0_18inequality_wrapperIZN2at6native12_GLOBAL__N_124unique_dim_cuda_templateIbEESt5tupleIJNSF_6TensorESK_SK_EERKSK_lbbbEUlllE0_EEPmJS9_EEE10hipError_tPvRmT3_T4_T5_T6_T7_T9_mT8_P12ihipStream_tbDpT10_ENKUlT_T0_E_clISt17integral_constantIbLb1EES1A_EEDaS15_S16_EUlS15_E_NS1_11comp_targetILNS1_3genE8ELNS1_11target_archE1030ELNS1_3gpuE2ELNS1_3repE0EEENS1_30default_config_static_selectorELNS0_4arch9wavefront6targetE0EEEvT1_.numbered_sgpr, 0
	.set _ZN7rocprim17ROCPRIM_400000_NS6detail17trampoline_kernelINS0_14default_configENS1_25partition_config_selectorILNS1_17partition_subalgoE9EllbEEZZNS1_14partition_implILS5_9ELb0ES3_jPlS8_PNS0_10empty_typeENS0_5tupleIJS8_S9_EEENSB_IJS8_SA_EEENS0_18inequality_wrapperIZN2at6native12_GLOBAL__N_124unique_dim_cuda_templateIbEESt5tupleIJNSF_6TensorESK_SK_EERKSK_lbbbEUlllE0_EEPmJS9_EEE10hipError_tPvRmT3_T4_T5_T6_T7_T9_mT8_P12ihipStream_tbDpT10_ENKUlT_T0_E_clISt17integral_constantIbLb1EES1A_EEDaS15_S16_EUlS15_E_NS1_11comp_targetILNS1_3genE8ELNS1_11target_archE1030ELNS1_3gpuE2ELNS1_3repE0EEENS1_30default_config_static_selectorELNS0_4arch9wavefront6targetE0EEEvT1_.num_named_barrier, 0
	.set _ZN7rocprim17ROCPRIM_400000_NS6detail17trampoline_kernelINS0_14default_configENS1_25partition_config_selectorILNS1_17partition_subalgoE9EllbEEZZNS1_14partition_implILS5_9ELb0ES3_jPlS8_PNS0_10empty_typeENS0_5tupleIJS8_S9_EEENSB_IJS8_SA_EEENS0_18inequality_wrapperIZN2at6native12_GLOBAL__N_124unique_dim_cuda_templateIbEESt5tupleIJNSF_6TensorESK_SK_EERKSK_lbbbEUlllE0_EEPmJS9_EEE10hipError_tPvRmT3_T4_T5_T6_T7_T9_mT8_P12ihipStream_tbDpT10_ENKUlT_T0_E_clISt17integral_constantIbLb1EES1A_EEDaS15_S16_EUlS15_E_NS1_11comp_targetILNS1_3genE8ELNS1_11target_archE1030ELNS1_3gpuE2ELNS1_3repE0EEENS1_30default_config_static_selectorELNS0_4arch9wavefront6targetE0EEEvT1_.private_seg_size, 0
	.set _ZN7rocprim17ROCPRIM_400000_NS6detail17trampoline_kernelINS0_14default_configENS1_25partition_config_selectorILNS1_17partition_subalgoE9EllbEEZZNS1_14partition_implILS5_9ELb0ES3_jPlS8_PNS0_10empty_typeENS0_5tupleIJS8_S9_EEENSB_IJS8_SA_EEENS0_18inequality_wrapperIZN2at6native12_GLOBAL__N_124unique_dim_cuda_templateIbEESt5tupleIJNSF_6TensorESK_SK_EERKSK_lbbbEUlllE0_EEPmJS9_EEE10hipError_tPvRmT3_T4_T5_T6_T7_T9_mT8_P12ihipStream_tbDpT10_ENKUlT_T0_E_clISt17integral_constantIbLb1EES1A_EEDaS15_S16_EUlS15_E_NS1_11comp_targetILNS1_3genE8ELNS1_11target_archE1030ELNS1_3gpuE2ELNS1_3repE0EEENS1_30default_config_static_selectorELNS0_4arch9wavefront6targetE0EEEvT1_.uses_vcc, 0
	.set _ZN7rocprim17ROCPRIM_400000_NS6detail17trampoline_kernelINS0_14default_configENS1_25partition_config_selectorILNS1_17partition_subalgoE9EllbEEZZNS1_14partition_implILS5_9ELb0ES3_jPlS8_PNS0_10empty_typeENS0_5tupleIJS8_S9_EEENSB_IJS8_SA_EEENS0_18inequality_wrapperIZN2at6native12_GLOBAL__N_124unique_dim_cuda_templateIbEESt5tupleIJNSF_6TensorESK_SK_EERKSK_lbbbEUlllE0_EEPmJS9_EEE10hipError_tPvRmT3_T4_T5_T6_T7_T9_mT8_P12ihipStream_tbDpT10_ENKUlT_T0_E_clISt17integral_constantIbLb1EES1A_EEDaS15_S16_EUlS15_E_NS1_11comp_targetILNS1_3genE8ELNS1_11target_archE1030ELNS1_3gpuE2ELNS1_3repE0EEENS1_30default_config_static_selectorELNS0_4arch9wavefront6targetE0EEEvT1_.uses_flat_scratch, 0
	.set _ZN7rocprim17ROCPRIM_400000_NS6detail17trampoline_kernelINS0_14default_configENS1_25partition_config_selectorILNS1_17partition_subalgoE9EllbEEZZNS1_14partition_implILS5_9ELb0ES3_jPlS8_PNS0_10empty_typeENS0_5tupleIJS8_S9_EEENSB_IJS8_SA_EEENS0_18inequality_wrapperIZN2at6native12_GLOBAL__N_124unique_dim_cuda_templateIbEESt5tupleIJNSF_6TensorESK_SK_EERKSK_lbbbEUlllE0_EEPmJS9_EEE10hipError_tPvRmT3_T4_T5_T6_T7_T9_mT8_P12ihipStream_tbDpT10_ENKUlT_T0_E_clISt17integral_constantIbLb1EES1A_EEDaS15_S16_EUlS15_E_NS1_11comp_targetILNS1_3genE8ELNS1_11target_archE1030ELNS1_3gpuE2ELNS1_3repE0EEENS1_30default_config_static_selectorELNS0_4arch9wavefront6targetE0EEEvT1_.has_dyn_sized_stack, 0
	.set _ZN7rocprim17ROCPRIM_400000_NS6detail17trampoline_kernelINS0_14default_configENS1_25partition_config_selectorILNS1_17partition_subalgoE9EllbEEZZNS1_14partition_implILS5_9ELb0ES3_jPlS8_PNS0_10empty_typeENS0_5tupleIJS8_S9_EEENSB_IJS8_SA_EEENS0_18inequality_wrapperIZN2at6native12_GLOBAL__N_124unique_dim_cuda_templateIbEESt5tupleIJNSF_6TensorESK_SK_EERKSK_lbbbEUlllE0_EEPmJS9_EEE10hipError_tPvRmT3_T4_T5_T6_T7_T9_mT8_P12ihipStream_tbDpT10_ENKUlT_T0_E_clISt17integral_constantIbLb1EES1A_EEDaS15_S16_EUlS15_E_NS1_11comp_targetILNS1_3genE8ELNS1_11target_archE1030ELNS1_3gpuE2ELNS1_3repE0EEENS1_30default_config_static_selectorELNS0_4arch9wavefront6targetE0EEEvT1_.has_recursion, 0
	.set _ZN7rocprim17ROCPRIM_400000_NS6detail17trampoline_kernelINS0_14default_configENS1_25partition_config_selectorILNS1_17partition_subalgoE9EllbEEZZNS1_14partition_implILS5_9ELb0ES3_jPlS8_PNS0_10empty_typeENS0_5tupleIJS8_S9_EEENSB_IJS8_SA_EEENS0_18inequality_wrapperIZN2at6native12_GLOBAL__N_124unique_dim_cuda_templateIbEESt5tupleIJNSF_6TensorESK_SK_EERKSK_lbbbEUlllE0_EEPmJS9_EEE10hipError_tPvRmT3_T4_T5_T6_T7_T9_mT8_P12ihipStream_tbDpT10_ENKUlT_T0_E_clISt17integral_constantIbLb1EES1A_EEDaS15_S16_EUlS15_E_NS1_11comp_targetILNS1_3genE8ELNS1_11target_archE1030ELNS1_3gpuE2ELNS1_3repE0EEENS1_30default_config_static_selectorELNS0_4arch9wavefront6targetE0EEEvT1_.has_indirect_call, 0
	.section	.AMDGPU.csdata,"",@progbits
; Kernel info:
; codeLenInByte = 0
; TotalNumSgprs: 0
; NumVgprs: 0
; ScratchSize: 0
; MemoryBound: 0
; FloatMode: 240
; IeeeMode: 1
; LDSByteSize: 0 bytes/workgroup (compile time only)
; SGPRBlocks: 0
; VGPRBlocks: 0
; NumSGPRsForWavesPerEU: 1
; NumVGPRsForWavesPerEU: 1
; NamedBarCnt: 0
; Occupancy: 16
; WaveLimiterHint : 0
; COMPUTE_PGM_RSRC2:SCRATCH_EN: 0
; COMPUTE_PGM_RSRC2:USER_SGPR: 2
; COMPUTE_PGM_RSRC2:TRAP_HANDLER: 0
; COMPUTE_PGM_RSRC2:TGID_X_EN: 1
; COMPUTE_PGM_RSRC2:TGID_Y_EN: 0
; COMPUTE_PGM_RSRC2:TGID_Z_EN: 0
; COMPUTE_PGM_RSRC2:TIDIG_COMP_CNT: 0
	.section	.text._ZN7rocprim17ROCPRIM_400000_NS6detail17trampoline_kernelINS0_14default_configENS1_25partition_config_selectorILNS1_17partition_subalgoE9EllbEEZZNS1_14partition_implILS5_9ELb0ES3_jPlS8_PNS0_10empty_typeENS0_5tupleIJS8_S9_EEENSB_IJS8_SA_EEENS0_18inequality_wrapperIZN2at6native12_GLOBAL__N_124unique_dim_cuda_templateIbEESt5tupleIJNSF_6TensorESK_SK_EERKSK_lbbbEUlllE0_EEPmJS9_EEE10hipError_tPvRmT3_T4_T5_T6_T7_T9_mT8_P12ihipStream_tbDpT10_ENKUlT_T0_E_clISt17integral_constantIbLb1EES19_IbLb0EEEEDaS15_S16_EUlS15_E_NS1_11comp_targetILNS1_3genE0ELNS1_11target_archE4294967295ELNS1_3gpuE0ELNS1_3repE0EEENS1_30default_config_static_selectorELNS0_4arch9wavefront6targetE0EEEvT1_,"axG",@progbits,_ZN7rocprim17ROCPRIM_400000_NS6detail17trampoline_kernelINS0_14default_configENS1_25partition_config_selectorILNS1_17partition_subalgoE9EllbEEZZNS1_14partition_implILS5_9ELb0ES3_jPlS8_PNS0_10empty_typeENS0_5tupleIJS8_S9_EEENSB_IJS8_SA_EEENS0_18inequality_wrapperIZN2at6native12_GLOBAL__N_124unique_dim_cuda_templateIbEESt5tupleIJNSF_6TensorESK_SK_EERKSK_lbbbEUlllE0_EEPmJS9_EEE10hipError_tPvRmT3_T4_T5_T6_T7_T9_mT8_P12ihipStream_tbDpT10_ENKUlT_T0_E_clISt17integral_constantIbLb1EES19_IbLb0EEEEDaS15_S16_EUlS15_E_NS1_11comp_targetILNS1_3genE0ELNS1_11target_archE4294967295ELNS1_3gpuE0ELNS1_3repE0EEENS1_30default_config_static_selectorELNS0_4arch9wavefront6targetE0EEEvT1_,comdat
	.globl	_ZN7rocprim17ROCPRIM_400000_NS6detail17trampoline_kernelINS0_14default_configENS1_25partition_config_selectorILNS1_17partition_subalgoE9EllbEEZZNS1_14partition_implILS5_9ELb0ES3_jPlS8_PNS0_10empty_typeENS0_5tupleIJS8_S9_EEENSB_IJS8_SA_EEENS0_18inequality_wrapperIZN2at6native12_GLOBAL__N_124unique_dim_cuda_templateIbEESt5tupleIJNSF_6TensorESK_SK_EERKSK_lbbbEUlllE0_EEPmJS9_EEE10hipError_tPvRmT3_T4_T5_T6_T7_T9_mT8_P12ihipStream_tbDpT10_ENKUlT_T0_E_clISt17integral_constantIbLb1EES19_IbLb0EEEEDaS15_S16_EUlS15_E_NS1_11comp_targetILNS1_3genE0ELNS1_11target_archE4294967295ELNS1_3gpuE0ELNS1_3repE0EEENS1_30default_config_static_selectorELNS0_4arch9wavefront6targetE0EEEvT1_ ; -- Begin function _ZN7rocprim17ROCPRIM_400000_NS6detail17trampoline_kernelINS0_14default_configENS1_25partition_config_selectorILNS1_17partition_subalgoE9EllbEEZZNS1_14partition_implILS5_9ELb0ES3_jPlS8_PNS0_10empty_typeENS0_5tupleIJS8_S9_EEENSB_IJS8_SA_EEENS0_18inequality_wrapperIZN2at6native12_GLOBAL__N_124unique_dim_cuda_templateIbEESt5tupleIJNSF_6TensorESK_SK_EERKSK_lbbbEUlllE0_EEPmJS9_EEE10hipError_tPvRmT3_T4_T5_T6_T7_T9_mT8_P12ihipStream_tbDpT10_ENKUlT_T0_E_clISt17integral_constantIbLb1EES19_IbLb0EEEEDaS15_S16_EUlS15_E_NS1_11comp_targetILNS1_3genE0ELNS1_11target_archE4294967295ELNS1_3gpuE0ELNS1_3repE0EEENS1_30default_config_static_selectorELNS0_4arch9wavefront6targetE0EEEvT1_
	.p2align	8
	.type	_ZN7rocprim17ROCPRIM_400000_NS6detail17trampoline_kernelINS0_14default_configENS1_25partition_config_selectorILNS1_17partition_subalgoE9EllbEEZZNS1_14partition_implILS5_9ELb0ES3_jPlS8_PNS0_10empty_typeENS0_5tupleIJS8_S9_EEENSB_IJS8_SA_EEENS0_18inequality_wrapperIZN2at6native12_GLOBAL__N_124unique_dim_cuda_templateIbEESt5tupleIJNSF_6TensorESK_SK_EERKSK_lbbbEUlllE0_EEPmJS9_EEE10hipError_tPvRmT3_T4_T5_T6_T7_T9_mT8_P12ihipStream_tbDpT10_ENKUlT_T0_E_clISt17integral_constantIbLb1EES19_IbLb0EEEEDaS15_S16_EUlS15_E_NS1_11comp_targetILNS1_3genE0ELNS1_11target_archE4294967295ELNS1_3gpuE0ELNS1_3repE0EEENS1_30default_config_static_selectorELNS0_4arch9wavefront6targetE0EEEvT1_,@function
_ZN7rocprim17ROCPRIM_400000_NS6detail17trampoline_kernelINS0_14default_configENS1_25partition_config_selectorILNS1_17partition_subalgoE9EllbEEZZNS1_14partition_implILS5_9ELb0ES3_jPlS8_PNS0_10empty_typeENS0_5tupleIJS8_S9_EEENSB_IJS8_SA_EEENS0_18inequality_wrapperIZN2at6native12_GLOBAL__N_124unique_dim_cuda_templateIbEESt5tupleIJNSF_6TensorESK_SK_EERKSK_lbbbEUlllE0_EEPmJS9_EEE10hipError_tPvRmT3_T4_T5_T6_T7_T9_mT8_P12ihipStream_tbDpT10_ENKUlT_T0_E_clISt17integral_constantIbLb1EES19_IbLb0EEEEDaS15_S16_EUlS15_E_NS1_11comp_targetILNS1_3genE0ELNS1_11target_archE4294967295ELNS1_3gpuE0ELNS1_3repE0EEENS1_30default_config_static_selectorELNS0_4arch9wavefront6targetE0EEEvT1_: ; @_ZN7rocprim17ROCPRIM_400000_NS6detail17trampoline_kernelINS0_14default_configENS1_25partition_config_selectorILNS1_17partition_subalgoE9EllbEEZZNS1_14partition_implILS5_9ELb0ES3_jPlS8_PNS0_10empty_typeENS0_5tupleIJS8_S9_EEENSB_IJS8_SA_EEENS0_18inequality_wrapperIZN2at6native12_GLOBAL__N_124unique_dim_cuda_templateIbEESt5tupleIJNSF_6TensorESK_SK_EERKSK_lbbbEUlllE0_EEPmJS9_EEE10hipError_tPvRmT3_T4_T5_T6_T7_T9_mT8_P12ihipStream_tbDpT10_ENKUlT_T0_E_clISt17integral_constantIbLb1EES19_IbLb0EEEEDaS15_S16_EUlS15_E_NS1_11comp_targetILNS1_3genE0ELNS1_11target_archE4294967295ELNS1_3gpuE0ELNS1_3repE0EEENS1_30default_config_static_selectorELNS0_4arch9wavefront6targetE0EEEvT1_
; %bb.0:
	s_endpgm
	.section	.rodata,"a",@progbits
	.p2align	6, 0x0
	.amdhsa_kernel _ZN7rocprim17ROCPRIM_400000_NS6detail17trampoline_kernelINS0_14default_configENS1_25partition_config_selectorILNS1_17partition_subalgoE9EllbEEZZNS1_14partition_implILS5_9ELb0ES3_jPlS8_PNS0_10empty_typeENS0_5tupleIJS8_S9_EEENSB_IJS8_SA_EEENS0_18inequality_wrapperIZN2at6native12_GLOBAL__N_124unique_dim_cuda_templateIbEESt5tupleIJNSF_6TensorESK_SK_EERKSK_lbbbEUlllE0_EEPmJS9_EEE10hipError_tPvRmT3_T4_T5_T6_T7_T9_mT8_P12ihipStream_tbDpT10_ENKUlT_T0_E_clISt17integral_constantIbLb1EES19_IbLb0EEEEDaS15_S16_EUlS15_E_NS1_11comp_targetILNS1_3genE0ELNS1_11target_archE4294967295ELNS1_3gpuE0ELNS1_3repE0EEENS1_30default_config_static_selectorELNS0_4arch9wavefront6targetE0EEEvT1_
		.amdhsa_group_segment_fixed_size 0
		.amdhsa_private_segment_fixed_size 0
		.amdhsa_kernarg_size 120
		.amdhsa_user_sgpr_count 2
		.amdhsa_user_sgpr_dispatch_ptr 0
		.amdhsa_user_sgpr_queue_ptr 0
		.amdhsa_user_sgpr_kernarg_segment_ptr 1
		.amdhsa_user_sgpr_dispatch_id 0
		.amdhsa_user_sgpr_kernarg_preload_length 0
		.amdhsa_user_sgpr_kernarg_preload_offset 0
		.amdhsa_user_sgpr_private_segment_size 0
		.amdhsa_wavefront_size32 1
		.amdhsa_uses_dynamic_stack 0
		.amdhsa_enable_private_segment 0
		.amdhsa_system_sgpr_workgroup_id_x 1
		.amdhsa_system_sgpr_workgroup_id_y 0
		.amdhsa_system_sgpr_workgroup_id_z 0
		.amdhsa_system_sgpr_workgroup_info 0
		.amdhsa_system_vgpr_workitem_id 0
		.amdhsa_next_free_vgpr 1
		.amdhsa_next_free_sgpr 1
		.amdhsa_named_barrier_count 0
		.amdhsa_reserve_vcc 0
		.amdhsa_float_round_mode_32 0
		.amdhsa_float_round_mode_16_64 0
		.amdhsa_float_denorm_mode_32 3
		.amdhsa_float_denorm_mode_16_64 3
		.amdhsa_fp16_overflow 0
		.amdhsa_memory_ordered 1
		.amdhsa_forward_progress 1
		.amdhsa_inst_pref_size 1
		.amdhsa_round_robin_scheduling 0
		.amdhsa_exception_fp_ieee_invalid_op 0
		.amdhsa_exception_fp_denorm_src 0
		.amdhsa_exception_fp_ieee_div_zero 0
		.amdhsa_exception_fp_ieee_overflow 0
		.amdhsa_exception_fp_ieee_underflow 0
		.amdhsa_exception_fp_ieee_inexact 0
		.amdhsa_exception_int_div_zero 0
	.end_amdhsa_kernel
	.section	.text._ZN7rocprim17ROCPRIM_400000_NS6detail17trampoline_kernelINS0_14default_configENS1_25partition_config_selectorILNS1_17partition_subalgoE9EllbEEZZNS1_14partition_implILS5_9ELb0ES3_jPlS8_PNS0_10empty_typeENS0_5tupleIJS8_S9_EEENSB_IJS8_SA_EEENS0_18inequality_wrapperIZN2at6native12_GLOBAL__N_124unique_dim_cuda_templateIbEESt5tupleIJNSF_6TensorESK_SK_EERKSK_lbbbEUlllE0_EEPmJS9_EEE10hipError_tPvRmT3_T4_T5_T6_T7_T9_mT8_P12ihipStream_tbDpT10_ENKUlT_T0_E_clISt17integral_constantIbLb1EES19_IbLb0EEEEDaS15_S16_EUlS15_E_NS1_11comp_targetILNS1_3genE0ELNS1_11target_archE4294967295ELNS1_3gpuE0ELNS1_3repE0EEENS1_30default_config_static_selectorELNS0_4arch9wavefront6targetE0EEEvT1_,"axG",@progbits,_ZN7rocprim17ROCPRIM_400000_NS6detail17trampoline_kernelINS0_14default_configENS1_25partition_config_selectorILNS1_17partition_subalgoE9EllbEEZZNS1_14partition_implILS5_9ELb0ES3_jPlS8_PNS0_10empty_typeENS0_5tupleIJS8_S9_EEENSB_IJS8_SA_EEENS0_18inequality_wrapperIZN2at6native12_GLOBAL__N_124unique_dim_cuda_templateIbEESt5tupleIJNSF_6TensorESK_SK_EERKSK_lbbbEUlllE0_EEPmJS9_EEE10hipError_tPvRmT3_T4_T5_T6_T7_T9_mT8_P12ihipStream_tbDpT10_ENKUlT_T0_E_clISt17integral_constantIbLb1EES19_IbLb0EEEEDaS15_S16_EUlS15_E_NS1_11comp_targetILNS1_3genE0ELNS1_11target_archE4294967295ELNS1_3gpuE0ELNS1_3repE0EEENS1_30default_config_static_selectorELNS0_4arch9wavefront6targetE0EEEvT1_,comdat
.Lfunc_end1099:
	.size	_ZN7rocprim17ROCPRIM_400000_NS6detail17trampoline_kernelINS0_14default_configENS1_25partition_config_selectorILNS1_17partition_subalgoE9EllbEEZZNS1_14partition_implILS5_9ELb0ES3_jPlS8_PNS0_10empty_typeENS0_5tupleIJS8_S9_EEENSB_IJS8_SA_EEENS0_18inequality_wrapperIZN2at6native12_GLOBAL__N_124unique_dim_cuda_templateIbEESt5tupleIJNSF_6TensorESK_SK_EERKSK_lbbbEUlllE0_EEPmJS9_EEE10hipError_tPvRmT3_T4_T5_T6_T7_T9_mT8_P12ihipStream_tbDpT10_ENKUlT_T0_E_clISt17integral_constantIbLb1EES19_IbLb0EEEEDaS15_S16_EUlS15_E_NS1_11comp_targetILNS1_3genE0ELNS1_11target_archE4294967295ELNS1_3gpuE0ELNS1_3repE0EEENS1_30default_config_static_selectorELNS0_4arch9wavefront6targetE0EEEvT1_, .Lfunc_end1099-_ZN7rocprim17ROCPRIM_400000_NS6detail17trampoline_kernelINS0_14default_configENS1_25partition_config_selectorILNS1_17partition_subalgoE9EllbEEZZNS1_14partition_implILS5_9ELb0ES3_jPlS8_PNS0_10empty_typeENS0_5tupleIJS8_S9_EEENSB_IJS8_SA_EEENS0_18inequality_wrapperIZN2at6native12_GLOBAL__N_124unique_dim_cuda_templateIbEESt5tupleIJNSF_6TensorESK_SK_EERKSK_lbbbEUlllE0_EEPmJS9_EEE10hipError_tPvRmT3_T4_T5_T6_T7_T9_mT8_P12ihipStream_tbDpT10_ENKUlT_T0_E_clISt17integral_constantIbLb1EES19_IbLb0EEEEDaS15_S16_EUlS15_E_NS1_11comp_targetILNS1_3genE0ELNS1_11target_archE4294967295ELNS1_3gpuE0ELNS1_3repE0EEENS1_30default_config_static_selectorELNS0_4arch9wavefront6targetE0EEEvT1_
                                        ; -- End function
	.set _ZN7rocprim17ROCPRIM_400000_NS6detail17trampoline_kernelINS0_14default_configENS1_25partition_config_selectorILNS1_17partition_subalgoE9EllbEEZZNS1_14partition_implILS5_9ELb0ES3_jPlS8_PNS0_10empty_typeENS0_5tupleIJS8_S9_EEENSB_IJS8_SA_EEENS0_18inequality_wrapperIZN2at6native12_GLOBAL__N_124unique_dim_cuda_templateIbEESt5tupleIJNSF_6TensorESK_SK_EERKSK_lbbbEUlllE0_EEPmJS9_EEE10hipError_tPvRmT3_T4_T5_T6_T7_T9_mT8_P12ihipStream_tbDpT10_ENKUlT_T0_E_clISt17integral_constantIbLb1EES19_IbLb0EEEEDaS15_S16_EUlS15_E_NS1_11comp_targetILNS1_3genE0ELNS1_11target_archE4294967295ELNS1_3gpuE0ELNS1_3repE0EEENS1_30default_config_static_selectorELNS0_4arch9wavefront6targetE0EEEvT1_.num_vgpr, 0
	.set _ZN7rocprim17ROCPRIM_400000_NS6detail17trampoline_kernelINS0_14default_configENS1_25partition_config_selectorILNS1_17partition_subalgoE9EllbEEZZNS1_14partition_implILS5_9ELb0ES3_jPlS8_PNS0_10empty_typeENS0_5tupleIJS8_S9_EEENSB_IJS8_SA_EEENS0_18inequality_wrapperIZN2at6native12_GLOBAL__N_124unique_dim_cuda_templateIbEESt5tupleIJNSF_6TensorESK_SK_EERKSK_lbbbEUlllE0_EEPmJS9_EEE10hipError_tPvRmT3_T4_T5_T6_T7_T9_mT8_P12ihipStream_tbDpT10_ENKUlT_T0_E_clISt17integral_constantIbLb1EES19_IbLb0EEEEDaS15_S16_EUlS15_E_NS1_11comp_targetILNS1_3genE0ELNS1_11target_archE4294967295ELNS1_3gpuE0ELNS1_3repE0EEENS1_30default_config_static_selectorELNS0_4arch9wavefront6targetE0EEEvT1_.num_agpr, 0
	.set _ZN7rocprim17ROCPRIM_400000_NS6detail17trampoline_kernelINS0_14default_configENS1_25partition_config_selectorILNS1_17partition_subalgoE9EllbEEZZNS1_14partition_implILS5_9ELb0ES3_jPlS8_PNS0_10empty_typeENS0_5tupleIJS8_S9_EEENSB_IJS8_SA_EEENS0_18inequality_wrapperIZN2at6native12_GLOBAL__N_124unique_dim_cuda_templateIbEESt5tupleIJNSF_6TensorESK_SK_EERKSK_lbbbEUlllE0_EEPmJS9_EEE10hipError_tPvRmT3_T4_T5_T6_T7_T9_mT8_P12ihipStream_tbDpT10_ENKUlT_T0_E_clISt17integral_constantIbLb1EES19_IbLb0EEEEDaS15_S16_EUlS15_E_NS1_11comp_targetILNS1_3genE0ELNS1_11target_archE4294967295ELNS1_3gpuE0ELNS1_3repE0EEENS1_30default_config_static_selectorELNS0_4arch9wavefront6targetE0EEEvT1_.numbered_sgpr, 0
	.set _ZN7rocprim17ROCPRIM_400000_NS6detail17trampoline_kernelINS0_14default_configENS1_25partition_config_selectorILNS1_17partition_subalgoE9EllbEEZZNS1_14partition_implILS5_9ELb0ES3_jPlS8_PNS0_10empty_typeENS0_5tupleIJS8_S9_EEENSB_IJS8_SA_EEENS0_18inequality_wrapperIZN2at6native12_GLOBAL__N_124unique_dim_cuda_templateIbEESt5tupleIJNSF_6TensorESK_SK_EERKSK_lbbbEUlllE0_EEPmJS9_EEE10hipError_tPvRmT3_T4_T5_T6_T7_T9_mT8_P12ihipStream_tbDpT10_ENKUlT_T0_E_clISt17integral_constantIbLb1EES19_IbLb0EEEEDaS15_S16_EUlS15_E_NS1_11comp_targetILNS1_3genE0ELNS1_11target_archE4294967295ELNS1_3gpuE0ELNS1_3repE0EEENS1_30default_config_static_selectorELNS0_4arch9wavefront6targetE0EEEvT1_.num_named_barrier, 0
	.set _ZN7rocprim17ROCPRIM_400000_NS6detail17trampoline_kernelINS0_14default_configENS1_25partition_config_selectorILNS1_17partition_subalgoE9EllbEEZZNS1_14partition_implILS5_9ELb0ES3_jPlS8_PNS0_10empty_typeENS0_5tupleIJS8_S9_EEENSB_IJS8_SA_EEENS0_18inequality_wrapperIZN2at6native12_GLOBAL__N_124unique_dim_cuda_templateIbEESt5tupleIJNSF_6TensorESK_SK_EERKSK_lbbbEUlllE0_EEPmJS9_EEE10hipError_tPvRmT3_T4_T5_T6_T7_T9_mT8_P12ihipStream_tbDpT10_ENKUlT_T0_E_clISt17integral_constantIbLb1EES19_IbLb0EEEEDaS15_S16_EUlS15_E_NS1_11comp_targetILNS1_3genE0ELNS1_11target_archE4294967295ELNS1_3gpuE0ELNS1_3repE0EEENS1_30default_config_static_selectorELNS0_4arch9wavefront6targetE0EEEvT1_.private_seg_size, 0
	.set _ZN7rocprim17ROCPRIM_400000_NS6detail17trampoline_kernelINS0_14default_configENS1_25partition_config_selectorILNS1_17partition_subalgoE9EllbEEZZNS1_14partition_implILS5_9ELb0ES3_jPlS8_PNS0_10empty_typeENS0_5tupleIJS8_S9_EEENSB_IJS8_SA_EEENS0_18inequality_wrapperIZN2at6native12_GLOBAL__N_124unique_dim_cuda_templateIbEESt5tupleIJNSF_6TensorESK_SK_EERKSK_lbbbEUlllE0_EEPmJS9_EEE10hipError_tPvRmT3_T4_T5_T6_T7_T9_mT8_P12ihipStream_tbDpT10_ENKUlT_T0_E_clISt17integral_constantIbLb1EES19_IbLb0EEEEDaS15_S16_EUlS15_E_NS1_11comp_targetILNS1_3genE0ELNS1_11target_archE4294967295ELNS1_3gpuE0ELNS1_3repE0EEENS1_30default_config_static_selectorELNS0_4arch9wavefront6targetE0EEEvT1_.uses_vcc, 0
	.set _ZN7rocprim17ROCPRIM_400000_NS6detail17trampoline_kernelINS0_14default_configENS1_25partition_config_selectorILNS1_17partition_subalgoE9EllbEEZZNS1_14partition_implILS5_9ELb0ES3_jPlS8_PNS0_10empty_typeENS0_5tupleIJS8_S9_EEENSB_IJS8_SA_EEENS0_18inequality_wrapperIZN2at6native12_GLOBAL__N_124unique_dim_cuda_templateIbEESt5tupleIJNSF_6TensorESK_SK_EERKSK_lbbbEUlllE0_EEPmJS9_EEE10hipError_tPvRmT3_T4_T5_T6_T7_T9_mT8_P12ihipStream_tbDpT10_ENKUlT_T0_E_clISt17integral_constantIbLb1EES19_IbLb0EEEEDaS15_S16_EUlS15_E_NS1_11comp_targetILNS1_3genE0ELNS1_11target_archE4294967295ELNS1_3gpuE0ELNS1_3repE0EEENS1_30default_config_static_selectorELNS0_4arch9wavefront6targetE0EEEvT1_.uses_flat_scratch, 0
	.set _ZN7rocprim17ROCPRIM_400000_NS6detail17trampoline_kernelINS0_14default_configENS1_25partition_config_selectorILNS1_17partition_subalgoE9EllbEEZZNS1_14partition_implILS5_9ELb0ES3_jPlS8_PNS0_10empty_typeENS0_5tupleIJS8_S9_EEENSB_IJS8_SA_EEENS0_18inequality_wrapperIZN2at6native12_GLOBAL__N_124unique_dim_cuda_templateIbEESt5tupleIJNSF_6TensorESK_SK_EERKSK_lbbbEUlllE0_EEPmJS9_EEE10hipError_tPvRmT3_T4_T5_T6_T7_T9_mT8_P12ihipStream_tbDpT10_ENKUlT_T0_E_clISt17integral_constantIbLb1EES19_IbLb0EEEEDaS15_S16_EUlS15_E_NS1_11comp_targetILNS1_3genE0ELNS1_11target_archE4294967295ELNS1_3gpuE0ELNS1_3repE0EEENS1_30default_config_static_selectorELNS0_4arch9wavefront6targetE0EEEvT1_.has_dyn_sized_stack, 0
	.set _ZN7rocprim17ROCPRIM_400000_NS6detail17trampoline_kernelINS0_14default_configENS1_25partition_config_selectorILNS1_17partition_subalgoE9EllbEEZZNS1_14partition_implILS5_9ELb0ES3_jPlS8_PNS0_10empty_typeENS0_5tupleIJS8_S9_EEENSB_IJS8_SA_EEENS0_18inequality_wrapperIZN2at6native12_GLOBAL__N_124unique_dim_cuda_templateIbEESt5tupleIJNSF_6TensorESK_SK_EERKSK_lbbbEUlllE0_EEPmJS9_EEE10hipError_tPvRmT3_T4_T5_T6_T7_T9_mT8_P12ihipStream_tbDpT10_ENKUlT_T0_E_clISt17integral_constantIbLb1EES19_IbLb0EEEEDaS15_S16_EUlS15_E_NS1_11comp_targetILNS1_3genE0ELNS1_11target_archE4294967295ELNS1_3gpuE0ELNS1_3repE0EEENS1_30default_config_static_selectorELNS0_4arch9wavefront6targetE0EEEvT1_.has_recursion, 0
	.set _ZN7rocprim17ROCPRIM_400000_NS6detail17trampoline_kernelINS0_14default_configENS1_25partition_config_selectorILNS1_17partition_subalgoE9EllbEEZZNS1_14partition_implILS5_9ELb0ES3_jPlS8_PNS0_10empty_typeENS0_5tupleIJS8_S9_EEENSB_IJS8_SA_EEENS0_18inequality_wrapperIZN2at6native12_GLOBAL__N_124unique_dim_cuda_templateIbEESt5tupleIJNSF_6TensorESK_SK_EERKSK_lbbbEUlllE0_EEPmJS9_EEE10hipError_tPvRmT3_T4_T5_T6_T7_T9_mT8_P12ihipStream_tbDpT10_ENKUlT_T0_E_clISt17integral_constantIbLb1EES19_IbLb0EEEEDaS15_S16_EUlS15_E_NS1_11comp_targetILNS1_3genE0ELNS1_11target_archE4294967295ELNS1_3gpuE0ELNS1_3repE0EEENS1_30default_config_static_selectorELNS0_4arch9wavefront6targetE0EEEvT1_.has_indirect_call, 0
	.section	.AMDGPU.csdata,"",@progbits
; Kernel info:
; codeLenInByte = 4
; TotalNumSgprs: 0
; NumVgprs: 0
; ScratchSize: 0
; MemoryBound: 0
; FloatMode: 240
; IeeeMode: 1
; LDSByteSize: 0 bytes/workgroup (compile time only)
; SGPRBlocks: 0
; VGPRBlocks: 0
; NumSGPRsForWavesPerEU: 1
; NumVGPRsForWavesPerEU: 1
; NamedBarCnt: 0
; Occupancy: 16
; WaveLimiterHint : 0
; COMPUTE_PGM_RSRC2:SCRATCH_EN: 0
; COMPUTE_PGM_RSRC2:USER_SGPR: 2
; COMPUTE_PGM_RSRC2:TRAP_HANDLER: 0
; COMPUTE_PGM_RSRC2:TGID_X_EN: 1
; COMPUTE_PGM_RSRC2:TGID_Y_EN: 0
; COMPUTE_PGM_RSRC2:TGID_Z_EN: 0
; COMPUTE_PGM_RSRC2:TIDIG_COMP_CNT: 0
	.section	.text._ZN7rocprim17ROCPRIM_400000_NS6detail17trampoline_kernelINS0_14default_configENS1_25partition_config_selectorILNS1_17partition_subalgoE9EllbEEZZNS1_14partition_implILS5_9ELb0ES3_jPlS8_PNS0_10empty_typeENS0_5tupleIJS8_S9_EEENSB_IJS8_SA_EEENS0_18inequality_wrapperIZN2at6native12_GLOBAL__N_124unique_dim_cuda_templateIbEESt5tupleIJNSF_6TensorESK_SK_EERKSK_lbbbEUlllE0_EEPmJS9_EEE10hipError_tPvRmT3_T4_T5_T6_T7_T9_mT8_P12ihipStream_tbDpT10_ENKUlT_T0_E_clISt17integral_constantIbLb1EES19_IbLb0EEEEDaS15_S16_EUlS15_E_NS1_11comp_targetILNS1_3genE5ELNS1_11target_archE942ELNS1_3gpuE9ELNS1_3repE0EEENS1_30default_config_static_selectorELNS0_4arch9wavefront6targetE0EEEvT1_,"axG",@progbits,_ZN7rocprim17ROCPRIM_400000_NS6detail17trampoline_kernelINS0_14default_configENS1_25partition_config_selectorILNS1_17partition_subalgoE9EllbEEZZNS1_14partition_implILS5_9ELb0ES3_jPlS8_PNS0_10empty_typeENS0_5tupleIJS8_S9_EEENSB_IJS8_SA_EEENS0_18inequality_wrapperIZN2at6native12_GLOBAL__N_124unique_dim_cuda_templateIbEESt5tupleIJNSF_6TensorESK_SK_EERKSK_lbbbEUlllE0_EEPmJS9_EEE10hipError_tPvRmT3_T4_T5_T6_T7_T9_mT8_P12ihipStream_tbDpT10_ENKUlT_T0_E_clISt17integral_constantIbLb1EES19_IbLb0EEEEDaS15_S16_EUlS15_E_NS1_11comp_targetILNS1_3genE5ELNS1_11target_archE942ELNS1_3gpuE9ELNS1_3repE0EEENS1_30default_config_static_selectorELNS0_4arch9wavefront6targetE0EEEvT1_,comdat
	.globl	_ZN7rocprim17ROCPRIM_400000_NS6detail17trampoline_kernelINS0_14default_configENS1_25partition_config_selectorILNS1_17partition_subalgoE9EllbEEZZNS1_14partition_implILS5_9ELb0ES3_jPlS8_PNS0_10empty_typeENS0_5tupleIJS8_S9_EEENSB_IJS8_SA_EEENS0_18inequality_wrapperIZN2at6native12_GLOBAL__N_124unique_dim_cuda_templateIbEESt5tupleIJNSF_6TensorESK_SK_EERKSK_lbbbEUlllE0_EEPmJS9_EEE10hipError_tPvRmT3_T4_T5_T6_T7_T9_mT8_P12ihipStream_tbDpT10_ENKUlT_T0_E_clISt17integral_constantIbLb1EES19_IbLb0EEEEDaS15_S16_EUlS15_E_NS1_11comp_targetILNS1_3genE5ELNS1_11target_archE942ELNS1_3gpuE9ELNS1_3repE0EEENS1_30default_config_static_selectorELNS0_4arch9wavefront6targetE0EEEvT1_ ; -- Begin function _ZN7rocprim17ROCPRIM_400000_NS6detail17trampoline_kernelINS0_14default_configENS1_25partition_config_selectorILNS1_17partition_subalgoE9EllbEEZZNS1_14partition_implILS5_9ELb0ES3_jPlS8_PNS0_10empty_typeENS0_5tupleIJS8_S9_EEENSB_IJS8_SA_EEENS0_18inequality_wrapperIZN2at6native12_GLOBAL__N_124unique_dim_cuda_templateIbEESt5tupleIJNSF_6TensorESK_SK_EERKSK_lbbbEUlllE0_EEPmJS9_EEE10hipError_tPvRmT3_T4_T5_T6_T7_T9_mT8_P12ihipStream_tbDpT10_ENKUlT_T0_E_clISt17integral_constantIbLb1EES19_IbLb0EEEEDaS15_S16_EUlS15_E_NS1_11comp_targetILNS1_3genE5ELNS1_11target_archE942ELNS1_3gpuE9ELNS1_3repE0EEENS1_30default_config_static_selectorELNS0_4arch9wavefront6targetE0EEEvT1_
	.p2align	8
	.type	_ZN7rocprim17ROCPRIM_400000_NS6detail17trampoline_kernelINS0_14default_configENS1_25partition_config_selectorILNS1_17partition_subalgoE9EllbEEZZNS1_14partition_implILS5_9ELb0ES3_jPlS8_PNS0_10empty_typeENS0_5tupleIJS8_S9_EEENSB_IJS8_SA_EEENS0_18inequality_wrapperIZN2at6native12_GLOBAL__N_124unique_dim_cuda_templateIbEESt5tupleIJNSF_6TensorESK_SK_EERKSK_lbbbEUlllE0_EEPmJS9_EEE10hipError_tPvRmT3_T4_T5_T6_T7_T9_mT8_P12ihipStream_tbDpT10_ENKUlT_T0_E_clISt17integral_constantIbLb1EES19_IbLb0EEEEDaS15_S16_EUlS15_E_NS1_11comp_targetILNS1_3genE5ELNS1_11target_archE942ELNS1_3gpuE9ELNS1_3repE0EEENS1_30default_config_static_selectorELNS0_4arch9wavefront6targetE0EEEvT1_,@function
_ZN7rocprim17ROCPRIM_400000_NS6detail17trampoline_kernelINS0_14default_configENS1_25partition_config_selectorILNS1_17partition_subalgoE9EllbEEZZNS1_14partition_implILS5_9ELb0ES3_jPlS8_PNS0_10empty_typeENS0_5tupleIJS8_S9_EEENSB_IJS8_SA_EEENS0_18inequality_wrapperIZN2at6native12_GLOBAL__N_124unique_dim_cuda_templateIbEESt5tupleIJNSF_6TensorESK_SK_EERKSK_lbbbEUlllE0_EEPmJS9_EEE10hipError_tPvRmT3_T4_T5_T6_T7_T9_mT8_P12ihipStream_tbDpT10_ENKUlT_T0_E_clISt17integral_constantIbLb1EES19_IbLb0EEEEDaS15_S16_EUlS15_E_NS1_11comp_targetILNS1_3genE5ELNS1_11target_archE942ELNS1_3gpuE9ELNS1_3repE0EEENS1_30default_config_static_selectorELNS0_4arch9wavefront6targetE0EEEvT1_: ; @_ZN7rocprim17ROCPRIM_400000_NS6detail17trampoline_kernelINS0_14default_configENS1_25partition_config_selectorILNS1_17partition_subalgoE9EllbEEZZNS1_14partition_implILS5_9ELb0ES3_jPlS8_PNS0_10empty_typeENS0_5tupleIJS8_S9_EEENSB_IJS8_SA_EEENS0_18inequality_wrapperIZN2at6native12_GLOBAL__N_124unique_dim_cuda_templateIbEESt5tupleIJNSF_6TensorESK_SK_EERKSK_lbbbEUlllE0_EEPmJS9_EEE10hipError_tPvRmT3_T4_T5_T6_T7_T9_mT8_P12ihipStream_tbDpT10_ENKUlT_T0_E_clISt17integral_constantIbLb1EES19_IbLb0EEEEDaS15_S16_EUlS15_E_NS1_11comp_targetILNS1_3genE5ELNS1_11target_archE942ELNS1_3gpuE9ELNS1_3repE0EEENS1_30default_config_static_selectorELNS0_4arch9wavefront6targetE0EEEvT1_
; %bb.0:
	.section	.rodata,"a",@progbits
	.p2align	6, 0x0
	.amdhsa_kernel _ZN7rocprim17ROCPRIM_400000_NS6detail17trampoline_kernelINS0_14default_configENS1_25partition_config_selectorILNS1_17partition_subalgoE9EllbEEZZNS1_14partition_implILS5_9ELb0ES3_jPlS8_PNS0_10empty_typeENS0_5tupleIJS8_S9_EEENSB_IJS8_SA_EEENS0_18inequality_wrapperIZN2at6native12_GLOBAL__N_124unique_dim_cuda_templateIbEESt5tupleIJNSF_6TensorESK_SK_EERKSK_lbbbEUlllE0_EEPmJS9_EEE10hipError_tPvRmT3_T4_T5_T6_T7_T9_mT8_P12ihipStream_tbDpT10_ENKUlT_T0_E_clISt17integral_constantIbLb1EES19_IbLb0EEEEDaS15_S16_EUlS15_E_NS1_11comp_targetILNS1_3genE5ELNS1_11target_archE942ELNS1_3gpuE9ELNS1_3repE0EEENS1_30default_config_static_selectorELNS0_4arch9wavefront6targetE0EEEvT1_
		.amdhsa_group_segment_fixed_size 0
		.amdhsa_private_segment_fixed_size 0
		.amdhsa_kernarg_size 120
		.amdhsa_user_sgpr_count 2
		.amdhsa_user_sgpr_dispatch_ptr 0
		.amdhsa_user_sgpr_queue_ptr 0
		.amdhsa_user_sgpr_kernarg_segment_ptr 1
		.amdhsa_user_sgpr_dispatch_id 0
		.amdhsa_user_sgpr_kernarg_preload_length 0
		.amdhsa_user_sgpr_kernarg_preload_offset 0
		.amdhsa_user_sgpr_private_segment_size 0
		.amdhsa_wavefront_size32 1
		.amdhsa_uses_dynamic_stack 0
		.amdhsa_enable_private_segment 0
		.amdhsa_system_sgpr_workgroup_id_x 1
		.amdhsa_system_sgpr_workgroup_id_y 0
		.amdhsa_system_sgpr_workgroup_id_z 0
		.amdhsa_system_sgpr_workgroup_info 0
		.amdhsa_system_vgpr_workitem_id 0
		.amdhsa_next_free_vgpr 1
		.amdhsa_next_free_sgpr 1
		.amdhsa_named_barrier_count 0
		.amdhsa_reserve_vcc 0
		.amdhsa_float_round_mode_32 0
		.amdhsa_float_round_mode_16_64 0
		.amdhsa_float_denorm_mode_32 3
		.amdhsa_float_denorm_mode_16_64 3
		.amdhsa_fp16_overflow 0
		.amdhsa_memory_ordered 1
		.amdhsa_forward_progress 1
		.amdhsa_inst_pref_size 0
		.amdhsa_round_robin_scheduling 0
		.amdhsa_exception_fp_ieee_invalid_op 0
		.amdhsa_exception_fp_denorm_src 0
		.amdhsa_exception_fp_ieee_div_zero 0
		.amdhsa_exception_fp_ieee_overflow 0
		.amdhsa_exception_fp_ieee_underflow 0
		.amdhsa_exception_fp_ieee_inexact 0
		.amdhsa_exception_int_div_zero 0
	.end_amdhsa_kernel
	.section	.text._ZN7rocprim17ROCPRIM_400000_NS6detail17trampoline_kernelINS0_14default_configENS1_25partition_config_selectorILNS1_17partition_subalgoE9EllbEEZZNS1_14partition_implILS5_9ELb0ES3_jPlS8_PNS0_10empty_typeENS0_5tupleIJS8_S9_EEENSB_IJS8_SA_EEENS0_18inequality_wrapperIZN2at6native12_GLOBAL__N_124unique_dim_cuda_templateIbEESt5tupleIJNSF_6TensorESK_SK_EERKSK_lbbbEUlllE0_EEPmJS9_EEE10hipError_tPvRmT3_T4_T5_T6_T7_T9_mT8_P12ihipStream_tbDpT10_ENKUlT_T0_E_clISt17integral_constantIbLb1EES19_IbLb0EEEEDaS15_S16_EUlS15_E_NS1_11comp_targetILNS1_3genE5ELNS1_11target_archE942ELNS1_3gpuE9ELNS1_3repE0EEENS1_30default_config_static_selectorELNS0_4arch9wavefront6targetE0EEEvT1_,"axG",@progbits,_ZN7rocprim17ROCPRIM_400000_NS6detail17trampoline_kernelINS0_14default_configENS1_25partition_config_selectorILNS1_17partition_subalgoE9EllbEEZZNS1_14partition_implILS5_9ELb0ES3_jPlS8_PNS0_10empty_typeENS0_5tupleIJS8_S9_EEENSB_IJS8_SA_EEENS0_18inequality_wrapperIZN2at6native12_GLOBAL__N_124unique_dim_cuda_templateIbEESt5tupleIJNSF_6TensorESK_SK_EERKSK_lbbbEUlllE0_EEPmJS9_EEE10hipError_tPvRmT3_T4_T5_T6_T7_T9_mT8_P12ihipStream_tbDpT10_ENKUlT_T0_E_clISt17integral_constantIbLb1EES19_IbLb0EEEEDaS15_S16_EUlS15_E_NS1_11comp_targetILNS1_3genE5ELNS1_11target_archE942ELNS1_3gpuE9ELNS1_3repE0EEENS1_30default_config_static_selectorELNS0_4arch9wavefront6targetE0EEEvT1_,comdat
.Lfunc_end1100:
	.size	_ZN7rocprim17ROCPRIM_400000_NS6detail17trampoline_kernelINS0_14default_configENS1_25partition_config_selectorILNS1_17partition_subalgoE9EllbEEZZNS1_14partition_implILS5_9ELb0ES3_jPlS8_PNS0_10empty_typeENS0_5tupleIJS8_S9_EEENSB_IJS8_SA_EEENS0_18inequality_wrapperIZN2at6native12_GLOBAL__N_124unique_dim_cuda_templateIbEESt5tupleIJNSF_6TensorESK_SK_EERKSK_lbbbEUlllE0_EEPmJS9_EEE10hipError_tPvRmT3_T4_T5_T6_T7_T9_mT8_P12ihipStream_tbDpT10_ENKUlT_T0_E_clISt17integral_constantIbLb1EES19_IbLb0EEEEDaS15_S16_EUlS15_E_NS1_11comp_targetILNS1_3genE5ELNS1_11target_archE942ELNS1_3gpuE9ELNS1_3repE0EEENS1_30default_config_static_selectorELNS0_4arch9wavefront6targetE0EEEvT1_, .Lfunc_end1100-_ZN7rocprim17ROCPRIM_400000_NS6detail17trampoline_kernelINS0_14default_configENS1_25partition_config_selectorILNS1_17partition_subalgoE9EllbEEZZNS1_14partition_implILS5_9ELb0ES3_jPlS8_PNS0_10empty_typeENS0_5tupleIJS8_S9_EEENSB_IJS8_SA_EEENS0_18inequality_wrapperIZN2at6native12_GLOBAL__N_124unique_dim_cuda_templateIbEESt5tupleIJNSF_6TensorESK_SK_EERKSK_lbbbEUlllE0_EEPmJS9_EEE10hipError_tPvRmT3_T4_T5_T6_T7_T9_mT8_P12ihipStream_tbDpT10_ENKUlT_T0_E_clISt17integral_constantIbLb1EES19_IbLb0EEEEDaS15_S16_EUlS15_E_NS1_11comp_targetILNS1_3genE5ELNS1_11target_archE942ELNS1_3gpuE9ELNS1_3repE0EEENS1_30default_config_static_selectorELNS0_4arch9wavefront6targetE0EEEvT1_
                                        ; -- End function
	.set _ZN7rocprim17ROCPRIM_400000_NS6detail17trampoline_kernelINS0_14default_configENS1_25partition_config_selectorILNS1_17partition_subalgoE9EllbEEZZNS1_14partition_implILS5_9ELb0ES3_jPlS8_PNS0_10empty_typeENS0_5tupleIJS8_S9_EEENSB_IJS8_SA_EEENS0_18inequality_wrapperIZN2at6native12_GLOBAL__N_124unique_dim_cuda_templateIbEESt5tupleIJNSF_6TensorESK_SK_EERKSK_lbbbEUlllE0_EEPmJS9_EEE10hipError_tPvRmT3_T4_T5_T6_T7_T9_mT8_P12ihipStream_tbDpT10_ENKUlT_T0_E_clISt17integral_constantIbLb1EES19_IbLb0EEEEDaS15_S16_EUlS15_E_NS1_11comp_targetILNS1_3genE5ELNS1_11target_archE942ELNS1_3gpuE9ELNS1_3repE0EEENS1_30default_config_static_selectorELNS0_4arch9wavefront6targetE0EEEvT1_.num_vgpr, 0
	.set _ZN7rocprim17ROCPRIM_400000_NS6detail17trampoline_kernelINS0_14default_configENS1_25partition_config_selectorILNS1_17partition_subalgoE9EllbEEZZNS1_14partition_implILS5_9ELb0ES3_jPlS8_PNS0_10empty_typeENS0_5tupleIJS8_S9_EEENSB_IJS8_SA_EEENS0_18inequality_wrapperIZN2at6native12_GLOBAL__N_124unique_dim_cuda_templateIbEESt5tupleIJNSF_6TensorESK_SK_EERKSK_lbbbEUlllE0_EEPmJS9_EEE10hipError_tPvRmT3_T4_T5_T6_T7_T9_mT8_P12ihipStream_tbDpT10_ENKUlT_T0_E_clISt17integral_constantIbLb1EES19_IbLb0EEEEDaS15_S16_EUlS15_E_NS1_11comp_targetILNS1_3genE5ELNS1_11target_archE942ELNS1_3gpuE9ELNS1_3repE0EEENS1_30default_config_static_selectorELNS0_4arch9wavefront6targetE0EEEvT1_.num_agpr, 0
	.set _ZN7rocprim17ROCPRIM_400000_NS6detail17trampoline_kernelINS0_14default_configENS1_25partition_config_selectorILNS1_17partition_subalgoE9EllbEEZZNS1_14partition_implILS5_9ELb0ES3_jPlS8_PNS0_10empty_typeENS0_5tupleIJS8_S9_EEENSB_IJS8_SA_EEENS0_18inequality_wrapperIZN2at6native12_GLOBAL__N_124unique_dim_cuda_templateIbEESt5tupleIJNSF_6TensorESK_SK_EERKSK_lbbbEUlllE0_EEPmJS9_EEE10hipError_tPvRmT3_T4_T5_T6_T7_T9_mT8_P12ihipStream_tbDpT10_ENKUlT_T0_E_clISt17integral_constantIbLb1EES19_IbLb0EEEEDaS15_S16_EUlS15_E_NS1_11comp_targetILNS1_3genE5ELNS1_11target_archE942ELNS1_3gpuE9ELNS1_3repE0EEENS1_30default_config_static_selectorELNS0_4arch9wavefront6targetE0EEEvT1_.numbered_sgpr, 0
	.set _ZN7rocprim17ROCPRIM_400000_NS6detail17trampoline_kernelINS0_14default_configENS1_25partition_config_selectorILNS1_17partition_subalgoE9EllbEEZZNS1_14partition_implILS5_9ELb0ES3_jPlS8_PNS0_10empty_typeENS0_5tupleIJS8_S9_EEENSB_IJS8_SA_EEENS0_18inequality_wrapperIZN2at6native12_GLOBAL__N_124unique_dim_cuda_templateIbEESt5tupleIJNSF_6TensorESK_SK_EERKSK_lbbbEUlllE0_EEPmJS9_EEE10hipError_tPvRmT3_T4_T5_T6_T7_T9_mT8_P12ihipStream_tbDpT10_ENKUlT_T0_E_clISt17integral_constantIbLb1EES19_IbLb0EEEEDaS15_S16_EUlS15_E_NS1_11comp_targetILNS1_3genE5ELNS1_11target_archE942ELNS1_3gpuE9ELNS1_3repE0EEENS1_30default_config_static_selectorELNS0_4arch9wavefront6targetE0EEEvT1_.num_named_barrier, 0
	.set _ZN7rocprim17ROCPRIM_400000_NS6detail17trampoline_kernelINS0_14default_configENS1_25partition_config_selectorILNS1_17partition_subalgoE9EllbEEZZNS1_14partition_implILS5_9ELb0ES3_jPlS8_PNS0_10empty_typeENS0_5tupleIJS8_S9_EEENSB_IJS8_SA_EEENS0_18inequality_wrapperIZN2at6native12_GLOBAL__N_124unique_dim_cuda_templateIbEESt5tupleIJNSF_6TensorESK_SK_EERKSK_lbbbEUlllE0_EEPmJS9_EEE10hipError_tPvRmT3_T4_T5_T6_T7_T9_mT8_P12ihipStream_tbDpT10_ENKUlT_T0_E_clISt17integral_constantIbLb1EES19_IbLb0EEEEDaS15_S16_EUlS15_E_NS1_11comp_targetILNS1_3genE5ELNS1_11target_archE942ELNS1_3gpuE9ELNS1_3repE0EEENS1_30default_config_static_selectorELNS0_4arch9wavefront6targetE0EEEvT1_.private_seg_size, 0
	.set _ZN7rocprim17ROCPRIM_400000_NS6detail17trampoline_kernelINS0_14default_configENS1_25partition_config_selectorILNS1_17partition_subalgoE9EllbEEZZNS1_14partition_implILS5_9ELb0ES3_jPlS8_PNS0_10empty_typeENS0_5tupleIJS8_S9_EEENSB_IJS8_SA_EEENS0_18inequality_wrapperIZN2at6native12_GLOBAL__N_124unique_dim_cuda_templateIbEESt5tupleIJNSF_6TensorESK_SK_EERKSK_lbbbEUlllE0_EEPmJS9_EEE10hipError_tPvRmT3_T4_T5_T6_T7_T9_mT8_P12ihipStream_tbDpT10_ENKUlT_T0_E_clISt17integral_constantIbLb1EES19_IbLb0EEEEDaS15_S16_EUlS15_E_NS1_11comp_targetILNS1_3genE5ELNS1_11target_archE942ELNS1_3gpuE9ELNS1_3repE0EEENS1_30default_config_static_selectorELNS0_4arch9wavefront6targetE0EEEvT1_.uses_vcc, 0
	.set _ZN7rocprim17ROCPRIM_400000_NS6detail17trampoline_kernelINS0_14default_configENS1_25partition_config_selectorILNS1_17partition_subalgoE9EllbEEZZNS1_14partition_implILS5_9ELb0ES3_jPlS8_PNS0_10empty_typeENS0_5tupleIJS8_S9_EEENSB_IJS8_SA_EEENS0_18inequality_wrapperIZN2at6native12_GLOBAL__N_124unique_dim_cuda_templateIbEESt5tupleIJNSF_6TensorESK_SK_EERKSK_lbbbEUlllE0_EEPmJS9_EEE10hipError_tPvRmT3_T4_T5_T6_T7_T9_mT8_P12ihipStream_tbDpT10_ENKUlT_T0_E_clISt17integral_constantIbLb1EES19_IbLb0EEEEDaS15_S16_EUlS15_E_NS1_11comp_targetILNS1_3genE5ELNS1_11target_archE942ELNS1_3gpuE9ELNS1_3repE0EEENS1_30default_config_static_selectorELNS0_4arch9wavefront6targetE0EEEvT1_.uses_flat_scratch, 0
	.set _ZN7rocprim17ROCPRIM_400000_NS6detail17trampoline_kernelINS0_14default_configENS1_25partition_config_selectorILNS1_17partition_subalgoE9EllbEEZZNS1_14partition_implILS5_9ELb0ES3_jPlS8_PNS0_10empty_typeENS0_5tupleIJS8_S9_EEENSB_IJS8_SA_EEENS0_18inequality_wrapperIZN2at6native12_GLOBAL__N_124unique_dim_cuda_templateIbEESt5tupleIJNSF_6TensorESK_SK_EERKSK_lbbbEUlllE0_EEPmJS9_EEE10hipError_tPvRmT3_T4_T5_T6_T7_T9_mT8_P12ihipStream_tbDpT10_ENKUlT_T0_E_clISt17integral_constantIbLb1EES19_IbLb0EEEEDaS15_S16_EUlS15_E_NS1_11comp_targetILNS1_3genE5ELNS1_11target_archE942ELNS1_3gpuE9ELNS1_3repE0EEENS1_30default_config_static_selectorELNS0_4arch9wavefront6targetE0EEEvT1_.has_dyn_sized_stack, 0
	.set _ZN7rocprim17ROCPRIM_400000_NS6detail17trampoline_kernelINS0_14default_configENS1_25partition_config_selectorILNS1_17partition_subalgoE9EllbEEZZNS1_14partition_implILS5_9ELb0ES3_jPlS8_PNS0_10empty_typeENS0_5tupleIJS8_S9_EEENSB_IJS8_SA_EEENS0_18inequality_wrapperIZN2at6native12_GLOBAL__N_124unique_dim_cuda_templateIbEESt5tupleIJNSF_6TensorESK_SK_EERKSK_lbbbEUlllE0_EEPmJS9_EEE10hipError_tPvRmT3_T4_T5_T6_T7_T9_mT8_P12ihipStream_tbDpT10_ENKUlT_T0_E_clISt17integral_constantIbLb1EES19_IbLb0EEEEDaS15_S16_EUlS15_E_NS1_11comp_targetILNS1_3genE5ELNS1_11target_archE942ELNS1_3gpuE9ELNS1_3repE0EEENS1_30default_config_static_selectorELNS0_4arch9wavefront6targetE0EEEvT1_.has_recursion, 0
	.set _ZN7rocprim17ROCPRIM_400000_NS6detail17trampoline_kernelINS0_14default_configENS1_25partition_config_selectorILNS1_17partition_subalgoE9EllbEEZZNS1_14partition_implILS5_9ELb0ES3_jPlS8_PNS0_10empty_typeENS0_5tupleIJS8_S9_EEENSB_IJS8_SA_EEENS0_18inequality_wrapperIZN2at6native12_GLOBAL__N_124unique_dim_cuda_templateIbEESt5tupleIJNSF_6TensorESK_SK_EERKSK_lbbbEUlllE0_EEPmJS9_EEE10hipError_tPvRmT3_T4_T5_T6_T7_T9_mT8_P12ihipStream_tbDpT10_ENKUlT_T0_E_clISt17integral_constantIbLb1EES19_IbLb0EEEEDaS15_S16_EUlS15_E_NS1_11comp_targetILNS1_3genE5ELNS1_11target_archE942ELNS1_3gpuE9ELNS1_3repE0EEENS1_30default_config_static_selectorELNS0_4arch9wavefront6targetE0EEEvT1_.has_indirect_call, 0
	.section	.AMDGPU.csdata,"",@progbits
; Kernel info:
; codeLenInByte = 0
; TotalNumSgprs: 0
; NumVgprs: 0
; ScratchSize: 0
; MemoryBound: 0
; FloatMode: 240
; IeeeMode: 1
; LDSByteSize: 0 bytes/workgroup (compile time only)
; SGPRBlocks: 0
; VGPRBlocks: 0
; NumSGPRsForWavesPerEU: 1
; NumVGPRsForWavesPerEU: 1
; NamedBarCnt: 0
; Occupancy: 16
; WaveLimiterHint : 0
; COMPUTE_PGM_RSRC2:SCRATCH_EN: 0
; COMPUTE_PGM_RSRC2:USER_SGPR: 2
; COMPUTE_PGM_RSRC2:TRAP_HANDLER: 0
; COMPUTE_PGM_RSRC2:TGID_X_EN: 1
; COMPUTE_PGM_RSRC2:TGID_Y_EN: 0
; COMPUTE_PGM_RSRC2:TGID_Z_EN: 0
; COMPUTE_PGM_RSRC2:TIDIG_COMP_CNT: 0
	.section	.text._ZN7rocprim17ROCPRIM_400000_NS6detail17trampoline_kernelINS0_14default_configENS1_25partition_config_selectorILNS1_17partition_subalgoE9EllbEEZZNS1_14partition_implILS5_9ELb0ES3_jPlS8_PNS0_10empty_typeENS0_5tupleIJS8_S9_EEENSB_IJS8_SA_EEENS0_18inequality_wrapperIZN2at6native12_GLOBAL__N_124unique_dim_cuda_templateIbEESt5tupleIJNSF_6TensorESK_SK_EERKSK_lbbbEUlllE0_EEPmJS9_EEE10hipError_tPvRmT3_T4_T5_T6_T7_T9_mT8_P12ihipStream_tbDpT10_ENKUlT_T0_E_clISt17integral_constantIbLb1EES19_IbLb0EEEEDaS15_S16_EUlS15_E_NS1_11comp_targetILNS1_3genE4ELNS1_11target_archE910ELNS1_3gpuE8ELNS1_3repE0EEENS1_30default_config_static_selectorELNS0_4arch9wavefront6targetE0EEEvT1_,"axG",@progbits,_ZN7rocprim17ROCPRIM_400000_NS6detail17trampoline_kernelINS0_14default_configENS1_25partition_config_selectorILNS1_17partition_subalgoE9EllbEEZZNS1_14partition_implILS5_9ELb0ES3_jPlS8_PNS0_10empty_typeENS0_5tupleIJS8_S9_EEENSB_IJS8_SA_EEENS0_18inequality_wrapperIZN2at6native12_GLOBAL__N_124unique_dim_cuda_templateIbEESt5tupleIJNSF_6TensorESK_SK_EERKSK_lbbbEUlllE0_EEPmJS9_EEE10hipError_tPvRmT3_T4_T5_T6_T7_T9_mT8_P12ihipStream_tbDpT10_ENKUlT_T0_E_clISt17integral_constantIbLb1EES19_IbLb0EEEEDaS15_S16_EUlS15_E_NS1_11comp_targetILNS1_3genE4ELNS1_11target_archE910ELNS1_3gpuE8ELNS1_3repE0EEENS1_30default_config_static_selectorELNS0_4arch9wavefront6targetE0EEEvT1_,comdat
	.globl	_ZN7rocprim17ROCPRIM_400000_NS6detail17trampoline_kernelINS0_14default_configENS1_25partition_config_selectorILNS1_17partition_subalgoE9EllbEEZZNS1_14partition_implILS5_9ELb0ES3_jPlS8_PNS0_10empty_typeENS0_5tupleIJS8_S9_EEENSB_IJS8_SA_EEENS0_18inequality_wrapperIZN2at6native12_GLOBAL__N_124unique_dim_cuda_templateIbEESt5tupleIJNSF_6TensorESK_SK_EERKSK_lbbbEUlllE0_EEPmJS9_EEE10hipError_tPvRmT3_T4_T5_T6_T7_T9_mT8_P12ihipStream_tbDpT10_ENKUlT_T0_E_clISt17integral_constantIbLb1EES19_IbLb0EEEEDaS15_S16_EUlS15_E_NS1_11comp_targetILNS1_3genE4ELNS1_11target_archE910ELNS1_3gpuE8ELNS1_3repE0EEENS1_30default_config_static_selectorELNS0_4arch9wavefront6targetE0EEEvT1_ ; -- Begin function _ZN7rocprim17ROCPRIM_400000_NS6detail17trampoline_kernelINS0_14default_configENS1_25partition_config_selectorILNS1_17partition_subalgoE9EllbEEZZNS1_14partition_implILS5_9ELb0ES3_jPlS8_PNS0_10empty_typeENS0_5tupleIJS8_S9_EEENSB_IJS8_SA_EEENS0_18inequality_wrapperIZN2at6native12_GLOBAL__N_124unique_dim_cuda_templateIbEESt5tupleIJNSF_6TensorESK_SK_EERKSK_lbbbEUlllE0_EEPmJS9_EEE10hipError_tPvRmT3_T4_T5_T6_T7_T9_mT8_P12ihipStream_tbDpT10_ENKUlT_T0_E_clISt17integral_constantIbLb1EES19_IbLb0EEEEDaS15_S16_EUlS15_E_NS1_11comp_targetILNS1_3genE4ELNS1_11target_archE910ELNS1_3gpuE8ELNS1_3repE0EEENS1_30default_config_static_selectorELNS0_4arch9wavefront6targetE0EEEvT1_
	.p2align	8
	.type	_ZN7rocprim17ROCPRIM_400000_NS6detail17trampoline_kernelINS0_14default_configENS1_25partition_config_selectorILNS1_17partition_subalgoE9EllbEEZZNS1_14partition_implILS5_9ELb0ES3_jPlS8_PNS0_10empty_typeENS0_5tupleIJS8_S9_EEENSB_IJS8_SA_EEENS0_18inequality_wrapperIZN2at6native12_GLOBAL__N_124unique_dim_cuda_templateIbEESt5tupleIJNSF_6TensorESK_SK_EERKSK_lbbbEUlllE0_EEPmJS9_EEE10hipError_tPvRmT3_T4_T5_T6_T7_T9_mT8_P12ihipStream_tbDpT10_ENKUlT_T0_E_clISt17integral_constantIbLb1EES19_IbLb0EEEEDaS15_S16_EUlS15_E_NS1_11comp_targetILNS1_3genE4ELNS1_11target_archE910ELNS1_3gpuE8ELNS1_3repE0EEENS1_30default_config_static_selectorELNS0_4arch9wavefront6targetE0EEEvT1_,@function
_ZN7rocprim17ROCPRIM_400000_NS6detail17trampoline_kernelINS0_14default_configENS1_25partition_config_selectorILNS1_17partition_subalgoE9EllbEEZZNS1_14partition_implILS5_9ELb0ES3_jPlS8_PNS0_10empty_typeENS0_5tupleIJS8_S9_EEENSB_IJS8_SA_EEENS0_18inequality_wrapperIZN2at6native12_GLOBAL__N_124unique_dim_cuda_templateIbEESt5tupleIJNSF_6TensorESK_SK_EERKSK_lbbbEUlllE0_EEPmJS9_EEE10hipError_tPvRmT3_T4_T5_T6_T7_T9_mT8_P12ihipStream_tbDpT10_ENKUlT_T0_E_clISt17integral_constantIbLb1EES19_IbLb0EEEEDaS15_S16_EUlS15_E_NS1_11comp_targetILNS1_3genE4ELNS1_11target_archE910ELNS1_3gpuE8ELNS1_3repE0EEENS1_30default_config_static_selectorELNS0_4arch9wavefront6targetE0EEEvT1_: ; @_ZN7rocprim17ROCPRIM_400000_NS6detail17trampoline_kernelINS0_14default_configENS1_25partition_config_selectorILNS1_17partition_subalgoE9EllbEEZZNS1_14partition_implILS5_9ELb0ES3_jPlS8_PNS0_10empty_typeENS0_5tupleIJS8_S9_EEENSB_IJS8_SA_EEENS0_18inequality_wrapperIZN2at6native12_GLOBAL__N_124unique_dim_cuda_templateIbEESt5tupleIJNSF_6TensorESK_SK_EERKSK_lbbbEUlllE0_EEPmJS9_EEE10hipError_tPvRmT3_T4_T5_T6_T7_T9_mT8_P12ihipStream_tbDpT10_ENKUlT_T0_E_clISt17integral_constantIbLb1EES19_IbLb0EEEEDaS15_S16_EUlS15_E_NS1_11comp_targetILNS1_3genE4ELNS1_11target_archE910ELNS1_3gpuE8ELNS1_3repE0EEENS1_30default_config_static_selectorELNS0_4arch9wavefront6targetE0EEEvT1_
; %bb.0:
	.section	.rodata,"a",@progbits
	.p2align	6, 0x0
	.amdhsa_kernel _ZN7rocprim17ROCPRIM_400000_NS6detail17trampoline_kernelINS0_14default_configENS1_25partition_config_selectorILNS1_17partition_subalgoE9EllbEEZZNS1_14partition_implILS5_9ELb0ES3_jPlS8_PNS0_10empty_typeENS0_5tupleIJS8_S9_EEENSB_IJS8_SA_EEENS0_18inequality_wrapperIZN2at6native12_GLOBAL__N_124unique_dim_cuda_templateIbEESt5tupleIJNSF_6TensorESK_SK_EERKSK_lbbbEUlllE0_EEPmJS9_EEE10hipError_tPvRmT3_T4_T5_T6_T7_T9_mT8_P12ihipStream_tbDpT10_ENKUlT_T0_E_clISt17integral_constantIbLb1EES19_IbLb0EEEEDaS15_S16_EUlS15_E_NS1_11comp_targetILNS1_3genE4ELNS1_11target_archE910ELNS1_3gpuE8ELNS1_3repE0EEENS1_30default_config_static_selectorELNS0_4arch9wavefront6targetE0EEEvT1_
		.amdhsa_group_segment_fixed_size 0
		.amdhsa_private_segment_fixed_size 0
		.amdhsa_kernarg_size 120
		.amdhsa_user_sgpr_count 2
		.amdhsa_user_sgpr_dispatch_ptr 0
		.amdhsa_user_sgpr_queue_ptr 0
		.amdhsa_user_sgpr_kernarg_segment_ptr 1
		.amdhsa_user_sgpr_dispatch_id 0
		.amdhsa_user_sgpr_kernarg_preload_length 0
		.amdhsa_user_sgpr_kernarg_preload_offset 0
		.amdhsa_user_sgpr_private_segment_size 0
		.amdhsa_wavefront_size32 1
		.amdhsa_uses_dynamic_stack 0
		.amdhsa_enable_private_segment 0
		.amdhsa_system_sgpr_workgroup_id_x 1
		.amdhsa_system_sgpr_workgroup_id_y 0
		.amdhsa_system_sgpr_workgroup_id_z 0
		.amdhsa_system_sgpr_workgroup_info 0
		.amdhsa_system_vgpr_workitem_id 0
		.amdhsa_next_free_vgpr 1
		.amdhsa_next_free_sgpr 1
		.amdhsa_named_barrier_count 0
		.amdhsa_reserve_vcc 0
		.amdhsa_float_round_mode_32 0
		.amdhsa_float_round_mode_16_64 0
		.amdhsa_float_denorm_mode_32 3
		.amdhsa_float_denorm_mode_16_64 3
		.amdhsa_fp16_overflow 0
		.amdhsa_memory_ordered 1
		.amdhsa_forward_progress 1
		.amdhsa_inst_pref_size 0
		.amdhsa_round_robin_scheduling 0
		.amdhsa_exception_fp_ieee_invalid_op 0
		.amdhsa_exception_fp_denorm_src 0
		.amdhsa_exception_fp_ieee_div_zero 0
		.amdhsa_exception_fp_ieee_overflow 0
		.amdhsa_exception_fp_ieee_underflow 0
		.amdhsa_exception_fp_ieee_inexact 0
		.amdhsa_exception_int_div_zero 0
	.end_amdhsa_kernel
	.section	.text._ZN7rocprim17ROCPRIM_400000_NS6detail17trampoline_kernelINS0_14default_configENS1_25partition_config_selectorILNS1_17partition_subalgoE9EllbEEZZNS1_14partition_implILS5_9ELb0ES3_jPlS8_PNS0_10empty_typeENS0_5tupleIJS8_S9_EEENSB_IJS8_SA_EEENS0_18inequality_wrapperIZN2at6native12_GLOBAL__N_124unique_dim_cuda_templateIbEESt5tupleIJNSF_6TensorESK_SK_EERKSK_lbbbEUlllE0_EEPmJS9_EEE10hipError_tPvRmT3_T4_T5_T6_T7_T9_mT8_P12ihipStream_tbDpT10_ENKUlT_T0_E_clISt17integral_constantIbLb1EES19_IbLb0EEEEDaS15_S16_EUlS15_E_NS1_11comp_targetILNS1_3genE4ELNS1_11target_archE910ELNS1_3gpuE8ELNS1_3repE0EEENS1_30default_config_static_selectorELNS0_4arch9wavefront6targetE0EEEvT1_,"axG",@progbits,_ZN7rocprim17ROCPRIM_400000_NS6detail17trampoline_kernelINS0_14default_configENS1_25partition_config_selectorILNS1_17partition_subalgoE9EllbEEZZNS1_14partition_implILS5_9ELb0ES3_jPlS8_PNS0_10empty_typeENS0_5tupleIJS8_S9_EEENSB_IJS8_SA_EEENS0_18inequality_wrapperIZN2at6native12_GLOBAL__N_124unique_dim_cuda_templateIbEESt5tupleIJNSF_6TensorESK_SK_EERKSK_lbbbEUlllE0_EEPmJS9_EEE10hipError_tPvRmT3_T4_T5_T6_T7_T9_mT8_P12ihipStream_tbDpT10_ENKUlT_T0_E_clISt17integral_constantIbLb1EES19_IbLb0EEEEDaS15_S16_EUlS15_E_NS1_11comp_targetILNS1_3genE4ELNS1_11target_archE910ELNS1_3gpuE8ELNS1_3repE0EEENS1_30default_config_static_selectorELNS0_4arch9wavefront6targetE0EEEvT1_,comdat
.Lfunc_end1101:
	.size	_ZN7rocprim17ROCPRIM_400000_NS6detail17trampoline_kernelINS0_14default_configENS1_25partition_config_selectorILNS1_17partition_subalgoE9EllbEEZZNS1_14partition_implILS5_9ELb0ES3_jPlS8_PNS0_10empty_typeENS0_5tupleIJS8_S9_EEENSB_IJS8_SA_EEENS0_18inequality_wrapperIZN2at6native12_GLOBAL__N_124unique_dim_cuda_templateIbEESt5tupleIJNSF_6TensorESK_SK_EERKSK_lbbbEUlllE0_EEPmJS9_EEE10hipError_tPvRmT3_T4_T5_T6_T7_T9_mT8_P12ihipStream_tbDpT10_ENKUlT_T0_E_clISt17integral_constantIbLb1EES19_IbLb0EEEEDaS15_S16_EUlS15_E_NS1_11comp_targetILNS1_3genE4ELNS1_11target_archE910ELNS1_3gpuE8ELNS1_3repE0EEENS1_30default_config_static_selectorELNS0_4arch9wavefront6targetE0EEEvT1_, .Lfunc_end1101-_ZN7rocprim17ROCPRIM_400000_NS6detail17trampoline_kernelINS0_14default_configENS1_25partition_config_selectorILNS1_17partition_subalgoE9EllbEEZZNS1_14partition_implILS5_9ELb0ES3_jPlS8_PNS0_10empty_typeENS0_5tupleIJS8_S9_EEENSB_IJS8_SA_EEENS0_18inequality_wrapperIZN2at6native12_GLOBAL__N_124unique_dim_cuda_templateIbEESt5tupleIJNSF_6TensorESK_SK_EERKSK_lbbbEUlllE0_EEPmJS9_EEE10hipError_tPvRmT3_T4_T5_T6_T7_T9_mT8_P12ihipStream_tbDpT10_ENKUlT_T0_E_clISt17integral_constantIbLb1EES19_IbLb0EEEEDaS15_S16_EUlS15_E_NS1_11comp_targetILNS1_3genE4ELNS1_11target_archE910ELNS1_3gpuE8ELNS1_3repE0EEENS1_30default_config_static_selectorELNS0_4arch9wavefront6targetE0EEEvT1_
                                        ; -- End function
	.set _ZN7rocprim17ROCPRIM_400000_NS6detail17trampoline_kernelINS0_14default_configENS1_25partition_config_selectorILNS1_17partition_subalgoE9EllbEEZZNS1_14partition_implILS5_9ELb0ES3_jPlS8_PNS0_10empty_typeENS0_5tupleIJS8_S9_EEENSB_IJS8_SA_EEENS0_18inequality_wrapperIZN2at6native12_GLOBAL__N_124unique_dim_cuda_templateIbEESt5tupleIJNSF_6TensorESK_SK_EERKSK_lbbbEUlllE0_EEPmJS9_EEE10hipError_tPvRmT3_T4_T5_T6_T7_T9_mT8_P12ihipStream_tbDpT10_ENKUlT_T0_E_clISt17integral_constantIbLb1EES19_IbLb0EEEEDaS15_S16_EUlS15_E_NS1_11comp_targetILNS1_3genE4ELNS1_11target_archE910ELNS1_3gpuE8ELNS1_3repE0EEENS1_30default_config_static_selectorELNS0_4arch9wavefront6targetE0EEEvT1_.num_vgpr, 0
	.set _ZN7rocprim17ROCPRIM_400000_NS6detail17trampoline_kernelINS0_14default_configENS1_25partition_config_selectorILNS1_17partition_subalgoE9EllbEEZZNS1_14partition_implILS5_9ELb0ES3_jPlS8_PNS0_10empty_typeENS0_5tupleIJS8_S9_EEENSB_IJS8_SA_EEENS0_18inequality_wrapperIZN2at6native12_GLOBAL__N_124unique_dim_cuda_templateIbEESt5tupleIJNSF_6TensorESK_SK_EERKSK_lbbbEUlllE0_EEPmJS9_EEE10hipError_tPvRmT3_T4_T5_T6_T7_T9_mT8_P12ihipStream_tbDpT10_ENKUlT_T0_E_clISt17integral_constantIbLb1EES19_IbLb0EEEEDaS15_S16_EUlS15_E_NS1_11comp_targetILNS1_3genE4ELNS1_11target_archE910ELNS1_3gpuE8ELNS1_3repE0EEENS1_30default_config_static_selectorELNS0_4arch9wavefront6targetE0EEEvT1_.num_agpr, 0
	.set _ZN7rocprim17ROCPRIM_400000_NS6detail17trampoline_kernelINS0_14default_configENS1_25partition_config_selectorILNS1_17partition_subalgoE9EllbEEZZNS1_14partition_implILS5_9ELb0ES3_jPlS8_PNS0_10empty_typeENS0_5tupleIJS8_S9_EEENSB_IJS8_SA_EEENS0_18inequality_wrapperIZN2at6native12_GLOBAL__N_124unique_dim_cuda_templateIbEESt5tupleIJNSF_6TensorESK_SK_EERKSK_lbbbEUlllE0_EEPmJS9_EEE10hipError_tPvRmT3_T4_T5_T6_T7_T9_mT8_P12ihipStream_tbDpT10_ENKUlT_T0_E_clISt17integral_constantIbLb1EES19_IbLb0EEEEDaS15_S16_EUlS15_E_NS1_11comp_targetILNS1_3genE4ELNS1_11target_archE910ELNS1_3gpuE8ELNS1_3repE0EEENS1_30default_config_static_selectorELNS0_4arch9wavefront6targetE0EEEvT1_.numbered_sgpr, 0
	.set _ZN7rocprim17ROCPRIM_400000_NS6detail17trampoline_kernelINS0_14default_configENS1_25partition_config_selectorILNS1_17partition_subalgoE9EllbEEZZNS1_14partition_implILS5_9ELb0ES3_jPlS8_PNS0_10empty_typeENS0_5tupleIJS8_S9_EEENSB_IJS8_SA_EEENS0_18inequality_wrapperIZN2at6native12_GLOBAL__N_124unique_dim_cuda_templateIbEESt5tupleIJNSF_6TensorESK_SK_EERKSK_lbbbEUlllE0_EEPmJS9_EEE10hipError_tPvRmT3_T4_T5_T6_T7_T9_mT8_P12ihipStream_tbDpT10_ENKUlT_T0_E_clISt17integral_constantIbLb1EES19_IbLb0EEEEDaS15_S16_EUlS15_E_NS1_11comp_targetILNS1_3genE4ELNS1_11target_archE910ELNS1_3gpuE8ELNS1_3repE0EEENS1_30default_config_static_selectorELNS0_4arch9wavefront6targetE0EEEvT1_.num_named_barrier, 0
	.set _ZN7rocprim17ROCPRIM_400000_NS6detail17trampoline_kernelINS0_14default_configENS1_25partition_config_selectorILNS1_17partition_subalgoE9EllbEEZZNS1_14partition_implILS5_9ELb0ES3_jPlS8_PNS0_10empty_typeENS0_5tupleIJS8_S9_EEENSB_IJS8_SA_EEENS0_18inequality_wrapperIZN2at6native12_GLOBAL__N_124unique_dim_cuda_templateIbEESt5tupleIJNSF_6TensorESK_SK_EERKSK_lbbbEUlllE0_EEPmJS9_EEE10hipError_tPvRmT3_T4_T5_T6_T7_T9_mT8_P12ihipStream_tbDpT10_ENKUlT_T0_E_clISt17integral_constantIbLb1EES19_IbLb0EEEEDaS15_S16_EUlS15_E_NS1_11comp_targetILNS1_3genE4ELNS1_11target_archE910ELNS1_3gpuE8ELNS1_3repE0EEENS1_30default_config_static_selectorELNS0_4arch9wavefront6targetE0EEEvT1_.private_seg_size, 0
	.set _ZN7rocprim17ROCPRIM_400000_NS6detail17trampoline_kernelINS0_14default_configENS1_25partition_config_selectorILNS1_17partition_subalgoE9EllbEEZZNS1_14partition_implILS5_9ELb0ES3_jPlS8_PNS0_10empty_typeENS0_5tupleIJS8_S9_EEENSB_IJS8_SA_EEENS0_18inequality_wrapperIZN2at6native12_GLOBAL__N_124unique_dim_cuda_templateIbEESt5tupleIJNSF_6TensorESK_SK_EERKSK_lbbbEUlllE0_EEPmJS9_EEE10hipError_tPvRmT3_T4_T5_T6_T7_T9_mT8_P12ihipStream_tbDpT10_ENKUlT_T0_E_clISt17integral_constantIbLb1EES19_IbLb0EEEEDaS15_S16_EUlS15_E_NS1_11comp_targetILNS1_3genE4ELNS1_11target_archE910ELNS1_3gpuE8ELNS1_3repE0EEENS1_30default_config_static_selectorELNS0_4arch9wavefront6targetE0EEEvT1_.uses_vcc, 0
	.set _ZN7rocprim17ROCPRIM_400000_NS6detail17trampoline_kernelINS0_14default_configENS1_25partition_config_selectorILNS1_17partition_subalgoE9EllbEEZZNS1_14partition_implILS5_9ELb0ES3_jPlS8_PNS0_10empty_typeENS0_5tupleIJS8_S9_EEENSB_IJS8_SA_EEENS0_18inequality_wrapperIZN2at6native12_GLOBAL__N_124unique_dim_cuda_templateIbEESt5tupleIJNSF_6TensorESK_SK_EERKSK_lbbbEUlllE0_EEPmJS9_EEE10hipError_tPvRmT3_T4_T5_T6_T7_T9_mT8_P12ihipStream_tbDpT10_ENKUlT_T0_E_clISt17integral_constantIbLb1EES19_IbLb0EEEEDaS15_S16_EUlS15_E_NS1_11comp_targetILNS1_3genE4ELNS1_11target_archE910ELNS1_3gpuE8ELNS1_3repE0EEENS1_30default_config_static_selectorELNS0_4arch9wavefront6targetE0EEEvT1_.uses_flat_scratch, 0
	.set _ZN7rocprim17ROCPRIM_400000_NS6detail17trampoline_kernelINS0_14default_configENS1_25partition_config_selectorILNS1_17partition_subalgoE9EllbEEZZNS1_14partition_implILS5_9ELb0ES3_jPlS8_PNS0_10empty_typeENS0_5tupleIJS8_S9_EEENSB_IJS8_SA_EEENS0_18inequality_wrapperIZN2at6native12_GLOBAL__N_124unique_dim_cuda_templateIbEESt5tupleIJNSF_6TensorESK_SK_EERKSK_lbbbEUlllE0_EEPmJS9_EEE10hipError_tPvRmT3_T4_T5_T6_T7_T9_mT8_P12ihipStream_tbDpT10_ENKUlT_T0_E_clISt17integral_constantIbLb1EES19_IbLb0EEEEDaS15_S16_EUlS15_E_NS1_11comp_targetILNS1_3genE4ELNS1_11target_archE910ELNS1_3gpuE8ELNS1_3repE0EEENS1_30default_config_static_selectorELNS0_4arch9wavefront6targetE0EEEvT1_.has_dyn_sized_stack, 0
	.set _ZN7rocprim17ROCPRIM_400000_NS6detail17trampoline_kernelINS0_14default_configENS1_25partition_config_selectorILNS1_17partition_subalgoE9EllbEEZZNS1_14partition_implILS5_9ELb0ES3_jPlS8_PNS0_10empty_typeENS0_5tupleIJS8_S9_EEENSB_IJS8_SA_EEENS0_18inequality_wrapperIZN2at6native12_GLOBAL__N_124unique_dim_cuda_templateIbEESt5tupleIJNSF_6TensorESK_SK_EERKSK_lbbbEUlllE0_EEPmJS9_EEE10hipError_tPvRmT3_T4_T5_T6_T7_T9_mT8_P12ihipStream_tbDpT10_ENKUlT_T0_E_clISt17integral_constantIbLb1EES19_IbLb0EEEEDaS15_S16_EUlS15_E_NS1_11comp_targetILNS1_3genE4ELNS1_11target_archE910ELNS1_3gpuE8ELNS1_3repE0EEENS1_30default_config_static_selectorELNS0_4arch9wavefront6targetE0EEEvT1_.has_recursion, 0
	.set _ZN7rocprim17ROCPRIM_400000_NS6detail17trampoline_kernelINS0_14default_configENS1_25partition_config_selectorILNS1_17partition_subalgoE9EllbEEZZNS1_14partition_implILS5_9ELb0ES3_jPlS8_PNS0_10empty_typeENS0_5tupleIJS8_S9_EEENSB_IJS8_SA_EEENS0_18inequality_wrapperIZN2at6native12_GLOBAL__N_124unique_dim_cuda_templateIbEESt5tupleIJNSF_6TensorESK_SK_EERKSK_lbbbEUlllE0_EEPmJS9_EEE10hipError_tPvRmT3_T4_T5_T6_T7_T9_mT8_P12ihipStream_tbDpT10_ENKUlT_T0_E_clISt17integral_constantIbLb1EES19_IbLb0EEEEDaS15_S16_EUlS15_E_NS1_11comp_targetILNS1_3genE4ELNS1_11target_archE910ELNS1_3gpuE8ELNS1_3repE0EEENS1_30default_config_static_selectorELNS0_4arch9wavefront6targetE0EEEvT1_.has_indirect_call, 0
	.section	.AMDGPU.csdata,"",@progbits
; Kernel info:
; codeLenInByte = 0
; TotalNumSgprs: 0
; NumVgprs: 0
; ScratchSize: 0
; MemoryBound: 0
; FloatMode: 240
; IeeeMode: 1
; LDSByteSize: 0 bytes/workgroup (compile time only)
; SGPRBlocks: 0
; VGPRBlocks: 0
; NumSGPRsForWavesPerEU: 1
; NumVGPRsForWavesPerEU: 1
; NamedBarCnt: 0
; Occupancy: 16
; WaveLimiterHint : 0
; COMPUTE_PGM_RSRC2:SCRATCH_EN: 0
; COMPUTE_PGM_RSRC2:USER_SGPR: 2
; COMPUTE_PGM_RSRC2:TRAP_HANDLER: 0
; COMPUTE_PGM_RSRC2:TGID_X_EN: 1
; COMPUTE_PGM_RSRC2:TGID_Y_EN: 0
; COMPUTE_PGM_RSRC2:TGID_Z_EN: 0
; COMPUTE_PGM_RSRC2:TIDIG_COMP_CNT: 0
	.section	.text._ZN7rocprim17ROCPRIM_400000_NS6detail17trampoline_kernelINS0_14default_configENS1_25partition_config_selectorILNS1_17partition_subalgoE9EllbEEZZNS1_14partition_implILS5_9ELb0ES3_jPlS8_PNS0_10empty_typeENS0_5tupleIJS8_S9_EEENSB_IJS8_SA_EEENS0_18inequality_wrapperIZN2at6native12_GLOBAL__N_124unique_dim_cuda_templateIbEESt5tupleIJNSF_6TensorESK_SK_EERKSK_lbbbEUlllE0_EEPmJS9_EEE10hipError_tPvRmT3_T4_T5_T6_T7_T9_mT8_P12ihipStream_tbDpT10_ENKUlT_T0_E_clISt17integral_constantIbLb1EES19_IbLb0EEEEDaS15_S16_EUlS15_E_NS1_11comp_targetILNS1_3genE3ELNS1_11target_archE908ELNS1_3gpuE7ELNS1_3repE0EEENS1_30default_config_static_selectorELNS0_4arch9wavefront6targetE0EEEvT1_,"axG",@progbits,_ZN7rocprim17ROCPRIM_400000_NS6detail17trampoline_kernelINS0_14default_configENS1_25partition_config_selectorILNS1_17partition_subalgoE9EllbEEZZNS1_14partition_implILS5_9ELb0ES3_jPlS8_PNS0_10empty_typeENS0_5tupleIJS8_S9_EEENSB_IJS8_SA_EEENS0_18inequality_wrapperIZN2at6native12_GLOBAL__N_124unique_dim_cuda_templateIbEESt5tupleIJNSF_6TensorESK_SK_EERKSK_lbbbEUlllE0_EEPmJS9_EEE10hipError_tPvRmT3_T4_T5_T6_T7_T9_mT8_P12ihipStream_tbDpT10_ENKUlT_T0_E_clISt17integral_constantIbLb1EES19_IbLb0EEEEDaS15_S16_EUlS15_E_NS1_11comp_targetILNS1_3genE3ELNS1_11target_archE908ELNS1_3gpuE7ELNS1_3repE0EEENS1_30default_config_static_selectorELNS0_4arch9wavefront6targetE0EEEvT1_,comdat
	.globl	_ZN7rocprim17ROCPRIM_400000_NS6detail17trampoline_kernelINS0_14default_configENS1_25partition_config_selectorILNS1_17partition_subalgoE9EllbEEZZNS1_14partition_implILS5_9ELb0ES3_jPlS8_PNS0_10empty_typeENS0_5tupleIJS8_S9_EEENSB_IJS8_SA_EEENS0_18inequality_wrapperIZN2at6native12_GLOBAL__N_124unique_dim_cuda_templateIbEESt5tupleIJNSF_6TensorESK_SK_EERKSK_lbbbEUlllE0_EEPmJS9_EEE10hipError_tPvRmT3_T4_T5_T6_T7_T9_mT8_P12ihipStream_tbDpT10_ENKUlT_T0_E_clISt17integral_constantIbLb1EES19_IbLb0EEEEDaS15_S16_EUlS15_E_NS1_11comp_targetILNS1_3genE3ELNS1_11target_archE908ELNS1_3gpuE7ELNS1_3repE0EEENS1_30default_config_static_selectorELNS0_4arch9wavefront6targetE0EEEvT1_ ; -- Begin function _ZN7rocprim17ROCPRIM_400000_NS6detail17trampoline_kernelINS0_14default_configENS1_25partition_config_selectorILNS1_17partition_subalgoE9EllbEEZZNS1_14partition_implILS5_9ELb0ES3_jPlS8_PNS0_10empty_typeENS0_5tupleIJS8_S9_EEENSB_IJS8_SA_EEENS0_18inequality_wrapperIZN2at6native12_GLOBAL__N_124unique_dim_cuda_templateIbEESt5tupleIJNSF_6TensorESK_SK_EERKSK_lbbbEUlllE0_EEPmJS9_EEE10hipError_tPvRmT3_T4_T5_T6_T7_T9_mT8_P12ihipStream_tbDpT10_ENKUlT_T0_E_clISt17integral_constantIbLb1EES19_IbLb0EEEEDaS15_S16_EUlS15_E_NS1_11comp_targetILNS1_3genE3ELNS1_11target_archE908ELNS1_3gpuE7ELNS1_3repE0EEENS1_30default_config_static_selectorELNS0_4arch9wavefront6targetE0EEEvT1_
	.p2align	8
	.type	_ZN7rocprim17ROCPRIM_400000_NS6detail17trampoline_kernelINS0_14default_configENS1_25partition_config_selectorILNS1_17partition_subalgoE9EllbEEZZNS1_14partition_implILS5_9ELb0ES3_jPlS8_PNS0_10empty_typeENS0_5tupleIJS8_S9_EEENSB_IJS8_SA_EEENS0_18inequality_wrapperIZN2at6native12_GLOBAL__N_124unique_dim_cuda_templateIbEESt5tupleIJNSF_6TensorESK_SK_EERKSK_lbbbEUlllE0_EEPmJS9_EEE10hipError_tPvRmT3_T4_T5_T6_T7_T9_mT8_P12ihipStream_tbDpT10_ENKUlT_T0_E_clISt17integral_constantIbLb1EES19_IbLb0EEEEDaS15_S16_EUlS15_E_NS1_11comp_targetILNS1_3genE3ELNS1_11target_archE908ELNS1_3gpuE7ELNS1_3repE0EEENS1_30default_config_static_selectorELNS0_4arch9wavefront6targetE0EEEvT1_,@function
_ZN7rocprim17ROCPRIM_400000_NS6detail17trampoline_kernelINS0_14default_configENS1_25partition_config_selectorILNS1_17partition_subalgoE9EllbEEZZNS1_14partition_implILS5_9ELb0ES3_jPlS8_PNS0_10empty_typeENS0_5tupleIJS8_S9_EEENSB_IJS8_SA_EEENS0_18inequality_wrapperIZN2at6native12_GLOBAL__N_124unique_dim_cuda_templateIbEESt5tupleIJNSF_6TensorESK_SK_EERKSK_lbbbEUlllE0_EEPmJS9_EEE10hipError_tPvRmT3_T4_T5_T6_T7_T9_mT8_P12ihipStream_tbDpT10_ENKUlT_T0_E_clISt17integral_constantIbLb1EES19_IbLb0EEEEDaS15_S16_EUlS15_E_NS1_11comp_targetILNS1_3genE3ELNS1_11target_archE908ELNS1_3gpuE7ELNS1_3repE0EEENS1_30default_config_static_selectorELNS0_4arch9wavefront6targetE0EEEvT1_: ; @_ZN7rocprim17ROCPRIM_400000_NS6detail17trampoline_kernelINS0_14default_configENS1_25partition_config_selectorILNS1_17partition_subalgoE9EllbEEZZNS1_14partition_implILS5_9ELb0ES3_jPlS8_PNS0_10empty_typeENS0_5tupleIJS8_S9_EEENSB_IJS8_SA_EEENS0_18inequality_wrapperIZN2at6native12_GLOBAL__N_124unique_dim_cuda_templateIbEESt5tupleIJNSF_6TensorESK_SK_EERKSK_lbbbEUlllE0_EEPmJS9_EEE10hipError_tPvRmT3_T4_T5_T6_T7_T9_mT8_P12ihipStream_tbDpT10_ENKUlT_T0_E_clISt17integral_constantIbLb1EES19_IbLb0EEEEDaS15_S16_EUlS15_E_NS1_11comp_targetILNS1_3genE3ELNS1_11target_archE908ELNS1_3gpuE7ELNS1_3repE0EEENS1_30default_config_static_selectorELNS0_4arch9wavefront6targetE0EEEvT1_
; %bb.0:
	.section	.rodata,"a",@progbits
	.p2align	6, 0x0
	.amdhsa_kernel _ZN7rocprim17ROCPRIM_400000_NS6detail17trampoline_kernelINS0_14default_configENS1_25partition_config_selectorILNS1_17partition_subalgoE9EllbEEZZNS1_14partition_implILS5_9ELb0ES3_jPlS8_PNS0_10empty_typeENS0_5tupleIJS8_S9_EEENSB_IJS8_SA_EEENS0_18inequality_wrapperIZN2at6native12_GLOBAL__N_124unique_dim_cuda_templateIbEESt5tupleIJNSF_6TensorESK_SK_EERKSK_lbbbEUlllE0_EEPmJS9_EEE10hipError_tPvRmT3_T4_T5_T6_T7_T9_mT8_P12ihipStream_tbDpT10_ENKUlT_T0_E_clISt17integral_constantIbLb1EES19_IbLb0EEEEDaS15_S16_EUlS15_E_NS1_11comp_targetILNS1_3genE3ELNS1_11target_archE908ELNS1_3gpuE7ELNS1_3repE0EEENS1_30default_config_static_selectorELNS0_4arch9wavefront6targetE0EEEvT1_
		.amdhsa_group_segment_fixed_size 0
		.amdhsa_private_segment_fixed_size 0
		.amdhsa_kernarg_size 120
		.amdhsa_user_sgpr_count 2
		.amdhsa_user_sgpr_dispatch_ptr 0
		.amdhsa_user_sgpr_queue_ptr 0
		.amdhsa_user_sgpr_kernarg_segment_ptr 1
		.amdhsa_user_sgpr_dispatch_id 0
		.amdhsa_user_sgpr_kernarg_preload_length 0
		.amdhsa_user_sgpr_kernarg_preload_offset 0
		.amdhsa_user_sgpr_private_segment_size 0
		.amdhsa_wavefront_size32 1
		.amdhsa_uses_dynamic_stack 0
		.amdhsa_enable_private_segment 0
		.amdhsa_system_sgpr_workgroup_id_x 1
		.amdhsa_system_sgpr_workgroup_id_y 0
		.amdhsa_system_sgpr_workgroup_id_z 0
		.amdhsa_system_sgpr_workgroup_info 0
		.amdhsa_system_vgpr_workitem_id 0
		.amdhsa_next_free_vgpr 1
		.amdhsa_next_free_sgpr 1
		.amdhsa_named_barrier_count 0
		.amdhsa_reserve_vcc 0
		.amdhsa_float_round_mode_32 0
		.amdhsa_float_round_mode_16_64 0
		.amdhsa_float_denorm_mode_32 3
		.amdhsa_float_denorm_mode_16_64 3
		.amdhsa_fp16_overflow 0
		.amdhsa_memory_ordered 1
		.amdhsa_forward_progress 1
		.amdhsa_inst_pref_size 0
		.amdhsa_round_robin_scheduling 0
		.amdhsa_exception_fp_ieee_invalid_op 0
		.amdhsa_exception_fp_denorm_src 0
		.amdhsa_exception_fp_ieee_div_zero 0
		.amdhsa_exception_fp_ieee_overflow 0
		.amdhsa_exception_fp_ieee_underflow 0
		.amdhsa_exception_fp_ieee_inexact 0
		.amdhsa_exception_int_div_zero 0
	.end_amdhsa_kernel
	.section	.text._ZN7rocprim17ROCPRIM_400000_NS6detail17trampoline_kernelINS0_14default_configENS1_25partition_config_selectorILNS1_17partition_subalgoE9EllbEEZZNS1_14partition_implILS5_9ELb0ES3_jPlS8_PNS0_10empty_typeENS0_5tupleIJS8_S9_EEENSB_IJS8_SA_EEENS0_18inequality_wrapperIZN2at6native12_GLOBAL__N_124unique_dim_cuda_templateIbEESt5tupleIJNSF_6TensorESK_SK_EERKSK_lbbbEUlllE0_EEPmJS9_EEE10hipError_tPvRmT3_T4_T5_T6_T7_T9_mT8_P12ihipStream_tbDpT10_ENKUlT_T0_E_clISt17integral_constantIbLb1EES19_IbLb0EEEEDaS15_S16_EUlS15_E_NS1_11comp_targetILNS1_3genE3ELNS1_11target_archE908ELNS1_3gpuE7ELNS1_3repE0EEENS1_30default_config_static_selectorELNS0_4arch9wavefront6targetE0EEEvT1_,"axG",@progbits,_ZN7rocprim17ROCPRIM_400000_NS6detail17trampoline_kernelINS0_14default_configENS1_25partition_config_selectorILNS1_17partition_subalgoE9EllbEEZZNS1_14partition_implILS5_9ELb0ES3_jPlS8_PNS0_10empty_typeENS0_5tupleIJS8_S9_EEENSB_IJS8_SA_EEENS0_18inequality_wrapperIZN2at6native12_GLOBAL__N_124unique_dim_cuda_templateIbEESt5tupleIJNSF_6TensorESK_SK_EERKSK_lbbbEUlllE0_EEPmJS9_EEE10hipError_tPvRmT3_T4_T5_T6_T7_T9_mT8_P12ihipStream_tbDpT10_ENKUlT_T0_E_clISt17integral_constantIbLb1EES19_IbLb0EEEEDaS15_S16_EUlS15_E_NS1_11comp_targetILNS1_3genE3ELNS1_11target_archE908ELNS1_3gpuE7ELNS1_3repE0EEENS1_30default_config_static_selectorELNS0_4arch9wavefront6targetE0EEEvT1_,comdat
.Lfunc_end1102:
	.size	_ZN7rocprim17ROCPRIM_400000_NS6detail17trampoline_kernelINS0_14default_configENS1_25partition_config_selectorILNS1_17partition_subalgoE9EllbEEZZNS1_14partition_implILS5_9ELb0ES3_jPlS8_PNS0_10empty_typeENS0_5tupleIJS8_S9_EEENSB_IJS8_SA_EEENS0_18inequality_wrapperIZN2at6native12_GLOBAL__N_124unique_dim_cuda_templateIbEESt5tupleIJNSF_6TensorESK_SK_EERKSK_lbbbEUlllE0_EEPmJS9_EEE10hipError_tPvRmT3_T4_T5_T6_T7_T9_mT8_P12ihipStream_tbDpT10_ENKUlT_T0_E_clISt17integral_constantIbLb1EES19_IbLb0EEEEDaS15_S16_EUlS15_E_NS1_11comp_targetILNS1_3genE3ELNS1_11target_archE908ELNS1_3gpuE7ELNS1_3repE0EEENS1_30default_config_static_selectorELNS0_4arch9wavefront6targetE0EEEvT1_, .Lfunc_end1102-_ZN7rocprim17ROCPRIM_400000_NS6detail17trampoline_kernelINS0_14default_configENS1_25partition_config_selectorILNS1_17partition_subalgoE9EllbEEZZNS1_14partition_implILS5_9ELb0ES3_jPlS8_PNS0_10empty_typeENS0_5tupleIJS8_S9_EEENSB_IJS8_SA_EEENS0_18inequality_wrapperIZN2at6native12_GLOBAL__N_124unique_dim_cuda_templateIbEESt5tupleIJNSF_6TensorESK_SK_EERKSK_lbbbEUlllE0_EEPmJS9_EEE10hipError_tPvRmT3_T4_T5_T6_T7_T9_mT8_P12ihipStream_tbDpT10_ENKUlT_T0_E_clISt17integral_constantIbLb1EES19_IbLb0EEEEDaS15_S16_EUlS15_E_NS1_11comp_targetILNS1_3genE3ELNS1_11target_archE908ELNS1_3gpuE7ELNS1_3repE0EEENS1_30default_config_static_selectorELNS0_4arch9wavefront6targetE0EEEvT1_
                                        ; -- End function
	.set _ZN7rocprim17ROCPRIM_400000_NS6detail17trampoline_kernelINS0_14default_configENS1_25partition_config_selectorILNS1_17partition_subalgoE9EllbEEZZNS1_14partition_implILS5_9ELb0ES3_jPlS8_PNS0_10empty_typeENS0_5tupleIJS8_S9_EEENSB_IJS8_SA_EEENS0_18inequality_wrapperIZN2at6native12_GLOBAL__N_124unique_dim_cuda_templateIbEESt5tupleIJNSF_6TensorESK_SK_EERKSK_lbbbEUlllE0_EEPmJS9_EEE10hipError_tPvRmT3_T4_T5_T6_T7_T9_mT8_P12ihipStream_tbDpT10_ENKUlT_T0_E_clISt17integral_constantIbLb1EES19_IbLb0EEEEDaS15_S16_EUlS15_E_NS1_11comp_targetILNS1_3genE3ELNS1_11target_archE908ELNS1_3gpuE7ELNS1_3repE0EEENS1_30default_config_static_selectorELNS0_4arch9wavefront6targetE0EEEvT1_.num_vgpr, 0
	.set _ZN7rocprim17ROCPRIM_400000_NS6detail17trampoline_kernelINS0_14default_configENS1_25partition_config_selectorILNS1_17partition_subalgoE9EllbEEZZNS1_14partition_implILS5_9ELb0ES3_jPlS8_PNS0_10empty_typeENS0_5tupleIJS8_S9_EEENSB_IJS8_SA_EEENS0_18inequality_wrapperIZN2at6native12_GLOBAL__N_124unique_dim_cuda_templateIbEESt5tupleIJNSF_6TensorESK_SK_EERKSK_lbbbEUlllE0_EEPmJS9_EEE10hipError_tPvRmT3_T4_T5_T6_T7_T9_mT8_P12ihipStream_tbDpT10_ENKUlT_T0_E_clISt17integral_constantIbLb1EES19_IbLb0EEEEDaS15_S16_EUlS15_E_NS1_11comp_targetILNS1_3genE3ELNS1_11target_archE908ELNS1_3gpuE7ELNS1_3repE0EEENS1_30default_config_static_selectorELNS0_4arch9wavefront6targetE0EEEvT1_.num_agpr, 0
	.set _ZN7rocprim17ROCPRIM_400000_NS6detail17trampoline_kernelINS0_14default_configENS1_25partition_config_selectorILNS1_17partition_subalgoE9EllbEEZZNS1_14partition_implILS5_9ELb0ES3_jPlS8_PNS0_10empty_typeENS0_5tupleIJS8_S9_EEENSB_IJS8_SA_EEENS0_18inequality_wrapperIZN2at6native12_GLOBAL__N_124unique_dim_cuda_templateIbEESt5tupleIJNSF_6TensorESK_SK_EERKSK_lbbbEUlllE0_EEPmJS9_EEE10hipError_tPvRmT3_T4_T5_T6_T7_T9_mT8_P12ihipStream_tbDpT10_ENKUlT_T0_E_clISt17integral_constantIbLb1EES19_IbLb0EEEEDaS15_S16_EUlS15_E_NS1_11comp_targetILNS1_3genE3ELNS1_11target_archE908ELNS1_3gpuE7ELNS1_3repE0EEENS1_30default_config_static_selectorELNS0_4arch9wavefront6targetE0EEEvT1_.numbered_sgpr, 0
	.set _ZN7rocprim17ROCPRIM_400000_NS6detail17trampoline_kernelINS0_14default_configENS1_25partition_config_selectorILNS1_17partition_subalgoE9EllbEEZZNS1_14partition_implILS5_9ELb0ES3_jPlS8_PNS0_10empty_typeENS0_5tupleIJS8_S9_EEENSB_IJS8_SA_EEENS0_18inequality_wrapperIZN2at6native12_GLOBAL__N_124unique_dim_cuda_templateIbEESt5tupleIJNSF_6TensorESK_SK_EERKSK_lbbbEUlllE0_EEPmJS9_EEE10hipError_tPvRmT3_T4_T5_T6_T7_T9_mT8_P12ihipStream_tbDpT10_ENKUlT_T0_E_clISt17integral_constantIbLb1EES19_IbLb0EEEEDaS15_S16_EUlS15_E_NS1_11comp_targetILNS1_3genE3ELNS1_11target_archE908ELNS1_3gpuE7ELNS1_3repE0EEENS1_30default_config_static_selectorELNS0_4arch9wavefront6targetE0EEEvT1_.num_named_barrier, 0
	.set _ZN7rocprim17ROCPRIM_400000_NS6detail17trampoline_kernelINS0_14default_configENS1_25partition_config_selectorILNS1_17partition_subalgoE9EllbEEZZNS1_14partition_implILS5_9ELb0ES3_jPlS8_PNS0_10empty_typeENS0_5tupleIJS8_S9_EEENSB_IJS8_SA_EEENS0_18inequality_wrapperIZN2at6native12_GLOBAL__N_124unique_dim_cuda_templateIbEESt5tupleIJNSF_6TensorESK_SK_EERKSK_lbbbEUlllE0_EEPmJS9_EEE10hipError_tPvRmT3_T4_T5_T6_T7_T9_mT8_P12ihipStream_tbDpT10_ENKUlT_T0_E_clISt17integral_constantIbLb1EES19_IbLb0EEEEDaS15_S16_EUlS15_E_NS1_11comp_targetILNS1_3genE3ELNS1_11target_archE908ELNS1_3gpuE7ELNS1_3repE0EEENS1_30default_config_static_selectorELNS0_4arch9wavefront6targetE0EEEvT1_.private_seg_size, 0
	.set _ZN7rocprim17ROCPRIM_400000_NS6detail17trampoline_kernelINS0_14default_configENS1_25partition_config_selectorILNS1_17partition_subalgoE9EllbEEZZNS1_14partition_implILS5_9ELb0ES3_jPlS8_PNS0_10empty_typeENS0_5tupleIJS8_S9_EEENSB_IJS8_SA_EEENS0_18inequality_wrapperIZN2at6native12_GLOBAL__N_124unique_dim_cuda_templateIbEESt5tupleIJNSF_6TensorESK_SK_EERKSK_lbbbEUlllE0_EEPmJS9_EEE10hipError_tPvRmT3_T4_T5_T6_T7_T9_mT8_P12ihipStream_tbDpT10_ENKUlT_T0_E_clISt17integral_constantIbLb1EES19_IbLb0EEEEDaS15_S16_EUlS15_E_NS1_11comp_targetILNS1_3genE3ELNS1_11target_archE908ELNS1_3gpuE7ELNS1_3repE0EEENS1_30default_config_static_selectorELNS0_4arch9wavefront6targetE0EEEvT1_.uses_vcc, 0
	.set _ZN7rocprim17ROCPRIM_400000_NS6detail17trampoline_kernelINS0_14default_configENS1_25partition_config_selectorILNS1_17partition_subalgoE9EllbEEZZNS1_14partition_implILS5_9ELb0ES3_jPlS8_PNS0_10empty_typeENS0_5tupleIJS8_S9_EEENSB_IJS8_SA_EEENS0_18inequality_wrapperIZN2at6native12_GLOBAL__N_124unique_dim_cuda_templateIbEESt5tupleIJNSF_6TensorESK_SK_EERKSK_lbbbEUlllE0_EEPmJS9_EEE10hipError_tPvRmT3_T4_T5_T6_T7_T9_mT8_P12ihipStream_tbDpT10_ENKUlT_T0_E_clISt17integral_constantIbLb1EES19_IbLb0EEEEDaS15_S16_EUlS15_E_NS1_11comp_targetILNS1_3genE3ELNS1_11target_archE908ELNS1_3gpuE7ELNS1_3repE0EEENS1_30default_config_static_selectorELNS0_4arch9wavefront6targetE0EEEvT1_.uses_flat_scratch, 0
	.set _ZN7rocprim17ROCPRIM_400000_NS6detail17trampoline_kernelINS0_14default_configENS1_25partition_config_selectorILNS1_17partition_subalgoE9EllbEEZZNS1_14partition_implILS5_9ELb0ES3_jPlS8_PNS0_10empty_typeENS0_5tupleIJS8_S9_EEENSB_IJS8_SA_EEENS0_18inequality_wrapperIZN2at6native12_GLOBAL__N_124unique_dim_cuda_templateIbEESt5tupleIJNSF_6TensorESK_SK_EERKSK_lbbbEUlllE0_EEPmJS9_EEE10hipError_tPvRmT3_T4_T5_T6_T7_T9_mT8_P12ihipStream_tbDpT10_ENKUlT_T0_E_clISt17integral_constantIbLb1EES19_IbLb0EEEEDaS15_S16_EUlS15_E_NS1_11comp_targetILNS1_3genE3ELNS1_11target_archE908ELNS1_3gpuE7ELNS1_3repE0EEENS1_30default_config_static_selectorELNS0_4arch9wavefront6targetE0EEEvT1_.has_dyn_sized_stack, 0
	.set _ZN7rocprim17ROCPRIM_400000_NS6detail17trampoline_kernelINS0_14default_configENS1_25partition_config_selectorILNS1_17partition_subalgoE9EllbEEZZNS1_14partition_implILS5_9ELb0ES3_jPlS8_PNS0_10empty_typeENS0_5tupleIJS8_S9_EEENSB_IJS8_SA_EEENS0_18inequality_wrapperIZN2at6native12_GLOBAL__N_124unique_dim_cuda_templateIbEESt5tupleIJNSF_6TensorESK_SK_EERKSK_lbbbEUlllE0_EEPmJS9_EEE10hipError_tPvRmT3_T4_T5_T6_T7_T9_mT8_P12ihipStream_tbDpT10_ENKUlT_T0_E_clISt17integral_constantIbLb1EES19_IbLb0EEEEDaS15_S16_EUlS15_E_NS1_11comp_targetILNS1_3genE3ELNS1_11target_archE908ELNS1_3gpuE7ELNS1_3repE0EEENS1_30default_config_static_selectorELNS0_4arch9wavefront6targetE0EEEvT1_.has_recursion, 0
	.set _ZN7rocprim17ROCPRIM_400000_NS6detail17trampoline_kernelINS0_14default_configENS1_25partition_config_selectorILNS1_17partition_subalgoE9EllbEEZZNS1_14partition_implILS5_9ELb0ES3_jPlS8_PNS0_10empty_typeENS0_5tupleIJS8_S9_EEENSB_IJS8_SA_EEENS0_18inequality_wrapperIZN2at6native12_GLOBAL__N_124unique_dim_cuda_templateIbEESt5tupleIJNSF_6TensorESK_SK_EERKSK_lbbbEUlllE0_EEPmJS9_EEE10hipError_tPvRmT3_T4_T5_T6_T7_T9_mT8_P12ihipStream_tbDpT10_ENKUlT_T0_E_clISt17integral_constantIbLb1EES19_IbLb0EEEEDaS15_S16_EUlS15_E_NS1_11comp_targetILNS1_3genE3ELNS1_11target_archE908ELNS1_3gpuE7ELNS1_3repE0EEENS1_30default_config_static_selectorELNS0_4arch9wavefront6targetE0EEEvT1_.has_indirect_call, 0
	.section	.AMDGPU.csdata,"",@progbits
; Kernel info:
; codeLenInByte = 0
; TotalNumSgprs: 0
; NumVgprs: 0
; ScratchSize: 0
; MemoryBound: 0
; FloatMode: 240
; IeeeMode: 1
; LDSByteSize: 0 bytes/workgroup (compile time only)
; SGPRBlocks: 0
; VGPRBlocks: 0
; NumSGPRsForWavesPerEU: 1
; NumVGPRsForWavesPerEU: 1
; NamedBarCnt: 0
; Occupancy: 16
; WaveLimiterHint : 0
; COMPUTE_PGM_RSRC2:SCRATCH_EN: 0
; COMPUTE_PGM_RSRC2:USER_SGPR: 2
; COMPUTE_PGM_RSRC2:TRAP_HANDLER: 0
; COMPUTE_PGM_RSRC2:TGID_X_EN: 1
; COMPUTE_PGM_RSRC2:TGID_Y_EN: 0
; COMPUTE_PGM_RSRC2:TGID_Z_EN: 0
; COMPUTE_PGM_RSRC2:TIDIG_COMP_CNT: 0
	.section	.text._ZN7rocprim17ROCPRIM_400000_NS6detail17trampoline_kernelINS0_14default_configENS1_25partition_config_selectorILNS1_17partition_subalgoE9EllbEEZZNS1_14partition_implILS5_9ELb0ES3_jPlS8_PNS0_10empty_typeENS0_5tupleIJS8_S9_EEENSB_IJS8_SA_EEENS0_18inequality_wrapperIZN2at6native12_GLOBAL__N_124unique_dim_cuda_templateIbEESt5tupleIJNSF_6TensorESK_SK_EERKSK_lbbbEUlllE0_EEPmJS9_EEE10hipError_tPvRmT3_T4_T5_T6_T7_T9_mT8_P12ihipStream_tbDpT10_ENKUlT_T0_E_clISt17integral_constantIbLb1EES19_IbLb0EEEEDaS15_S16_EUlS15_E_NS1_11comp_targetILNS1_3genE2ELNS1_11target_archE906ELNS1_3gpuE6ELNS1_3repE0EEENS1_30default_config_static_selectorELNS0_4arch9wavefront6targetE0EEEvT1_,"axG",@progbits,_ZN7rocprim17ROCPRIM_400000_NS6detail17trampoline_kernelINS0_14default_configENS1_25partition_config_selectorILNS1_17partition_subalgoE9EllbEEZZNS1_14partition_implILS5_9ELb0ES3_jPlS8_PNS0_10empty_typeENS0_5tupleIJS8_S9_EEENSB_IJS8_SA_EEENS0_18inequality_wrapperIZN2at6native12_GLOBAL__N_124unique_dim_cuda_templateIbEESt5tupleIJNSF_6TensorESK_SK_EERKSK_lbbbEUlllE0_EEPmJS9_EEE10hipError_tPvRmT3_T4_T5_T6_T7_T9_mT8_P12ihipStream_tbDpT10_ENKUlT_T0_E_clISt17integral_constantIbLb1EES19_IbLb0EEEEDaS15_S16_EUlS15_E_NS1_11comp_targetILNS1_3genE2ELNS1_11target_archE906ELNS1_3gpuE6ELNS1_3repE0EEENS1_30default_config_static_selectorELNS0_4arch9wavefront6targetE0EEEvT1_,comdat
	.globl	_ZN7rocprim17ROCPRIM_400000_NS6detail17trampoline_kernelINS0_14default_configENS1_25partition_config_selectorILNS1_17partition_subalgoE9EllbEEZZNS1_14partition_implILS5_9ELb0ES3_jPlS8_PNS0_10empty_typeENS0_5tupleIJS8_S9_EEENSB_IJS8_SA_EEENS0_18inequality_wrapperIZN2at6native12_GLOBAL__N_124unique_dim_cuda_templateIbEESt5tupleIJNSF_6TensorESK_SK_EERKSK_lbbbEUlllE0_EEPmJS9_EEE10hipError_tPvRmT3_T4_T5_T6_T7_T9_mT8_P12ihipStream_tbDpT10_ENKUlT_T0_E_clISt17integral_constantIbLb1EES19_IbLb0EEEEDaS15_S16_EUlS15_E_NS1_11comp_targetILNS1_3genE2ELNS1_11target_archE906ELNS1_3gpuE6ELNS1_3repE0EEENS1_30default_config_static_selectorELNS0_4arch9wavefront6targetE0EEEvT1_ ; -- Begin function _ZN7rocprim17ROCPRIM_400000_NS6detail17trampoline_kernelINS0_14default_configENS1_25partition_config_selectorILNS1_17partition_subalgoE9EllbEEZZNS1_14partition_implILS5_9ELb0ES3_jPlS8_PNS0_10empty_typeENS0_5tupleIJS8_S9_EEENSB_IJS8_SA_EEENS0_18inequality_wrapperIZN2at6native12_GLOBAL__N_124unique_dim_cuda_templateIbEESt5tupleIJNSF_6TensorESK_SK_EERKSK_lbbbEUlllE0_EEPmJS9_EEE10hipError_tPvRmT3_T4_T5_T6_T7_T9_mT8_P12ihipStream_tbDpT10_ENKUlT_T0_E_clISt17integral_constantIbLb1EES19_IbLb0EEEEDaS15_S16_EUlS15_E_NS1_11comp_targetILNS1_3genE2ELNS1_11target_archE906ELNS1_3gpuE6ELNS1_3repE0EEENS1_30default_config_static_selectorELNS0_4arch9wavefront6targetE0EEEvT1_
	.p2align	8
	.type	_ZN7rocprim17ROCPRIM_400000_NS6detail17trampoline_kernelINS0_14default_configENS1_25partition_config_selectorILNS1_17partition_subalgoE9EllbEEZZNS1_14partition_implILS5_9ELb0ES3_jPlS8_PNS0_10empty_typeENS0_5tupleIJS8_S9_EEENSB_IJS8_SA_EEENS0_18inequality_wrapperIZN2at6native12_GLOBAL__N_124unique_dim_cuda_templateIbEESt5tupleIJNSF_6TensorESK_SK_EERKSK_lbbbEUlllE0_EEPmJS9_EEE10hipError_tPvRmT3_T4_T5_T6_T7_T9_mT8_P12ihipStream_tbDpT10_ENKUlT_T0_E_clISt17integral_constantIbLb1EES19_IbLb0EEEEDaS15_S16_EUlS15_E_NS1_11comp_targetILNS1_3genE2ELNS1_11target_archE906ELNS1_3gpuE6ELNS1_3repE0EEENS1_30default_config_static_selectorELNS0_4arch9wavefront6targetE0EEEvT1_,@function
_ZN7rocprim17ROCPRIM_400000_NS6detail17trampoline_kernelINS0_14default_configENS1_25partition_config_selectorILNS1_17partition_subalgoE9EllbEEZZNS1_14partition_implILS5_9ELb0ES3_jPlS8_PNS0_10empty_typeENS0_5tupleIJS8_S9_EEENSB_IJS8_SA_EEENS0_18inequality_wrapperIZN2at6native12_GLOBAL__N_124unique_dim_cuda_templateIbEESt5tupleIJNSF_6TensorESK_SK_EERKSK_lbbbEUlllE0_EEPmJS9_EEE10hipError_tPvRmT3_T4_T5_T6_T7_T9_mT8_P12ihipStream_tbDpT10_ENKUlT_T0_E_clISt17integral_constantIbLb1EES19_IbLb0EEEEDaS15_S16_EUlS15_E_NS1_11comp_targetILNS1_3genE2ELNS1_11target_archE906ELNS1_3gpuE6ELNS1_3repE0EEENS1_30default_config_static_selectorELNS0_4arch9wavefront6targetE0EEEvT1_: ; @_ZN7rocprim17ROCPRIM_400000_NS6detail17trampoline_kernelINS0_14default_configENS1_25partition_config_selectorILNS1_17partition_subalgoE9EllbEEZZNS1_14partition_implILS5_9ELb0ES3_jPlS8_PNS0_10empty_typeENS0_5tupleIJS8_S9_EEENSB_IJS8_SA_EEENS0_18inequality_wrapperIZN2at6native12_GLOBAL__N_124unique_dim_cuda_templateIbEESt5tupleIJNSF_6TensorESK_SK_EERKSK_lbbbEUlllE0_EEPmJS9_EEE10hipError_tPvRmT3_T4_T5_T6_T7_T9_mT8_P12ihipStream_tbDpT10_ENKUlT_T0_E_clISt17integral_constantIbLb1EES19_IbLb0EEEEDaS15_S16_EUlS15_E_NS1_11comp_targetILNS1_3genE2ELNS1_11target_archE906ELNS1_3gpuE6ELNS1_3repE0EEENS1_30default_config_static_selectorELNS0_4arch9wavefront6targetE0EEEvT1_
; %bb.0:
	.section	.rodata,"a",@progbits
	.p2align	6, 0x0
	.amdhsa_kernel _ZN7rocprim17ROCPRIM_400000_NS6detail17trampoline_kernelINS0_14default_configENS1_25partition_config_selectorILNS1_17partition_subalgoE9EllbEEZZNS1_14partition_implILS5_9ELb0ES3_jPlS8_PNS0_10empty_typeENS0_5tupleIJS8_S9_EEENSB_IJS8_SA_EEENS0_18inequality_wrapperIZN2at6native12_GLOBAL__N_124unique_dim_cuda_templateIbEESt5tupleIJNSF_6TensorESK_SK_EERKSK_lbbbEUlllE0_EEPmJS9_EEE10hipError_tPvRmT3_T4_T5_T6_T7_T9_mT8_P12ihipStream_tbDpT10_ENKUlT_T0_E_clISt17integral_constantIbLb1EES19_IbLb0EEEEDaS15_S16_EUlS15_E_NS1_11comp_targetILNS1_3genE2ELNS1_11target_archE906ELNS1_3gpuE6ELNS1_3repE0EEENS1_30default_config_static_selectorELNS0_4arch9wavefront6targetE0EEEvT1_
		.amdhsa_group_segment_fixed_size 0
		.amdhsa_private_segment_fixed_size 0
		.amdhsa_kernarg_size 120
		.amdhsa_user_sgpr_count 2
		.amdhsa_user_sgpr_dispatch_ptr 0
		.amdhsa_user_sgpr_queue_ptr 0
		.amdhsa_user_sgpr_kernarg_segment_ptr 1
		.amdhsa_user_sgpr_dispatch_id 0
		.amdhsa_user_sgpr_kernarg_preload_length 0
		.amdhsa_user_sgpr_kernarg_preload_offset 0
		.amdhsa_user_sgpr_private_segment_size 0
		.amdhsa_wavefront_size32 1
		.amdhsa_uses_dynamic_stack 0
		.amdhsa_enable_private_segment 0
		.amdhsa_system_sgpr_workgroup_id_x 1
		.amdhsa_system_sgpr_workgroup_id_y 0
		.amdhsa_system_sgpr_workgroup_id_z 0
		.amdhsa_system_sgpr_workgroup_info 0
		.amdhsa_system_vgpr_workitem_id 0
		.amdhsa_next_free_vgpr 1
		.amdhsa_next_free_sgpr 1
		.amdhsa_named_barrier_count 0
		.amdhsa_reserve_vcc 0
		.amdhsa_float_round_mode_32 0
		.amdhsa_float_round_mode_16_64 0
		.amdhsa_float_denorm_mode_32 3
		.amdhsa_float_denorm_mode_16_64 3
		.amdhsa_fp16_overflow 0
		.amdhsa_memory_ordered 1
		.amdhsa_forward_progress 1
		.amdhsa_inst_pref_size 0
		.amdhsa_round_robin_scheduling 0
		.amdhsa_exception_fp_ieee_invalid_op 0
		.amdhsa_exception_fp_denorm_src 0
		.amdhsa_exception_fp_ieee_div_zero 0
		.amdhsa_exception_fp_ieee_overflow 0
		.amdhsa_exception_fp_ieee_underflow 0
		.amdhsa_exception_fp_ieee_inexact 0
		.amdhsa_exception_int_div_zero 0
	.end_amdhsa_kernel
	.section	.text._ZN7rocprim17ROCPRIM_400000_NS6detail17trampoline_kernelINS0_14default_configENS1_25partition_config_selectorILNS1_17partition_subalgoE9EllbEEZZNS1_14partition_implILS5_9ELb0ES3_jPlS8_PNS0_10empty_typeENS0_5tupleIJS8_S9_EEENSB_IJS8_SA_EEENS0_18inequality_wrapperIZN2at6native12_GLOBAL__N_124unique_dim_cuda_templateIbEESt5tupleIJNSF_6TensorESK_SK_EERKSK_lbbbEUlllE0_EEPmJS9_EEE10hipError_tPvRmT3_T4_T5_T6_T7_T9_mT8_P12ihipStream_tbDpT10_ENKUlT_T0_E_clISt17integral_constantIbLb1EES19_IbLb0EEEEDaS15_S16_EUlS15_E_NS1_11comp_targetILNS1_3genE2ELNS1_11target_archE906ELNS1_3gpuE6ELNS1_3repE0EEENS1_30default_config_static_selectorELNS0_4arch9wavefront6targetE0EEEvT1_,"axG",@progbits,_ZN7rocprim17ROCPRIM_400000_NS6detail17trampoline_kernelINS0_14default_configENS1_25partition_config_selectorILNS1_17partition_subalgoE9EllbEEZZNS1_14partition_implILS5_9ELb0ES3_jPlS8_PNS0_10empty_typeENS0_5tupleIJS8_S9_EEENSB_IJS8_SA_EEENS0_18inequality_wrapperIZN2at6native12_GLOBAL__N_124unique_dim_cuda_templateIbEESt5tupleIJNSF_6TensorESK_SK_EERKSK_lbbbEUlllE0_EEPmJS9_EEE10hipError_tPvRmT3_T4_T5_T6_T7_T9_mT8_P12ihipStream_tbDpT10_ENKUlT_T0_E_clISt17integral_constantIbLb1EES19_IbLb0EEEEDaS15_S16_EUlS15_E_NS1_11comp_targetILNS1_3genE2ELNS1_11target_archE906ELNS1_3gpuE6ELNS1_3repE0EEENS1_30default_config_static_selectorELNS0_4arch9wavefront6targetE0EEEvT1_,comdat
.Lfunc_end1103:
	.size	_ZN7rocprim17ROCPRIM_400000_NS6detail17trampoline_kernelINS0_14default_configENS1_25partition_config_selectorILNS1_17partition_subalgoE9EllbEEZZNS1_14partition_implILS5_9ELb0ES3_jPlS8_PNS0_10empty_typeENS0_5tupleIJS8_S9_EEENSB_IJS8_SA_EEENS0_18inequality_wrapperIZN2at6native12_GLOBAL__N_124unique_dim_cuda_templateIbEESt5tupleIJNSF_6TensorESK_SK_EERKSK_lbbbEUlllE0_EEPmJS9_EEE10hipError_tPvRmT3_T4_T5_T6_T7_T9_mT8_P12ihipStream_tbDpT10_ENKUlT_T0_E_clISt17integral_constantIbLb1EES19_IbLb0EEEEDaS15_S16_EUlS15_E_NS1_11comp_targetILNS1_3genE2ELNS1_11target_archE906ELNS1_3gpuE6ELNS1_3repE0EEENS1_30default_config_static_selectorELNS0_4arch9wavefront6targetE0EEEvT1_, .Lfunc_end1103-_ZN7rocprim17ROCPRIM_400000_NS6detail17trampoline_kernelINS0_14default_configENS1_25partition_config_selectorILNS1_17partition_subalgoE9EllbEEZZNS1_14partition_implILS5_9ELb0ES3_jPlS8_PNS0_10empty_typeENS0_5tupleIJS8_S9_EEENSB_IJS8_SA_EEENS0_18inequality_wrapperIZN2at6native12_GLOBAL__N_124unique_dim_cuda_templateIbEESt5tupleIJNSF_6TensorESK_SK_EERKSK_lbbbEUlllE0_EEPmJS9_EEE10hipError_tPvRmT3_T4_T5_T6_T7_T9_mT8_P12ihipStream_tbDpT10_ENKUlT_T0_E_clISt17integral_constantIbLb1EES19_IbLb0EEEEDaS15_S16_EUlS15_E_NS1_11comp_targetILNS1_3genE2ELNS1_11target_archE906ELNS1_3gpuE6ELNS1_3repE0EEENS1_30default_config_static_selectorELNS0_4arch9wavefront6targetE0EEEvT1_
                                        ; -- End function
	.set _ZN7rocprim17ROCPRIM_400000_NS6detail17trampoline_kernelINS0_14default_configENS1_25partition_config_selectorILNS1_17partition_subalgoE9EllbEEZZNS1_14partition_implILS5_9ELb0ES3_jPlS8_PNS0_10empty_typeENS0_5tupleIJS8_S9_EEENSB_IJS8_SA_EEENS0_18inequality_wrapperIZN2at6native12_GLOBAL__N_124unique_dim_cuda_templateIbEESt5tupleIJNSF_6TensorESK_SK_EERKSK_lbbbEUlllE0_EEPmJS9_EEE10hipError_tPvRmT3_T4_T5_T6_T7_T9_mT8_P12ihipStream_tbDpT10_ENKUlT_T0_E_clISt17integral_constantIbLb1EES19_IbLb0EEEEDaS15_S16_EUlS15_E_NS1_11comp_targetILNS1_3genE2ELNS1_11target_archE906ELNS1_3gpuE6ELNS1_3repE0EEENS1_30default_config_static_selectorELNS0_4arch9wavefront6targetE0EEEvT1_.num_vgpr, 0
	.set _ZN7rocprim17ROCPRIM_400000_NS6detail17trampoline_kernelINS0_14default_configENS1_25partition_config_selectorILNS1_17partition_subalgoE9EllbEEZZNS1_14partition_implILS5_9ELb0ES3_jPlS8_PNS0_10empty_typeENS0_5tupleIJS8_S9_EEENSB_IJS8_SA_EEENS0_18inequality_wrapperIZN2at6native12_GLOBAL__N_124unique_dim_cuda_templateIbEESt5tupleIJNSF_6TensorESK_SK_EERKSK_lbbbEUlllE0_EEPmJS9_EEE10hipError_tPvRmT3_T4_T5_T6_T7_T9_mT8_P12ihipStream_tbDpT10_ENKUlT_T0_E_clISt17integral_constantIbLb1EES19_IbLb0EEEEDaS15_S16_EUlS15_E_NS1_11comp_targetILNS1_3genE2ELNS1_11target_archE906ELNS1_3gpuE6ELNS1_3repE0EEENS1_30default_config_static_selectorELNS0_4arch9wavefront6targetE0EEEvT1_.num_agpr, 0
	.set _ZN7rocprim17ROCPRIM_400000_NS6detail17trampoline_kernelINS0_14default_configENS1_25partition_config_selectorILNS1_17partition_subalgoE9EllbEEZZNS1_14partition_implILS5_9ELb0ES3_jPlS8_PNS0_10empty_typeENS0_5tupleIJS8_S9_EEENSB_IJS8_SA_EEENS0_18inequality_wrapperIZN2at6native12_GLOBAL__N_124unique_dim_cuda_templateIbEESt5tupleIJNSF_6TensorESK_SK_EERKSK_lbbbEUlllE0_EEPmJS9_EEE10hipError_tPvRmT3_T4_T5_T6_T7_T9_mT8_P12ihipStream_tbDpT10_ENKUlT_T0_E_clISt17integral_constantIbLb1EES19_IbLb0EEEEDaS15_S16_EUlS15_E_NS1_11comp_targetILNS1_3genE2ELNS1_11target_archE906ELNS1_3gpuE6ELNS1_3repE0EEENS1_30default_config_static_selectorELNS0_4arch9wavefront6targetE0EEEvT1_.numbered_sgpr, 0
	.set _ZN7rocprim17ROCPRIM_400000_NS6detail17trampoline_kernelINS0_14default_configENS1_25partition_config_selectorILNS1_17partition_subalgoE9EllbEEZZNS1_14partition_implILS5_9ELb0ES3_jPlS8_PNS0_10empty_typeENS0_5tupleIJS8_S9_EEENSB_IJS8_SA_EEENS0_18inequality_wrapperIZN2at6native12_GLOBAL__N_124unique_dim_cuda_templateIbEESt5tupleIJNSF_6TensorESK_SK_EERKSK_lbbbEUlllE0_EEPmJS9_EEE10hipError_tPvRmT3_T4_T5_T6_T7_T9_mT8_P12ihipStream_tbDpT10_ENKUlT_T0_E_clISt17integral_constantIbLb1EES19_IbLb0EEEEDaS15_S16_EUlS15_E_NS1_11comp_targetILNS1_3genE2ELNS1_11target_archE906ELNS1_3gpuE6ELNS1_3repE0EEENS1_30default_config_static_selectorELNS0_4arch9wavefront6targetE0EEEvT1_.num_named_barrier, 0
	.set _ZN7rocprim17ROCPRIM_400000_NS6detail17trampoline_kernelINS0_14default_configENS1_25partition_config_selectorILNS1_17partition_subalgoE9EllbEEZZNS1_14partition_implILS5_9ELb0ES3_jPlS8_PNS0_10empty_typeENS0_5tupleIJS8_S9_EEENSB_IJS8_SA_EEENS0_18inequality_wrapperIZN2at6native12_GLOBAL__N_124unique_dim_cuda_templateIbEESt5tupleIJNSF_6TensorESK_SK_EERKSK_lbbbEUlllE0_EEPmJS9_EEE10hipError_tPvRmT3_T4_T5_T6_T7_T9_mT8_P12ihipStream_tbDpT10_ENKUlT_T0_E_clISt17integral_constantIbLb1EES19_IbLb0EEEEDaS15_S16_EUlS15_E_NS1_11comp_targetILNS1_3genE2ELNS1_11target_archE906ELNS1_3gpuE6ELNS1_3repE0EEENS1_30default_config_static_selectorELNS0_4arch9wavefront6targetE0EEEvT1_.private_seg_size, 0
	.set _ZN7rocprim17ROCPRIM_400000_NS6detail17trampoline_kernelINS0_14default_configENS1_25partition_config_selectorILNS1_17partition_subalgoE9EllbEEZZNS1_14partition_implILS5_9ELb0ES3_jPlS8_PNS0_10empty_typeENS0_5tupleIJS8_S9_EEENSB_IJS8_SA_EEENS0_18inequality_wrapperIZN2at6native12_GLOBAL__N_124unique_dim_cuda_templateIbEESt5tupleIJNSF_6TensorESK_SK_EERKSK_lbbbEUlllE0_EEPmJS9_EEE10hipError_tPvRmT3_T4_T5_T6_T7_T9_mT8_P12ihipStream_tbDpT10_ENKUlT_T0_E_clISt17integral_constantIbLb1EES19_IbLb0EEEEDaS15_S16_EUlS15_E_NS1_11comp_targetILNS1_3genE2ELNS1_11target_archE906ELNS1_3gpuE6ELNS1_3repE0EEENS1_30default_config_static_selectorELNS0_4arch9wavefront6targetE0EEEvT1_.uses_vcc, 0
	.set _ZN7rocprim17ROCPRIM_400000_NS6detail17trampoline_kernelINS0_14default_configENS1_25partition_config_selectorILNS1_17partition_subalgoE9EllbEEZZNS1_14partition_implILS5_9ELb0ES3_jPlS8_PNS0_10empty_typeENS0_5tupleIJS8_S9_EEENSB_IJS8_SA_EEENS0_18inequality_wrapperIZN2at6native12_GLOBAL__N_124unique_dim_cuda_templateIbEESt5tupleIJNSF_6TensorESK_SK_EERKSK_lbbbEUlllE0_EEPmJS9_EEE10hipError_tPvRmT3_T4_T5_T6_T7_T9_mT8_P12ihipStream_tbDpT10_ENKUlT_T0_E_clISt17integral_constantIbLb1EES19_IbLb0EEEEDaS15_S16_EUlS15_E_NS1_11comp_targetILNS1_3genE2ELNS1_11target_archE906ELNS1_3gpuE6ELNS1_3repE0EEENS1_30default_config_static_selectorELNS0_4arch9wavefront6targetE0EEEvT1_.uses_flat_scratch, 0
	.set _ZN7rocprim17ROCPRIM_400000_NS6detail17trampoline_kernelINS0_14default_configENS1_25partition_config_selectorILNS1_17partition_subalgoE9EllbEEZZNS1_14partition_implILS5_9ELb0ES3_jPlS8_PNS0_10empty_typeENS0_5tupleIJS8_S9_EEENSB_IJS8_SA_EEENS0_18inequality_wrapperIZN2at6native12_GLOBAL__N_124unique_dim_cuda_templateIbEESt5tupleIJNSF_6TensorESK_SK_EERKSK_lbbbEUlllE0_EEPmJS9_EEE10hipError_tPvRmT3_T4_T5_T6_T7_T9_mT8_P12ihipStream_tbDpT10_ENKUlT_T0_E_clISt17integral_constantIbLb1EES19_IbLb0EEEEDaS15_S16_EUlS15_E_NS1_11comp_targetILNS1_3genE2ELNS1_11target_archE906ELNS1_3gpuE6ELNS1_3repE0EEENS1_30default_config_static_selectorELNS0_4arch9wavefront6targetE0EEEvT1_.has_dyn_sized_stack, 0
	.set _ZN7rocprim17ROCPRIM_400000_NS6detail17trampoline_kernelINS0_14default_configENS1_25partition_config_selectorILNS1_17partition_subalgoE9EllbEEZZNS1_14partition_implILS5_9ELb0ES3_jPlS8_PNS0_10empty_typeENS0_5tupleIJS8_S9_EEENSB_IJS8_SA_EEENS0_18inequality_wrapperIZN2at6native12_GLOBAL__N_124unique_dim_cuda_templateIbEESt5tupleIJNSF_6TensorESK_SK_EERKSK_lbbbEUlllE0_EEPmJS9_EEE10hipError_tPvRmT3_T4_T5_T6_T7_T9_mT8_P12ihipStream_tbDpT10_ENKUlT_T0_E_clISt17integral_constantIbLb1EES19_IbLb0EEEEDaS15_S16_EUlS15_E_NS1_11comp_targetILNS1_3genE2ELNS1_11target_archE906ELNS1_3gpuE6ELNS1_3repE0EEENS1_30default_config_static_selectorELNS0_4arch9wavefront6targetE0EEEvT1_.has_recursion, 0
	.set _ZN7rocprim17ROCPRIM_400000_NS6detail17trampoline_kernelINS0_14default_configENS1_25partition_config_selectorILNS1_17partition_subalgoE9EllbEEZZNS1_14partition_implILS5_9ELb0ES3_jPlS8_PNS0_10empty_typeENS0_5tupleIJS8_S9_EEENSB_IJS8_SA_EEENS0_18inequality_wrapperIZN2at6native12_GLOBAL__N_124unique_dim_cuda_templateIbEESt5tupleIJNSF_6TensorESK_SK_EERKSK_lbbbEUlllE0_EEPmJS9_EEE10hipError_tPvRmT3_T4_T5_T6_T7_T9_mT8_P12ihipStream_tbDpT10_ENKUlT_T0_E_clISt17integral_constantIbLb1EES19_IbLb0EEEEDaS15_S16_EUlS15_E_NS1_11comp_targetILNS1_3genE2ELNS1_11target_archE906ELNS1_3gpuE6ELNS1_3repE0EEENS1_30default_config_static_selectorELNS0_4arch9wavefront6targetE0EEEvT1_.has_indirect_call, 0
	.section	.AMDGPU.csdata,"",@progbits
; Kernel info:
; codeLenInByte = 0
; TotalNumSgprs: 0
; NumVgprs: 0
; ScratchSize: 0
; MemoryBound: 0
; FloatMode: 240
; IeeeMode: 1
; LDSByteSize: 0 bytes/workgroup (compile time only)
; SGPRBlocks: 0
; VGPRBlocks: 0
; NumSGPRsForWavesPerEU: 1
; NumVGPRsForWavesPerEU: 1
; NamedBarCnt: 0
; Occupancy: 16
; WaveLimiterHint : 0
; COMPUTE_PGM_RSRC2:SCRATCH_EN: 0
; COMPUTE_PGM_RSRC2:USER_SGPR: 2
; COMPUTE_PGM_RSRC2:TRAP_HANDLER: 0
; COMPUTE_PGM_RSRC2:TGID_X_EN: 1
; COMPUTE_PGM_RSRC2:TGID_Y_EN: 0
; COMPUTE_PGM_RSRC2:TGID_Z_EN: 0
; COMPUTE_PGM_RSRC2:TIDIG_COMP_CNT: 0
	.section	.text._ZN7rocprim17ROCPRIM_400000_NS6detail17trampoline_kernelINS0_14default_configENS1_25partition_config_selectorILNS1_17partition_subalgoE9EllbEEZZNS1_14partition_implILS5_9ELb0ES3_jPlS8_PNS0_10empty_typeENS0_5tupleIJS8_S9_EEENSB_IJS8_SA_EEENS0_18inequality_wrapperIZN2at6native12_GLOBAL__N_124unique_dim_cuda_templateIbEESt5tupleIJNSF_6TensorESK_SK_EERKSK_lbbbEUlllE0_EEPmJS9_EEE10hipError_tPvRmT3_T4_T5_T6_T7_T9_mT8_P12ihipStream_tbDpT10_ENKUlT_T0_E_clISt17integral_constantIbLb1EES19_IbLb0EEEEDaS15_S16_EUlS15_E_NS1_11comp_targetILNS1_3genE10ELNS1_11target_archE1200ELNS1_3gpuE4ELNS1_3repE0EEENS1_30default_config_static_selectorELNS0_4arch9wavefront6targetE0EEEvT1_,"axG",@progbits,_ZN7rocprim17ROCPRIM_400000_NS6detail17trampoline_kernelINS0_14default_configENS1_25partition_config_selectorILNS1_17partition_subalgoE9EllbEEZZNS1_14partition_implILS5_9ELb0ES3_jPlS8_PNS0_10empty_typeENS0_5tupleIJS8_S9_EEENSB_IJS8_SA_EEENS0_18inequality_wrapperIZN2at6native12_GLOBAL__N_124unique_dim_cuda_templateIbEESt5tupleIJNSF_6TensorESK_SK_EERKSK_lbbbEUlllE0_EEPmJS9_EEE10hipError_tPvRmT3_T4_T5_T6_T7_T9_mT8_P12ihipStream_tbDpT10_ENKUlT_T0_E_clISt17integral_constantIbLb1EES19_IbLb0EEEEDaS15_S16_EUlS15_E_NS1_11comp_targetILNS1_3genE10ELNS1_11target_archE1200ELNS1_3gpuE4ELNS1_3repE0EEENS1_30default_config_static_selectorELNS0_4arch9wavefront6targetE0EEEvT1_,comdat
	.globl	_ZN7rocprim17ROCPRIM_400000_NS6detail17trampoline_kernelINS0_14default_configENS1_25partition_config_selectorILNS1_17partition_subalgoE9EllbEEZZNS1_14partition_implILS5_9ELb0ES3_jPlS8_PNS0_10empty_typeENS0_5tupleIJS8_S9_EEENSB_IJS8_SA_EEENS0_18inequality_wrapperIZN2at6native12_GLOBAL__N_124unique_dim_cuda_templateIbEESt5tupleIJNSF_6TensorESK_SK_EERKSK_lbbbEUlllE0_EEPmJS9_EEE10hipError_tPvRmT3_T4_T5_T6_T7_T9_mT8_P12ihipStream_tbDpT10_ENKUlT_T0_E_clISt17integral_constantIbLb1EES19_IbLb0EEEEDaS15_S16_EUlS15_E_NS1_11comp_targetILNS1_3genE10ELNS1_11target_archE1200ELNS1_3gpuE4ELNS1_3repE0EEENS1_30default_config_static_selectorELNS0_4arch9wavefront6targetE0EEEvT1_ ; -- Begin function _ZN7rocprim17ROCPRIM_400000_NS6detail17trampoline_kernelINS0_14default_configENS1_25partition_config_selectorILNS1_17partition_subalgoE9EllbEEZZNS1_14partition_implILS5_9ELb0ES3_jPlS8_PNS0_10empty_typeENS0_5tupleIJS8_S9_EEENSB_IJS8_SA_EEENS0_18inequality_wrapperIZN2at6native12_GLOBAL__N_124unique_dim_cuda_templateIbEESt5tupleIJNSF_6TensorESK_SK_EERKSK_lbbbEUlllE0_EEPmJS9_EEE10hipError_tPvRmT3_T4_T5_T6_T7_T9_mT8_P12ihipStream_tbDpT10_ENKUlT_T0_E_clISt17integral_constantIbLb1EES19_IbLb0EEEEDaS15_S16_EUlS15_E_NS1_11comp_targetILNS1_3genE10ELNS1_11target_archE1200ELNS1_3gpuE4ELNS1_3repE0EEENS1_30default_config_static_selectorELNS0_4arch9wavefront6targetE0EEEvT1_
	.p2align	8
	.type	_ZN7rocprim17ROCPRIM_400000_NS6detail17trampoline_kernelINS0_14default_configENS1_25partition_config_selectorILNS1_17partition_subalgoE9EllbEEZZNS1_14partition_implILS5_9ELb0ES3_jPlS8_PNS0_10empty_typeENS0_5tupleIJS8_S9_EEENSB_IJS8_SA_EEENS0_18inequality_wrapperIZN2at6native12_GLOBAL__N_124unique_dim_cuda_templateIbEESt5tupleIJNSF_6TensorESK_SK_EERKSK_lbbbEUlllE0_EEPmJS9_EEE10hipError_tPvRmT3_T4_T5_T6_T7_T9_mT8_P12ihipStream_tbDpT10_ENKUlT_T0_E_clISt17integral_constantIbLb1EES19_IbLb0EEEEDaS15_S16_EUlS15_E_NS1_11comp_targetILNS1_3genE10ELNS1_11target_archE1200ELNS1_3gpuE4ELNS1_3repE0EEENS1_30default_config_static_selectorELNS0_4arch9wavefront6targetE0EEEvT1_,@function
_ZN7rocprim17ROCPRIM_400000_NS6detail17trampoline_kernelINS0_14default_configENS1_25partition_config_selectorILNS1_17partition_subalgoE9EllbEEZZNS1_14partition_implILS5_9ELb0ES3_jPlS8_PNS0_10empty_typeENS0_5tupleIJS8_S9_EEENSB_IJS8_SA_EEENS0_18inequality_wrapperIZN2at6native12_GLOBAL__N_124unique_dim_cuda_templateIbEESt5tupleIJNSF_6TensorESK_SK_EERKSK_lbbbEUlllE0_EEPmJS9_EEE10hipError_tPvRmT3_T4_T5_T6_T7_T9_mT8_P12ihipStream_tbDpT10_ENKUlT_T0_E_clISt17integral_constantIbLb1EES19_IbLb0EEEEDaS15_S16_EUlS15_E_NS1_11comp_targetILNS1_3genE10ELNS1_11target_archE1200ELNS1_3gpuE4ELNS1_3repE0EEENS1_30default_config_static_selectorELNS0_4arch9wavefront6targetE0EEEvT1_: ; @_ZN7rocprim17ROCPRIM_400000_NS6detail17trampoline_kernelINS0_14default_configENS1_25partition_config_selectorILNS1_17partition_subalgoE9EllbEEZZNS1_14partition_implILS5_9ELb0ES3_jPlS8_PNS0_10empty_typeENS0_5tupleIJS8_S9_EEENSB_IJS8_SA_EEENS0_18inequality_wrapperIZN2at6native12_GLOBAL__N_124unique_dim_cuda_templateIbEESt5tupleIJNSF_6TensorESK_SK_EERKSK_lbbbEUlllE0_EEPmJS9_EEE10hipError_tPvRmT3_T4_T5_T6_T7_T9_mT8_P12ihipStream_tbDpT10_ENKUlT_T0_E_clISt17integral_constantIbLb1EES19_IbLb0EEEEDaS15_S16_EUlS15_E_NS1_11comp_targetILNS1_3genE10ELNS1_11target_archE1200ELNS1_3gpuE4ELNS1_3repE0EEENS1_30default_config_static_selectorELNS0_4arch9wavefront6targetE0EEEvT1_
; %bb.0:
	.section	.rodata,"a",@progbits
	.p2align	6, 0x0
	.amdhsa_kernel _ZN7rocprim17ROCPRIM_400000_NS6detail17trampoline_kernelINS0_14default_configENS1_25partition_config_selectorILNS1_17partition_subalgoE9EllbEEZZNS1_14partition_implILS5_9ELb0ES3_jPlS8_PNS0_10empty_typeENS0_5tupleIJS8_S9_EEENSB_IJS8_SA_EEENS0_18inequality_wrapperIZN2at6native12_GLOBAL__N_124unique_dim_cuda_templateIbEESt5tupleIJNSF_6TensorESK_SK_EERKSK_lbbbEUlllE0_EEPmJS9_EEE10hipError_tPvRmT3_T4_T5_T6_T7_T9_mT8_P12ihipStream_tbDpT10_ENKUlT_T0_E_clISt17integral_constantIbLb1EES19_IbLb0EEEEDaS15_S16_EUlS15_E_NS1_11comp_targetILNS1_3genE10ELNS1_11target_archE1200ELNS1_3gpuE4ELNS1_3repE0EEENS1_30default_config_static_selectorELNS0_4arch9wavefront6targetE0EEEvT1_
		.amdhsa_group_segment_fixed_size 0
		.amdhsa_private_segment_fixed_size 0
		.amdhsa_kernarg_size 120
		.amdhsa_user_sgpr_count 2
		.amdhsa_user_sgpr_dispatch_ptr 0
		.amdhsa_user_sgpr_queue_ptr 0
		.amdhsa_user_sgpr_kernarg_segment_ptr 1
		.amdhsa_user_sgpr_dispatch_id 0
		.amdhsa_user_sgpr_kernarg_preload_length 0
		.amdhsa_user_sgpr_kernarg_preload_offset 0
		.amdhsa_user_sgpr_private_segment_size 0
		.amdhsa_wavefront_size32 1
		.amdhsa_uses_dynamic_stack 0
		.amdhsa_enable_private_segment 0
		.amdhsa_system_sgpr_workgroup_id_x 1
		.amdhsa_system_sgpr_workgroup_id_y 0
		.amdhsa_system_sgpr_workgroup_id_z 0
		.amdhsa_system_sgpr_workgroup_info 0
		.amdhsa_system_vgpr_workitem_id 0
		.amdhsa_next_free_vgpr 1
		.amdhsa_next_free_sgpr 1
		.amdhsa_named_barrier_count 0
		.amdhsa_reserve_vcc 0
		.amdhsa_float_round_mode_32 0
		.amdhsa_float_round_mode_16_64 0
		.amdhsa_float_denorm_mode_32 3
		.amdhsa_float_denorm_mode_16_64 3
		.amdhsa_fp16_overflow 0
		.amdhsa_memory_ordered 1
		.amdhsa_forward_progress 1
		.amdhsa_inst_pref_size 0
		.amdhsa_round_robin_scheduling 0
		.amdhsa_exception_fp_ieee_invalid_op 0
		.amdhsa_exception_fp_denorm_src 0
		.amdhsa_exception_fp_ieee_div_zero 0
		.amdhsa_exception_fp_ieee_overflow 0
		.amdhsa_exception_fp_ieee_underflow 0
		.amdhsa_exception_fp_ieee_inexact 0
		.amdhsa_exception_int_div_zero 0
	.end_amdhsa_kernel
	.section	.text._ZN7rocprim17ROCPRIM_400000_NS6detail17trampoline_kernelINS0_14default_configENS1_25partition_config_selectorILNS1_17partition_subalgoE9EllbEEZZNS1_14partition_implILS5_9ELb0ES3_jPlS8_PNS0_10empty_typeENS0_5tupleIJS8_S9_EEENSB_IJS8_SA_EEENS0_18inequality_wrapperIZN2at6native12_GLOBAL__N_124unique_dim_cuda_templateIbEESt5tupleIJNSF_6TensorESK_SK_EERKSK_lbbbEUlllE0_EEPmJS9_EEE10hipError_tPvRmT3_T4_T5_T6_T7_T9_mT8_P12ihipStream_tbDpT10_ENKUlT_T0_E_clISt17integral_constantIbLb1EES19_IbLb0EEEEDaS15_S16_EUlS15_E_NS1_11comp_targetILNS1_3genE10ELNS1_11target_archE1200ELNS1_3gpuE4ELNS1_3repE0EEENS1_30default_config_static_selectorELNS0_4arch9wavefront6targetE0EEEvT1_,"axG",@progbits,_ZN7rocprim17ROCPRIM_400000_NS6detail17trampoline_kernelINS0_14default_configENS1_25partition_config_selectorILNS1_17partition_subalgoE9EllbEEZZNS1_14partition_implILS5_9ELb0ES3_jPlS8_PNS0_10empty_typeENS0_5tupleIJS8_S9_EEENSB_IJS8_SA_EEENS0_18inequality_wrapperIZN2at6native12_GLOBAL__N_124unique_dim_cuda_templateIbEESt5tupleIJNSF_6TensorESK_SK_EERKSK_lbbbEUlllE0_EEPmJS9_EEE10hipError_tPvRmT3_T4_T5_T6_T7_T9_mT8_P12ihipStream_tbDpT10_ENKUlT_T0_E_clISt17integral_constantIbLb1EES19_IbLb0EEEEDaS15_S16_EUlS15_E_NS1_11comp_targetILNS1_3genE10ELNS1_11target_archE1200ELNS1_3gpuE4ELNS1_3repE0EEENS1_30default_config_static_selectorELNS0_4arch9wavefront6targetE0EEEvT1_,comdat
.Lfunc_end1104:
	.size	_ZN7rocprim17ROCPRIM_400000_NS6detail17trampoline_kernelINS0_14default_configENS1_25partition_config_selectorILNS1_17partition_subalgoE9EllbEEZZNS1_14partition_implILS5_9ELb0ES3_jPlS8_PNS0_10empty_typeENS0_5tupleIJS8_S9_EEENSB_IJS8_SA_EEENS0_18inequality_wrapperIZN2at6native12_GLOBAL__N_124unique_dim_cuda_templateIbEESt5tupleIJNSF_6TensorESK_SK_EERKSK_lbbbEUlllE0_EEPmJS9_EEE10hipError_tPvRmT3_T4_T5_T6_T7_T9_mT8_P12ihipStream_tbDpT10_ENKUlT_T0_E_clISt17integral_constantIbLb1EES19_IbLb0EEEEDaS15_S16_EUlS15_E_NS1_11comp_targetILNS1_3genE10ELNS1_11target_archE1200ELNS1_3gpuE4ELNS1_3repE0EEENS1_30default_config_static_selectorELNS0_4arch9wavefront6targetE0EEEvT1_, .Lfunc_end1104-_ZN7rocprim17ROCPRIM_400000_NS6detail17trampoline_kernelINS0_14default_configENS1_25partition_config_selectorILNS1_17partition_subalgoE9EllbEEZZNS1_14partition_implILS5_9ELb0ES3_jPlS8_PNS0_10empty_typeENS0_5tupleIJS8_S9_EEENSB_IJS8_SA_EEENS0_18inequality_wrapperIZN2at6native12_GLOBAL__N_124unique_dim_cuda_templateIbEESt5tupleIJNSF_6TensorESK_SK_EERKSK_lbbbEUlllE0_EEPmJS9_EEE10hipError_tPvRmT3_T4_T5_T6_T7_T9_mT8_P12ihipStream_tbDpT10_ENKUlT_T0_E_clISt17integral_constantIbLb1EES19_IbLb0EEEEDaS15_S16_EUlS15_E_NS1_11comp_targetILNS1_3genE10ELNS1_11target_archE1200ELNS1_3gpuE4ELNS1_3repE0EEENS1_30default_config_static_selectorELNS0_4arch9wavefront6targetE0EEEvT1_
                                        ; -- End function
	.set _ZN7rocprim17ROCPRIM_400000_NS6detail17trampoline_kernelINS0_14default_configENS1_25partition_config_selectorILNS1_17partition_subalgoE9EllbEEZZNS1_14partition_implILS5_9ELb0ES3_jPlS8_PNS0_10empty_typeENS0_5tupleIJS8_S9_EEENSB_IJS8_SA_EEENS0_18inequality_wrapperIZN2at6native12_GLOBAL__N_124unique_dim_cuda_templateIbEESt5tupleIJNSF_6TensorESK_SK_EERKSK_lbbbEUlllE0_EEPmJS9_EEE10hipError_tPvRmT3_T4_T5_T6_T7_T9_mT8_P12ihipStream_tbDpT10_ENKUlT_T0_E_clISt17integral_constantIbLb1EES19_IbLb0EEEEDaS15_S16_EUlS15_E_NS1_11comp_targetILNS1_3genE10ELNS1_11target_archE1200ELNS1_3gpuE4ELNS1_3repE0EEENS1_30default_config_static_selectorELNS0_4arch9wavefront6targetE0EEEvT1_.num_vgpr, 0
	.set _ZN7rocprim17ROCPRIM_400000_NS6detail17trampoline_kernelINS0_14default_configENS1_25partition_config_selectorILNS1_17partition_subalgoE9EllbEEZZNS1_14partition_implILS5_9ELb0ES3_jPlS8_PNS0_10empty_typeENS0_5tupleIJS8_S9_EEENSB_IJS8_SA_EEENS0_18inequality_wrapperIZN2at6native12_GLOBAL__N_124unique_dim_cuda_templateIbEESt5tupleIJNSF_6TensorESK_SK_EERKSK_lbbbEUlllE0_EEPmJS9_EEE10hipError_tPvRmT3_T4_T5_T6_T7_T9_mT8_P12ihipStream_tbDpT10_ENKUlT_T0_E_clISt17integral_constantIbLb1EES19_IbLb0EEEEDaS15_S16_EUlS15_E_NS1_11comp_targetILNS1_3genE10ELNS1_11target_archE1200ELNS1_3gpuE4ELNS1_3repE0EEENS1_30default_config_static_selectorELNS0_4arch9wavefront6targetE0EEEvT1_.num_agpr, 0
	.set _ZN7rocprim17ROCPRIM_400000_NS6detail17trampoline_kernelINS0_14default_configENS1_25partition_config_selectorILNS1_17partition_subalgoE9EllbEEZZNS1_14partition_implILS5_9ELb0ES3_jPlS8_PNS0_10empty_typeENS0_5tupleIJS8_S9_EEENSB_IJS8_SA_EEENS0_18inequality_wrapperIZN2at6native12_GLOBAL__N_124unique_dim_cuda_templateIbEESt5tupleIJNSF_6TensorESK_SK_EERKSK_lbbbEUlllE0_EEPmJS9_EEE10hipError_tPvRmT3_T4_T5_T6_T7_T9_mT8_P12ihipStream_tbDpT10_ENKUlT_T0_E_clISt17integral_constantIbLb1EES19_IbLb0EEEEDaS15_S16_EUlS15_E_NS1_11comp_targetILNS1_3genE10ELNS1_11target_archE1200ELNS1_3gpuE4ELNS1_3repE0EEENS1_30default_config_static_selectorELNS0_4arch9wavefront6targetE0EEEvT1_.numbered_sgpr, 0
	.set _ZN7rocprim17ROCPRIM_400000_NS6detail17trampoline_kernelINS0_14default_configENS1_25partition_config_selectorILNS1_17partition_subalgoE9EllbEEZZNS1_14partition_implILS5_9ELb0ES3_jPlS8_PNS0_10empty_typeENS0_5tupleIJS8_S9_EEENSB_IJS8_SA_EEENS0_18inequality_wrapperIZN2at6native12_GLOBAL__N_124unique_dim_cuda_templateIbEESt5tupleIJNSF_6TensorESK_SK_EERKSK_lbbbEUlllE0_EEPmJS9_EEE10hipError_tPvRmT3_T4_T5_T6_T7_T9_mT8_P12ihipStream_tbDpT10_ENKUlT_T0_E_clISt17integral_constantIbLb1EES19_IbLb0EEEEDaS15_S16_EUlS15_E_NS1_11comp_targetILNS1_3genE10ELNS1_11target_archE1200ELNS1_3gpuE4ELNS1_3repE0EEENS1_30default_config_static_selectorELNS0_4arch9wavefront6targetE0EEEvT1_.num_named_barrier, 0
	.set _ZN7rocprim17ROCPRIM_400000_NS6detail17trampoline_kernelINS0_14default_configENS1_25partition_config_selectorILNS1_17partition_subalgoE9EllbEEZZNS1_14partition_implILS5_9ELb0ES3_jPlS8_PNS0_10empty_typeENS0_5tupleIJS8_S9_EEENSB_IJS8_SA_EEENS0_18inequality_wrapperIZN2at6native12_GLOBAL__N_124unique_dim_cuda_templateIbEESt5tupleIJNSF_6TensorESK_SK_EERKSK_lbbbEUlllE0_EEPmJS9_EEE10hipError_tPvRmT3_T4_T5_T6_T7_T9_mT8_P12ihipStream_tbDpT10_ENKUlT_T0_E_clISt17integral_constantIbLb1EES19_IbLb0EEEEDaS15_S16_EUlS15_E_NS1_11comp_targetILNS1_3genE10ELNS1_11target_archE1200ELNS1_3gpuE4ELNS1_3repE0EEENS1_30default_config_static_selectorELNS0_4arch9wavefront6targetE0EEEvT1_.private_seg_size, 0
	.set _ZN7rocprim17ROCPRIM_400000_NS6detail17trampoline_kernelINS0_14default_configENS1_25partition_config_selectorILNS1_17partition_subalgoE9EllbEEZZNS1_14partition_implILS5_9ELb0ES3_jPlS8_PNS0_10empty_typeENS0_5tupleIJS8_S9_EEENSB_IJS8_SA_EEENS0_18inequality_wrapperIZN2at6native12_GLOBAL__N_124unique_dim_cuda_templateIbEESt5tupleIJNSF_6TensorESK_SK_EERKSK_lbbbEUlllE0_EEPmJS9_EEE10hipError_tPvRmT3_T4_T5_T6_T7_T9_mT8_P12ihipStream_tbDpT10_ENKUlT_T0_E_clISt17integral_constantIbLb1EES19_IbLb0EEEEDaS15_S16_EUlS15_E_NS1_11comp_targetILNS1_3genE10ELNS1_11target_archE1200ELNS1_3gpuE4ELNS1_3repE0EEENS1_30default_config_static_selectorELNS0_4arch9wavefront6targetE0EEEvT1_.uses_vcc, 0
	.set _ZN7rocprim17ROCPRIM_400000_NS6detail17trampoline_kernelINS0_14default_configENS1_25partition_config_selectorILNS1_17partition_subalgoE9EllbEEZZNS1_14partition_implILS5_9ELb0ES3_jPlS8_PNS0_10empty_typeENS0_5tupleIJS8_S9_EEENSB_IJS8_SA_EEENS0_18inequality_wrapperIZN2at6native12_GLOBAL__N_124unique_dim_cuda_templateIbEESt5tupleIJNSF_6TensorESK_SK_EERKSK_lbbbEUlllE0_EEPmJS9_EEE10hipError_tPvRmT3_T4_T5_T6_T7_T9_mT8_P12ihipStream_tbDpT10_ENKUlT_T0_E_clISt17integral_constantIbLb1EES19_IbLb0EEEEDaS15_S16_EUlS15_E_NS1_11comp_targetILNS1_3genE10ELNS1_11target_archE1200ELNS1_3gpuE4ELNS1_3repE0EEENS1_30default_config_static_selectorELNS0_4arch9wavefront6targetE0EEEvT1_.uses_flat_scratch, 0
	.set _ZN7rocprim17ROCPRIM_400000_NS6detail17trampoline_kernelINS0_14default_configENS1_25partition_config_selectorILNS1_17partition_subalgoE9EllbEEZZNS1_14partition_implILS5_9ELb0ES3_jPlS8_PNS0_10empty_typeENS0_5tupleIJS8_S9_EEENSB_IJS8_SA_EEENS0_18inequality_wrapperIZN2at6native12_GLOBAL__N_124unique_dim_cuda_templateIbEESt5tupleIJNSF_6TensorESK_SK_EERKSK_lbbbEUlllE0_EEPmJS9_EEE10hipError_tPvRmT3_T4_T5_T6_T7_T9_mT8_P12ihipStream_tbDpT10_ENKUlT_T0_E_clISt17integral_constantIbLb1EES19_IbLb0EEEEDaS15_S16_EUlS15_E_NS1_11comp_targetILNS1_3genE10ELNS1_11target_archE1200ELNS1_3gpuE4ELNS1_3repE0EEENS1_30default_config_static_selectorELNS0_4arch9wavefront6targetE0EEEvT1_.has_dyn_sized_stack, 0
	.set _ZN7rocprim17ROCPRIM_400000_NS6detail17trampoline_kernelINS0_14default_configENS1_25partition_config_selectorILNS1_17partition_subalgoE9EllbEEZZNS1_14partition_implILS5_9ELb0ES3_jPlS8_PNS0_10empty_typeENS0_5tupleIJS8_S9_EEENSB_IJS8_SA_EEENS0_18inequality_wrapperIZN2at6native12_GLOBAL__N_124unique_dim_cuda_templateIbEESt5tupleIJNSF_6TensorESK_SK_EERKSK_lbbbEUlllE0_EEPmJS9_EEE10hipError_tPvRmT3_T4_T5_T6_T7_T9_mT8_P12ihipStream_tbDpT10_ENKUlT_T0_E_clISt17integral_constantIbLb1EES19_IbLb0EEEEDaS15_S16_EUlS15_E_NS1_11comp_targetILNS1_3genE10ELNS1_11target_archE1200ELNS1_3gpuE4ELNS1_3repE0EEENS1_30default_config_static_selectorELNS0_4arch9wavefront6targetE0EEEvT1_.has_recursion, 0
	.set _ZN7rocprim17ROCPRIM_400000_NS6detail17trampoline_kernelINS0_14default_configENS1_25partition_config_selectorILNS1_17partition_subalgoE9EllbEEZZNS1_14partition_implILS5_9ELb0ES3_jPlS8_PNS0_10empty_typeENS0_5tupleIJS8_S9_EEENSB_IJS8_SA_EEENS0_18inequality_wrapperIZN2at6native12_GLOBAL__N_124unique_dim_cuda_templateIbEESt5tupleIJNSF_6TensorESK_SK_EERKSK_lbbbEUlllE0_EEPmJS9_EEE10hipError_tPvRmT3_T4_T5_T6_T7_T9_mT8_P12ihipStream_tbDpT10_ENKUlT_T0_E_clISt17integral_constantIbLb1EES19_IbLb0EEEEDaS15_S16_EUlS15_E_NS1_11comp_targetILNS1_3genE10ELNS1_11target_archE1200ELNS1_3gpuE4ELNS1_3repE0EEENS1_30default_config_static_selectorELNS0_4arch9wavefront6targetE0EEEvT1_.has_indirect_call, 0
	.section	.AMDGPU.csdata,"",@progbits
; Kernel info:
; codeLenInByte = 0
; TotalNumSgprs: 0
; NumVgprs: 0
; ScratchSize: 0
; MemoryBound: 0
; FloatMode: 240
; IeeeMode: 1
; LDSByteSize: 0 bytes/workgroup (compile time only)
; SGPRBlocks: 0
; VGPRBlocks: 0
; NumSGPRsForWavesPerEU: 1
; NumVGPRsForWavesPerEU: 1
; NamedBarCnt: 0
; Occupancy: 16
; WaveLimiterHint : 0
; COMPUTE_PGM_RSRC2:SCRATCH_EN: 0
; COMPUTE_PGM_RSRC2:USER_SGPR: 2
; COMPUTE_PGM_RSRC2:TRAP_HANDLER: 0
; COMPUTE_PGM_RSRC2:TGID_X_EN: 1
; COMPUTE_PGM_RSRC2:TGID_Y_EN: 0
; COMPUTE_PGM_RSRC2:TGID_Z_EN: 0
; COMPUTE_PGM_RSRC2:TIDIG_COMP_CNT: 0
	.section	.text._ZN7rocprim17ROCPRIM_400000_NS6detail17trampoline_kernelINS0_14default_configENS1_25partition_config_selectorILNS1_17partition_subalgoE9EllbEEZZNS1_14partition_implILS5_9ELb0ES3_jPlS8_PNS0_10empty_typeENS0_5tupleIJS8_S9_EEENSB_IJS8_SA_EEENS0_18inequality_wrapperIZN2at6native12_GLOBAL__N_124unique_dim_cuda_templateIbEESt5tupleIJNSF_6TensorESK_SK_EERKSK_lbbbEUlllE0_EEPmJS9_EEE10hipError_tPvRmT3_T4_T5_T6_T7_T9_mT8_P12ihipStream_tbDpT10_ENKUlT_T0_E_clISt17integral_constantIbLb1EES19_IbLb0EEEEDaS15_S16_EUlS15_E_NS1_11comp_targetILNS1_3genE9ELNS1_11target_archE1100ELNS1_3gpuE3ELNS1_3repE0EEENS1_30default_config_static_selectorELNS0_4arch9wavefront6targetE0EEEvT1_,"axG",@progbits,_ZN7rocprim17ROCPRIM_400000_NS6detail17trampoline_kernelINS0_14default_configENS1_25partition_config_selectorILNS1_17partition_subalgoE9EllbEEZZNS1_14partition_implILS5_9ELb0ES3_jPlS8_PNS0_10empty_typeENS0_5tupleIJS8_S9_EEENSB_IJS8_SA_EEENS0_18inequality_wrapperIZN2at6native12_GLOBAL__N_124unique_dim_cuda_templateIbEESt5tupleIJNSF_6TensorESK_SK_EERKSK_lbbbEUlllE0_EEPmJS9_EEE10hipError_tPvRmT3_T4_T5_T6_T7_T9_mT8_P12ihipStream_tbDpT10_ENKUlT_T0_E_clISt17integral_constantIbLb1EES19_IbLb0EEEEDaS15_S16_EUlS15_E_NS1_11comp_targetILNS1_3genE9ELNS1_11target_archE1100ELNS1_3gpuE3ELNS1_3repE0EEENS1_30default_config_static_selectorELNS0_4arch9wavefront6targetE0EEEvT1_,comdat
	.globl	_ZN7rocprim17ROCPRIM_400000_NS6detail17trampoline_kernelINS0_14default_configENS1_25partition_config_selectorILNS1_17partition_subalgoE9EllbEEZZNS1_14partition_implILS5_9ELb0ES3_jPlS8_PNS0_10empty_typeENS0_5tupleIJS8_S9_EEENSB_IJS8_SA_EEENS0_18inequality_wrapperIZN2at6native12_GLOBAL__N_124unique_dim_cuda_templateIbEESt5tupleIJNSF_6TensorESK_SK_EERKSK_lbbbEUlllE0_EEPmJS9_EEE10hipError_tPvRmT3_T4_T5_T6_T7_T9_mT8_P12ihipStream_tbDpT10_ENKUlT_T0_E_clISt17integral_constantIbLb1EES19_IbLb0EEEEDaS15_S16_EUlS15_E_NS1_11comp_targetILNS1_3genE9ELNS1_11target_archE1100ELNS1_3gpuE3ELNS1_3repE0EEENS1_30default_config_static_selectorELNS0_4arch9wavefront6targetE0EEEvT1_ ; -- Begin function _ZN7rocprim17ROCPRIM_400000_NS6detail17trampoline_kernelINS0_14default_configENS1_25partition_config_selectorILNS1_17partition_subalgoE9EllbEEZZNS1_14partition_implILS5_9ELb0ES3_jPlS8_PNS0_10empty_typeENS0_5tupleIJS8_S9_EEENSB_IJS8_SA_EEENS0_18inequality_wrapperIZN2at6native12_GLOBAL__N_124unique_dim_cuda_templateIbEESt5tupleIJNSF_6TensorESK_SK_EERKSK_lbbbEUlllE0_EEPmJS9_EEE10hipError_tPvRmT3_T4_T5_T6_T7_T9_mT8_P12ihipStream_tbDpT10_ENKUlT_T0_E_clISt17integral_constantIbLb1EES19_IbLb0EEEEDaS15_S16_EUlS15_E_NS1_11comp_targetILNS1_3genE9ELNS1_11target_archE1100ELNS1_3gpuE3ELNS1_3repE0EEENS1_30default_config_static_selectorELNS0_4arch9wavefront6targetE0EEEvT1_
	.p2align	8
	.type	_ZN7rocprim17ROCPRIM_400000_NS6detail17trampoline_kernelINS0_14default_configENS1_25partition_config_selectorILNS1_17partition_subalgoE9EllbEEZZNS1_14partition_implILS5_9ELb0ES3_jPlS8_PNS0_10empty_typeENS0_5tupleIJS8_S9_EEENSB_IJS8_SA_EEENS0_18inequality_wrapperIZN2at6native12_GLOBAL__N_124unique_dim_cuda_templateIbEESt5tupleIJNSF_6TensorESK_SK_EERKSK_lbbbEUlllE0_EEPmJS9_EEE10hipError_tPvRmT3_T4_T5_T6_T7_T9_mT8_P12ihipStream_tbDpT10_ENKUlT_T0_E_clISt17integral_constantIbLb1EES19_IbLb0EEEEDaS15_S16_EUlS15_E_NS1_11comp_targetILNS1_3genE9ELNS1_11target_archE1100ELNS1_3gpuE3ELNS1_3repE0EEENS1_30default_config_static_selectorELNS0_4arch9wavefront6targetE0EEEvT1_,@function
_ZN7rocprim17ROCPRIM_400000_NS6detail17trampoline_kernelINS0_14default_configENS1_25partition_config_selectorILNS1_17partition_subalgoE9EllbEEZZNS1_14partition_implILS5_9ELb0ES3_jPlS8_PNS0_10empty_typeENS0_5tupleIJS8_S9_EEENSB_IJS8_SA_EEENS0_18inequality_wrapperIZN2at6native12_GLOBAL__N_124unique_dim_cuda_templateIbEESt5tupleIJNSF_6TensorESK_SK_EERKSK_lbbbEUlllE0_EEPmJS9_EEE10hipError_tPvRmT3_T4_T5_T6_T7_T9_mT8_P12ihipStream_tbDpT10_ENKUlT_T0_E_clISt17integral_constantIbLb1EES19_IbLb0EEEEDaS15_S16_EUlS15_E_NS1_11comp_targetILNS1_3genE9ELNS1_11target_archE1100ELNS1_3gpuE3ELNS1_3repE0EEENS1_30default_config_static_selectorELNS0_4arch9wavefront6targetE0EEEvT1_: ; @_ZN7rocprim17ROCPRIM_400000_NS6detail17trampoline_kernelINS0_14default_configENS1_25partition_config_selectorILNS1_17partition_subalgoE9EllbEEZZNS1_14partition_implILS5_9ELb0ES3_jPlS8_PNS0_10empty_typeENS0_5tupleIJS8_S9_EEENSB_IJS8_SA_EEENS0_18inequality_wrapperIZN2at6native12_GLOBAL__N_124unique_dim_cuda_templateIbEESt5tupleIJNSF_6TensorESK_SK_EERKSK_lbbbEUlllE0_EEPmJS9_EEE10hipError_tPvRmT3_T4_T5_T6_T7_T9_mT8_P12ihipStream_tbDpT10_ENKUlT_T0_E_clISt17integral_constantIbLb1EES19_IbLb0EEEEDaS15_S16_EUlS15_E_NS1_11comp_targetILNS1_3genE9ELNS1_11target_archE1100ELNS1_3gpuE3ELNS1_3repE0EEENS1_30default_config_static_selectorELNS0_4arch9wavefront6targetE0EEEvT1_
; %bb.0:
	.section	.rodata,"a",@progbits
	.p2align	6, 0x0
	.amdhsa_kernel _ZN7rocprim17ROCPRIM_400000_NS6detail17trampoline_kernelINS0_14default_configENS1_25partition_config_selectorILNS1_17partition_subalgoE9EllbEEZZNS1_14partition_implILS5_9ELb0ES3_jPlS8_PNS0_10empty_typeENS0_5tupleIJS8_S9_EEENSB_IJS8_SA_EEENS0_18inequality_wrapperIZN2at6native12_GLOBAL__N_124unique_dim_cuda_templateIbEESt5tupleIJNSF_6TensorESK_SK_EERKSK_lbbbEUlllE0_EEPmJS9_EEE10hipError_tPvRmT3_T4_T5_T6_T7_T9_mT8_P12ihipStream_tbDpT10_ENKUlT_T0_E_clISt17integral_constantIbLb1EES19_IbLb0EEEEDaS15_S16_EUlS15_E_NS1_11comp_targetILNS1_3genE9ELNS1_11target_archE1100ELNS1_3gpuE3ELNS1_3repE0EEENS1_30default_config_static_selectorELNS0_4arch9wavefront6targetE0EEEvT1_
		.amdhsa_group_segment_fixed_size 0
		.amdhsa_private_segment_fixed_size 0
		.amdhsa_kernarg_size 120
		.amdhsa_user_sgpr_count 2
		.amdhsa_user_sgpr_dispatch_ptr 0
		.amdhsa_user_sgpr_queue_ptr 0
		.amdhsa_user_sgpr_kernarg_segment_ptr 1
		.amdhsa_user_sgpr_dispatch_id 0
		.amdhsa_user_sgpr_kernarg_preload_length 0
		.amdhsa_user_sgpr_kernarg_preload_offset 0
		.amdhsa_user_sgpr_private_segment_size 0
		.amdhsa_wavefront_size32 1
		.amdhsa_uses_dynamic_stack 0
		.amdhsa_enable_private_segment 0
		.amdhsa_system_sgpr_workgroup_id_x 1
		.amdhsa_system_sgpr_workgroup_id_y 0
		.amdhsa_system_sgpr_workgroup_id_z 0
		.amdhsa_system_sgpr_workgroup_info 0
		.amdhsa_system_vgpr_workitem_id 0
		.amdhsa_next_free_vgpr 1
		.amdhsa_next_free_sgpr 1
		.amdhsa_named_barrier_count 0
		.amdhsa_reserve_vcc 0
		.amdhsa_float_round_mode_32 0
		.amdhsa_float_round_mode_16_64 0
		.amdhsa_float_denorm_mode_32 3
		.amdhsa_float_denorm_mode_16_64 3
		.amdhsa_fp16_overflow 0
		.amdhsa_memory_ordered 1
		.amdhsa_forward_progress 1
		.amdhsa_inst_pref_size 0
		.amdhsa_round_robin_scheduling 0
		.amdhsa_exception_fp_ieee_invalid_op 0
		.amdhsa_exception_fp_denorm_src 0
		.amdhsa_exception_fp_ieee_div_zero 0
		.amdhsa_exception_fp_ieee_overflow 0
		.amdhsa_exception_fp_ieee_underflow 0
		.amdhsa_exception_fp_ieee_inexact 0
		.amdhsa_exception_int_div_zero 0
	.end_amdhsa_kernel
	.section	.text._ZN7rocprim17ROCPRIM_400000_NS6detail17trampoline_kernelINS0_14default_configENS1_25partition_config_selectorILNS1_17partition_subalgoE9EllbEEZZNS1_14partition_implILS5_9ELb0ES3_jPlS8_PNS0_10empty_typeENS0_5tupleIJS8_S9_EEENSB_IJS8_SA_EEENS0_18inequality_wrapperIZN2at6native12_GLOBAL__N_124unique_dim_cuda_templateIbEESt5tupleIJNSF_6TensorESK_SK_EERKSK_lbbbEUlllE0_EEPmJS9_EEE10hipError_tPvRmT3_T4_T5_T6_T7_T9_mT8_P12ihipStream_tbDpT10_ENKUlT_T0_E_clISt17integral_constantIbLb1EES19_IbLb0EEEEDaS15_S16_EUlS15_E_NS1_11comp_targetILNS1_3genE9ELNS1_11target_archE1100ELNS1_3gpuE3ELNS1_3repE0EEENS1_30default_config_static_selectorELNS0_4arch9wavefront6targetE0EEEvT1_,"axG",@progbits,_ZN7rocprim17ROCPRIM_400000_NS6detail17trampoline_kernelINS0_14default_configENS1_25partition_config_selectorILNS1_17partition_subalgoE9EllbEEZZNS1_14partition_implILS5_9ELb0ES3_jPlS8_PNS0_10empty_typeENS0_5tupleIJS8_S9_EEENSB_IJS8_SA_EEENS0_18inequality_wrapperIZN2at6native12_GLOBAL__N_124unique_dim_cuda_templateIbEESt5tupleIJNSF_6TensorESK_SK_EERKSK_lbbbEUlllE0_EEPmJS9_EEE10hipError_tPvRmT3_T4_T5_T6_T7_T9_mT8_P12ihipStream_tbDpT10_ENKUlT_T0_E_clISt17integral_constantIbLb1EES19_IbLb0EEEEDaS15_S16_EUlS15_E_NS1_11comp_targetILNS1_3genE9ELNS1_11target_archE1100ELNS1_3gpuE3ELNS1_3repE0EEENS1_30default_config_static_selectorELNS0_4arch9wavefront6targetE0EEEvT1_,comdat
.Lfunc_end1105:
	.size	_ZN7rocprim17ROCPRIM_400000_NS6detail17trampoline_kernelINS0_14default_configENS1_25partition_config_selectorILNS1_17partition_subalgoE9EllbEEZZNS1_14partition_implILS5_9ELb0ES3_jPlS8_PNS0_10empty_typeENS0_5tupleIJS8_S9_EEENSB_IJS8_SA_EEENS0_18inequality_wrapperIZN2at6native12_GLOBAL__N_124unique_dim_cuda_templateIbEESt5tupleIJNSF_6TensorESK_SK_EERKSK_lbbbEUlllE0_EEPmJS9_EEE10hipError_tPvRmT3_T4_T5_T6_T7_T9_mT8_P12ihipStream_tbDpT10_ENKUlT_T0_E_clISt17integral_constantIbLb1EES19_IbLb0EEEEDaS15_S16_EUlS15_E_NS1_11comp_targetILNS1_3genE9ELNS1_11target_archE1100ELNS1_3gpuE3ELNS1_3repE0EEENS1_30default_config_static_selectorELNS0_4arch9wavefront6targetE0EEEvT1_, .Lfunc_end1105-_ZN7rocprim17ROCPRIM_400000_NS6detail17trampoline_kernelINS0_14default_configENS1_25partition_config_selectorILNS1_17partition_subalgoE9EllbEEZZNS1_14partition_implILS5_9ELb0ES3_jPlS8_PNS0_10empty_typeENS0_5tupleIJS8_S9_EEENSB_IJS8_SA_EEENS0_18inequality_wrapperIZN2at6native12_GLOBAL__N_124unique_dim_cuda_templateIbEESt5tupleIJNSF_6TensorESK_SK_EERKSK_lbbbEUlllE0_EEPmJS9_EEE10hipError_tPvRmT3_T4_T5_T6_T7_T9_mT8_P12ihipStream_tbDpT10_ENKUlT_T0_E_clISt17integral_constantIbLb1EES19_IbLb0EEEEDaS15_S16_EUlS15_E_NS1_11comp_targetILNS1_3genE9ELNS1_11target_archE1100ELNS1_3gpuE3ELNS1_3repE0EEENS1_30default_config_static_selectorELNS0_4arch9wavefront6targetE0EEEvT1_
                                        ; -- End function
	.set _ZN7rocprim17ROCPRIM_400000_NS6detail17trampoline_kernelINS0_14default_configENS1_25partition_config_selectorILNS1_17partition_subalgoE9EllbEEZZNS1_14partition_implILS5_9ELb0ES3_jPlS8_PNS0_10empty_typeENS0_5tupleIJS8_S9_EEENSB_IJS8_SA_EEENS0_18inequality_wrapperIZN2at6native12_GLOBAL__N_124unique_dim_cuda_templateIbEESt5tupleIJNSF_6TensorESK_SK_EERKSK_lbbbEUlllE0_EEPmJS9_EEE10hipError_tPvRmT3_T4_T5_T6_T7_T9_mT8_P12ihipStream_tbDpT10_ENKUlT_T0_E_clISt17integral_constantIbLb1EES19_IbLb0EEEEDaS15_S16_EUlS15_E_NS1_11comp_targetILNS1_3genE9ELNS1_11target_archE1100ELNS1_3gpuE3ELNS1_3repE0EEENS1_30default_config_static_selectorELNS0_4arch9wavefront6targetE0EEEvT1_.num_vgpr, 0
	.set _ZN7rocprim17ROCPRIM_400000_NS6detail17trampoline_kernelINS0_14default_configENS1_25partition_config_selectorILNS1_17partition_subalgoE9EllbEEZZNS1_14partition_implILS5_9ELb0ES3_jPlS8_PNS0_10empty_typeENS0_5tupleIJS8_S9_EEENSB_IJS8_SA_EEENS0_18inequality_wrapperIZN2at6native12_GLOBAL__N_124unique_dim_cuda_templateIbEESt5tupleIJNSF_6TensorESK_SK_EERKSK_lbbbEUlllE0_EEPmJS9_EEE10hipError_tPvRmT3_T4_T5_T6_T7_T9_mT8_P12ihipStream_tbDpT10_ENKUlT_T0_E_clISt17integral_constantIbLb1EES19_IbLb0EEEEDaS15_S16_EUlS15_E_NS1_11comp_targetILNS1_3genE9ELNS1_11target_archE1100ELNS1_3gpuE3ELNS1_3repE0EEENS1_30default_config_static_selectorELNS0_4arch9wavefront6targetE0EEEvT1_.num_agpr, 0
	.set _ZN7rocprim17ROCPRIM_400000_NS6detail17trampoline_kernelINS0_14default_configENS1_25partition_config_selectorILNS1_17partition_subalgoE9EllbEEZZNS1_14partition_implILS5_9ELb0ES3_jPlS8_PNS0_10empty_typeENS0_5tupleIJS8_S9_EEENSB_IJS8_SA_EEENS0_18inequality_wrapperIZN2at6native12_GLOBAL__N_124unique_dim_cuda_templateIbEESt5tupleIJNSF_6TensorESK_SK_EERKSK_lbbbEUlllE0_EEPmJS9_EEE10hipError_tPvRmT3_T4_T5_T6_T7_T9_mT8_P12ihipStream_tbDpT10_ENKUlT_T0_E_clISt17integral_constantIbLb1EES19_IbLb0EEEEDaS15_S16_EUlS15_E_NS1_11comp_targetILNS1_3genE9ELNS1_11target_archE1100ELNS1_3gpuE3ELNS1_3repE0EEENS1_30default_config_static_selectorELNS0_4arch9wavefront6targetE0EEEvT1_.numbered_sgpr, 0
	.set _ZN7rocprim17ROCPRIM_400000_NS6detail17trampoline_kernelINS0_14default_configENS1_25partition_config_selectorILNS1_17partition_subalgoE9EllbEEZZNS1_14partition_implILS5_9ELb0ES3_jPlS8_PNS0_10empty_typeENS0_5tupleIJS8_S9_EEENSB_IJS8_SA_EEENS0_18inequality_wrapperIZN2at6native12_GLOBAL__N_124unique_dim_cuda_templateIbEESt5tupleIJNSF_6TensorESK_SK_EERKSK_lbbbEUlllE0_EEPmJS9_EEE10hipError_tPvRmT3_T4_T5_T6_T7_T9_mT8_P12ihipStream_tbDpT10_ENKUlT_T0_E_clISt17integral_constantIbLb1EES19_IbLb0EEEEDaS15_S16_EUlS15_E_NS1_11comp_targetILNS1_3genE9ELNS1_11target_archE1100ELNS1_3gpuE3ELNS1_3repE0EEENS1_30default_config_static_selectorELNS0_4arch9wavefront6targetE0EEEvT1_.num_named_barrier, 0
	.set _ZN7rocprim17ROCPRIM_400000_NS6detail17trampoline_kernelINS0_14default_configENS1_25partition_config_selectorILNS1_17partition_subalgoE9EllbEEZZNS1_14partition_implILS5_9ELb0ES3_jPlS8_PNS0_10empty_typeENS0_5tupleIJS8_S9_EEENSB_IJS8_SA_EEENS0_18inequality_wrapperIZN2at6native12_GLOBAL__N_124unique_dim_cuda_templateIbEESt5tupleIJNSF_6TensorESK_SK_EERKSK_lbbbEUlllE0_EEPmJS9_EEE10hipError_tPvRmT3_T4_T5_T6_T7_T9_mT8_P12ihipStream_tbDpT10_ENKUlT_T0_E_clISt17integral_constantIbLb1EES19_IbLb0EEEEDaS15_S16_EUlS15_E_NS1_11comp_targetILNS1_3genE9ELNS1_11target_archE1100ELNS1_3gpuE3ELNS1_3repE0EEENS1_30default_config_static_selectorELNS0_4arch9wavefront6targetE0EEEvT1_.private_seg_size, 0
	.set _ZN7rocprim17ROCPRIM_400000_NS6detail17trampoline_kernelINS0_14default_configENS1_25partition_config_selectorILNS1_17partition_subalgoE9EllbEEZZNS1_14partition_implILS5_9ELb0ES3_jPlS8_PNS0_10empty_typeENS0_5tupleIJS8_S9_EEENSB_IJS8_SA_EEENS0_18inequality_wrapperIZN2at6native12_GLOBAL__N_124unique_dim_cuda_templateIbEESt5tupleIJNSF_6TensorESK_SK_EERKSK_lbbbEUlllE0_EEPmJS9_EEE10hipError_tPvRmT3_T4_T5_T6_T7_T9_mT8_P12ihipStream_tbDpT10_ENKUlT_T0_E_clISt17integral_constantIbLb1EES19_IbLb0EEEEDaS15_S16_EUlS15_E_NS1_11comp_targetILNS1_3genE9ELNS1_11target_archE1100ELNS1_3gpuE3ELNS1_3repE0EEENS1_30default_config_static_selectorELNS0_4arch9wavefront6targetE0EEEvT1_.uses_vcc, 0
	.set _ZN7rocprim17ROCPRIM_400000_NS6detail17trampoline_kernelINS0_14default_configENS1_25partition_config_selectorILNS1_17partition_subalgoE9EllbEEZZNS1_14partition_implILS5_9ELb0ES3_jPlS8_PNS0_10empty_typeENS0_5tupleIJS8_S9_EEENSB_IJS8_SA_EEENS0_18inequality_wrapperIZN2at6native12_GLOBAL__N_124unique_dim_cuda_templateIbEESt5tupleIJNSF_6TensorESK_SK_EERKSK_lbbbEUlllE0_EEPmJS9_EEE10hipError_tPvRmT3_T4_T5_T6_T7_T9_mT8_P12ihipStream_tbDpT10_ENKUlT_T0_E_clISt17integral_constantIbLb1EES19_IbLb0EEEEDaS15_S16_EUlS15_E_NS1_11comp_targetILNS1_3genE9ELNS1_11target_archE1100ELNS1_3gpuE3ELNS1_3repE0EEENS1_30default_config_static_selectorELNS0_4arch9wavefront6targetE0EEEvT1_.uses_flat_scratch, 0
	.set _ZN7rocprim17ROCPRIM_400000_NS6detail17trampoline_kernelINS0_14default_configENS1_25partition_config_selectorILNS1_17partition_subalgoE9EllbEEZZNS1_14partition_implILS5_9ELb0ES3_jPlS8_PNS0_10empty_typeENS0_5tupleIJS8_S9_EEENSB_IJS8_SA_EEENS0_18inequality_wrapperIZN2at6native12_GLOBAL__N_124unique_dim_cuda_templateIbEESt5tupleIJNSF_6TensorESK_SK_EERKSK_lbbbEUlllE0_EEPmJS9_EEE10hipError_tPvRmT3_T4_T5_T6_T7_T9_mT8_P12ihipStream_tbDpT10_ENKUlT_T0_E_clISt17integral_constantIbLb1EES19_IbLb0EEEEDaS15_S16_EUlS15_E_NS1_11comp_targetILNS1_3genE9ELNS1_11target_archE1100ELNS1_3gpuE3ELNS1_3repE0EEENS1_30default_config_static_selectorELNS0_4arch9wavefront6targetE0EEEvT1_.has_dyn_sized_stack, 0
	.set _ZN7rocprim17ROCPRIM_400000_NS6detail17trampoline_kernelINS0_14default_configENS1_25partition_config_selectorILNS1_17partition_subalgoE9EllbEEZZNS1_14partition_implILS5_9ELb0ES3_jPlS8_PNS0_10empty_typeENS0_5tupleIJS8_S9_EEENSB_IJS8_SA_EEENS0_18inequality_wrapperIZN2at6native12_GLOBAL__N_124unique_dim_cuda_templateIbEESt5tupleIJNSF_6TensorESK_SK_EERKSK_lbbbEUlllE0_EEPmJS9_EEE10hipError_tPvRmT3_T4_T5_T6_T7_T9_mT8_P12ihipStream_tbDpT10_ENKUlT_T0_E_clISt17integral_constantIbLb1EES19_IbLb0EEEEDaS15_S16_EUlS15_E_NS1_11comp_targetILNS1_3genE9ELNS1_11target_archE1100ELNS1_3gpuE3ELNS1_3repE0EEENS1_30default_config_static_selectorELNS0_4arch9wavefront6targetE0EEEvT1_.has_recursion, 0
	.set _ZN7rocprim17ROCPRIM_400000_NS6detail17trampoline_kernelINS0_14default_configENS1_25partition_config_selectorILNS1_17partition_subalgoE9EllbEEZZNS1_14partition_implILS5_9ELb0ES3_jPlS8_PNS0_10empty_typeENS0_5tupleIJS8_S9_EEENSB_IJS8_SA_EEENS0_18inequality_wrapperIZN2at6native12_GLOBAL__N_124unique_dim_cuda_templateIbEESt5tupleIJNSF_6TensorESK_SK_EERKSK_lbbbEUlllE0_EEPmJS9_EEE10hipError_tPvRmT3_T4_T5_T6_T7_T9_mT8_P12ihipStream_tbDpT10_ENKUlT_T0_E_clISt17integral_constantIbLb1EES19_IbLb0EEEEDaS15_S16_EUlS15_E_NS1_11comp_targetILNS1_3genE9ELNS1_11target_archE1100ELNS1_3gpuE3ELNS1_3repE0EEENS1_30default_config_static_selectorELNS0_4arch9wavefront6targetE0EEEvT1_.has_indirect_call, 0
	.section	.AMDGPU.csdata,"",@progbits
; Kernel info:
; codeLenInByte = 0
; TotalNumSgprs: 0
; NumVgprs: 0
; ScratchSize: 0
; MemoryBound: 0
; FloatMode: 240
; IeeeMode: 1
; LDSByteSize: 0 bytes/workgroup (compile time only)
; SGPRBlocks: 0
; VGPRBlocks: 0
; NumSGPRsForWavesPerEU: 1
; NumVGPRsForWavesPerEU: 1
; NamedBarCnt: 0
; Occupancy: 16
; WaveLimiterHint : 0
; COMPUTE_PGM_RSRC2:SCRATCH_EN: 0
; COMPUTE_PGM_RSRC2:USER_SGPR: 2
; COMPUTE_PGM_RSRC2:TRAP_HANDLER: 0
; COMPUTE_PGM_RSRC2:TGID_X_EN: 1
; COMPUTE_PGM_RSRC2:TGID_Y_EN: 0
; COMPUTE_PGM_RSRC2:TGID_Z_EN: 0
; COMPUTE_PGM_RSRC2:TIDIG_COMP_CNT: 0
	.section	.text._ZN7rocprim17ROCPRIM_400000_NS6detail17trampoline_kernelINS0_14default_configENS1_25partition_config_selectorILNS1_17partition_subalgoE9EllbEEZZNS1_14partition_implILS5_9ELb0ES3_jPlS8_PNS0_10empty_typeENS0_5tupleIJS8_S9_EEENSB_IJS8_SA_EEENS0_18inequality_wrapperIZN2at6native12_GLOBAL__N_124unique_dim_cuda_templateIbEESt5tupleIJNSF_6TensorESK_SK_EERKSK_lbbbEUlllE0_EEPmJS9_EEE10hipError_tPvRmT3_T4_T5_T6_T7_T9_mT8_P12ihipStream_tbDpT10_ENKUlT_T0_E_clISt17integral_constantIbLb1EES19_IbLb0EEEEDaS15_S16_EUlS15_E_NS1_11comp_targetILNS1_3genE8ELNS1_11target_archE1030ELNS1_3gpuE2ELNS1_3repE0EEENS1_30default_config_static_selectorELNS0_4arch9wavefront6targetE0EEEvT1_,"axG",@progbits,_ZN7rocprim17ROCPRIM_400000_NS6detail17trampoline_kernelINS0_14default_configENS1_25partition_config_selectorILNS1_17partition_subalgoE9EllbEEZZNS1_14partition_implILS5_9ELb0ES3_jPlS8_PNS0_10empty_typeENS0_5tupleIJS8_S9_EEENSB_IJS8_SA_EEENS0_18inequality_wrapperIZN2at6native12_GLOBAL__N_124unique_dim_cuda_templateIbEESt5tupleIJNSF_6TensorESK_SK_EERKSK_lbbbEUlllE0_EEPmJS9_EEE10hipError_tPvRmT3_T4_T5_T6_T7_T9_mT8_P12ihipStream_tbDpT10_ENKUlT_T0_E_clISt17integral_constantIbLb1EES19_IbLb0EEEEDaS15_S16_EUlS15_E_NS1_11comp_targetILNS1_3genE8ELNS1_11target_archE1030ELNS1_3gpuE2ELNS1_3repE0EEENS1_30default_config_static_selectorELNS0_4arch9wavefront6targetE0EEEvT1_,comdat
	.globl	_ZN7rocprim17ROCPRIM_400000_NS6detail17trampoline_kernelINS0_14default_configENS1_25partition_config_selectorILNS1_17partition_subalgoE9EllbEEZZNS1_14partition_implILS5_9ELb0ES3_jPlS8_PNS0_10empty_typeENS0_5tupleIJS8_S9_EEENSB_IJS8_SA_EEENS0_18inequality_wrapperIZN2at6native12_GLOBAL__N_124unique_dim_cuda_templateIbEESt5tupleIJNSF_6TensorESK_SK_EERKSK_lbbbEUlllE0_EEPmJS9_EEE10hipError_tPvRmT3_T4_T5_T6_T7_T9_mT8_P12ihipStream_tbDpT10_ENKUlT_T0_E_clISt17integral_constantIbLb1EES19_IbLb0EEEEDaS15_S16_EUlS15_E_NS1_11comp_targetILNS1_3genE8ELNS1_11target_archE1030ELNS1_3gpuE2ELNS1_3repE0EEENS1_30default_config_static_selectorELNS0_4arch9wavefront6targetE0EEEvT1_ ; -- Begin function _ZN7rocprim17ROCPRIM_400000_NS6detail17trampoline_kernelINS0_14default_configENS1_25partition_config_selectorILNS1_17partition_subalgoE9EllbEEZZNS1_14partition_implILS5_9ELb0ES3_jPlS8_PNS0_10empty_typeENS0_5tupleIJS8_S9_EEENSB_IJS8_SA_EEENS0_18inequality_wrapperIZN2at6native12_GLOBAL__N_124unique_dim_cuda_templateIbEESt5tupleIJNSF_6TensorESK_SK_EERKSK_lbbbEUlllE0_EEPmJS9_EEE10hipError_tPvRmT3_T4_T5_T6_T7_T9_mT8_P12ihipStream_tbDpT10_ENKUlT_T0_E_clISt17integral_constantIbLb1EES19_IbLb0EEEEDaS15_S16_EUlS15_E_NS1_11comp_targetILNS1_3genE8ELNS1_11target_archE1030ELNS1_3gpuE2ELNS1_3repE0EEENS1_30default_config_static_selectorELNS0_4arch9wavefront6targetE0EEEvT1_
	.p2align	8
	.type	_ZN7rocprim17ROCPRIM_400000_NS6detail17trampoline_kernelINS0_14default_configENS1_25partition_config_selectorILNS1_17partition_subalgoE9EllbEEZZNS1_14partition_implILS5_9ELb0ES3_jPlS8_PNS0_10empty_typeENS0_5tupleIJS8_S9_EEENSB_IJS8_SA_EEENS0_18inequality_wrapperIZN2at6native12_GLOBAL__N_124unique_dim_cuda_templateIbEESt5tupleIJNSF_6TensorESK_SK_EERKSK_lbbbEUlllE0_EEPmJS9_EEE10hipError_tPvRmT3_T4_T5_T6_T7_T9_mT8_P12ihipStream_tbDpT10_ENKUlT_T0_E_clISt17integral_constantIbLb1EES19_IbLb0EEEEDaS15_S16_EUlS15_E_NS1_11comp_targetILNS1_3genE8ELNS1_11target_archE1030ELNS1_3gpuE2ELNS1_3repE0EEENS1_30default_config_static_selectorELNS0_4arch9wavefront6targetE0EEEvT1_,@function
_ZN7rocprim17ROCPRIM_400000_NS6detail17trampoline_kernelINS0_14default_configENS1_25partition_config_selectorILNS1_17partition_subalgoE9EllbEEZZNS1_14partition_implILS5_9ELb0ES3_jPlS8_PNS0_10empty_typeENS0_5tupleIJS8_S9_EEENSB_IJS8_SA_EEENS0_18inequality_wrapperIZN2at6native12_GLOBAL__N_124unique_dim_cuda_templateIbEESt5tupleIJNSF_6TensorESK_SK_EERKSK_lbbbEUlllE0_EEPmJS9_EEE10hipError_tPvRmT3_T4_T5_T6_T7_T9_mT8_P12ihipStream_tbDpT10_ENKUlT_T0_E_clISt17integral_constantIbLb1EES19_IbLb0EEEEDaS15_S16_EUlS15_E_NS1_11comp_targetILNS1_3genE8ELNS1_11target_archE1030ELNS1_3gpuE2ELNS1_3repE0EEENS1_30default_config_static_selectorELNS0_4arch9wavefront6targetE0EEEvT1_: ; @_ZN7rocprim17ROCPRIM_400000_NS6detail17trampoline_kernelINS0_14default_configENS1_25partition_config_selectorILNS1_17partition_subalgoE9EllbEEZZNS1_14partition_implILS5_9ELb0ES3_jPlS8_PNS0_10empty_typeENS0_5tupleIJS8_S9_EEENSB_IJS8_SA_EEENS0_18inequality_wrapperIZN2at6native12_GLOBAL__N_124unique_dim_cuda_templateIbEESt5tupleIJNSF_6TensorESK_SK_EERKSK_lbbbEUlllE0_EEPmJS9_EEE10hipError_tPvRmT3_T4_T5_T6_T7_T9_mT8_P12ihipStream_tbDpT10_ENKUlT_T0_E_clISt17integral_constantIbLb1EES19_IbLb0EEEEDaS15_S16_EUlS15_E_NS1_11comp_targetILNS1_3genE8ELNS1_11target_archE1030ELNS1_3gpuE2ELNS1_3repE0EEENS1_30default_config_static_selectorELNS0_4arch9wavefront6targetE0EEEvT1_
; %bb.0:
	.section	.rodata,"a",@progbits
	.p2align	6, 0x0
	.amdhsa_kernel _ZN7rocprim17ROCPRIM_400000_NS6detail17trampoline_kernelINS0_14default_configENS1_25partition_config_selectorILNS1_17partition_subalgoE9EllbEEZZNS1_14partition_implILS5_9ELb0ES3_jPlS8_PNS0_10empty_typeENS0_5tupleIJS8_S9_EEENSB_IJS8_SA_EEENS0_18inequality_wrapperIZN2at6native12_GLOBAL__N_124unique_dim_cuda_templateIbEESt5tupleIJNSF_6TensorESK_SK_EERKSK_lbbbEUlllE0_EEPmJS9_EEE10hipError_tPvRmT3_T4_T5_T6_T7_T9_mT8_P12ihipStream_tbDpT10_ENKUlT_T0_E_clISt17integral_constantIbLb1EES19_IbLb0EEEEDaS15_S16_EUlS15_E_NS1_11comp_targetILNS1_3genE8ELNS1_11target_archE1030ELNS1_3gpuE2ELNS1_3repE0EEENS1_30default_config_static_selectorELNS0_4arch9wavefront6targetE0EEEvT1_
		.amdhsa_group_segment_fixed_size 0
		.amdhsa_private_segment_fixed_size 0
		.amdhsa_kernarg_size 120
		.amdhsa_user_sgpr_count 2
		.amdhsa_user_sgpr_dispatch_ptr 0
		.amdhsa_user_sgpr_queue_ptr 0
		.amdhsa_user_sgpr_kernarg_segment_ptr 1
		.amdhsa_user_sgpr_dispatch_id 0
		.amdhsa_user_sgpr_kernarg_preload_length 0
		.amdhsa_user_sgpr_kernarg_preload_offset 0
		.amdhsa_user_sgpr_private_segment_size 0
		.amdhsa_wavefront_size32 1
		.amdhsa_uses_dynamic_stack 0
		.amdhsa_enable_private_segment 0
		.amdhsa_system_sgpr_workgroup_id_x 1
		.amdhsa_system_sgpr_workgroup_id_y 0
		.amdhsa_system_sgpr_workgroup_id_z 0
		.amdhsa_system_sgpr_workgroup_info 0
		.amdhsa_system_vgpr_workitem_id 0
		.amdhsa_next_free_vgpr 1
		.amdhsa_next_free_sgpr 1
		.amdhsa_named_barrier_count 0
		.amdhsa_reserve_vcc 0
		.amdhsa_float_round_mode_32 0
		.amdhsa_float_round_mode_16_64 0
		.amdhsa_float_denorm_mode_32 3
		.amdhsa_float_denorm_mode_16_64 3
		.amdhsa_fp16_overflow 0
		.amdhsa_memory_ordered 1
		.amdhsa_forward_progress 1
		.amdhsa_inst_pref_size 0
		.amdhsa_round_robin_scheduling 0
		.amdhsa_exception_fp_ieee_invalid_op 0
		.amdhsa_exception_fp_denorm_src 0
		.amdhsa_exception_fp_ieee_div_zero 0
		.amdhsa_exception_fp_ieee_overflow 0
		.amdhsa_exception_fp_ieee_underflow 0
		.amdhsa_exception_fp_ieee_inexact 0
		.amdhsa_exception_int_div_zero 0
	.end_amdhsa_kernel
	.section	.text._ZN7rocprim17ROCPRIM_400000_NS6detail17trampoline_kernelINS0_14default_configENS1_25partition_config_selectorILNS1_17partition_subalgoE9EllbEEZZNS1_14partition_implILS5_9ELb0ES3_jPlS8_PNS0_10empty_typeENS0_5tupleIJS8_S9_EEENSB_IJS8_SA_EEENS0_18inequality_wrapperIZN2at6native12_GLOBAL__N_124unique_dim_cuda_templateIbEESt5tupleIJNSF_6TensorESK_SK_EERKSK_lbbbEUlllE0_EEPmJS9_EEE10hipError_tPvRmT3_T4_T5_T6_T7_T9_mT8_P12ihipStream_tbDpT10_ENKUlT_T0_E_clISt17integral_constantIbLb1EES19_IbLb0EEEEDaS15_S16_EUlS15_E_NS1_11comp_targetILNS1_3genE8ELNS1_11target_archE1030ELNS1_3gpuE2ELNS1_3repE0EEENS1_30default_config_static_selectorELNS0_4arch9wavefront6targetE0EEEvT1_,"axG",@progbits,_ZN7rocprim17ROCPRIM_400000_NS6detail17trampoline_kernelINS0_14default_configENS1_25partition_config_selectorILNS1_17partition_subalgoE9EllbEEZZNS1_14partition_implILS5_9ELb0ES3_jPlS8_PNS0_10empty_typeENS0_5tupleIJS8_S9_EEENSB_IJS8_SA_EEENS0_18inequality_wrapperIZN2at6native12_GLOBAL__N_124unique_dim_cuda_templateIbEESt5tupleIJNSF_6TensorESK_SK_EERKSK_lbbbEUlllE0_EEPmJS9_EEE10hipError_tPvRmT3_T4_T5_T6_T7_T9_mT8_P12ihipStream_tbDpT10_ENKUlT_T0_E_clISt17integral_constantIbLb1EES19_IbLb0EEEEDaS15_S16_EUlS15_E_NS1_11comp_targetILNS1_3genE8ELNS1_11target_archE1030ELNS1_3gpuE2ELNS1_3repE0EEENS1_30default_config_static_selectorELNS0_4arch9wavefront6targetE0EEEvT1_,comdat
.Lfunc_end1106:
	.size	_ZN7rocprim17ROCPRIM_400000_NS6detail17trampoline_kernelINS0_14default_configENS1_25partition_config_selectorILNS1_17partition_subalgoE9EllbEEZZNS1_14partition_implILS5_9ELb0ES3_jPlS8_PNS0_10empty_typeENS0_5tupleIJS8_S9_EEENSB_IJS8_SA_EEENS0_18inequality_wrapperIZN2at6native12_GLOBAL__N_124unique_dim_cuda_templateIbEESt5tupleIJNSF_6TensorESK_SK_EERKSK_lbbbEUlllE0_EEPmJS9_EEE10hipError_tPvRmT3_T4_T5_T6_T7_T9_mT8_P12ihipStream_tbDpT10_ENKUlT_T0_E_clISt17integral_constantIbLb1EES19_IbLb0EEEEDaS15_S16_EUlS15_E_NS1_11comp_targetILNS1_3genE8ELNS1_11target_archE1030ELNS1_3gpuE2ELNS1_3repE0EEENS1_30default_config_static_selectorELNS0_4arch9wavefront6targetE0EEEvT1_, .Lfunc_end1106-_ZN7rocprim17ROCPRIM_400000_NS6detail17trampoline_kernelINS0_14default_configENS1_25partition_config_selectorILNS1_17partition_subalgoE9EllbEEZZNS1_14partition_implILS5_9ELb0ES3_jPlS8_PNS0_10empty_typeENS0_5tupleIJS8_S9_EEENSB_IJS8_SA_EEENS0_18inequality_wrapperIZN2at6native12_GLOBAL__N_124unique_dim_cuda_templateIbEESt5tupleIJNSF_6TensorESK_SK_EERKSK_lbbbEUlllE0_EEPmJS9_EEE10hipError_tPvRmT3_T4_T5_T6_T7_T9_mT8_P12ihipStream_tbDpT10_ENKUlT_T0_E_clISt17integral_constantIbLb1EES19_IbLb0EEEEDaS15_S16_EUlS15_E_NS1_11comp_targetILNS1_3genE8ELNS1_11target_archE1030ELNS1_3gpuE2ELNS1_3repE0EEENS1_30default_config_static_selectorELNS0_4arch9wavefront6targetE0EEEvT1_
                                        ; -- End function
	.set _ZN7rocprim17ROCPRIM_400000_NS6detail17trampoline_kernelINS0_14default_configENS1_25partition_config_selectorILNS1_17partition_subalgoE9EllbEEZZNS1_14partition_implILS5_9ELb0ES3_jPlS8_PNS0_10empty_typeENS0_5tupleIJS8_S9_EEENSB_IJS8_SA_EEENS0_18inequality_wrapperIZN2at6native12_GLOBAL__N_124unique_dim_cuda_templateIbEESt5tupleIJNSF_6TensorESK_SK_EERKSK_lbbbEUlllE0_EEPmJS9_EEE10hipError_tPvRmT3_T4_T5_T6_T7_T9_mT8_P12ihipStream_tbDpT10_ENKUlT_T0_E_clISt17integral_constantIbLb1EES19_IbLb0EEEEDaS15_S16_EUlS15_E_NS1_11comp_targetILNS1_3genE8ELNS1_11target_archE1030ELNS1_3gpuE2ELNS1_3repE0EEENS1_30default_config_static_selectorELNS0_4arch9wavefront6targetE0EEEvT1_.num_vgpr, 0
	.set _ZN7rocprim17ROCPRIM_400000_NS6detail17trampoline_kernelINS0_14default_configENS1_25partition_config_selectorILNS1_17partition_subalgoE9EllbEEZZNS1_14partition_implILS5_9ELb0ES3_jPlS8_PNS0_10empty_typeENS0_5tupleIJS8_S9_EEENSB_IJS8_SA_EEENS0_18inequality_wrapperIZN2at6native12_GLOBAL__N_124unique_dim_cuda_templateIbEESt5tupleIJNSF_6TensorESK_SK_EERKSK_lbbbEUlllE0_EEPmJS9_EEE10hipError_tPvRmT3_T4_T5_T6_T7_T9_mT8_P12ihipStream_tbDpT10_ENKUlT_T0_E_clISt17integral_constantIbLb1EES19_IbLb0EEEEDaS15_S16_EUlS15_E_NS1_11comp_targetILNS1_3genE8ELNS1_11target_archE1030ELNS1_3gpuE2ELNS1_3repE0EEENS1_30default_config_static_selectorELNS0_4arch9wavefront6targetE0EEEvT1_.num_agpr, 0
	.set _ZN7rocprim17ROCPRIM_400000_NS6detail17trampoline_kernelINS0_14default_configENS1_25partition_config_selectorILNS1_17partition_subalgoE9EllbEEZZNS1_14partition_implILS5_9ELb0ES3_jPlS8_PNS0_10empty_typeENS0_5tupleIJS8_S9_EEENSB_IJS8_SA_EEENS0_18inequality_wrapperIZN2at6native12_GLOBAL__N_124unique_dim_cuda_templateIbEESt5tupleIJNSF_6TensorESK_SK_EERKSK_lbbbEUlllE0_EEPmJS9_EEE10hipError_tPvRmT3_T4_T5_T6_T7_T9_mT8_P12ihipStream_tbDpT10_ENKUlT_T0_E_clISt17integral_constantIbLb1EES19_IbLb0EEEEDaS15_S16_EUlS15_E_NS1_11comp_targetILNS1_3genE8ELNS1_11target_archE1030ELNS1_3gpuE2ELNS1_3repE0EEENS1_30default_config_static_selectorELNS0_4arch9wavefront6targetE0EEEvT1_.numbered_sgpr, 0
	.set _ZN7rocprim17ROCPRIM_400000_NS6detail17trampoline_kernelINS0_14default_configENS1_25partition_config_selectorILNS1_17partition_subalgoE9EllbEEZZNS1_14partition_implILS5_9ELb0ES3_jPlS8_PNS0_10empty_typeENS0_5tupleIJS8_S9_EEENSB_IJS8_SA_EEENS0_18inequality_wrapperIZN2at6native12_GLOBAL__N_124unique_dim_cuda_templateIbEESt5tupleIJNSF_6TensorESK_SK_EERKSK_lbbbEUlllE0_EEPmJS9_EEE10hipError_tPvRmT3_T4_T5_T6_T7_T9_mT8_P12ihipStream_tbDpT10_ENKUlT_T0_E_clISt17integral_constantIbLb1EES19_IbLb0EEEEDaS15_S16_EUlS15_E_NS1_11comp_targetILNS1_3genE8ELNS1_11target_archE1030ELNS1_3gpuE2ELNS1_3repE0EEENS1_30default_config_static_selectorELNS0_4arch9wavefront6targetE0EEEvT1_.num_named_barrier, 0
	.set _ZN7rocprim17ROCPRIM_400000_NS6detail17trampoline_kernelINS0_14default_configENS1_25partition_config_selectorILNS1_17partition_subalgoE9EllbEEZZNS1_14partition_implILS5_9ELb0ES3_jPlS8_PNS0_10empty_typeENS0_5tupleIJS8_S9_EEENSB_IJS8_SA_EEENS0_18inequality_wrapperIZN2at6native12_GLOBAL__N_124unique_dim_cuda_templateIbEESt5tupleIJNSF_6TensorESK_SK_EERKSK_lbbbEUlllE0_EEPmJS9_EEE10hipError_tPvRmT3_T4_T5_T6_T7_T9_mT8_P12ihipStream_tbDpT10_ENKUlT_T0_E_clISt17integral_constantIbLb1EES19_IbLb0EEEEDaS15_S16_EUlS15_E_NS1_11comp_targetILNS1_3genE8ELNS1_11target_archE1030ELNS1_3gpuE2ELNS1_3repE0EEENS1_30default_config_static_selectorELNS0_4arch9wavefront6targetE0EEEvT1_.private_seg_size, 0
	.set _ZN7rocprim17ROCPRIM_400000_NS6detail17trampoline_kernelINS0_14default_configENS1_25partition_config_selectorILNS1_17partition_subalgoE9EllbEEZZNS1_14partition_implILS5_9ELb0ES3_jPlS8_PNS0_10empty_typeENS0_5tupleIJS8_S9_EEENSB_IJS8_SA_EEENS0_18inequality_wrapperIZN2at6native12_GLOBAL__N_124unique_dim_cuda_templateIbEESt5tupleIJNSF_6TensorESK_SK_EERKSK_lbbbEUlllE0_EEPmJS9_EEE10hipError_tPvRmT3_T4_T5_T6_T7_T9_mT8_P12ihipStream_tbDpT10_ENKUlT_T0_E_clISt17integral_constantIbLb1EES19_IbLb0EEEEDaS15_S16_EUlS15_E_NS1_11comp_targetILNS1_3genE8ELNS1_11target_archE1030ELNS1_3gpuE2ELNS1_3repE0EEENS1_30default_config_static_selectorELNS0_4arch9wavefront6targetE0EEEvT1_.uses_vcc, 0
	.set _ZN7rocprim17ROCPRIM_400000_NS6detail17trampoline_kernelINS0_14default_configENS1_25partition_config_selectorILNS1_17partition_subalgoE9EllbEEZZNS1_14partition_implILS5_9ELb0ES3_jPlS8_PNS0_10empty_typeENS0_5tupleIJS8_S9_EEENSB_IJS8_SA_EEENS0_18inequality_wrapperIZN2at6native12_GLOBAL__N_124unique_dim_cuda_templateIbEESt5tupleIJNSF_6TensorESK_SK_EERKSK_lbbbEUlllE0_EEPmJS9_EEE10hipError_tPvRmT3_T4_T5_T6_T7_T9_mT8_P12ihipStream_tbDpT10_ENKUlT_T0_E_clISt17integral_constantIbLb1EES19_IbLb0EEEEDaS15_S16_EUlS15_E_NS1_11comp_targetILNS1_3genE8ELNS1_11target_archE1030ELNS1_3gpuE2ELNS1_3repE0EEENS1_30default_config_static_selectorELNS0_4arch9wavefront6targetE0EEEvT1_.uses_flat_scratch, 0
	.set _ZN7rocprim17ROCPRIM_400000_NS6detail17trampoline_kernelINS0_14default_configENS1_25partition_config_selectorILNS1_17partition_subalgoE9EllbEEZZNS1_14partition_implILS5_9ELb0ES3_jPlS8_PNS0_10empty_typeENS0_5tupleIJS8_S9_EEENSB_IJS8_SA_EEENS0_18inequality_wrapperIZN2at6native12_GLOBAL__N_124unique_dim_cuda_templateIbEESt5tupleIJNSF_6TensorESK_SK_EERKSK_lbbbEUlllE0_EEPmJS9_EEE10hipError_tPvRmT3_T4_T5_T6_T7_T9_mT8_P12ihipStream_tbDpT10_ENKUlT_T0_E_clISt17integral_constantIbLb1EES19_IbLb0EEEEDaS15_S16_EUlS15_E_NS1_11comp_targetILNS1_3genE8ELNS1_11target_archE1030ELNS1_3gpuE2ELNS1_3repE0EEENS1_30default_config_static_selectorELNS0_4arch9wavefront6targetE0EEEvT1_.has_dyn_sized_stack, 0
	.set _ZN7rocprim17ROCPRIM_400000_NS6detail17trampoline_kernelINS0_14default_configENS1_25partition_config_selectorILNS1_17partition_subalgoE9EllbEEZZNS1_14partition_implILS5_9ELb0ES3_jPlS8_PNS0_10empty_typeENS0_5tupleIJS8_S9_EEENSB_IJS8_SA_EEENS0_18inequality_wrapperIZN2at6native12_GLOBAL__N_124unique_dim_cuda_templateIbEESt5tupleIJNSF_6TensorESK_SK_EERKSK_lbbbEUlllE0_EEPmJS9_EEE10hipError_tPvRmT3_T4_T5_T6_T7_T9_mT8_P12ihipStream_tbDpT10_ENKUlT_T0_E_clISt17integral_constantIbLb1EES19_IbLb0EEEEDaS15_S16_EUlS15_E_NS1_11comp_targetILNS1_3genE8ELNS1_11target_archE1030ELNS1_3gpuE2ELNS1_3repE0EEENS1_30default_config_static_selectorELNS0_4arch9wavefront6targetE0EEEvT1_.has_recursion, 0
	.set _ZN7rocprim17ROCPRIM_400000_NS6detail17trampoline_kernelINS0_14default_configENS1_25partition_config_selectorILNS1_17partition_subalgoE9EllbEEZZNS1_14partition_implILS5_9ELb0ES3_jPlS8_PNS0_10empty_typeENS0_5tupleIJS8_S9_EEENSB_IJS8_SA_EEENS0_18inequality_wrapperIZN2at6native12_GLOBAL__N_124unique_dim_cuda_templateIbEESt5tupleIJNSF_6TensorESK_SK_EERKSK_lbbbEUlllE0_EEPmJS9_EEE10hipError_tPvRmT3_T4_T5_T6_T7_T9_mT8_P12ihipStream_tbDpT10_ENKUlT_T0_E_clISt17integral_constantIbLb1EES19_IbLb0EEEEDaS15_S16_EUlS15_E_NS1_11comp_targetILNS1_3genE8ELNS1_11target_archE1030ELNS1_3gpuE2ELNS1_3repE0EEENS1_30default_config_static_selectorELNS0_4arch9wavefront6targetE0EEEvT1_.has_indirect_call, 0
	.section	.AMDGPU.csdata,"",@progbits
; Kernel info:
; codeLenInByte = 0
; TotalNumSgprs: 0
; NumVgprs: 0
; ScratchSize: 0
; MemoryBound: 0
; FloatMode: 240
; IeeeMode: 1
; LDSByteSize: 0 bytes/workgroup (compile time only)
; SGPRBlocks: 0
; VGPRBlocks: 0
; NumSGPRsForWavesPerEU: 1
; NumVGPRsForWavesPerEU: 1
; NamedBarCnt: 0
; Occupancy: 16
; WaveLimiterHint : 0
; COMPUTE_PGM_RSRC2:SCRATCH_EN: 0
; COMPUTE_PGM_RSRC2:USER_SGPR: 2
; COMPUTE_PGM_RSRC2:TRAP_HANDLER: 0
; COMPUTE_PGM_RSRC2:TGID_X_EN: 1
; COMPUTE_PGM_RSRC2:TGID_Y_EN: 0
; COMPUTE_PGM_RSRC2:TGID_Z_EN: 0
; COMPUTE_PGM_RSRC2:TIDIG_COMP_CNT: 0
	.section	.text._ZN7rocprim17ROCPRIM_400000_NS6detail17trampoline_kernelINS0_14default_configENS1_25partition_config_selectorILNS1_17partition_subalgoE9EllbEEZZNS1_14partition_implILS5_9ELb0ES3_jPlS8_PNS0_10empty_typeENS0_5tupleIJS8_S9_EEENSB_IJS8_SA_EEENS0_18inequality_wrapperIZN2at6native12_GLOBAL__N_124unique_dim_cuda_templateIbEESt5tupleIJNSF_6TensorESK_SK_EERKSK_lbbbEUlllE0_EEPmJS9_EEE10hipError_tPvRmT3_T4_T5_T6_T7_T9_mT8_P12ihipStream_tbDpT10_ENKUlT_T0_E_clISt17integral_constantIbLb0EES19_IbLb1EEEEDaS15_S16_EUlS15_E_NS1_11comp_targetILNS1_3genE0ELNS1_11target_archE4294967295ELNS1_3gpuE0ELNS1_3repE0EEENS1_30default_config_static_selectorELNS0_4arch9wavefront6targetE0EEEvT1_,"axG",@progbits,_ZN7rocprim17ROCPRIM_400000_NS6detail17trampoline_kernelINS0_14default_configENS1_25partition_config_selectorILNS1_17partition_subalgoE9EllbEEZZNS1_14partition_implILS5_9ELb0ES3_jPlS8_PNS0_10empty_typeENS0_5tupleIJS8_S9_EEENSB_IJS8_SA_EEENS0_18inequality_wrapperIZN2at6native12_GLOBAL__N_124unique_dim_cuda_templateIbEESt5tupleIJNSF_6TensorESK_SK_EERKSK_lbbbEUlllE0_EEPmJS9_EEE10hipError_tPvRmT3_T4_T5_T6_T7_T9_mT8_P12ihipStream_tbDpT10_ENKUlT_T0_E_clISt17integral_constantIbLb0EES19_IbLb1EEEEDaS15_S16_EUlS15_E_NS1_11comp_targetILNS1_3genE0ELNS1_11target_archE4294967295ELNS1_3gpuE0ELNS1_3repE0EEENS1_30default_config_static_selectorELNS0_4arch9wavefront6targetE0EEEvT1_,comdat
	.globl	_ZN7rocprim17ROCPRIM_400000_NS6detail17trampoline_kernelINS0_14default_configENS1_25partition_config_selectorILNS1_17partition_subalgoE9EllbEEZZNS1_14partition_implILS5_9ELb0ES3_jPlS8_PNS0_10empty_typeENS0_5tupleIJS8_S9_EEENSB_IJS8_SA_EEENS0_18inequality_wrapperIZN2at6native12_GLOBAL__N_124unique_dim_cuda_templateIbEESt5tupleIJNSF_6TensorESK_SK_EERKSK_lbbbEUlllE0_EEPmJS9_EEE10hipError_tPvRmT3_T4_T5_T6_T7_T9_mT8_P12ihipStream_tbDpT10_ENKUlT_T0_E_clISt17integral_constantIbLb0EES19_IbLb1EEEEDaS15_S16_EUlS15_E_NS1_11comp_targetILNS1_3genE0ELNS1_11target_archE4294967295ELNS1_3gpuE0ELNS1_3repE0EEENS1_30default_config_static_selectorELNS0_4arch9wavefront6targetE0EEEvT1_ ; -- Begin function _ZN7rocprim17ROCPRIM_400000_NS6detail17trampoline_kernelINS0_14default_configENS1_25partition_config_selectorILNS1_17partition_subalgoE9EllbEEZZNS1_14partition_implILS5_9ELb0ES3_jPlS8_PNS0_10empty_typeENS0_5tupleIJS8_S9_EEENSB_IJS8_SA_EEENS0_18inequality_wrapperIZN2at6native12_GLOBAL__N_124unique_dim_cuda_templateIbEESt5tupleIJNSF_6TensorESK_SK_EERKSK_lbbbEUlllE0_EEPmJS9_EEE10hipError_tPvRmT3_T4_T5_T6_T7_T9_mT8_P12ihipStream_tbDpT10_ENKUlT_T0_E_clISt17integral_constantIbLb0EES19_IbLb1EEEEDaS15_S16_EUlS15_E_NS1_11comp_targetILNS1_3genE0ELNS1_11target_archE4294967295ELNS1_3gpuE0ELNS1_3repE0EEENS1_30default_config_static_selectorELNS0_4arch9wavefront6targetE0EEEvT1_
	.p2align	8
	.type	_ZN7rocprim17ROCPRIM_400000_NS6detail17trampoline_kernelINS0_14default_configENS1_25partition_config_selectorILNS1_17partition_subalgoE9EllbEEZZNS1_14partition_implILS5_9ELb0ES3_jPlS8_PNS0_10empty_typeENS0_5tupleIJS8_S9_EEENSB_IJS8_SA_EEENS0_18inequality_wrapperIZN2at6native12_GLOBAL__N_124unique_dim_cuda_templateIbEESt5tupleIJNSF_6TensorESK_SK_EERKSK_lbbbEUlllE0_EEPmJS9_EEE10hipError_tPvRmT3_T4_T5_T6_T7_T9_mT8_P12ihipStream_tbDpT10_ENKUlT_T0_E_clISt17integral_constantIbLb0EES19_IbLb1EEEEDaS15_S16_EUlS15_E_NS1_11comp_targetILNS1_3genE0ELNS1_11target_archE4294967295ELNS1_3gpuE0ELNS1_3repE0EEENS1_30default_config_static_selectorELNS0_4arch9wavefront6targetE0EEEvT1_,@function
_ZN7rocprim17ROCPRIM_400000_NS6detail17trampoline_kernelINS0_14default_configENS1_25partition_config_selectorILNS1_17partition_subalgoE9EllbEEZZNS1_14partition_implILS5_9ELb0ES3_jPlS8_PNS0_10empty_typeENS0_5tupleIJS8_S9_EEENSB_IJS8_SA_EEENS0_18inequality_wrapperIZN2at6native12_GLOBAL__N_124unique_dim_cuda_templateIbEESt5tupleIJNSF_6TensorESK_SK_EERKSK_lbbbEUlllE0_EEPmJS9_EEE10hipError_tPvRmT3_T4_T5_T6_T7_T9_mT8_P12ihipStream_tbDpT10_ENKUlT_T0_E_clISt17integral_constantIbLb0EES19_IbLb1EEEEDaS15_S16_EUlS15_E_NS1_11comp_targetILNS1_3genE0ELNS1_11target_archE4294967295ELNS1_3gpuE0ELNS1_3repE0EEENS1_30default_config_static_selectorELNS0_4arch9wavefront6targetE0EEEvT1_: ; @_ZN7rocprim17ROCPRIM_400000_NS6detail17trampoline_kernelINS0_14default_configENS1_25partition_config_selectorILNS1_17partition_subalgoE9EllbEEZZNS1_14partition_implILS5_9ELb0ES3_jPlS8_PNS0_10empty_typeENS0_5tupleIJS8_S9_EEENSB_IJS8_SA_EEENS0_18inequality_wrapperIZN2at6native12_GLOBAL__N_124unique_dim_cuda_templateIbEESt5tupleIJNSF_6TensorESK_SK_EERKSK_lbbbEUlllE0_EEPmJS9_EEE10hipError_tPvRmT3_T4_T5_T6_T7_T9_mT8_P12ihipStream_tbDpT10_ENKUlT_T0_E_clISt17integral_constantIbLb0EES19_IbLb1EEEEDaS15_S16_EUlS15_E_NS1_11comp_targetILNS1_3genE0ELNS1_11target_archE4294967295ELNS1_3gpuE0ELNS1_3repE0EEENS1_30default_config_static_selectorELNS0_4arch9wavefront6targetE0EEEvT1_
; %bb.0:
	s_clause 0x3
	s_load_b128 s[4:7], s[0:1], 0x8
	s_load_b64 s[24:25], s[0:1], 0x18
	s_load_b256 s[12:19], s[0:1], 0x40
	s_load_b128 s[8:11], s[0:1], 0x60
	v_cmp_ne_u32_e64 s3, 0, v0
	v_cmp_eq_u32_e64 s2, 0, v0
	s_and_saveexec_b32 s20, s2
	s_cbranch_execz .LBB1107_4
; %bb.1:
	s_mov_b32 s22, exec_lo
	s_mov_b32 s21, exec_lo
	v_mbcnt_lo_u32_b32 v1, s22, 0
                                        ; implicit-def: $vgpr2
	s_delay_alu instid0(VALU_DEP_1)
	v_cmpx_eq_u32_e32 0, v1
	s_cbranch_execz .LBB1107_3
; %bb.2:
	s_load_b64 s[26:27], s[0:1], 0x78
	s_bcnt1_i32_b32 s22, s22
	s_delay_alu instid0(SALU_CYCLE_1)
	v_dual_mov_b32 v2, 0 :: v_dual_mov_b32 v3, s22
	s_wait_xcnt 0x0
	s_wait_kmcnt 0x0
	global_atomic_add_u32 v2, v2, v3, s[26:27] th:TH_ATOMIC_RETURN scope:SCOPE_DEV
.LBB1107_3:
	s_wait_xcnt 0x0
	s_or_b32 exec_lo, exec_lo, s21
	s_wait_loadcnt 0x0
	v_readfirstlane_b32 s21, v2
	s_delay_alu instid0(VALU_DEP_1)
	v_dual_mov_b32 v2, 0 :: v_dual_add_nc_u32 v1, s21, v1
	ds_store_b32 v2, v1
.LBB1107_4:
	s_or_b32 exec_lo, exec_lo, s20
	v_mov_b32_e32 v1, 0
	s_clause 0x1
	s_load_b128 s[20:23], s[0:1], 0x28
	s_load_b32 s28, s[0:1], 0x70
	s_wait_dscnt 0x0
	s_barrier_signal -1
	s_barrier_wait -1
	ds_load_b32 v4, v1
	s_wait_dscnt 0x0
	s_barrier_signal -1
	s_barrier_wait -1
	s_wait_kmcnt 0x0
	global_load_b64 v[2:3], v1, s[14:15]
	s_wait_xcnt 0x0
	s_mov_b32 s15, 0
	s_lshl_b64 s[26:27], s[6:7], 3
	v_lshlrev_b32_e32 v1, 3, v0
	s_add_nc_u64 s[4:5], s[4:5], s[26:27]
	s_mov_b32 s1, -1
	s_mul_i32 s14, s28, 0x280
	s_add_co_i32 s28, s28, -1
	s_add_co_i32 s0, s14, s6
	s_add_nc_u64 s[34:35], s[6:7], s[14:15]
	s_sub_co_i32 s31, s16, s0
	v_readfirstlane_b32 s30, v4
	v_cmp_le_u64_e64 s0, s[16:17], s[34:35]
	s_addk_co_i32 s31, 0x280
	s_cmp_eq_u32 s30, s28
	s_mul_i32 s14, s30, 0x280
	s_cselect_b32 s28, -1, 0
	s_lshl_b64 s[16:17], s[14:15], 3
	s_and_b32 s33, s0, s28
	s_add_nc_u64 s[4:5], s[4:5], s[16:17]
	s_xor_b32 s29, s33, -1
	s_delay_alu instid0(SALU_CYCLE_1)
	s_and_b32 vcc_lo, exec_lo, s29
	s_wait_loadcnt 0x0
	v_readfirstlane_b32 s14, v2
	v_readfirstlane_b32 s15, v3
	s_cbranch_vccz .LBB1107_6
; %bb.5:
	s_clause 0x4
	global_load_b64 v[2:3], v0, s[4:5] scale_offset
	global_load_b64 v[4:5], v0, s[4:5] offset:1024 scale_offset
	global_load_b64 v[6:7], v0, s[4:5] offset:2048 scale_offset
	;; [unrolled: 1-line block ×4, first 2 shown]
	v_lshlrev_b32_e32 v12, 3, v0
	s_mov_b32 s1, 0
	s_wait_loadcnt 0x3
	ds_store_2addr_stride64_b64 v12, v[2:3], v[4:5] offset1:2
	s_wait_loadcnt 0x1
	ds_store_2addr_stride64_b64 v12, v[6:7], v[8:9] offset0:4 offset1:6
	s_wait_loadcnt 0x0
	ds_store_b64 v12, v[10:11] offset:4096
	s_wait_dscnt 0x0
	s_barrier_signal -1
	s_barrier_wait -1
.LBB1107_6:
	v_cmp_gt_u32_e64 s0, s31, v0
	s_and_not1_b32 vcc_lo, exec_lo, s1
	s_cbranch_vccnz .LBB1107_18
; %bb.7:
	v_mov_b32_e32 v2, 0
	s_delay_alu instid0(VALU_DEP_1)
	v_dual_mov_b32 v3, v2 :: v_dual_mov_b32 v4, v2
	v_dual_mov_b32 v5, v2 :: v_dual_mov_b32 v6, v2
	;; [unrolled: 1-line block ×4, first 2 shown]
	v_mov_b32_e32 v11, v2
	s_and_saveexec_b32 s1, s0
	s_cbranch_execz .LBB1107_9
; %bb.8:
	global_load_b64 v[4:5], v0, s[4:5] scale_offset
	v_dual_mov_b32 v6, v2 :: v_dual_mov_b32 v7, v2
	v_dual_mov_b32 v8, v2 :: v_dual_mov_b32 v9, v2
	;; [unrolled: 1-line block ×4, first 2 shown]
	s_wait_loadcnt 0x0
	v_mov_b64_e32 v[2:3], v[4:5]
	v_mov_b64_e32 v[4:5], v[6:7]
	v_mov_b64_e32 v[6:7], v[8:9]
	v_mov_b64_e32 v[8:9], v[10:11]
	v_mov_b64_e32 v[10:11], v[12:13]
	v_mov_b64_e32 v[12:13], v[14:15]
	v_mov_b64_e32 v[14:15], v[16:17]
	v_mov_b64_e32 v[16:17], v[18:19]
.LBB1107_9:
	s_or_b32 exec_lo, exec_lo, s1
	v_or_b32_e32 v12, 0x80, v0
	s_mov_b32 s0, exec_lo
	s_delay_alu instid0(VALU_DEP_1)
	v_cmpx_gt_u32_e64 s31, v12
	s_cbranch_execz .LBB1107_11
; %bb.10:
	global_load_b64 v[4:5], v0, s[4:5] offset:1024 scale_offset
.LBB1107_11:
	s_wait_xcnt 0x0
	s_or_b32 exec_lo, exec_lo, s0
	v_or_b32_e32 v12, 0x100, v0
	s_mov_b32 s0, exec_lo
	s_delay_alu instid0(VALU_DEP_1)
	v_cmpx_gt_u32_e64 s31, v12
	s_cbranch_execz .LBB1107_13
; %bb.12:
	global_load_b64 v[6:7], v0, s[4:5] offset:2048 scale_offset
.LBB1107_13:
	s_wait_xcnt 0x0
	;; [unrolled: 10-line block ×4, first 2 shown]
	s_or_b32 exec_lo, exec_lo, s0
	v_lshlrev_b32_e32 v12, 3, v0
	s_wait_loadcnt 0x0
	ds_store_2addr_stride64_b64 v12, v[2:3], v[4:5] offset1:2
	ds_store_2addr_stride64_b64 v12, v[6:7], v[8:9] offset0:4 offset1:6
	ds_store_b64 v12, v[10:11] offset:4096
	s_wait_dscnt 0x0
	s_barrier_signal -1
	s_barrier_wait -1
.LBB1107_18:
	v_mul_u32_u24_e32 v30, 5, v0
	s_add_nc_u64 s[0:1], s[24:25], s[26:27]
	s_and_b32 vcc_lo, exec_lo, s29
	s_add_nc_u64 s[0:1], s[0:1], s[16:17]
	s_delay_alu instid0(VALU_DEP_1)
	v_lshlrev_b32_e32 v31, 3, v30
	s_mov_b32 s16, -1
	ds_load_2addr_b64 v[14:17], v31 offset1:1
	ds_load_2addr_b64 v[10:13], v31 offset0:2 offset1:3
	ds_load_b64 v[20:21], v31 offset:32
	s_wait_dscnt 0x0
	s_barrier_signal -1
	s_barrier_wait -1
	s_cbranch_vccz .LBB1107_20
; %bb.19:
	s_clause 0x4
	global_load_b64 v[2:3], v0, s[0:1] scale_offset
	global_load_b64 v[4:5], v0, s[0:1] offset:1024 scale_offset
	global_load_b64 v[6:7], v0, s[0:1] offset:2048 scale_offset
	;; [unrolled: 1-line block ×4, first 2 shown]
	v_lshlrev_b32_e32 v22, 3, v0
	s_mov_b32 s16, 0
	s_wait_loadcnt 0x3
	ds_store_2addr_stride64_b64 v22, v[2:3], v[4:5] offset1:2
	s_wait_loadcnt 0x1
	ds_store_2addr_stride64_b64 v22, v[6:7], v[8:9] offset0:4 offset1:6
	s_wait_loadcnt 0x0
	ds_store_b64 v22, v[18:19] offset:4096
	s_wait_dscnt 0x0
	s_barrier_signal -1
	s_barrier_wait -1
.LBB1107_20:
	s_and_not1_b32 vcc_lo, exec_lo, s16
	s_cbranch_vccnz .LBB1107_32
; %bb.21:
	s_mov_b32 s16, exec_lo
                                        ; implicit-def: $vgpr2_vgpr3
	v_cmpx_gt_u32_e64 s31, v0
	s_cbranch_execz .LBB1107_23
; %bb.22:
	global_load_b64 v[2:3], v0, s[0:1] scale_offset
.LBB1107_23:
	s_wait_xcnt 0x0
	s_or_b32 exec_lo, exec_lo, s16
	v_or_b32_e32 v4, 0x80, v0
	s_delay_alu instid0(VALU_DEP_1)
	v_cmp_gt_u32_e32 vcc_lo, s31, v4
                                        ; implicit-def: $vgpr4_vgpr5
	s_and_saveexec_b32 s16, vcc_lo
	s_cbranch_execz .LBB1107_25
; %bb.24:
	global_load_b64 v[4:5], v0, s[0:1] offset:1024 scale_offset
.LBB1107_25:
	s_wait_xcnt 0x0
	s_or_b32 exec_lo, exec_lo, s16
	v_or_b32_e32 v6, 0x100, v0
	s_delay_alu instid0(VALU_DEP_1)
	v_cmp_gt_u32_e32 vcc_lo, s31, v6
                                        ; implicit-def: $vgpr6_vgpr7
	s_and_saveexec_b32 s16, vcc_lo
	s_cbranch_execz .LBB1107_27
; %bb.26:
	global_load_b64 v[6:7], v0, s[0:1] offset:2048 scale_offset
.LBB1107_27:
	s_wait_xcnt 0x0
	s_or_b32 exec_lo, exec_lo, s16
	v_or_b32_e32 v8, 0x180, v0
	s_delay_alu instid0(VALU_DEP_1)
	v_cmp_gt_u32_e32 vcc_lo, s31, v8
                                        ; implicit-def: $vgpr8_vgpr9
	s_and_saveexec_b32 s16, vcc_lo
	s_cbranch_execz .LBB1107_29
; %bb.28:
	global_load_b64 v[8:9], v0, s[0:1] offset:3072 scale_offset
.LBB1107_29:
	s_wait_xcnt 0x0
	s_or_b32 exec_lo, exec_lo, s16
	v_or_b32_e32 v18, 0x200, v0
	s_delay_alu instid0(VALU_DEP_1)
	v_cmp_gt_u32_e32 vcc_lo, s31, v18
                                        ; implicit-def: $vgpr18_vgpr19
	s_and_saveexec_b32 s16, vcc_lo
	s_cbranch_execz .LBB1107_31
; %bb.30:
	global_load_b64 v[18:19], v0, s[0:1] offset:4096 scale_offset
.LBB1107_31:
	s_wait_xcnt 0x0
	s_or_b32 exec_lo, exec_lo, s16
	v_lshlrev_b32_e32 v22, 5, v0
	s_delay_alu instid0(VALU_DEP_1)
	v_sub_nc_u32_e32 v22, v31, v22
	s_wait_loadcnt 0x0
	ds_store_2addr_stride64_b64 v22, v[2:3], v[4:5] offset1:2
	ds_store_2addr_stride64_b64 v22, v[6:7], v[8:9] offset0:4 offset1:6
	ds_store_b64 v22, v[18:19] offset:4096
	s_wait_dscnt 0x0
	s_barrier_signal -1
	s_barrier_wait -1
.LBB1107_32:
	ds_load_b64 v[18:19], v31 offset:32
	ds_load_2addr_b64 v[2:5], v31 offset0:2 offset1:3
	ds_load_2addr_b64 v[6:9], v31 offset1:1
	s_cmp_lg_u32 s30, 0
	v_cmp_lt_i64_e64 s17, s[18:19], 1
	s_cselect_b32 s16, -1, 0
	s_cmp_lg_u64 s[6:7], 0
	s_wait_dscnt 0x0
	s_cselect_b32 s0, -1, 0
	s_barrier_signal -1
	s_or_b32 s1, s0, s16
	v_cmp_gt_i64_e64 s0, s[18:19], 0
	s_and_b32 vcc_lo, exec_lo, s1
	s_mov_b32 s1, 0
	s_barrier_wait -1
	s_cbranch_vccz .LBB1107_46
; %bb.33:
	v_dual_mov_b32 v34, 0 :: v_dual_lshlrev_b32 v32, 3, v0
	s_and_b32 vcc_lo, exec_lo, s29
	global_load_b64 v[22:23], v34, s[4:5] offset:-8
	ds_store_b64 v32, v[20:21]
	s_cbranch_vccz .LBB1107_48
; %bb.34:
	v_cndmask_b32_e64 v33, 0, 1, s0
	s_and_not1_b32 vcc_lo, exec_lo, s0
	s_cbranch_vccnz .LBB1107_40
; %bb.35:
	v_mad_nc_u64_u32 v[24:25], v12, s18, s[8:9]
	v_mad_nc_u64_u32 v[26:27], v20, s18, s[8:9]
	s_wait_xcnt 0x0
	s_add_nc_u64 s[4:5], s[18:19], -1
                                        ; implicit-def: $sgpr24
	s_delay_alu instid0(SALU_CYCLE_1) | instskip(NEXT) | instid1(VALU_DEP_2)
	s_mov_b64 s[6:7], s[4:5]
	v_mad_u32 v25, v13, s18, v25
	s_delay_alu instid0(VALU_DEP_2) | instskip(NEXT) | instid1(VALU_DEP_2)
	v_mad_u32 v27, v21, s18, v27
	v_mad_u32 v25, v12, s19, v25
	s_delay_alu instid0(VALU_DEP_2) | instskip(NEXT) | instid1(VALU_DEP_2)
	v_mad_u32 v27, v20, s19, v27
	v_mov_b64_e32 v[28:29], v[24:25]
.LBB1107_36:                            ; =>This Inner Loop Header: Depth=1
	global_load_u8 v34, v[28:29], off
	global_load_u8 v35, v[26:27], off
	s_wait_xcnt 0x1
	v_add_nc_u64_e32 v[28:29], 1, v[28:29]
	s_wait_xcnt 0x0
	v_add_nc_u64_e32 v[26:27], 1, v[26:27]
	s_wait_loadcnt 0x1
	v_cmp_ne_u16_e32 vcc_lo, 0, v34
	s_wait_loadcnt 0x0
	v_cmp_ne_u16_e64 s0, 0, v35
	s_xor_b32 s0, vcc_lo, s0
	s_cmp_eq_u64 s[6:7], 0
	s_add_nc_u64 s[6:7], s[6:7], -1
	s_cselect_b32 s25, -1, 0
	s_delay_alu instid0(SALU_CYCLE_1) | instskip(NEXT) | instid1(SALU_CYCLE_1)
	s_or_b32 s25, s0, s25
	s_and_b32 s25, exec_lo, s25
	s_delay_alu instid0(SALU_CYCLE_1) | instskip(SKIP_2) | instid1(SALU_CYCLE_1)
	s_or_b32 s1, s25, s1
	s_and_not1_b32 s24, s24, exec_lo
	s_and_b32 s0, s0, exec_lo
	s_or_b32 s24, s24, s0
	s_and_not1_b32 exec_lo, exec_lo, s1
	s_cbranch_execnz .LBB1107_36
; %bb.37:
	s_or_b32 exec_lo, exec_lo, s1
	v_mad_nc_u64_u32 v[26:27], v10, s18, s[8:9]
	s_mov_b32 s6, 0
                                        ; implicit-def: $sgpr1
	s_delay_alu instid0(VALU_DEP_1) | instskip(NEXT) | instid1(VALU_DEP_1)
	v_mad_u32 v27, v11, s18, v27
	v_mad_u32 v27, v10, s19, v27
.LBB1107_38:                            ; =>This Inner Loop Header: Depth=1
	global_load_u8 v28, v[26:27], off
	global_load_u8 v29, v[24:25], off
	s_wait_xcnt 0x1
	v_add_nc_u64_e32 v[26:27], 1, v[26:27]
	s_wait_xcnt 0x0
	v_add_nc_u64_e32 v[24:25], 1, v[24:25]
	s_wait_loadcnt 0x1
	v_cmp_ne_u16_e32 vcc_lo, 0, v28
	s_wait_loadcnt 0x0
	v_cmp_ne_u16_e64 s0, 0, v29
	s_xor_b32 s0, vcc_lo, s0
	s_cmp_eq_u64 s[4:5], 0
	s_add_nc_u64 s[4:5], s[4:5], -1
	s_cselect_b32 s7, -1, 0
	s_delay_alu instid0(SALU_CYCLE_1) | instskip(NEXT) | instid1(SALU_CYCLE_1)
	s_or_b32 s7, s0, s7
	s_and_b32 s7, exec_lo, s7
	s_delay_alu instid0(SALU_CYCLE_1) | instskip(SKIP_2) | instid1(SALU_CYCLE_1)
	s_or_b32 s6, s7, s6
	s_and_not1_b32 s1, s1, exec_lo
	s_and_b32 s0, s0, exec_lo
	s_or_b32 s1, s1, s0
	s_and_not1_b32 exec_lo, exec_lo, s6
	s_cbranch_execnz .LBB1107_38
; %bb.39:
	s_or_b32 exec_lo, exec_lo, s6
	v_cndmask_b32_e64 v34, 0, 1, s24
.LBB1107_40:
	s_delay_alu instid0(VALU_DEP_1)
	v_cmp_ne_u32_e32 vcc_lo, 1, v33
	s_cbranch_vccnz .LBB1107_49
; %bb.41:
	v_mad_nc_u64_u32 v[24:25], v16, s18, s[8:9]
	v_mad_nc_u64_u32 v[26:27], v10, s18, s[8:9]
	s_wait_xcnt 0x0
	s_add_nc_u64 s[4:5], s[18:19], -1
	s_mov_b32 s25, 0
	s_mov_b64 s[6:7], s[4:5]
                                        ; implicit-def: $sgpr24
	s_delay_alu instid0(VALU_DEP_2) | instskip(NEXT) | instid1(VALU_DEP_2)
	v_mad_u32 v25, v17, s18, v25
	v_mad_u32 v27, v11, s18, v27
	s_delay_alu instid0(VALU_DEP_2) | instskip(NEXT) | instid1(VALU_DEP_2)
	v_mad_u32 v25, v16, s19, v25
	v_mad_u32 v27, v10, s19, v27
	s_delay_alu instid0(VALU_DEP_2)
	v_mov_b64_e32 v[28:29], v[24:25]
.LBB1107_42:                            ; =>This Inner Loop Header: Depth=1
	global_load_u8 v35, v[28:29], off
	global_load_u8 v36, v[26:27], off
	s_wait_xcnt 0x1
	v_add_nc_u64_e32 v[28:29], 1, v[28:29]
	s_wait_xcnt 0x0
	v_add_nc_u64_e32 v[26:27], 1, v[26:27]
	s_wait_loadcnt 0x1
	v_cmp_ne_u16_e32 vcc_lo, 0, v35
	s_wait_loadcnt 0x0
	v_cmp_ne_u16_e64 s0, 0, v36
	s_xor_b32 s0, vcc_lo, s0
	s_cmp_eq_u64 s[6:7], 0
	s_add_nc_u64 s[6:7], s[6:7], -1
	s_cselect_b32 s26, -1, 0
	s_delay_alu instid0(SALU_CYCLE_1) | instskip(NEXT) | instid1(SALU_CYCLE_1)
	s_or_b32 s26, s0, s26
	s_and_b32 s26, exec_lo, s26
	s_delay_alu instid0(SALU_CYCLE_1) | instskip(SKIP_2) | instid1(SALU_CYCLE_1)
	s_or_b32 s25, s26, s25
	s_and_not1_b32 s24, s24, exec_lo
	s_and_b32 s0, s0, exec_lo
	s_or_b32 s24, s24, s0
	s_and_not1_b32 exec_lo, exec_lo, s25
	s_cbranch_execnz .LBB1107_42
; %bb.43:
	s_or_b32 exec_lo, exec_lo, s25
	v_mad_nc_u64_u32 v[26:27], v14, s18, s[8:9]
	s_mov_b32 s7, 0
                                        ; implicit-def: $sgpr6
	s_delay_alu instid0(VALU_DEP_1) | instskip(NEXT) | instid1(VALU_DEP_1)
	v_mad_u32 v27, v15, s18, v27
	v_mad_u32 v27, v14, s19, v27
.LBB1107_44:                            ; =>This Inner Loop Header: Depth=1
	global_load_u8 v28, v[26:27], off
	global_load_u8 v29, v[24:25], off
	s_wait_xcnt 0x1
	v_add_nc_u64_e32 v[26:27], 1, v[26:27]
	s_wait_xcnt 0x0
	v_add_nc_u64_e32 v[24:25], 1, v[24:25]
	s_wait_loadcnt 0x1
	v_cmp_ne_u16_e32 vcc_lo, 0, v28
	s_wait_loadcnt 0x0
	v_cmp_ne_u16_e64 s0, 0, v29
	s_xor_b32 s0, vcc_lo, s0
	s_cmp_eq_u64 s[4:5], 0
	s_add_nc_u64 s[4:5], s[4:5], -1
	s_cselect_b32 s25, -1, 0
	s_delay_alu instid0(SALU_CYCLE_1) | instskip(NEXT) | instid1(SALU_CYCLE_1)
	s_or_b32 s25, s0, s25
	s_and_b32 s25, exec_lo, s25
	s_delay_alu instid0(SALU_CYCLE_1) | instskip(SKIP_2) | instid1(SALU_CYCLE_1)
	s_or_b32 s7, s25, s7
	s_and_not1_b32 s6, s6, exec_lo
	s_and_b32 s0, s0, exec_lo
	s_or_b32 s6, s6, s0
	s_and_not1_b32 exec_lo, exec_lo, s7
	s_cbranch_execnz .LBB1107_44
; %bb.45:
	s_or_b32 exec_lo, exec_lo, s7
	v_cndmask_b32_e64 v24, 0, 1, s24
	s_branch .LBB1107_50
.LBB1107_46:
                                        ; implicit-def: $sgpr7
                                        ; implicit-def: $vgpr34
                                        ; implicit-def: $vgpr25
	s_branch .LBB1107_81
.LBB1107_47:
                                        ; implicit-def: $vgpr24
                                        ; implicit-def: $vgpr23
                                        ; implicit-def: $vgpr35
                                        ; implicit-def: $vgpr22
	s_branch .LBB1107_126
.LBB1107_48:
                                        ; implicit-def: $sgpr7
                                        ; implicit-def: $vgpr34
                                        ; implicit-def: $vgpr25
	s_cbranch_execnz .LBB1107_57
	s_branch .LBB1107_80
.LBB1107_49:
	v_mov_b32_e32 v24, 0
	s_mov_b32 s6, 0
.LBB1107_50:
	s_wait_loadcnt 0x0
	v_mov_b64_e32 v[28:29], v[22:23]
	s_wait_dscnt 0x0
	s_barrier_signal -1
	s_barrier_wait -1
	s_and_saveexec_b32 s0, s3
; %bb.51:
	v_add_nc_u32_e32 v25, -8, v32
	ds_load_b64 v[28:29], v25
; %bb.52:
	s_or_b32 exec_lo, exec_lo, s0
	v_cndmask_b32_e64 v25, 0, 1, s1
	v_cndmask_b32_e64 v26, 0, 1, s6
	v_cmp_ne_u32_e32 vcc_lo, 1, v33
	s_mov_b32 s1, 0
	s_mov_b32 s7, 0
	v_lshlrev_b16 v25, 8, v25
	v_lshlrev_b16 v26, 8, v26
	s_delay_alu instid0(VALU_DEP_2) | instskip(NEXT) | instid1(VALU_DEP_2)
	v_or_b32_e32 v24, v24, v25
	v_and_b32_e32 v33, 0xffff, v26
	s_delay_alu instid0(VALU_DEP_2)
	v_lshlrev_b32_e32 v35, 16, v24
	s_cbranch_vccnz .LBB1107_56
; %bb.53:
	s_wait_dscnt 0x0
	v_mad_nc_u64_u32 v[24:25], v28, s18, s[8:9]
	v_mad_nc_u64_u32 v[26:27], v14, s18, s[8:9]
	s_add_nc_u64 s[4:5], s[18:19], -1
	s_mov_b32 s6, 0
                                        ; implicit-def: $sgpr7
	s_delay_alu instid0(VALU_DEP_2) | instskip(NEXT) | instid1(VALU_DEP_2)
	v_mad_u32 v25, v29, s18, v25
	v_mad_u32 v27, v15, s18, v27
	s_delay_alu instid0(VALU_DEP_2) | instskip(NEXT) | instid1(VALU_DEP_2)
	v_mad_u32 v25, v28, s19, v25
	v_mad_u32 v27, v14, s19, v27
.LBB1107_54:                            ; =>This Inner Loop Header: Depth=1
	global_load_u8 v28, v[24:25], off
	global_load_u8 v29, v[26:27], off
	s_wait_xcnt 0x1
	v_add_nc_u64_e32 v[24:25], 1, v[24:25]
	s_wait_xcnt 0x0
	v_add_nc_u64_e32 v[26:27], 1, v[26:27]
	s_wait_loadcnt 0x1
	v_cmp_ne_u16_e32 vcc_lo, 0, v28
	s_wait_loadcnt 0x0
	v_cmp_ne_u16_e64 s0, 0, v29
	s_xor_b32 s0, vcc_lo, s0
	s_cmp_eq_u64 s[4:5], 0
	s_add_nc_u64 s[4:5], s[4:5], -1
	s_cselect_b32 s24, -1, 0
	s_delay_alu instid0(SALU_CYCLE_1) | instskip(NEXT) | instid1(SALU_CYCLE_1)
	s_or_b32 s24, s0, s24
	s_and_b32 s24, exec_lo, s24
	s_delay_alu instid0(SALU_CYCLE_1) | instskip(SKIP_2) | instid1(SALU_CYCLE_1)
	s_or_b32 s6, s24, s6
	s_and_not1_b32 s7, s7, exec_lo
	s_and_b32 s0, s0, exec_lo
	s_or_b32 s7, s7, s0
	s_and_not1_b32 exec_lo, exec_lo, s6
	s_cbranch_execnz .LBB1107_54
; %bb.55:
	s_or_b32 exec_lo, exec_lo, s6
.LBB1107_56:
	s_delay_alu instid0(VALU_DEP_1)
	v_or_b32_e32 v25, v33, v35
	s_and_b32 vcc_lo, exec_lo, s1
	s_cbranch_vccz .LBB1107_80
.LBB1107_57:
	v_add_nc_u32_e32 v24, 4, v30
	s_xor_b32 s6, s17, -1
	s_mov_b32 s1, 0
	s_delay_alu instid0(VALU_DEP_1)
	v_cmp_gt_u32_e32 vcc_lo, s31, v24
	s_and_b32 s0, vcc_lo, s6
	s_wait_xcnt 0x0
	s_and_saveexec_b32 s7, s0
	s_cbranch_execz .LBB1107_61
; %bb.58:
	v_mad_nc_u64_u32 v[24:25], v12, s18, s[8:9]
	v_mad_nc_u64_u32 v[26:27], v20, s18, s[8:9]
	s_add_nc_u64 s[4:5], s[18:19], -1
                                        ; implicit-def: $sgpr17
	s_delay_alu instid0(VALU_DEP_2) | instskip(NEXT) | instid1(VALU_DEP_2)
	v_mad_u32 v25, v13, s18, v25
	v_mad_u32 v27, v21, s18, v27
	s_delay_alu instid0(VALU_DEP_2) | instskip(NEXT) | instid1(VALU_DEP_2)
	v_mad_u32 v25, v12, s19, v25
	v_mad_u32 v27, v20, s19, v27
.LBB1107_59:                            ; =>This Inner Loop Header: Depth=1
	s_wait_dscnt 0x0
	global_load_u8 v28, v[24:25], off
	global_load_u8 v29, v[26:27], off
	s_wait_xcnt 0x1
	v_add_nc_u64_e32 v[24:25], 1, v[24:25]
	s_wait_xcnt 0x0
	v_add_nc_u64_e32 v[26:27], 1, v[26:27]
	s_wait_loadcnt 0x1
	v_cmp_ne_u16_e32 vcc_lo, 0, v28
	s_wait_loadcnt 0x0
	v_cmp_ne_u16_e64 s0, 0, v29
	s_xor_b32 s0, vcc_lo, s0
	s_cmp_eq_u64 s[4:5], 0
	s_add_nc_u64 s[4:5], s[4:5], -1
	s_cselect_b32 s24, -1, 0
	s_delay_alu instid0(SALU_CYCLE_1) | instskip(NEXT) | instid1(SALU_CYCLE_1)
	s_or_b32 s24, s0, s24
	s_and_b32 s24, exec_lo, s24
	s_delay_alu instid0(SALU_CYCLE_1) | instskip(SKIP_2) | instid1(SALU_CYCLE_1)
	s_or_b32 s1, s24, s1
	s_and_not1_b32 s17, s17, exec_lo
	s_and_b32 s0, s0, exec_lo
	s_or_b32 s17, s17, s0
	s_and_not1_b32 exec_lo, exec_lo, s1
	s_cbranch_execnz .LBB1107_59
; %bb.60:
	s_or_b32 exec_lo, exec_lo, s1
	s_delay_alu instid0(SALU_CYCLE_1)
	s_and_b32 s1, s17, exec_lo
.LBB1107_61:
	s_or_b32 exec_lo, exec_lo, s7
	v_add_nc_u32_e32 v24, 3, v30
	s_mov_b32 s7, 0
	s_delay_alu instid0(VALU_DEP_1) | instskip(SKIP_1) | instid1(SALU_CYCLE_1)
	v_cmp_gt_u32_e32 vcc_lo, s31, v24
	s_and_b32 s0, vcc_lo, s6
	s_and_saveexec_b32 s17, s0
	s_cbranch_execz .LBB1107_65
; %bb.62:
	v_mad_nc_u64_u32 v[24:25], v10, s18, s[8:9]
	v_mad_nc_u64_u32 v[26:27], v12, s18, s[8:9]
	s_add_nc_u64 s[4:5], s[18:19], -1
                                        ; implicit-def: $sgpr24
	s_delay_alu instid0(VALU_DEP_2) | instskip(NEXT) | instid1(VALU_DEP_2)
	v_mad_u32 v25, v11, s18, v25
	v_mad_u32 v27, v13, s18, v27
	s_delay_alu instid0(VALU_DEP_2) | instskip(NEXT) | instid1(VALU_DEP_2)
	v_mad_u32 v25, v10, s19, v25
	v_mad_u32 v27, v12, s19, v27
.LBB1107_63:                            ; =>This Inner Loop Header: Depth=1
	s_wait_dscnt 0x0
	global_load_u8 v28, v[24:25], off
	global_load_u8 v29, v[26:27], off
	s_wait_xcnt 0x1
	v_add_nc_u64_e32 v[24:25], 1, v[24:25]
	s_wait_xcnt 0x0
	v_add_nc_u64_e32 v[26:27], 1, v[26:27]
	s_wait_loadcnt 0x1
	v_cmp_ne_u16_e32 vcc_lo, 0, v28
	s_wait_loadcnt 0x0
	v_cmp_ne_u16_e64 s0, 0, v29
	s_xor_b32 s0, vcc_lo, s0
	s_cmp_eq_u64 s[4:5], 0
	s_add_nc_u64 s[4:5], s[4:5], -1
	s_cselect_b32 s25, -1, 0
	s_delay_alu instid0(SALU_CYCLE_1) | instskip(NEXT) | instid1(SALU_CYCLE_1)
	s_or_b32 s25, s0, s25
	s_and_b32 s25, exec_lo, s25
	s_delay_alu instid0(SALU_CYCLE_1) | instskip(SKIP_2) | instid1(SALU_CYCLE_1)
	s_or_b32 s7, s25, s7
	s_and_not1_b32 s24, s24, exec_lo
	s_and_b32 s0, s0, exec_lo
	s_or_b32 s24, s24, s0
	s_and_not1_b32 exec_lo, exec_lo, s7
	s_cbranch_execnz .LBB1107_63
; %bb.64:
	s_or_b32 exec_lo, exec_lo, s7
	s_delay_alu instid0(SALU_CYCLE_1)
	s_and_b32 s7, s24, exec_lo
.LBB1107_65:
	s_or_b32 exec_lo, exec_lo, s17
	v_add_nc_u32_e32 v24, 2, v30
	s_mov_b32 s17, 0
	s_delay_alu instid0(VALU_DEP_1) | instskip(SKIP_1) | instid1(SALU_CYCLE_1)
	v_cmp_gt_u32_e32 vcc_lo, s31, v24
	s_and_b32 s0, vcc_lo, s6
	s_and_saveexec_b32 s24, s0
	s_cbranch_execz .LBB1107_69
; %bb.66:
	v_mad_nc_u64_u32 v[24:25], v16, s18, s[8:9]
	v_mad_nc_u64_u32 v[26:27], v10, s18, s[8:9]
	s_add_nc_u64 s[4:5], s[18:19], -1
                                        ; implicit-def: $sgpr25
	s_delay_alu instid0(VALU_DEP_2) | instskip(NEXT) | instid1(VALU_DEP_2)
	v_mad_u32 v25, v17, s18, v25
	v_mad_u32 v27, v11, s18, v27
	s_delay_alu instid0(VALU_DEP_2) | instskip(NEXT) | instid1(VALU_DEP_2)
	v_mad_u32 v25, v16, s19, v25
	v_mad_u32 v27, v10, s19, v27
.LBB1107_67:                            ; =>This Inner Loop Header: Depth=1
	s_wait_dscnt 0x0
	global_load_u8 v28, v[24:25], off
	global_load_u8 v29, v[26:27], off
	s_wait_xcnt 0x1
	v_add_nc_u64_e32 v[24:25], 1, v[24:25]
	s_wait_xcnt 0x0
	v_add_nc_u64_e32 v[26:27], 1, v[26:27]
	s_wait_loadcnt 0x1
	v_cmp_ne_u16_e32 vcc_lo, 0, v28
	s_wait_loadcnt 0x0
	v_cmp_ne_u16_e64 s0, 0, v29
	s_xor_b32 s0, vcc_lo, s0
	s_cmp_eq_u64 s[4:5], 0
	s_add_nc_u64 s[4:5], s[4:5], -1
	s_cselect_b32 s26, -1, 0
	s_delay_alu instid0(SALU_CYCLE_1) | instskip(NEXT) | instid1(SALU_CYCLE_1)
	s_or_b32 s26, s0, s26
	s_and_b32 s26, exec_lo, s26
	s_delay_alu instid0(SALU_CYCLE_1) | instskip(SKIP_2) | instid1(SALU_CYCLE_1)
	s_or_b32 s17, s26, s17
	s_and_not1_b32 s25, s25, exec_lo
	s_and_b32 s0, s0, exec_lo
	s_or_b32 s25, s25, s0
	s_and_not1_b32 exec_lo, exec_lo, s17
	s_cbranch_execnz .LBB1107_67
; %bb.68:
	s_or_b32 exec_lo, exec_lo, s17
	s_delay_alu instid0(SALU_CYCLE_1)
	s_and_b32 s17, s25, exec_lo
.LBB1107_69:
	s_or_b32 exec_lo, exec_lo, s24
	v_add_nc_u32_e32 v24, 1, v30
	s_mov_b32 s0, 0
	s_delay_alu instid0(VALU_DEP_1) | instskip(SKIP_1) | instid1(SALU_CYCLE_1)
	v_cmp_gt_u32_e32 vcc_lo, s31, v24
	s_and_b32 s4, vcc_lo, s6
	s_and_saveexec_b32 s24, s4
	s_cbranch_execz .LBB1107_73
; %bb.70:
	v_mad_nc_u64_u32 v[24:25], v14, s18, s[8:9]
	v_mad_nc_u64_u32 v[26:27], v16, s18, s[8:9]
	s_add_nc_u64 s[4:5], s[18:19], -1
	s_mov_b32 s25, 0
                                        ; implicit-def: $sgpr26
	s_delay_alu instid0(VALU_DEP_2) | instskip(NEXT) | instid1(VALU_DEP_2)
	v_mad_u32 v25, v15, s18, v25
	v_mad_u32 v27, v17, s18, v27
	s_delay_alu instid0(VALU_DEP_2) | instskip(NEXT) | instid1(VALU_DEP_2)
	v_mad_u32 v25, v14, s19, v25
	v_mad_u32 v27, v16, s19, v27
.LBB1107_71:                            ; =>This Inner Loop Header: Depth=1
	s_wait_dscnt 0x0
	global_load_u8 v28, v[24:25], off
	global_load_u8 v29, v[26:27], off
	s_wait_xcnt 0x1
	v_add_nc_u64_e32 v[24:25], 1, v[24:25]
	s_wait_xcnt 0x0
	v_add_nc_u64_e32 v[26:27], 1, v[26:27]
	s_wait_loadcnt 0x1
	v_cmp_ne_u16_e32 vcc_lo, 0, v28
	s_wait_loadcnt 0x0
	v_cmp_ne_u16_e64 s0, 0, v29
	s_xor_b32 s0, vcc_lo, s0
	s_cmp_eq_u64 s[4:5], 0
	s_add_nc_u64 s[4:5], s[4:5], -1
	s_cselect_b32 s27, -1, 0
	s_delay_alu instid0(SALU_CYCLE_1) | instskip(NEXT) | instid1(SALU_CYCLE_1)
	s_or_b32 s27, s0, s27
	s_and_b32 s27, exec_lo, s27
	s_delay_alu instid0(SALU_CYCLE_1) | instskip(SKIP_2) | instid1(SALU_CYCLE_1)
	s_or_b32 s25, s27, s25
	s_and_not1_b32 s26, s26, exec_lo
	s_and_b32 s0, s0, exec_lo
	s_or_b32 s26, s26, s0
	s_and_not1_b32 exec_lo, exec_lo, s25
	s_cbranch_execnz .LBB1107_71
; %bb.72:
	s_or_b32 exec_lo, exec_lo, s25
	s_delay_alu instid0(SALU_CYCLE_1)
	s_and_b32 s0, s26, exec_lo
.LBB1107_73:
	s_or_b32 exec_lo, exec_lo, s24
	s_wait_loadcnt_dscnt 0x0
	s_barrier_signal -1
	s_barrier_wait -1
	s_and_saveexec_b32 s4, s3
; %bb.74:
	v_add_nc_u32_e32 v22, -8, v32
	ds_load_b64 v[22:23], v22
; %bb.75:
	s_or_b32 exec_lo, exec_lo, s4
	v_cndmask_b32_e64 v24, 0, 1, s7
	v_cndmask_b32_e64 v25, 0, 1, s17
	;; [unrolled: 1-line block ×3, first 2 shown]
	v_cmp_gt_u32_e32 vcc_lo, s31, v30
	s_mov_b32 s7, 0
	v_lshlrev_b16 v24, 8, v24
	s_delay_alu instid0(VALU_DEP_3) | instskip(SKIP_1) | instid1(VALU_DEP_2)
	v_lshlrev_b16 v26, 8, v26
	s_and_b32 s0, vcc_lo, s6
	v_or_b32_e32 v24, v25, v24
	s_delay_alu instid0(VALU_DEP_2) | instskip(NEXT) | instid1(VALU_DEP_2)
	v_and_b32_e32 v28, 0xffff, v26
	v_lshlrev_b32_e32 v29, 16, v24
	s_and_saveexec_b32 s6, s0
	s_cbranch_execz .LBB1107_79
; %bb.76:
	s_wait_dscnt 0x0
	v_mad_nc_u64_u32 v[24:25], v22, s18, s[8:9]
	v_mad_nc_u64_u32 v[26:27], v14, s18, s[8:9]
	s_add_nc_u64 s[4:5], s[18:19], -1
                                        ; implicit-def: $sgpr17
	s_delay_alu instid0(VALU_DEP_2) | instskip(NEXT) | instid1(VALU_DEP_2)
	v_mad_u32 v23, v23, s18, v25
	v_mad_u32 v27, v15, s18, v27
	s_delay_alu instid0(VALU_DEP_2) | instskip(NEXT) | instid1(VALU_DEP_2)
	v_mad_u32 v25, v22, s19, v23
	v_mad_u32 v27, v14, s19, v27
.LBB1107_77:                            ; =>This Inner Loop Header: Depth=1
	global_load_u8 v22, v[24:25], off
	global_load_u8 v23, v[26:27], off
	s_wait_xcnt 0x1
	v_add_nc_u64_e32 v[24:25], 1, v[24:25]
	s_wait_xcnt 0x0
	v_add_nc_u64_e32 v[26:27], 1, v[26:27]
	s_wait_loadcnt 0x1
	v_cmp_ne_u16_e32 vcc_lo, 0, v22
	s_wait_loadcnt 0x0
	v_cmp_ne_u16_e64 s0, 0, v23
	s_xor_b32 s0, vcc_lo, s0
	s_cmp_eq_u64 s[4:5], 0
	s_add_nc_u64 s[4:5], s[4:5], -1
	s_cselect_b32 s24, -1, 0
	s_delay_alu instid0(SALU_CYCLE_1) | instskip(NEXT) | instid1(SALU_CYCLE_1)
	s_or_b32 s24, s0, s24
	s_and_b32 s24, exec_lo, s24
	s_delay_alu instid0(SALU_CYCLE_1) | instskip(SKIP_2) | instid1(SALU_CYCLE_1)
	s_or_b32 s7, s24, s7
	s_and_not1_b32 s17, s17, exec_lo
	s_and_b32 s0, s0, exec_lo
	s_or_b32 s17, s17, s0
	s_and_not1_b32 exec_lo, exec_lo, s7
	s_cbranch_execnz .LBB1107_77
; %bb.78:
	s_or_b32 exec_lo, exec_lo, s7
	s_delay_alu instid0(SALU_CYCLE_1)
	s_and_b32 s7, s17, exec_lo
.LBB1107_79:
	s_or_b32 exec_lo, exec_lo, s6
	v_cndmask_b32_e64 v34, 0, 1, s1
	v_or_b32_e32 v25, v28, v29
.LBB1107_80:
	s_mov_b32 s1, -1
	s_cbranch_execnz .LBB1107_47
.LBB1107_81:
	s_wait_loadcnt_dscnt 0x0
	v_lshlrev_b32_e32 v22, 5, v0
	v_cmp_lt_i64_e64 s17, s[18:19], 1
	v_cmp_gt_i64_e64 s0, s[18:19], 0
	s_and_b32 vcc_lo, exec_lo, s29
	v_sub_nc_u32_e32 v31, v31, v22
	ds_store_b64 v31, v[20:21]
	s_cbranch_vccz .LBB1107_89
; %bb.82:
	v_cndmask_b32_e64 v28, 0, 1, s0
	s_and_not1_b32 vcc_lo, exec_lo, s0
	s_cbranch_vccnz .LBB1107_90
; %bb.83:
	v_mad_nc_u64_u32 v[22:23], v12, s18, s[8:9]
	v_mad_nc_u64_u32 v[24:25], v20, s18, s[8:9]
	s_add_nc_u64 s[4:5], s[18:19], -1
	s_mov_b32 s24, 0
	s_mov_b64 s[6:7], s[4:5]
                                        ; implicit-def: $sgpr25
	s_delay_alu instid0(VALU_DEP_2) | instskip(NEXT) | instid1(VALU_DEP_2)
	v_mad_u32 v23, v13, s18, v23
	v_mad_u32 v25, v21, s18, v25
	s_delay_alu instid0(VALU_DEP_2) | instskip(NEXT) | instid1(VALU_DEP_2)
	v_mad_u32 v23, v12, s19, v23
	v_mad_u32 v25, v20, s19, v25
	s_delay_alu instid0(VALU_DEP_2)
	v_mov_b64_e32 v[26:27], v[22:23]
.LBB1107_84:                            ; =>This Inner Loop Header: Depth=1
	global_load_u8 v29, v[26:27], off
	global_load_u8 v32, v[24:25], off
	s_wait_xcnt 0x1
	v_add_nc_u64_e32 v[26:27], 1, v[26:27]
	s_wait_xcnt 0x0
	v_add_nc_u64_e32 v[24:25], 1, v[24:25]
	s_wait_loadcnt 0x1
	v_cmp_ne_u16_e32 vcc_lo, 0, v29
	s_wait_loadcnt 0x0
	v_cmp_ne_u16_e64 s0, 0, v32
	s_xor_b32 s0, vcc_lo, s0
	s_cmp_eq_u64 s[6:7], 0
	s_add_nc_u64 s[6:7], s[6:7], -1
	s_cselect_b32 s26, -1, 0
	s_delay_alu instid0(SALU_CYCLE_1) | instskip(NEXT) | instid1(SALU_CYCLE_1)
	s_or_b32 s26, s0, s26
	s_and_b32 s26, exec_lo, s26
	s_delay_alu instid0(SALU_CYCLE_1) | instskip(SKIP_2) | instid1(SALU_CYCLE_1)
	s_or_b32 s24, s26, s24
	s_and_not1_b32 s25, s25, exec_lo
	s_and_b32 s0, s0, exec_lo
	s_or_b32 s25, s25, s0
	s_and_not1_b32 exec_lo, exec_lo, s24
	s_cbranch_execnz .LBB1107_84
; %bb.85:
	s_or_b32 exec_lo, exec_lo, s24
	v_mad_nc_u64_u32 v[24:25], v10, s18, s[8:9]
	s_mov_b32 s6, 0
                                        ; implicit-def: $sgpr24
	s_delay_alu instid0(VALU_DEP_1) | instskip(NEXT) | instid1(VALU_DEP_1)
	v_mad_u32 v25, v11, s18, v25
	v_mad_u32 v25, v10, s19, v25
.LBB1107_86:                            ; =>This Inner Loop Header: Depth=1
	global_load_u8 v26, v[24:25], off
	global_load_u8 v27, v[22:23], off
	s_wait_xcnt 0x1
	v_add_nc_u64_e32 v[24:25], 1, v[24:25]
	s_wait_xcnt 0x0
	v_add_nc_u64_e32 v[22:23], 1, v[22:23]
	s_wait_loadcnt 0x1
	v_cmp_ne_u16_e32 vcc_lo, 0, v26
	s_wait_loadcnt 0x0
	v_cmp_ne_u16_e64 s0, 0, v27
	s_xor_b32 s0, vcc_lo, s0
	s_cmp_eq_u64 s[4:5], 0
	s_add_nc_u64 s[4:5], s[4:5], -1
	s_cselect_b32 s7, -1, 0
	s_delay_alu instid0(SALU_CYCLE_1) | instskip(NEXT) | instid1(SALU_CYCLE_1)
	s_or_b32 s7, s0, s7
	s_and_b32 s7, exec_lo, s7
	s_delay_alu instid0(SALU_CYCLE_1) | instskip(SKIP_2) | instid1(SALU_CYCLE_1)
	s_or_b32 s6, s7, s6
	s_and_not1_b32 s7, s24, exec_lo
	s_and_b32 s0, s0, exec_lo
	s_or_b32 s24, s7, s0
	s_and_not1_b32 exec_lo, exec_lo, s6
	s_cbranch_execnz .LBB1107_86
; %bb.87:
	s_or_b32 exec_lo, exec_lo, s6
	v_cndmask_b32_e64 v34, 0, 1, s25
	v_cmp_ne_u32_e32 vcc_lo, 1, v28
	s_cbranch_vccz .LBB1107_91
.LBB1107_88:
	v_mov_b32_e32 v35, 0
	s_mov_b32 s6, 0
	s_branch .LBB1107_96
.LBB1107_89:
                                        ; implicit-def: $sgpr7
                                        ; implicit-def: $vgpr34
                                        ; implicit-def: $vgpr25
                                        ; implicit-def: $vgpr24
                                        ; implicit-def: $vgpr23
                                        ; implicit-def: $vgpr35
                                        ; implicit-def: $vgpr22
	s_cbranch_execnz .LBB1107_103
	s_branch .LBB1107_126
.LBB1107_90:
	v_mov_b32_e32 v34, 0
	s_mov_b32 s24, 0
	v_cmp_ne_u32_e32 vcc_lo, 1, v28
	s_cbranch_vccnz .LBB1107_88
.LBB1107_91:
	v_mad_nc_u64_u32 v[22:23], v16, s18, s[8:9]
	v_mad_nc_u64_u32 v[24:25], v10, s18, s[8:9]
	s_add_nc_u64 s[4:5], s[18:19], -1
	s_mov_b32 s26, 0
	s_mov_b64 s[6:7], s[4:5]
                                        ; implicit-def: $sgpr25
	s_delay_alu instid0(VALU_DEP_2) | instskip(NEXT) | instid1(VALU_DEP_2)
	v_mad_u32 v23, v17, s18, v23
	v_mad_u32 v25, v11, s18, v25
	s_delay_alu instid0(VALU_DEP_2) | instskip(NEXT) | instid1(VALU_DEP_2)
	v_mad_u32 v23, v16, s19, v23
	v_mad_u32 v25, v10, s19, v25
	s_delay_alu instid0(VALU_DEP_2)
	v_mov_b64_e32 v[26:27], v[22:23]
.LBB1107_92:                            ; =>This Inner Loop Header: Depth=1
	global_load_u8 v29, v[26:27], off
	global_load_u8 v32, v[24:25], off
	s_wait_xcnt 0x1
	v_add_nc_u64_e32 v[26:27], 1, v[26:27]
	s_wait_xcnt 0x0
	v_add_nc_u64_e32 v[24:25], 1, v[24:25]
	s_wait_loadcnt 0x1
	v_cmp_ne_u16_e32 vcc_lo, 0, v29
	s_wait_loadcnt 0x0
	v_cmp_ne_u16_e64 s0, 0, v32
	s_xor_b32 s0, vcc_lo, s0
	s_cmp_eq_u64 s[6:7], 0
	s_add_nc_u64 s[6:7], s[6:7], -1
	s_cselect_b32 s27, -1, 0
	s_delay_alu instid0(SALU_CYCLE_1) | instskip(NEXT) | instid1(SALU_CYCLE_1)
	s_or_b32 s27, s0, s27
	s_and_b32 s27, exec_lo, s27
	s_delay_alu instid0(SALU_CYCLE_1) | instskip(SKIP_2) | instid1(SALU_CYCLE_1)
	s_or_b32 s26, s27, s26
	s_and_not1_b32 s25, s25, exec_lo
	s_and_b32 s0, s0, exec_lo
	s_or_b32 s25, s25, s0
	s_and_not1_b32 exec_lo, exec_lo, s26
	s_cbranch_execnz .LBB1107_92
; %bb.93:
	s_or_b32 exec_lo, exec_lo, s26
	v_mad_nc_u64_u32 v[24:25], v14, s18, s[8:9]
	s_mov_b32 s7, 0
                                        ; implicit-def: $sgpr6
	s_delay_alu instid0(VALU_DEP_1) | instskip(NEXT) | instid1(VALU_DEP_1)
	v_mad_u32 v25, v15, s18, v25
	v_mad_u32 v25, v14, s19, v25
.LBB1107_94:                            ; =>This Inner Loop Header: Depth=1
	global_load_u8 v26, v[24:25], off
	global_load_u8 v27, v[22:23], off
	s_wait_xcnt 0x1
	v_add_nc_u64_e32 v[24:25], 1, v[24:25]
	s_wait_xcnt 0x0
	v_add_nc_u64_e32 v[22:23], 1, v[22:23]
	s_wait_loadcnt 0x1
	v_cmp_ne_u16_e32 vcc_lo, 0, v26
	s_wait_loadcnt 0x0
	v_cmp_ne_u16_e64 s0, 0, v27
	s_xor_b32 s0, vcc_lo, s0
	s_cmp_eq_u64 s[4:5], 0
	s_add_nc_u64 s[4:5], s[4:5], -1
	s_cselect_b32 s26, -1, 0
	s_delay_alu instid0(SALU_CYCLE_1) | instskip(NEXT) | instid1(SALU_CYCLE_1)
	s_or_b32 s26, s0, s26
	s_and_b32 s26, exec_lo, s26
	s_delay_alu instid0(SALU_CYCLE_1) | instskip(SKIP_2) | instid1(SALU_CYCLE_1)
	s_or_b32 s7, s26, s7
	s_and_not1_b32 s6, s6, exec_lo
	s_and_b32 s0, s0, exec_lo
	s_or_b32 s6, s6, s0
	s_and_not1_b32 exec_lo, exec_lo, s7
	s_cbranch_execnz .LBB1107_94
; %bb.95:
	s_or_b32 exec_lo, exec_lo, s7
	v_cndmask_b32_e64 v35, 0, 1, s25
.LBB1107_96:
	v_cndmask_b32_e64 v22, 0, 1, s24
	v_cndmask_b32_e64 v23, 0, 1, s6
	v_mov_b32_e32 v24, 1
	s_wait_dscnt 0x0
	s_barrier_signal -1
	s_barrier_wait -1
                                        ; implicit-def: $sgpr7
                                        ; implicit-def: $vgpr25
	s_and_saveexec_b32 s0, s3
	s_delay_alu instid0(SALU_CYCLE_1)
	s_xor_b32 s6, exec_lo, s0
	s_cbranch_execz .LBB1107_102
; %bb.97:
	v_lshlrev_b16 v25, 8, v23
	v_lshlrev_b16 v26, 8, v22
	v_cmp_ne_u32_e32 vcc_lo, 1, v28
	s_mov_b32 s7, 0
	s_delay_alu instid0(VALU_DEP_2) | instskip(SKIP_1) | instid1(VALU_DEP_2)
	v_or_b32_e32 v26, v35, v26
	v_or_b32_e32 v25, 1, v25
	v_lshlrev_b32_e32 v26, 16, v26
	s_delay_alu instid0(VALU_DEP_2) | instskip(NEXT) | instid1(VALU_DEP_1)
	v_and_b32_e32 v25, 0xffff, v25
	v_or_b32_e32 v25, v25, v26
	s_cbranch_vccnz .LBB1107_101
; %bb.98:
	v_add_nc_u32_e32 v26, -8, v31
	v_mad_nc_u64_u32 v[28:29], v14, s18, s[8:9]
	s_add_nc_u64 s[4:5], s[18:19], -1
	s_mov_b32 s24, 0
                                        ; implicit-def: $sgpr7
	ds_load_b64 v[32:33], v26
	v_mad_u32 v29, v15, s18, v29
	s_delay_alu instid0(VALU_DEP_1) | instskip(SKIP_2) | instid1(VALU_DEP_1)
	v_mad_u32 v29, v14, s19, v29
	s_wait_dscnt 0x0
	v_mad_nc_u64_u32 v[26:27], v32, s18, s[8:9]
	v_mad_u32 v27, v33, s18, v27
	s_delay_alu instid0(VALU_DEP_1)
	v_mad_u32 v27, v32, s19, v27
.LBB1107_99:                            ; =>This Inner Loop Header: Depth=1
	global_load_u8 v32, v[26:27], off
	global_load_u8 v33, v[28:29], off
	s_wait_xcnt 0x1
	v_add_nc_u64_e32 v[26:27], 1, v[26:27]
	s_wait_xcnt 0x0
	v_add_nc_u64_e32 v[28:29], 1, v[28:29]
	s_wait_loadcnt 0x1
	v_cmp_ne_u16_e32 vcc_lo, 0, v32
	s_wait_loadcnt 0x0
	v_cmp_ne_u16_e64 s0, 0, v33
	s_xor_b32 s0, vcc_lo, s0
	s_cmp_eq_u64 s[4:5], 0
	s_add_nc_u64 s[4:5], s[4:5], -1
	s_cselect_b32 s25, -1, 0
	s_delay_alu instid0(SALU_CYCLE_1) | instskip(NEXT) | instid1(SALU_CYCLE_1)
	s_or_b32 s25, s0, s25
	s_and_b32 s25, exec_lo, s25
	s_delay_alu instid0(SALU_CYCLE_1) | instskip(SKIP_2) | instid1(SALU_CYCLE_1)
	s_or_b32 s24, s25, s24
	s_and_not1_b32 s7, s7, exec_lo
	s_and_b32 s0, s0, exec_lo
	s_or_b32 s7, s7, s0
	s_and_not1_b32 exec_lo, exec_lo, s24
	s_cbranch_execnz .LBB1107_99
; %bb.100:
	s_or_b32 exec_lo, exec_lo, s24
.LBB1107_101:
	s_delay_alu instid0(VALU_DEP_1)
	v_perm_b32 v25, v25, v25, 0x3020104
	s_or_b32 s1, s1, exec_lo
.LBB1107_102:
	s_or_b32 exec_lo, exec_lo, s6
	s_branch .LBB1107_126
.LBB1107_103:
	v_add_nc_u32_e32 v24, 4, v30
	v_mad_nc_u64_u32 v[22:23], v12, s18, s[8:9]
	s_xor_b32 s6, s17, -1
	s_mov_b32 s7, 0
	s_delay_alu instid0(VALU_DEP_2) | instskip(SKIP_1) | instid1(SALU_CYCLE_1)
	v_cmp_gt_u32_e32 vcc_lo, s31, v24
	s_and_b32 s0, vcc_lo, s6
	s_and_saveexec_b32 s17, s0
	s_cbranch_execz .LBB1107_107
; %bb.104:
	v_mad_nc_u64_u32 v[24:25], v20, s18, s[8:9]
	s_delay_alu instid0(VALU_DEP_3) | instskip(SKIP_1) | instid1(VALU_DEP_2)
	v_mad_u32 v26, v13, s18, v23
	s_add_nc_u64 s[4:5], s[18:19], -1
                                        ; implicit-def: $sgpr24
	v_mad_u32 v25, v21, s18, v25
	s_delay_alu instid0(VALU_DEP_2) | instskip(SKIP_1) | instid1(VALU_DEP_3)
	v_mad_u32 v27, v12, s19, v26
	v_mov_b32_e32 v26, v22
	v_mad_u32 v25, v20, s19, v25
.LBB1107_105:                           ; =>This Inner Loop Header: Depth=1
	global_load_u8 v28, v[26:27], off
	global_load_u8 v29, v[24:25], off
	s_wait_xcnt 0x1
	v_add_nc_u64_e32 v[26:27], 1, v[26:27]
	s_wait_xcnt 0x0
	v_add_nc_u64_e32 v[24:25], 1, v[24:25]
	s_wait_loadcnt 0x1
	v_cmp_ne_u16_e32 vcc_lo, 0, v28
	s_wait_loadcnt 0x0
	v_cmp_ne_u16_e64 s0, 0, v29
	s_xor_b32 s0, vcc_lo, s0
	s_cmp_eq_u64 s[4:5], 0
	s_add_nc_u64 s[4:5], s[4:5], -1
	s_cselect_b32 s25, -1, 0
	s_delay_alu instid0(SALU_CYCLE_1) | instskip(NEXT) | instid1(SALU_CYCLE_1)
	s_or_b32 s25, s0, s25
	s_and_b32 s25, exec_lo, s25
	s_delay_alu instid0(SALU_CYCLE_1) | instskip(SKIP_2) | instid1(SALU_CYCLE_1)
	s_or_b32 s7, s25, s7
	s_and_not1_b32 s24, s24, exec_lo
	s_and_b32 s0, s0, exec_lo
	s_or_b32 s24, s24, s0
	s_and_not1_b32 exec_lo, exec_lo, s7
	s_cbranch_execnz .LBB1107_105
; %bb.106:
	s_or_b32 exec_lo, exec_lo, s7
	s_delay_alu instid0(SALU_CYCLE_1)
	s_and_b32 s7, s24, exec_lo
.LBB1107_107:
	s_or_b32 exec_lo, exec_lo, s17
	v_add_nc_u32_e32 v26, 3, v30
	v_mad_nc_u64_u32 v[24:25], v10, s18, s[8:9]
	s_mov_b32 s17, 0
	s_delay_alu instid0(VALU_DEP_2) | instskip(SKIP_1) | instid1(SALU_CYCLE_1)
	v_cmp_gt_u32_e32 vcc_lo, s31, v26
	s_and_b32 s0, vcc_lo, s6
	s_and_saveexec_b32 s24, s0
	s_cbranch_execz .LBB1107_111
; %bb.108:
	s_delay_alu instid0(VALU_DEP_2) | instskip(SKIP_2) | instid1(VALU_DEP_2)
	v_mad_u32 v26, v11, s18, v25
	v_mad_u32 v23, v13, s18, v23
	s_add_nc_u64 s[4:5], s[18:19], -1
                                        ; implicit-def: $sgpr25
	v_mad_u32 v27, v10, s19, v26
	s_delay_alu instid0(VALU_DEP_2)
	v_mad_u32 v23, v12, s19, v23
	v_mov_b32_e32 v26, v24
.LBB1107_109:                           ; =>This Inner Loop Header: Depth=1
	global_load_u8 v28, v[26:27], off
	global_load_u8 v29, v[22:23], off
	s_wait_xcnt 0x1
	v_add_nc_u64_e32 v[26:27], 1, v[26:27]
	s_wait_xcnt 0x0
	v_add_nc_u64_e32 v[22:23], 1, v[22:23]
	s_wait_loadcnt 0x1
	v_cmp_ne_u16_e32 vcc_lo, 0, v28
	s_wait_loadcnt 0x0
	v_cmp_ne_u16_e64 s0, 0, v29
	s_xor_b32 s0, vcc_lo, s0
	s_cmp_eq_u64 s[4:5], 0
	s_add_nc_u64 s[4:5], s[4:5], -1
	s_cselect_b32 s26, -1, 0
	s_delay_alu instid0(SALU_CYCLE_1) | instskip(NEXT) | instid1(SALU_CYCLE_1)
	s_or_b32 s26, s0, s26
	s_and_b32 s26, exec_lo, s26
	s_delay_alu instid0(SALU_CYCLE_1) | instskip(SKIP_2) | instid1(SALU_CYCLE_1)
	s_or_b32 s17, s26, s17
	s_and_not1_b32 s25, s25, exec_lo
	s_and_b32 s0, s0, exec_lo
	s_or_b32 s25, s25, s0
	s_and_not1_b32 exec_lo, exec_lo, s17
	s_cbranch_execnz .LBB1107_109
; %bb.110:
	s_or_b32 exec_lo, exec_lo, s17
	s_delay_alu instid0(SALU_CYCLE_1)
	s_and_b32 s17, s25, exec_lo
.LBB1107_111:
	s_or_b32 exec_lo, exec_lo, s24
	v_add_nc_u32_e32 v26, 2, v30
	v_mad_nc_u64_u32 v[22:23], v16, s18, s[8:9]
	s_mov_b32 s24, 0
	s_delay_alu instid0(VALU_DEP_2) | instskip(SKIP_1) | instid1(SALU_CYCLE_1)
	v_cmp_gt_u32_e32 vcc_lo, s31, v26
	s_and_b32 s0, vcc_lo, s6
	s_and_saveexec_b32 s25, s0
	s_cbranch_execz .LBB1107_115
; %bb.112:
	s_delay_alu instid0(VALU_DEP_2) | instskip(SKIP_2) | instid1(VALU_DEP_2)
	v_mad_u32 v26, v17, s18, v23
	v_mad_u32 v25, v11, s18, v25
	s_add_nc_u64 s[4:5], s[18:19], -1
                                        ; implicit-def: $sgpr26
	v_mad_u32 v27, v16, s19, v26
	s_delay_alu instid0(VALU_DEP_2)
	v_mad_u32 v25, v10, s19, v25
	v_mov_b32_e32 v26, v22
.LBB1107_113:                           ; =>This Inner Loop Header: Depth=1
	global_load_u8 v28, v[26:27], off
	global_load_u8 v29, v[24:25], off
	s_wait_xcnt 0x1
	v_add_nc_u64_e32 v[26:27], 1, v[26:27]
	s_wait_xcnt 0x0
	v_add_nc_u64_e32 v[24:25], 1, v[24:25]
	s_wait_loadcnt 0x1
	v_cmp_ne_u16_e32 vcc_lo, 0, v28
	s_wait_loadcnt 0x0
	v_cmp_ne_u16_e64 s0, 0, v29
	s_xor_b32 s0, vcc_lo, s0
	s_cmp_eq_u64 s[4:5], 0
	s_add_nc_u64 s[4:5], s[4:5], -1
	s_cselect_b32 s27, -1, 0
	s_delay_alu instid0(SALU_CYCLE_1) | instskip(NEXT) | instid1(SALU_CYCLE_1)
	s_or_b32 s27, s0, s27
	s_and_b32 s27, exec_lo, s27
	s_delay_alu instid0(SALU_CYCLE_1) | instskip(SKIP_2) | instid1(SALU_CYCLE_1)
	s_or_b32 s24, s27, s24
	s_and_not1_b32 s26, s26, exec_lo
	s_and_b32 s0, s0, exec_lo
	s_or_b32 s26, s26, s0
	s_and_not1_b32 exec_lo, exec_lo, s24
	s_cbranch_execnz .LBB1107_113
; %bb.114:
	s_or_b32 exec_lo, exec_lo, s24
	s_delay_alu instid0(SALU_CYCLE_1)
	s_and_b32 s24, s26, exec_lo
.LBB1107_115:
	s_or_b32 exec_lo, exec_lo, s25
	v_add_nc_u32_e32 v24, 1, v30
	s_mov_b32 s0, 0
	s_delay_alu instid0(VALU_DEP_1) | instskip(SKIP_1) | instid1(SALU_CYCLE_1)
	v_cmp_gt_u32_e32 vcc_lo, s31, v24
	s_and_b32 s4, vcc_lo, s6
	s_and_saveexec_b32 s25, s4
	s_cbranch_execz .LBB1107_119
; %bb.116:
	v_mad_nc_u64_u32 v[24:25], v14, s18, s[8:9]
	v_mad_u32 v23, v17, s18, v23
	s_add_nc_u64 s[4:5], s[18:19], -1
	s_mov_b32 s26, 0
                                        ; implicit-def: $sgpr27
	s_delay_alu instid0(VALU_DEP_2) | instskip(NEXT) | instid1(VALU_DEP_2)
	v_mad_u32 v25, v15, s18, v25
	v_mad_u32 v23, v16, s19, v23
	s_delay_alu instid0(VALU_DEP_2)
	v_mad_u32 v25, v14, s19, v25
.LBB1107_117:                           ; =>This Inner Loop Header: Depth=1
	global_load_u8 v26, v[24:25], off
	global_load_u8 v27, v[22:23], off
	s_wait_xcnt 0x1
	v_add_nc_u64_e32 v[24:25], 1, v[24:25]
	s_wait_xcnt 0x0
	v_add_nc_u64_e32 v[22:23], 1, v[22:23]
	s_wait_loadcnt 0x1
	v_cmp_ne_u16_e32 vcc_lo, 0, v26
	s_wait_loadcnt 0x0
	v_cmp_ne_u16_e64 s0, 0, v27
	s_xor_b32 s0, vcc_lo, s0
	s_cmp_eq_u64 s[4:5], 0
	s_add_nc_u64 s[4:5], s[4:5], -1
	s_cselect_b32 s34, -1, 0
	s_delay_alu instid0(SALU_CYCLE_1) | instskip(NEXT) | instid1(SALU_CYCLE_1)
	s_or_b32 s34, s0, s34
	s_and_b32 s34, exec_lo, s34
	s_delay_alu instid0(SALU_CYCLE_1) | instskip(SKIP_2) | instid1(SALU_CYCLE_1)
	s_or_b32 s26, s34, s26
	s_and_not1_b32 s27, s27, exec_lo
	s_and_b32 s0, s0, exec_lo
	s_or_b32 s27, s27, s0
	s_and_not1_b32 exec_lo, exec_lo, s26
	s_cbranch_execnz .LBB1107_117
; %bb.118:
	s_or_b32 exec_lo, exec_lo, s26
	s_delay_alu instid0(SALU_CYCLE_1)
	s_and_b32 s0, s27, exec_lo
.LBB1107_119:
	s_or_b32 exec_lo, exec_lo, s25
	v_cndmask_b32_e64 v34, 0, 1, s7
	v_cndmask_b32_e64 v35, 0, 1, s24
	;; [unrolled: 1-line block ×4, first 2 shown]
	v_mov_b32_e32 v24, 1
	s_wait_dscnt 0x0
	s_barrier_signal -1
	s_barrier_wait -1
                                        ; implicit-def: $sgpr7
                                        ; implicit-def: $vgpr25
	s_and_saveexec_b32 s17, s3
	s_cbranch_execz .LBB1107_125
; %bb.120:
	v_lshlrev_b16 v25, 8, v23
	v_lshlrev_b16 v26, 8, v22
	v_cmp_gt_u32_e32 vcc_lo, s31, v30
	s_mov_b32 s7, 0
	s_delay_alu instid0(VALU_DEP_2) | instskip(SKIP_2) | instid1(VALU_DEP_2)
	v_or_b32_e32 v26, v35, v26
	v_or_b32_e32 v25, 1, v25
	s_and_b32 s0, vcc_lo, s6
	v_lshlrev_b32_e32 v26, 16, v26
	s_delay_alu instid0(VALU_DEP_2) | instskip(NEXT) | instid1(VALU_DEP_1)
	v_and_b32_e32 v25, 0xffff, v25
	v_or_b32_e32 v25, v25, v26
	s_and_saveexec_b32 s3, s0
	s_cbranch_execz .LBB1107_124
; %bb.121:
	v_add_nc_u32_e32 v26, -8, v31
	v_mad_nc_u64_u32 v[28:29], v14, s18, s[8:9]
	s_add_nc_u64 s[4:5], s[18:19], -1
	s_mov_b32 s6, 0
                                        ; implicit-def: $sgpr7
	ds_load_b64 v[32:33], v26
	v_mad_u32 v29, v15, s18, v29
	s_delay_alu instid0(VALU_DEP_1) | instskip(SKIP_2) | instid1(VALU_DEP_1)
	v_mad_u32 v29, v14, s19, v29
	s_wait_dscnt 0x0
	v_mad_nc_u64_u32 v[26:27], v32, s18, s[8:9]
	v_mad_u32 v27, v33, s18, v27
	s_delay_alu instid0(VALU_DEP_1)
	v_mad_u32 v27, v32, s19, v27
.LBB1107_122:                           ; =>This Inner Loop Header: Depth=1
	global_load_u8 v31, v[26:27], off
	global_load_u8 v32, v[28:29], off
	s_wait_xcnt 0x1
	v_add_nc_u64_e32 v[26:27], 1, v[26:27]
	s_wait_xcnt 0x0
	v_add_nc_u64_e32 v[28:29], 1, v[28:29]
	s_wait_loadcnt 0x1
	v_cmp_ne_u16_e32 vcc_lo, 0, v31
	s_wait_loadcnt 0x0
	v_cmp_ne_u16_e64 s0, 0, v32
	s_xor_b32 s0, vcc_lo, s0
	s_cmp_eq_u64 s[4:5], 0
	s_add_nc_u64 s[4:5], s[4:5], -1
	s_cselect_b32 s8, -1, 0
	s_delay_alu instid0(SALU_CYCLE_1) | instskip(NEXT) | instid1(SALU_CYCLE_1)
	s_or_b32 s8, s0, s8
	s_and_b32 s8, exec_lo, s8
	s_delay_alu instid0(SALU_CYCLE_1) | instskip(SKIP_2) | instid1(SALU_CYCLE_1)
	s_or_b32 s6, s8, s6
	s_and_not1_b32 s7, s7, exec_lo
	s_and_b32 s0, s0, exec_lo
	s_or_b32 s7, s7, s0
	s_and_not1_b32 exec_lo, exec_lo, s6
	s_cbranch_execnz .LBB1107_122
; %bb.123:
	s_or_b32 exec_lo, exec_lo, s6
	s_delay_alu instid0(SALU_CYCLE_1)
	s_and_b32 s7, s7, exec_lo
.LBB1107_124:
	s_or_b32 exec_lo, exec_lo, s3
	s_delay_alu instid0(VALU_DEP_1)
	v_perm_b32 v25, v25, v25, 0x3020104
	s_or_b32 s1, s1, exec_lo
.LBB1107_125:
	s_or_b32 exec_lo, exec_lo, s17
.LBB1107_126:
	s_wait_xcnt 0x0
	s_and_saveexec_b32 s0, s1
	s_cbranch_execz .LBB1107_128
; %bb.127:
	s_wait_loadcnt_dscnt 0x0
	v_dual_lshrrev_b32 v22, 24, v25 :: v_dual_lshrrev_b32 v35, 16, v25
	v_lshrrev_b32_e32 v23, 8, v25
	v_cndmask_b32_e64 v24, 0, 1, s7
.LBB1107_128:
	s_or_b32 exec_lo, exec_lo, s0
	s_delay_alu instid0(SALU_CYCLE_1)
	s_and_not1_b32 vcc_lo, exec_lo, s33
	s_cbranch_vccnz .LBB1107_132
; %bb.129:
	s_wait_loadcnt_dscnt 0x0
	v_perm_b32 v23, v24, v23, 0xc0c0004
	v_perm_b32 v22, v35, v22, 0xc0c0004
	v_cmp_gt_u32_e32 vcc_lo, s31, v30
	v_dual_add_nc_u32 v24, 1, v30 :: v_dual_add_nc_u32 v26, 4, v30
	v_and_b32_e32 v34, 0xff, v34
	s_delay_alu instid0(VALU_DEP_4) | instskip(SKIP_1) | instid1(VALU_DEP_2)
	v_lshl_or_b32 v22, v22, 16, v23
	s_mov_b32 s0, exec_lo
	v_and_b32_e32 v25, 0xffff, v34
	s_delay_alu instid0(VALU_DEP_2) | instskip(SKIP_2) | instid1(VALU_DEP_3)
	v_cndmask_b32_e32 v23, 0, v22, vcc_lo
	v_cmp_gt_u32_e32 vcc_lo, s31, v24
	v_add_nc_u32_e32 v24, 2, v30
	v_and_b32_e32 v23, 0xff, v23
	s_delay_alu instid0(VALU_DEP_1) | instskip(NEXT) | instid1(VALU_DEP_3)
	v_cndmask_b32_e32 v23, v23, v22, vcc_lo
	v_cmp_gt_u32_e32 vcc_lo, s31, v24
	v_add_nc_u32_e32 v24, 3, v30
	s_delay_alu instid0(VALU_DEP_3) | instskip(NEXT) | instid1(VALU_DEP_1)
	v_and_b32_e32 v23, 0xffff, v23
	v_cndmask_b32_e32 v23, v23, v22, vcc_lo
	s_delay_alu instid0(VALU_DEP_3) | instskip(NEXT) | instid1(VALU_DEP_2)
	v_cmp_gt_u32_e32 vcc_lo, s31, v24
	v_and_b32_e32 v23, 0xffffff, v23
	s_delay_alu instid0(VALU_DEP_1) | instskip(NEXT) | instid1(VALU_DEP_1)
	v_cndmask_b32_e32 v24, v23, v22, vcc_lo
	v_lshrrev_b64 v[22:23], 24, v[24:25]
	v_dual_lshrrev_b32 v35, 16, v24 :: v_dual_lshrrev_b32 v23, 8, v24
	v_cmpx_le_u32_e64 s31, v26
; %bb.130:
	v_mov_b32_e32 v34, 0
; %bb.131:
	s_or_b32 exec_lo, exec_lo, s0
.LBB1107_132:
	s_delay_alu instid0(VALU_DEP_1)
	v_and_b32_e32 v25, 0xff, v24
	s_wait_loadcnt_dscnt 0x0
	v_and_b32_e32 v36, 0xff, v23
	v_and_b32_e32 v37, 0xff, v35
	v_mbcnt_lo_u32_b32 v39, -1, 0
	v_and_b32_e32 v38, 0xff, v22
	v_and_b32_e32 v26, 0xff, v34
	v_lshrrev_b32_e32 v40, 5, v0
	v_add3_u32 v27, v36, v25, v37
	v_and_b32_e32 v28, 15, v39
	s_and_b32 vcc_lo, exec_lo, s16
	s_mov_b32 s7, -1
	s_delay_alu instid0(VALU_DEP_2)
	v_add3_u32 v41, v27, v38, v26
	v_and_b32_e32 v26, 16, v39
	v_or_b32_e32 v27, 31, v0
	v_cmp_eq_u32_e64 s3, 0, v28
	v_cmp_lt_u32_e64 s5, 1, v28
	v_cmp_lt_u32_e64 s6, 3, v28
	;; [unrolled: 1-line block ×3, first 2 shown]
	v_cmp_eq_u32_e64 s1, 0, v26
	v_cmp_eq_u32_e64 s0, v0, v27
	s_barrier_signal -1
	s_barrier_wait -1
                                        ; implicit-def: $vgpr30
                                        ; implicit-def: $vgpr31
                                        ; implicit-def: $vgpr32
                                        ; implicit-def: $vgpr33
                                        ; implicit-def: $vgpr42
                                        ; implicit-def: $vgpr28
                                        ; implicit-def: $vgpr26
	s_cbranch_vccz .LBB1107_159
; %bb.133:
	v_mov_b32_dpp v26, v41 row_shr:1 row_mask:0xf bank_mask:0xf
	s_delay_alu instid0(VALU_DEP_1) | instskip(NEXT) | instid1(VALU_DEP_1)
	v_cndmask_b32_e64 v26, v26, 0, s3
	v_add_nc_u32_e32 v26, v26, v41
	s_delay_alu instid0(VALU_DEP_1) | instskip(NEXT) | instid1(VALU_DEP_1)
	v_mov_b32_dpp v27, v26 row_shr:2 row_mask:0xf bank_mask:0xf
	v_cndmask_b32_e64 v27, 0, v27, s5
	s_delay_alu instid0(VALU_DEP_1) | instskip(NEXT) | instid1(VALU_DEP_1)
	v_add_nc_u32_e32 v26, v26, v27
	v_mov_b32_dpp v27, v26 row_shr:4 row_mask:0xf bank_mask:0xf
	s_delay_alu instid0(VALU_DEP_1) | instskip(NEXT) | instid1(VALU_DEP_1)
	v_cndmask_b32_e64 v27, 0, v27, s6
	v_add_nc_u32_e32 v26, v26, v27
	s_delay_alu instid0(VALU_DEP_1) | instskip(NEXT) | instid1(VALU_DEP_1)
	v_mov_b32_dpp v27, v26 row_shr:8 row_mask:0xf bank_mask:0xf
	v_cndmask_b32_e64 v27, 0, v27, s4
	s_delay_alu instid0(VALU_DEP_1) | instskip(SKIP_3) | instid1(VALU_DEP_1)
	v_add_nc_u32_e32 v26, v26, v27
	ds_swizzle_b32 v27, v26 offset:swizzle(BROADCAST,32,15)
	s_wait_dscnt 0x0
	v_cndmask_b32_e64 v27, v27, 0, s1
	v_add_nc_u32_e32 v26, v26, v27
	s_and_saveexec_b32 s7, s0
; %bb.134:
	v_lshlrev_b32_e32 v27, 2, v40
	ds_store_b32 v27, v26
; %bb.135:
	s_or_b32 exec_lo, exec_lo, s7
	s_delay_alu instid0(SALU_CYCLE_1)
	s_mov_b32 s7, exec_lo
	s_wait_dscnt 0x0
	s_barrier_signal -1
	s_barrier_wait -1
	v_cmpx_gt_u32_e32 4, v0
	s_cbranch_execz .LBB1107_137
; %bb.136:
	v_dual_lshlrev_b32 v27, 2, v0 :: v_dual_bitop2_b32 v29, 3, v39 bitop3:0x40
	ds_load_b32 v28, v27
	v_cmp_ne_u32_e32 vcc_lo, 0, v29
	s_wait_dscnt 0x0
	v_mov_b32_dpp v30, v28 row_shr:1 row_mask:0xf bank_mask:0xf
	s_delay_alu instid0(VALU_DEP_1) | instskip(SKIP_1) | instid1(VALU_DEP_2)
	v_cndmask_b32_e32 v30, 0, v30, vcc_lo
	v_cmp_lt_u32_e32 vcc_lo, 1, v29
	v_add_nc_u32_e32 v28, v30, v28
	s_delay_alu instid0(VALU_DEP_1) | instskip(NEXT) | instid1(VALU_DEP_1)
	v_mov_b32_dpp v30, v28 row_shr:2 row_mask:0xf bank_mask:0xf
	v_cndmask_b32_e32 v29, 0, v30, vcc_lo
	s_delay_alu instid0(VALU_DEP_1)
	v_add_nc_u32_e32 v28, v28, v29
	ds_store_b32 v27, v28
.LBB1107_137:
	s_or_b32 exec_lo, exec_lo, s7
	s_delay_alu instid0(SALU_CYCLE_1)
	s_mov_b32 s8, exec_lo
	v_cmp_gt_u32_e32 vcc_lo, 32, v0
	s_wait_dscnt 0x0
	s_barrier_signal -1
	s_barrier_wait -1
                                        ; implicit-def: $vgpr42
	v_cmpx_lt_u32_e32 31, v0
	s_cbranch_execz .LBB1107_139
; %bb.138:
	v_lshl_add_u32 v27, v40, 2, -4
	ds_load_b32 v42, v27
	s_wait_dscnt 0x0
	v_add_nc_u32_e32 v26, v42, v26
.LBB1107_139:
	s_or_b32 exec_lo, exec_lo, s8
	v_sub_co_u32 v27, s7, v39, 1
	s_delay_alu instid0(VALU_DEP_1) | instskip(NEXT) | instid1(VALU_DEP_1)
	v_cmp_gt_i32_e64 s8, 0, v27
	v_cndmask_b32_e64 v27, v27, v39, s8
	s_delay_alu instid0(VALU_DEP_1)
	v_lshlrev_b32_e32 v27, 2, v27
	ds_bpermute_b32 v43, v27, v26
	s_and_saveexec_b32 s8, vcc_lo
	s_cbranch_execz .LBB1107_158
; %bb.140:
	v_mov_b32_e32 v33, 0
	ds_load_b32 v26, v33 offset:12
	s_and_saveexec_b32 s9, s7
	s_cbranch_execz .LBB1107_142
; %bb.141:
	s_add_co_i32 s16, s30, 32
	s_delay_alu instid0(SALU_CYCLE_1)
	v_dual_mov_b32 v27, 1 :: v_dual_mov_b32 v28, s16
	s_wait_dscnt 0x0
	global_store_b64 v28, v[26:27], s[10:11] scale_offset scope:SCOPE_DEV
.LBB1107_142:
	s_wait_xcnt 0x0
	s_or_b32 exec_lo, exec_lo, s9
	v_xad_u32 v28, v39, -1, s30
	s_mov_b32 s16, 0
	s_mov_b32 s9, exec_lo
	s_delay_alu instid0(VALU_DEP_1) | instskip(SKIP_4) | instid1(VALU_DEP_1)
	v_add_nc_u32_e32 v32, 32, v28
	global_load_b64 v[30:31], v32, s[10:11] scale_offset scope:SCOPE_DEV
	s_wait_loadcnt 0x0
	v_and_b32_e32 v27, 0xff, v31
	s_wait_xcnt 0x0
	v_cmpx_eq_u16_e32 0, v27
	s_cbranch_execz .LBB1107_146
; %bb.143:
	v_lshl_add_u64 v[32:33], v[32:33], 3, s[10:11]
.LBB1107_144:                           ; =>This Inner Loop Header: Depth=1
	global_load_b64 v[30:31], v[32:33], off scope:SCOPE_DEV
	s_wait_loadcnt 0x0
	v_and_b32_e32 v27, 0xff, v31
	s_delay_alu instid0(VALU_DEP_1)
	v_cmp_ne_u16_e32 vcc_lo, 0, v27
	s_or_b32 s16, vcc_lo, s16
	s_wait_xcnt 0x0
	s_and_not1_b32 exec_lo, exec_lo, s16
	s_cbranch_execnz .LBB1107_144
; %bb.145:
	s_or_b32 exec_lo, exec_lo, s16
.LBB1107_146:
	s_delay_alu instid0(SALU_CYCLE_1)
	s_or_b32 exec_lo, exec_lo, s9
	v_cmp_ne_u32_e32 vcc_lo, 31, v39
	v_lshlrev_b32_e64 v45, v39, -1
	v_lshl_or_b32 v52, v39, 2, 64
	v_dual_add_nc_u32 v47, 2, v39 :: v_dual_add_nc_u32 v49, 4, v39
	v_add_co_ci_u32_e64 v27, null, 0, v39, vcc_lo
	v_dual_add_nc_u32 v51, 8, v39 :: v_dual_add_nc_u32 v53, 16, v39
	s_delay_alu instid0(VALU_DEP_2)
	v_lshlrev_b32_e32 v44, 2, v27
	v_and_b32_e32 v27, 0xff, v31
	ds_bpermute_b32 v29, v44, v30
	v_cmp_eq_u16_e32 vcc_lo, 2, v27
	v_and_or_b32 v27, vcc_lo, v45, 0x80000000
	v_cmp_gt_u32_e32 vcc_lo, 30, v39
	s_delay_alu instid0(VALU_DEP_2) | instskip(SKIP_1) | instid1(VALU_DEP_2)
	v_ctz_i32_b32_e32 v27, v27
	v_cndmask_b32_e64 v32, 0, 2, vcc_lo
	v_cmp_lt_u32_e32 vcc_lo, v39, v27
	s_delay_alu instid0(VALU_DEP_2) | instskip(SKIP_3) | instid1(VALU_DEP_2)
	v_add_lshl_u32 v46, v32, v39, 2
	s_wait_dscnt 0x0
	v_cndmask_b32_e32 v29, 0, v29, vcc_lo
	v_cmp_gt_u32_e32 vcc_lo, 28, v39
	v_add_nc_u32_e32 v29, v29, v30
	v_cndmask_b32_e64 v32, 0, 4, vcc_lo
	v_cmp_le_u32_e32 vcc_lo, v47, v27
	ds_bpermute_b32 v30, v46, v29
	v_add_lshl_u32 v48, v32, v39, 2
	s_wait_dscnt 0x0
	v_cndmask_b32_e32 v30, 0, v30, vcc_lo
	v_cmp_gt_u32_e32 vcc_lo, 24, v39
	v_cndmask_b32_e64 v32, 0, 8, vcc_lo
	v_cmp_le_u32_e32 vcc_lo, v49, v27
	s_delay_alu instid0(VALU_DEP_4) | instskip(NEXT) | instid1(VALU_DEP_3)
	v_add_nc_u32_e32 v29, v29, v30
	v_add_lshl_u32 v50, v32, v39, 2
	ds_bpermute_b32 v30, v48, v29
	s_wait_dscnt 0x0
	v_cndmask_b32_e32 v30, 0, v30, vcc_lo
	v_cmp_le_u32_e32 vcc_lo, v51, v27
	s_delay_alu instid0(VALU_DEP_2) | instskip(SKIP_4) | instid1(VALU_DEP_2)
	v_add_nc_u32_e32 v29, v29, v30
	ds_bpermute_b32 v30, v50, v29
	s_wait_dscnt 0x0
	v_cndmask_b32_e32 v30, 0, v30, vcc_lo
	v_cmp_le_u32_e32 vcc_lo, v53, v27
	v_add_nc_u32_e32 v29, v29, v30
	ds_bpermute_b32 v30, v52, v29
	s_wait_dscnt 0x0
	v_cndmask_b32_e32 v27, 0, v30, vcc_lo
	s_delay_alu instid0(VALU_DEP_1)
	v_dual_mov_b32 v29, 0 :: v_dual_add_nc_u32 v30, v29, v27
	s_branch .LBB1107_149
.LBB1107_147:                           ;   in Loop: Header=BB1107_149 Depth=1
	s_or_b32 exec_lo, exec_lo, s9
	v_and_b32_e32 v32, 0xff, v31
	ds_bpermute_b32 v33, v44, v30
	v_subrev_nc_u32_e32 v28, 32, v28
	s_mov_b32 s9, 0
	v_cmp_eq_u16_e32 vcc_lo, 2, v32
	v_and_or_b32 v32, vcc_lo, v45, 0x80000000
	s_delay_alu instid0(VALU_DEP_1) | instskip(NEXT) | instid1(VALU_DEP_1)
	v_ctz_i32_b32_e32 v32, v32
	v_cmp_lt_u32_e32 vcc_lo, v39, v32
	s_wait_dscnt 0x0
	v_cndmask_b32_e32 v33, 0, v33, vcc_lo
	v_cmp_le_u32_e32 vcc_lo, v47, v32
	s_delay_alu instid0(VALU_DEP_2) | instskip(SKIP_4) | instid1(VALU_DEP_2)
	v_add_nc_u32_e32 v30, v33, v30
	ds_bpermute_b32 v33, v46, v30
	s_wait_dscnt 0x0
	v_cndmask_b32_e32 v33, 0, v33, vcc_lo
	v_cmp_le_u32_e32 vcc_lo, v49, v32
	v_add_nc_u32_e32 v30, v30, v33
	ds_bpermute_b32 v33, v48, v30
	s_wait_dscnt 0x0
	v_cndmask_b32_e32 v33, 0, v33, vcc_lo
	v_cmp_le_u32_e32 vcc_lo, v51, v32
	s_delay_alu instid0(VALU_DEP_2) | instskip(SKIP_4) | instid1(VALU_DEP_2)
	v_add_nc_u32_e32 v30, v30, v33
	ds_bpermute_b32 v33, v50, v30
	s_wait_dscnt 0x0
	v_cndmask_b32_e32 v33, 0, v33, vcc_lo
	v_cmp_le_u32_e32 vcc_lo, v53, v32
	v_add_nc_u32_e32 v30, v30, v33
	ds_bpermute_b32 v33, v52, v30
	s_wait_dscnt 0x0
	v_cndmask_b32_e32 v32, 0, v33, vcc_lo
	s_delay_alu instid0(VALU_DEP_1)
	v_add3_u32 v30, v32, v27, v30
.LBB1107_148:                           ;   in Loop: Header=BB1107_149 Depth=1
	s_and_b32 vcc_lo, exec_lo, s9
	s_cbranch_vccnz .LBB1107_154
.LBB1107_149:                           ; =>This Loop Header: Depth=1
                                        ;     Child Loop BB1107_152 Depth 2
	v_and_b32_e32 v27, 0xff, v31
	s_mov_b32 s9, -1
                                        ; implicit-def: $vgpr31
	s_delay_alu instid0(VALU_DEP_1)
	v_cmp_ne_u16_e32 vcc_lo, 2, v27
	v_mov_b32_e32 v27, v30
                                        ; implicit-def: $vgpr30
	s_cmp_lg_u32 vcc_lo, exec_lo
	s_cbranch_scc1 .LBB1107_148
; %bb.150:                              ;   in Loop: Header=BB1107_149 Depth=1
	global_load_b64 v[30:31], v28, s[10:11] scale_offset scope:SCOPE_DEV
	s_mov_b32 s9, exec_lo
	s_wait_loadcnt 0x0
	v_and_b32_e32 v32, 0xff, v31
	s_wait_xcnt 0x0
	s_delay_alu instid0(VALU_DEP_1)
	v_cmpx_eq_u16_e32 0, v32
	s_cbranch_execz .LBB1107_147
; %bb.151:                              ;   in Loop: Header=BB1107_149 Depth=1
	v_lshl_add_u64 v[32:33], v[28:29], 3, s[10:11]
	s_mov_b32 s16, 0
.LBB1107_152:                           ;   Parent Loop BB1107_149 Depth=1
                                        ; =>  This Inner Loop Header: Depth=2
	global_load_b64 v[30:31], v[32:33], off scope:SCOPE_DEV
	s_wait_loadcnt 0x0
	v_and_b32_e32 v54, 0xff, v31
	s_delay_alu instid0(VALU_DEP_1)
	v_cmp_ne_u16_e32 vcc_lo, 0, v54
	s_or_b32 s16, vcc_lo, s16
	s_wait_xcnt 0x0
	s_and_not1_b32 exec_lo, exec_lo, s16
	s_cbranch_execnz .LBB1107_152
; %bb.153:                              ;   in Loop: Header=BB1107_149 Depth=1
	s_or_b32 exec_lo, exec_lo, s16
	s_branch .LBB1107_147
.LBB1107_154:
	s_and_saveexec_b32 s9, s7
	s_cbranch_execz .LBB1107_156
; %bb.155:
	s_add_co_i32 s16, s30, 32
	v_dual_mov_b32 v29, 2 :: v_dual_add_nc_u32 v28, v27, v26
	v_dual_mov_b32 v30, s16 :: v_dual_mov_b32 v31, 0
	global_store_b64 v30, v[28:29], s[10:11] scale_offset scope:SCOPE_DEV
	ds_store_b64 v31, v[26:27] offset:5120
.LBB1107_156:
	s_wait_xcnt 0x0
	s_or_b32 exec_lo, exec_lo, s9
	s_delay_alu instid0(SALU_CYCLE_1)
	s_and_b32 exec_lo, exec_lo, s2
; %bb.157:
	v_mov_b32_e32 v26, 0
	ds_store_b32 v26, v27 offset:12
.LBB1107_158:
	s_or_b32 exec_lo, exec_lo, s8
	s_wait_dscnt 0x0
	v_dual_mov_b32 v26, 0 :: v_dual_cndmask_b32 v28, v43, v42, s7
	s_wait_storecnt 0x0
	s_barrier_signal -1
	s_barrier_wait -1
	ds_load_b32 v27, v26 offset:12
	v_cndmask_b32_e64 v28, v28, 0, s2
	s_wait_dscnt 0x0
	s_barrier_signal -1
	s_barrier_wait -1
	s_mov_b32 s7, 0
	v_add_nc_u32_e32 v42, v27, v28
	ds_load_b64 v[26:27], v26 offset:5120
	v_add_nc_u32_e32 v33, v42, v25
	s_wait_dscnt 0x0
	s_delay_alu instid0(VALU_DEP_1) | instskip(NEXT) | instid1(VALU_DEP_1)
	v_dual_add_nc_u32 v32, v33, v36 :: v_dual_mov_b32 v28, v27
	v_add_nc_u32_e32 v31, v32, v37
	s_delay_alu instid0(VALU_DEP_1)
	v_add_nc_u32_e32 v30, v31, v38
.LBB1107_159:
	s_and_b32 vcc_lo, exec_lo, s7
	s_cbranch_vccz .LBB1107_169
; %bb.160:
	v_mov_b32_dpp v26, v41 row_shr:1 row_mask:0xf bank_mask:0xf
	s_delay_alu instid0(VALU_DEP_1) | instskip(NEXT) | instid1(VALU_DEP_1)
	v_cndmask_b32_e64 v26, v26, 0, s3
	v_add_nc_u32_e32 v26, v26, v41
	s_delay_alu instid0(VALU_DEP_1) | instskip(NEXT) | instid1(VALU_DEP_1)
	v_mov_b32_dpp v27, v26 row_shr:2 row_mask:0xf bank_mask:0xf
	v_cndmask_b32_e64 v27, 0, v27, s5
	s_delay_alu instid0(VALU_DEP_1) | instskip(NEXT) | instid1(VALU_DEP_1)
	v_add_nc_u32_e32 v26, v26, v27
	v_mov_b32_dpp v27, v26 row_shr:4 row_mask:0xf bank_mask:0xf
	s_delay_alu instid0(VALU_DEP_1) | instskip(NEXT) | instid1(VALU_DEP_1)
	v_cndmask_b32_e64 v27, 0, v27, s6
	v_add_nc_u32_e32 v26, v26, v27
	s_delay_alu instid0(VALU_DEP_1) | instskip(NEXT) | instid1(VALU_DEP_1)
	v_mov_b32_dpp v27, v26 row_shr:8 row_mask:0xf bank_mask:0xf
	v_cndmask_b32_e64 v27, 0, v27, s4
	s_delay_alu instid0(VALU_DEP_1) | instskip(SKIP_3) | instid1(VALU_DEP_1)
	v_add_nc_u32_e32 v26, v26, v27
	ds_swizzle_b32 v27, v26 offset:swizzle(BROADCAST,32,15)
	s_wait_dscnt 0x0
	v_cndmask_b32_e64 v27, v27, 0, s1
	v_add_nc_u32_e32 v26, v26, v27
	s_and_saveexec_b32 s1, s0
; %bb.161:
	v_lshlrev_b32_e32 v27, 2, v40
	ds_store_b32 v27, v26
; %bb.162:
	s_or_b32 exec_lo, exec_lo, s1
	s_delay_alu instid0(SALU_CYCLE_1)
	s_mov_b32 s0, exec_lo
	s_wait_dscnt 0x0
	s_barrier_signal -1
	s_barrier_wait -1
	v_cmpx_gt_u32_e32 4, v0
	s_cbranch_execz .LBB1107_164
; %bb.163:
	v_dual_lshlrev_b32 v27, 2, v0 :: v_dual_bitop2_b32 v29, 3, v39 bitop3:0x40
	ds_load_b32 v28, v27
	v_cmp_ne_u32_e32 vcc_lo, 0, v29
	s_wait_dscnt 0x0
	v_mov_b32_dpp v30, v28 row_shr:1 row_mask:0xf bank_mask:0xf
	s_delay_alu instid0(VALU_DEP_1) | instskip(SKIP_1) | instid1(VALU_DEP_2)
	v_cndmask_b32_e32 v30, 0, v30, vcc_lo
	v_cmp_lt_u32_e32 vcc_lo, 1, v29
	v_add_nc_u32_e32 v28, v30, v28
	s_delay_alu instid0(VALU_DEP_1) | instskip(NEXT) | instid1(VALU_DEP_1)
	v_mov_b32_dpp v30, v28 row_shr:2 row_mask:0xf bank_mask:0xf
	v_cndmask_b32_e32 v29, 0, v30, vcc_lo
	s_delay_alu instid0(VALU_DEP_1)
	v_add_nc_u32_e32 v28, v28, v29
	ds_store_b32 v27, v28
.LBB1107_164:
	s_or_b32 exec_lo, exec_lo, s0
	v_dual_mov_b32 v27, 0 :: v_dual_mov_b32 v28, 0
	s_mov_b32 s0, exec_lo
	s_wait_dscnt 0x0
	s_barrier_signal -1
	s_barrier_wait -1
	v_cmpx_lt_u32_e32 31, v0
; %bb.165:
	v_lshl_add_u32 v28, v40, 2, -4
	ds_load_b32 v28, v28
; %bb.166:
	s_or_b32 exec_lo, exec_lo, s0
	v_sub_co_u32 v29, vcc_lo, v39, 1
	s_wait_dscnt 0x0
	v_add_nc_u32_e32 v26, v28, v26
	s_delay_alu instid0(VALU_DEP_2) | instskip(NEXT) | instid1(VALU_DEP_1)
	v_cmp_gt_i32_e64 s0, 0, v29
	v_cndmask_b32_e64 v29, v29, v39, s0
	s_delay_alu instid0(VALU_DEP_1)
	v_lshlrev_b32_e32 v29, 2, v29
	ds_bpermute_b32 v29, v29, v26
	ds_load_b32 v26, v27 offset:12
	s_and_saveexec_b32 s0, s2
	s_cbranch_execz .LBB1107_168
; %bb.167:
	v_dual_mov_b32 v30, 0 :: v_dual_mov_b32 v27, 2
	s_wait_dscnt 0x0
	global_store_b64 v30, v[26:27], s[10:11] offset:256 scope:SCOPE_DEV
.LBB1107_168:
	s_wait_xcnt 0x0
	s_or_b32 exec_lo, exec_lo, s0
	s_wait_dscnt 0x1
	v_cndmask_b32_e32 v27, v29, v28, vcc_lo
	s_wait_storecnt_dscnt 0x0
	s_barrier_signal -1
	s_barrier_wait -1
	s_delay_alu instid0(VALU_DEP_1) | instskip(NEXT) | instid1(VALU_DEP_1)
	v_cndmask_b32_e64 v42, v27, 0, s2
	v_dual_mov_b32 v28, 0 :: v_dual_add_nc_u32 v33, v42, v25
	s_delay_alu instid0(VALU_DEP_1) | instskip(NEXT) | instid1(VALU_DEP_1)
	v_add_nc_u32_e32 v32, v33, v36
	v_add_nc_u32_e32 v31, v32, v37
	s_delay_alu instid0(VALU_DEP_1)
	v_add_nc_u32_e32 v30, v31, v38
.LBB1107_169:
	s_delay_alu instid0(VALU_DEP_4)
	v_dual_add_nc_u32 v25, v28, v26 :: v_dual_bitop2_b32 v24, 1, v24 bitop3:0x40
	v_cmp_gt_u32_e64 s0, 0x81, v26
	s_mov_b32 s4, -1
	v_cmp_lt_u32_e64 s1, v42, v25
	v_cmp_eq_u32_e64 s3, 1, v24
	s_and_b32 vcc_lo, exec_lo, s0
	s_cbranch_vccz .LBB1107_181
; %bb.170:
	s_or_b32 s1, s29, s1
	s_delay_alu instid0(SALU_CYCLE_1) | instskip(NEXT) | instid1(SALU_CYCLE_1)
	s_and_b32 s3, s1, s3
	s_and_saveexec_b32 s1, s3
	s_cbranch_execz .LBB1107_172
; %bb.171:
	s_lshl_b64 s[4:5], s[14:15], 3
	s_delay_alu instid0(SALU_CYCLE_1)
	s_add_nc_u64 s[4:5], s[20:21], s[4:5]
	global_store_b64 v42, v[14:15], s[4:5] scale_offset
.LBB1107_172:
	s_wait_xcnt 0x0
	s_or_b32 exec_lo, exec_lo, s1
	v_and_b32_e32 v27, 1, v23
	v_cmp_lt_u32_e32 vcc_lo, v33, v25
	s_delay_alu instid0(VALU_DEP_2) | instskip(SKIP_1) | instid1(SALU_CYCLE_1)
	v_cmp_eq_u32_e64 s1, 1, v27
	s_or_b32 s3, s29, vcc_lo
	s_and_b32 s3, s3, s1
	s_delay_alu instid0(SALU_CYCLE_1)
	s_and_saveexec_b32 s1, s3
	s_cbranch_execz .LBB1107_174
; %bb.173:
	s_lshl_b64 s[4:5], s[14:15], 3
	s_delay_alu instid0(SALU_CYCLE_1)
	s_add_nc_u64 s[4:5], s[20:21], s[4:5]
	global_store_b64 v33, v[16:17], s[4:5] scale_offset
.LBB1107_174:
	s_wait_xcnt 0x0
	s_or_b32 exec_lo, exec_lo, s1
	v_and_b32_e32 v27, 1, v35
	v_cmp_lt_u32_e32 vcc_lo, v32, v25
	s_delay_alu instid0(VALU_DEP_2) | instskip(SKIP_1) | instid1(SALU_CYCLE_1)
	v_cmp_eq_u32_e64 s1, 1, v27
	s_or_b32 s3, s29, vcc_lo
	s_and_b32 s3, s3, s1
	s_delay_alu instid0(SALU_CYCLE_1)
	;; [unrolled: 17-line block ×4, first 2 shown]
	s_and_saveexec_b32 s1, s3
	s_cbranch_execz .LBB1107_180
; %bb.179:
	s_lshl_b64 s[4:5], s[14:15], 3
	s_delay_alu instid0(SALU_CYCLE_1)
	s_add_nc_u64 s[4:5], s[20:21], s[4:5]
	global_store_b64 v30, v[20:21], s[4:5] scale_offset
.LBB1107_180:
	s_wait_xcnt 0x0
	s_or_b32 exec_lo, exec_lo, s1
	s_mov_b32 s4, 0
.LBB1107_181:
	s_delay_alu instid0(SALU_CYCLE_1)
	s_and_b32 vcc_lo, exec_lo, s4
	s_cbranch_vccz .LBB1107_195
; %bb.182:
	s_mov_b32 s1, exec_lo
	v_cmpx_eq_u32_e32 1, v24
; %bb.183:
	v_sub_nc_u32_e32 v27, v42, v28
	s_delay_alu instid0(VALU_DEP_1)
	v_lshlrev_b32_e32 v27, 3, v27
	ds_store_b64 v27, v[14:15]
; %bb.184:
	s_or_b32 exec_lo, exec_lo, s1
	v_and_b32_e32 v14, 1, v23
	s_mov_b32 s1, exec_lo
	s_delay_alu instid0(VALU_DEP_1)
	v_cmpx_eq_u32_e32 1, v14
; %bb.185:
	v_sub_nc_u32_e32 v14, v33, v28
	s_delay_alu instid0(VALU_DEP_1)
	v_lshlrev_b32_e32 v14, 3, v14
	ds_store_b64 v14, v[16:17]
; %bb.186:
	s_or_b32 exec_lo, exec_lo, s1
	v_and_b32_e32 v14, 1, v35
	s_mov_b32 s1, exec_lo
	s_delay_alu instid0(VALU_DEP_1)
	;; [unrolled: 11-line block ×4, first 2 shown]
	v_cmpx_eq_u32_e32 1, v10
; %bb.191:
	v_sub_nc_u32_e32 v10, v30, v28
	s_delay_alu instid0(VALU_DEP_1)
	v_lshlrev_b32_e32 v10, 3, v10
	ds_store_b64 v10, v[20:21]
; %bb.192:
	s_or_b32 exec_lo, exec_lo, s1
	v_dual_mov_b32 v29, 0 :: v_dual_lshlrev_b32 v12, 3, v0
	s_lshl_b64 s[4:5], s[14:15], 3
	v_mov_b32_e32 v13, v0
	s_mov_b32 s1, 0
	s_delay_alu instid0(VALU_DEP_2) | instskip(SKIP_3) | instid1(VALU_DEP_1)
	v_lshlrev_b64_e32 v[10:11], 3, v[28:29]
	s_wait_storecnt_dscnt 0x0
	s_barrier_signal -1
	s_barrier_wait -1
	v_add_nc_u64_e32 v[10:11], s[20:21], v[10:11]
	s_delay_alu instid0(VALU_DEP_1)
	v_add_nc_u64_e32 v[10:11], s[4:5], v[10:11]
.LBB1107_193:                           ; =>This Inner Loop Header: Depth=1
	ds_load_b64 v[14:15], v12
	v_readfirstlane_b32 s4, v10
	v_readfirstlane_b32 s5, v11
	v_add_nc_u32_e32 v12, 0x400, v12
	s_wait_dscnt 0x0
	global_store_b64 v13, v[14:15], s[4:5] scale_offset
	s_wait_xcnt 0x0
	v_add_nc_u32_e32 v13, 0x80, v13
	s_delay_alu instid0(VALU_DEP_1) | instskip(SKIP_1) | instid1(SALU_CYCLE_1)
	v_cmp_ge_u32_e32 vcc_lo, v13, v26
	s_or_b32 s1, vcc_lo, s1
	s_and_not1_b32 exec_lo, exec_lo, s1
	s_cbranch_execnz .LBB1107_193
; %bb.194:
	s_or_b32 exec_lo, exec_lo, s1
.LBB1107_195:
	s_delay_alu instid0(SALU_CYCLE_1)
	s_and_b32 vcc_lo, exec_lo, s0
	s_mov_b32 s0, -1
	s_wait_storecnt 0x0
	s_barrier_signal -1
	s_barrier_wait -1
	s_cbranch_vccnz .LBB1107_199
; %bb.196:
	s_and_b32 vcc_lo, exec_lo, s0
	s_cbranch_vccnz .LBB1107_210
.LBB1107_197:
	s_and_b32 s0, s2, s28
	s_delay_alu instid0(SALU_CYCLE_1)
	s_and_saveexec_b32 s1, s0
	s_cbranch_execnz .LBB1107_223
.LBB1107_198:
	s_endpgm
.LBB1107_199:
	v_cmp_lt_u32_e32 vcc_lo, v42, v25
	v_cmp_eq_u32_e64 s0, 1, v24
	s_or_b32 s1, s29, vcc_lo
	s_delay_alu instid0(SALU_CYCLE_1) | instskip(NEXT) | instid1(SALU_CYCLE_1)
	s_and_b32 s1, s1, s0
	s_and_saveexec_b32 s0, s1
	s_cbranch_execz .LBB1107_201
; %bb.200:
	s_lshl_b64 s[4:5], s[14:15], 3
	s_delay_alu instid0(SALU_CYCLE_1)
	s_add_nc_u64 s[4:5], s[22:23], s[4:5]
	global_store_b64 v42, v[6:7], s[4:5] scale_offset
.LBB1107_201:
	s_wait_xcnt 0x0
	s_or_b32 exec_lo, exec_lo, s0
	v_and_b32_e32 v10, 1, v23
	v_cmp_lt_u32_e32 vcc_lo, v33, v25
	s_delay_alu instid0(VALU_DEP_2) | instskip(SKIP_1) | instid1(SALU_CYCLE_1)
	v_cmp_eq_u32_e64 s0, 1, v10
	s_or_b32 s1, s29, vcc_lo
	s_and_b32 s1, s1, s0
	s_delay_alu instid0(SALU_CYCLE_1)
	s_and_saveexec_b32 s0, s1
	s_cbranch_execz .LBB1107_203
; %bb.202:
	s_lshl_b64 s[4:5], s[14:15], 3
	s_delay_alu instid0(SALU_CYCLE_1)
	s_add_nc_u64 s[4:5], s[22:23], s[4:5]
	global_store_b64 v33, v[8:9], s[4:5] scale_offset
.LBB1107_203:
	s_wait_xcnt 0x0
	s_or_b32 exec_lo, exec_lo, s0
	v_and_b32_e32 v10, 1, v35
	v_cmp_lt_u32_e32 vcc_lo, v32, v25
	s_delay_alu instid0(VALU_DEP_2) | instskip(SKIP_1) | instid1(SALU_CYCLE_1)
	v_cmp_eq_u32_e64 s0, 1, v10
	s_or_b32 s1, s29, vcc_lo
	s_and_b32 s1, s1, s0
	s_delay_alu instid0(SALU_CYCLE_1)
	;; [unrolled: 17-line block ×4, first 2 shown]
	s_and_saveexec_b32 s0, s1
	s_cbranch_execz .LBB1107_209
; %bb.208:
	s_lshl_b64 s[4:5], s[14:15], 3
	s_delay_alu instid0(SALU_CYCLE_1)
	s_add_nc_u64 s[4:5], s[22:23], s[4:5]
	global_store_b64 v30, v[18:19], s[4:5] scale_offset
.LBB1107_209:
	s_wait_xcnt 0x0
	s_or_b32 exec_lo, exec_lo, s0
	s_branch .LBB1107_197
.LBB1107_210:
	s_mov_b32 s0, exec_lo
	v_cmpx_eq_u32_e32 1, v24
; %bb.211:
	v_sub_nc_u32_e32 v10, v42, v28
	s_delay_alu instid0(VALU_DEP_1)
	v_lshlrev_b32_e32 v10, 3, v10
	ds_store_b64 v10, v[6:7]
; %bb.212:
	s_or_b32 exec_lo, exec_lo, s0
	v_and_b32_e32 v6, 1, v23
	s_mov_b32 s0, exec_lo
	s_delay_alu instid0(VALU_DEP_1)
	v_cmpx_eq_u32_e32 1, v6
; %bb.213:
	v_sub_nc_u32_e32 v6, v33, v28
	s_delay_alu instid0(VALU_DEP_1)
	v_lshlrev_b32_e32 v6, 3, v6
	ds_store_b64 v6, v[8:9]
; %bb.214:
	s_or_b32 exec_lo, exec_lo, s0
	v_and_b32_e32 v6, 1, v35
	s_mov_b32 s0, exec_lo
	s_delay_alu instid0(VALU_DEP_1)
	;; [unrolled: 11-line block ×4, first 2 shown]
	v_cmpx_eq_u32_e32 1, v2
; %bb.219:
	v_sub_nc_u32_e32 v2, v30, v28
	s_delay_alu instid0(VALU_DEP_1)
	v_lshlrev_b32_e32 v2, 3, v2
	ds_store_b64 v2, v[18:19]
; %bb.220:
	s_or_b32 exec_lo, exec_lo, s0
	v_mov_b32_e32 v29, 0
	s_lshl_b64 s[0:1], s[14:15], 3
	s_wait_storecnt_dscnt 0x0
	s_barrier_signal -1
	s_barrier_wait -1
	v_lshlrev_b64_e32 v[2:3], 3, v[28:29]
	s_delay_alu instid0(VALU_DEP_1) | instskip(NEXT) | instid1(VALU_DEP_1)
	v_add_nc_u64_e32 v[2:3], s[22:23], v[2:3]
	v_add_nc_u64_e32 v[2:3], s[0:1], v[2:3]
	s_mov_b32 s0, 0
.LBB1107_221:                           ; =>This Inner Loop Header: Depth=1
	ds_load_b64 v[4:5], v1
	v_readfirstlane_b32 s4, v2
	v_readfirstlane_b32 s5, v3
	v_add_nc_u32_e32 v1, 0x400, v1
	s_wait_dscnt 0x0
	global_store_b64 v0, v[4:5], s[4:5] scale_offset
	s_wait_xcnt 0x0
	v_add_nc_u32_e32 v0, 0x80, v0
	s_delay_alu instid0(VALU_DEP_1) | instskip(SKIP_1) | instid1(SALU_CYCLE_1)
	v_cmp_ge_u32_e32 vcc_lo, v0, v26
	s_or_b32 s0, vcc_lo, s0
	s_and_not1_b32 exec_lo, exec_lo, s0
	s_cbranch_execnz .LBB1107_221
; %bb.222:
	s_or_b32 exec_lo, exec_lo, s0
	s_and_b32 s0, s2, s28
	s_delay_alu instid0(SALU_CYCLE_1)
	s_and_saveexec_b32 s1, s0
	s_cbranch_execz .LBB1107_198
.LBB1107_223:
	v_mov_b32_e32 v27, 0
	s_delay_alu instid0(VALU_DEP_1) | instskip(SKIP_1) | instid1(VALU_DEP_1)
	v_add_nc_u64_e32 v[0:1], s[14:15], v[26:27]
	v_mov_b32_e32 v29, v27
	v_add_nc_u64_e32 v[0:1], v[0:1], v[28:29]
	global_store_b64 v27, v[0:1], s[12:13]
	s_endpgm
	.section	.rodata,"a",@progbits
	.p2align	6, 0x0
	.amdhsa_kernel _ZN7rocprim17ROCPRIM_400000_NS6detail17trampoline_kernelINS0_14default_configENS1_25partition_config_selectorILNS1_17partition_subalgoE9EllbEEZZNS1_14partition_implILS5_9ELb0ES3_jPlS8_PNS0_10empty_typeENS0_5tupleIJS8_S9_EEENSB_IJS8_SA_EEENS0_18inequality_wrapperIZN2at6native12_GLOBAL__N_124unique_dim_cuda_templateIbEESt5tupleIJNSF_6TensorESK_SK_EERKSK_lbbbEUlllE0_EEPmJS9_EEE10hipError_tPvRmT3_T4_T5_T6_T7_T9_mT8_P12ihipStream_tbDpT10_ENKUlT_T0_E_clISt17integral_constantIbLb0EES19_IbLb1EEEEDaS15_S16_EUlS15_E_NS1_11comp_targetILNS1_3genE0ELNS1_11target_archE4294967295ELNS1_3gpuE0ELNS1_3repE0EEENS1_30default_config_static_selectorELNS0_4arch9wavefront6targetE0EEEvT1_
		.amdhsa_group_segment_fixed_size 5128
		.amdhsa_private_segment_fixed_size 0
		.amdhsa_kernarg_size 136
		.amdhsa_user_sgpr_count 2
		.amdhsa_user_sgpr_dispatch_ptr 0
		.amdhsa_user_sgpr_queue_ptr 0
		.amdhsa_user_sgpr_kernarg_segment_ptr 1
		.amdhsa_user_sgpr_dispatch_id 0
		.amdhsa_user_sgpr_kernarg_preload_length 0
		.amdhsa_user_sgpr_kernarg_preload_offset 0
		.amdhsa_user_sgpr_private_segment_size 0
		.amdhsa_wavefront_size32 1
		.amdhsa_uses_dynamic_stack 0
		.amdhsa_enable_private_segment 0
		.amdhsa_system_sgpr_workgroup_id_x 1
		.amdhsa_system_sgpr_workgroup_id_y 0
		.amdhsa_system_sgpr_workgroup_id_z 0
		.amdhsa_system_sgpr_workgroup_info 0
		.amdhsa_system_vgpr_workitem_id 0
		.amdhsa_next_free_vgpr 55
		.amdhsa_next_free_sgpr 36
		.amdhsa_named_barrier_count 0
		.amdhsa_reserve_vcc 1
		.amdhsa_float_round_mode_32 0
		.amdhsa_float_round_mode_16_64 0
		.amdhsa_float_denorm_mode_32 3
		.amdhsa_float_denorm_mode_16_64 3
		.amdhsa_fp16_overflow 0
		.amdhsa_memory_ordered 1
		.amdhsa_forward_progress 1
		.amdhsa_inst_pref_size 78
		.amdhsa_round_robin_scheduling 0
		.amdhsa_exception_fp_ieee_invalid_op 0
		.amdhsa_exception_fp_denorm_src 0
		.amdhsa_exception_fp_ieee_div_zero 0
		.amdhsa_exception_fp_ieee_overflow 0
		.amdhsa_exception_fp_ieee_underflow 0
		.amdhsa_exception_fp_ieee_inexact 0
		.amdhsa_exception_int_div_zero 0
	.end_amdhsa_kernel
	.section	.text._ZN7rocprim17ROCPRIM_400000_NS6detail17trampoline_kernelINS0_14default_configENS1_25partition_config_selectorILNS1_17partition_subalgoE9EllbEEZZNS1_14partition_implILS5_9ELb0ES3_jPlS8_PNS0_10empty_typeENS0_5tupleIJS8_S9_EEENSB_IJS8_SA_EEENS0_18inequality_wrapperIZN2at6native12_GLOBAL__N_124unique_dim_cuda_templateIbEESt5tupleIJNSF_6TensorESK_SK_EERKSK_lbbbEUlllE0_EEPmJS9_EEE10hipError_tPvRmT3_T4_T5_T6_T7_T9_mT8_P12ihipStream_tbDpT10_ENKUlT_T0_E_clISt17integral_constantIbLb0EES19_IbLb1EEEEDaS15_S16_EUlS15_E_NS1_11comp_targetILNS1_3genE0ELNS1_11target_archE4294967295ELNS1_3gpuE0ELNS1_3repE0EEENS1_30default_config_static_selectorELNS0_4arch9wavefront6targetE0EEEvT1_,"axG",@progbits,_ZN7rocprim17ROCPRIM_400000_NS6detail17trampoline_kernelINS0_14default_configENS1_25partition_config_selectorILNS1_17partition_subalgoE9EllbEEZZNS1_14partition_implILS5_9ELb0ES3_jPlS8_PNS0_10empty_typeENS0_5tupleIJS8_S9_EEENSB_IJS8_SA_EEENS0_18inequality_wrapperIZN2at6native12_GLOBAL__N_124unique_dim_cuda_templateIbEESt5tupleIJNSF_6TensorESK_SK_EERKSK_lbbbEUlllE0_EEPmJS9_EEE10hipError_tPvRmT3_T4_T5_T6_T7_T9_mT8_P12ihipStream_tbDpT10_ENKUlT_T0_E_clISt17integral_constantIbLb0EES19_IbLb1EEEEDaS15_S16_EUlS15_E_NS1_11comp_targetILNS1_3genE0ELNS1_11target_archE4294967295ELNS1_3gpuE0ELNS1_3repE0EEENS1_30default_config_static_selectorELNS0_4arch9wavefront6targetE0EEEvT1_,comdat
.Lfunc_end1107:
	.size	_ZN7rocprim17ROCPRIM_400000_NS6detail17trampoline_kernelINS0_14default_configENS1_25partition_config_selectorILNS1_17partition_subalgoE9EllbEEZZNS1_14partition_implILS5_9ELb0ES3_jPlS8_PNS0_10empty_typeENS0_5tupleIJS8_S9_EEENSB_IJS8_SA_EEENS0_18inequality_wrapperIZN2at6native12_GLOBAL__N_124unique_dim_cuda_templateIbEESt5tupleIJNSF_6TensorESK_SK_EERKSK_lbbbEUlllE0_EEPmJS9_EEE10hipError_tPvRmT3_T4_T5_T6_T7_T9_mT8_P12ihipStream_tbDpT10_ENKUlT_T0_E_clISt17integral_constantIbLb0EES19_IbLb1EEEEDaS15_S16_EUlS15_E_NS1_11comp_targetILNS1_3genE0ELNS1_11target_archE4294967295ELNS1_3gpuE0ELNS1_3repE0EEENS1_30default_config_static_selectorELNS0_4arch9wavefront6targetE0EEEvT1_, .Lfunc_end1107-_ZN7rocprim17ROCPRIM_400000_NS6detail17trampoline_kernelINS0_14default_configENS1_25partition_config_selectorILNS1_17partition_subalgoE9EllbEEZZNS1_14partition_implILS5_9ELb0ES3_jPlS8_PNS0_10empty_typeENS0_5tupleIJS8_S9_EEENSB_IJS8_SA_EEENS0_18inequality_wrapperIZN2at6native12_GLOBAL__N_124unique_dim_cuda_templateIbEESt5tupleIJNSF_6TensorESK_SK_EERKSK_lbbbEUlllE0_EEPmJS9_EEE10hipError_tPvRmT3_T4_T5_T6_T7_T9_mT8_P12ihipStream_tbDpT10_ENKUlT_T0_E_clISt17integral_constantIbLb0EES19_IbLb1EEEEDaS15_S16_EUlS15_E_NS1_11comp_targetILNS1_3genE0ELNS1_11target_archE4294967295ELNS1_3gpuE0ELNS1_3repE0EEENS1_30default_config_static_selectorELNS0_4arch9wavefront6targetE0EEEvT1_
                                        ; -- End function
	.set _ZN7rocprim17ROCPRIM_400000_NS6detail17trampoline_kernelINS0_14default_configENS1_25partition_config_selectorILNS1_17partition_subalgoE9EllbEEZZNS1_14partition_implILS5_9ELb0ES3_jPlS8_PNS0_10empty_typeENS0_5tupleIJS8_S9_EEENSB_IJS8_SA_EEENS0_18inequality_wrapperIZN2at6native12_GLOBAL__N_124unique_dim_cuda_templateIbEESt5tupleIJNSF_6TensorESK_SK_EERKSK_lbbbEUlllE0_EEPmJS9_EEE10hipError_tPvRmT3_T4_T5_T6_T7_T9_mT8_P12ihipStream_tbDpT10_ENKUlT_T0_E_clISt17integral_constantIbLb0EES19_IbLb1EEEEDaS15_S16_EUlS15_E_NS1_11comp_targetILNS1_3genE0ELNS1_11target_archE4294967295ELNS1_3gpuE0ELNS1_3repE0EEENS1_30default_config_static_selectorELNS0_4arch9wavefront6targetE0EEEvT1_.num_vgpr, 55
	.set _ZN7rocprim17ROCPRIM_400000_NS6detail17trampoline_kernelINS0_14default_configENS1_25partition_config_selectorILNS1_17partition_subalgoE9EllbEEZZNS1_14partition_implILS5_9ELb0ES3_jPlS8_PNS0_10empty_typeENS0_5tupleIJS8_S9_EEENSB_IJS8_SA_EEENS0_18inequality_wrapperIZN2at6native12_GLOBAL__N_124unique_dim_cuda_templateIbEESt5tupleIJNSF_6TensorESK_SK_EERKSK_lbbbEUlllE0_EEPmJS9_EEE10hipError_tPvRmT3_T4_T5_T6_T7_T9_mT8_P12ihipStream_tbDpT10_ENKUlT_T0_E_clISt17integral_constantIbLb0EES19_IbLb1EEEEDaS15_S16_EUlS15_E_NS1_11comp_targetILNS1_3genE0ELNS1_11target_archE4294967295ELNS1_3gpuE0ELNS1_3repE0EEENS1_30default_config_static_selectorELNS0_4arch9wavefront6targetE0EEEvT1_.num_agpr, 0
	.set _ZN7rocprim17ROCPRIM_400000_NS6detail17trampoline_kernelINS0_14default_configENS1_25partition_config_selectorILNS1_17partition_subalgoE9EllbEEZZNS1_14partition_implILS5_9ELb0ES3_jPlS8_PNS0_10empty_typeENS0_5tupleIJS8_S9_EEENSB_IJS8_SA_EEENS0_18inequality_wrapperIZN2at6native12_GLOBAL__N_124unique_dim_cuda_templateIbEESt5tupleIJNSF_6TensorESK_SK_EERKSK_lbbbEUlllE0_EEPmJS9_EEE10hipError_tPvRmT3_T4_T5_T6_T7_T9_mT8_P12ihipStream_tbDpT10_ENKUlT_T0_E_clISt17integral_constantIbLb0EES19_IbLb1EEEEDaS15_S16_EUlS15_E_NS1_11comp_targetILNS1_3genE0ELNS1_11target_archE4294967295ELNS1_3gpuE0ELNS1_3repE0EEENS1_30default_config_static_selectorELNS0_4arch9wavefront6targetE0EEEvT1_.numbered_sgpr, 36
	.set _ZN7rocprim17ROCPRIM_400000_NS6detail17trampoline_kernelINS0_14default_configENS1_25partition_config_selectorILNS1_17partition_subalgoE9EllbEEZZNS1_14partition_implILS5_9ELb0ES3_jPlS8_PNS0_10empty_typeENS0_5tupleIJS8_S9_EEENSB_IJS8_SA_EEENS0_18inequality_wrapperIZN2at6native12_GLOBAL__N_124unique_dim_cuda_templateIbEESt5tupleIJNSF_6TensorESK_SK_EERKSK_lbbbEUlllE0_EEPmJS9_EEE10hipError_tPvRmT3_T4_T5_T6_T7_T9_mT8_P12ihipStream_tbDpT10_ENKUlT_T0_E_clISt17integral_constantIbLb0EES19_IbLb1EEEEDaS15_S16_EUlS15_E_NS1_11comp_targetILNS1_3genE0ELNS1_11target_archE4294967295ELNS1_3gpuE0ELNS1_3repE0EEENS1_30default_config_static_selectorELNS0_4arch9wavefront6targetE0EEEvT1_.num_named_barrier, 0
	.set _ZN7rocprim17ROCPRIM_400000_NS6detail17trampoline_kernelINS0_14default_configENS1_25partition_config_selectorILNS1_17partition_subalgoE9EllbEEZZNS1_14partition_implILS5_9ELb0ES3_jPlS8_PNS0_10empty_typeENS0_5tupleIJS8_S9_EEENSB_IJS8_SA_EEENS0_18inequality_wrapperIZN2at6native12_GLOBAL__N_124unique_dim_cuda_templateIbEESt5tupleIJNSF_6TensorESK_SK_EERKSK_lbbbEUlllE0_EEPmJS9_EEE10hipError_tPvRmT3_T4_T5_T6_T7_T9_mT8_P12ihipStream_tbDpT10_ENKUlT_T0_E_clISt17integral_constantIbLb0EES19_IbLb1EEEEDaS15_S16_EUlS15_E_NS1_11comp_targetILNS1_3genE0ELNS1_11target_archE4294967295ELNS1_3gpuE0ELNS1_3repE0EEENS1_30default_config_static_selectorELNS0_4arch9wavefront6targetE0EEEvT1_.private_seg_size, 0
	.set _ZN7rocprim17ROCPRIM_400000_NS6detail17trampoline_kernelINS0_14default_configENS1_25partition_config_selectorILNS1_17partition_subalgoE9EllbEEZZNS1_14partition_implILS5_9ELb0ES3_jPlS8_PNS0_10empty_typeENS0_5tupleIJS8_S9_EEENSB_IJS8_SA_EEENS0_18inequality_wrapperIZN2at6native12_GLOBAL__N_124unique_dim_cuda_templateIbEESt5tupleIJNSF_6TensorESK_SK_EERKSK_lbbbEUlllE0_EEPmJS9_EEE10hipError_tPvRmT3_T4_T5_T6_T7_T9_mT8_P12ihipStream_tbDpT10_ENKUlT_T0_E_clISt17integral_constantIbLb0EES19_IbLb1EEEEDaS15_S16_EUlS15_E_NS1_11comp_targetILNS1_3genE0ELNS1_11target_archE4294967295ELNS1_3gpuE0ELNS1_3repE0EEENS1_30default_config_static_selectorELNS0_4arch9wavefront6targetE0EEEvT1_.uses_vcc, 1
	.set _ZN7rocprim17ROCPRIM_400000_NS6detail17trampoline_kernelINS0_14default_configENS1_25partition_config_selectorILNS1_17partition_subalgoE9EllbEEZZNS1_14partition_implILS5_9ELb0ES3_jPlS8_PNS0_10empty_typeENS0_5tupleIJS8_S9_EEENSB_IJS8_SA_EEENS0_18inequality_wrapperIZN2at6native12_GLOBAL__N_124unique_dim_cuda_templateIbEESt5tupleIJNSF_6TensorESK_SK_EERKSK_lbbbEUlllE0_EEPmJS9_EEE10hipError_tPvRmT3_T4_T5_T6_T7_T9_mT8_P12ihipStream_tbDpT10_ENKUlT_T0_E_clISt17integral_constantIbLb0EES19_IbLb1EEEEDaS15_S16_EUlS15_E_NS1_11comp_targetILNS1_3genE0ELNS1_11target_archE4294967295ELNS1_3gpuE0ELNS1_3repE0EEENS1_30default_config_static_selectorELNS0_4arch9wavefront6targetE0EEEvT1_.uses_flat_scratch, 0
	.set _ZN7rocprim17ROCPRIM_400000_NS6detail17trampoline_kernelINS0_14default_configENS1_25partition_config_selectorILNS1_17partition_subalgoE9EllbEEZZNS1_14partition_implILS5_9ELb0ES3_jPlS8_PNS0_10empty_typeENS0_5tupleIJS8_S9_EEENSB_IJS8_SA_EEENS0_18inequality_wrapperIZN2at6native12_GLOBAL__N_124unique_dim_cuda_templateIbEESt5tupleIJNSF_6TensorESK_SK_EERKSK_lbbbEUlllE0_EEPmJS9_EEE10hipError_tPvRmT3_T4_T5_T6_T7_T9_mT8_P12ihipStream_tbDpT10_ENKUlT_T0_E_clISt17integral_constantIbLb0EES19_IbLb1EEEEDaS15_S16_EUlS15_E_NS1_11comp_targetILNS1_3genE0ELNS1_11target_archE4294967295ELNS1_3gpuE0ELNS1_3repE0EEENS1_30default_config_static_selectorELNS0_4arch9wavefront6targetE0EEEvT1_.has_dyn_sized_stack, 0
	.set _ZN7rocprim17ROCPRIM_400000_NS6detail17trampoline_kernelINS0_14default_configENS1_25partition_config_selectorILNS1_17partition_subalgoE9EllbEEZZNS1_14partition_implILS5_9ELb0ES3_jPlS8_PNS0_10empty_typeENS0_5tupleIJS8_S9_EEENSB_IJS8_SA_EEENS0_18inequality_wrapperIZN2at6native12_GLOBAL__N_124unique_dim_cuda_templateIbEESt5tupleIJNSF_6TensorESK_SK_EERKSK_lbbbEUlllE0_EEPmJS9_EEE10hipError_tPvRmT3_T4_T5_T6_T7_T9_mT8_P12ihipStream_tbDpT10_ENKUlT_T0_E_clISt17integral_constantIbLb0EES19_IbLb1EEEEDaS15_S16_EUlS15_E_NS1_11comp_targetILNS1_3genE0ELNS1_11target_archE4294967295ELNS1_3gpuE0ELNS1_3repE0EEENS1_30default_config_static_selectorELNS0_4arch9wavefront6targetE0EEEvT1_.has_recursion, 0
	.set _ZN7rocprim17ROCPRIM_400000_NS6detail17trampoline_kernelINS0_14default_configENS1_25partition_config_selectorILNS1_17partition_subalgoE9EllbEEZZNS1_14partition_implILS5_9ELb0ES3_jPlS8_PNS0_10empty_typeENS0_5tupleIJS8_S9_EEENSB_IJS8_SA_EEENS0_18inequality_wrapperIZN2at6native12_GLOBAL__N_124unique_dim_cuda_templateIbEESt5tupleIJNSF_6TensorESK_SK_EERKSK_lbbbEUlllE0_EEPmJS9_EEE10hipError_tPvRmT3_T4_T5_T6_T7_T9_mT8_P12ihipStream_tbDpT10_ENKUlT_T0_E_clISt17integral_constantIbLb0EES19_IbLb1EEEEDaS15_S16_EUlS15_E_NS1_11comp_targetILNS1_3genE0ELNS1_11target_archE4294967295ELNS1_3gpuE0ELNS1_3repE0EEENS1_30default_config_static_selectorELNS0_4arch9wavefront6targetE0EEEvT1_.has_indirect_call, 0
	.section	.AMDGPU.csdata,"",@progbits
; Kernel info:
; codeLenInByte = 9944
; TotalNumSgprs: 38
; NumVgprs: 55
; ScratchSize: 0
; MemoryBound: 0
; FloatMode: 240
; IeeeMode: 1
; LDSByteSize: 5128 bytes/workgroup (compile time only)
; SGPRBlocks: 0
; VGPRBlocks: 3
; NumSGPRsForWavesPerEU: 38
; NumVGPRsForWavesPerEU: 55
; NamedBarCnt: 0
; Occupancy: 16
; WaveLimiterHint : 1
; COMPUTE_PGM_RSRC2:SCRATCH_EN: 0
; COMPUTE_PGM_RSRC2:USER_SGPR: 2
; COMPUTE_PGM_RSRC2:TRAP_HANDLER: 0
; COMPUTE_PGM_RSRC2:TGID_X_EN: 1
; COMPUTE_PGM_RSRC2:TGID_Y_EN: 0
; COMPUTE_PGM_RSRC2:TGID_Z_EN: 0
; COMPUTE_PGM_RSRC2:TIDIG_COMP_CNT: 0
	.section	.text._ZN7rocprim17ROCPRIM_400000_NS6detail17trampoline_kernelINS0_14default_configENS1_25partition_config_selectorILNS1_17partition_subalgoE9EllbEEZZNS1_14partition_implILS5_9ELb0ES3_jPlS8_PNS0_10empty_typeENS0_5tupleIJS8_S9_EEENSB_IJS8_SA_EEENS0_18inequality_wrapperIZN2at6native12_GLOBAL__N_124unique_dim_cuda_templateIbEESt5tupleIJNSF_6TensorESK_SK_EERKSK_lbbbEUlllE0_EEPmJS9_EEE10hipError_tPvRmT3_T4_T5_T6_T7_T9_mT8_P12ihipStream_tbDpT10_ENKUlT_T0_E_clISt17integral_constantIbLb0EES19_IbLb1EEEEDaS15_S16_EUlS15_E_NS1_11comp_targetILNS1_3genE5ELNS1_11target_archE942ELNS1_3gpuE9ELNS1_3repE0EEENS1_30default_config_static_selectorELNS0_4arch9wavefront6targetE0EEEvT1_,"axG",@progbits,_ZN7rocprim17ROCPRIM_400000_NS6detail17trampoline_kernelINS0_14default_configENS1_25partition_config_selectorILNS1_17partition_subalgoE9EllbEEZZNS1_14partition_implILS5_9ELb0ES3_jPlS8_PNS0_10empty_typeENS0_5tupleIJS8_S9_EEENSB_IJS8_SA_EEENS0_18inequality_wrapperIZN2at6native12_GLOBAL__N_124unique_dim_cuda_templateIbEESt5tupleIJNSF_6TensorESK_SK_EERKSK_lbbbEUlllE0_EEPmJS9_EEE10hipError_tPvRmT3_T4_T5_T6_T7_T9_mT8_P12ihipStream_tbDpT10_ENKUlT_T0_E_clISt17integral_constantIbLb0EES19_IbLb1EEEEDaS15_S16_EUlS15_E_NS1_11comp_targetILNS1_3genE5ELNS1_11target_archE942ELNS1_3gpuE9ELNS1_3repE0EEENS1_30default_config_static_selectorELNS0_4arch9wavefront6targetE0EEEvT1_,comdat
	.globl	_ZN7rocprim17ROCPRIM_400000_NS6detail17trampoline_kernelINS0_14default_configENS1_25partition_config_selectorILNS1_17partition_subalgoE9EllbEEZZNS1_14partition_implILS5_9ELb0ES3_jPlS8_PNS0_10empty_typeENS0_5tupleIJS8_S9_EEENSB_IJS8_SA_EEENS0_18inequality_wrapperIZN2at6native12_GLOBAL__N_124unique_dim_cuda_templateIbEESt5tupleIJNSF_6TensorESK_SK_EERKSK_lbbbEUlllE0_EEPmJS9_EEE10hipError_tPvRmT3_T4_T5_T6_T7_T9_mT8_P12ihipStream_tbDpT10_ENKUlT_T0_E_clISt17integral_constantIbLb0EES19_IbLb1EEEEDaS15_S16_EUlS15_E_NS1_11comp_targetILNS1_3genE5ELNS1_11target_archE942ELNS1_3gpuE9ELNS1_3repE0EEENS1_30default_config_static_selectorELNS0_4arch9wavefront6targetE0EEEvT1_ ; -- Begin function _ZN7rocprim17ROCPRIM_400000_NS6detail17trampoline_kernelINS0_14default_configENS1_25partition_config_selectorILNS1_17partition_subalgoE9EllbEEZZNS1_14partition_implILS5_9ELb0ES3_jPlS8_PNS0_10empty_typeENS0_5tupleIJS8_S9_EEENSB_IJS8_SA_EEENS0_18inequality_wrapperIZN2at6native12_GLOBAL__N_124unique_dim_cuda_templateIbEESt5tupleIJNSF_6TensorESK_SK_EERKSK_lbbbEUlllE0_EEPmJS9_EEE10hipError_tPvRmT3_T4_T5_T6_T7_T9_mT8_P12ihipStream_tbDpT10_ENKUlT_T0_E_clISt17integral_constantIbLb0EES19_IbLb1EEEEDaS15_S16_EUlS15_E_NS1_11comp_targetILNS1_3genE5ELNS1_11target_archE942ELNS1_3gpuE9ELNS1_3repE0EEENS1_30default_config_static_selectorELNS0_4arch9wavefront6targetE0EEEvT1_
	.p2align	8
	.type	_ZN7rocprim17ROCPRIM_400000_NS6detail17trampoline_kernelINS0_14default_configENS1_25partition_config_selectorILNS1_17partition_subalgoE9EllbEEZZNS1_14partition_implILS5_9ELb0ES3_jPlS8_PNS0_10empty_typeENS0_5tupleIJS8_S9_EEENSB_IJS8_SA_EEENS0_18inequality_wrapperIZN2at6native12_GLOBAL__N_124unique_dim_cuda_templateIbEESt5tupleIJNSF_6TensorESK_SK_EERKSK_lbbbEUlllE0_EEPmJS9_EEE10hipError_tPvRmT3_T4_T5_T6_T7_T9_mT8_P12ihipStream_tbDpT10_ENKUlT_T0_E_clISt17integral_constantIbLb0EES19_IbLb1EEEEDaS15_S16_EUlS15_E_NS1_11comp_targetILNS1_3genE5ELNS1_11target_archE942ELNS1_3gpuE9ELNS1_3repE0EEENS1_30default_config_static_selectorELNS0_4arch9wavefront6targetE0EEEvT1_,@function
_ZN7rocprim17ROCPRIM_400000_NS6detail17trampoline_kernelINS0_14default_configENS1_25partition_config_selectorILNS1_17partition_subalgoE9EllbEEZZNS1_14partition_implILS5_9ELb0ES3_jPlS8_PNS0_10empty_typeENS0_5tupleIJS8_S9_EEENSB_IJS8_SA_EEENS0_18inequality_wrapperIZN2at6native12_GLOBAL__N_124unique_dim_cuda_templateIbEESt5tupleIJNSF_6TensorESK_SK_EERKSK_lbbbEUlllE0_EEPmJS9_EEE10hipError_tPvRmT3_T4_T5_T6_T7_T9_mT8_P12ihipStream_tbDpT10_ENKUlT_T0_E_clISt17integral_constantIbLb0EES19_IbLb1EEEEDaS15_S16_EUlS15_E_NS1_11comp_targetILNS1_3genE5ELNS1_11target_archE942ELNS1_3gpuE9ELNS1_3repE0EEENS1_30default_config_static_selectorELNS0_4arch9wavefront6targetE0EEEvT1_: ; @_ZN7rocprim17ROCPRIM_400000_NS6detail17trampoline_kernelINS0_14default_configENS1_25partition_config_selectorILNS1_17partition_subalgoE9EllbEEZZNS1_14partition_implILS5_9ELb0ES3_jPlS8_PNS0_10empty_typeENS0_5tupleIJS8_S9_EEENSB_IJS8_SA_EEENS0_18inequality_wrapperIZN2at6native12_GLOBAL__N_124unique_dim_cuda_templateIbEESt5tupleIJNSF_6TensorESK_SK_EERKSK_lbbbEUlllE0_EEPmJS9_EEE10hipError_tPvRmT3_T4_T5_T6_T7_T9_mT8_P12ihipStream_tbDpT10_ENKUlT_T0_E_clISt17integral_constantIbLb0EES19_IbLb1EEEEDaS15_S16_EUlS15_E_NS1_11comp_targetILNS1_3genE5ELNS1_11target_archE942ELNS1_3gpuE9ELNS1_3repE0EEENS1_30default_config_static_selectorELNS0_4arch9wavefront6targetE0EEEvT1_
; %bb.0:
	.section	.rodata,"a",@progbits
	.p2align	6, 0x0
	.amdhsa_kernel _ZN7rocprim17ROCPRIM_400000_NS6detail17trampoline_kernelINS0_14default_configENS1_25partition_config_selectorILNS1_17partition_subalgoE9EllbEEZZNS1_14partition_implILS5_9ELb0ES3_jPlS8_PNS0_10empty_typeENS0_5tupleIJS8_S9_EEENSB_IJS8_SA_EEENS0_18inequality_wrapperIZN2at6native12_GLOBAL__N_124unique_dim_cuda_templateIbEESt5tupleIJNSF_6TensorESK_SK_EERKSK_lbbbEUlllE0_EEPmJS9_EEE10hipError_tPvRmT3_T4_T5_T6_T7_T9_mT8_P12ihipStream_tbDpT10_ENKUlT_T0_E_clISt17integral_constantIbLb0EES19_IbLb1EEEEDaS15_S16_EUlS15_E_NS1_11comp_targetILNS1_3genE5ELNS1_11target_archE942ELNS1_3gpuE9ELNS1_3repE0EEENS1_30default_config_static_selectorELNS0_4arch9wavefront6targetE0EEEvT1_
		.amdhsa_group_segment_fixed_size 0
		.amdhsa_private_segment_fixed_size 0
		.amdhsa_kernarg_size 136
		.amdhsa_user_sgpr_count 2
		.amdhsa_user_sgpr_dispatch_ptr 0
		.amdhsa_user_sgpr_queue_ptr 0
		.amdhsa_user_sgpr_kernarg_segment_ptr 1
		.amdhsa_user_sgpr_dispatch_id 0
		.amdhsa_user_sgpr_kernarg_preload_length 0
		.amdhsa_user_sgpr_kernarg_preload_offset 0
		.amdhsa_user_sgpr_private_segment_size 0
		.amdhsa_wavefront_size32 1
		.amdhsa_uses_dynamic_stack 0
		.amdhsa_enable_private_segment 0
		.amdhsa_system_sgpr_workgroup_id_x 1
		.amdhsa_system_sgpr_workgroup_id_y 0
		.amdhsa_system_sgpr_workgroup_id_z 0
		.amdhsa_system_sgpr_workgroup_info 0
		.amdhsa_system_vgpr_workitem_id 0
		.amdhsa_next_free_vgpr 1
		.amdhsa_next_free_sgpr 1
		.amdhsa_named_barrier_count 0
		.amdhsa_reserve_vcc 0
		.amdhsa_float_round_mode_32 0
		.amdhsa_float_round_mode_16_64 0
		.amdhsa_float_denorm_mode_32 3
		.amdhsa_float_denorm_mode_16_64 3
		.amdhsa_fp16_overflow 0
		.amdhsa_memory_ordered 1
		.amdhsa_forward_progress 1
		.amdhsa_inst_pref_size 0
		.amdhsa_round_robin_scheduling 0
		.amdhsa_exception_fp_ieee_invalid_op 0
		.amdhsa_exception_fp_denorm_src 0
		.amdhsa_exception_fp_ieee_div_zero 0
		.amdhsa_exception_fp_ieee_overflow 0
		.amdhsa_exception_fp_ieee_underflow 0
		.amdhsa_exception_fp_ieee_inexact 0
		.amdhsa_exception_int_div_zero 0
	.end_amdhsa_kernel
	.section	.text._ZN7rocprim17ROCPRIM_400000_NS6detail17trampoline_kernelINS0_14default_configENS1_25partition_config_selectorILNS1_17partition_subalgoE9EllbEEZZNS1_14partition_implILS5_9ELb0ES3_jPlS8_PNS0_10empty_typeENS0_5tupleIJS8_S9_EEENSB_IJS8_SA_EEENS0_18inequality_wrapperIZN2at6native12_GLOBAL__N_124unique_dim_cuda_templateIbEESt5tupleIJNSF_6TensorESK_SK_EERKSK_lbbbEUlllE0_EEPmJS9_EEE10hipError_tPvRmT3_T4_T5_T6_T7_T9_mT8_P12ihipStream_tbDpT10_ENKUlT_T0_E_clISt17integral_constantIbLb0EES19_IbLb1EEEEDaS15_S16_EUlS15_E_NS1_11comp_targetILNS1_3genE5ELNS1_11target_archE942ELNS1_3gpuE9ELNS1_3repE0EEENS1_30default_config_static_selectorELNS0_4arch9wavefront6targetE0EEEvT1_,"axG",@progbits,_ZN7rocprim17ROCPRIM_400000_NS6detail17trampoline_kernelINS0_14default_configENS1_25partition_config_selectorILNS1_17partition_subalgoE9EllbEEZZNS1_14partition_implILS5_9ELb0ES3_jPlS8_PNS0_10empty_typeENS0_5tupleIJS8_S9_EEENSB_IJS8_SA_EEENS0_18inequality_wrapperIZN2at6native12_GLOBAL__N_124unique_dim_cuda_templateIbEESt5tupleIJNSF_6TensorESK_SK_EERKSK_lbbbEUlllE0_EEPmJS9_EEE10hipError_tPvRmT3_T4_T5_T6_T7_T9_mT8_P12ihipStream_tbDpT10_ENKUlT_T0_E_clISt17integral_constantIbLb0EES19_IbLb1EEEEDaS15_S16_EUlS15_E_NS1_11comp_targetILNS1_3genE5ELNS1_11target_archE942ELNS1_3gpuE9ELNS1_3repE0EEENS1_30default_config_static_selectorELNS0_4arch9wavefront6targetE0EEEvT1_,comdat
.Lfunc_end1108:
	.size	_ZN7rocprim17ROCPRIM_400000_NS6detail17trampoline_kernelINS0_14default_configENS1_25partition_config_selectorILNS1_17partition_subalgoE9EllbEEZZNS1_14partition_implILS5_9ELb0ES3_jPlS8_PNS0_10empty_typeENS0_5tupleIJS8_S9_EEENSB_IJS8_SA_EEENS0_18inequality_wrapperIZN2at6native12_GLOBAL__N_124unique_dim_cuda_templateIbEESt5tupleIJNSF_6TensorESK_SK_EERKSK_lbbbEUlllE0_EEPmJS9_EEE10hipError_tPvRmT3_T4_T5_T6_T7_T9_mT8_P12ihipStream_tbDpT10_ENKUlT_T0_E_clISt17integral_constantIbLb0EES19_IbLb1EEEEDaS15_S16_EUlS15_E_NS1_11comp_targetILNS1_3genE5ELNS1_11target_archE942ELNS1_3gpuE9ELNS1_3repE0EEENS1_30default_config_static_selectorELNS0_4arch9wavefront6targetE0EEEvT1_, .Lfunc_end1108-_ZN7rocprim17ROCPRIM_400000_NS6detail17trampoline_kernelINS0_14default_configENS1_25partition_config_selectorILNS1_17partition_subalgoE9EllbEEZZNS1_14partition_implILS5_9ELb0ES3_jPlS8_PNS0_10empty_typeENS0_5tupleIJS8_S9_EEENSB_IJS8_SA_EEENS0_18inequality_wrapperIZN2at6native12_GLOBAL__N_124unique_dim_cuda_templateIbEESt5tupleIJNSF_6TensorESK_SK_EERKSK_lbbbEUlllE0_EEPmJS9_EEE10hipError_tPvRmT3_T4_T5_T6_T7_T9_mT8_P12ihipStream_tbDpT10_ENKUlT_T0_E_clISt17integral_constantIbLb0EES19_IbLb1EEEEDaS15_S16_EUlS15_E_NS1_11comp_targetILNS1_3genE5ELNS1_11target_archE942ELNS1_3gpuE9ELNS1_3repE0EEENS1_30default_config_static_selectorELNS0_4arch9wavefront6targetE0EEEvT1_
                                        ; -- End function
	.set _ZN7rocprim17ROCPRIM_400000_NS6detail17trampoline_kernelINS0_14default_configENS1_25partition_config_selectorILNS1_17partition_subalgoE9EllbEEZZNS1_14partition_implILS5_9ELb0ES3_jPlS8_PNS0_10empty_typeENS0_5tupleIJS8_S9_EEENSB_IJS8_SA_EEENS0_18inequality_wrapperIZN2at6native12_GLOBAL__N_124unique_dim_cuda_templateIbEESt5tupleIJNSF_6TensorESK_SK_EERKSK_lbbbEUlllE0_EEPmJS9_EEE10hipError_tPvRmT3_T4_T5_T6_T7_T9_mT8_P12ihipStream_tbDpT10_ENKUlT_T0_E_clISt17integral_constantIbLb0EES19_IbLb1EEEEDaS15_S16_EUlS15_E_NS1_11comp_targetILNS1_3genE5ELNS1_11target_archE942ELNS1_3gpuE9ELNS1_3repE0EEENS1_30default_config_static_selectorELNS0_4arch9wavefront6targetE0EEEvT1_.num_vgpr, 0
	.set _ZN7rocprim17ROCPRIM_400000_NS6detail17trampoline_kernelINS0_14default_configENS1_25partition_config_selectorILNS1_17partition_subalgoE9EllbEEZZNS1_14partition_implILS5_9ELb0ES3_jPlS8_PNS0_10empty_typeENS0_5tupleIJS8_S9_EEENSB_IJS8_SA_EEENS0_18inequality_wrapperIZN2at6native12_GLOBAL__N_124unique_dim_cuda_templateIbEESt5tupleIJNSF_6TensorESK_SK_EERKSK_lbbbEUlllE0_EEPmJS9_EEE10hipError_tPvRmT3_T4_T5_T6_T7_T9_mT8_P12ihipStream_tbDpT10_ENKUlT_T0_E_clISt17integral_constantIbLb0EES19_IbLb1EEEEDaS15_S16_EUlS15_E_NS1_11comp_targetILNS1_3genE5ELNS1_11target_archE942ELNS1_3gpuE9ELNS1_3repE0EEENS1_30default_config_static_selectorELNS0_4arch9wavefront6targetE0EEEvT1_.num_agpr, 0
	.set _ZN7rocprim17ROCPRIM_400000_NS6detail17trampoline_kernelINS0_14default_configENS1_25partition_config_selectorILNS1_17partition_subalgoE9EllbEEZZNS1_14partition_implILS5_9ELb0ES3_jPlS8_PNS0_10empty_typeENS0_5tupleIJS8_S9_EEENSB_IJS8_SA_EEENS0_18inequality_wrapperIZN2at6native12_GLOBAL__N_124unique_dim_cuda_templateIbEESt5tupleIJNSF_6TensorESK_SK_EERKSK_lbbbEUlllE0_EEPmJS9_EEE10hipError_tPvRmT3_T4_T5_T6_T7_T9_mT8_P12ihipStream_tbDpT10_ENKUlT_T0_E_clISt17integral_constantIbLb0EES19_IbLb1EEEEDaS15_S16_EUlS15_E_NS1_11comp_targetILNS1_3genE5ELNS1_11target_archE942ELNS1_3gpuE9ELNS1_3repE0EEENS1_30default_config_static_selectorELNS0_4arch9wavefront6targetE0EEEvT1_.numbered_sgpr, 0
	.set _ZN7rocprim17ROCPRIM_400000_NS6detail17trampoline_kernelINS0_14default_configENS1_25partition_config_selectorILNS1_17partition_subalgoE9EllbEEZZNS1_14partition_implILS5_9ELb0ES3_jPlS8_PNS0_10empty_typeENS0_5tupleIJS8_S9_EEENSB_IJS8_SA_EEENS0_18inequality_wrapperIZN2at6native12_GLOBAL__N_124unique_dim_cuda_templateIbEESt5tupleIJNSF_6TensorESK_SK_EERKSK_lbbbEUlllE0_EEPmJS9_EEE10hipError_tPvRmT3_T4_T5_T6_T7_T9_mT8_P12ihipStream_tbDpT10_ENKUlT_T0_E_clISt17integral_constantIbLb0EES19_IbLb1EEEEDaS15_S16_EUlS15_E_NS1_11comp_targetILNS1_3genE5ELNS1_11target_archE942ELNS1_3gpuE9ELNS1_3repE0EEENS1_30default_config_static_selectorELNS0_4arch9wavefront6targetE0EEEvT1_.num_named_barrier, 0
	.set _ZN7rocprim17ROCPRIM_400000_NS6detail17trampoline_kernelINS0_14default_configENS1_25partition_config_selectorILNS1_17partition_subalgoE9EllbEEZZNS1_14partition_implILS5_9ELb0ES3_jPlS8_PNS0_10empty_typeENS0_5tupleIJS8_S9_EEENSB_IJS8_SA_EEENS0_18inequality_wrapperIZN2at6native12_GLOBAL__N_124unique_dim_cuda_templateIbEESt5tupleIJNSF_6TensorESK_SK_EERKSK_lbbbEUlllE0_EEPmJS9_EEE10hipError_tPvRmT3_T4_T5_T6_T7_T9_mT8_P12ihipStream_tbDpT10_ENKUlT_T0_E_clISt17integral_constantIbLb0EES19_IbLb1EEEEDaS15_S16_EUlS15_E_NS1_11comp_targetILNS1_3genE5ELNS1_11target_archE942ELNS1_3gpuE9ELNS1_3repE0EEENS1_30default_config_static_selectorELNS0_4arch9wavefront6targetE0EEEvT1_.private_seg_size, 0
	.set _ZN7rocprim17ROCPRIM_400000_NS6detail17trampoline_kernelINS0_14default_configENS1_25partition_config_selectorILNS1_17partition_subalgoE9EllbEEZZNS1_14partition_implILS5_9ELb0ES3_jPlS8_PNS0_10empty_typeENS0_5tupleIJS8_S9_EEENSB_IJS8_SA_EEENS0_18inequality_wrapperIZN2at6native12_GLOBAL__N_124unique_dim_cuda_templateIbEESt5tupleIJNSF_6TensorESK_SK_EERKSK_lbbbEUlllE0_EEPmJS9_EEE10hipError_tPvRmT3_T4_T5_T6_T7_T9_mT8_P12ihipStream_tbDpT10_ENKUlT_T0_E_clISt17integral_constantIbLb0EES19_IbLb1EEEEDaS15_S16_EUlS15_E_NS1_11comp_targetILNS1_3genE5ELNS1_11target_archE942ELNS1_3gpuE9ELNS1_3repE0EEENS1_30default_config_static_selectorELNS0_4arch9wavefront6targetE0EEEvT1_.uses_vcc, 0
	.set _ZN7rocprim17ROCPRIM_400000_NS6detail17trampoline_kernelINS0_14default_configENS1_25partition_config_selectorILNS1_17partition_subalgoE9EllbEEZZNS1_14partition_implILS5_9ELb0ES3_jPlS8_PNS0_10empty_typeENS0_5tupleIJS8_S9_EEENSB_IJS8_SA_EEENS0_18inequality_wrapperIZN2at6native12_GLOBAL__N_124unique_dim_cuda_templateIbEESt5tupleIJNSF_6TensorESK_SK_EERKSK_lbbbEUlllE0_EEPmJS9_EEE10hipError_tPvRmT3_T4_T5_T6_T7_T9_mT8_P12ihipStream_tbDpT10_ENKUlT_T0_E_clISt17integral_constantIbLb0EES19_IbLb1EEEEDaS15_S16_EUlS15_E_NS1_11comp_targetILNS1_3genE5ELNS1_11target_archE942ELNS1_3gpuE9ELNS1_3repE0EEENS1_30default_config_static_selectorELNS0_4arch9wavefront6targetE0EEEvT1_.uses_flat_scratch, 0
	.set _ZN7rocprim17ROCPRIM_400000_NS6detail17trampoline_kernelINS0_14default_configENS1_25partition_config_selectorILNS1_17partition_subalgoE9EllbEEZZNS1_14partition_implILS5_9ELb0ES3_jPlS8_PNS0_10empty_typeENS0_5tupleIJS8_S9_EEENSB_IJS8_SA_EEENS0_18inequality_wrapperIZN2at6native12_GLOBAL__N_124unique_dim_cuda_templateIbEESt5tupleIJNSF_6TensorESK_SK_EERKSK_lbbbEUlllE0_EEPmJS9_EEE10hipError_tPvRmT3_T4_T5_T6_T7_T9_mT8_P12ihipStream_tbDpT10_ENKUlT_T0_E_clISt17integral_constantIbLb0EES19_IbLb1EEEEDaS15_S16_EUlS15_E_NS1_11comp_targetILNS1_3genE5ELNS1_11target_archE942ELNS1_3gpuE9ELNS1_3repE0EEENS1_30default_config_static_selectorELNS0_4arch9wavefront6targetE0EEEvT1_.has_dyn_sized_stack, 0
	.set _ZN7rocprim17ROCPRIM_400000_NS6detail17trampoline_kernelINS0_14default_configENS1_25partition_config_selectorILNS1_17partition_subalgoE9EllbEEZZNS1_14partition_implILS5_9ELb0ES3_jPlS8_PNS0_10empty_typeENS0_5tupleIJS8_S9_EEENSB_IJS8_SA_EEENS0_18inequality_wrapperIZN2at6native12_GLOBAL__N_124unique_dim_cuda_templateIbEESt5tupleIJNSF_6TensorESK_SK_EERKSK_lbbbEUlllE0_EEPmJS9_EEE10hipError_tPvRmT3_T4_T5_T6_T7_T9_mT8_P12ihipStream_tbDpT10_ENKUlT_T0_E_clISt17integral_constantIbLb0EES19_IbLb1EEEEDaS15_S16_EUlS15_E_NS1_11comp_targetILNS1_3genE5ELNS1_11target_archE942ELNS1_3gpuE9ELNS1_3repE0EEENS1_30default_config_static_selectorELNS0_4arch9wavefront6targetE0EEEvT1_.has_recursion, 0
	.set _ZN7rocprim17ROCPRIM_400000_NS6detail17trampoline_kernelINS0_14default_configENS1_25partition_config_selectorILNS1_17partition_subalgoE9EllbEEZZNS1_14partition_implILS5_9ELb0ES3_jPlS8_PNS0_10empty_typeENS0_5tupleIJS8_S9_EEENSB_IJS8_SA_EEENS0_18inequality_wrapperIZN2at6native12_GLOBAL__N_124unique_dim_cuda_templateIbEESt5tupleIJNSF_6TensorESK_SK_EERKSK_lbbbEUlllE0_EEPmJS9_EEE10hipError_tPvRmT3_T4_T5_T6_T7_T9_mT8_P12ihipStream_tbDpT10_ENKUlT_T0_E_clISt17integral_constantIbLb0EES19_IbLb1EEEEDaS15_S16_EUlS15_E_NS1_11comp_targetILNS1_3genE5ELNS1_11target_archE942ELNS1_3gpuE9ELNS1_3repE0EEENS1_30default_config_static_selectorELNS0_4arch9wavefront6targetE0EEEvT1_.has_indirect_call, 0
	.section	.AMDGPU.csdata,"",@progbits
; Kernel info:
; codeLenInByte = 0
; TotalNumSgprs: 0
; NumVgprs: 0
; ScratchSize: 0
; MemoryBound: 0
; FloatMode: 240
; IeeeMode: 1
; LDSByteSize: 0 bytes/workgroup (compile time only)
; SGPRBlocks: 0
; VGPRBlocks: 0
; NumSGPRsForWavesPerEU: 1
; NumVGPRsForWavesPerEU: 1
; NamedBarCnt: 0
; Occupancy: 16
; WaveLimiterHint : 0
; COMPUTE_PGM_RSRC2:SCRATCH_EN: 0
; COMPUTE_PGM_RSRC2:USER_SGPR: 2
; COMPUTE_PGM_RSRC2:TRAP_HANDLER: 0
; COMPUTE_PGM_RSRC2:TGID_X_EN: 1
; COMPUTE_PGM_RSRC2:TGID_Y_EN: 0
; COMPUTE_PGM_RSRC2:TGID_Z_EN: 0
; COMPUTE_PGM_RSRC2:TIDIG_COMP_CNT: 0
	.section	.text._ZN7rocprim17ROCPRIM_400000_NS6detail17trampoline_kernelINS0_14default_configENS1_25partition_config_selectorILNS1_17partition_subalgoE9EllbEEZZNS1_14partition_implILS5_9ELb0ES3_jPlS8_PNS0_10empty_typeENS0_5tupleIJS8_S9_EEENSB_IJS8_SA_EEENS0_18inequality_wrapperIZN2at6native12_GLOBAL__N_124unique_dim_cuda_templateIbEESt5tupleIJNSF_6TensorESK_SK_EERKSK_lbbbEUlllE0_EEPmJS9_EEE10hipError_tPvRmT3_T4_T5_T6_T7_T9_mT8_P12ihipStream_tbDpT10_ENKUlT_T0_E_clISt17integral_constantIbLb0EES19_IbLb1EEEEDaS15_S16_EUlS15_E_NS1_11comp_targetILNS1_3genE4ELNS1_11target_archE910ELNS1_3gpuE8ELNS1_3repE0EEENS1_30default_config_static_selectorELNS0_4arch9wavefront6targetE0EEEvT1_,"axG",@progbits,_ZN7rocprim17ROCPRIM_400000_NS6detail17trampoline_kernelINS0_14default_configENS1_25partition_config_selectorILNS1_17partition_subalgoE9EllbEEZZNS1_14partition_implILS5_9ELb0ES3_jPlS8_PNS0_10empty_typeENS0_5tupleIJS8_S9_EEENSB_IJS8_SA_EEENS0_18inequality_wrapperIZN2at6native12_GLOBAL__N_124unique_dim_cuda_templateIbEESt5tupleIJNSF_6TensorESK_SK_EERKSK_lbbbEUlllE0_EEPmJS9_EEE10hipError_tPvRmT3_T4_T5_T6_T7_T9_mT8_P12ihipStream_tbDpT10_ENKUlT_T0_E_clISt17integral_constantIbLb0EES19_IbLb1EEEEDaS15_S16_EUlS15_E_NS1_11comp_targetILNS1_3genE4ELNS1_11target_archE910ELNS1_3gpuE8ELNS1_3repE0EEENS1_30default_config_static_selectorELNS0_4arch9wavefront6targetE0EEEvT1_,comdat
	.globl	_ZN7rocprim17ROCPRIM_400000_NS6detail17trampoline_kernelINS0_14default_configENS1_25partition_config_selectorILNS1_17partition_subalgoE9EllbEEZZNS1_14partition_implILS5_9ELb0ES3_jPlS8_PNS0_10empty_typeENS0_5tupleIJS8_S9_EEENSB_IJS8_SA_EEENS0_18inequality_wrapperIZN2at6native12_GLOBAL__N_124unique_dim_cuda_templateIbEESt5tupleIJNSF_6TensorESK_SK_EERKSK_lbbbEUlllE0_EEPmJS9_EEE10hipError_tPvRmT3_T4_T5_T6_T7_T9_mT8_P12ihipStream_tbDpT10_ENKUlT_T0_E_clISt17integral_constantIbLb0EES19_IbLb1EEEEDaS15_S16_EUlS15_E_NS1_11comp_targetILNS1_3genE4ELNS1_11target_archE910ELNS1_3gpuE8ELNS1_3repE0EEENS1_30default_config_static_selectorELNS0_4arch9wavefront6targetE0EEEvT1_ ; -- Begin function _ZN7rocprim17ROCPRIM_400000_NS6detail17trampoline_kernelINS0_14default_configENS1_25partition_config_selectorILNS1_17partition_subalgoE9EllbEEZZNS1_14partition_implILS5_9ELb0ES3_jPlS8_PNS0_10empty_typeENS0_5tupleIJS8_S9_EEENSB_IJS8_SA_EEENS0_18inequality_wrapperIZN2at6native12_GLOBAL__N_124unique_dim_cuda_templateIbEESt5tupleIJNSF_6TensorESK_SK_EERKSK_lbbbEUlllE0_EEPmJS9_EEE10hipError_tPvRmT3_T4_T5_T6_T7_T9_mT8_P12ihipStream_tbDpT10_ENKUlT_T0_E_clISt17integral_constantIbLb0EES19_IbLb1EEEEDaS15_S16_EUlS15_E_NS1_11comp_targetILNS1_3genE4ELNS1_11target_archE910ELNS1_3gpuE8ELNS1_3repE0EEENS1_30default_config_static_selectorELNS0_4arch9wavefront6targetE0EEEvT1_
	.p2align	8
	.type	_ZN7rocprim17ROCPRIM_400000_NS6detail17trampoline_kernelINS0_14default_configENS1_25partition_config_selectorILNS1_17partition_subalgoE9EllbEEZZNS1_14partition_implILS5_9ELb0ES3_jPlS8_PNS0_10empty_typeENS0_5tupleIJS8_S9_EEENSB_IJS8_SA_EEENS0_18inequality_wrapperIZN2at6native12_GLOBAL__N_124unique_dim_cuda_templateIbEESt5tupleIJNSF_6TensorESK_SK_EERKSK_lbbbEUlllE0_EEPmJS9_EEE10hipError_tPvRmT3_T4_T5_T6_T7_T9_mT8_P12ihipStream_tbDpT10_ENKUlT_T0_E_clISt17integral_constantIbLb0EES19_IbLb1EEEEDaS15_S16_EUlS15_E_NS1_11comp_targetILNS1_3genE4ELNS1_11target_archE910ELNS1_3gpuE8ELNS1_3repE0EEENS1_30default_config_static_selectorELNS0_4arch9wavefront6targetE0EEEvT1_,@function
_ZN7rocprim17ROCPRIM_400000_NS6detail17trampoline_kernelINS0_14default_configENS1_25partition_config_selectorILNS1_17partition_subalgoE9EllbEEZZNS1_14partition_implILS5_9ELb0ES3_jPlS8_PNS0_10empty_typeENS0_5tupleIJS8_S9_EEENSB_IJS8_SA_EEENS0_18inequality_wrapperIZN2at6native12_GLOBAL__N_124unique_dim_cuda_templateIbEESt5tupleIJNSF_6TensorESK_SK_EERKSK_lbbbEUlllE0_EEPmJS9_EEE10hipError_tPvRmT3_T4_T5_T6_T7_T9_mT8_P12ihipStream_tbDpT10_ENKUlT_T0_E_clISt17integral_constantIbLb0EES19_IbLb1EEEEDaS15_S16_EUlS15_E_NS1_11comp_targetILNS1_3genE4ELNS1_11target_archE910ELNS1_3gpuE8ELNS1_3repE0EEENS1_30default_config_static_selectorELNS0_4arch9wavefront6targetE0EEEvT1_: ; @_ZN7rocprim17ROCPRIM_400000_NS6detail17trampoline_kernelINS0_14default_configENS1_25partition_config_selectorILNS1_17partition_subalgoE9EllbEEZZNS1_14partition_implILS5_9ELb0ES3_jPlS8_PNS0_10empty_typeENS0_5tupleIJS8_S9_EEENSB_IJS8_SA_EEENS0_18inequality_wrapperIZN2at6native12_GLOBAL__N_124unique_dim_cuda_templateIbEESt5tupleIJNSF_6TensorESK_SK_EERKSK_lbbbEUlllE0_EEPmJS9_EEE10hipError_tPvRmT3_T4_T5_T6_T7_T9_mT8_P12ihipStream_tbDpT10_ENKUlT_T0_E_clISt17integral_constantIbLb0EES19_IbLb1EEEEDaS15_S16_EUlS15_E_NS1_11comp_targetILNS1_3genE4ELNS1_11target_archE910ELNS1_3gpuE8ELNS1_3repE0EEENS1_30default_config_static_selectorELNS0_4arch9wavefront6targetE0EEEvT1_
; %bb.0:
	.section	.rodata,"a",@progbits
	.p2align	6, 0x0
	.amdhsa_kernel _ZN7rocprim17ROCPRIM_400000_NS6detail17trampoline_kernelINS0_14default_configENS1_25partition_config_selectorILNS1_17partition_subalgoE9EllbEEZZNS1_14partition_implILS5_9ELb0ES3_jPlS8_PNS0_10empty_typeENS0_5tupleIJS8_S9_EEENSB_IJS8_SA_EEENS0_18inequality_wrapperIZN2at6native12_GLOBAL__N_124unique_dim_cuda_templateIbEESt5tupleIJNSF_6TensorESK_SK_EERKSK_lbbbEUlllE0_EEPmJS9_EEE10hipError_tPvRmT3_T4_T5_T6_T7_T9_mT8_P12ihipStream_tbDpT10_ENKUlT_T0_E_clISt17integral_constantIbLb0EES19_IbLb1EEEEDaS15_S16_EUlS15_E_NS1_11comp_targetILNS1_3genE4ELNS1_11target_archE910ELNS1_3gpuE8ELNS1_3repE0EEENS1_30default_config_static_selectorELNS0_4arch9wavefront6targetE0EEEvT1_
		.amdhsa_group_segment_fixed_size 0
		.amdhsa_private_segment_fixed_size 0
		.amdhsa_kernarg_size 136
		.amdhsa_user_sgpr_count 2
		.amdhsa_user_sgpr_dispatch_ptr 0
		.amdhsa_user_sgpr_queue_ptr 0
		.amdhsa_user_sgpr_kernarg_segment_ptr 1
		.amdhsa_user_sgpr_dispatch_id 0
		.amdhsa_user_sgpr_kernarg_preload_length 0
		.amdhsa_user_sgpr_kernarg_preload_offset 0
		.amdhsa_user_sgpr_private_segment_size 0
		.amdhsa_wavefront_size32 1
		.amdhsa_uses_dynamic_stack 0
		.amdhsa_enable_private_segment 0
		.amdhsa_system_sgpr_workgroup_id_x 1
		.amdhsa_system_sgpr_workgroup_id_y 0
		.amdhsa_system_sgpr_workgroup_id_z 0
		.amdhsa_system_sgpr_workgroup_info 0
		.amdhsa_system_vgpr_workitem_id 0
		.amdhsa_next_free_vgpr 1
		.amdhsa_next_free_sgpr 1
		.amdhsa_named_barrier_count 0
		.amdhsa_reserve_vcc 0
		.amdhsa_float_round_mode_32 0
		.amdhsa_float_round_mode_16_64 0
		.amdhsa_float_denorm_mode_32 3
		.amdhsa_float_denorm_mode_16_64 3
		.amdhsa_fp16_overflow 0
		.amdhsa_memory_ordered 1
		.amdhsa_forward_progress 1
		.amdhsa_inst_pref_size 0
		.amdhsa_round_robin_scheduling 0
		.amdhsa_exception_fp_ieee_invalid_op 0
		.amdhsa_exception_fp_denorm_src 0
		.amdhsa_exception_fp_ieee_div_zero 0
		.amdhsa_exception_fp_ieee_overflow 0
		.amdhsa_exception_fp_ieee_underflow 0
		.amdhsa_exception_fp_ieee_inexact 0
		.amdhsa_exception_int_div_zero 0
	.end_amdhsa_kernel
	.section	.text._ZN7rocprim17ROCPRIM_400000_NS6detail17trampoline_kernelINS0_14default_configENS1_25partition_config_selectorILNS1_17partition_subalgoE9EllbEEZZNS1_14partition_implILS5_9ELb0ES3_jPlS8_PNS0_10empty_typeENS0_5tupleIJS8_S9_EEENSB_IJS8_SA_EEENS0_18inequality_wrapperIZN2at6native12_GLOBAL__N_124unique_dim_cuda_templateIbEESt5tupleIJNSF_6TensorESK_SK_EERKSK_lbbbEUlllE0_EEPmJS9_EEE10hipError_tPvRmT3_T4_T5_T6_T7_T9_mT8_P12ihipStream_tbDpT10_ENKUlT_T0_E_clISt17integral_constantIbLb0EES19_IbLb1EEEEDaS15_S16_EUlS15_E_NS1_11comp_targetILNS1_3genE4ELNS1_11target_archE910ELNS1_3gpuE8ELNS1_3repE0EEENS1_30default_config_static_selectorELNS0_4arch9wavefront6targetE0EEEvT1_,"axG",@progbits,_ZN7rocprim17ROCPRIM_400000_NS6detail17trampoline_kernelINS0_14default_configENS1_25partition_config_selectorILNS1_17partition_subalgoE9EllbEEZZNS1_14partition_implILS5_9ELb0ES3_jPlS8_PNS0_10empty_typeENS0_5tupleIJS8_S9_EEENSB_IJS8_SA_EEENS0_18inequality_wrapperIZN2at6native12_GLOBAL__N_124unique_dim_cuda_templateIbEESt5tupleIJNSF_6TensorESK_SK_EERKSK_lbbbEUlllE0_EEPmJS9_EEE10hipError_tPvRmT3_T4_T5_T6_T7_T9_mT8_P12ihipStream_tbDpT10_ENKUlT_T0_E_clISt17integral_constantIbLb0EES19_IbLb1EEEEDaS15_S16_EUlS15_E_NS1_11comp_targetILNS1_3genE4ELNS1_11target_archE910ELNS1_3gpuE8ELNS1_3repE0EEENS1_30default_config_static_selectorELNS0_4arch9wavefront6targetE0EEEvT1_,comdat
.Lfunc_end1109:
	.size	_ZN7rocprim17ROCPRIM_400000_NS6detail17trampoline_kernelINS0_14default_configENS1_25partition_config_selectorILNS1_17partition_subalgoE9EllbEEZZNS1_14partition_implILS5_9ELb0ES3_jPlS8_PNS0_10empty_typeENS0_5tupleIJS8_S9_EEENSB_IJS8_SA_EEENS0_18inequality_wrapperIZN2at6native12_GLOBAL__N_124unique_dim_cuda_templateIbEESt5tupleIJNSF_6TensorESK_SK_EERKSK_lbbbEUlllE0_EEPmJS9_EEE10hipError_tPvRmT3_T4_T5_T6_T7_T9_mT8_P12ihipStream_tbDpT10_ENKUlT_T0_E_clISt17integral_constantIbLb0EES19_IbLb1EEEEDaS15_S16_EUlS15_E_NS1_11comp_targetILNS1_3genE4ELNS1_11target_archE910ELNS1_3gpuE8ELNS1_3repE0EEENS1_30default_config_static_selectorELNS0_4arch9wavefront6targetE0EEEvT1_, .Lfunc_end1109-_ZN7rocprim17ROCPRIM_400000_NS6detail17trampoline_kernelINS0_14default_configENS1_25partition_config_selectorILNS1_17partition_subalgoE9EllbEEZZNS1_14partition_implILS5_9ELb0ES3_jPlS8_PNS0_10empty_typeENS0_5tupleIJS8_S9_EEENSB_IJS8_SA_EEENS0_18inequality_wrapperIZN2at6native12_GLOBAL__N_124unique_dim_cuda_templateIbEESt5tupleIJNSF_6TensorESK_SK_EERKSK_lbbbEUlllE0_EEPmJS9_EEE10hipError_tPvRmT3_T4_T5_T6_T7_T9_mT8_P12ihipStream_tbDpT10_ENKUlT_T0_E_clISt17integral_constantIbLb0EES19_IbLb1EEEEDaS15_S16_EUlS15_E_NS1_11comp_targetILNS1_3genE4ELNS1_11target_archE910ELNS1_3gpuE8ELNS1_3repE0EEENS1_30default_config_static_selectorELNS0_4arch9wavefront6targetE0EEEvT1_
                                        ; -- End function
	.set _ZN7rocprim17ROCPRIM_400000_NS6detail17trampoline_kernelINS0_14default_configENS1_25partition_config_selectorILNS1_17partition_subalgoE9EllbEEZZNS1_14partition_implILS5_9ELb0ES3_jPlS8_PNS0_10empty_typeENS0_5tupleIJS8_S9_EEENSB_IJS8_SA_EEENS0_18inequality_wrapperIZN2at6native12_GLOBAL__N_124unique_dim_cuda_templateIbEESt5tupleIJNSF_6TensorESK_SK_EERKSK_lbbbEUlllE0_EEPmJS9_EEE10hipError_tPvRmT3_T4_T5_T6_T7_T9_mT8_P12ihipStream_tbDpT10_ENKUlT_T0_E_clISt17integral_constantIbLb0EES19_IbLb1EEEEDaS15_S16_EUlS15_E_NS1_11comp_targetILNS1_3genE4ELNS1_11target_archE910ELNS1_3gpuE8ELNS1_3repE0EEENS1_30default_config_static_selectorELNS0_4arch9wavefront6targetE0EEEvT1_.num_vgpr, 0
	.set _ZN7rocprim17ROCPRIM_400000_NS6detail17trampoline_kernelINS0_14default_configENS1_25partition_config_selectorILNS1_17partition_subalgoE9EllbEEZZNS1_14partition_implILS5_9ELb0ES3_jPlS8_PNS0_10empty_typeENS0_5tupleIJS8_S9_EEENSB_IJS8_SA_EEENS0_18inequality_wrapperIZN2at6native12_GLOBAL__N_124unique_dim_cuda_templateIbEESt5tupleIJNSF_6TensorESK_SK_EERKSK_lbbbEUlllE0_EEPmJS9_EEE10hipError_tPvRmT3_T4_T5_T6_T7_T9_mT8_P12ihipStream_tbDpT10_ENKUlT_T0_E_clISt17integral_constantIbLb0EES19_IbLb1EEEEDaS15_S16_EUlS15_E_NS1_11comp_targetILNS1_3genE4ELNS1_11target_archE910ELNS1_3gpuE8ELNS1_3repE0EEENS1_30default_config_static_selectorELNS0_4arch9wavefront6targetE0EEEvT1_.num_agpr, 0
	.set _ZN7rocprim17ROCPRIM_400000_NS6detail17trampoline_kernelINS0_14default_configENS1_25partition_config_selectorILNS1_17partition_subalgoE9EllbEEZZNS1_14partition_implILS5_9ELb0ES3_jPlS8_PNS0_10empty_typeENS0_5tupleIJS8_S9_EEENSB_IJS8_SA_EEENS0_18inequality_wrapperIZN2at6native12_GLOBAL__N_124unique_dim_cuda_templateIbEESt5tupleIJNSF_6TensorESK_SK_EERKSK_lbbbEUlllE0_EEPmJS9_EEE10hipError_tPvRmT3_T4_T5_T6_T7_T9_mT8_P12ihipStream_tbDpT10_ENKUlT_T0_E_clISt17integral_constantIbLb0EES19_IbLb1EEEEDaS15_S16_EUlS15_E_NS1_11comp_targetILNS1_3genE4ELNS1_11target_archE910ELNS1_3gpuE8ELNS1_3repE0EEENS1_30default_config_static_selectorELNS0_4arch9wavefront6targetE0EEEvT1_.numbered_sgpr, 0
	.set _ZN7rocprim17ROCPRIM_400000_NS6detail17trampoline_kernelINS0_14default_configENS1_25partition_config_selectorILNS1_17partition_subalgoE9EllbEEZZNS1_14partition_implILS5_9ELb0ES3_jPlS8_PNS0_10empty_typeENS0_5tupleIJS8_S9_EEENSB_IJS8_SA_EEENS0_18inequality_wrapperIZN2at6native12_GLOBAL__N_124unique_dim_cuda_templateIbEESt5tupleIJNSF_6TensorESK_SK_EERKSK_lbbbEUlllE0_EEPmJS9_EEE10hipError_tPvRmT3_T4_T5_T6_T7_T9_mT8_P12ihipStream_tbDpT10_ENKUlT_T0_E_clISt17integral_constantIbLb0EES19_IbLb1EEEEDaS15_S16_EUlS15_E_NS1_11comp_targetILNS1_3genE4ELNS1_11target_archE910ELNS1_3gpuE8ELNS1_3repE0EEENS1_30default_config_static_selectorELNS0_4arch9wavefront6targetE0EEEvT1_.num_named_barrier, 0
	.set _ZN7rocprim17ROCPRIM_400000_NS6detail17trampoline_kernelINS0_14default_configENS1_25partition_config_selectorILNS1_17partition_subalgoE9EllbEEZZNS1_14partition_implILS5_9ELb0ES3_jPlS8_PNS0_10empty_typeENS0_5tupleIJS8_S9_EEENSB_IJS8_SA_EEENS0_18inequality_wrapperIZN2at6native12_GLOBAL__N_124unique_dim_cuda_templateIbEESt5tupleIJNSF_6TensorESK_SK_EERKSK_lbbbEUlllE0_EEPmJS9_EEE10hipError_tPvRmT3_T4_T5_T6_T7_T9_mT8_P12ihipStream_tbDpT10_ENKUlT_T0_E_clISt17integral_constantIbLb0EES19_IbLb1EEEEDaS15_S16_EUlS15_E_NS1_11comp_targetILNS1_3genE4ELNS1_11target_archE910ELNS1_3gpuE8ELNS1_3repE0EEENS1_30default_config_static_selectorELNS0_4arch9wavefront6targetE0EEEvT1_.private_seg_size, 0
	.set _ZN7rocprim17ROCPRIM_400000_NS6detail17trampoline_kernelINS0_14default_configENS1_25partition_config_selectorILNS1_17partition_subalgoE9EllbEEZZNS1_14partition_implILS5_9ELb0ES3_jPlS8_PNS0_10empty_typeENS0_5tupleIJS8_S9_EEENSB_IJS8_SA_EEENS0_18inequality_wrapperIZN2at6native12_GLOBAL__N_124unique_dim_cuda_templateIbEESt5tupleIJNSF_6TensorESK_SK_EERKSK_lbbbEUlllE0_EEPmJS9_EEE10hipError_tPvRmT3_T4_T5_T6_T7_T9_mT8_P12ihipStream_tbDpT10_ENKUlT_T0_E_clISt17integral_constantIbLb0EES19_IbLb1EEEEDaS15_S16_EUlS15_E_NS1_11comp_targetILNS1_3genE4ELNS1_11target_archE910ELNS1_3gpuE8ELNS1_3repE0EEENS1_30default_config_static_selectorELNS0_4arch9wavefront6targetE0EEEvT1_.uses_vcc, 0
	.set _ZN7rocprim17ROCPRIM_400000_NS6detail17trampoline_kernelINS0_14default_configENS1_25partition_config_selectorILNS1_17partition_subalgoE9EllbEEZZNS1_14partition_implILS5_9ELb0ES3_jPlS8_PNS0_10empty_typeENS0_5tupleIJS8_S9_EEENSB_IJS8_SA_EEENS0_18inequality_wrapperIZN2at6native12_GLOBAL__N_124unique_dim_cuda_templateIbEESt5tupleIJNSF_6TensorESK_SK_EERKSK_lbbbEUlllE0_EEPmJS9_EEE10hipError_tPvRmT3_T4_T5_T6_T7_T9_mT8_P12ihipStream_tbDpT10_ENKUlT_T0_E_clISt17integral_constantIbLb0EES19_IbLb1EEEEDaS15_S16_EUlS15_E_NS1_11comp_targetILNS1_3genE4ELNS1_11target_archE910ELNS1_3gpuE8ELNS1_3repE0EEENS1_30default_config_static_selectorELNS0_4arch9wavefront6targetE0EEEvT1_.uses_flat_scratch, 0
	.set _ZN7rocprim17ROCPRIM_400000_NS6detail17trampoline_kernelINS0_14default_configENS1_25partition_config_selectorILNS1_17partition_subalgoE9EllbEEZZNS1_14partition_implILS5_9ELb0ES3_jPlS8_PNS0_10empty_typeENS0_5tupleIJS8_S9_EEENSB_IJS8_SA_EEENS0_18inequality_wrapperIZN2at6native12_GLOBAL__N_124unique_dim_cuda_templateIbEESt5tupleIJNSF_6TensorESK_SK_EERKSK_lbbbEUlllE0_EEPmJS9_EEE10hipError_tPvRmT3_T4_T5_T6_T7_T9_mT8_P12ihipStream_tbDpT10_ENKUlT_T0_E_clISt17integral_constantIbLb0EES19_IbLb1EEEEDaS15_S16_EUlS15_E_NS1_11comp_targetILNS1_3genE4ELNS1_11target_archE910ELNS1_3gpuE8ELNS1_3repE0EEENS1_30default_config_static_selectorELNS0_4arch9wavefront6targetE0EEEvT1_.has_dyn_sized_stack, 0
	.set _ZN7rocprim17ROCPRIM_400000_NS6detail17trampoline_kernelINS0_14default_configENS1_25partition_config_selectorILNS1_17partition_subalgoE9EllbEEZZNS1_14partition_implILS5_9ELb0ES3_jPlS8_PNS0_10empty_typeENS0_5tupleIJS8_S9_EEENSB_IJS8_SA_EEENS0_18inequality_wrapperIZN2at6native12_GLOBAL__N_124unique_dim_cuda_templateIbEESt5tupleIJNSF_6TensorESK_SK_EERKSK_lbbbEUlllE0_EEPmJS9_EEE10hipError_tPvRmT3_T4_T5_T6_T7_T9_mT8_P12ihipStream_tbDpT10_ENKUlT_T0_E_clISt17integral_constantIbLb0EES19_IbLb1EEEEDaS15_S16_EUlS15_E_NS1_11comp_targetILNS1_3genE4ELNS1_11target_archE910ELNS1_3gpuE8ELNS1_3repE0EEENS1_30default_config_static_selectorELNS0_4arch9wavefront6targetE0EEEvT1_.has_recursion, 0
	.set _ZN7rocprim17ROCPRIM_400000_NS6detail17trampoline_kernelINS0_14default_configENS1_25partition_config_selectorILNS1_17partition_subalgoE9EllbEEZZNS1_14partition_implILS5_9ELb0ES3_jPlS8_PNS0_10empty_typeENS0_5tupleIJS8_S9_EEENSB_IJS8_SA_EEENS0_18inequality_wrapperIZN2at6native12_GLOBAL__N_124unique_dim_cuda_templateIbEESt5tupleIJNSF_6TensorESK_SK_EERKSK_lbbbEUlllE0_EEPmJS9_EEE10hipError_tPvRmT3_T4_T5_T6_T7_T9_mT8_P12ihipStream_tbDpT10_ENKUlT_T0_E_clISt17integral_constantIbLb0EES19_IbLb1EEEEDaS15_S16_EUlS15_E_NS1_11comp_targetILNS1_3genE4ELNS1_11target_archE910ELNS1_3gpuE8ELNS1_3repE0EEENS1_30default_config_static_selectorELNS0_4arch9wavefront6targetE0EEEvT1_.has_indirect_call, 0
	.section	.AMDGPU.csdata,"",@progbits
; Kernel info:
; codeLenInByte = 0
; TotalNumSgprs: 0
; NumVgprs: 0
; ScratchSize: 0
; MemoryBound: 0
; FloatMode: 240
; IeeeMode: 1
; LDSByteSize: 0 bytes/workgroup (compile time only)
; SGPRBlocks: 0
; VGPRBlocks: 0
; NumSGPRsForWavesPerEU: 1
; NumVGPRsForWavesPerEU: 1
; NamedBarCnt: 0
; Occupancy: 16
; WaveLimiterHint : 0
; COMPUTE_PGM_RSRC2:SCRATCH_EN: 0
; COMPUTE_PGM_RSRC2:USER_SGPR: 2
; COMPUTE_PGM_RSRC2:TRAP_HANDLER: 0
; COMPUTE_PGM_RSRC2:TGID_X_EN: 1
; COMPUTE_PGM_RSRC2:TGID_Y_EN: 0
; COMPUTE_PGM_RSRC2:TGID_Z_EN: 0
; COMPUTE_PGM_RSRC2:TIDIG_COMP_CNT: 0
	.section	.text._ZN7rocprim17ROCPRIM_400000_NS6detail17trampoline_kernelINS0_14default_configENS1_25partition_config_selectorILNS1_17partition_subalgoE9EllbEEZZNS1_14partition_implILS5_9ELb0ES3_jPlS8_PNS0_10empty_typeENS0_5tupleIJS8_S9_EEENSB_IJS8_SA_EEENS0_18inequality_wrapperIZN2at6native12_GLOBAL__N_124unique_dim_cuda_templateIbEESt5tupleIJNSF_6TensorESK_SK_EERKSK_lbbbEUlllE0_EEPmJS9_EEE10hipError_tPvRmT3_T4_T5_T6_T7_T9_mT8_P12ihipStream_tbDpT10_ENKUlT_T0_E_clISt17integral_constantIbLb0EES19_IbLb1EEEEDaS15_S16_EUlS15_E_NS1_11comp_targetILNS1_3genE3ELNS1_11target_archE908ELNS1_3gpuE7ELNS1_3repE0EEENS1_30default_config_static_selectorELNS0_4arch9wavefront6targetE0EEEvT1_,"axG",@progbits,_ZN7rocprim17ROCPRIM_400000_NS6detail17trampoline_kernelINS0_14default_configENS1_25partition_config_selectorILNS1_17partition_subalgoE9EllbEEZZNS1_14partition_implILS5_9ELb0ES3_jPlS8_PNS0_10empty_typeENS0_5tupleIJS8_S9_EEENSB_IJS8_SA_EEENS0_18inequality_wrapperIZN2at6native12_GLOBAL__N_124unique_dim_cuda_templateIbEESt5tupleIJNSF_6TensorESK_SK_EERKSK_lbbbEUlllE0_EEPmJS9_EEE10hipError_tPvRmT3_T4_T5_T6_T7_T9_mT8_P12ihipStream_tbDpT10_ENKUlT_T0_E_clISt17integral_constantIbLb0EES19_IbLb1EEEEDaS15_S16_EUlS15_E_NS1_11comp_targetILNS1_3genE3ELNS1_11target_archE908ELNS1_3gpuE7ELNS1_3repE0EEENS1_30default_config_static_selectorELNS0_4arch9wavefront6targetE0EEEvT1_,comdat
	.globl	_ZN7rocprim17ROCPRIM_400000_NS6detail17trampoline_kernelINS0_14default_configENS1_25partition_config_selectorILNS1_17partition_subalgoE9EllbEEZZNS1_14partition_implILS5_9ELb0ES3_jPlS8_PNS0_10empty_typeENS0_5tupleIJS8_S9_EEENSB_IJS8_SA_EEENS0_18inequality_wrapperIZN2at6native12_GLOBAL__N_124unique_dim_cuda_templateIbEESt5tupleIJNSF_6TensorESK_SK_EERKSK_lbbbEUlllE0_EEPmJS9_EEE10hipError_tPvRmT3_T4_T5_T6_T7_T9_mT8_P12ihipStream_tbDpT10_ENKUlT_T0_E_clISt17integral_constantIbLb0EES19_IbLb1EEEEDaS15_S16_EUlS15_E_NS1_11comp_targetILNS1_3genE3ELNS1_11target_archE908ELNS1_3gpuE7ELNS1_3repE0EEENS1_30default_config_static_selectorELNS0_4arch9wavefront6targetE0EEEvT1_ ; -- Begin function _ZN7rocprim17ROCPRIM_400000_NS6detail17trampoline_kernelINS0_14default_configENS1_25partition_config_selectorILNS1_17partition_subalgoE9EllbEEZZNS1_14partition_implILS5_9ELb0ES3_jPlS8_PNS0_10empty_typeENS0_5tupleIJS8_S9_EEENSB_IJS8_SA_EEENS0_18inequality_wrapperIZN2at6native12_GLOBAL__N_124unique_dim_cuda_templateIbEESt5tupleIJNSF_6TensorESK_SK_EERKSK_lbbbEUlllE0_EEPmJS9_EEE10hipError_tPvRmT3_T4_T5_T6_T7_T9_mT8_P12ihipStream_tbDpT10_ENKUlT_T0_E_clISt17integral_constantIbLb0EES19_IbLb1EEEEDaS15_S16_EUlS15_E_NS1_11comp_targetILNS1_3genE3ELNS1_11target_archE908ELNS1_3gpuE7ELNS1_3repE0EEENS1_30default_config_static_selectorELNS0_4arch9wavefront6targetE0EEEvT1_
	.p2align	8
	.type	_ZN7rocprim17ROCPRIM_400000_NS6detail17trampoline_kernelINS0_14default_configENS1_25partition_config_selectorILNS1_17partition_subalgoE9EllbEEZZNS1_14partition_implILS5_9ELb0ES3_jPlS8_PNS0_10empty_typeENS0_5tupleIJS8_S9_EEENSB_IJS8_SA_EEENS0_18inequality_wrapperIZN2at6native12_GLOBAL__N_124unique_dim_cuda_templateIbEESt5tupleIJNSF_6TensorESK_SK_EERKSK_lbbbEUlllE0_EEPmJS9_EEE10hipError_tPvRmT3_T4_T5_T6_T7_T9_mT8_P12ihipStream_tbDpT10_ENKUlT_T0_E_clISt17integral_constantIbLb0EES19_IbLb1EEEEDaS15_S16_EUlS15_E_NS1_11comp_targetILNS1_3genE3ELNS1_11target_archE908ELNS1_3gpuE7ELNS1_3repE0EEENS1_30default_config_static_selectorELNS0_4arch9wavefront6targetE0EEEvT1_,@function
_ZN7rocprim17ROCPRIM_400000_NS6detail17trampoline_kernelINS0_14default_configENS1_25partition_config_selectorILNS1_17partition_subalgoE9EllbEEZZNS1_14partition_implILS5_9ELb0ES3_jPlS8_PNS0_10empty_typeENS0_5tupleIJS8_S9_EEENSB_IJS8_SA_EEENS0_18inequality_wrapperIZN2at6native12_GLOBAL__N_124unique_dim_cuda_templateIbEESt5tupleIJNSF_6TensorESK_SK_EERKSK_lbbbEUlllE0_EEPmJS9_EEE10hipError_tPvRmT3_T4_T5_T6_T7_T9_mT8_P12ihipStream_tbDpT10_ENKUlT_T0_E_clISt17integral_constantIbLb0EES19_IbLb1EEEEDaS15_S16_EUlS15_E_NS1_11comp_targetILNS1_3genE3ELNS1_11target_archE908ELNS1_3gpuE7ELNS1_3repE0EEENS1_30default_config_static_selectorELNS0_4arch9wavefront6targetE0EEEvT1_: ; @_ZN7rocprim17ROCPRIM_400000_NS6detail17trampoline_kernelINS0_14default_configENS1_25partition_config_selectorILNS1_17partition_subalgoE9EllbEEZZNS1_14partition_implILS5_9ELb0ES3_jPlS8_PNS0_10empty_typeENS0_5tupleIJS8_S9_EEENSB_IJS8_SA_EEENS0_18inequality_wrapperIZN2at6native12_GLOBAL__N_124unique_dim_cuda_templateIbEESt5tupleIJNSF_6TensorESK_SK_EERKSK_lbbbEUlllE0_EEPmJS9_EEE10hipError_tPvRmT3_T4_T5_T6_T7_T9_mT8_P12ihipStream_tbDpT10_ENKUlT_T0_E_clISt17integral_constantIbLb0EES19_IbLb1EEEEDaS15_S16_EUlS15_E_NS1_11comp_targetILNS1_3genE3ELNS1_11target_archE908ELNS1_3gpuE7ELNS1_3repE0EEENS1_30default_config_static_selectorELNS0_4arch9wavefront6targetE0EEEvT1_
; %bb.0:
	.section	.rodata,"a",@progbits
	.p2align	6, 0x0
	.amdhsa_kernel _ZN7rocprim17ROCPRIM_400000_NS6detail17trampoline_kernelINS0_14default_configENS1_25partition_config_selectorILNS1_17partition_subalgoE9EllbEEZZNS1_14partition_implILS5_9ELb0ES3_jPlS8_PNS0_10empty_typeENS0_5tupleIJS8_S9_EEENSB_IJS8_SA_EEENS0_18inequality_wrapperIZN2at6native12_GLOBAL__N_124unique_dim_cuda_templateIbEESt5tupleIJNSF_6TensorESK_SK_EERKSK_lbbbEUlllE0_EEPmJS9_EEE10hipError_tPvRmT3_T4_T5_T6_T7_T9_mT8_P12ihipStream_tbDpT10_ENKUlT_T0_E_clISt17integral_constantIbLb0EES19_IbLb1EEEEDaS15_S16_EUlS15_E_NS1_11comp_targetILNS1_3genE3ELNS1_11target_archE908ELNS1_3gpuE7ELNS1_3repE0EEENS1_30default_config_static_selectorELNS0_4arch9wavefront6targetE0EEEvT1_
		.amdhsa_group_segment_fixed_size 0
		.amdhsa_private_segment_fixed_size 0
		.amdhsa_kernarg_size 136
		.amdhsa_user_sgpr_count 2
		.amdhsa_user_sgpr_dispatch_ptr 0
		.amdhsa_user_sgpr_queue_ptr 0
		.amdhsa_user_sgpr_kernarg_segment_ptr 1
		.amdhsa_user_sgpr_dispatch_id 0
		.amdhsa_user_sgpr_kernarg_preload_length 0
		.amdhsa_user_sgpr_kernarg_preload_offset 0
		.amdhsa_user_sgpr_private_segment_size 0
		.amdhsa_wavefront_size32 1
		.amdhsa_uses_dynamic_stack 0
		.amdhsa_enable_private_segment 0
		.amdhsa_system_sgpr_workgroup_id_x 1
		.amdhsa_system_sgpr_workgroup_id_y 0
		.amdhsa_system_sgpr_workgroup_id_z 0
		.amdhsa_system_sgpr_workgroup_info 0
		.amdhsa_system_vgpr_workitem_id 0
		.amdhsa_next_free_vgpr 1
		.amdhsa_next_free_sgpr 1
		.amdhsa_named_barrier_count 0
		.amdhsa_reserve_vcc 0
		.amdhsa_float_round_mode_32 0
		.amdhsa_float_round_mode_16_64 0
		.amdhsa_float_denorm_mode_32 3
		.amdhsa_float_denorm_mode_16_64 3
		.amdhsa_fp16_overflow 0
		.amdhsa_memory_ordered 1
		.amdhsa_forward_progress 1
		.amdhsa_inst_pref_size 0
		.amdhsa_round_robin_scheduling 0
		.amdhsa_exception_fp_ieee_invalid_op 0
		.amdhsa_exception_fp_denorm_src 0
		.amdhsa_exception_fp_ieee_div_zero 0
		.amdhsa_exception_fp_ieee_overflow 0
		.amdhsa_exception_fp_ieee_underflow 0
		.amdhsa_exception_fp_ieee_inexact 0
		.amdhsa_exception_int_div_zero 0
	.end_amdhsa_kernel
	.section	.text._ZN7rocprim17ROCPRIM_400000_NS6detail17trampoline_kernelINS0_14default_configENS1_25partition_config_selectorILNS1_17partition_subalgoE9EllbEEZZNS1_14partition_implILS5_9ELb0ES3_jPlS8_PNS0_10empty_typeENS0_5tupleIJS8_S9_EEENSB_IJS8_SA_EEENS0_18inequality_wrapperIZN2at6native12_GLOBAL__N_124unique_dim_cuda_templateIbEESt5tupleIJNSF_6TensorESK_SK_EERKSK_lbbbEUlllE0_EEPmJS9_EEE10hipError_tPvRmT3_T4_T5_T6_T7_T9_mT8_P12ihipStream_tbDpT10_ENKUlT_T0_E_clISt17integral_constantIbLb0EES19_IbLb1EEEEDaS15_S16_EUlS15_E_NS1_11comp_targetILNS1_3genE3ELNS1_11target_archE908ELNS1_3gpuE7ELNS1_3repE0EEENS1_30default_config_static_selectorELNS0_4arch9wavefront6targetE0EEEvT1_,"axG",@progbits,_ZN7rocprim17ROCPRIM_400000_NS6detail17trampoline_kernelINS0_14default_configENS1_25partition_config_selectorILNS1_17partition_subalgoE9EllbEEZZNS1_14partition_implILS5_9ELb0ES3_jPlS8_PNS0_10empty_typeENS0_5tupleIJS8_S9_EEENSB_IJS8_SA_EEENS0_18inequality_wrapperIZN2at6native12_GLOBAL__N_124unique_dim_cuda_templateIbEESt5tupleIJNSF_6TensorESK_SK_EERKSK_lbbbEUlllE0_EEPmJS9_EEE10hipError_tPvRmT3_T4_T5_T6_T7_T9_mT8_P12ihipStream_tbDpT10_ENKUlT_T0_E_clISt17integral_constantIbLb0EES19_IbLb1EEEEDaS15_S16_EUlS15_E_NS1_11comp_targetILNS1_3genE3ELNS1_11target_archE908ELNS1_3gpuE7ELNS1_3repE0EEENS1_30default_config_static_selectorELNS0_4arch9wavefront6targetE0EEEvT1_,comdat
.Lfunc_end1110:
	.size	_ZN7rocprim17ROCPRIM_400000_NS6detail17trampoline_kernelINS0_14default_configENS1_25partition_config_selectorILNS1_17partition_subalgoE9EllbEEZZNS1_14partition_implILS5_9ELb0ES3_jPlS8_PNS0_10empty_typeENS0_5tupleIJS8_S9_EEENSB_IJS8_SA_EEENS0_18inequality_wrapperIZN2at6native12_GLOBAL__N_124unique_dim_cuda_templateIbEESt5tupleIJNSF_6TensorESK_SK_EERKSK_lbbbEUlllE0_EEPmJS9_EEE10hipError_tPvRmT3_T4_T5_T6_T7_T9_mT8_P12ihipStream_tbDpT10_ENKUlT_T0_E_clISt17integral_constantIbLb0EES19_IbLb1EEEEDaS15_S16_EUlS15_E_NS1_11comp_targetILNS1_3genE3ELNS1_11target_archE908ELNS1_3gpuE7ELNS1_3repE0EEENS1_30default_config_static_selectorELNS0_4arch9wavefront6targetE0EEEvT1_, .Lfunc_end1110-_ZN7rocprim17ROCPRIM_400000_NS6detail17trampoline_kernelINS0_14default_configENS1_25partition_config_selectorILNS1_17partition_subalgoE9EllbEEZZNS1_14partition_implILS5_9ELb0ES3_jPlS8_PNS0_10empty_typeENS0_5tupleIJS8_S9_EEENSB_IJS8_SA_EEENS0_18inequality_wrapperIZN2at6native12_GLOBAL__N_124unique_dim_cuda_templateIbEESt5tupleIJNSF_6TensorESK_SK_EERKSK_lbbbEUlllE0_EEPmJS9_EEE10hipError_tPvRmT3_T4_T5_T6_T7_T9_mT8_P12ihipStream_tbDpT10_ENKUlT_T0_E_clISt17integral_constantIbLb0EES19_IbLb1EEEEDaS15_S16_EUlS15_E_NS1_11comp_targetILNS1_3genE3ELNS1_11target_archE908ELNS1_3gpuE7ELNS1_3repE0EEENS1_30default_config_static_selectorELNS0_4arch9wavefront6targetE0EEEvT1_
                                        ; -- End function
	.set _ZN7rocprim17ROCPRIM_400000_NS6detail17trampoline_kernelINS0_14default_configENS1_25partition_config_selectorILNS1_17partition_subalgoE9EllbEEZZNS1_14partition_implILS5_9ELb0ES3_jPlS8_PNS0_10empty_typeENS0_5tupleIJS8_S9_EEENSB_IJS8_SA_EEENS0_18inequality_wrapperIZN2at6native12_GLOBAL__N_124unique_dim_cuda_templateIbEESt5tupleIJNSF_6TensorESK_SK_EERKSK_lbbbEUlllE0_EEPmJS9_EEE10hipError_tPvRmT3_T4_T5_T6_T7_T9_mT8_P12ihipStream_tbDpT10_ENKUlT_T0_E_clISt17integral_constantIbLb0EES19_IbLb1EEEEDaS15_S16_EUlS15_E_NS1_11comp_targetILNS1_3genE3ELNS1_11target_archE908ELNS1_3gpuE7ELNS1_3repE0EEENS1_30default_config_static_selectorELNS0_4arch9wavefront6targetE0EEEvT1_.num_vgpr, 0
	.set _ZN7rocprim17ROCPRIM_400000_NS6detail17trampoline_kernelINS0_14default_configENS1_25partition_config_selectorILNS1_17partition_subalgoE9EllbEEZZNS1_14partition_implILS5_9ELb0ES3_jPlS8_PNS0_10empty_typeENS0_5tupleIJS8_S9_EEENSB_IJS8_SA_EEENS0_18inequality_wrapperIZN2at6native12_GLOBAL__N_124unique_dim_cuda_templateIbEESt5tupleIJNSF_6TensorESK_SK_EERKSK_lbbbEUlllE0_EEPmJS9_EEE10hipError_tPvRmT3_T4_T5_T6_T7_T9_mT8_P12ihipStream_tbDpT10_ENKUlT_T0_E_clISt17integral_constantIbLb0EES19_IbLb1EEEEDaS15_S16_EUlS15_E_NS1_11comp_targetILNS1_3genE3ELNS1_11target_archE908ELNS1_3gpuE7ELNS1_3repE0EEENS1_30default_config_static_selectorELNS0_4arch9wavefront6targetE0EEEvT1_.num_agpr, 0
	.set _ZN7rocprim17ROCPRIM_400000_NS6detail17trampoline_kernelINS0_14default_configENS1_25partition_config_selectorILNS1_17partition_subalgoE9EllbEEZZNS1_14partition_implILS5_9ELb0ES3_jPlS8_PNS0_10empty_typeENS0_5tupleIJS8_S9_EEENSB_IJS8_SA_EEENS0_18inequality_wrapperIZN2at6native12_GLOBAL__N_124unique_dim_cuda_templateIbEESt5tupleIJNSF_6TensorESK_SK_EERKSK_lbbbEUlllE0_EEPmJS9_EEE10hipError_tPvRmT3_T4_T5_T6_T7_T9_mT8_P12ihipStream_tbDpT10_ENKUlT_T0_E_clISt17integral_constantIbLb0EES19_IbLb1EEEEDaS15_S16_EUlS15_E_NS1_11comp_targetILNS1_3genE3ELNS1_11target_archE908ELNS1_3gpuE7ELNS1_3repE0EEENS1_30default_config_static_selectorELNS0_4arch9wavefront6targetE0EEEvT1_.numbered_sgpr, 0
	.set _ZN7rocprim17ROCPRIM_400000_NS6detail17trampoline_kernelINS0_14default_configENS1_25partition_config_selectorILNS1_17partition_subalgoE9EllbEEZZNS1_14partition_implILS5_9ELb0ES3_jPlS8_PNS0_10empty_typeENS0_5tupleIJS8_S9_EEENSB_IJS8_SA_EEENS0_18inequality_wrapperIZN2at6native12_GLOBAL__N_124unique_dim_cuda_templateIbEESt5tupleIJNSF_6TensorESK_SK_EERKSK_lbbbEUlllE0_EEPmJS9_EEE10hipError_tPvRmT3_T4_T5_T6_T7_T9_mT8_P12ihipStream_tbDpT10_ENKUlT_T0_E_clISt17integral_constantIbLb0EES19_IbLb1EEEEDaS15_S16_EUlS15_E_NS1_11comp_targetILNS1_3genE3ELNS1_11target_archE908ELNS1_3gpuE7ELNS1_3repE0EEENS1_30default_config_static_selectorELNS0_4arch9wavefront6targetE0EEEvT1_.num_named_barrier, 0
	.set _ZN7rocprim17ROCPRIM_400000_NS6detail17trampoline_kernelINS0_14default_configENS1_25partition_config_selectorILNS1_17partition_subalgoE9EllbEEZZNS1_14partition_implILS5_9ELb0ES3_jPlS8_PNS0_10empty_typeENS0_5tupleIJS8_S9_EEENSB_IJS8_SA_EEENS0_18inequality_wrapperIZN2at6native12_GLOBAL__N_124unique_dim_cuda_templateIbEESt5tupleIJNSF_6TensorESK_SK_EERKSK_lbbbEUlllE0_EEPmJS9_EEE10hipError_tPvRmT3_T4_T5_T6_T7_T9_mT8_P12ihipStream_tbDpT10_ENKUlT_T0_E_clISt17integral_constantIbLb0EES19_IbLb1EEEEDaS15_S16_EUlS15_E_NS1_11comp_targetILNS1_3genE3ELNS1_11target_archE908ELNS1_3gpuE7ELNS1_3repE0EEENS1_30default_config_static_selectorELNS0_4arch9wavefront6targetE0EEEvT1_.private_seg_size, 0
	.set _ZN7rocprim17ROCPRIM_400000_NS6detail17trampoline_kernelINS0_14default_configENS1_25partition_config_selectorILNS1_17partition_subalgoE9EllbEEZZNS1_14partition_implILS5_9ELb0ES3_jPlS8_PNS0_10empty_typeENS0_5tupleIJS8_S9_EEENSB_IJS8_SA_EEENS0_18inequality_wrapperIZN2at6native12_GLOBAL__N_124unique_dim_cuda_templateIbEESt5tupleIJNSF_6TensorESK_SK_EERKSK_lbbbEUlllE0_EEPmJS9_EEE10hipError_tPvRmT3_T4_T5_T6_T7_T9_mT8_P12ihipStream_tbDpT10_ENKUlT_T0_E_clISt17integral_constantIbLb0EES19_IbLb1EEEEDaS15_S16_EUlS15_E_NS1_11comp_targetILNS1_3genE3ELNS1_11target_archE908ELNS1_3gpuE7ELNS1_3repE0EEENS1_30default_config_static_selectorELNS0_4arch9wavefront6targetE0EEEvT1_.uses_vcc, 0
	.set _ZN7rocprim17ROCPRIM_400000_NS6detail17trampoline_kernelINS0_14default_configENS1_25partition_config_selectorILNS1_17partition_subalgoE9EllbEEZZNS1_14partition_implILS5_9ELb0ES3_jPlS8_PNS0_10empty_typeENS0_5tupleIJS8_S9_EEENSB_IJS8_SA_EEENS0_18inequality_wrapperIZN2at6native12_GLOBAL__N_124unique_dim_cuda_templateIbEESt5tupleIJNSF_6TensorESK_SK_EERKSK_lbbbEUlllE0_EEPmJS9_EEE10hipError_tPvRmT3_T4_T5_T6_T7_T9_mT8_P12ihipStream_tbDpT10_ENKUlT_T0_E_clISt17integral_constantIbLb0EES19_IbLb1EEEEDaS15_S16_EUlS15_E_NS1_11comp_targetILNS1_3genE3ELNS1_11target_archE908ELNS1_3gpuE7ELNS1_3repE0EEENS1_30default_config_static_selectorELNS0_4arch9wavefront6targetE0EEEvT1_.uses_flat_scratch, 0
	.set _ZN7rocprim17ROCPRIM_400000_NS6detail17trampoline_kernelINS0_14default_configENS1_25partition_config_selectorILNS1_17partition_subalgoE9EllbEEZZNS1_14partition_implILS5_9ELb0ES3_jPlS8_PNS0_10empty_typeENS0_5tupleIJS8_S9_EEENSB_IJS8_SA_EEENS0_18inequality_wrapperIZN2at6native12_GLOBAL__N_124unique_dim_cuda_templateIbEESt5tupleIJNSF_6TensorESK_SK_EERKSK_lbbbEUlllE0_EEPmJS9_EEE10hipError_tPvRmT3_T4_T5_T6_T7_T9_mT8_P12ihipStream_tbDpT10_ENKUlT_T0_E_clISt17integral_constantIbLb0EES19_IbLb1EEEEDaS15_S16_EUlS15_E_NS1_11comp_targetILNS1_3genE3ELNS1_11target_archE908ELNS1_3gpuE7ELNS1_3repE0EEENS1_30default_config_static_selectorELNS0_4arch9wavefront6targetE0EEEvT1_.has_dyn_sized_stack, 0
	.set _ZN7rocprim17ROCPRIM_400000_NS6detail17trampoline_kernelINS0_14default_configENS1_25partition_config_selectorILNS1_17partition_subalgoE9EllbEEZZNS1_14partition_implILS5_9ELb0ES3_jPlS8_PNS0_10empty_typeENS0_5tupleIJS8_S9_EEENSB_IJS8_SA_EEENS0_18inequality_wrapperIZN2at6native12_GLOBAL__N_124unique_dim_cuda_templateIbEESt5tupleIJNSF_6TensorESK_SK_EERKSK_lbbbEUlllE0_EEPmJS9_EEE10hipError_tPvRmT3_T4_T5_T6_T7_T9_mT8_P12ihipStream_tbDpT10_ENKUlT_T0_E_clISt17integral_constantIbLb0EES19_IbLb1EEEEDaS15_S16_EUlS15_E_NS1_11comp_targetILNS1_3genE3ELNS1_11target_archE908ELNS1_3gpuE7ELNS1_3repE0EEENS1_30default_config_static_selectorELNS0_4arch9wavefront6targetE0EEEvT1_.has_recursion, 0
	.set _ZN7rocprim17ROCPRIM_400000_NS6detail17trampoline_kernelINS0_14default_configENS1_25partition_config_selectorILNS1_17partition_subalgoE9EllbEEZZNS1_14partition_implILS5_9ELb0ES3_jPlS8_PNS0_10empty_typeENS0_5tupleIJS8_S9_EEENSB_IJS8_SA_EEENS0_18inequality_wrapperIZN2at6native12_GLOBAL__N_124unique_dim_cuda_templateIbEESt5tupleIJNSF_6TensorESK_SK_EERKSK_lbbbEUlllE0_EEPmJS9_EEE10hipError_tPvRmT3_T4_T5_T6_T7_T9_mT8_P12ihipStream_tbDpT10_ENKUlT_T0_E_clISt17integral_constantIbLb0EES19_IbLb1EEEEDaS15_S16_EUlS15_E_NS1_11comp_targetILNS1_3genE3ELNS1_11target_archE908ELNS1_3gpuE7ELNS1_3repE0EEENS1_30default_config_static_selectorELNS0_4arch9wavefront6targetE0EEEvT1_.has_indirect_call, 0
	.section	.AMDGPU.csdata,"",@progbits
; Kernel info:
; codeLenInByte = 0
; TotalNumSgprs: 0
; NumVgprs: 0
; ScratchSize: 0
; MemoryBound: 0
; FloatMode: 240
; IeeeMode: 1
; LDSByteSize: 0 bytes/workgroup (compile time only)
; SGPRBlocks: 0
; VGPRBlocks: 0
; NumSGPRsForWavesPerEU: 1
; NumVGPRsForWavesPerEU: 1
; NamedBarCnt: 0
; Occupancy: 16
; WaveLimiterHint : 0
; COMPUTE_PGM_RSRC2:SCRATCH_EN: 0
; COMPUTE_PGM_RSRC2:USER_SGPR: 2
; COMPUTE_PGM_RSRC2:TRAP_HANDLER: 0
; COMPUTE_PGM_RSRC2:TGID_X_EN: 1
; COMPUTE_PGM_RSRC2:TGID_Y_EN: 0
; COMPUTE_PGM_RSRC2:TGID_Z_EN: 0
; COMPUTE_PGM_RSRC2:TIDIG_COMP_CNT: 0
	.section	.text._ZN7rocprim17ROCPRIM_400000_NS6detail17trampoline_kernelINS0_14default_configENS1_25partition_config_selectorILNS1_17partition_subalgoE9EllbEEZZNS1_14partition_implILS5_9ELb0ES3_jPlS8_PNS0_10empty_typeENS0_5tupleIJS8_S9_EEENSB_IJS8_SA_EEENS0_18inequality_wrapperIZN2at6native12_GLOBAL__N_124unique_dim_cuda_templateIbEESt5tupleIJNSF_6TensorESK_SK_EERKSK_lbbbEUlllE0_EEPmJS9_EEE10hipError_tPvRmT3_T4_T5_T6_T7_T9_mT8_P12ihipStream_tbDpT10_ENKUlT_T0_E_clISt17integral_constantIbLb0EES19_IbLb1EEEEDaS15_S16_EUlS15_E_NS1_11comp_targetILNS1_3genE2ELNS1_11target_archE906ELNS1_3gpuE6ELNS1_3repE0EEENS1_30default_config_static_selectorELNS0_4arch9wavefront6targetE0EEEvT1_,"axG",@progbits,_ZN7rocprim17ROCPRIM_400000_NS6detail17trampoline_kernelINS0_14default_configENS1_25partition_config_selectorILNS1_17partition_subalgoE9EllbEEZZNS1_14partition_implILS5_9ELb0ES3_jPlS8_PNS0_10empty_typeENS0_5tupleIJS8_S9_EEENSB_IJS8_SA_EEENS0_18inequality_wrapperIZN2at6native12_GLOBAL__N_124unique_dim_cuda_templateIbEESt5tupleIJNSF_6TensorESK_SK_EERKSK_lbbbEUlllE0_EEPmJS9_EEE10hipError_tPvRmT3_T4_T5_T6_T7_T9_mT8_P12ihipStream_tbDpT10_ENKUlT_T0_E_clISt17integral_constantIbLb0EES19_IbLb1EEEEDaS15_S16_EUlS15_E_NS1_11comp_targetILNS1_3genE2ELNS1_11target_archE906ELNS1_3gpuE6ELNS1_3repE0EEENS1_30default_config_static_selectorELNS0_4arch9wavefront6targetE0EEEvT1_,comdat
	.globl	_ZN7rocprim17ROCPRIM_400000_NS6detail17trampoline_kernelINS0_14default_configENS1_25partition_config_selectorILNS1_17partition_subalgoE9EllbEEZZNS1_14partition_implILS5_9ELb0ES3_jPlS8_PNS0_10empty_typeENS0_5tupleIJS8_S9_EEENSB_IJS8_SA_EEENS0_18inequality_wrapperIZN2at6native12_GLOBAL__N_124unique_dim_cuda_templateIbEESt5tupleIJNSF_6TensorESK_SK_EERKSK_lbbbEUlllE0_EEPmJS9_EEE10hipError_tPvRmT3_T4_T5_T6_T7_T9_mT8_P12ihipStream_tbDpT10_ENKUlT_T0_E_clISt17integral_constantIbLb0EES19_IbLb1EEEEDaS15_S16_EUlS15_E_NS1_11comp_targetILNS1_3genE2ELNS1_11target_archE906ELNS1_3gpuE6ELNS1_3repE0EEENS1_30default_config_static_selectorELNS0_4arch9wavefront6targetE0EEEvT1_ ; -- Begin function _ZN7rocprim17ROCPRIM_400000_NS6detail17trampoline_kernelINS0_14default_configENS1_25partition_config_selectorILNS1_17partition_subalgoE9EllbEEZZNS1_14partition_implILS5_9ELb0ES3_jPlS8_PNS0_10empty_typeENS0_5tupleIJS8_S9_EEENSB_IJS8_SA_EEENS0_18inequality_wrapperIZN2at6native12_GLOBAL__N_124unique_dim_cuda_templateIbEESt5tupleIJNSF_6TensorESK_SK_EERKSK_lbbbEUlllE0_EEPmJS9_EEE10hipError_tPvRmT3_T4_T5_T6_T7_T9_mT8_P12ihipStream_tbDpT10_ENKUlT_T0_E_clISt17integral_constantIbLb0EES19_IbLb1EEEEDaS15_S16_EUlS15_E_NS1_11comp_targetILNS1_3genE2ELNS1_11target_archE906ELNS1_3gpuE6ELNS1_3repE0EEENS1_30default_config_static_selectorELNS0_4arch9wavefront6targetE0EEEvT1_
	.p2align	8
	.type	_ZN7rocprim17ROCPRIM_400000_NS6detail17trampoline_kernelINS0_14default_configENS1_25partition_config_selectorILNS1_17partition_subalgoE9EllbEEZZNS1_14partition_implILS5_9ELb0ES3_jPlS8_PNS0_10empty_typeENS0_5tupleIJS8_S9_EEENSB_IJS8_SA_EEENS0_18inequality_wrapperIZN2at6native12_GLOBAL__N_124unique_dim_cuda_templateIbEESt5tupleIJNSF_6TensorESK_SK_EERKSK_lbbbEUlllE0_EEPmJS9_EEE10hipError_tPvRmT3_T4_T5_T6_T7_T9_mT8_P12ihipStream_tbDpT10_ENKUlT_T0_E_clISt17integral_constantIbLb0EES19_IbLb1EEEEDaS15_S16_EUlS15_E_NS1_11comp_targetILNS1_3genE2ELNS1_11target_archE906ELNS1_3gpuE6ELNS1_3repE0EEENS1_30default_config_static_selectorELNS0_4arch9wavefront6targetE0EEEvT1_,@function
_ZN7rocprim17ROCPRIM_400000_NS6detail17trampoline_kernelINS0_14default_configENS1_25partition_config_selectorILNS1_17partition_subalgoE9EllbEEZZNS1_14partition_implILS5_9ELb0ES3_jPlS8_PNS0_10empty_typeENS0_5tupleIJS8_S9_EEENSB_IJS8_SA_EEENS0_18inequality_wrapperIZN2at6native12_GLOBAL__N_124unique_dim_cuda_templateIbEESt5tupleIJNSF_6TensorESK_SK_EERKSK_lbbbEUlllE0_EEPmJS9_EEE10hipError_tPvRmT3_T4_T5_T6_T7_T9_mT8_P12ihipStream_tbDpT10_ENKUlT_T0_E_clISt17integral_constantIbLb0EES19_IbLb1EEEEDaS15_S16_EUlS15_E_NS1_11comp_targetILNS1_3genE2ELNS1_11target_archE906ELNS1_3gpuE6ELNS1_3repE0EEENS1_30default_config_static_selectorELNS0_4arch9wavefront6targetE0EEEvT1_: ; @_ZN7rocprim17ROCPRIM_400000_NS6detail17trampoline_kernelINS0_14default_configENS1_25partition_config_selectorILNS1_17partition_subalgoE9EllbEEZZNS1_14partition_implILS5_9ELb0ES3_jPlS8_PNS0_10empty_typeENS0_5tupleIJS8_S9_EEENSB_IJS8_SA_EEENS0_18inequality_wrapperIZN2at6native12_GLOBAL__N_124unique_dim_cuda_templateIbEESt5tupleIJNSF_6TensorESK_SK_EERKSK_lbbbEUlllE0_EEPmJS9_EEE10hipError_tPvRmT3_T4_T5_T6_T7_T9_mT8_P12ihipStream_tbDpT10_ENKUlT_T0_E_clISt17integral_constantIbLb0EES19_IbLb1EEEEDaS15_S16_EUlS15_E_NS1_11comp_targetILNS1_3genE2ELNS1_11target_archE906ELNS1_3gpuE6ELNS1_3repE0EEENS1_30default_config_static_selectorELNS0_4arch9wavefront6targetE0EEEvT1_
; %bb.0:
	.section	.rodata,"a",@progbits
	.p2align	6, 0x0
	.amdhsa_kernel _ZN7rocprim17ROCPRIM_400000_NS6detail17trampoline_kernelINS0_14default_configENS1_25partition_config_selectorILNS1_17partition_subalgoE9EllbEEZZNS1_14partition_implILS5_9ELb0ES3_jPlS8_PNS0_10empty_typeENS0_5tupleIJS8_S9_EEENSB_IJS8_SA_EEENS0_18inequality_wrapperIZN2at6native12_GLOBAL__N_124unique_dim_cuda_templateIbEESt5tupleIJNSF_6TensorESK_SK_EERKSK_lbbbEUlllE0_EEPmJS9_EEE10hipError_tPvRmT3_T4_T5_T6_T7_T9_mT8_P12ihipStream_tbDpT10_ENKUlT_T0_E_clISt17integral_constantIbLb0EES19_IbLb1EEEEDaS15_S16_EUlS15_E_NS1_11comp_targetILNS1_3genE2ELNS1_11target_archE906ELNS1_3gpuE6ELNS1_3repE0EEENS1_30default_config_static_selectorELNS0_4arch9wavefront6targetE0EEEvT1_
		.amdhsa_group_segment_fixed_size 0
		.amdhsa_private_segment_fixed_size 0
		.amdhsa_kernarg_size 136
		.amdhsa_user_sgpr_count 2
		.amdhsa_user_sgpr_dispatch_ptr 0
		.amdhsa_user_sgpr_queue_ptr 0
		.amdhsa_user_sgpr_kernarg_segment_ptr 1
		.amdhsa_user_sgpr_dispatch_id 0
		.amdhsa_user_sgpr_kernarg_preload_length 0
		.amdhsa_user_sgpr_kernarg_preload_offset 0
		.amdhsa_user_sgpr_private_segment_size 0
		.amdhsa_wavefront_size32 1
		.amdhsa_uses_dynamic_stack 0
		.amdhsa_enable_private_segment 0
		.amdhsa_system_sgpr_workgroup_id_x 1
		.amdhsa_system_sgpr_workgroup_id_y 0
		.amdhsa_system_sgpr_workgroup_id_z 0
		.amdhsa_system_sgpr_workgroup_info 0
		.amdhsa_system_vgpr_workitem_id 0
		.amdhsa_next_free_vgpr 1
		.amdhsa_next_free_sgpr 1
		.amdhsa_named_barrier_count 0
		.amdhsa_reserve_vcc 0
		.amdhsa_float_round_mode_32 0
		.amdhsa_float_round_mode_16_64 0
		.amdhsa_float_denorm_mode_32 3
		.amdhsa_float_denorm_mode_16_64 3
		.amdhsa_fp16_overflow 0
		.amdhsa_memory_ordered 1
		.amdhsa_forward_progress 1
		.amdhsa_inst_pref_size 0
		.amdhsa_round_robin_scheduling 0
		.amdhsa_exception_fp_ieee_invalid_op 0
		.amdhsa_exception_fp_denorm_src 0
		.amdhsa_exception_fp_ieee_div_zero 0
		.amdhsa_exception_fp_ieee_overflow 0
		.amdhsa_exception_fp_ieee_underflow 0
		.amdhsa_exception_fp_ieee_inexact 0
		.amdhsa_exception_int_div_zero 0
	.end_amdhsa_kernel
	.section	.text._ZN7rocprim17ROCPRIM_400000_NS6detail17trampoline_kernelINS0_14default_configENS1_25partition_config_selectorILNS1_17partition_subalgoE9EllbEEZZNS1_14partition_implILS5_9ELb0ES3_jPlS8_PNS0_10empty_typeENS0_5tupleIJS8_S9_EEENSB_IJS8_SA_EEENS0_18inequality_wrapperIZN2at6native12_GLOBAL__N_124unique_dim_cuda_templateIbEESt5tupleIJNSF_6TensorESK_SK_EERKSK_lbbbEUlllE0_EEPmJS9_EEE10hipError_tPvRmT3_T4_T5_T6_T7_T9_mT8_P12ihipStream_tbDpT10_ENKUlT_T0_E_clISt17integral_constantIbLb0EES19_IbLb1EEEEDaS15_S16_EUlS15_E_NS1_11comp_targetILNS1_3genE2ELNS1_11target_archE906ELNS1_3gpuE6ELNS1_3repE0EEENS1_30default_config_static_selectorELNS0_4arch9wavefront6targetE0EEEvT1_,"axG",@progbits,_ZN7rocprim17ROCPRIM_400000_NS6detail17trampoline_kernelINS0_14default_configENS1_25partition_config_selectorILNS1_17partition_subalgoE9EllbEEZZNS1_14partition_implILS5_9ELb0ES3_jPlS8_PNS0_10empty_typeENS0_5tupleIJS8_S9_EEENSB_IJS8_SA_EEENS0_18inequality_wrapperIZN2at6native12_GLOBAL__N_124unique_dim_cuda_templateIbEESt5tupleIJNSF_6TensorESK_SK_EERKSK_lbbbEUlllE0_EEPmJS9_EEE10hipError_tPvRmT3_T4_T5_T6_T7_T9_mT8_P12ihipStream_tbDpT10_ENKUlT_T0_E_clISt17integral_constantIbLb0EES19_IbLb1EEEEDaS15_S16_EUlS15_E_NS1_11comp_targetILNS1_3genE2ELNS1_11target_archE906ELNS1_3gpuE6ELNS1_3repE0EEENS1_30default_config_static_selectorELNS0_4arch9wavefront6targetE0EEEvT1_,comdat
.Lfunc_end1111:
	.size	_ZN7rocprim17ROCPRIM_400000_NS6detail17trampoline_kernelINS0_14default_configENS1_25partition_config_selectorILNS1_17partition_subalgoE9EllbEEZZNS1_14partition_implILS5_9ELb0ES3_jPlS8_PNS0_10empty_typeENS0_5tupleIJS8_S9_EEENSB_IJS8_SA_EEENS0_18inequality_wrapperIZN2at6native12_GLOBAL__N_124unique_dim_cuda_templateIbEESt5tupleIJNSF_6TensorESK_SK_EERKSK_lbbbEUlllE0_EEPmJS9_EEE10hipError_tPvRmT3_T4_T5_T6_T7_T9_mT8_P12ihipStream_tbDpT10_ENKUlT_T0_E_clISt17integral_constantIbLb0EES19_IbLb1EEEEDaS15_S16_EUlS15_E_NS1_11comp_targetILNS1_3genE2ELNS1_11target_archE906ELNS1_3gpuE6ELNS1_3repE0EEENS1_30default_config_static_selectorELNS0_4arch9wavefront6targetE0EEEvT1_, .Lfunc_end1111-_ZN7rocprim17ROCPRIM_400000_NS6detail17trampoline_kernelINS0_14default_configENS1_25partition_config_selectorILNS1_17partition_subalgoE9EllbEEZZNS1_14partition_implILS5_9ELb0ES3_jPlS8_PNS0_10empty_typeENS0_5tupleIJS8_S9_EEENSB_IJS8_SA_EEENS0_18inequality_wrapperIZN2at6native12_GLOBAL__N_124unique_dim_cuda_templateIbEESt5tupleIJNSF_6TensorESK_SK_EERKSK_lbbbEUlllE0_EEPmJS9_EEE10hipError_tPvRmT3_T4_T5_T6_T7_T9_mT8_P12ihipStream_tbDpT10_ENKUlT_T0_E_clISt17integral_constantIbLb0EES19_IbLb1EEEEDaS15_S16_EUlS15_E_NS1_11comp_targetILNS1_3genE2ELNS1_11target_archE906ELNS1_3gpuE6ELNS1_3repE0EEENS1_30default_config_static_selectorELNS0_4arch9wavefront6targetE0EEEvT1_
                                        ; -- End function
	.set _ZN7rocprim17ROCPRIM_400000_NS6detail17trampoline_kernelINS0_14default_configENS1_25partition_config_selectorILNS1_17partition_subalgoE9EllbEEZZNS1_14partition_implILS5_9ELb0ES3_jPlS8_PNS0_10empty_typeENS0_5tupleIJS8_S9_EEENSB_IJS8_SA_EEENS0_18inequality_wrapperIZN2at6native12_GLOBAL__N_124unique_dim_cuda_templateIbEESt5tupleIJNSF_6TensorESK_SK_EERKSK_lbbbEUlllE0_EEPmJS9_EEE10hipError_tPvRmT3_T4_T5_T6_T7_T9_mT8_P12ihipStream_tbDpT10_ENKUlT_T0_E_clISt17integral_constantIbLb0EES19_IbLb1EEEEDaS15_S16_EUlS15_E_NS1_11comp_targetILNS1_3genE2ELNS1_11target_archE906ELNS1_3gpuE6ELNS1_3repE0EEENS1_30default_config_static_selectorELNS0_4arch9wavefront6targetE0EEEvT1_.num_vgpr, 0
	.set _ZN7rocprim17ROCPRIM_400000_NS6detail17trampoline_kernelINS0_14default_configENS1_25partition_config_selectorILNS1_17partition_subalgoE9EllbEEZZNS1_14partition_implILS5_9ELb0ES3_jPlS8_PNS0_10empty_typeENS0_5tupleIJS8_S9_EEENSB_IJS8_SA_EEENS0_18inequality_wrapperIZN2at6native12_GLOBAL__N_124unique_dim_cuda_templateIbEESt5tupleIJNSF_6TensorESK_SK_EERKSK_lbbbEUlllE0_EEPmJS9_EEE10hipError_tPvRmT3_T4_T5_T6_T7_T9_mT8_P12ihipStream_tbDpT10_ENKUlT_T0_E_clISt17integral_constantIbLb0EES19_IbLb1EEEEDaS15_S16_EUlS15_E_NS1_11comp_targetILNS1_3genE2ELNS1_11target_archE906ELNS1_3gpuE6ELNS1_3repE0EEENS1_30default_config_static_selectorELNS0_4arch9wavefront6targetE0EEEvT1_.num_agpr, 0
	.set _ZN7rocprim17ROCPRIM_400000_NS6detail17trampoline_kernelINS0_14default_configENS1_25partition_config_selectorILNS1_17partition_subalgoE9EllbEEZZNS1_14partition_implILS5_9ELb0ES3_jPlS8_PNS0_10empty_typeENS0_5tupleIJS8_S9_EEENSB_IJS8_SA_EEENS0_18inequality_wrapperIZN2at6native12_GLOBAL__N_124unique_dim_cuda_templateIbEESt5tupleIJNSF_6TensorESK_SK_EERKSK_lbbbEUlllE0_EEPmJS9_EEE10hipError_tPvRmT3_T4_T5_T6_T7_T9_mT8_P12ihipStream_tbDpT10_ENKUlT_T0_E_clISt17integral_constantIbLb0EES19_IbLb1EEEEDaS15_S16_EUlS15_E_NS1_11comp_targetILNS1_3genE2ELNS1_11target_archE906ELNS1_3gpuE6ELNS1_3repE0EEENS1_30default_config_static_selectorELNS0_4arch9wavefront6targetE0EEEvT1_.numbered_sgpr, 0
	.set _ZN7rocprim17ROCPRIM_400000_NS6detail17trampoline_kernelINS0_14default_configENS1_25partition_config_selectorILNS1_17partition_subalgoE9EllbEEZZNS1_14partition_implILS5_9ELb0ES3_jPlS8_PNS0_10empty_typeENS0_5tupleIJS8_S9_EEENSB_IJS8_SA_EEENS0_18inequality_wrapperIZN2at6native12_GLOBAL__N_124unique_dim_cuda_templateIbEESt5tupleIJNSF_6TensorESK_SK_EERKSK_lbbbEUlllE0_EEPmJS9_EEE10hipError_tPvRmT3_T4_T5_T6_T7_T9_mT8_P12ihipStream_tbDpT10_ENKUlT_T0_E_clISt17integral_constantIbLb0EES19_IbLb1EEEEDaS15_S16_EUlS15_E_NS1_11comp_targetILNS1_3genE2ELNS1_11target_archE906ELNS1_3gpuE6ELNS1_3repE0EEENS1_30default_config_static_selectorELNS0_4arch9wavefront6targetE0EEEvT1_.num_named_barrier, 0
	.set _ZN7rocprim17ROCPRIM_400000_NS6detail17trampoline_kernelINS0_14default_configENS1_25partition_config_selectorILNS1_17partition_subalgoE9EllbEEZZNS1_14partition_implILS5_9ELb0ES3_jPlS8_PNS0_10empty_typeENS0_5tupleIJS8_S9_EEENSB_IJS8_SA_EEENS0_18inequality_wrapperIZN2at6native12_GLOBAL__N_124unique_dim_cuda_templateIbEESt5tupleIJNSF_6TensorESK_SK_EERKSK_lbbbEUlllE0_EEPmJS9_EEE10hipError_tPvRmT3_T4_T5_T6_T7_T9_mT8_P12ihipStream_tbDpT10_ENKUlT_T0_E_clISt17integral_constantIbLb0EES19_IbLb1EEEEDaS15_S16_EUlS15_E_NS1_11comp_targetILNS1_3genE2ELNS1_11target_archE906ELNS1_3gpuE6ELNS1_3repE0EEENS1_30default_config_static_selectorELNS0_4arch9wavefront6targetE0EEEvT1_.private_seg_size, 0
	.set _ZN7rocprim17ROCPRIM_400000_NS6detail17trampoline_kernelINS0_14default_configENS1_25partition_config_selectorILNS1_17partition_subalgoE9EllbEEZZNS1_14partition_implILS5_9ELb0ES3_jPlS8_PNS0_10empty_typeENS0_5tupleIJS8_S9_EEENSB_IJS8_SA_EEENS0_18inequality_wrapperIZN2at6native12_GLOBAL__N_124unique_dim_cuda_templateIbEESt5tupleIJNSF_6TensorESK_SK_EERKSK_lbbbEUlllE0_EEPmJS9_EEE10hipError_tPvRmT3_T4_T5_T6_T7_T9_mT8_P12ihipStream_tbDpT10_ENKUlT_T0_E_clISt17integral_constantIbLb0EES19_IbLb1EEEEDaS15_S16_EUlS15_E_NS1_11comp_targetILNS1_3genE2ELNS1_11target_archE906ELNS1_3gpuE6ELNS1_3repE0EEENS1_30default_config_static_selectorELNS0_4arch9wavefront6targetE0EEEvT1_.uses_vcc, 0
	.set _ZN7rocprim17ROCPRIM_400000_NS6detail17trampoline_kernelINS0_14default_configENS1_25partition_config_selectorILNS1_17partition_subalgoE9EllbEEZZNS1_14partition_implILS5_9ELb0ES3_jPlS8_PNS0_10empty_typeENS0_5tupleIJS8_S9_EEENSB_IJS8_SA_EEENS0_18inequality_wrapperIZN2at6native12_GLOBAL__N_124unique_dim_cuda_templateIbEESt5tupleIJNSF_6TensorESK_SK_EERKSK_lbbbEUlllE0_EEPmJS9_EEE10hipError_tPvRmT3_T4_T5_T6_T7_T9_mT8_P12ihipStream_tbDpT10_ENKUlT_T0_E_clISt17integral_constantIbLb0EES19_IbLb1EEEEDaS15_S16_EUlS15_E_NS1_11comp_targetILNS1_3genE2ELNS1_11target_archE906ELNS1_3gpuE6ELNS1_3repE0EEENS1_30default_config_static_selectorELNS0_4arch9wavefront6targetE0EEEvT1_.uses_flat_scratch, 0
	.set _ZN7rocprim17ROCPRIM_400000_NS6detail17trampoline_kernelINS0_14default_configENS1_25partition_config_selectorILNS1_17partition_subalgoE9EllbEEZZNS1_14partition_implILS5_9ELb0ES3_jPlS8_PNS0_10empty_typeENS0_5tupleIJS8_S9_EEENSB_IJS8_SA_EEENS0_18inequality_wrapperIZN2at6native12_GLOBAL__N_124unique_dim_cuda_templateIbEESt5tupleIJNSF_6TensorESK_SK_EERKSK_lbbbEUlllE0_EEPmJS9_EEE10hipError_tPvRmT3_T4_T5_T6_T7_T9_mT8_P12ihipStream_tbDpT10_ENKUlT_T0_E_clISt17integral_constantIbLb0EES19_IbLb1EEEEDaS15_S16_EUlS15_E_NS1_11comp_targetILNS1_3genE2ELNS1_11target_archE906ELNS1_3gpuE6ELNS1_3repE0EEENS1_30default_config_static_selectorELNS0_4arch9wavefront6targetE0EEEvT1_.has_dyn_sized_stack, 0
	.set _ZN7rocprim17ROCPRIM_400000_NS6detail17trampoline_kernelINS0_14default_configENS1_25partition_config_selectorILNS1_17partition_subalgoE9EllbEEZZNS1_14partition_implILS5_9ELb0ES3_jPlS8_PNS0_10empty_typeENS0_5tupleIJS8_S9_EEENSB_IJS8_SA_EEENS0_18inequality_wrapperIZN2at6native12_GLOBAL__N_124unique_dim_cuda_templateIbEESt5tupleIJNSF_6TensorESK_SK_EERKSK_lbbbEUlllE0_EEPmJS9_EEE10hipError_tPvRmT3_T4_T5_T6_T7_T9_mT8_P12ihipStream_tbDpT10_ENKUlT_T0_E_clISt17integral_constantIbLb0EES19_IbLb1EEEEDaS15_S16_EUlS15_E_NS1_11comp_targetILNS1_3genE2ELNS1_11target_archE906ELNS1_3gpuE6ELNS1_3repE0EEENS1_30default_config_static_selectorELNS0_4arch9wavefront6targetE0EEEvT1_.has_recursion, 0
	.set _ZN7rocprim17ROCPRIM_400000_NS6detail17trampoline_kernelINS0_14default_configENS1_25partition_config_selectorILNS1_17partition_subalgoE9EllbEEZZNS1_14partition_implILS5_9ELb0ES3_jPlS8_PNS0_10empty_typeENS0_5tupleIJS8_S9_EEENSB_IJS8_SA_EEENS0_18inequality_wrapperIZN2at6native12_GLOBAL__N_124unique_dim_cuda_templateIbEESt5tupleIJNSF_6TensorESK_SK_EERKSK_lbbbEUlllE0_EEPmJS9_EEE10hipError_tPvRmT3_T4_T5_T6_T7_T9_mT8_P12ihipStream_tbDpT10_ENKUlT_T0_E_clISt17integral_constantIbLb0EES19_IbLb1EEEEDaS15_S16_EUlS15_E_NS1_11comp_targetILNS1_3genE2ELNS1_11target_archE906ELNS1_3gpuE6ELNS1_3repE0EEENS1_30default_config_static_selectorELNS0_4arch9wavefront6targetE0EEEvT1_.has_indirect_call, 0
	.section	.AMDGPU.csdata,"",@progbits
; Kernel info:
; codeLenInByte = 0
; TotalNumSgprs: 0
; NumVgprs: 0
; ScratchSize: 0
; MemoryBound: 0
; FloatMode: 240
; IeeeMode: 1
; LDSByteSize: 0 bytes/workgroup (compile time only)
; SGPRBlocks: 0
; VGPRBlocks: 0
; NumSGPRsForWavesPerEU: 1
; NumVGPRsForWavesPerEU: 1
; NamedBarCnt: 0
; Occupancy: 16
; WaveLimiterHint : 0
; COMPUTE_PGM_RSRC2:SCRATCH_EN: 0
; COMPUTE_PGM_RSRC2:USER_SGPR: 2
; COMPUTE_PGM_RSRC2:TRAP_HANDLER: 0
; COMPUTE_PGM_RSRC2:TGID_X_EN: 1
; COMPUTE_PGM_RSRC2:TGID_Y_EN: 0
; COMPUTE_PGM_RSRC2:TGID_Z_EN: 0
; COMPUTE_PGM_RSRC2:TIDIG_COMP_CNT: 0
	.section	.text._ZN7rocprim17ROCPRIM_400000_NS6detail17trampoline_kernelINS0_14default_configENS1_25partition_config_selectorILNS1_17partition_subalgoE9EllbEEZZNS1_14partition_implILS5_9ELb0ES3_jPlS8_PNS0_10empty_typeENS0_5tupleIJS8_S9_EEENSB_IJS8_SA_EEENS0_18inequality_wrapperIZN2at6native12_GLOBAL__N_124unique_dim_cuda_templateIbEESt5tupleIJNSF_6TensorESK_SK_EERKSK_lbbbEUlllE0_EEPmJS9_EEE10hipError_tPvRmT3_T4_T5_T6_T7_T9_mT8_P12ihipStream_tbDpT10_ENKUlT_T0_E_clISt17integral_constantIbLb0EES19_IbLb1EEEEDaS15_S16_EUlS15_E_NS1_11comp_targetILNS1_3genE10ELNS1_11target_archE1200ELNS1_3gpuE4ELNS1_3repE0EEENS1_30default_config_static_selectorELNS0_4arch9wavefront6targetE0EEEvT1_,"axG",@progbits,_ZN7rocprim17ROCPRIM_400000_NS6detail17trampoline_kernelINS0_14default_configENS1_25partition_config_selectorILNS1_17partition_subalgoE9EllbEEZZNS1_14partition_implILS5_9ELb0ES3_jPlS8_PNS0_10empty_typeENS0_5tupleIJS8_S9_EEENSB_IJS8_SA_EEENS0_18inequality_wrapperIZN2at6native12_GLOBAL__N_124unique_dim_cuda_templateIbEESt5tupleIJNSF_6TensorESK_SK_EERKSK_lbbbEUlllE0_EEPmJS9_EEE10hipError_tPvRmT3_T4_T5_T6_T7_T9_mT8_P12ihipStream_tbDpT10_ENKUlT_T0_E_clISt17integral_constantIbLb0EES19_IbLb1EEEEDaS15_S16_EUlS15_E_NS1_11comp_targetILNS1_3genE10ELNS1_11target_archE1200ELNS1_3gpuE4ELNS1_3repE0EEENS1_30default_config_static_selectorELNS0_4arch9wavefront6targetE0EEEvT1_,comdat
	.globl	_ZN7rocprim17ROCPRIM_400000_NS6detail17trampoline_kernelINS0_14default_configENS1_25partition_config_selectorILNS1_17partition_subalgoE9EllbEEZZNS1_14partition_implILS5_9ELb0ES3_jPlS8_PNS0_10empty_typeENS0_5tupleIJS8_S9_EEENSB_IJS8_SA_EEENS0_18inequality_wrapperIZN2at6native12_GLOBAL__N_124unique_dim_cuda_templateIbEESt5tupleIJNSF_6TensorESK_SK_EERKSK_lbbbEUlllE0_EEPmJS9_EEE10hipError_tPvRmT3_T4_T5_T6_T7_T9_mT8_P12ihipStream_tbDpT10_ENKUlT_T0_E_clISt17integral_constantIbLb0EES19_IbLb1EEEEDaS15_S16_EUlS15_E_NS1_11comp_targetILNS1_3genE10ELNS1_11target_archE1200ELNS1_3gpuE4ELNS1_3repE0EEENS1_30default_config_static_selectorELNS0_4arch9wavefront6targetE0EEEvT1_ ; -- Begin function _ZN7rocprim17ROCPRIM_400000_NS6detail17trampoline_kernelINS0_14default_configENS1_25partition_config_selectorILNS1_17partition_subalgoE9EllbEEZZNS1_14partition_implILS5_9ELb0ES3_jPlS8_PNS0_10empty_typeENS0_5tupleIJS8_S9_EEENSB_IJS8_SA_EEENS0_18inequality_wrapperIZN2at6native12_GLOBAL__N_124unique_dim_cuda_templateIbEESt5tupleIJNSF_6TensorESK_SK_EERKSK_lbbbEUlllE0_EEPmJS9_EEE10hipError_tPvRmT3_T4_T5_T6_T7_T9_mT8_P12ihipStream_tbDpT10_ENKUlT_T0_E_clISt17integral_constantIbLb0EES19_IbLb1EEEEDaS15_S16_EUlS15_E_NS1_11comp_targetILNS1_3genE10ELNS1_11target_archE1200ELNS1_3gpuE4ELNS1_3repE0EEENS1_30default_config_static_selectorELNS0_4arch9wavefront6targetE0EEEvT1_
	.p2align	8
	.type	_ZN7rocprim17ROCPRIM_400000_NS6detail17trampoline_kernelINS0_14default_configENS1_25partition_config_selectorILNS1_17partition_subalgoE9EllbEEZZNS1_14partition_implILS5_9ELb0ES3_jPlS8_PNS0_10empty_typeENS0_5tupleIJS8_S9_EEENSB_IJS8_SA_EEENS0_18inequality_wrapperIZN2at6native12_GLOBAL__N_124unique_dim_cuda_templateIbEESt5tupleIJNSF_6TensorESK_SK_EERKSK_lbbbEUlllE0_EEPmJS9_EEE10hipError_tPvRmT3_T4_T5_T6_T7_T9_mT8_P12ihipStream_tbDpT10_ENKUlT_T0_E_clISt17integral_constantIbLb0EES19_IbLb1EEEEDaS15_S16_EUlS15_E_NS1_11comp_targetILNS1_3genE10ELNS1_11target_archE1200ELNS1_3gpuE4ELNS1_3repE0EEENS1_30default_config_static_selectorELNS0_4arch9wavefront6targetE0EEEvT1_,@function
_ZN7rocprim17ROCPRIM_400000_NS6detail17trampoline_kernelINS0_14default_configENS1_25partition_config_selectorILNS1_17partition_subalgoE9EllbEEZZNS1_14partition_implILS5_9ELb0ES3_jPlS8_PNS0_10empty_typeENS0_5tupleIJS8_S9_EEENSB_IJS8_SA_EEENS0_18inequality_wrapperIZN2at6native12_GLOBAL__N_124unique_dim_cuda_templateIbEESt5tupleIJNSF_6TensorESK_SK_EERKSK_lbbbEUlllE0_EEPmJS9_EEE10hipError_tPvRmT3_T4_T5_T6_T7_T9_mT8_P12ihipStream_tbDpT10_ENKUlT_T0_E_clISt17integral_constantIbLb0EES19_IbLb1EEEEDaS15_S16_EUlS15_E_NS1_11comp_targetILNS1_3genE10ELNS1_11target_archE1200ELNS1_3gpuE4ELNS1_3repE0EEENS1_30default_config_static_selectorELNS0_4arch9wavefront6targetE0EEEvT1_: ; @_ZN7rocprim17ROCPRIM_400000_NS6detail17trampoline_kernelINS0_14default_configENS1_25partition_config_selectorILNS1_17partition_subalgoE9EllbEEZZNS1_14partition_implILS5_9ELb0ES3_jPlS8_PNS0_10empty_typeENS0_5tupleIJS8_S9_EEENSB_IJS8_SA_EEENS0_18inequality_wrapperIZN2at6native12_GLOBAL__N_124unique_dim_cuda_templateIbEESt5tupleIJNSF_6TensorESK_SK_EERKSK_lbbbEUlllE0_EEPmJS9_EEE10hipError_tPvRmT3_T4_T5_T6_T7_T9_mT8_P12ihipStream_tbDpT10_ENKUlT_T0_E_clISt17integral_constantIbLb0EES19_IbLb1EEEEDaS15_S16_EUlS15_E_NS1_11comp_targetILNS1_3genE10ELNS1_11target_archE1200ELNS1_3gpuE4ELNS1_3repE0EEENS1_30default_config_static_selectorELNS0_4arch9wavefront6targetE0EEEvT1_
; %bb.0:
	.section	.rodata,"a",@progbits
	.p2align	6, 0x0
	.amdhsa_kernel _ZN7rocprim17ROCPRIM_400000_NS6detail17trampoline_kernelINS0_14default_configENS1_25partition_config_selectorILNS1_17partition_subalgoE9EllbEEZZNS1_14partition_implILS5_9ELb0ES3_jPlS8_PNS0_10empty_typeENS0_5tupleIJS8_S9_EEENSB_IJS8_SA_EEENS0_18inequality_wrapperIZN2at6native12_GLOBAL__N_124unique_dim_cuda_templateIbEESt5tupleIJNSF_6TensorESK_SK_EERKSK_lbbbEUlllE0_EEPmJS9_EEE10hipError_tPvRmT3_T4_T5_T6_T7_T9_mT8_P12ihipStream_tbDpT10_ENKUlT_T0_E_clISt17integral_constantIbLb0EES19_IbLb1EEEEDaS15_S16_EUlS15_E_NS1_11comp_targetILNS1_3genE10ELNS1_11target_archE1200ELNS1_3gpuE4ELNS1_3repE0EEENS1_30default_config_static_selectorELNS0_4arch9wavefront6targetE0EEEvT1_
		.amdhsa_group_segment_fixed_size 0
		.amdhsa_private_segment_fixed_size 0
		.amdhsa_kernarg_size 136
		.amdhsa_user_sgpr_count 2
		.amdhsa_user_sgpr_dispatch_ptr 0
		.amdhsa_user_sgpr_queue_ptr 0
		.amdhsa_user_sgpr_kernarg_segment_ptr 1
		.amdhsa_user_sgpr_dispatch_id 0
		.amdhsa_user_sgpr_kernarg_preload_length 0
		.amdhsa_user_sgpr_kernarg_preload_offset 0
		.amdhsa_user_sgpr_private_segment_size 0
		.amdhsa_wavefront_size32 1
		.amdhsa_uses_dynamic_stack 0
		.amdhsa_enable_private_segment 0
		.amdhsa_system_sgpr_workgroup_id_x 1
		.amdhsa_system_sgpr_workgroup_id_y 0
		.amdhsa_system_sgpr_workgroup_id_z 0
		.amdhsa_system_sgpr_workgroup_info 0
		.amdhsa_system_vgpr_workitem_id 0
		.amdhsa_next_free_vgpr 1
		.amdhsa_next_free_sgpr 1
		.amdhsa_named_barrier_count 0
		.amdhsa_reserve_vcc 0
		.amdhsa_float_round_mode_32 0
		.amdhsa_float_round_mode_16_64 0
		.amdhsa_float_denorm_mode_32 3
		.amdhsa_float_denorm_mode_16_64 3
		.amdhsa_fp16_overflow 0
		.amdhsa_memory_ordered 1
		.amdhsa_forward_progress 1
		.amdhsa_inst_pref_size 0
		.amdhsa_round_robin_scheduling 0
		.amdhsa_exception_fp_ieee_invalid_op 0
		.amdhsa_exception_fp_denorm_src 0
		.amdhsa_exception_fp_ieee_div_zero 0
		.amdhsa_exception_fp_ieee_overflow 0
		.amdhsa_exception_fp_ieee_underflow 0
		.amdhsa_exception_fp_ieee_inexact 0
		.amdhsa_exception_int_div_zero 0
	.end_amdhsa_kernel
	.section	.text._ZN7rocprim17ROCPRIM_400000_NS6detail17trampoline_kernelINS0_14default_configENS1_25partition_config_selectorILNS1_17partition_subalgoE9EllbEEZZNS1_14partition_implILS5_9ELb0ES3_jPlS8_PNS0_10empty_typeENS0_5tupleIJS8_S9_EEENSB_IJS8_SA_EEENS0_18inequality_wrapperIZN2at6native12_GLOBAL__N_124unique_dim_cuda_templateIbEESt5tupleIJNSF_6TensorESK_SK_EERKSK_lbbbEUlllE0_EEPmJS9_EEE10hipError_tPvRmT3_T4_T5_T6_T7_T9_mT8_P12ihipStream_tbDpT10_ENKUlT_T0_E_clISt17integral_constantIbLb0EES19_IbLb1EEEEDaS15_S16_EUlS15_E_NS1_11comp_targetILNS1_3genE10ELNS1_11target_archE1200ELNS1_3gpuE4ELNS1_3repE0EEENS1_30default_config_static_selectorELNS0_4arch9wavefront6targetE0EEEvT1_,"axG",@progbits,_ZN7rocprim17ROCPRIM_400000_NS6detail17trampoline_kernelINS0_14default_configENS1_25partition_config_selectorILNS1_17partition_subalgoE9EllbEEZZNS1_14partition_implILS5_9ELb0ES3_jPlS8_PNS0_10empty_typeENS0_5tupleIJS8_S9_EEENSB_IJS8_SA_EEENS0_18inequality_wrapperIZN2at6native12_GLOBAL__N_124unique_dim_cuda_templateIbEESt5tupleIJNSF_6TensorESK_SK_EERKSK_lbbbEUlllE0_EEPmJS9_EEE10hipError_tPvRmT3_T4_T5_T6_T7_T9_mT8_P12ihipStream_tbDpT10_ENKUlT_T0_E_clISt17integral_constantIbLb0EES19_IbLb1EEEEDaS15_S16_EUlS15_E_NS1_11comp_targetILNS1_3genE10ELNS1_11target_archE1200ELNS1_3gpuE4ELNS1_3repE0EEENS1_30default_config_static_selectorELNS0_4arch9wavefront6targetE0EEEvT1_,comdat
.Lfunc_end1112:
	.size	_ZN7rocprim17ROCPRIM_400000_NS6detail17trampoline_kernelINS0_14default_configENS1_25partition_config_selectorILNS1_17partition_subalgoE9EllbEEZZNS1_14partition_implILS5_9ELb0ES3_jPlS8_PNS0_10empty_typeENS0_5tupleIJS8_S9_EEENSB_IJS8_SA_EEENS0_18inequality_wrapperIZN2at6native12_GLOBAL__N_124unique_dim_cuda_templateIbEESt5tupleIJNSF_6TensorESK_SK_EERKSK_lbbbEUlllE0_EEPmJS9_EEE10hipError_tPvRmT3_T4_T5_T6_T7_T9_mT8_P12ihipStream_tbDpT10_ENKUlT_T0_E_clISt17integral_constantIbLb0EES19_IbLb1EEEEDaS15_S16_EUlS15_E_NS1_11comp_targetILNS1_3genE10ELNS1_11target_archE1200ELNS1_3gpuE4ELNS1_3repE0EEENS1_30default_config_static_selectorELNS0_4arch9wavefront6targetE0EEEvT1_, .Lfunc_end1112-_ZN7rocprim17ROCPRIM_400000_NS6detail17trampoline_kernelINS0_14default_configENS1_25partition_config_selectorILNS1_17partition_subalgoE9EllbEEZZNS1_14partition_implILS5_9ELb0ES3_jPlS8_PNS0_10empty_typeENS0_5tupleIJS8_S9_EEENSB_IJS8_SA_EEENS0_18inequality_wrapperIZN2at6native12_GLOBAL__N_124unique_dim_cuda_templateIbEESt5tupleIJNSF_6TensorESK_SK_EERKSK_lbbbEUlllE0_EEPmJS9_EEE10hipError_tPvRmT3_T4_T5_T6_T7_T9_mT8_P12ihipStream_tbDpT10_ENKUlT_T0_E_clISt17integral_constantIbLb0EES19_IbLb1EEEEDaS15_S16_EUlS15_E_NS1_11comp_targetILNS1_3genE10ELNS1_11target_archE1200ELNS1_3gpuE4ELNS1_3repE0EEENS1_30default_config_static_selectorELNS0_4arch9wavefront6targetE0EEEvT1_
                                        ; -- End function
	.set _ZN7rocprim17ROCPRIM_400000_NS6detail17trampoline_kernelINS0_14default_configENS1_25partition_config_selectorILNS1_17partition_subalgoE9EllbEEZZNS1_14partition_implILS5_9ELb0ES3_jPlS8_PNS0_10empty_typeENS0_5tupleIJS8_S9_EEENSB_IJS8_SA_EEENS0_18inequality_wrapperIZN2at6native12_GLOBAL__N_124unique_dim_cuda_templateIbEESt5tupleIJNSF_6TensorESK_SK_EERKSK_lbbbEUlllE0_EEPmJS9_EEE10hipError_tPvRmT3_T4_T5_T6_T7_T9_mT8_P12ihipStream_tbDpT10_ENKUlT_T0_E_clISt17integral_constantIbLb0EES19_IbLb1EEEEDaS15_S16_EUlS15_E_NS1_11comp_targetILNS1_3genE10ELNS1_11target_archE1200ELNS1_3gpuE4ELNS1_3repE0EEENS1_30default_config_static_selectorELNS0_4arch9wavefront6targetE0EEEvT1_.num_vgpr, 0
	.set _ZN7rocprim17ROCPRIM_400000_NS6detail17trampoline_kernelINS0_14default_configENS1_25partition_config_selectorILNS1_17partition_subalgoE9EllbEEZZNS1_14partition_implILS5_9ELb0ES3_jPlS8_PNS0_10empty_typeENS0_5tupleIJS8_S9_EEENSB_IJS8_SA_EEENS0_18inequality_wrapperIZN2at6native12_GLOBAL__N_124unique_dim_cuda_templateIbEESt5tupleIJNSF_6TensorESK_SK_EERKSK_lbbbEUlllE0_EEPmJS9_EEE10hipError_tPvRmT3_T4_T5_T6_T7_T9_mT8_P12ihipStream_tbDpT10_ENKUlT_T0_E_clISt17integral_constantIbLb0EES19_IbLb1EEEEDaS15_S16_EUlS15_E_NS1_11comp_targetILNS1_3genE10ELNS1_11target_archE1200ELNS1_3gpuE4ELNS1_3repE0EEENS1_30default_config_static_selectorELNS0_4arch9wavefront6targetE0EEEvT1_.num_agpr, 0
	.set _ZN7rocprim17ROCPRIM_400000_NS6detail17trampoline_kernelINS0_14default_configENS1_25partition_config_selectorILNS1_17partition_subalgoE9EllbEEZZNS1_14partition_implILS5_9ELb0ES3_jPlS8_PNS0_10empty_typeENS0_5tupleIJS8_S9_EEENSB_IJS8_SA_EEENS0_18inequality_wrapperIZN2at6native12_GLOBAL__N_124unique_dim_cuda_templateIbEESt5tupleIJNSF_6TensorESK_SK_EERKSK_lbbbEUlllE0_EEPmJS9_EEE10hipError_tPvRmT3_T4_T5_T6_T7_T9_mT8_P12ihipStream_tbDpT10_ENKUlT_T0_E_clISt17integral_constantIbLb0EES19_IbLb1EEEEDaS15_S16_EUlS15_E_NS1_11comp_targetILNS1_3genE10ELNS1_11target_archE1200ELNS1_3gpuE4ELNS1_3repE0EEENS1_30default_config_static_selectorELNS0_4arch9wavefront6targetE0EEEvT1_.numbered_sgpr, 0
	.set _ZN7rocprim17ROCPRIM_400000_NS6detail17trampoline_kernelINS0_14default_configENS1_25partition_config_selectorILNS1_17partition_subalgoE9EllbEEZZNS1_14partition_implILS5_9ELb0ES3_jPlS8_PNS0_10empty_typeENS0_5tupleIJS8_S9_EEENSB_IJS8_SA_EEENS0_18inequality_wrapperIZN2at6native12_GLOBAL__N_124unique_dim_cuda_templateIbEESt5tupleIJNSF_6TensorESK_SK_EERKSK_lbbbEUlllE0_EEPmJS9_EEE10hipError_tPvRmT3_T4_T5_T6_T7_T9_mT8_P12ihipStream_tbDpT10_ENKUlT_T0_E_clISt17integral_constantIbLb0EES19_IbLb1EEEEDaS15_S16_EUlS15_E_NS1_11comp_targetILNS1_3genE10ELNS1_11target_archE1200ELNS1_3gpuE4ELNS1_3repE0EEENS1_30default_config_static_selectorELNS0_4arch9wavefront6targetE0EEEvT1_.num_named_barrier, 0
	.set _ZN7rocprim17ROCPRIM_400000_NS6detail17trampoline_kernelINS0_14default_configENS1_25partition_config_selectorILNS1_17partition_subalgoE9EllbEEZZNS1_14partition_implILS5_9ELb0ES3_jPlS8_PNS0_10empty_typeENS0_5tupleIJS8_S9_EEENSB_IJS8_SA_EEENS0_18inequality_wrapperIZN2at6native12_GLOBAL__N_124unique_dim_cuda_templateIbEESt5tupleIJNSF_6TensorESK_SK_EERKSK_lbbbEUlllE0_EEPmJS9_EEE10hipError_tPvRmT3_T4_T5_T6_T7_T9_mT8_P12ihipStream_tbDpT10_ENKUlT_T0_E_clISt17integral_constantIbLb0EES19_IbLb1EEEEDaS15_S16_EUlS15_E_NS1_11comp_targetILNS1_3genE10ELNS1_11target_archE1200ELNS1_3gpuE4ELNS1_3repE0EEENS1_30default_config_static_selectorELNS0_4arch9wavefront6targetE0EEEvT1_.private_seg_size, 0
	.set _ZN7rocprim17ROCPRIM_400000_NS6detail17trampoline_kernelINS0_14default_configENS1_25partition_config_selectorILNS1_17partition_subalgoE9EllbEEZZNS1_14partition_implILS5_9ELb0ES3_jPlS8_PNS0_10empty_typeENS0_5tupleIJS8_S9_EEENSB_IJS8_SA_EEENS0_18inequality_wrapperIZN2at6native12_GLOBAL__N_124unique_dim_cuda_templateIbEESt5tupleIJNSF_6TensorESK_SK_EERKSK_lbbbEUlllE0_EEPmJS9_EEE10hipError_tPvRmT3_T4_T5_T6_T7_T9_mT8_P12ihipStream_tbDpT10_ENKUlT_T0_E_clISt17integral_constantIbLb0EES19_IbLb1EEEEDaS15_S16_EUlS15_E_NS1_11comp_targetILNS1_3genE10ELNS1_11target_archE1200ELNS1_3gpuE4ELNS1_3repE0EEENS1_30default_config_static_selectorELNS0_4arch9wavefront6targetE0EEEvT1_.uses_vcc, 0
	.set _ZN7rocprim17ROCPRIM_400000_NS6detail17trampoline_kernelINS0_14default_configENS1_25partition_config_selectorILNS1_17partition_subalgoE9EllbEEZZNS1_14partition_implILS5_9ELb0ES3_jPlS8_PNS0_10empty_typeENS0_5tupleIJS8_S9_EEENSB_IJS8_SA_EEENS0_18inequality_wrapperIZN2at6native12_GLOBAL__N_124unique_dim_cuda_templateIbEESt5tupleIJNSF_6TensorESK_SK_EERKSK_lbbbEUlllE0_EEPmJS9_EEE10hipError_tPvRmT3_T4_T5_T6_T7_T9_mT8_P12ihipStream_tbDpT10_ENKUlT_T0_E_clISt17integral_constantIbLb0EES19_IbLb1EEEEDaS15_S16_EUlS15_E_NS1_11comp_targetILNS1_3genE10ELNS1_11target_archE1200ELNS1_3gpuE4ELNS1_3repE0EEENS1_30default_config_static_selectorELNS0_4arch9wavefront6targetE0EEEvT1_.uses_flat_scratch, 0
	.set _ZN7rocprim17ROCPRIM_400000_NS6detail17trampoline_kernelINS0_14default_configENS1_25partition_config_selectorILNS1_17partition_subalgoE9EllbEEZZNS1_14partition_implILS5_9ELb0ES3_jPlS8_PNS0_10empty_typeENS0_5tupleIJS8_S9_EEENSB_IJS8_SA_EEENS0_18inequality_wrapperIZN2at6native12_GLOBAL__N_124unique_dim_cuda_templateIbEESt5tupleIJNSF_6TensorESK_SK_EERKSK_lbbbEUlllE0_EEPmJS9_EEE10hipError_tPvRmT3_T4_T5_T6_T7_T9_mT8_P12ihipStream_tbDpT10_ENKUlT_T0_E_clISt17integral_constantIbLb0EES19_IbLb1EEEEDaS15_S16_EUlS15_E_NS1_11comp_targetILNS1_3genE10ELNS1_11target_archE1200ELNS1_3gpuE4ELNS1_3repE0EEENS1_30default_config_static_selectorELNS0_4arch9wavefront6targetE0EEEvT1_.has_dyn_sized_stack, 0
	.set _ZN7rocprim17ROCPRIM_400000_NS6detail17trampoline_kernelINS0_14default_configENS1_25partition_config_selectorILNS1_17partition_subalgoE9EllbEEZZNS1_14partition_implILS5_9ELb0ES3_jPlS8_PNS0_10empty_typeENS0_5tupleIJS8_S9_EEENSB_IJS8_SA_EEENS0_18inequality_wrapperIZN2at6native12_GLOBAL__N_124unique_dim_cuda_templateIbEESt5tupleIJNSF_6TensorESK_SK_EERKSK_lbbbEUlllE0_EEPmJS9_EEE10hipError_tPvRmT3_T4_T5_T6_T7_T9_mT8_P12ihipStream_tbDpT10_ENKUlT_T0_E_clISt17integral_constantIbLb0EES19_IbLb1EEEEDaS15_S16_EUlS15_E_NS1_11comp_targetILNS1_3genE10ELNS1_11target_archE1200ELNS1_3gpuE4ELNS1_3repE0EEENS1_30default_config_static_selectorELNS0_4arch9wavefront6targetE0EEEvT1_.has_recursion, 0
	.set _ZN7rocprim17ROCPRIM_400000_NS6detail17trampoline_kernelINS0_14default_configENS1_25partition_config_selectorILNS1_17partition_subalgoE9EllbEEZZNS1_14partition_implILS5_9ELb0ES3_jPlS8_PNS0_10empty_typeENS0_5tupleIJS8_S9_EEENSB_IJS8_SA_EEENS0_18inequality_wrapperIZN2at6native12_GLOBAL__N_124unique_dim_cuda_templateIbEESt5tupleIJNSF_6TensorESK_SK_EERKSK_lbbbEUlllE0_EEPmJS9_EEE10hipError_tPvRmT3_T4_T5_T6_T7_T9_mT8_P12ihipStream_tbDpT10_ENKUlT_T0_E_clISt17integral_constantIbLb0EES19_IbLb1EEEEDaS15_S16_EUlS15_E_NS1_11comp_targetILNS1_3genE10ELNS1_11target_archE1200ELNS1_3gpuE4ELNS1_3repE0EEENS1_30default_config_static_selectorELNS0_4arch9wavefront6targetE0EEEvT1_.has_indirect_call, 0
	.section	.AMDGPU.csdata,"",@progbits
; Kernel info:
; codeLenInByte = 0
; TotalNumSgprs: 0
; NumVgprs: 0
; ScratchSize: 0
; MemoryBound: 0
; FloatMode: 240
; IeeeMode: 1
; LDSByteSize: 0 bytes/workgroup (compile time only)
; SGPRBlocks: 0
; VGPRBlocks: 0
; NumSGPRsForWavesPerEU: 1
; NumVGPRsForWavesPerEU: 1
; NamedBarCnt: 0
; Occupancy: 16
; WaveLimiterHint : 0
; COMPUTE_PGM_RSRC2:SCRATCH_EN: 0
; COMPUTE_PGM_RSRC2:USER_SGPR: 2
; COMPUTE_PGM_RSRC2:TRAP_HANDLER: 0
; COMPUTE_PGM_RSRC2:TGID_X_EN: 1
; COMPUTE_PGM_RSRC2:TGID_Y_EN: 0
; COMPUTE_PGM_RSRC2:TGID_Z_EN: 0
; COMPUTE_PGM_RSRC2:TIDIG_COMP_CNT: 0
	.section	.text._ZN7rocprim17ROCPRIM_400000_NS6detail17trampoline_kernelINS0_14default_configENS1_25partition_config_selectorILNS1_17partition_subalgoE9EllbEEZZNS1_14partition_implILS5_9ELb0ES3_jPlS8_PNS0_10empty_typeENS0_5tupleIJS8_S9_EEENSB_IJS8_SA_EEENS0_18inequality_wrapperIZN2at6native12_GLOBAL__N_124unique_dim_cuda_templateIbEESt5tupleIJNSF_6TensorESK_SK_EERKSK_lbbbEUlllE0_EEPmJS9_EEE10hipError_tPvRmT3_T4_T5_T6_T7_T9_mT8_P12ihipStream_tbDpT10_ENKUlT_T0_E_clISt17integral_constantIbLb0EES19_IbLb1EEEEDaS15_S16_EUlS15_E_NS1_11comp_targetILNS1_3genE9ELNS1_11target_archE1100ELNS1_3gpuE3ELNS1_3repE0EEENS1_30default_config_static_selectorELNS0_4arch9wavefront6targetE0EEEvT1_,"axG",@progbits,_ZN7rocprim17ROCPRIM_400000_NS6detail17trampoline_kernelINS0_14default_configENS1_25partition_config_selectorILNS1_17partition_subalgoE9EllbEEZZNS1_14partition_implILS5_9ELb0ES3_jPlS8_PNS0_10empty_typeENS0_5tupleIJS8_S9_EEENSB_IJS8_SA_EEENS0_18inequality_wrapperIZN2at6native12_GLOBAL__N_124unique_dim_cuda_templateIbEESt5tupleIJNSF_6TensorESK_SK_EERKSK_lbbbEUlllE0_EEPmJS9_EEE10hipError_tPvRmT3_T4_T5_T6_T7_T9_mT8_P12ihipStream_tbDpT10_ENKUlT_T0_E_clISt17integral_constantIbLb0EES19_IbLb1EEEEDaS15_S16_EUlS15_E_NS1_11comp_targetILNS1_3genE9ELNS1_11target_archE1100ELNS1_3gpuE3ELNS1_3repE0EEENS1_30default_config_static_selectorELNS0_4arch9wavefront6targetE0EEEvT1_,comdat
	.globl	_ZN7rocprim17ROCPRIM_400000_NS6detail17trampoline_kernelINS0_14default_configENS1_25partition_config_selectorILNS1_17partition_subalgoE9EllbEEZZNS1_14partition_implILS5_9ELb0ES3_jPlS8_PNS0_10empty_typeENS0_5tupleIJS8_S9_EEENSB_IJS8_SA_EEENS0_18inequality_wrapperIZN2at6native12_GLOBAL__N_124unique_dim_cuda_templateIbEESt5tupleIJNSF_6TensorESK_SK_EERKSK_lbbbEUlllE0_EEPmJS9_EEE10hipError_tPvRmT3_T4_T5_T6_T7_T9_mT8_P12ihipStream_tbDpT10_ENKUlT_T0_E_clISt17integral_constantIbLb0EES19_IbLb1EEEEDaS15_S16_EUlS15_E_NS1_11comp_targetILNS1_3genE9ELNS1_11target_archE1100ELNS1_3gpuE3ELNS1_3repE0EEENS1_30default_config_static_selectorELNS0_4arch9wavefront6targetE0EEEvT1_ ; -- Begin function _ZN7rocprim17ROCPRIM_400000_NS6detail17trampoline_kernelINS0_14default_configENS1_25partition_config_selectorILNS1_17partition_subalgoE9EllbEEZZNS1_14partition_implILS5_9ELb0ES3_jPlS8_PNS0_10empty_typeENS0_5tupleIJS8_S9_EEENSB_IJS8_SA_EEENS0_18inequality_wrapperIZN2at6native12_GLOBAL__N_124unique_dim_cuda_templateIbEESt5tupleIJNSF_6TensorESK_SK_EERKSK_lbbbEUlllE0_EEPmJS9_EEE10hipError_tPvRmT3_T4_T5_T6_T7_T9_mT8_P12ihipStream_tbDpT10_ENKUlT_T0_E_clISt17integral_constantIbLb0EES19_IbLb1EEEEDaS15_S16_EUlS15_E_NS1_11comp_targetILNS1_3genE9ELNS1_11target_archE1100ELNS1_3gpuE3ELNS1_3repE0EEENS1_30default_config_static_selectorELNS0_4arch9wavefront6targetE0EEEvT1_
	.p2align	8
	.type	_ZN7rocprim17ROCPRIM_400000_NS6detail17trampoline_kernelINS0_14default_configENS1_25partition_config_selectorILNS1_17partition_subalgoE9EllbEEZZNS1_14partition_implILS5_9ELb0ES3_jPlS8_PNS0_10empty_typeENS0_5tupleIJS8_S9_EEENSB_IJS8_SA_EEENS0_18inequality_wrapperIZN2at6native12_GLOBAL__N_124unique_dim_cuda_templateIbEESt5tupleIJNSF_6TensorESK_SK_EERKSK_lbbbEUlllE0_EEPmJS9_EEE10hipError_tPvRmT3_T4_T5_T6_T7_T9_mT8_P12ihipStream_tbDpT10_ENKUlT_T0_E_clISt17integral_constantIbLb0EES19_IbLb1EEEEDaS15_S16_EUlS15_E_NS1_11comp_targetILNS1_3genE9ELNS1_11target_archE1100ELNS1_3gpuE3ELNS1_3repE0EEENS1_30default_config_static_selectorELNS0_4arch9wavefront6targetE0EEEvT1_,@function
_ZN7rocprim17ROCPRIM_400000_NS6detail17trampoline_kernelINS0_14default_configENS1_25partition_config_selectorILNS1_17partition_subalgoE9EllbEEZZNS1_14partition_implILS5_9ELb0ES3_jPlS8_PNS0_10empty_typeENS0_5tupleIJS8_S9_EEENSB_IJS8_SA_EEENS0_18inequality_wrapperIZN2at6native12_GLOBAL__N_124unique_dim_cuda_templateIbEESt5tupleIJNSF_6TensorESK_SK_EERKSK_lbbbEUlllE0_EEPmJS9_EEE10hipError_tPvRmT3_T4_T5_T6_T7_T9_mT8_P12ihipStream_tbDpT10_ENKUlT_T0_E_clISt17integral_constantIbLb0EES19_IbLb1EEEEDaS15_S16_EUlS15_E_NS1_11comp_targetILNS1_3genE9ELNS1_11target_archE1100ELNS1_3gpuE3ELNS1_3repE0EEENS1_30default_config_static_selectorELNS0_4arch9wavefront6targetE0EEEvT1_: ; @_ZN7rocprim17ROCPRIM_400000_NS6detail17trampoline_kernelINS0_14default_configENS1_25partition_config_selectorILNS1_17partition_subalgoE9EllbEEZZNS1_14partition_implILS5_9ELb0ES3_jPlS8_PNS0_10empty_typeENS0_5tupleIJS8_S9_EEENSB_IJS8_SA_EEENS0_18inequality_wrapperIZN2at6native12_GLOBAL__N_124unique_dim_cuda_templateIbEESt5tupleIJNSF_6TensorESK_SK_EERKSK_lbbbEUlllE0_EEPmJS9_EEE10hipError_tPvRmT3_T4_T5_T6_T7_T9_mT8_P12ihipStream_tbDpT10_ENKUlT_T0_E_clISt17integral_constantIbLb0EES19_IbLb1EEEEDaS15_S16_EUlS15_E_NS1_11comp_targetILNS1_3genE9ELNS1_11target_archE1100ELNS1_3gpuE3ELNS1_3repE0EEENS1_30default_config_static_selectorELNS0_4arch9wavefront6targetE0EEEvT1_
; %bb.0:
	.section	.rodata,"a",@progbits
	.p2align	6, 0x0
	.amdhsa_kernel _ZN7rocprim17ROCPRIM_400000_NS6detail17trampoline_kernelINS0_14default_configENS1_25partition_config_selectorILNS1_17partition_subalgoE9EllbEEZZNS1_14partition_implILS5_9ELb0ES3_jPlS8_PNS0_10empty_typeENS0_5tupleIJS8_S9_EEENSB_IJS8_SA_EEENS0_18inequality_wrapperIZN2at6native12_GLOBAL__N_124unique_dim_cuda_templateIbEESt5tupleIJNSF_6TensorESK_SK_EERKSK_lbbbEUlllE0_EEPmJS9_EEE10hipError_tPvRmT3_T4_T5_T6_T7_T9_mT8_P12ihipStream_tbDpT10_ENKUlT_T0_E_clISt17integral_constantIbLb0EES19_IbLb1EEEEDaS15_S16_EUlS15_E_NS1_11comp_targetILNS1_3genE9ELNS1_11target_archE1100ELNS1_3gpuE3ELNS1_3repE0EEENS1_30default_config_static_selectorELNS0_4arch9wavefront6targetE0EEEvT1_
		.amdhsa_group_segment_fixed_size 0
		.amdhsa_private_segment_fixed_size 0
		.amdhsa_kernarg_size 136
		.amdhsa_user_sgpr_count 2
		.amdhsa_user_sgpr_dispatch_ptr 0
		.amdhsa_user_sgpr_queue_ptr 0
		.amdhsa_user_sgpr_kernarg_segment_ptr 1
		.amdhsa_user_sgpr_dispatch_id 0
		.amdhsa_user_sgpr_kernarg_preload_length 0
		.amdhsa_user_sgpr_kernarg_preload_offset 0
		.amdhsa_user_sgpr_private_segment_size 0
		.amdhsa_wavefront_size32 1
		.amdhsa_uses_dynamic_stack 0
		.amdhsa_enable_private_segment 0
		.amdhsa_system_sgpr_workgroup_id_x 1
		.amdhsa_system_sgpr_workgroup_id_y 0
		.amdhsa_system_sgpr_workgroup_id_z 0
		.amdhsa_system_sgpr_workgroup_info 0
		.amdhsa_system_vgpr_workitem_id 0
		.amdhsa_next_free_vgpr 1
		.amdhsa_next_free_sgpr 1
		.amdhsa_named_barrier_count 0
		.amdhsa_reserve_vcc 0
		.amdhsa_float_round_mode_32 0
		.amdhsa_float_round_mode_16_64 0
		.amdhsa_float_denorm_mode_32 3
		.amdhsa_float_denorm_mode_16_64 3
		.amdhsa_fp16_overflow 0
		.amdhsa_memory_ordered 1
		.amdhsa_forward_progress 1
		.amdhsa_inst_pref_size 0
		.amdhsa_round_robin_scheduling 0
		.amdhsa_exception_fp_ieee_invalid_op 0
		.amdhsa_exception_fp_denorm_src 0
		.amdhsa_exception_fp_ieee_div_zero 0
		.amdhsa_exception_fp_ieee_overflow 0
		.amdhsa_exception_fp_ieee_underflow 0
		.amdhsa_exception_fp_ieee_inexact 0
		.amdhsa_exception_int_div_zero 0
	.end_amdhsa_kernel
	.section	.text._ZN7rocprim17ROCPRIM_400000_NS6detail17trampoline_kernelINS0_14default_configENS1_25partition_config_selectorILNS1_17partition_subalgoE9EllbEEZZNS1_14partition_implILS5_9ELb0ES3_jPlS8_PNS0_10empty_typeENS0_5tupleIJS8_S9_EEENSB_IJS8_SA_EEENS0_18inequality_wrapperIZN2at6native12_GLOBAL__N_124unique_dim_cuda_templateIbEESt5tupleIJNSF_6TensorESK_SK_EERKSK_lbbbEUlllE0_EEPmJS9_EEE10hipError_tPvRmT3_T4_T5_T6_T7_T9_mT8_P12ihipStream_tbDpT10_ENKUlT_T0_E_clISt17integral_constantIbLb0EES19_IbLb1EEEEDaS15_S16_EUlS15_E_NS1_11comp_targetILNS1_3genE9ELNS1_11target_archE1100ELNS1_3gpuE3ELNS1_3repE0EEENS1_30default_config_static_selectorELNS0_4arch9wavefront6targetE0EEEvT1_,"axG",@progbits,_ZN7rocprim17ROCPRIM_400000_NS6detail17trampoline_kernelINS0_14default_configENS1_25partition_config_selectorILNS1_17partition_subalgoE9EllbEEZZNS1_14partition_implILS5_9ELb0ES3_jPlS8_PNS0_10empty_typeENS0_5tupleIJS8_S9_EEENSB_IJS8_SA_EEENS0_18inequality_wrapperIZN2at6native12_GLOBAL__N_124unique_dim_cuda_templateIbEESt5tupleIJNSF_6TensorESK_SK_EERKSK_lbbbEUlllE0_EEPmJS9_EEE10hipError_tPvRmT3_T4_T5_T6_T7_T9_mT8_P12ihipStream_tbDpT10_ENKUlT_T0_E_clISt17integral_constantIbLb0EES19_IbLb1EEEEDaS15_S16_EUlS15_E_NS1_11comp_targetILNS1_3genE9ELNS1_11target_archE1100ELNS1_3gpuE3ELNS1_3repE0EEENS1_30default_config_static_selectorELNS0_4arch9wavefront6targetE0EEEvT1_,comdat
.Lfunc_end1113:
	.size	_ZN7rocprim17ROCPRIM_400000_NS6detail17trampoline_kernelINS0_14default_configENS1_25partition_config_selectorILNS1_17partition_subalgoE9EllbEEZZNS1_14partition_implILS5_9ELb0ES3_jPlS8_PNS0_10empty_typeENS0_5tupleIJS8_S9_EEENSB_IJS8_SA_EEENS0_18inequality_wrapperIZN2at6native12_GLOBAL__N_124unique_dim_cuda_templateIbEESt5tupleIJNSF_6TensorESK_SK_EERKSK_lbbbEUlllE0_EEPmJS9_EEE10hipError_tPvRmT3_T4_T5_T6_T7_T9_mT8_P12ihipStream_tbDpT10_ENKUlT_T0_E_clISt17integral_constantIbLb0EES19_IbLb1EEEEDaS15_S16_EUlS15_E_NS1_11comp_targetILNS1_3genE9ELNS1_11target_archE1100ELNS1_3gpuE3ELNS1_3repE0EEENS1_30default_config_static_selectorELNS0_4arch9wavefront6targetE0EEEvT1_, .Lfunc_end1113-_ZN7rocprim17ROCPRIM_400000_NS6detail17trampoline_kernelINS0_14default_configENS1_25partition_config_selectorILNS1_17partition_subalgoE9EllbEEZZNS1_14partition_implILS5_9ELb0ES3_jPlS8_PNS0_10empty_typeENS0_5tupleIJS8_S9_EEENSB_IJS8_SA_EEENS0_18inequality_wrapperIZN2at6native12_GLOBAL__N_124unique_dim_cuda_templateIbEESt5tupleIJNSF_6TensorESK_SK_EERKSK_lbbbEUlllE0_EEPmJS9_EEE10hipError_tPvRmT3_T4_T5_T6_T7_T9_mT8_P12ihipStream_tbDpT10_ENKUlT_T0_E_clISt17integral_constantIbLb0EES19_IbLb1EEEEDaS15_S16_EUlS15_E_NS1_11comp_targetILNS1_3genE9ELNS1_11target_archE1100ELNS1_3gpuE3ELNS1_3repE0EEENS1_30default_config_static_selectorELNS0_4arch9wavefront6targetE0EEEvT1_
                                        ; -- End function
	.set _ZN7rocprim17ROCPRIM_400000_NS6detail17trampoline_kernelINS0_14default_configENS1_25partition_config_selectorILNS1_17partition_subalgoE9EllbEEZZNS1_14partition_implILS5_9ELb0ES3_jPlS8_PNS0_10empty_typeENS0_5tupleIJS8_S9_EEENSB_IJS8_SA_EEENS0_18inequality_wrapperIZN2at6native12_GLOBAL__N_124unique_dim_cuda_templateIbEESt5tupleIJNSF_6TensorESK_SK_EERKSK_lbbbEUlllE0_EEPmJS9_EEE10hipError_tPvRmT3_T4_T5_T6_T7_T9_mT8_P12ihipStream_tbDpT10_ENKUlT_T0_E_clISt17integral_constantIbLb0EES19_IbLb1EEEEDaS15_S16_EUlS15_E_NS1_11comp_targetILNS1_3genE9ELNS1_11target_archE1100ELNS1_3gpuE3ELNS1_3repE0EEENS1_30default_config_static_selectorELNS0_4arch9wavefront6targetE0EEEvT1_.num_vgpr, 0
	.set _ZN7rocprim17ROCPRIM_400000_NS6detail17trampoline_kernelINS0_14default_configENS1_25partition_config_selectorILNS1_17partition_subalgoE9EllbEEZZNS1_14partition_implILS5_9ELb0ES3_jPlS8_PNS0_10empty_typeENS0_5tupleIJS8_S9_EEENSB_IJS8_SA_EEENS0_18inequality_wrapperIZN2at6native12_GLOBAL__N_124unique_dim_cuda_templateIbEESt5tupleIJNSF_6TensorESK_SK_EERKSK_lbbbEUlllE0_EEPmJS9_EEE10hipError_tPvRmT3_T4_T5_T6_T7_T9_mT8_P12ihipStream_tbDpT10_ENKUlT_T0_E_clISt17integral_constantIbLb0EES19_IbLb1EEEEDaS15_S16_EUlS15_E_NS1_11comp_targetILNS1_3genE9ELNS1_11target_archE1100ELNS1_3gpuE3ELNS1_3repE0EEENS1_30default_config_static_selectorELNS0_4arch9wavefront6targetE0EEEvT1_.num_agpr, 0
	.set _ZN7rocprim17ROCPRIM_400000_NS6detail17trampoline_kernelINS0_14default_configENS1_25partition_config_selectorILNS1_17partition_subalgoE9EllbEEZZNS1_14partition_implILS5_9ELb0ES3_jPlS8_PNS0_10empty_typeENS0_5tupleIJS8_S9_EEENSB_IJS8_SA_EEENS0_18inequality_wrapperIZN2at6native12_GLOBAL__N_124unique_dim_cuda_templateIbEESt5tupleIJNSF_6TensorESK_SK_EERKSK_lbbbEUlllE0_EEPmJS9_EEE10hipError_tPvRmT3_T4_T5_T6_T7_T9_mT8_P12ihipStream_tbDpT10_ENKUlT_T0_E_clISt17integral_constantIbLb0EES19_IbLb1EEEEDaS15_S16_EUlS15_E_NS1_11comp_targetILNS1_3genE9ELNS1_11target_archE1100ELNS1_3gpuE3ELNS1_3repE0EEENS1_30default_config_static_selectorELNS0_4arch9wavefront6targetE0EEEvT1_.numbered_sgpr, 0
	.set _ZN7rocprim17ROCPRIM_400000_NS6detail17trampoline_kernelINS0_14default_configENS1_25partition_config_selectorILNS1_17partition_subalgoE9EllbEEZZNS1_14partition_implILS5_9ELb0ES3_jPlS8_PNS0_10empty_typeENS0_5tupleIJS8_S9_EEENSB_IJS8_SA_EEENS0_18inequality_wrapperIZN2at6native12_GLOBAL__N_124unique_dim_cuda_templateIbEESt5tupleIJNSF_6TensorESK_SK_EERKSK_lbbbEUlllE0_EEPmJS9_EEE10hipError_tPvRmT3_T4_T5_T6_T7_T9_mT8_P12ihipStream_tbDpT10_ENKUlT_T0_E_clISt17integral_constantIbLb0EES19_IbLb1EEEEDaS15_S16_EUlS15_E_NS1_11comp_targetILNS1_3genE9ELNS1_11target_archE1100ELNS1_3gpuE3ELNS1_3repE0EEENS1_30default_config_static_selectorELNS0_4arch9wavefront6targetE0EEEvT1_.num_named_barrier, 0
	.set _ZN7rocprim17ROCPRIM_400000_NS6detail17trampoline_kernelINS0_14default_configENS1_25partition_config_selectorILNS1_17partition_subalgoE9EllbEEZZNS1_14partition_implILS5_9ELb0ES3_jPlS8_PNS0_10empty_typeENS0_5tupleIJS8_S9_EEENSB_IJS8_SA_EEENS0_18inequality_wrapperIZN2at6native12_GLOBAL__N_124unique_dim_cuda_templateIbEESt5tupleIJNSF_6TensorESK_SK_EERKSK_lbbbEUlllE0_EEPmJS9_EEE10hipError_tPvRmT3_T4_T5_T6_T7_T9_mT8_P12ihipStream_tbDpT10_ENKUlT_T0_E_clISt17integral_constantIbLb0EES19_IbLb1EEEEDaS15_S16_EUlS15_E_NS1_11comp_targetILNS1_3genE9ELNS1_11target_archE1100ELNS1_3gpuE3ELNS1_3repE0EEENS1_30default_config_static_selectorELNS0_4arch9wavefront6targetE0EEEvT1_.private_seg_size, 0
	.set _ZN7rocprim17ROCPRIM_400000_NS6detail17trampoline_kernelINS0_14default_configENS1_25partition_config_selectorILNS1_17partition_subalgoE9EllbEEZZNS1_14partition_implILS5_9ELb0ES3_jPlS8_PNS0_10empty_typeENS0_5tupleIJS8_S9_EEENSB_IJS8_SA_EEENS0_18inequality_wrapperIZN2at6native12_GLOBAL__N_124unique_dim_cuda_templateIbEESt5tupleIJNSF_6TensorESK_SK_EERKSK_lbbbEUlllE0_EEPmJS9_EEE10hipError_tPvRmT3_T4_T5_T6_T7_T9_mT8_P12ihipStream_tbDpT10_ENKUlT_T0_E_clISt17integral_constantIbLb0EES19_IbLb1EEEEDaS15_S16_EUlS15_E_NS1_11comp_targetILNS1_3genE9ELNS1_11target_archE1100ELNS1_3gpuE3ELNS1_3repE0EEENS1_30default_config_static_selectorELNS0_4arch9wavefront6targetE0EEEvT1_.uses_vcc, 0
	.set _ZN7rocprim17ROCPRIM_400000_NS6detail17trampoline_kernelINS0_14default_configENS1_25partition_config_selectorILNS1_17partition_subalgoE9EllbEEZZNS1_14partition_implILS5_9ELb0ES3_jPlS8_PNS0_10empty_typeENS0_5tupleIJS8_S9_EEENSB_IJS8_SA_EEENS0_18inequality_wrapperIZN2at6native12_GLOBAL__N_124unique_dim_cuda_templateIbEESt5tupleIJNSF_6TensorESK_SK_EERKSK_lbbbEUlllE0_EEPmJS9_EEE10hipError_tPvRmT3_T4_T5_T6_T7_T9_mT8_P12ihipStream_tbDpT10_ENKUlT_T0_E_clISt17integral_constantIbLb0EES19_IbLb1EEEEDaS15_S16_EUlS15_E_NS1_11comp_targetILNS1_3genE9ELNS1_11target_archE1100ELNS1_3gpuE3ELNS1_3repE0EEENS1_30default_config_static_selectorELNS0_4arch9wavefront6targetE0EEEvT1_.uses_flat_scratch, 0
	.set _ZN7rocprim17ROCPRIM_400000_NS6detail17trampoline_kernelINS0_14default_configENS1_25partition_config_selectorILNS1_17partition_subalgoE9EllbEEZZNS1_14partition_implILS5_9ELb0ES3_jPlS8_PNS0_10empty_typeENS0_5tupleIJS8_S9_EEENSB_IJS8_SA_EEENS0_18inequality_wrapperIZN2at6native12_GLOBAL__N_124unique_dim_cuda_templateIbEESt5tupleIJNSF_6TensorESK_SK_EERKSK_lbbbEUlllE0_EEPmJS9_EEE10hipError_tPvRmT3_T4_T5_T6_T7_T9_mT8_P12ihipStream_tbDpT10_ENKUlT_T0_E_clISt17integral_constantIbLb0EES19_IbLb1EEEEDaS15_S16_EUlS15_E_NS1_11comp_targetILNS1_3genE9ELNS1_11target_archE1100ELNS1_3gpuE3ELNS1_3repE0EEENS1_30default_config_static_selectorELNS0_4arch9wavefront6targetE0EEEvT1_.has_dyn_sized_stack, 0
	.set _ZN7rocprim17ROCPRIM_400000_NS6detail17trampoline_kernelINS0_14default_configENS1_25partition_config_selectorILNS1_17partition_subalgoE9EllbEEZZNS1_14partition_implILS5_9ELb0ES3_jPlS8_PNS0_10empty_typeENS0_5tupleIJS8_S9_EEENSB_IJS8_SA_EEENS0_18inequality_wrapperIZN2at6native12_GLOBAL__N_124unique_dim_cuda_templateIbEESt5tupleIJNSF_6TensorESK_SK_EERKSK_lbbbEUlllE0_EEPmJS9_EEE10hipError_tPvRmT3_T4_T5_T6_T7_T9_mT8_P12ihipStream_tbDpT10_ENKUlT_T0_E_clISt17integral_constantIbLb0EES19_IbLb1EEEEDaS15_S16_EUlS15_E_NS1_11comp_targetILNS1_3genE9ELNS1_11target_archE1100ELNS1_3gpuE3ELNS1_3repE0EEENS1_30default_config_static_selectorELNS0_4arch9wavefront6targetE0EEEvT1_.has_recursion, 0
	.set _ZN7rocprim17ROCPRIM_400000_NS6detail17trampoline_kernelINS0_14default_configENS1_25partition_config_selectorILNS1_17partition_subalgoE9EllbEEZZNS1_14partition_implILS5_9ELb0ES3_jPlS8_PNS0_10empty_typeENS0_5tupleIJS8_S9_EEENSB_IJS8_SA_EEENS0_18inequality_wrapperIZN2at6native12_GLOBAL__N_124unique_dim_cuda_templateIbEESt5tupleIJNSF_6TensorESK_SK_EERKSK_lbbbEUlllE0_EEPmJS9_EEE10hipError_tPvRmT3_T4_T5_T6_T7_T9_mT8_P12ihipStream_tbDpT10_ENKUlT_T0_E_clISt17integral_constantIbLb0EES19_IbLb1EEEEDaS15_S16_EUlS15_E_NS1_11comp_targetILNS1_3genE9ELNS1_11target_archE1100ELNS1_3gpuE3ELNS1_3repE0EEENS1_30default_config_static_selectorELNS0_4arch9wavefront6targetE0EEEvT1_.has_indirect_call, 0
	.section	.AMDGPU.csdata,"",@progbits
; Kernel info:
; codeLenInByte = 0
; TotalNumSgprs: 0
; NumVgprs: 0
; ScratchSize: 0
; MemoryBound: 0
; FloatMode: 240
; IeeeMode: 1
; LDSByteSize: 0 bytes/workgroup (compile time only)
; SGPRBlocks: 0
; VGPRBlocks: 0
; NumSGPRsForWavesPerEU: 1
; NumVGPRsForWavesPerEU: 1
; NamedBarCnt: 0
; Occupancy: 16
; WaveLimiterHint : 0
; COMPUTE_PGM_RSRC2:SCRATCH_EN: 0
; COMPUTE_PGM_RSRC2:USER_SGPR: 2
; COMPUTE_PGM_RSRC2:TRAP_HANDLER: 0
; COMPUTE_PGM_RSRC2:TGID_X_EN: 1
; COMPUTE_PGM_RSRC2:TGID_Y_EN: 0
; COMPUTE_PGM_RSRC2:TGID_Z_EN: 0
; COMPUTE_PGM_RSRC2:TIDIG_COMP_CNT: 0
	.section	.text._ZN7rocprim17ROCPRIM_400000_NS6detail17trampoline_kernelINS0_14default_configENS1_25partition_config_selectorILNS1_17partition_subalgoE9EllbEEZZNS1_14partition_implILS5_9ELb0ES3_jPlS8_PNS0_10empty_typeENS0_5tupleIJS8_S9_EEENSB_IJS8_SA_EEENS0_18inequality_wrapperIZN2at6native12_GLOBAL__N_124unique_dim_cuda_templateIbEESt5tupleIJNSF_6TensorESK_SK_EERKSK_lbbbEUlllE0_EEPmJS9_EEE10hipError_tPvRmT3_T4_T5_T6_T7_T9_mT8_P12ihipStream_tbDpT10_ENKUlT_T0_E_clISt17integral_constantIbLb0EES19_IbLb1EEEEDaS15_S16_EUlS15_E_NS1_11comp_targetILNS1_3genE8ELNS1_11target_archE1030ELNS1_3gpuE2ELNS1_3repE0EEENS1_30default_config_static_selectorELNS0_4arch9wavefront6targetE0EEEvT1_,"axG",@progbits,_ZN7rocprim17ROCPRIM_400000_NS6detail17trampoline_kernelINS0_14default_configENS1_25partition_config_selectorILNS1_17partition_subalgoE9EllbEEZZNS1_14partition_implILS5_9ELb0ES3_jPlS8_PNS0_10empty_typeENS0_5tupleIJS8_S9_EEENSB_IJS8_SA_EEENS0_18inequality_wrapperIZN2at6native12_GLOBAL__N_124unique_dim_cuda_templateIbEESt5tupleIJNSF_6TensorESK_SK_EERKSK_lbbbEUlllE0_EEPmJS9_EEE10hipError_tPvRmT3_T4_T5_T6_T7_T9_mT8_P12ihipStream_tbDpT10_ENKUlT_T0_E_clISt17integral_constantIbLb0EES19_IbLb1EEEEDaS15_S16_EUlS15_E_NS1_11comp_targetILNS1_3genE8ELNS1_11target_archE1030ELNS1_3gpuE2ELNS1_3repE0EEENS1_30default_config_static_selectorELNS0_4arch9wavefront6targetE0EEEvT1_,comdat
	.globl	_ZN7rocprim17ROCPRIM_400000_NS6detail17trampoline_kernelINS0_14default_configENS1_25partition_config_selectorILNS1_17partition_subalgoE9EllbEEZZNS1_14partition_implILS5_9ELb0ES3_jPlS8_PNS0_10empty_typeENS0_5tupleIJS8_S9_EEENSB_IJS8_SA_EEENS0_18inequality_wrapperIZN2at6native12_GLOBAL__N_124unique_dim_cuda_templateIbEESt5tupleIJNSF_6TensorESK_SK_EERKSK_lbbbEUlllE0_EEPmJS9_EEE10hipError_tPvRmT3_T4_T5_T6_T7_T9_mT8_P12ihipStream_tbDpT10_ENKUlT_T0_E_clISt17integral_constantIbLb0EES19_IbLb1EEEEDaS15_S16_EUlS15_E_NS1_11comp_targetILNS1_3genE8ELNS1_11target_archE1030ELNS1_3gpuE2ELNS1_3repE0EEENS1_30default_config_static_selectorELNS0_4arch9wavefront6targetE0EEEvT1_ ; -- Begin function _ZN7rocprim17ROCPRIM_400000_NS6detail17trampoline_kernelINS0_14default_configENS1_25partition_config_selectorILNS1_17partition_subalgoE9EllbEEZZNS1_14partition_implILS5_9ELb0ES3_jPlS8_PNS0_10empty_typeENS0_5tupleIJS8_S9_EEENSB_IJS8_SA_EEENS0_18inequality_wrapperIZN2at6native12_GLOBAL__N_124unique_dim_cuda_templateIbEESt5tupleIJNSF_6TensorESK_SK_EERKSK_lbbbEUlllE0_EEPmJS9_EEE10hipError_tPvRmT3_T4_T5_T6_T7_T9_mT8_P12ihipStream_tbDpT10_ENKUlT_T0_E_clISt17integral_constantIbLb0EES19_IbLb1EEEEDaS15_S16_EUlS15_E_NS1_11comp_targetILNS1_3genE8ELNS1_11target_archE1030ELNS1_3gpuE2ELNS1_3repE0EEENS1_30default_config_static_selectorELNS0_4arch9wavefront6targetE0EEEvT1_
	.p2align	8
	.type	_ZN7rocprim17ROCPRIM_400000_NS6detail17trampoline_kernelINS0_14default_configENS1_25partition_config_selectorILNS1_17partition_subalgoE9EllbEEZZNS1_14partition_implILS5_9ELb0ES3_jPlS8_PNS0_10empty_typeENS0_5tupleIJS8_S9_EEENSB_IJS8_SA_EEENS0_18inequality_wrapperIZN2at6native12_GLOBAL__N_124unique_dim_cuda_templateIbEESt5tupleIJNSF_6TensorESK_SK_EERKSK_lbbbEUlllE0_EEPmJS9_EEE10hipError_tPvRmT3_T4_T5_T6_T7_T9_mT8_P12ihipStream_tbDpT10_ENKUlT_T0_E_clISt17integral_constantIbLb0EES19_IbLb1EEEEDaS15_S16_EUlS15_E_NS1_11comp_targetILNS1_3genE8ELNS1_11target_archE1030ELNS1_3gpuE2ELNS1_3repE0EEENS1_30default_config_static_selectorELNS0_4arch9wavefront6targetE0EEEvT1_,@function
_ZN7rocprim17ROCPRIM_400000_NS6detail17trampoline_kernelINS0_14default_configENS1_25partition_config_selectorILNS1_17partition_subalgoE9EllbEEZZNS1_14partition_implILS5_9ELb0ES3_jPlS8_PNS0_10empty_typeENS0_5tupleIJS8_S9_EEENSB_IJS8_SA_EEENS0_18inequality_wrapperIZN2at6native12_GLOBAL__N_124unique_dim_cuda_templateIbEESt5tupleIJNSF_6TensorESK_SK_EERKSK_lbbbEUlllE0_EEPmJS9_EEE10hipError_tPvRmT3_T4_T5_T6_T7_T9_mT8_P12ihipStream_tbDpT10_ENKUlT_T0_E_clISt17integral_constantIbLb0EES19_IbLb1EEEEDaS15_S16_EUlS15_E_NS1_11comp_targetILNS1_3genE8ELNS1_11target_archE1030ELNS1_3gpuE2ELNS1_3repE0EEENS1_30default_config_static_selectorELNS0_4arch9wavefront6targetE0EEEvT1_: ; @_ZN7rocprim17ROCPRIM_400000_NS6detail17trampoline_kernelINS0_14default_configENS1_25partition_config_selectorILNS1_17partition_subalgoE9EllbEEZZNS1_14partition_implILS5_9ELb0ES3_jPlS8_PNS0_10empty_typeENS0_5tupleIJS8_S9_EEENSB_IJS8_SA_EEENS0_18inequality_wrapperIZN2at6native12_GLOBAL__N_124unique_dim_cuda_templateIbEESt5tupleIJNSF_6TensorESK_SK_EERKSK_lbbbEUlllE0_EEPmJS9_EEE10hipError_tPvRmT3_T4_T5_T6_T7_T9_mT8_P12ihipStream_tbDpT10_ENKUlT_T0_E_clISt17integral_constantIbLb0EES19_IbLb1EEEEDaS15_S16_EUlS15_E_NS1_11comp_targetILNS1_3genE8ELNS1_11target_archE1030ELNS1_3gpuE2ELNS1_3repE0EEENS1_30default_config_static_selectorELNS0_4arch9wavefront6targetE0EEEvT1_
; %bb.0:
	.section	.rodata,"a",@progbits
	.p2align	6, 0x0
	.amdhsa_kernel _ZN7rocprim17ROCPRIM_400000_NS6detail17trampoline_kernelINS0_14default_configENS1_25partition_config_selectorILNS1_17partition_subalgoE9EllbEEZZNS1_14partition_implILS5_9ELb0ES3_jPlS8_PNS0_10empty_typeENS0_5tupleIJS8_S9_EEENSB_IJS8_SA_EEENS0_18inequality_wrapperIZN2at6native12_GLOBAL__N_124unique_dim_cuda_templateIbEESt5tupleIJNSF_6TensorESK_SK_EERKSK_lbbbEUlllE0_EEPmJS9_EEE10hipError_tPvRmT3_T4_T5_T6_T7_T9_mT8_P12ihipStream_tbDpT10_ENKUlT_T0_E_clISt17integral_constantIbLb0EES19_IbLb1EEEEDaS15_S16_EUlS15_E_NS1_11comp_targetILNS1_3genE8ELNS1_11target_archE1030ELNS1_3gpuE2ELNS1_3repE0EEENS1_30default_config_static_selectorELNS0_4arch9wavefront6targetE0EEEvT1_
		.amdhsa_group_segment_fixed_size 0
		.amdhsa_private_segment_fixed_size 0
		.amdhsa_kernarg_size 136
		.amdhsa_user_sgpr_count 2
		.amdhsa_user_sgpr_dispatch_ptr 0
		.amdhsa_user_sgpr_queue_ptr 0
		.amdhsa_user_sgpr_kernarg_segment_ptr 1
		.amdhsa_user_sgpr_dispatch_id 0
		.amdhsa_user_sgpr_kernarg_preload_length 0
		.amdhsa_user_sgpr_kernarg_preload_offset 0
		.amdhsa_user_sgpr_private_segment_size 0
		.amdhsa_wavefront_size32 1
		.amdhsa_uses_dynamic_stack 0
		.amdhsa_enable_private_segment 0
		.amdhsa_system_sgpr_workgroup_id_x 1
		.amdhsa_system_sgpr_workgroup_id_y 0
		.amdhsa_system_sgpr_workgroup_id_z 0
		.amdhsa_system_sgpr_workgroup_info 0
		.amdhsa_system_vgpr_workitem_id 0
		.amdhsa_next_free_vgpr 1
		.amdhsa_next_free_sgpr 1
		.amdhsa_named_barrier_count 0
		.amdhsa_reserve_vcc 0
		.amdhsa_float_round_mode_32 0
		.amdhsa_float_round_mode_16_64 0
		.amdhsa_float_denorm_mode_32 3
		.amdhsa_float_denorm_mode_16_64 3
		.amdhsa_fp16_overflow 0
		.amdhsa_memory_ordered 1
		.amdhsa_forward_progress 1
		.amdhsa_inst_pref_size 0
		.amdhsa_round_robin_scheduling 0
		.amdhsa_exception_fp_ieee_invalid_op 0
		.amdhsa_exception_fp_denorm_src 0
		.amdhsa_exception_fp_ieee_div_zero 0
		.amdhsa_exception_fp_ieee_overflow 0
		.amdhsa_exception_fp_ieee_underflow 0
		.amdhsa_exception_fp_ieee_inexact 0
		.amdhsa_exception_int_div_zero 0
	.end_amdhsa_kernel
	.section	.text._ZN7rocprim17ROCPRIM_400000_NS6detail17trampoline_kernelINS0_14default_configENS1_25partition_config_selectorILNS1_17partition_subalgoE9EllbEEZZNS1_14partition_implILS5_9ELb0ES3_jPlS8_PNS0_10empty_typeENS0_5tupleIJS8_S9_EEENSB_IJS8_SA_EEENS0_18inequality_wrapperIZN2at6native12_GLOBAL__N_124unique_dim_cuda_templateIbEESt5tupleIJNSF_6TensorESK_SK_EERKSK_lbbbEUlllE0_EEPmJS9_EEE10hipError_tPvRmT3_T4_T5_T6_T7_T9_mT8_P12ihipStream_tbDpT10_ENKUlT_T0_E_clISt17integral_constantIbLb0EES19_IbLb1EEEEDaS15_S16_EUlS15_E_NS1_11comp_targetILNS1_3genE8ELNS1_11target_archE1030ELNS1_3gpuE2ELNS1_3repE0EEENS1_30default_config_static_selectorELNS0_4arch9wavefront6targetE0EEEvT1_,"axG",@progbits,_ZN7rocprim17ROCPRIM_400000_NS6detail17trampoline_kernelINS0_14default_configENS1_25partition_config_selectorILNS1_17partition_subalgoE9EllbEEZZNS1_14partition_implILS5_9ELb0ES3_jPlS8_PNS0_10empty_typeENS0_5tupleIJS8_S9_EEENSB_IJS8_SA_EEENS0_18inequality_wrapperIZN2at6native12_GLOBAL__N_124unique_dim_cuda_templateIbEESt5tupleIJNSF_6TensorESK_SK_EERKSK_lbbbEUlllE0_EEPmJS9_EEE10hipError_tPvRmT3_T4_T5_T6_T7_T9_mT8_P12ihipStream_tbDpT10_ENKUlT_T0_E_clISt17integral_constantIbLb0EES19_IbLb1EEEEDaS15_S16_EUlS15_E_NS1_11comp_targetILNS1_3genE8ELNS1_11target_archE1030ELNS1_3gpuE2ELNS1_3repE0EEENS1_30default_config_static_selectorELNS0_4arch9wavefront6targetE0EEEvT1_,comdat
.Lfunc_end1114:
	.size	_ZN7rocprim17ROCPRIM_400000_NS6detail17trampoline_kernelINS0_14default_configENS1_25partition_config_selectorILNS1_17partition_subalgoE9EllbEEZZNS1_14partition_implILS5_9ELb0ES3_jPlS8_PNS0_10empty_typeENS0_5tupleIJS8_S9_EEENSB_IJS8_SA_EEENS0_18inequality_wrapperIZN2at6native12_GLOBAL__N_124unique_dim_cuda_templateIbEESt5tupleIJNSF_6TensorESK_SK_EERKSK_lbbbEUlllE0_EEPmJS9_EEE10hipError_tPvRmT3_T4_T5_T6_T7_T9_mT8_P12ihipStream_tbDpT10_ENKUlT_T0_E_clISt17integral_constantIbLb0EES19_IbLb1EEEEDaS15_S16_EUlS15_E_NS1_11comp_targetILNS1_3genE8ELNS1_11target_archE1030ELNS1_3gpuE2ELNS1_3repE0EEENS1_30default_config_static_selectorELNS0_4arch9wavefront6targetE0EEEvT1_, .Lfunc_end1114-_ZN7rocprim17ROCPRIM_400000_NS6detail17trampoline_kernelINS0_14default_configENS1_25partition_config_selectorILNS1_17partition_subalgoE9EllbEEZZNS1_14partition_implILS5_9ELb0ES3_jPlS8_PNS0_10empty_typeENS0_5tupleIJS8_S9_EEENSB_IJS8_SA_EEENS0_18inequality_wrapperIZN2at6native12_GLOBAL__N_124unique_dim_cuda_templateIbEESt5tupleIJNSF_6TensorESK_SK_EERKSK_lbbbEUlllE0_EEPmJS9_EEE10hipError_tPvRmT3_T4_T5_T6_T7_T9_mT8_P12ihipStream_tbDpT10_ENKUlT_T0_E_clISt17integral_constantIbLb0EES19_IbLb1EEEEDaS15_S16_EUlS15_E_NS1_11comp_targetILNS1_3genE8ELNS1_11target_archE1030ELNS1_3gpuE2ELNS1_3repE0EEENS1_30default_config_static_selectorELNS0_4arch9wavefront6targetE0EEEvT1_
                                        ; -- End function
	.set _ZN7rocprim17ROCPRIM_400000_NS6detail17trampoline_kernelINS0_14default_configENS1_25partition_config_selectorILNS1_17partition_subalgoE9EllbEEZZNS1_14partition_implILS5_9ELb0ES3_jPlS8_PNS0_10empty_typeENS0_5tupleIJS8_S9_EEENSB_IJS8_SA_EEENS0_18inequality_wrapperIZN2at6native12_GLOBAL__N_124unique_dim_cuda_templateIbEESt5tupleIJNSF_6TensorESK_SK_EERKSK_lbbbEUlllE0_EEPmJS9_EEE10hipError_tPvRmT3_T4_T5_T6_T7_T9_mT8_P12ihipStream_tbDpT10_ENKUlT_T0_E_clISt17integral_constantIbLb0EES19_IbLb1EEEEDaS15_S16_EUlS15_E_NS1_11comp_targetILNS1_3genE8ELNS1_11target_archE1030ELNS1_3gpuE2ELNS1_3repE0EEENS1_30default_config_static_selectorELNS0_4arch9wavefront6targetE0EEEvT1_.num_vgpr, 0
	.set _ZN7rocprim17ROCPRIM_400000_NS6detail17trampoline_kernelINS0_14default_configENS1_25partition_config_selectorILNS1_17partition_subalgoE9EllbEEZZNS1_14partition_implILS5_9ELb0ES3_jPlS8_PNS0_10empty_typeENS0_5tupleIJS8_S9_EEENSB_IJS8_SA_EEENS0_18inequality_wrapperIZN2at6native12_GLOBAL__N_124unique_dim_cuda_templateIbEESt5tupleIJNSF_6TensorESK_SK_EERKSK_lbbbEUlllE0_EEPmJS9_EEE10hipError_tPvRmT3_T4_T5_T6_T7_T9_mT8_P12ihipStream_tbDpT10_ENKUlT_T0_E_clISt17integral_constantIbLb0EES19_IbLb1EEEEDaS15_S16_EUlS15_E_NS1_11comp_targetILNS1_3genE8ELNS1_11target_archE1030ELNS1_3gpuE2ELNS1_3repE0EEENS1_30default_config_static_selectorELNS0_4arch9wavefront6targetE0EEEvT1_.num_agpr, 0
	.set _ZN7rocprim17ROCPRIM_400000_NS6detail17trampoline_kernelINS0_14default_configENS1_25partition_config_selectorILNS1_17partition_subalgoE9EllbEEZZNS1_14partition_implILS5_9ELb0ES3_jPlS8_PNS0_10empty_typeENS0_5tupleIJS8_S9_EEENSB_IJS8_SA_EEENS0_18inequality_wrapperIZN2at6native12_GLOBAL__N_124unique_dim_cuda_templateIbEESt5tupleIJNSF_6TensorESK_SK_EERKSK_lbbbEUlllE0_EEPmJS9_EEE10hipError_tPvRmT3_T4_T5_T6_T7_T9_mT8_P12ihipStream_tbDpT10_ENKUlT_T0_E_clISt17integral_constantIbLb0EES19_IbLb1EEEEDaS15_S16_EUlS15_E_NS1_11comp_targetILNS1_3genE8ELNS1_11target_archE1030ELNS1_3gpuE2ELNS1_3repE0EEENS1_30default_config_static_selectorELNS0_4arch9wavefront6targetE0EEEvT1_.numbered_sgpr, 0
	.set _ZN7rocprim17ROCPRIM_400000_NS6detail17trampoline_kernelINS0_14default_configENS1_25partition_config_selectorILNS1_17partition_subalgoE9EllbEEZZNS1_14partition_implILS5_9ELb0ES3_jPlS8_PNS0_10empty_typeENS0_5tupleIJS8_S9_EEENSB_IJS8_SA_EEENS0_18inequality_wrapperIZN2at6native12_GLOBAL__N_124unique_dim_cuda_templateIbEESt5tupleIJNSF_6TensorESK_SK_EERKSK_lbbbEUlllE0_EEPmJS9_EEE10hipError_tPvRmT3_T4_T5_T6_T7_T9_mT8_P12ihipStream_tbDpT10_ENKUlT_T0_E_clISt17integral_constantIbLb0EES19_IbLb1EEEEDaS15_S16_EUlS15_E_NS1_11comp_targetILNS1_3genE8ELNS1_11target_archE1030ELNS1_3gpuE2ELNS1_3repE0EEENS1_30default_config_static_selectorELNS0_4arch9wavefront6targetE0EEEvT1_.num_named_barrier, 0
	.set _ZN7rocprim17ROCPRIM_400000_NS6detail17trampoline_kernelINS0_14default_configENS1_25partition_config_selectorILNS1_17partition_subalgoE9EllbEEZZNS1_14partition_implILS5_9ELb0ES3_jPlS8_PNS0_10empty_typeENS0_5tupleIJS8_S9_EEENSB_IJS8_SA_EEENS0_18inequality_wrapperIZN2at6native12_GLOBAL__N_124unique_dim_cuda_templateIbEESt5tupleIJNSF_6TensorESK_SK_EERKSK_lbbbEUlllE0_EEPmJS9_EEE10hipError_tPvRmT3_T4_T5_T6_T7_T9_mT8_P12ihipStream_tbDpT10_ENKUlT_T0_E_clISt17integral_constantIbLb0EES19_IbLb1EEEEDaS15_S16_EUlS15_E_NS1_11comp_targetILNS1_3genE8ELNS1_11target_archE1030ELNS1_3gpuE2ELNS1_3repE0EEENS1_30default_config_static_selectorELNS0_4arch9wavefront6targetE0EEEvT1_.private_seg_size, 0
	.set _ZN7rocprim17ROCPRIM_400000_NS6detail17trampoline_kernelINS0_14default_configENS1_25partition_config_selectorILNS1_17partition_subalgoE9EllbEEZZNS1_14partition_implILS5_9ELb0ES3_jPlS8_PNS0_10empty_typeENS0_5tupleIJS8_S9_EEENSB_IJS8_SA_EEENS0_18inequality_wrapperIZN2at6native12_GLOBAL__N_124unique_dim_cuda_templateIbEESt5tupleIJNSF_6TensorESK_SK_EERKSK_lbbbEUlllE0_EEPmJS9_EEE10hipError_tPvRmT3_T4_T5_T6_T7_T9_mT8_P12ihipStream_tbDpT10_ENKUlT_T0_E_clISt17integral_constantIbLb0EES19_IbLb1EEEEDaS15_S16_EUlS15_E_NS1_11comp_targetILNS1_3genE8ELNS1_11target_archE1030ELNS1_3gpuE2ELNS1_3repE0EEENS1_30default_config_static_selectorELNS0_4arch9wavefront6targetE0EEEvT1_.uses_vcc, 0
	.set _ZN7rocprim17ROCPRIM_400000_NS6detail17trampoline_kernelINS0_14default_configENS1_25partition_config_selectorILNS1_17partition_subalgoE9EllbEEZZNS1_14partition_implILS5_9ELb0ES3_jPlS8_PNS0_10empty_typeENS0_5tupleIJS8_S9_EEENSB_IJS8_SA_EEENS0_18inequality_wrapperIZN2at6native12_GLOBAL__N_124unique_dim_cuda_templateIbEESt5tupleIJNSF_6TensorESK_SK_EERKSK_lbbbEUlllE0_EEPmJS9_EEE10hipError_tPvRmT3_T4_T5_T6_T7_T9_mT8_P12ihipStream_tbDpT10_ENKUlT_T0_E_clISt17integral_constantIbLb0EES19_IbLb1EEEEDaS15_S16_EUlS15_E_NS1_11comp_targetILNS1_3genE8ELNS1_11target_archE1030ELNS1_3gpuE2ELNS1_3repE0EEENS1_30default_config_static_selectorELNS0_4arch9wavefront6targetE0EEEvT1_.uses_flat_scratch, 0
	.set _ZN7rocprim17ROCPRIM_400000_NS6detail17trampoline_kernelINS0_14default_configENS1_25partition_config_selectorILNS1_17partition_subalgoE9EllbEEZZNS1_14partition_implILS5_9ELb0ES3_jPlS8_PNS0_10empty_typeENS0_5tupleIJS8_S9_EEENSB_IJS8_SA_EEENS0_18inequality_wrapperIZN2at6native12_GLOBAL__N_124unique_dim_cuda_templateIbEESt5tupleIJNSF_6TensorESK_SK_EERKSK_lbbbEUlllE0_EEPmJS9_EEE10hipError_tPvRmT3_T4_T5_T6_T7_T9_mT8_P12ihipStream_tbDpT10_ENKUlT_T0_E_clISt17integral_constantIbLb0EES19_IbLb1EEEEDaS15_S16_EUlS15_E_NS1_11comp_targetILNS1_3genE8ELNS1_11target_archE1030ELNS1_3gpuE2ELNS1_3repE0EEENS1_30default_config_static_selectorELNS0_4arch9wavefront6targetE0EEEvT1_.has_dyn_sized_stack, 0
	.set _ZN7rocprim17ROCPRIM_400000_NS6detail17trampoline_kernelINS0_14default_configENS1_25partition_config_selectorILNS1_17partition_subalgoE9EllbEEZZNS1_14partition_implILS5_9ELb0ES3_jPlS8_PNS0_10empty_typeENS0_5tupleIJS8_S9_EEENSB_IJS8_SA_EEENS0_18inequality_wrapperIZN2at6native12_GLOBAL__N_124unique_dim_cuda_templateIbEESt5tupleIJNSF_6TensorESK_SK_EERKSK_lbbbEUlllE0_EEPmJS9_EEE10hipError_tPvRmT3_T4_T5_T6_T7_T9_mT8_P12ihipStream_tbDpT10_ENKUlT_T0_E_clISt17integral_constantIbLb0EES19_IbLb1EEEEDaS15_S16_EUlS15_E_NS1_11comp_targetILNS1_3genE8ELNS1_11target_archE1030ELNS1_3gpuE2ELNS1_3repE0EEENS1_30default_config_static_selectorELNS0_4arch9wavefront6targetE0EEEvT1_.has_recursion, 0
	.set _ZN7rocprim17ROCPRIM_400000_NS6detail17trampoline_kernelINS0_14default_configENS1_25partition_config_selectorILNS1_17partition_subalgoE9EllbEEZZNS1_14partition_implILS5_9ELb0ES3_jPlS8_PNS0_10empty_typeENS0_5tupleIJS8_S9_EEENSB_IJS8_SA_EEENS0_18inequality_wrapperIZN2at6native12_GLOBAL__N_124unique_dim_cuda_templateIbEESt5tupleIJNSF_6TensorESK_SK_EERKSK_lbbbEUlllE0_EEPmJS9_EEE10hipError_tPvRmT3_T4_T5_T6_T7_T9_mT8_P12ihipStream_tbDpT10_ENKUlT_T0_E_clISt17integral_constantIbLb0EES19_IbLb1EEEEDaS15_S16_EUlS15_E_NS1_11comp_targetILNS1_3genE8ELNS1_11target_archE1030ELNS1_3gpuE2ELNS1_3repE0EEENS1_30default_config_static_selectorELNS0_4arch9wavefront6targetE0EEEvT1_.has_indirect_call, 0
	.section	.AMDGPU.csdata,"",@progbits
; Kernel info:
; codeLenInByte = 0
; TotalNumSgprs: 0
; NumVgprs: 0
; ScratchSize: 0
; MemoryBound: 0
; FloatMode: 240
; IeeeMode: 1
; LDSByteSize: 0 bytes/workgroup (compile time only)
; SGPRBlocks: 0
; VGPRBlocks: 0
; NumSGPRsForWavesPerEU: 1
; NumVGPRsForWavesPerEU: 1
; NamedBarCnt: 0
; Occupancy: 16
; WaveLimiterHint : 0
; COMPUTE_PGM_RSRC2:SCRATCH_EN: 0
; COMPUTE_PGM_RSRC2:USER_SGPR: 2
; COMPUTE_PGM_RSRC2:TRAP_HANDLER: 0
; COMPUTE_PGM_RSRC2:TGID_X_EN: 1
; COMPUTE_PGM_RSRC2:TGID_Y_EN: 0
; COMPUTE_PGM_RSRC2:TGID_Z_EN: 0
; COMPUTE_PGM_RSRC2:TIDIG_COMP_CNT: 0
	.text
	.p2align	2                               ; -- Begin function _ZN7rocprim17ROCPRIM_400000_NS6detail15block_sort_implIlNS0_10empty_typeELj256ELj8ELNS0_4arch9wavefront6targetE0EvE4sortIPlS9_PS3_SA_ZN2at6native12_GLOBAL__N_124unique_dim_cuda_templateIN3c108BFloat16EEESt5tupleIJNSB_6TensorESI_SI_EERKSI_lbbbEUlllE_EEvjbT_T0_T1_T2_T3_RNS7_12storage_typeE
	.type	_ZN7rocprim17ROCPRIM_400000_NS6detail15block_sort_implIlNS0_10empty_typeELj256ELj8ELNS0_4arch9wavefront6targetE0EvE4sortIPlS9_PS3_SA_ZN2at6native12_GLOBAL__N_124unique_dim_cuda_templateIN3c108BFloat16EEESt5tupleIJNSB_6TensorESI_SI_EERKSI_lbbbEUlllE_EEvjbT_T0_T1_T2_T3_RNS7_12storage_typeE,@function
_ZN7rocprim17ROCPRIM_400000_NS6detail15block_sort_implIlNS0_10empty_typeELj256ELj8ELNS0_4arch9wavefront6targetE0EvE4sortIPlS9_PS3_SA_ZN2at6native12_GLOBAL__N_124unique_dim_cuda_templateIN3c108BFloat16EEESt5tupleIJNSB_6TensorESI_SI_EERKSI_lbbbEUlllE_EEvjbT_T0_T1_T2_T3_RNS7_12storage_typeE: ; @_ZN7rocprim17ROCPRIM_400000_NS6detail15block_sort_implIlNS0_10empty_typeELj256ELj8ELNS0_4arch9wavefront6targetE0EvE4sortIPlS9_PS3_SA_ZN2at6native12_GLOBAL__N_124unique_dim_cuda_templateIN3c108BFloat16EEESt5tupleIJNSB_6TensorESI_SI_EERKSI_lbbbEUlllE_EEvjbT_T0_T1_T2_T3_RNS7_12storage_typeE
; %bb.0:
	s_wait_loadcnt_dscnt 0x0
	s_wait_kmcnt 0x0
	v_and_b32_e32 v26, 0x3ff, v31
	v_and_b32_e32 v1, 1, v1
	v_bfe_u32 v30, v31, 10, 10
	v_bfe_u32 v31, v31, 20, 10
	s_mov_b32 s12, 0
	v_lshlrev_b32_e32 v28, 3, v26
	v_cmp_ne_u32_e32 vcc_lo, 1, v1
	v_dual_lshrrev_b32 v37, 5, v26 :: v_dual_lshrrev_b32 v1, 2, v26
	v_add_nc_u32_e32 v39, 0x100, v26
	v_add_nc_u32_e32 v38, 0x200, v26
	;; [unrolled: 1-line block ×3, first 2 shown]
	v_or_b32_e32 v35, 0x400, v26
	v_add_nc_u32_e32 v34, 0x500, v26
	v_add_nc_u32_e32 v33, 0x600, v26
	;; [unrolled: 1-line block ×3, first 2 shown]
	s_getreg_b32 s10, hwreg(HW_REG_IB_STS2, 6, 4)
                                        ; implicit-def: $vgpr10_vgpr11
	s_and_saveexec_b32 s0, vcc_lo
	s_delay_alu instid0(SALU_CYCLE_1)
	s_xor_b32 s4, exec_lo, s0
	s_cbranch_execz .LBB1115_9
; %bb.1:
	v_dual_mov_b32 v27, 0 :: v_dual_lshrrev_b32 v0, 5, v39
	v_add_lshl_u32 v54, v1, v28, 3
	s_bfe_u32 s3, ttmp6, 0x4000c
	s_bfe_u32 s6, ttmp6, 0x40010
	s_delay_alu instid0(VALU_DEP_2)
	v_mov_b32_e32 v29, v27
	s_and_b32 s5, ttmp7, 0xffff
	s_add_co_i32 s3, s3, 1
	s_add_co_i32 s6, s6, 1
	s_and_b32 s2, ttmp6, 15
	v_add_nc_u64_e32 v[2:3], v[2:3], v[28:29]
	v_add_lshl_u32 v29, v37, v26, 3
	s_bfe_u32 s7, ttmp6, 0x40004
	s_mul_i32 s3, ttmp9, s3
	s_mul_i32 s6, s5, s6
	s_add_co_i32 s2, s2, s3
	s_add_co_i32 s7, s7, s6
	s_clause 0x7
	flat_load_b64 v[10:11], v[2:3]
	flat_load_b64 v[12:13], v[2:3] offset:2048
	flat_load_b64 v[14:15], v[2:3] offset:4096
	flat_load_b64 v[16:17], v[2:3] offset:6144
	flat_load_b64 v[18:19], v[2:3] offset:8192
	flat_load_b64 v[20:21], v[2:3] offset:10240
	flat_load_b64 v[22:23], v[2:3] offset:12288
	flat_load_b64 v[24:25], v[2:3] offset:14336
	s_wait_xcnt 0x0
	v_dual_lshrrev_b32 v2, 5, v38 :: v_dual_lshrrev_b32 v3, 5, v36
	v_dual_lshrrev_b32 v35, 5, v35 :: v_dual_lshrrev_b32 v36, 5, v34
	;; [unrolled: 1-line block ×3, first 2 shown]
	v_add_lshl_u32 v32, v0, v26, 3
	s_delay_alu instid0(VALU_DEP_4)
	v_add_lshl_u32 v33, v2, v26, 3
	v_add_lshl_u32 v34, v3, v26, 3
	;; [unrolled: 1-line block ×6, first 2 shown]
	s_cmp_eq_u32 s10, 0
	v_cmp_lt_i64_e32 vcc_lo, 0, v[6:7]
	s_cselect_b32 s2, ttmp9, s2
	s_cselect_b32 s3, s5, s7
	s_wait_loadcnt_dscnt 0x707
	ds_store_b64 v29, v[10:11]
	s_wait_loadcnt_dscnt 0x607
	ds_store_b64 v32, v[12:13] offset:2048
	s_wait_loadcnt_dscnt 0x507
	ds_store_b64 v33, v[14:15] offset:4096
	;; [unrolled: 2-line block ×7, first 2 shown]
	s_wait_storecnt_dscnt 0x0
	s_barrier_signal -1
	s_barrier_wait -1
	ds_load_2addr_b64 v[18:21], v54 offset1:1
	ds_load_2addr_b64 v[14:17], v54 offset0:2 offset1:3
	ds_load_2addr_b64 v[10:13], v54 offset0:4 offset1:5
	;; [unrolled: 1-line block ×3, first 2 shown]
	s_wait_dscnt 0x0
	s_barrier_signal -1
	s_barrier_wait -1
	s_load_b64 s[0:1], s[8:9], 0x0
	s_wait_kmcnt 0x0
	s_cmp_lt_u32 s2, s0
	s_cselect_b32 s0, 12, 18
	s_cmp_lt_u32 s3, s1
	s_mov_b32 s1, 0
	s_cselect_b32 s2, 14, 20
	s_mov_b32 s3, s1
	s_add_nc_u64 s[0:1], s[8:9], s[0:1]
	s_add_nc_u64 s[2:3], s[8:9], s[2:3]
	s_load_u16 s0, s[0:1], 0x0
	s_wait_xcnt 0x0
	s_mov_b32 s1, exec_lo
	s_load_u16 s2, s[2:3], 0x0
	s_wait_kmcnt 0x0
	v_mad_u32_u24 v22, v31, s2, v30
	s_delay_alu instid0(VALU_DEP_1) | instskip(NEXT) | instid1(VALU_DEP_1)
	v_mul_lo_u32 v22, v22, s0
	v_add_lshl_u32 v39, v22, v26, 3
	s_delay_alu instid0(VALU_DEP_1)
	v_cmpx_gt_u32_e32 0x800, v39
	s_cbranch_execz .LBB1115_581
; %bb.2:
	s_and_saveexec_b32 s2, vcc_lo
	s_cbranch_execz .LBB1115_35
; %bb.3:
	v_mul_u64_e32 v[22:23], v[18:19], v[6:7]
	v_mul_u64_e32 v[24:25], v[20:21], v[6:7]
	v_mov_b64_e32 v[30:31], v[6:7]
	s_mov_b32 s5, 0
                                        ; implicit-def: $sgpr3
                                        ; implicit-def: $sgpr6
                                        ; implicit-def: $sgpr7
                                        ; implicit-def: $sgpr11
                                        ; implicit-def: $sgpr12
	s_delay_alu instid0(VALU_DEP_3) | instskip(NEXT) | instid1(VALU_DEP_3)
	v_lshl_add_u64 v[22:23], v[22:23], 1, v[8:9]
	v_lshl_add_u64 v[24:25], v[24:25], 1, v[8:9]
	s_branch .LBB1115_5
.LBB1115_4:                             ;   in Loop: Header=BB1115_5 Depth=1
	s_or_b32 exec_lo, exec_lo, s12
	s_delay_alu instid0(SALU_CYCLE_1) | instskip(NEXT) | instid1(SALU_CYCLE_1)
	s_and_b32 s0, exec_lo, s0
	s_or_b32 s5, s0, s5
	s_and_not1_b32 s0, s6, exec_lo
	s_and_b32 s6, s7, exec_lo
	s_and_not1_b32 s3, s3, exec_lo
	s_and_b32 s12, s11, exec_lo
	s_or_b32 s6, s0, s6
	s_or_b32 s3, s3, s12
	s_mov_b32 s12, s11
	s_and_not1_b32 exec_lo, exec_lo, s5
	s_cbranch_execz .LBB1115_339
.LBB1115_5:                             ; =>This Inner Loop Header: Depth=1
	flat_load_u16 v48, v[24:25]
	flat_load_u16 v49, v[22:23]
	s_or_b32 s11, s11, exec_lo
	s_mov_b32 s13, 0
	s_mov_b32 s14, exec_lo
	s_wait_loadcnt_dscnt 0x0
	v_dual_lshlrev_b32 v48, 16, v48 :: v_dual_lshlrev_b32 v49, 16, v49
	s_delay_alu instid0(VALU_DEP_1)
	v_cmpx_nlt_f32_e32 v48, v49
; %bb.6:                                ;   in Loop: Header=BB1115_5 Depth=1
	v_cmp_ngt_f32_e64 s0, v48, v49
	s_and_not1_b32 s11, s11, exec_lo
	s_and_b32 s12, s0, s12
	s_and_b32 s13, s0, exec_lo
	s_and_b32 s12, s12, exec_lo
	s_delay_alu instid0(SALU_CYCLE_1)
	s_or_b32 s11, s11, s12
; %bb.7:                                ;   in Loop: Header=BB1115_5 Depth=1
	s_or_b32 exec_lo, exec_lo, s14
	s_mov_b32 s0, -1
	s_or_b32 s7, s7, exec_lo
	s_and_saveexec_b32 s12, s13
	s_cbranch_execz .LBB1115_4
; %bb.8:                                ;   in Loop: Header=BB1115_5 Depth=1
	v_add_nc_u64_e32 v[30:31], -1, v[30:31]
	v_add_nc_u64_e32 v[22:23], 2, v[22:23]
	v_add_nc_u64_e32 v[24:25], 2, v[24:25]
	s_and_not1_b32 s7, s7, exec_lo
	s_delay_alu instid0(VALU_DEP_3)
	v_cmp_eq_u64_e64 s0, 0, v[30:31]
	s_or_not1_b32 s0, s0, exec_lo
	s_branch .LBB1115_4
.LBB1115_9:
	s_and_not1_saveexec_b32 s13, s4
	s_cbranch_execz .LBB1115_1532
.LBB1115_10:
	v_cmp_lt_u32_e32 vcc_lo, v26, v0
                                        ; implicit-def: $vgpr10_vgpr11
	s_and_saveexec_b32 s0, vcc_lo
	s_cbranch_execz .LBB1115_12
; %bb.11:
	v_mov_b32_e32 v29, 0
	s_wait_dscnt 0x7
	s_delay_alu instid0(VALU_DEP_1)
	v_add_nc_u64_e32 v[10:11], v[2:3], v[28:29]
	flat_load_b64 v[10:11], v[10:11]
.LBB1115_12:
	s_wait_xcnt 0x0
	s_or_b32 exec_lo, exec_lo, s0
	v_cmp_lt_u32_e64 s0, v39, v0
                                        ; implicit-def: $vgpr12_vgpr13
	s_and_saveexec_b32 s1, s0
	s_cbranch_execz .LBB1115_14
; %bb.13:
	v_mov_b32_e32 v29, 0
	s_delay_alu instid0(VALU_DEP_1)
	v_add_nc_u64_e32 v[12:13], v[2:3], v[28:29]
	flat_load_b64 v[12:13], v[12:13] offset:2048
.LBB1115_14:
	s_wait_xcnt 0x0
	s_or_b32 exec_lo, exec_lo, s1
	v_cmp_lt_u32_e64 s1, v38, v0
                                        ; implicit-def: $vgpr14_vgpr15
	s_and_saveexec_b32 s2, s1
	s_cbranch_execz .LBB1115_16
; %bb.15:
	v_mov_b32_e32 v29, 0
	s_delay_alu instid0(VALU_DEP_1)
	v_add_nc_u64_e32 v[14:15], v[2:3], v[28:29]
	flat_load_b64 v[14:15], v[14:15] offset:4096
.LBB1115_16:
	s_wait_xcnt 0x0
	s_or_b32 exec_lo, exec_lo, s2
	v_cmp_lt_u32_e64 s2, v36, v0
                                        ; implicit-def: $vgpr16_vgpr17
	s_and_saveexec_b32 s3, s2
	s_cbranch_execz .LBB1115_18
; %bb.17:
	v_mov_b32_e32 v29, 0
	s_delay_alu instid0(VALU_DEP_1)
	v_add_nc_u64_e32 v[16:17], v[2:3], v[28:29]
	flat_load_b64 v[16:17], v[16:17] offset:6144
.LBB1115_18:
	s_wait_xcnt 0x0
	s_or_b32 exec_lo, exec_lo, s3
	v_cmp_lt_u32_e64 s3, v35, v0
                                        ; implicit-def: $vgpr18_vgpr19
	s_and_saveexec_b32 s4, s3
	s_cbranch_execz .LBB1115_20
; %bb.19:
	v_mov_b32_e32 v29, 0
	s_delay_alu instid0(VALU_DEP_1)
	v_add_nc_u64_e32 v[18:19], v[2:3], v[28:29]
	flat_load_b64 v[18:19], v[18:19] offset:8192
.LBB1115_20:
	s_wait_xcnt 0x0
	s_or_b32 exec_lo, exec_lo, s4
	v_cmp_lt_u32_e64 s4, v34, v0
                                        ; implicit-def: $vgpr20_vgpr21
	s_and_saveexec_b32 s5, s4
	s_cbranch_execz .LBB1115_22
; %bb.21:
	v_mov_b32_e32 v29, 0
	s_delay_alu instid0(VALU_DEP_1)
	v_add_nc_u64_e32 v[20:21], v[2:3], v[28:29]
	flat_load_b64 v[20:21], v[20:21] offset:10240
.LBB1115_22:
	s_wait_xcnt 0x0
	s_or_b32 exec_lo, exec_lo, s5
	v_cmp_lt_u32_e64 s5, v33, v0
                                        ; implicit-def: $vgpr22_vgpr23
	s_and_saveexec_b32 s6, s5
	s_cbranch_execz .LBB1115_24
; %bb.23:
	v_mov_b32_e32 v29, 0
	s_delay_alu instid0(VALU_DEP_1)
	v_add_nc_u64_e32 v[22:23], v[2:3], v[28:29]
	flat_load_b64 v[22:23], v[22:23] offset:12288
.LBB1115_24:
	s_wait_xcnt 0x0
	s_or_b32 exec_lo, exec_lo, s6
	v_cmp_lt_u32_e64 s6, v32, v0
	v_cmp_ge_u32_e64 s7, v32, v0
	v_mov_b32_e32 v27, 0
	s_and_saveexec_b32 s11, s7
	s_delay_alu instid0(SALU_CYCLE_1)
	s_xor_b32 s7, exec_lo, s11
; %bb.25:
                                        ; implicit-def: $vgpr2_vgpr3
; %bb.26:
	s_delay_alu instid0(SALU_CYCLE_1) | instskip(NEXT) | instid1(SALU_CYCLE_1)
	s_or_saveexec_b32 s7, s7
                                        ; implicit-def: $vgpr24_vgpr25
	s_xor_b32 exec_lo, exec_lo, s7
	s_cbranch_execz .LBB1115_28
; %bb.27:
	v_dual_mov_b32 v25, 0 :: v_dual_lshlrev_b32 v24, 3, v26
	s_delay_alu instid0(VALU_DEP_1)
	v_add_nc_u64_e32 v[2:3], v[2:3], v[24:25]
	flat_load_b64 v[24:25], v[2:3] offset:14336
.LBB1115_28:
	s_wait_xcnt 0x0
	s_or_b32 exec_lo, exec_lo, s7
	v_dual_lshrrev_b32 v2, 5, v39 :: v_dual_lshrrev_b32 v3, 5, v38
	v_add_lshl_u32 v29, v37, v26, 3
	v_lshrrev_b32_e32 v38, 5, v36
	v_add_lshl_u32 v1, v1, v28, 3
	s_delay_alu instid0(VALU_DEP_4)
	v_add_lshl_u32 v36, v2, v26, 3
	v_add_lshl_u32 v37, v3, v26, 3
	v_dual_lshrrev_b32 v2, 5, v35 :: v_dual_lshrrev_b32 v3, 5, v34
	s_wait_loadcnt_dscnt 0x0
	ds_store_b64 v29, v[10:11]
	ds_store_b64 v36, v[12:13] offset:2048
	ds_store_b64 v37, v[14:15] offset:4096
	v_dual_lshrrev_b32 v10, 5, v33 :: v_dual_lshrrev_b32 v11, 5, v32
	v_add_lshl_u32 v38, v38, v26, 3
	v_add_lshl_u32 v39, v2, v26, 3
	;; [unrolled: 1-line block ×3, first 2 shown]
	s_delay_alu instid0(VALU_DEP_4)
	v_add_lshl_u32 v49, v10, v26, 3
	v_add_lshl_u32 v50, v11, v26, 3
	ds_store_b64 v38, v[16:17] offset:6144
	ds_store_b64 v39, v[18:19] offset:8192
	;; [unrolled: 1-line block ×5, first 2 shown]
	s_wait_storecnt_dscnt 0x0
	s_barrier_signal -1
	s_barrier_wait -1
	ds_load_2addr_b64 v[22:25], v1 offset1:1
	ds_load_2addr_b64 v[18:21], v1 offset0:2 offset1:3
	ds_load_2addr_b64 v[14:17], v1 offset0:4 offset1:5
	ds_load_2addr_b64 v[10:13], v1 offset0:6 offset1:7
	s_wait_dscnt 0x0
	s_barrier_signal -1
	s_barrier_wait -1
	s_load_b64 s[14:15], s[8:9], 0x0
	s_bfe_u32 s7, ttmp6, 0x4000c
	s_bfe_u32 s16, ttmp6, 0x40010
	s_add_co_i32 s7, s7, 1
	s_and_b32 s17, ttmp7, 0xffff
	s_add_co_i32 s16, s16, 1
	s_and_b32 s11, ttmp6, 15
	s_mul_i32 s7, ttmp9, s7
	s_mul_i32 s16, s17, s16
	s_bfe_u32 s18, ttmp6, 0x40004
	s_add_co_i32 s11, s11, s7
	s_add_co_i32 s18, s18, s16
	s_cmp_eq_u32 s10, 0
	s_cselect_b32 s7, ttmp9, s11
	s_cselect_b32 s11, s17, s18
	s_wait_kmcnt 0x0
	s_cmp_lt_u32 s7, s14
	s_cselect_b32 s10, 12, 18
	s_cmp_lt_u32 s11, s15
	s_mov_b32 s11, 0
	s_cselect_b32 s14, 14, 20
	s_mov_b32 s15, s11
	s_delay_alu instid0(SALU_CYCLE_1)
	s_add_nc_u64 s[14:15], s[8:9], s[14:15]
	s_add_nc_u64 s[8:9], s[8:9], s[10:11]
	s_clause 0x1
	s_load_u16 s7, s[14:15], 0x0
	s_nop 0
	s_load_u16 s8, s[8:9], 0x0
	s_wait_kmcnt 0x0
	v_mad_u32_u24 v2, v31, s7, v30
	v_cmp_lt_i64_e64 s7, 0, v[6:7]
	s_delay_alu instid0(VALU_DEP_2) | instskip(SKIP_1) | instid1(VALU_DEP_2)
	v_mul_lo_u32 v2, v2, s8
	v_cmp_gt_i64_e64 s8, 1, v[6:7]
	v_add_lshl_u32 v34, v2, v26, 3
	s_delay_alu instid0(VALU_DEP_1) | instskip(NEXT) | instid1(VALU_DEP_1)
	v_sub_nc_u32_e64 v35, v0, v34 clamp
	v_cmp_lt_u32_e64 s9, 1, v35
	s_and_b32 s10, s9, s7
	s_delay_alu instid0(SALU_CYCLE_1)
	s_and_saveexec_b32 s14, s10
	s_cbranch_execz .LBB1115_45
; %bb.29:
	v_mul_u64_e32 v[2:3], v[22:23], v[6:7]
	v_mul_u64_e32 v[30:31], v[24:25], v[6:7]
	v_mov_b64_e32 v[32:33], v[6:7]
                                        ; implicit-def: $sgpr15
                                        ; implicit-def: $sgpr16
                                        ; implicit-def: $sgpr17
                                        ; implicit-def: $sgpr18
                                        ; implicit-def: $sgpr19
	s_delay_alu instid0(VALU_DEP_3) | instskip(NEXT) | instid1(VALU_DEP_3)
	v_lshl_add_u64 v[2:3], v[2:3], 1, v[8:9]
	v_lshl_add_u64 v[30:31], v[30:31], 1, v[8:9]
	s_branch .LBB1115_31
.LBB1115_30:                            ;   in Loop: Header=BB1115_31 Depth=1
	s_or_b32 exec_lo, exec_lo, s19
	s_delay_alu instid0(SALU_CYCLE_1) | instskip(NEXT) | instid1(SALU_CYCLE_1)
	s_and_b32 s9, exec_lo, s9
	s_or_b32 s11, s9, s11
	s_and_not1_b32 s9, s16, exec_lo
	s_and_b32 s16, s17, exec_lo
	s_and_not1_b32 s15, s15, exec_lo
	s_and_b32 s19, s18, exec_lo
	s_or_b32 s16, s9, s16
	s_or_b32 s15, s15, s19
	s_mov_b32 s19, s18
	s_and_not1_b32 exec_lo, exec_lo, s11
	s_cbranch_execz .LBB1115_42
.LBB1115_31:                            ; =>This Inner Loop Header: Depth=1
	flat_load_u16 v51, v[30:31]
	flat_load_u16 v52, v[2:3]
	s_mov_b32 s20, 0
	s_or_b32 s18, s18, exec_lo
	s_mov_b32 s21, exec_lo
	s_wait_loadcnt_dscnt 0x0
	v_dual_lshlrev_b32 v51, 16, v51 :: v_dual_lshlrev_b32 v52, 16, v52
	s_delay_alu instid0(VALU_DEP_1)
	v_cmpx_nlt_f32_e32 v51, v52
; %bb.32:                               ;   in Loop: Header=BB1115_31 Depth=1
	v_cmp_ngt_f32_e64 s9, v51, v52
	s_and_not1_b32 s18, s18, exec_lo
	s_and_b32 s19, s9, s19
	s_and_b32 s20, s9, exec_lo
	s_and_b32 s19, s19, exec_lo
	s_delay_alu instid0(SALU_CYCLE_1)
	s_or_b32 s18, s18, s19
; %bb.33:                               ;   in Loop: Header=BB1115_31 Depth=1
	s_or_b32 exec_lo, exec_lo, s21
	s_mov_b32 s9, -1
	s_or_b32 s17, s17, exec_lo
	s_and_saveexec_b32 s19, s20
	s_cbranch_execz .LBB1115_30
; %bb.34:                               ;   in Loop: Header=BB1115_31 Depth=1
	v_add_nc_u64_e32 v[32:33], -1, v[32:33]
	v_add_nc_u64_e32 v[2:3], 2, v[2:3]
	v_add_nc_u64_e32 v[30:31], 2, v[30:31]
	s_and_not1_b32 s17, s17, exec_lo
	s_delay_alu instid0(VALU_DEP_3)
	v_cmp_eq_u64_e64 s9, 0, v[32:33]
	s_or_not1_b32 s9, s9, exec_lo
	s_branch .LBB1115_30
.LBB1115_35:
	s_or_b32 exec_lo, exec_lo, s2
	s_and_saveexec_b32 s2, vcc_lo
	s_cbranch_execz .LBB1115_367
.LBB1115_36:
	v_mul_u64_e32 v[22:23], v[10:11], v[6:7]
	v_mul_u64_e32 v[24:25], v[12:13], v[6:7]
	v_mov_b64_e32 v[30:31], v[6:7]
	s_mov_b32 s5, 0
                                        ; implicit-def: $sgpr3
                                        ; implicit-def: $sgpr6
                                        ; implicit-def: $sgpr7
                                        ; implicit-def: $sgpr11
                                        ; implicit-def: $sgpr12
	s_delay_alu instid0(VALU_DEP_3) | instskip(NEXT) | instid1(VALU_DEP_3)
	v_lshl_add_u64 v[22:23], v[22:23], 1, v[8:9]
	v_lshl_add_u64 v[24:25], v[24:25], 1, v[8:9]
	s_branch .LBB1115_38
.LBB1115_37:                            ;   in Loop: Header=BB1115_38 Depth=1
	s_or_b32 exec_lo, exec_lo, s12
	s_delay_alu instid0(SALU_CYCLE_1) | instskip(NEXT) | instid1(SALU_CYCLE_1)
	s_and_b32 s0, exec_lo, s0
	s_or_b32 s5, s0, s5
	s_and_not1_b32 s0, s6, exec_lo
	s_and_b32 s6, s7, exec_lo
	s_and_not1_b32 s3, s3, exec_lo
	s_and_b32 s12, s11, exec_lo
	s_or_b32 s6, s0, s6
	s_or_b32 s3, s3, s12
	s_mov_b32 s12, s11
	s_and_not1_b32 exec_lo, exec_lo, s5
	s_cbranch_execz .LBB1115_347
.LBB1115_38:                            ; =>This Inner Loop Header: Depth=1
	flat_load_u16 v48, v[24:25]
	flat_load_u16 v49, v[22:23]
	s_or_b32 s11, s11, exec_lo
	s_mov_b32 s13, 0
	s_mov_b32 s14, exec_lo
	s_wait_loadcnt_dscnt 0x0
	v_dual_lshlrev_b32 v48, 16, v48 :: v_dual_lshlrev_b32 v49, 16, v49
	s_delay_alu instid0(VALU_DEP_1)
	v_cmpx_nlt_f32_e32 v48, v49
; %bb.39:                               ;   in Loop: Header=BB1115_38 Depth=1
	v_cmp_ngt_f32_e64 s0, v48, v49
	s_and_not1_b32 s11, s11, exec_lo
	s_and_b32 s12, s0, s12
	s_and_b32 s13, s0, exec_lo
	s_and_b32 s12, s12, exec_lo
	s_delay_alu instid0(SALU_CYCLE_1)
	s_or_b32 s11, s11, s12
; %bb.40:                               ;   in Loop: Header=BB1115_38 Depth=1
	s_or_b32 exec_lo, exec_lo, s14
	s_mov_b32 s0, -1
	s_or_b32 s7, s7, exec_lo
	s_and_saveexec_b32 s12, s13
	s_cbranch_execz .LBB1115_37
; %bb.41:                               ;   in Loop: Header=BB1115_38 Depth=1
	v_add_nc_u64_e32 v[30:31], -1, v[30:31]
	v_add_nc_u64_e32 v[22:23], 2, v[22:23]
	v_add_nc_u64_e32 v[24:25], 2, v[24:25]
	s_and_not1_b32 s7, s7, exec_lo
	s_delay_alu instid0(VALU_DEP_3)
	v_cmp_eq_u64_e64 s0, 0, v[30:31]
	s_or_not1_b32 s0, s0, exec_lo
	s_branch .LBB1115_37
.LBB1115_42:
	s_or_b32 exec_lo, exec_lo, s11
	s_and_saveexec_b32 s9, s16
	s_delay_alu instid0(SALU_CYCLE_1)
	s_xor_b32 s9, exec_lo, s9
; %bb.43:
	v_dual_cndmask_b32 v3, v25, v23, s15 :: v_dual_cndmask_b32 v2, v24, v22, s15
	v_dual_cndmask_b32 v23, v23, v25, s15 :: v_dual_cndmask_b32 v22, v22, v24, s15
	s_delay_alu instid0(VALU_DEP_2)
	v_mov_b64_e32 v[24:25], v[2:3]
; %bb.44:
	s_or_b32 exec_lo, exec_lo, s9
.LBB1115_45:
	s_delay_alu instid0(SALU_CYCLE_1)
	s_or_b32 exec_lo, exec_lo, s14
	v_cmp_lt_u32_e64 s9, 3, v35
	v_add_nc_u32_e32 v66, 0x800, v36
	v_add_nc_u32_e32 v67, 0x1000, v37
	;; [unrolled: 1-line block ×7, first 2 shown]
	v_dual_add_nc_u32 v81, 8, v1 :: v_dual_add_nc_u32 v82, 16, v1
	v_dual_add_nc_u32 v83, 24, v1 :: v_dual_add_nc_u32 v84, 32, v1
	;; [unrolled: 1-line block ×3, first 2 shown]
	v_add_nc_u32_e32 v87, 56, v1
	s_xor_b32 s14, s8, -1
	s_delay_alu instid0(SALU_CYCLE_1) | instskip(NEXT) | instid1(SALU_CYCLE_1)
	s_and_b32 s11, s9, s14
	s_and_saveexec_b32 s15, s11
	s_cbranch_execz .LBB1115_55
; %bb.46:
	v_mul_u64_e32 v[2:3], v[18:19], v[6:7]
	v_mul_u64_e32 v[30:31], v[20:21], v[6:7]
	v_mov_b64_e32 v[32:33], v[6:7]
	s_mov_b32 s17, 0
                                        ; implicit-def: $sgpr16
                                        ; implicit-def: $sgpr18
                                        ; implicit-def: $sgpr19
                                        ; implicit-def: $sgpr20
                                        ; implicit-def: $sgpr21
	s_delay_alu instid0(VALU_DEP_3) | instskip(NEXT) | instid1(VALU_DEP_3)
	v_lshl_add_u64 v[2:3], v[2:3], 1, v[8:9]
	v_lshl_add_u64 v[30:31], v[30:31], 1, v[8:9]
	s_branch .LBB1115_48
.LBB1115_47:                            ;   in Loop: Header=BB1115_48 Depth=1
	s_or_b32 exec_lo, exec_lo, s21
	s_delay_alu instid0(SALU_CYCLE_1) | instskip(NEXT) | instid1(SALU_CYCLE_1)
	s_and_b32 s9, exec_lo, s9
	s_or_b32 s17, s9, s17
	s_and_not1_b32 s9, s18, exec_lo
	s_and_b32 s18, s19, exec_lo
	s_and_not1_b32 s16, s16, exec_lo
	s_and_b32 s21, s20, exec_lo
	s_or_b32 s18, s9, s18
	s_or_b32 s16, s16, s21
	s_mov_b32 s21, s20
	s_and_not1_b32 exec_lo, exec_lo, s17
	s_cbranch_execz .LBB1115_52
.LBB1115_48:                            ; =>This Inner Loop Header: Depth=1
	flat_load_u16 v36, v[30:31]
	flat_load_u16 v37, v[2:3]
	s_or_b32 s20, s20, exec_lo
	s_mov_b32 s22, 0
	s_mov_b32 s23, exec_lo
	s_wait_loadcnt_dscnt 0x0
	v_dual_lshlrev_b32 v36, 16, v36 :: v_dual_lshlrev_b32 v37, 16, v37
	s_delay_alu instid0(VALU_DEP_1)
	v_cmpx_nlt_f32_e32 v36, v37
; %bb.49:                               ;   in Loop: Header=BB1115_48 Depth=1
	v_cmp_ngt_f32_e64 s9, v36, v37
	s_and_not1_b32 s20, s20, exec_lo
	s_and_b32 s21, s9, s21
	s_and_b32 s22, s9, exec_lo
	s_and_b32 s21, s21, exec_lo
	s_delay_alu instid0(SALU_CYCLE_1)
	s_or_b32 s20, s20, s21
; %bb.50:                               ;   in Loop: Header=BB1115_48 Depth=1
	s_or_b32 exec_lo, exec_lo, s23
	s_mov_b32 s9, -1
	s_or_b32 s19, s19, exec_lo
	s_and_saveexec_b32 s21, s22
	s_cbranch_execz .LBB1115_47
; %bb.51:                               ;   in Loop: Header=BB1115_48 Depth=1
	v_add_nc_u64_e32 v[32:33], -1, v[32:33]
	v_add_nc_u64_e32 v[2:3], 2, v[2:3]
	v_add_nc_u64_e32 v[30:31], 2, v[30:31]
	s_and_not1_b32 s19, s19, exec_lo
	s_delay_alu instid0(VALU_DEP_3)
	v_cmp_eq_u64_e64 s9, 0, v[32:33]
	s_or_not1_b32 s9, s9, exec_lo
	s_branch .LBB1115_47
.LBB1115_52:
	s_or_b32 exec_lo, exec_lo, s17
	s_and_saveexec_b32 s9, s18
	s_delay_alu instid0(SALU_CYCLE_1)
	s_xor_b32 s9, exec_lo, s9
; %bb.53:
	v_dual_cndmask_b32 v3, v19, v21, s16 :: v_dual_cndmask_b32 v2, v18, v20, s16
	v_dual_cndmask_b32 v21, v21, v19, s16 :: v_dual_cndmask_b32 v20, v20, v18, s16
	s_delay_alu instid0(VALU_DEP_2)
	v_mov_b64_e32 v[18:19], v[2:3]
; %bb.54:
	s_or_b32 exec_lo, exec_lo, s9
.LBB1115_55:
	s_delay_alu instid0(SALU_CYCLE_1) | instskip(SKIP_2) | instid1(SALU_CYCLE_1)
	s_or_b32 exec_lo, exec_lo, s15
	v_cmp_lt_u32_e64 s9, 5, v35
	s_and_b32 s15, s9, s14
	s_and_saveexec_b32 s16, s15
	s_cbranch_execz .LBB1115_65
; %bb.56:
	v_mul_u64_e32 v[2:3], v[14:15], v[6:7]
	v_mul_u64_e32 v[30:31], v[16:17], v[6:7]
	v_mov_b64_e32 v[32:33], v[6:7]
	s_mov_b32 s18, 0
                                        ; implicit-def: $sgpr17
                                        ; implicit-def: $sgpr19
                                        ; implicit-def: $sgpr20
                                        ; implicit-def: $sgpr21
                                        ; implicit-def: $sgpr22
	s_delay_alu instid0(VALU_DEP_3) | instskip(NEXT) | instid1(VALU_DEP_3)
	v_lshl_add_u64 v[2:3], v[2:3], 1, v[8:9]
	v_lshl_add_u64 v[30:31], v[30:31], 1, v[8:9]
	s_branch .LBB1115_58
.LBB1115_57:                            ;   in Loop: Header=BB1115_58 Depth=1
	s_or_b32 exec_lo, exec_lo, s22
	s_delay_alu instid0(SALU_CYCLE_1) | instskip(NEXT) | instid1(SALU_CYCLE_1)
	s_and_b32 s9, exec_lo, s9
	s_or_b32 s18, s9, s18
	s_and_not1_b32 s9, s19, exec_lo
	s_and_b32 s19, s20, exec_lo
	s_and_not1_b32 s17, s17, exec_lo
	s_and_b32 s22, s21, exec_lo
	s_or_b32 s19, s9, s19
	s_or_b32 s17, s17, s22
	s_mov_b32 s22, s21
	s_and_not1_b32 exec_lo, exec_lo, s18
	s_cbranch_execz .LBB1115_62
.LBB1115_58:                            ; =>This Inner Loop Header: Depth=1
	flat_load_u16 v36, v[30:31]
	flat_load_u16 v37, v[2:3]
	s_or_b32 s21, s21, exec_lo
	s_mov_b32 s23, 0
	s_mov_b32 s24, exec_lo
	s_wait_loadcnt_dscnt 0x0
	v_dual_lshlrev_b32 v36, 16, v36 :: v_dual_lshlrev_b32 v37, 16, v37
	s_delay_alu instid0(VALU_DEP_1)
	v_cmpx_nlt_f32_e32 v36, v37
; %bb.59:                               ;   in Loop: Header=BB1115_58 Depth=1
	v_cmp_ngt_f32_e64 s9, v36, v37
	s_and_not1_b32 s21, s21, exec_lo
	s_and_b32 s22, s9, s22
	s_and_b32 s23, s9, exec_lo
	s_and_b32 s22, s22, exec_lo
	s_delay_alu instid0(SALU_CYCLE_1)
	s_or_b32 s21, s21, s22
; %bb.60:                               ;   in Loop: Header=BB1115_58 Depth=1
	s_or_b32 exec_lo, exec_lo, s24
	s_mov_b32 s9, -1
	s_or_b32 s20, s20, exec_lo
	s_and_saveexec_b32 s22, s23
	s_cbranch_execz .LBB1115_57
; %bb.61:                               ;   in Loop: Header=BB1115_58 Depth=1
	v_add_nc_u64_e32 v[32:33], -1, v[32:33]
	v_add_nc_u64_e32 v[2:3], 2, v[2:3]
	v_add_nc_u64_e32 v[30:31], 2, v[30:31]
	s_and_not1_b32 s20, s20, exec_lo
	s_delay_alu instid0(VALU_DEP_3)
	v_cmp_eq_u64_e64 s9, 0, v[32:33]
	s_or_not1_b32 s9, s9, exec_lo
	s_branch .LBB1115_57
.LBB1115_62:
	s_or_b32 exec_lo, exec_lo, s18
	s_and_saveexec_b32 s9, s19
	s_delay_alu instid0(SALU_CYCLE_1)
	s_xor_b32 s9, exec_lo, s9
; %bb.63:
	v_dual_cndmask_b32 v3, v15, v17, s17 :: v_dual_cndmask_b32 v2, v14, v16, s17
	v_dual_cndmask_b32 v17, v17, v15, s17 :: v_dual_cndmask_b32 v16, v16, v14, s17
	s_delay_alu instid0(VALU_DEP_2)
	v_mov_b64_e32 v[14:15], v[2:3]
; %bb.64:
	s_or_b32 exec_lo, exec_lo, s9
.LBB1115_65:
	s_delay_alu instid0(SALU_CYCLE_1) | instskip(SKIP_2) | instid1(SALU_CYCLE_1)
	s_or_b32 exec_lo, exec_lo, s16
	v_cmp_lt_u32_e64 s9, 7, v35
	s_and_b32 s16, s9, s14
	s_and_saveexec_b32 s17, s16
	s_cbranch_execz .LBB1115_75
; %bb.66:
	v_mul_u64_e32 v[2:3], v[10:11], v[6:7]
	v_mul_u64_e32 v[30:31], v[12:13], v[6:7]
	v_mov_b64_e32 v[32:33], v[6:7]
	s_mov_b32 s19, 0
                                        ; implicit-def: $sgpr18
                                        ; implicit-def: $sgpr20
                                        ; implicit-def: $sgpr21
                                        ; implicit-def: $sgpr22
                                        ; implicit-def: $sgpr23
	s_delay_alu instid0(VALU_DEP_3) | instskip(NEXT) | instid1(VALU_DEP_3)
	v_lshl_add_u64 v[2:3], v[2:3], 1, v[8:9]
	v_lshl_add_u64 v[30:31], v[30:31], 1, v[8:9]
	s_branch .LBB1115_68
.LBB1115_67:                            ;   in Loop: Header=BB1115_68 Depth=1
	s_or_b32 exec_lo, exec_lo, s23
	s_delay_alu instid0(SALU_CYCLE_1) | instskip(NEXT) | instid1(SALU_CYCLE_1)
	s_and_b32 s9, exec_lo, s9
	s_or_b32 s19, s9, s19
	s_and_not1_b32 s9, s20, exec_lo
	s_and_b32 s20, s21, exec_lo
	s_and_not1_b32 s18, s18, exec_lo
	s_and_b32 s23, s22, exec_lo
	s_or_b32 s20, s9, s20
	s_or_b32 s18, s18, s23
	s_mov_b32 s23, s22
	s_and_not1_b32 exec_lo, exec_lo, s19
	s_cbranch_execz .LBB1115_72
.LBB1115_68:                            ; =>This Inner Loop Header: Depth=1
	flat_load_u16 v36, v[30:31]
	flat_load_u16 v37, v[2:3]
	s_or_b32 s22, s22, exec_lo
	s_mov_b32 s24, 0
	s_mov_b32 s25, exec_lo
	s_wait_loadcnt_dscnt 0x0
	v_dual_lshlrev_b32 v36, 16, v36 :: v_dual_lshlrev_b32 v37, 16, v37
	s_delay_alu instid0(VALU_DEP_1)
	v_cmpx_nlt_f32_e32 v36, v37
; %bb.69:                               ;   in Loop: Header=BB1115_68 Depth=1
	v_cmp_ngt_f32_e64 s9, v36, v37
	s_and_not1_b32 s22, s22, exec_lo
	s_and_b32 s23, s9, s23
	s_and_b32 s24, s9, exec_lo
	s_and_b32 s23, s23, exec_lo
	s_delay_alu instid0(SALU_CYCLE_1)
	s_or_b32 s22, s22, s23
; %bb.70:                               ;   in Loop: Header=BB1115_68 Depth=1
	s_or_b32 exec_lo, exec_lo, s25
	s_mov_b32 s9, -1
	s_or_b32 s21, s21, exec_lo
	s_and_saveexec_b32 s23, s24
	s_cbranch_execz .LBB1115_67
; %bb.71:                               ;   in Loop: Header=BB1115_68 Depth=1
	v_add_nc_u64_e32 v[32:33], -1, v[32:33]
	v_add_nc_u64_e32 v[2:3], 2, v[2:3]
	v_add_nc_u64_e32 v[30:31], 2, v[30:31]
	s_and_not1_b32 s21, s21, exec_lo
	s_delay_alu instid0(VALU_DEP_3)
	v_cmp_eq_u64_e64 s9, 0, v[32:33]
	s_or_not1_b32 s9, s9, exec_lo
	s_branch .LBB1115_67
.LBB1115_72:
	s_or_b32 exec_lo, exec_lo, s19
	s_and_saveexec_b32 s9, s20
	s_delay_alu instid0(SALU_CYCLE_1)
	s_xor_b32 s9, exec_lo, s9
; %bb.73:
	v_dual_cndmask_b32 v3, v11, v13, s18 :: v_dual_cndmask_b32 v2, v10, v12, s18
	v_dual_cndmask_b32 v13, v13, v11, s18 :: v_dual_cndmask_b32 v12, v12, v10, s18
	s_delay_alu instid0(VALU_DEP_2)
	v_mov_b64_e32 v[10:11], v[2:3]
; %bb.74:
	s_or_b32 exec_lo, exec_lo, s9
.LBB1115_75:
	s_delay_alu instid0(SALU_CYCLE_1) | instskip(SKIP_2) | instid1(SALU_CYCLE_1)
	s_or_b32 exec_lo, exec_lo, s17
	v_cmp_lt_u32_e64 s9, 2, v35
	s_and_b32 s17, s9, s14
	s_and_saveexec_b32 s9, s17
	s_delay_alu instid0(SALU_CYCLE_1)
	s_xor_b32 s18, exec_lo, s9
	s_cbranch_execz .LBB1115_85
; %bb.76:
	v_mul_u64_e32 v[2:3], v[24:25], v[6:7]
	v_mul_u64_e32 v[30:31], v[18:19], v[6:7]
	v_mov_b64_e32 v[32:33], v[6:7]
	s_mov_b32 s20, 0
                                        ; implicit-def: $sgpr19
                                        ; implicit-def: $sgpr21
                                        ; implicit-def: $sgpr22
                                        ; implicit-def: $sgpr23
                                        ; implicit-def: $sgpr24
	s_delay_alu instid0(VALU_DEP_3) | instskip(NEXT) | instid1(VALU_DEP_3)
	v_lshl_add_u64 v[2:3], v[2:3], 1, v[8:9]
	v_lshl_add_u64 v[30:31], v[30:31], 1, v[8:9]
	s_branch .LBB1115_78
.LBB1115_77:                            ;   in Loop: Header=BB1115_78 Depth=1
	s_or_b32 exec_lo, exec_lo, s24
	s_delay_alu instid0(SALU_CYCLE_1) | instskip(NEXT) | instid1(SALU_CYCLE_1)
	s_and_b32 s9, exec_lo, s9
	s_or_b32 s20, s9, s20
	s_and_not1_b32 s9, s21, exec_lo
	s_and_b32 s21, s22, exec_lo
	s_and_not1_b32 s19, s19, exec_lo
	s_and_b32 s24, s23, exec_lo
	s_or_b32 s21, s9, s21
	s_or_b32 s19, s19, s24
	s_mov_b32 s24, s23
	s_and_not1_b32 exec_lo, exec_lo, s20
	s_cbranch_execz .LBB1115_82
.LBB1115_78:                            ; =>This Inner Loop Header: Depth=1
	flat_load_u16 v36, v[30:31]
	flat_load_u16 v37, v[2:3]
	s_or_b32 s23, s23, exec_lo
	s_mov_b32 s25, 0
	s_mov_b32 s26, exec_lo
	s_wait_loadcnt_dscnt 0x0
	v_dual_lshlrev_b32 v36, 16, v36 :: v_dual_lshlrev_b32 v37, 16, v37
	s_delay_alu instid0(VALU_DEP_1)
	v_cmpx_nlt_f32_e32 v36, v37
; %bb.79:                               ;   in Loop: Header=BB1115_78 Depth=1
	v_cmp_ngt_f32_e64 s9, v36, v37
	s_and_not1_b32 s23, s23, exec_lo
	s_and_b32 s24, s9, s24
	s_and_b32 s25, s9, exec_lo
	s_and_b32 s24, s24, exec_lo
	s_delay_alu instid0(SALU_CYCLE_1)
	s_or_b32 s23, s23, s24
; %bb.80:                               ;   in Loop: Header=BB1115_78 Depth=1
	s_or_b32 exec_lo, exec_lo, s26
	s_mov_b32 s9, -1
	s_or_b32 s22, s22, exec_lo
	s_and_saveexec_b32 s24, s25
	s_cbranch_execz .LBB1115_77
; %bb.81:                               ;   in Loop: Header=BB1115_78 Depth=1
	v_add_nc_u64_e32 v[32:33], -1, v[32:33]
	v_add_nc_u64_e32 v[2:3], 2, v[2:3]
	v_add_nc_u64_e32 v[30:31], 2, v[30:31]
	s_and_not1_b32 s22, s22, exec_lo
	s_delay_alu instid0(VALU_DEP_3)
	v_cmp_eq_u64_e64 s9, 0, v[32:33]
	s_or_not1_b32 s9, s9, exec_lo
	s_branch .LBB1115_77
.LBB1115_82:
	s_or_b32 exec_lo, exec_lo, s20
	s_and_saveexec_b32 s9, s21
	s_delay_alu instid0(SALU_CYCLE_1)
	s_xor_b32 s9, exec_lo, s9
; %bb.83:
	v_dual_cndmask_b32 v3, v25, v19, s19 :: v_dual_cndmask_b32 v2, v24, v18, s19
	v_dual_cndmask_b32 v19, v19, v25, s19 :: v_dual_cndmask_b32 v18, v18, v24, s19
	s_delay_alu instid0(VALU_DEP_2)
	v_mov_b64_e32 v[24:25], v[2:3]
; %bb.84:
	s_or_b32 exec_lo, exec_lo, s9
.LBB1115_85:
	s_delay_alu instid0(SALU_CYCLE_1) | instskip(SKIP_2) | instid1(SALU_CYCLE_1)
	s_or_b32 exec_lo, exec_lo, s18
	v_cmp_lt_u32_e64 s9, 4, v35
	s_and_b32 s18, s9, s14
	s_and_saveexec_b32 s19, s18
	s_cbranch_execz .LBB1115_95
; %bb.86:
	v_mul_u64_e32 v[2:3], v[20:21], v[6:7]
	v_mul_u64_e32 v[30:31], v[14:15], v[6:7]
	v_mov_b64_e32 v[32:33], v[6:7]
	s_mov_b32 s21, 0
                                        ; implicit-def: $sgpr20
                                        ; implicit-def: $sgpr22
                                        ; implicit-def: $sgpr23
                                        ; implicit-def: $sgpr24
                                        ; implicit-def: $sgpr25
	s_delay_alu instid0(VALU_DEP_3) | instskip(NEXT) | instid1(VALU_DEP_3)
	v_lshl_add_u64 v[2:3], v[2:3], 1, v[8:9]
	v_lshl_add_u64 v[30:31], v[30:31], 1, v[8:9]
	s_branch .LBB1115_88
.LBB1115_87:                            ;   in Loop: Header=BB1115_88 Depth=1
	s_or_b32 exec_lo, exec_lo, s25
	s_delay_alu instid0(SALU_CYCLE_1) | instskip(NEXT) | instid1(SALU_CYCLE_1)
	s_and_b32 s9, exec_lo, s9
	s_or_b32 s21, s9, s21
	s_and_not1_b32 s9, s22, exec_lo
	s_and_b32 s22, s23, exec_lo
	s_and_not1_b32 s20, s20, exec_lo
	s_and_b32 s25, s24, exec_lo
	s_or_b32 s22, s9, s22
	s_or_b32 s20, s20, s25
	s_mov_b32 s25, s24
	s_and_not1_b32 exec_lo, exec_lo, s21
	s_cbranch_execz .LBB1115_92
.LBB1115_88:                            ; =>This Inner Loop Header: Depth=1
	flat_load_u16 v36, v[30:31]
	flat_load_u16 v37, v[2:3]
	s_or_b32 s24, s24, exec_lo
	s_mov_b32 s26, 0
	s_mov_b32 s27, exec_lo
	s_wait_loadcnt_dscnt 0x0
	v_dual_lshlrev_b32 v36, 16, v36 :: v_dual_lshlrev_b32 v37, 16, v37
	s_delay_alu instid0(VALU_DEP_1)
	v_cmpx_nlt_f32_e32 v36, v37
; %bb.89:                               ;   in Loop: Header=BB1115_88 Depth=1
	v_cmp_ngt_f32_e64 s9, v36, v37
	s_and_not1_b32 s24, s24, exec_lo
	s_and_b32 s25, s9, s25
	s_and_b32 s26, s9, exec_lo
	s_and_b32 s25, s25, exec_lo
	s_delay_alu instid0(SALU_CYCLE_1)
	s_or_b32 s24, s24, s25
; %bb.90:                               ;   in Loop: Header=BB1115_88 Depth=1
	s_or_b32 exec_lo, exec_lo, s27
	s_mov_b32 s9, -1
	s_or_b32 s23, s23, exec_lo
	s_and_saveexec_b32 s25, s26
	s_cbranch_execz .LBB1115_87
; %bb.91:                               ;   in Loop: Header=BB1115_88 Depth=1
	v_add_nc_u64_e32 v[32:33], -1, v[32:33]
	v_add_nc_u64_e32 v[2:3], 2, v[2:3]
	v_add_nc_u64_e32 v[30:31], 2, v[30:31]
	s_and_not1_b32 s23, s23, exec_lo
	s_delay_alu instid0(VALU_DEP_3)
	v_cmp_eq_u64_e64 s9, 0, v[32:33]
	s_or_not1_b32 s9, s9, exec_lo
	s_branch .LBB1115_87
.LBB1115_92:
	s_or_b32 exec_lo, exec_lo, s21
	s_and_saveexec_b32 s9, s22
	s_delay_alu instid0(SALU_CYCLE_1)
	s_xor_b32 s9, exec_lo, s9
; %bb.93:
	v_dual_cndmask_b32 v3, v21, v15, s20 :: v_dual_cndmask_b32 v2, v20, v14, s20
	v_dual_cndmask_b32 v15, v15, v21, s20 :: v_dual_cndmask_b32 v14, v14, v20, s20
	s_delay_alu instid0(VALU_DEP_2)
	v_mov_b64_e32 v[20:21], v[2:3]
; %bb.94:
	s_or_b32 exec_lo, exec_lo, s9
.LBB1115_95:
	s_delay_alu instid0(SALU_CYCLE_1) | instskip(SKIP_2) | instid1(SALU_CYCLE_1)
	s_or_b32 exec_lo, exec_lo, s19
	v_cmp_lt_u32_e64 s9, 6, v35
	s_and_b32 s19, s9, s14
	s_and_saveexec_b32 s20, s19
	s_cbranch_execz .LBB1115_102
; %bb.96:
	v_mul_u64_e32 v[2:3], v[16:17], v[6:7]
	v_mul_u64_e32 v[30:31], v[10:11], v[6:7]
	v_mov_b64_e32 v[32:33], v[6:7]
	s_mov_b32 s22, 0
                                        ; implicit-def: $sgpr21
                                        ; implicit-def: $sgpr23
                                        ; implicit-def: $sgpr24
                                        ; implicit-def: $sgpr25
                                        ; implicit-def: $sgpr26
	s_delay_alu instid0(VALU_DEP_3) | instskip(NEXT) | instid1(VALU_DEP_3)
	v_lshl_add_u64 v[2:3], v[2:3], 1, v[8:9]
	v_lshl_add_u64 v[30:31], v[30:31], 1, v[8:9]
	s_branch .LBB1115_98
.LBB1115_97:                            ;   in Loop: Header=BB1115_98 Depth=1
	s_or_b32 exec_lo, exec_lo, s26
	s_delay_alu instid0(SALU_CYCLE_1) | instskip(NEXT) | instid1(SALU_CYCLE_1)
	s_and_b32 s9, exec_lo, s9
	s_or_b32 s22, s9, s22
	s_and_not1_b32 s9, s23, exec_lo
	s_and_b32 s23, s24, exec_lo
	s_and_not1_b32 s21, s21, exec_lo
	s_and_b32 s26, s25, exec_lo
	s_or_b32 s23, s9, s23
	s_or_b32 s21, s21, s26
	s_mov_b32 s26, s25
	s_and_not1_b32 exec_lo, exec_lo, s22
	s_cbranch_execz .LBB1115_109
.LBB1115_98:                            ; =>This Inner Loop Header: Depth=1
	flat_load_u16 v35, v[30:31]
	flat_load_u16 v36, v[2:3]
	s_or_b32 s25, s25, exec_lo
	s_mov_b32 s27, 0
	s_mov_b32 s28, exec_lo
	s_wait_loadcnt_dscnt 0x0
	v_dual_lshlrev_b32 v35, 16, v35 :: v_dual_lshlrev_b32 v36, 16, v36
	s_delay_alu instid0(VALU_DEP_1)
	v_cmpx_nlt_f32_e32 v35, v36
; %bb.99:                               ;   in Loop: Header=BB1115_98 Depth=1
	v_cmp_ngt_f32_e64 s9, v35, v36
	s_and_not1_b32 s25, s25, exec_lo
	s_and_b32 s26, s9, s26
	s_and_b32 s27, s9, exec_lo
	s_and_b32 s26, s26, exec_lo
	s_delay_alu instid0(SALU_CYCLE_1)
	s_or_b32 s25, s25, s26
; %bb.100:                              ;   in Loop: Header=BB1115_98 Depth=1
	s_or_b32 exec_lo, exec_lo, s28
	s_mov_b32 s9, -1
	s_or_b32 s24, s24, exec_lo
	s_and_saveexec_b32 s26, s27
	s_cbranch_execz .LBB1115_97
; %bb.101:                              ;   in Loop: Header=BB1115_98 Depth=1
	v_add_nc_u64_e32 v[32:33], -1, v[32:33]
	v_add_nc_u64_e32 v[2:3], 2, v[2:3]
	v_add_nc_u64_e32 v[30:31], 2, v[30:31]
	s_and_not1_b32 s24, s24, exec_lo
	s_delay_alu instid0(VALU_DEP_3)
	v_cmp_eq_u64_e64 s9, 0, v[32:33]
	s_or_not1_b32 s9, s9, exec_lo
	s_branch .LBB1115_97
.LBB1115_102:
	s_or_b32 exec_lo, exec_lo, s20
	s_and_saveexec_b32 s20, s10
	s_cbranch_execz .LBB1115_112
.LBB1115_103:
	v_mul_u64_e32 v[2:3], v[22:23], v[6:7]
	v_mul_u64_e32 v[30:31], v[24:25], v[6:7]
	v_mov_b64_e32 v[32:33], v[6:7]
	s_mov_b32 s22, 0
                                        ; implicit-def: $sgpr21
                                        ; implicit-def: $sgpr23
                                        ; implicit-def: $sgpr24
                                        ; implicit-def: $sgpr25
                                        ; implicit-def: $sgpr26
	s_delay_alu instid0(VALU_DEP_3) | instskip(NEXT) | instid1(VALU_DEP_3)
	v_lshl_add_u64 v[2:3], v[2:3], 1, v[8:9]
	v_lshl_add_u64 v[30:31], v[30:31], 1, v[8:9]
	s_branch .LBB1115_105
.LBB1115_104:                           ;   in Loop: Header=BB1115_105 Depth=1
	s_or_b32 exec_lo, exec_lo, s26
	s_delay_alu instid0(SALU_CYCLE_1) | instskip(NEXT) | instid1(SALU_CYCLE_1)
	s_and_b32 s9, exec_lo, s9
	s_or_b32 s22, s9, s22
	s_and_not1_b32 s9, s23, exec_lo
	s_and_b32 s23, s24, exec_lo
	s_and_not1_b32 s21, s21, exec_lo
	s_and_b32 s26, s25, exec_lo
	s_or_b32 s23, s9, s23
	s_or_b32 s21, s21, s26
	s_mov_b32 s26, s25
	s_and_not1_b32 exec_lo, exec_lo, s22
	s_cbranch_execz .LBB1115_119
.LBB1115_105:                           ; =>This Inner Loop Header: Depth=1
	flat_load_u16 v35, v[30:31]
	flat_load_u16 v36, v[2:3]
	s_or_b32 s25, s25, exec_lo
	s_mov_b32 s27, 0
	s_mov_b32 s28, exec_lo
	s_wait_loadcnt_dscnt 0x0
	v_dual_lshlrev_b32 v35, 16, v35 :: v_dual_lshlrev_b32 v36, 16, v36
	s_delay_alu instid0(VALU_DEP_1)
	v_cmpx_nlt_f32_e32 v35, v36
; %bb.106:                              ;   in Loop: Header=BB1115_105 Depth=1
	v_cmp_ngt_f32_e64 s9, v35, v36
	s_and_not1_b32 s25, s25, exec_lo
	s_and_b32 s26, s9, s26
	s_and_b32 s27, s9, exec_lo
	s_and_b32 s26, s26, exec_lo
	s_delay_alu instid0(SALU_CYCLE_1)
	s_or_b32 s25, s25, s26
; %bb.107:                              ;   in Loop: Header=BB1115_105 Depth=1
	s_or_b32 exec_lo, exec_lo, s28
	s_mov_b32 s9, -1
	s_or_b32 s24, s24, exec_lo
	s_and_saveexec_b32 s26, s27
	s_cbranch_execz .LBB1115_104
; %bb.108:                              ;   in Loop: Header=BB1115_105 Depth=1
	v_add_nc_u64_e32 v[32:33], -1, v[32:33]
	v_add_nc_u64_e32 v[2:3], 2, v[2:3]
	v_add_nc_u64_e32 v[30:31], 2, v[30:31]
	s_and_not1_b32 s24, s24, exec_lo
	s_delay_alu instid0(VALU_DEP_3)
	v_cmp_eq_u64_e64 s9, 0, v[32:33]
	s_or_not1_b32 s9, s9, exec_lo
	s_branch .LBB1115_104
.LBB1115_109:
	s_or_b32 exec_lo, exec_lo, s22
	s_and_saveexec_b32 s9, s23
	s_delay_alu instid0(SALU_CYCLE_1)
	s_xor_b32 s9, exec_lo, s9
; %bb.110:
	v_dual_cndmask_b32 v3, v17, v11, s21 :: v_dual_cndmask_b32 v2, v16, v10, s21
	v_dual_cndmask_b32 v11, v11, v17, s21 :: v_dual_cndmask_b32 v10, v10, v16, s21
	s_delay_alu instid0(VALU_DEP_2)
	v_mov_b64_e32 v[16:17], v[2:3]
; %bb.111:
	s_or_b32 exec_lo, exec_lo, s9
	s_delay_alu instid0(SALU_CYCLE_1)
	s_or_b32 exec_lo, exec_lo, s20
	s_and_saveexec_b32 s20, s10
	s_cbranch_execnz .LBB1115_103
.LBB1115_112:
	s_or_b32 exec_lo, exec_lo, s20
	s_and_saveexec_b32 s20, s11
	s_cbranch_execz .LBB1115_122
.LBB1115_113:
	v_mul_u64_e32 v[2:3], v[18:19], v[6:7]
	v_mul_u64_e32 v[30:31], v[20:21], v[6:7]
	v_mov_b64_e32 v[32:33], v[6:7]
	s_mov_b32 s22, 0
                                        ; implicit-def: $sgpr21
                                        ; implicit-def: $sgpr23
                                        ; implicit-def: $sgpr24
                                        ; implicit-def: $sgpr25
                                        ; implicit-def: $sgpr26
	s_delay_alu instid0(VALU_DEP_3) | instskip(NEXT) | instid1(VALU_DEP_3)
	v_lshl_add_u64 v[2:3], v[2:3], 1, v[8:9]
	v_lshl_add_u64 v[30:31], v[30:31], 1, v[8:9]
	s_branch .LBB1115_115
.LBB1115_114:                           ;   in Loop: Header=BB1115_115 Depth=1
	s_or_b32 exec_lo, exec_lo, s26
	s_delay_alu instid0(SALU_CYCLE_1) | instskip(NEXT) | instid1(SALU_CYCLE_1)
	s_and_b32 s9, exec_lo, s9
	s_or_b32 s22, s9, s22
	s_and_not1_b32 s9, s23, exec_lo
	s_and_b32 s23, s24, exec_lo
	s_and_not1_b32 s21, s21, exec_lo
	s_and_b32 s26, s25, exec_lo
	s_or_b32 s23, s9, s23
	s_or_b32 s21, s21, s26
	s_mov_b32 s26, s25
	s_and_not1_b32 exec_lo, exec_lo, s22
	s_cbranch_execz .LBB1115_129
.LBB1115_115:                           ; =>This Inner Loop Header: Depth=1
	flat_load_u16 v35, v[30:31]
	flat_load_u16 v36, v[2:3]
	s_or_b32 s25, s25, exec_lo
	s_mov_b32 s27, 0
	s_mov_b32 s28, exec_lo
	s_wait_loadcnt_dscnt 0x0
	v_dual_lshlrev_b32 v35, 16, v35 :: v_dual_lshlrev_b32 v36, 16, v36
	s_delay_alu instid0(VALU_DEP_1)
	v_cmpx_nlt_f32_e32 v35, v36
; %bb.116:                              ;   in Loop: Header=BB1115_115 Depth=1
	v_cmp_ngt_f32_e64 s9, v35, v36
	s_and_not1_b32 s25, s25, exec_lo
	s_and_b32 s26, s9, s26
	s_and_b32 s27, s9, exec_lo
	s_and_b32 s26, s26, exec_lo
	s_delay_alu instid0(SALU_CYCLE_1)
	s_or_b32 s25, s25, s26
; %bb.117:                              ;   in Loop: Header=BB1115_115 Depth=1
	s_or_b32 exec_lo, exec_lo, s28
	s_mov_b32 s9, -1
	s_or_b32 s24, s24, exec_lo
	s_and_saveexec_b32 s26, s27
	s_cbranch_execz .LBB1115_114
; %bb.118:                              ;   in Loop: Header=BB1115_115 Depth=1
	v_add_nc_u64_e32 v[32:33], -1, v[32:33]
	v_add_nc_u64_e32 v[2:3], 2, v[2:3]
	v_add_nc_u64_e32 v[30:31], 2, v[30:31]
	s_and_not1_b32 s24, s24, exec_lo
	s_delay_alu instid0(VALU_DEP_3)
	v_cmp_eq_u64_e64 s9, 0, v[32:33]
	s_or_not1_b32 s9, s9, exec_lo
	s_branch .LBB1115_114
.LBB1115_119:
	s_or_b32 exec_lo, exec_lo, s22
	s_and_saveexec_b32 s9, s23
	s_delay_alu instid0(SALU_CYCLE_1)
	s_xor_b32 s9, exec_lo, s9
; %bb.120:
	v_dual_cndmask_b32 v3, v25, v23, s21 :: v_dual_cndmask_b32 v2, v24, v22, s21
	v_dual_cndmask_b32 v23, v23, v25, s21 :: v_dual_cndmask_b32 v22, v22, v24, s21
	s_delay_alu instid0(VALU_DEP_2)
	v_mov_b64_e32 v[24:25], v[2:3]
; %bb.121:
	s_or_b32 exec_lo, exec_lo, s9
	s_delay_alu instid0(SALU_CYCLE_1)
	s_or_b32 exec_lo, exec_lo, s20
	s_and_saveexec_b32 s20, s11
	s_cbranch_execnz .LBB1115_113
.LBB1115_122:
	s_or_b32 exec_lo, exec_lo, s20
	s_and_saveexec_b32 s20, s15
	s_cbranch_execz .LBB1115_132
.LBB1115_123:
	v_mul_u64_e32 v[2:3], v[14:15], v[6:7]
	v_mul_u64_e32 v[30:31], v[16:17], v[6:7]
	v_mov_b64_e32 v[32:33], v[6:7]
	s_mov_b32 s22, 0
                                        ; implicit-def: $sgpr21
                                        ; implicit-def: $sgpr23
                                        ; implicit-def: $sgpr24
                                        ; implicit-def: $sgpr25
                                        ; implicit-def: $sgpr26
	s_delay_alu instid0(VALU_DEP_3) | instskip(NEXT) | instid1(VALU_DEP_3)
	v_lshl_add_u64 v[2:3], v[2:3], 1, v[8:9]
	v_lshl_add_u64 v[30:31], v[30:31], 1, v[8:9]
	s_branch .LBB1115_125
.LBB1115_124:                           ;   in Loop: Header=BB1115_125 Depth=1
	s_or_b32 exec_lo, exec_lo, s26
	s_delay_alu instid0(SALU_CYCLE_1) | instskip(NEXT) | instid1(SALU_CYCLE_1)
	s_and_b32 s9, exec_lo, s9
	s_or_b32 s22, s9, s22
	s_and_not1_b32 s9, s23, exec_lo
	s_and_b32 s23, s24, exec_lo
	s_and_not1_b32 s21, s21, exec_lo
	s_and_b32 s26, s25, exec_lo
	s_or_b32 s23, s9, s23
	s_or_b32 s21, s21, s26
	s_mov_b32 s26, s25
	s_and_not1_b32 exec_lo, exec_lo, s22
	s_cbranch_execz .LBB1115_139
.LBB1115_125:                           ; =>This Inner Loop Header: Depth=1
	flat_load_u16 v35, v[30:31]
	flat_load_u16 v36, v[2:3]
	s_or_b32 s25, s25, exec_lo
	s_mov_b32 s27, 0
	s_mov_b32 s28, exec_lo
	s_wait_loadcnt_dscnt 0x0
	v_dual_lshlrev_b32 v35, 16, v35 :: v_dual_lshlrev_b32 v36, 16, v36
	s_delay_alu instid0(VALU_DEP_1)
	v_cmpx_nlt_f32_e32 v35, v36
; %bb.126:                              ;   in Loop: Header=BB1115_125 Depth=1
	v_cmp_ngt_f32_e64 s9, v35, v36
	s_and_not1_b32 s25, s25, exec_lo
	s_and_b32 s26, s9, s26
	s_and_b32 s27, s9, exec_lo
	s_and_b32 s26, s26, exec_lo
	s_delay_alu instid0(SALU_CYCLE_1)
	s_or_b32 s25, s25, s26
; %bb.127:                              ;   in Loop: Header=BB1115_125 Depth=1
	s_or_b32 exec_lo, exec_lo, s28
	s_mov_b32 s9, -1
	s_or_b32 s24, s24, exec_lo
	s_and_saveexec_b32 s26, s27
	s_cbranch_execz .LBB1115_124
; %bb.128:                              ;   in Loop: Header=BB1115_125 Depth=1
	v_add_nc_u64_e32 v[32:33], -1, v[32:33]
	v_add_nc_u64_e32 v[2:3], 2, v[2:3]
	v_add_nc_u64_e32 v[30:31], 2, v[30:31]
	s_and_not1_b32 s24, s24, exec_lo
	s_delay_alu instid0(VALU_DEP_3)
	v_cmp_eq_u64_e64 s9, 0, v[32:33]
	s_or_not1_b32 s9, s9, exec_lo
	s_branch .LBB1115_124
.LBB1115_129:
	s_or_b32 exec_lo, exec_lo, s22
	s_and_saveexec_b32 s9, s23
	s_delay_alu instid0(SALU_CYCLE_1)
	s_xor_b32 s9, exec_lo, s9
; %bb.130:
	v_dual_cndmask_b32 v3, v19, v21, s21 :: v_dual_cndmask_b32 v2, v18, v20, s21
	v_dual_cndmask_b32 v21, v21, v19, s21 :: v_dual_cndmask_b32 v20, v20, v18, s21
	s_delay_alu instid0(VALU_DEP_2)
	v_mov_b64_e32 v[18:19], v[2:3]
; %bb.131:
	s_or_b32 exec_lo, exec_lo, s9
	s_delay_alu instid0(SALU_CYCLE_1)
	s_or_b32 exec_lo, exec_lo, s20
	s_and_saveexec_b32 s20, s15
	s_cbranch_execnz .LBB1115_123
.LBB1115_132:
	s_or_b32 exec_lo, exec_lo, s20
	s_and_saveexec_b32 s20, s16
	s_cbranch_execz .LBB1115_142
.LBB1115_133:
	v_mul_u64_e32 v[2:3], v[10:11], v[6:7]
	v_mul_u64_e32 v[30:31], v[12:13], v[6:7]
	v_mov_b64_e32 v[32:33], v[6:7]
	s_mov_b32 s22, 0
                                        ; implicit-def: $sgpr21
                                        ; implicit-def: $sgpr23
                                        ; implicit-def: $sgpr24
                                        ; implicit-def: $sgpr25
                                        ; implicit-def: $sgpr26
	s_delay_alu instid0(VALU_DEP_3) | instskip(NEXT) | instid1(VALU_DEP_3)
	v_lshl_add_u64 v[2:3], v[2:3], 1, v[8:9]
	v_lshl_add_u64 v[30:31], v[30:31], 1, v[8:9]
	s_branch .LBB1115_135
.LBB1115_134:                           ;   in Loop: Header=BB1115_135 Depth=1
	s_or_b32 exec_lo, exec_lo, s26
	s_delay_alu instid0(SALU_CYCLE_1) | instskip(NEXT) | instid1(SALU_CYCLE_1)
	s_and_b32 s9, exec_lo, s9
	s_or_b32 s22, s9, s22
	s_and_not1_b32 s9, s23, exec_lo
	s_and_b32 s23, s24, exec_lo
	s_and_not1_b32 s21, s21, exec_lo
	s_and_b32 s26, s25, exec_lo
	s_or_b32 s23, s9, s23
	s_or_b32 s21, s21, s26
	s_mov_b32 s26, s25
	s_and_not1_b32 exec_lo, exec_lo, s22
	s_cbranch_execz .LBB1115_149
.LBB1115_135:                           ; =>This Inner Loop Header: Depth=1
	flat_load_u16 v35, v[30:31]
	flat_load_u16 v36, v[2:3]
	s_or_b32 s25, s25, exec_lo
	s_mov_b32 s27, 0
	s_mov_b32 s28, exec_lo
	s_wait_loadcnt_dscnt 0x0
	v_dual_lshlrev_b32 v35, 16, v35 :: v_dual_lshlrev_b32 v36, 16, v36
	s_delay_alu instid0(VALU_DEP_1)
	v_cmpx_nlt_f32_e32 v35, v36
; %bb.136:                              ;   in Loop: Header=BB1115_135 Depth=1
	v_cmp_ngt_f32_e64 s9, v35, v36
	s_and_not1_b32 s25, s25, exec_lo
	s_and_b32 s26, s9, s26
	s_and_b32 s27, s9, exec_lo
	s_and_b32 s26, s26, exec_lo
	s_delay_alu instid0(SALU_CYCLE_1)
	s_or_b32 s25, s25, s26
; %bb.137:                              ;   in Loop: Header=BB1115_135 Depth=1
	s_or_b32 exec_lo, exec_lo, s28
	s_mov_b32 s9, -1
	s_or_b32 s24, s24, exec_lo
	s_and_saveexec_b32 s26, s27
	s_cbranch_execz .LBB1115_134
; %bb.138:                              ;   in Loop: Header=BB1115_135 Depth=1
	v_add_nc_u64_e32 v[32:33], -1, v[32:33]
	v_add_nc_u64_e32 v[2:3], 2, v[2:3]
	v_add_nc_u64_e32 v[30:31], 2, v[30:31]
	s_and_not1_b32 s24, s24, exec_lo
	s_delay_alu instid0(VALU_DEP_3)
	v_cmp_eq_u64_e64 s9, 0, v[32:33]
	s_or_not1_b32 s9, s9, exec_lo
	s_branch .LBB1115_134
.LBB1115_139:
	s_or_b32 exec_lo, exec_lo, s22
	s_and_saveexec_b32 s9, s23
	s_delay_alu instid0(SALU_CYCLE_1)
	s_xor_b32 s9, exec_lo, s9
; %bb.140:
	v_dual_cndmask_b32 v3, v15, v17, s21 :: v_dual_cndmask_b32 v2, v14, v16, s21
	v_dual_cndmask_b32 v17, v17, v15, s21 :: v_dual_cndmask_b32 v16, v16, v14, s21
	s_delay_alu instid0(VALU_DEP_2)
	v_mov_b64_e32 v[14:15], v[2:3]
; %bb.141:
	s_or_b32 exec_lo, exec_lo, s9
	s_delay_alu instid0(SALU_CYCLE_1)
	s_or_b32 exec_lo, exec_lo, s20
	s_and_saveexec_b32 s20, s16
	s_cbranch_execnz .LBB1115_133
.LBB1115_142:
	s_or_b32 exec_lo, exec_lo, s20
	s_and_saveexec_b32 s20, s17
	s_cbranch_execz .LBB1115_152
.LBB1115_143:
	v_mul_u64_e32 v[2:3], v[24:25], v[6:7]
	v_mul_u64_e32 v[30:31], v[18:19], v[6:7]
	v_mov_b64_e32 v[32:33], v[6:7]
	s_mov_b32 s22, 0
                                        ; implicit-def: $sgpr21
                                        ; implicit-def: $sgpr23
                                        ; implicit-def: $sgpr24
                                        ; implicit-def: $sgpr25
                                        ; implicit-def: $sgpr26
	s_delay_alu instid0(VALU_DEP_3) | instskip(NEXT) | instid1(VALU_DEP_3)
	v_lshl_add_u64 v[2:3], v[2:3], 1, v[8:9]
	v_lshl_add_u64 v[30:31], v[30:31], 1, v[8:9]
	s_branch .LBB1115_145
.LBB1115_144:                           ;   in Loop: Header=BB1115_145 Depth=1
	s_or_b32 exec_lo, exec_lo, s26
	s_delay_alu instid0(SALU_CYCLE_1) | instskip(NEXT) | instid1(SALU_CYCLE_1)
	s_and_b32 s9, exec_lo, s9
	s_or_b32 s22, s9, s22
	s_and_not1_b32 s9, s23, exec_lo
	s_and_b32 s23, s24, exec_lo
	s_and_not1_b32 s21, s21, exec_lo
	s_and_b32 s26, s25, exec_lo
	s_or_b32 s23, s9, s23
	s_or_b32 s21, s21, s26
	s_mov_b32 s26, s25
	s_and_not1_b32 exec_lo, exec_lo, s22
	s_cbranch_execz .LBB1115_159
.LBB1115_145:                           ; =>This Inner Loop Header: Depth=1
	flat_load_u16 v35, v[30:31]
	flat_load_u16 v36, v[2:3]
	s_or_b32 s25, s25, exec_lo
	s_mov_b32 s27, 0
	s_mov_b32 s28, exec_lo
	s_wait_loadcnt_dscnt 0x0
	v_dual_lshlrev_b32 v35, 16, v35 :: v_dual_lshlrev_b32 v36, 16, v36
	s_delay_alu instid0(VALU_DEP_1)
	v_cmpx_nlt_f32_e32 v35, v36
; %bb.146:                              ;   in Loop: Header=BB1115_145 Depth=1
	v_cmp_ngt_f32_e64 s9, v35, v36
	s_and_not1_b32 s25, s25, exec_lo
	s_and_b32 s26, s9, s26
	s_and_b32 s27, s9, exec_lo
	s_and_b32 s26, s26, exec_lo
	s_delay_alu instid0(SALU_CYCLE_1)
	s_or_b32 s25, s25, s26
; %bb.147:                              ;   in Loop: Header=BB1115_145 Depth=1
	s_or_b32 exec_lo, exec_lo, s28
	s_mov_b32 s9, -1
	s_or_b32 s24, s24, exec_lo
	s_and_saveexec_b32 s26, s27
	s_cbranch_execz .LBB1115_144
; %bb.148:                              ;   in Loop: Header=BB1115_145 Depth=1
	v_add_nc_u64_e32 v[32:33], -1, v[32:33]
	v_add_nc_u64_e32 v[2:3], 2, v[2:3]
	v_add_nc_u64_e32 v[30:31], 2, v[30:31]
	s_and_not1_b32 s24, s24, exec_lo
	s_delay_alu instid0(VALU_DEP_3)
	v_cmp_eq_u64_e64 s9, 0, v[32:33]
	s_or_not1_b32 s9, s9, exec_lo
	s_branch .LBB1115_144
.LBB1115_149:
	s_or_b32 exec_lo, exec_lo, s22
	s_and_saveexec_b32 s9, s23
	s_delay_alu instid0(SALU_CYCLE_1)
	s_xor_b32 s9, exec_lo, s9
; %bb.150:
	v_dual_cndmask_b32 v3, v11, v13, s21 :: v_dual_cndmask_b32 v2, v10, v12, s21
	v_dual_cndmask_b32 v13, v13, v11, s21 :: v_dual_cndmask_b32 v12, v12, v10, s21
	s_delay_alu instid0(VALU_DEP_2)
	v_mov_b64_e32 v[10:11], v[2:3]
; %bb.151:
	s_or_b32 exec_lo, exec_lo, s9
	s_delay_alu instid0(SALU_CYCLE_1)
	s_or_b32 exec_lo, exec_lo, s20
	s_and_saveexec_b32 s20, s17
	s_cbranch_execnz .LBB1115_143
.LBB1115_152:
	s_or_b32 exec_lo, exec_lo, s20
	s_and_saveexec_b32 s20, s18
	s_cbranch_execz .LBB1115_162
.LBB1115_153:
	v_mul_u64_e32 v[2:3], v[20:21], v[6:7]
	v_mul_u64_e32 v[30:31], v[14:15], v[6:7]
	v_mov_b64_e32 v[32:33], v[6:7]
	s_mov_b32 s22, 0
                                        ; implicit-def: $sgpr21
                                        ; implicit-def: $sgpr23
                                        ; implicit-def: $sgpr24
                                        ; implicit-def: $sgpr25
                                        ; implicit-def: $sgpr26
	s_delay_alu instid0(VALU_DEP_3) | instskip(NEXT) | instid1(VALU_DEP_3)
	v_lshl_add_u64 v[2:3], v[2:3], 1, v[8:9]
	v_lshl_add_u64 v[30:31], v[30:31], 1, v[8:9]
	s_branch .LBB1115_155
.LBB1115_154:                           ;   in Loop: Header=BB1115_155 Depth=1
	s_or_b32 exec_lo, exec_lo, s26
	s_delay_alu instid0(SALU_CYCLE_1) | instskip(NEXT) | instid1(SALU_CYCLE_1)
	s_and_b32 s9, exec_lo, s9
	s_or_b32 s22, s9, s22
	s_and_not1_b32 s9, s23, exec_lo
	s_and_b32 s23, s24, exec_lo
	s_and_not1_b32 s21, s21, exec_lo
	s_and_b32 s26, s25, exec_lo
	s_or_b32 s23, s9, s23
	s_or_b32 s21, s21, s26
	s_mov_b32 s26, s25
	s_and_not1_b32 exec_lo, exec_lo, s22
	s_cbranch_execz .LBB1115_169
.LBB1115_155:                           ; =>This Inner Loop Header: Depth=1
	flat_load_u16 v35, v[30:31]
	flat_load_u16 v36, v[2:3]
	s_or_b32 s25, s25, exec_lo
	s_mov_b32 s27, 0
	s_mov_b32 s28, exec_lo
	s_wait_loadcnt_dscnt 0x0
	v_dual_lshlrev_b32 v35, 16, v35 :: v_dual_lshlrev_b32 v36, 16, v36
	s_delay_alu instid0(VALU_DEP_1)
	v_cmpx_nlt_f32_e32 v35, v36
; %bb.156:                              ;   in Loop: Header=BB1115_155 Depth=1
	v_cmp_ngt_f32_e64 s9, v35, v36
	s_and_not1_b32 s25, s25, exec_lo
	s_and_b32 s26, s9, s26
	s_and_b32 s27, s9, exec_lo
	s_and_b32 s26, s26, exec_lo
	s_delay_alu instid0(SALU_CYCLE_1)
	s_or_b32 s25, s25, s26
; %bb.157:                              ;   in Loop: Header=BB1115_155 Depth=1
	s_or_b32 exec_lo, exec_lo, s28
	s_mov_b32 s9, -1
	s_or_b32 s24, s24, exec_lo
	s_and_saveexec_b32 s26, s27
	s_cbranch_execz .LBB1115_154
; %bb.158:                              ;   in Loop: Header=BB1115_155 Depth=1
	v_add_nc_u64_e32 v[32:33], -1, v[32:33]
	v_add_nc_u64_e32 v[2:3], 2, v[2:3]
	v_add_nc_u64_e32 v[30:31], 2, v[30:31]
	s_and_not1_b32 s24, s24, exec_lo
	s_delay_alu instid0(VALU_DEP_3)
	v_cmp_eq_u64_e64 s9, 0, v[32:33]
	s_or_not1_b32 s9, s9, exec_lo
	s_branch .LBB1115_154
.LBB1115_159:
	s_or_b32 exec_lo, exec_lo, s22
	s_and_saveexec_b32 s9, s23
	s_delay_alu instid0(SALU_CYCLE_1)
	s_xor_b32 s9, exec_lo, s9
; %bb.160:
	v_dual_cndmask_b32 v3, v25, v19, s21 :: v_dual_cndmask_b32 v2, v24, v18, s21
	v_dual_cndmask_b32 v19, v19, v25, s21 :: v_dual_cndmask_b32 v18, v18, v24, s21
	s_delay_alu instid0(VALU_DEP_2)
	v_mov_b64_e32 v[24:25], v[2:3]
; %bb.161:
	s_or_b32 exec_lo, exec_lo, s9
	s_delay_alu instid0(SALU_CYCLE_1)
	s_or_b32 exec_lo, exec_lo, s20
	s_and_saveexec_b32 s20, s18
	s_cbranch_execnz .LBB1115_153
.LBB1115_162:
	s_or_b32 exec_lo, exec_lo, s20
	s_and_saveexec_b32 s20, s19
	s_cbranch_execz .LBB1115_172
.LBB1115_163:
	v_mul_u64_e32 v[2:3], v[16:17], v[6:7]
	v_mul_u64_e32 v[30:31], v[10:11], v[6:7]
	v_mov_b64_e32 v[32:33], v[6:7]
	s_mov_b32 s22, 0
                                        ; implicit-def: $sgpr21
                                        ; implicit-def: $sgpr23
                                        ; implicit-def: $sgpr24
                                        ; implicit-def: $sgpr25
                                        ; implicit-def: $sgpr26
	s_delay_alu instid0(VALU_DEP_3) | instskip(NEXT) | instid1(VALU_DEP_3)
	v_lshl_add_u64 v[2:3], v[2:3], 1, v[8:9]
	v_lshl_add_u64 v[30:31], v[30:31], 1, v[8:9]
	s_branch .LBB1115_165
.LBB1115_164:                           ;   in Loop: Header=BB1115_165 Depth=1
	s_or_b32 exec_lo, exec_lo, s26
	s_delay_alu instid0(SALU_CYCLE_1) | instskip(NEXT) | instid1(SALU_CYCLE_1)
	s_and_b32 s9, exec_lo, s9
	s_or_b32 s22, s9, s22
	s_and_not1_b32 s9, s23, exec_lo
	s_and_b32 s23, s24, exec_lo
	s_and_not1_b32 s21, s21, exec_lo
	s_and_b32 s26, s25, exec_lo
	s_or_b32 s23, s9, s23
	s_or_b32 s21, s21, s26
	s_mov_b32 s26, s25
	s_and_not1_b32 exec_lo, exec_lo, s22
	s_cbranch_execz .LBB1115_179
.LBB1115_165:                           ; =>This Inner Loop Header: Depth=1
	flat_load_u16 v35, v[30:31]
	flat_load_u16 v36, v[2:3]
	s_or_b32 s25, s25, exec_lo
	s_mov_b32 s27, 0
	s_mov_b32 s28, exec_lo
	s_wait_loadcnt_dscnt 0x0
	v_dual_lshlrev_b32 v35, 16, v35 :: v_dual_lshlrev_b32 v36, 16, v36
	s_delay_alu instid0(VALU_DEP_1)
	v_cmpx_nlt_f32_e32 v35, v36
; %bb.166:                              ;   in Loop: Header=BB1115_165 Depth=1
	v_cmp_ngt_f32_e64 s9, v35, v36
	s_and_not1_b32 s25, s25, exec_lo
	s_and_b32 s26, s9, s26
	s_and_b32 s27, s9, exec_lo
	s_and_b32 s26, s26, exec_lo
	s_delay_alu instid0(SALU_CYCLE_1)
	s_or_b32 s25, s25, s26
; %bb.167:                              ;   in Loop: Header=BB1115_165 Depth=1
	s_or_b32 exec_lo, exec_lo, s28
	s_mov_b32 s9, -1
	s_or_b32 s24, s24, exec_lo
	s_and_saveexec_b32 s26, s27
	s_cbranch_execz .LBB1115_164
; %bb.168:                              ;   in Loop: Header=BB1115_165 Depth=1
	v_add_nc_u64_e32 v[32:33], -1, v[32:33]
	v_add_nc_u64_e32 v[2:3], 2, v[2:3]
	v_add_nc_u64_e32 v[30:31], 2, v[30:31]
	s_and_not1_b32 s24, s24, exec_lo
	s_delay_alu instid0(VALU_DEP_3)
	v_cmp_eq_u64_e64 s9, 0, v[32:33]
	s_or_not1_b32 s9, s9, exec_lo
	s_branch .LBB1115_164
.LBB1115_169:
	s_or_b32 exec_lo, exec_lo, s22
	s_and_saveexec_b32 s9, s23
	s_delay_alu instid0(SALU_CYCLE_1)
	s_xor_b32 s9, exec_lo, s9
; %bb.170:
	v_dual_cndmask_b32 v3, v21, v15, s21 :: v_dual_cndmask_b32 v2, v20, v14, s21
	v_dual_cndmask_b32 v15, v15, v21, s21 :: v_dual_cndmask_b32 v14, v14, v20, s21
	s_delay_alu instid0(VALU_DEP_2)
	v_mov_b64_e32 v[20:21], v[2:3]
; %bb.171:
	s_or_b32 exec_lo, exec_lo, s9
	s_delay_alu instid0(SALU_CYCLE_1)
	s_or_b32 exec_lo, exec_lo, s20
	s_and_saveexec_b32 s20, s19
	s_cbranch_execnz .LBB1115_163
.LBB1115_172:
	s_or_b32 exec_lo, exec_lo, s20
	s_and_saveexec_b32 s20, s10
	s_cbranch_execz .LBB1115_182
.LBB1115_173:
	v_mul_u64_e32 v[2:3], v[22:23], v[6:7]
	v_mul_u64_e32 v[30:31], v[24:25], v[6:7]
	v_mov_b64_e32 v[32:33], v[6:7]
	s_mov_b32 s22, 0
                                        ; implicit-def: $sgpr21
                                        ; implicit-def: $sgpr23
                                        ; implicit-def: $sgpr24
                                        ; implicit-def: $sgpr25
                                        ; implicit-def: $sgpr26
	s_delay_alu instid0(VALU_DEP_3) | instskip(NEXT) | instid1(VALU_DEP_3)
	v_lshl_add_u64 v[2:3], v[2:3], 1, v[8:9]
	v_lshl_add_u64 v[30:31], v[30:31], 1, v[8:9]
	s_branch .LBB1115_175
.LBB1115_174:                           ;   in Loop: Header=BB1115_175 Depth=1
	s_or_b32 exec_lo, exec_lo, s26
	s_delay_alu instid0(SALU_CYCLE_1) | instskip(NEXT) | instid1(SALU_CYCLE_1)
	s_and_b32 s9, exec_lo, s9
	s_or_b32 s22, s9, s22
	s_and_not1_b32 s9, s23, exec_lo
	s_and_b32 s23, s24, exec_lo
	s_and_not1_b32 s21, s21, exec_lo
	s_and_b32 s26, s25, exec_lo
	s_or_b32 s23, s9, s23
	s_or_b32 s21, s21, s26
	s_mov_b32 s26, s25
	s_and_not1_b32 exec_lo, exec_lo, s22
	s_cbranch_execz .LBB1115_189
.LBB1115_175:                           ; =>This Inner Loop Header: Depth=1
	flat_load_u16 v35, v[30:31]
	flat_load_u16 v36, v[2:3]
	s_or_b32 s25, s25, exec_lo
	s_mov_b32 s27, 0
	s_mov_b32 s28, exec_lo
	s_wait_loadcnt_dscnt 0x0
	v_dual_lshlrev_b32 v35, 16, v35 :: v_dual_lshlrev_b32 v36, 16, v36
	s_delay_alu instid0(VALU_DEP_1)
	v_cmpx_nlt_f32_e32 v35, v36
; %bb.176:                              ;   in Loop: Header=BB1115_175 Depth=1
	v_cmp_ngt_f32_e64 s9, v35, v36
	s_and_not1_b32 s25, s25, exec_lo
	s_and_b32 s26, s9, s26
	s_and_b32 s27, s9, exec_lo
	s_and_b32 s26, s26, exec_lo
	s_delay_alu instid0(SALU_CYCLE_1)
	s_or_b32 s25, s25, s26
; %bb.177:                              ;   in Loop: Header=BB1115_175 Depth=1
	s_or_b32 exec_lo, exec_lo, s28
	s_mov_b32 s9, -1
	s_or_b32 s24, s24, exec_lo
	s_and_saveexec_b32 s26, s27
	s_cbranch_execz .LBB1115_174
; %bb.178:                              ;   in Loop: Header=BB1115_175 Depth=1
	v_add_nc_u64_e32 v[32:33], -1, v[32:33]
	v_add_nc_u64_e32 v[2:3], 2, v[2:3]
	v_add_nc_u64_e32 v[30:31], 2, v[30:31]
	s_and_not1_b32 s24, s24, exec_lo
	s_delay_alu instid0(VALU_DEP_3)
	v_cmp_eq_u64_e64 s9, 0, v[32:33]
	s_or_not1_b32 s9, s9, exec_lo
	s_branch .LBB1115_174
.LBB1115_179:
	s_or_b32 exec_lo, exec_lo, s22
	s_and_saveexec_b32 s9, s23
	s_delay_alu instid0(SALU_CYCLE_1)
	s_xor_b32 s9, exec_lo, s9
; %bb.180:
	v_dual_cndmask_b32 v3, v17, v11, s21 :: v_dual_cndmask_b32 v2, v16, v10, s21
	v_dual_cndmask_b32 v11, v11, v17, s21 :: v_dual_cndmask_b32 v10, v10, v16, s21
	s_delay_alu instid0(VALU_DEP_2)
	v_mov_b64_e32 v[16:17], v[2:3]
; %bb.181:
	s_or_b32 exec_lo, exec_lo, s9
	s_delay_alu instid0(SALU_CYCLE_1)
	s_or_b32 exec_lo, exec_lo, s20
	s_and_saveexec_b32 s20, s10
	s_cbranch_execnz .LBB1115_173
.LBB1115_182:
	s_or_b32 exec_lo, exec_lo, s20
	s_and_saveexec_b32 s20, s11
	s_cbranch_execz .LBB1115_192
.LBB1115_183:
	v_mul_u64_e32 v[2:3], v[18:19], v[6:7]
	v_mul_u64_e32 v[30:31], v[20:21], v[6:7]
	v_mov_b64_e32 v[32:33], v[6:7]
	s_mov_b32 s22, 0
                                        ; implicit-def: $sgpr21
                                        ; implicit-def: $sgpr23
                                        ; implicit-def: $sgpr24
                                        ; implicit-def: $sgpr25
                                        ; implicit-def: $sgpr26
	s_delay_alu instid0(VALU_DEP_3) | instskip(NEXT) | instid1(VALU_DEP_3)
	v_lshl_add_u64 v[2:3], v[2:3], 1, v[8:9]
	v_lshl_add_u64 v[30:31], v[30:31], 1, v[8:9]
	s_branch .LBB1115_185
.LBB1115_184:                           ;   in Loop: Header=BB1115_185 Depth=1
	s_or_b32 exec_lo, exec_lo, s26
	s_delay_alu instid0(SALU_CYCLE_1) | instskip(NEXT) | instid1(SALU_CYCLE_1)
	s_and_b32 s9, exec_lo, s9
	s_or_b32 s22, s9, s22
	s_and_not1_b32 s9, s23, exec_lo
	s_and_b32 s23, s24, exec_lo
	s_and_not1_b32 s21, s21, exec_lo
	s_and_b32 s26, s25, exec_lo
	s_or_b32 s23, s9, s23
	s_or_b32 s21, s21, s26
	s_mov_b32 s26, s25
	s_and_not1_b32 exec_lo, exec_lo, s22
	s_cbranch_execz .LBB1115_199
.LBB1115_185:                           ; =>This Inner Loop Header: Depth=1
	flat_load_u16 v35, v[30:31]
	flat_load_u16 v36, v[2:3]
	s_or_b32 s25, s25, exec_lo
	s_mov_b32 s27, 0
	s_mov_b32 s28, exec_lo
	s_wait_loadcnt_dscnt 0x0
	v_dual_lshlrev_b32 v35, 16, v35 :: v_dual_lshlrev_b32 v36, 16, v36
	s_delay_alu instid0(VALU_DEP_1)
	v_cmpx_nlt_f32_e32 v35, v36
; %bb.186:                              ;   in Loop: Header=BB1115_185 Depth=1
	v_cmp_ngt_f32_e64 s9, v35, v36
	s_and_not1_b32 s25, s25, exec_lo
	s_and_b32 s26, s9, s26
	s_and_b32 s27, s9, exec_lo
	s_and_b32 s26, s26, exec_lo
	s_delay_alu instid0(SALU_CYCLE_1)
	s_or_b32 s25, s25, s26
; %bb.187:                              ;   in Loop: Header=BB1115_185 Depth=1
	s_or_b32 exec_lo, exec_lo, s28
	s_mov_b32 s9, -1
	s_or_b32 s24, s24, exec_lo
	s_and_saveexec_b32 s26, s27
	s_cbranch_execz .LBB1115_184
; %bb.188:                              ;   in Loop: Header=BB1115_185 Depth=1
	v_add_nc_u64_e32 v[32:33], -1, v[32:33]
	v_add_nc_u64_e32 v[2:3], 2, v[2:3]
	v_add_nc_u64_e32 v[30:31], 2, v[30:31]
	s_and_not1_b32 s24, s24, exec_lo
	s_delay_alu instid0(VALU_DEP_3)
	v_cmp_eq_u64_e64 s9, 0, v[32:33]
	s_or_not1_b32 s9, s9, exec_lo
	s_branch .LBB1115_184
.LBB1115_189:
	s_or_b32 exec_lo, exec_lo, s22
	s_and_saveexec_b32 s9, s23
	s_delay_alu instid0(SALU_CYCLE_1)
	s_xor_b32 s9, exec_lo, s9
; %bb.190:
	v_dual_cndmask_b32 v3, v25, v23, s21 :: v_dual_cndmask_b32 v2, v24, v22, s21
	v_dual_cndmask_b32 v23, v23, v25, s21 :: v_dual_cndmask_b32 v22, v22, v24, s21
	s_delay_alu instid0(VALU_DEP_2)
	v_mov_b64_e32 v[24:25], v[2:3]
; %bb.191:
	s_or_b32 exec_lo, exec_lo, s9
	s_delay_alu instid0(SALU_CYCLE_1)
	s_or_b32 exec_lo, exec_lo, s20
	s_and_saveexec_b32 s20, s11
	s_cbranch_execnz .LBB1115_183
.LBB1115_192:
	s_or_b32 exec_lo, exec_lo, s20
	s_and_saveexec_b32 s20, s15
	s_cbranch_execz .LBB1115_202
.LBB1115_193:
	v_mul_u64_e32 v[2:3], v[14:15], v[6:7]
	v_mul_u64_e32 v[30:31], v[16:17], v[6:7]
	v_mov_b64_e32 v[32:33], v[6:7]
	s_mov_b32 s22, 0
                                        ; implicit-def: $sgpr21
                                        ; implicit-def: $sgpr23
                                        ; implicit-def: $sgpr24
                                        ; implicit-def: $sgpr25
                                        ; implicit-def: $sgpr26
	s_delay_alu instid0(VALU_DEP_3) | instskip(NEXT) | instid1(VALU_DEP_3)
	v_lshl_add_u64 v[2:3], v[2:3], 1, v[8:9]
	v_lshl_add_u64 v[30:31], v[30:31], 1, v[8:9]
	s_branch .LBB1115_195
.LBB1115_194:                           ;   in Loop: Header=BB1115_195 Depth=1
	s_or_b32 exec_lo, exec_lo, s26
	s_delay_alu instid0(SALU_CYCLE_1) | instskip(NEXT) | instid1(SALU_CYCLE_1)
	s_and_b32 s9, exec_lo, s9
	s_or_b32 s22, s9, s22
	s_and_not1_b32 s9, s23, exec_lo
	s_and_b32 s23, s24, exec_lo
	s_and_not1_b32 s21, s21, exec_lo
	s_and_b32 s26, s25, exec_lo
	s_or_b32 s23, s9, s23
	s_or_b32 s21, s21, s26
	s_mov_b32 s26, s25
	s_and_not1_b32 exec_lo, exec_lo, s22
	s_cbranch_execz .LBB1115_209
.LBB1115_195:                           ; =>This Inner Loop Header: Depth=1
	flat_load_u16 v35, v[30:31]
	flat_load_u16 v36, v[2:3]
	s_or_b32 s25, s25, exec_lo
	s_mov_b32 s27, 0
	s_mov_b32 s28, exec_lo
	s_wait_loadcnt_dscnt 0x0
	v_dual_lshlrev_b32 v35, 16, v35 :: v_dual_lshlrev_b32 v36, 16, v36
	s_delay_alu instid0(VALU_DEP_1)
	v_cmpx_nlt_f32_e32 v35, v36
; %bb.196:                              ;   in Loop: Header=BB1115_195 Depth=1
	v_cmp_ngt_f32_e64 s9, v35, v36
	s_and_not1_b32 s25, s25, exec_lo
	s_and_b32 s26, s9, s26
	s_and_b32 s27, s9, exec_lo
	s_and_b32 s26, s26, exec_lo
	s_delay_alu instid0(SALU_CYCLE_1)
	s_or_b32 s25, s25, s26
; %bb.197:                              ;   in Loop: Header=BB1115_195 Depth=1
	s_or_b32 exec_lo, exec_lo, s28
	s_mov_b32 s9, -1
	s_or_b32 s24, s24, exec_lo
	s_and_saveexec_b32 s26, s27
	s_cbranch_execz .LBB1115_194
; %bb.198:                              ;   in Loop: Header=BB1115_195 Depth=1
	v_add_nc_u64_e32 v[32:33], -1, v[32:33]
	v_add_nc_u64_e32 v[2:3], 2, v[2:3]
	v_add_nc_u64_e32 v[30:31], 2, v[30:31]
	s_and_not1_b32 s24, s24, exec_lo
	s_delay_alu instid0(VALU_DEP_3)
	v_cmp_eq_u64_e64 s9, 0, v[32:33]
	s_or_not1_b32 s9, s9, exec_lo
	s_branch .LBB1115_194
.LBB1115_199:
	s_or_b32 exec_lo, exec_lo, s22
	s_and_saveexec_b32 s9, s23
	s_delay_alu instid0(SALU_CYCLE_1)
	s_xor_b32 s9, exec_lo, s9
; %bb.200:
	v_dual_cndmask_b32 v3, v19, v21, s21 :: v_dual_cndmask_b32 v2, v18, v20, s21
	v_dual_cndmask_b32 v21, v21, v19, s21 :: v_dual_cndmask_b32 v20, v20, v18, s21
	s_delay_alu instid0(VALU_DEP_2)
	v_mov_b64_e32 v[18:19], v[2:3]
; %bb.201:
	s_or_b32 exec_lo, exec_lo, s9
	s_delay_alu instid0(SALU_CYCLE_1)
	s_or_b32 exec_lo, exec_lo, s20
	s_and_saveexec_b32 s20, s15
	s_cbranch_execnz .LBB1115_193
.LBB1115_202:
	s_or_b32 exec_lo, exec_lo, s20
	s_and_saveexec_b32 s20, s16
	s_cbranch_execz .LBB1115_212
.LBB1115_203:
	v_mul_u64_e32 v[2:3], v[10:11], v[6:7]
	v_mul_u64_e32 v[30:31], v[12:13], v[6:7]
	v_mov_b64_e32 v[32:33], v[6:7]
	s_mov_b32 s22, 0
                                        ; implicit-def: $sgpr21
                                        ; implicit-def: $sgpr23
                                        ; implicit-def: $sgpr24
                                        ; implicit-def: $sgpr25
                                        ; implicit-def: $sgpr26
	s_delay_alu instid0(VALU_DEP_3) | instskip(NEXT) | instid1(VALU_DEP_3)
	v_lshl_add_u64 v[2:3], v[2:3], 1, v[8:9]
	v_lshl_add_u64 v[30:31], v[30:31], 1, v[8:9]
	s_branch .LBB1115_205
.LBB1115_204:                           ;   in Loop: Header=BB1115_205 Depth=1
	s_or_b32 exec_lo, exec_lo, s26
	s_delay_alu instid0(SALU_CYCLE_1) | instskip(NEXT) | instid1(SALU_CYCLE_1)
	s_and_b32 s9, exec_lo, s9
	s_or_b32 s22, s9, s22
	s_and_not1_b32 s9, s23, exec_lo
	s_and_b32 s23, s24, exec_lo
	s_and_not1_b32 s21, s21, exec_lo
	s_and_b32 s26, s25, exec_lo
	s_or_b32 s23, s9, s23
	s_or_b32 s21, s21, s26
	s_mov_b32 s26, s25
	s_and_not1_b32 exec_lo, exec_lo, s22
	s_cbranch_execz .LBB1115_219
.LBB1115_205:                           ; =>This Inner Loop Header: Depth=1
	flat_load_u16 v35, v[30:31]
	flat_load_u16 v36, v[2:3]
	s_or_b32 s25, s25, exec_lo
	s_mov_b32 s27, 0
	s_mov_b32 s28, exec_lo
	s_wait_loadcnt_dscnt 0x0
	v_dual_lshlrev_b32 v35, 16, v35 :: v_dual_lshlrev_b32 v36, 16, v36
	s_delay_alu instid0(VALU_DEP_1)
	v_cmpx_nlt_f32_e32 v35, v36
; %bb.206:                              ;   in Loop: Header=BB1115_205 Depth=1
	v_cmp_ngt_f32_e64 s9, v35, v36
	s_and_not1_b32 s25, s25, exec_lo
	s_and_b32 s26, s9, s26
	s_and_b32 s27, s9, exec_lo
	s_and_b32 s26, s26, exec_lo
	s_delay_alu instid0(SALU_CYCLE_1)
	s_or_b32 s25, s25, s26
; %bb.207:                              ;   in Loop: Header=BB1115_205 Depth=1
	s_or_b32 exec_lo, exec_lo, s28
	s_mov_b32 s9, -1
	s_or_b32 s24, s24, exec_lo
	s_and_saveexec_b32 s26, s27
	s_cbranch_execz .LBB1115_204
; %bb.208:                              ;   in Loop: Header=BB1115_205 Depth=1
	v_add_nc_u64_e32 v[32:33], -1, v[32:33]
	v_add_nc_u64_e32 v[2:3], 2, v[2:3]
	v_add_nc_u64_e32 v[30:31], 2, v[30:31]
	s_and_not1_b32 s24, s24, exec_lo
	s_delay_alu instid0(VALU_DEP_3)
	v_cmp_eq_u64_e64 s9, 0, v[32:33]
	s_or_not1_b32 s9, s9, exec_lo
	s_branch .LBB1115_204
.LBB1115_209:
	s_or_b32 exec_lo, exec_lo, s22
	s_and_saveexec_b32 s9, s23
	s_delay_alu instid0(SALU_CYCLE_1)
	s_xor_b32 s9, exec_lo, s9
; %bb.210:
	v_dual_cndmask_b32 v3, v15, v17, s21 :: v_dual_cndmask_b32 v2, v14, v16, s21
	v_dual_cndmask_b32 v17, v17, v15, s21 :: v_dual_cndmask_b32 v16, v16, v14, s21
	s_delay_alu instid0(VALU_DEP_2)
	v_mov_b64_e32 v[14:15], v[2:3]
; %bb.211:
	s_or_b32 exec_lo, exec_lo, s9
	s_delay_alu instid0(SALU_CYCLE_1)
	s_or_b32 exec_lo, exec_lo, s20
	s_and_saveexec_b32 s20, s16
	s_cbranch_execnz .LBB1115_203
.LBB1115_212:
	s_or_b32 exec_lo, exec_lo, s20
	s_and_saveexec_b32 s20, s17
	s_cbranch_execz .LBB1115_222
.LBB1115_213:
	v_mul_u64_e32 v[2:3], v[24:25], v[6:7]
	v_mul_u64_e32 v[30:31], v[18:19], v[6:7]
	v_mov_b64_e32 v[32:33], v[6:7]
	s_mov_b32 s22, 0
                                        ; implicit-def: $sgpr21
                                        ; implicit-def: $sgpr23
                                        ; implicit-def: $sgpr24
                                        ; implicit-def: $sgpr25
                                        ; implicit-def: $sgpr26
	s_delay_alu instid0(VALU_DEP_3) | instskip(NEXT) | instid1(VALU_DEP_3)
	v_lshl_add_u64 v[2:3], v[2:3], 1, v[8:9]
	v_lshl_add_u64 v[30:31], v[30:31], 1, v[8:9]
	s_branch .LBB1115_215
.LBB1115_214:                           ;   in Loop: Header=BB1115_215 Depth=1
	s_or_b32 exec_lo, exec_lo, s26
	s_delay_alu instid0(SALU_CYCLE_1) | instskip(NEXT) | instid1(SALU_CYCLE_1)
	s_and_b32 s9, exec_lo, s9
	s_or_b32 s22, s9, s22
	s_and_not1_b32 s9, s23, exec_lo
	s_and_b32 s23, s24, exec_lo
	s_and_not1_b32 s21, s21, exec_lo
	s_and_b32 s26, s25, exec_lo
	s_or_b32 s23, s9, s23
	s_or_b32 s21, s21, s26
	s_mov_b32 s26, s25
	s_and_not1_b32 exec_lo, exec_lo, s22
	s_cbranch_execz .LBB1115_229
.LBB1115_215:                           ; =>This Inner Loop Header: Depth=1
	flat_load_u16 v35, v[30:31]
	flat_load_u16 v36, v[2:3]
	s_or_b32 s25, s25, exec_lo
	s_mov_b32 s27, 0
	s_mov_b32 s28, exec_lo
	s_wait_loadcnt_dscnt 0x0
	v_dual_lshlrev_b32 v35, 16, v35 :: v_dual_lshlrev_b32 v36, 16, v36
	s_delay_alu instid0(VALU_DEP_1)
	v_cmpx_nlt_f32_e32 v35, v36
; %bb.216:                              ;   in Loop: Header=BB1115_215 Depth=1
	v_cmp_ngt_f32_e64 s9, v35, v36
	s_and_not1_b32 s25, s25, exec_lo
	s_and_b32 s26, s9, s26
	s_and_b32 s27, s9, exec_lo
	s_and_b32 s26, s26, exec_lo
	s_delay_alu instid0(SALU_CYCLE_1)
	s_or_b32 s25, s25, s26
; %bb.217:                              ;   in Loop: Header=BB1115_215 Depth=1
	s_or_b32 exec_lo, exec_lo, s28
	s_mov_b32 s9, -1
	s_or_b32 s24, s24, exec_lo
	s_and_saveexec_b32 s26, s27
	s_cbranch_execz .LBB1115_214
; %bb.218:                              ;   in Loop: Header=BB1115_215 Depth=1
	v_add_nc_u64_e32 v[32:33], -1, v[32:33]
	v_add_nc_u64_e32 v[2:3], 2, v[2:3]
	v_add_nc_u64_e32 v[30:31], 2, v[30:31]
	s_and_not1_b32 s24, s24, exec_lo
	s_delay_alu instid0(VALU_DEP_3)
	v_cmp_eq_u64_e64 s9, 0, v[32:33]
	s_or_not1_b32 s9, s9, exec_lo
	s_branch .LBB1115_214
.LBB1115_219:
	s_or_b32 exec_lo, exec_lo, s22
	s_and_saveexec_b32 s9, s23
	s_delay_alu instid0(SALU_CYCLE_1)
	s_xor_b32 s9, exec_lo, s9
; %bb.220:
	v_dual_cndmask_b32 v3, v11, v13, s21 :: v_dual_cndmask_b32 v2, v10, v12, s21
	v_dual_cndmask_b32 v13, v13, v11, s21 :: v_dual_cndmask_b32 v12, v12, v10, s21
	s_delay_alu instid0(VALU_DEP_2)
	v_mov_b64_e32 v[10:11], v[2:3]
; %bb.221:
	s_or_b32 exec_lo, exec_lo, s9
	s_delay_alu instid0(SALU_CYCLE_1)
	s_or_b32 exec_lo, exec_lo, s20
	s_and_saveexec_b32 s20, s17
	s_cbranch_execnz .LBB1115_213
.LBB1115_222:
	s_or_b32 exec_lo, exec_lo, s20
	s_and_saveexec_b32 s20, s18
	s_cbranch_execz .LBB1115_232
.LBB1115_223:
	v_mul_u64_e32 v[2:3], v[20:21], v[6:7]
	v_mul_u64_e32 v[30:31], v[14:15], v[6:7]
	v_mov_b64_e32 v[32:33], v[6:7]
	s_mov_b32 s22, 0
                                        ; implicit-def: $sgpr21
                                        ; implicit-def: $sgpr23
                                        ; implicit-def: $sgpr24
                                        ; implicit-def: $sgpr25
                                        ; implicit-def: $sgpr26
	s_delay_alu instid0(VALU_DEP_3) | instskip(NEXT) | instid1(VALU_DEP_3)
	v_lshl_add_u64 v[2:3], v[2:3], 1, v[8:9]
	v_lshl_add_u64 v[30:31], v[30:31], 1, v[8:9]
	s_branch .LBB1115_225
.LBB1115_224:                           ;   in Loop: Header=BB1115_225 Depth=1
	s_or_b32 exec_lo, exec_lo, s26
	s_delay_alu instid0(SALU_CYCLE_1) | instskip(NEXT) | instid1(SALU_CYCLE_1)
	s_and_b32 s9, exec_lo, s9
	s_or_b32 s22, s9, s22
	s_and_not1_b32 s9, s23, exec_lo
	s_and_b32 s23, s24, exec_lo
	s_and_not1_b32 s21, s21, exec_lo
	s_and_b32 s26, s25, exec_lo
	s_or_b32 s23, s9, s23
	s_or_b32 s21, s21, s26
	s_mov_b32 s26, s25
	s_and_not1_b32 exec_lo, exec_lo, s22
	s_cbranch_execz .LBB1115_239
.LBB1115_225:                           ; =>This Inner Loop Header: Depth=1
	flat_load_u16 v35, v[30:31]
	flat_load_u16 v36, v[2:3]
	s_or_b32 s25, s25, exec_lo
	s_mov_b32 s27, 0
	s_mov_b32 s28, exec_lo
	s_wait_loadcnt_dscnt 0x0
	v_dual_lshlrev_b32 v35, 16, v35 :: v_dual_lshlrev_b32 v36, 16, v36
	s_delay_alu instid0(VALU_DEP_1)
	v_cmpx_nlt_f32_e32 v35, v36
; %bb.226:                              ;   in Loop: Header=BB1115_225 Depth=1
	v_cmp_ngt_f32_e64 s9, v35, v36
	s_and_not1_b32 s25, s25, exec_lo
	s_and_b32 s26, s9, s26
	s_and_b32 s27, s9, exec_lo
	s_and_b32 s26, s26, exec_lo
	s_delay_alu instid0(SALU_CYCLE_1)
	s_or_b32 s25, s25, s26
; %bb.227:                              ;   in Loop: Header=BB1115_225 Depth=1
	s_or_b32 exec_lo, exec_lo, s28
	s_mov_b32 s9, -1
	s_or_b32 s24, s24, exec_lo
	s_and_saveexec_b32 s26, s27
	s_cbranch_execz .LBB1115_224
; %bb.228:                              ;   in Loop: Header=BB1115_225 Depth=1
	v_add_nc_u64_e32 v[32:33], -1, v[32:33]
	v_add_nc_u64_e32 v[2:3], 2, v[2:3]
	v_add_nc_u64_e32 v[30:31], 2, v[30:31]
	s_and_not1_b32 s24, s24, exec_lo
	s_delay_alu instid0(VALU_DEP_3)
	v_cmp_eq_u64_e64 s9, 0, v[32:33]
	s_or_not1_b32 s9, s9, exec_lo
	s_branch .LBB1115_224
.LBB1115_229:
	s_or_b32 exec_lo, exec_lo, s22
	s_and_saveexec_b32 s9, s23
	s_delay_alu instid0(SALU_CYCLE_1)
	s_xor_b32 s9, exec_lo, s9
; %bb.230:
	v_dual_cndmask_b32 v3, v25, v19, s21 :: v_dual_cndmask_b32 v2, v24, v18, s21
	v_dual_cndmask_b32 v19, v19, v25, s21 :: v_dual_cndmask_b32 v18, v18, v24, s21
	s_delay_alu instid0(VALU_DEP_2)
	v_mov_b64_e32 v[24:25], v[2:3]
; %bb.231:
	s_or_b32 exec_lo, exec_lo, s9
	s_delay_alu instid0(SALU_CYCLE_1)
	s_or_b32 exec_lo, exec_lo, s20
	s_and_saveexec_b32 s20, s18
	s_cbranch_execnz .LBB1115_223
.LBB1115_232:
	s_or_b32 exec_lo, exec_lo, s20
	s_and_saveexec_b32 s20, s19
	s_cbranch_execz .LBB1115_242
.LBB1115_233:
	v_mul_u64_e32 v[2:3], v[16:17], v[6:7]
	v_mul_u64_e32 v[30:31], v[10:11], v[6:7]
	v_mov_b64_e32 v[32:33], v[6:7]
	s_mov_b32 s22, 0
                                        ; implicit-def: $sgpr21
                                        ; implicit-def: $sgpr23
                                        ; implicit-def: $sgpr24
                                        ; implicit-def: $sgpr25
                                        ; implicit-def: $sgpr26
	s_delay_alu instid0(VALU_DEP_3) | instskip(NEXT) | instid1(VALU_DEP_3)
	v_lshl_add_u64 v[2:3], v[2:3], 1, v[8:9]
	v_lshl_add_u64 v[30:31], v[30:31], 1, v[8:9]
	s_branch .LBB1115_235
.LBB1115_234:                           ;   in Loop: Header=BB1115_235 Depth=1
	s_or_b32 exec_lo, exec_lo, s26
	s_delay_alu instid0(SALU_CYCLE_1) | instskip(NEXT) | instid1(SALU_CYCLE_1)
	s_and_b32 s9, exec_lo, s9
	s_or_b32 s22, s9, s22
	s_and_not1_b32 s9, s23, exec_lo
	s_and_b32 s23, s24, exec_lo
	s_and_not1_b32 s21, s21, exec_lo
	s_and_b32 s26, s25, exec_lo
	s_or_b32 s23, s9, s23
	s_or_b32 s21, s21, s26
	s_mov_b32 s26, s25
	s_and_not1_b32 exec_lo, exec_lo, s22
	s_cbranch_execz .LBB1115_249
.LBB1115_235:                           ; =>This Inner Loop Header: Depth=1
	flat_load_u16 v35, v[30:31]
	flat_load_u16 v36, v[2:3]
	s_or_b32 s25, s25, exec_lo
	s_mov_b32 s27, 0
	s_mov_b32 s28, exec_lo
	s_wait_loadcnt_dscnt 0x0
	v_dual_lshlrev_b32 v35, 16, v35 :: v_dual_lshlrev_b32 v36, 16, v36
	s_delay_alu instid0(VALU_DEP_1)
	v_cmpx_nlt_f32_e32 v35, v36
; %bb.236:                              ;   in Loop: Header=BB1115_235 Depth=1
	v_cmp_ngt_f32_e64 s9, v35, v36
	s_and_not1_b32 s25, s25, exec_lo
	s_and_b32 s26, s9, s26
	s_and_b32 s27, s9, exec_lo
	s_and_b32 s26, s26, exec_lo
	s_delay_alu instid0(SALU_CYCLE_1)
	s_or_b32 s25, s25, s26
; %bb.237:                              ;   in Loop: Header=BB1115_235 Depth=1
	s_or_b32 exec_lo, exec_lo, s28
	s_mov_b32 s9, -1
	s_or_b32 s24, s24, exec_lo
	s_and_saveexec_b32 s26, s27
	s_cbranch_execz .LBB1115_234
; %bb.238:                              ;   in Loop: Header=BB1115_235 Depth=1
	v_add_nc_u64_e32 v[32:33], -1, v[32:33]
	v_add_nc_u64_e32 v[2:3], 2, v[2:3]
	v_add_nc_u64_e32 v[30:31], 2, v[30:31]
	s_and_not1_b32 s24, s24, exec_lo
	s_delay_alu instid0(VALU_DEP_3)
	v_cmp_eq_u64_e64 s9, 0, v[32:33]
	s_or_not1_b32 s9, s9, exec_lo
	s_branch .LBB1115_234
.LBB1115_239:
	s_or_b32 exec_lo, exec_lo, s22
	s_and_saveexec_b32 s9, s23
	s_delay_alu instid0(SALU_CYCLE_1)
	s_xor_b32 s9, exec_lo, s9
; %bb.240:
	v_dual_cndmask_b32 v3, v21, v15, s21 :: v_dual_cndmask_b32 v2, v20, v14, s21
	v_dual_cndmask_b32 v15, v15, v21, s21 :: v_dual_cndmask_b32 v14, v14, v20, s21
	s_delay_alu instid0(VALU_DEP_2)
	v_mov_b64_e32 v[20:21], v[2:3]
; %bb.241:
	s_or_b32 exec_lo, exec_lo, s9
	s_delay_alu instid0(SALU_CYCLE_1)
	s_or_b32 exec_lo, exec_lo, s20
	s_and_saveexec_b32 s20, s19
	s_cbranch_execnz .LBB1115_233
.LBB1115_242:
	s_or_b32 exec_lo, exec_lo, s20
	s_and_saveexec_b32 s20, s10
	s_cbranch_execz .LBB1115_252
.LBB1115_243:
	v_mul_u64_e32 v[2:3], v[22:23], v[6:7]
	v_mul_u64_e32 v[30:31], v[24:25], v[6:7]
	v_mov_b64_e32 v[32:33], v[6:7]
	s_mov_b32 s21, 0
                                        ; implicit-def: $sgpr10
                                        ; implicit-def: $sgpr22
                                        ; implicit-def: $sgpr23
                                        ; implicit-def: $sgpr24
                                        ; implicit-def: $sgpr25
	s_delay_alu instid0(VALU_DEP_3) | instskip(NEXT) | instid1(VALU_DEP_3)
	v_lshl_add_u64 v[2:3], v[2:3], 1, v[8:9]
	v_lshl_add_u64 v[30:31], v[30:31], 1, v[8:9]
	s_branch .LBB1115_245
.LBB1115_244:                           ;   in Loop: Header=BB1115_245 Depth=1
	s_or_b32 exec_lo, exec_lo, s25
	s_delay_alu instid0(SALU_CYCLE_1) | instskip(NEXT) | instid1(SALU_CYCLE_1)
	s_and_b32 s9, exec_lo, s9
	s_or_b32 s21, s9, s21
	s_and_not1_b32 s9, s22, exec_lo
	s_and_b32 s22, s23, exec_lo
	s_and_not1_b32 s10, s10, exec_lo
	s_and_b32 s25, s24, exec_lo
	s_or_b32 s22, s9, s22
	s_or_b32 s10, s10, s25
	s_mov_b32 s25, s24
	s_and_not1_b32 exec_lo, exec_lo, s21
	s_cbranch_execz .LBB1115_259
.LBB1115_245:                           ; =>This Inner Loop Header: Depth=1
	flat_load_u16 v35, v[30:31]
	flat_load_u16 v36, v[2:3]
	s_or_b32 s24, s24, exec_lo
	s_mov_b32 s26, 0
	s_mov_b32 s27, exec_lo
	s_wait_loadcnt_dscnt 0x0
	v_dual_lshlrev_b32 v35, 16, v35 :: v_dual_lshlrev_b32 v36, 16, v36
	s_delay_alu instid0(VALU_DEP_1)
	v_cmpx_nlt_f32_e32 v35, v36
; %bb.246:                              ;   in Loop: Header=BB1115_245 Depth=1
	v_cmp_ngt_f32_e64 s9, v35, v36
	s_and_not1_b32 s24, s24, exec_lo
	s_and_b32 s25, s9, s25
	s_and_b32 s26, s9, exec_lo
	s_and_b32 s25, s25, exec_lo
	s_delay_alu instid0(SALU_CYCLE_1)
	s_or_b32 s24, s24, s25
; %bb.247:                              ;   in Loop: Header=BB1115_245 Depth=1
	s_or_b32 exec_lo, exec_lo, s27
	s_mov_b32 s9, -1
	s_or_b32 s23, s23, exec_lo
	s_and_saveexec_b32 s25, s26
	s_cbranch_execz .LBB1115_244
; %bb.248:                              ;   in Loop: Header=BB1115_245 Depth=1
	v_add_nc_u64_e32 v[32:33], -1, v[32:33]
	v_add_nc_u64_e32 v[2:3], 2, v[2:3]
	v_add_nc_u64_e32 v[30:31], 2, v[30:31]
	s_and_not1_b32 s23, s23, exec_lo
	s_delay_alu instid0(VALU_DEP_3)
	v_cmp_eq_u64_e64 s9, 0, v[32:33]
	s_or_not1_b32 s9, s9, exec_lo
	s_branch .LBB1115_244
.LBB1115_249:
	s_or_b32 exec_lo, exec_lo, s22
	s_and_saveexec_b32 s9, s23
	s_delay_alu instid0(SALU_CYCLE_1)
	s_xor_b32 s9, exec_lo, s9
; %bb.250:
	v_dual_cndmask_b32 v3, v17, v11, s21 :: v_dual_cndmask_b32 v2, v16, v10, s21
	v_dual_cndmask_b32 v11, v11, v17, s21 :: v_dual_cndmask_b32 v10, v10, v16, s21
	s_delay_alu instid0(VALU_DEP_2)
	v_mov_b64_e32 v[16:17], v[2:3]
; %bb.251:
	s_or_b32 exec_lo, exec_lo, s9
	s_delay_alu instid0(SALU_CYCLE_1)
	s_or_b32 exec_lo, exec_lo, s20
	s_and_saveexec_b32 s20, s10
	s_cbranch_execnz .LBB1115_243
.LBB1115_252:
	s_or_b32 exec_lo, exec_lo, s20
	s_and_saveexec_b32 s10, s11
	s_cbranch_execz .LBB1115_262
.LBB1115_253:
	v_mul_u64_e32 v[2:3], v[18:19], v[6:7]
	v_mul_u64_e32 v[30:31], v[20:21], v[6:7]
	v_mov_b64_e32 v[32:33], v[6:7]
	s_mov_b32 s20, 0
                                        ; implicit-def: $sgpr11
                                        ; implicit-def: $sgpr21
                                        ; implicit-def: $sgpr22
                                        ; implicit-def: $sgpr23
                                        ; implicit-def: $sgpr24
	s_delay_alu instid0(VALU_DEP_3) | instskip(NEXT) | instid1(VALU_DEP_3)
	v_lshl_add_u64 v[2:3], v[2:3], 1, v[8:9]
	v_lshl_add_u64 v[30:31], v[30:31], 1, v[8:9]
	s_branch .LBB1115_255
.LBB1115_254:                           ;   in Loop: Header=BB1115_255 Depth=1
	s_or_b32 exec_lo, exec_lo, s24
	s_delay_alu instid0(SALU_CYCLE_1) | instskip(NEXT) | instid1(SALU_CYCLE_1)
	s_and_b32 s9, exec_lo, s9
	s_or_b32 s20, s9, s20
	s_and_not1_b32 s9, s21, exec_lo
	s_and_b32 s21, s22, exec_lo
	s_and_not1_b32 s11, s11, exec_lo
	s_and_b32 s24, s23, exec_lo
	s_or_b32 s21, s9, s21
	s_or_b32 s11, s11, s24
	s_mov_b32 s24, s23
	s_and_not1_b32 exec_lo, exec_lo, s20
	s_cbranch_execz .LBB1115_269
.LBB1115_255:                           ; =>This Inner Loop Header: Depth=1
	flat_load_u16 v35, v[30:31]
	flat_load_u16 v36, v[2:3]
	s_or_b32 s23, s23, exec_lo
	s_mov_b32 s25, 0
	s_mov_b32 s26, exec_lo
	s_wait_loadcnt_dscnt 0x0
	v_dual_lshlrev_b32 v35, 16, v35 :: v_dual_lshlrev_b32 v36, 16, v36
	s_delay_alu instid0(VALU_DEP_1)
	v_cmpx_nlt_f32_e32 v35, v36
; %bb.256:                              ;   in Loop: Header=BB1115_255 Depth=1
	v_cmp_ngt_f32_e64 s9, v35, v36
	s_and_not1_b32 s23, s23, exec_lo
	s_and_b32 s24, s9, s24
	s_and_b32 s25, s9, exec_lo
	s_and_b32 s24, s24, exec_lo
	s_delay_alu instid0(SALU_CYCLE_1)
	s_or_b32 s23, s23, s24
; %bb.257:                              ;   in Loop: Header=BB1115_255 Depth=1
	s_or_b32 exec_lo, exec_lo, s26
	s_mov_b32 s9, -1
	s_or_b32 s22, s22, exec_lo
	s_and_saveexec_b32 s24, s25
	s_cbranch_execz .LBB1115_254
; %bb.258:                              ;   in Loop: Header=BB1115_255 Depth=1
	v_add_nc_u64_e32 v[32:33], -1, v[32:33]
	v_add_nc_u64_e32 v[2:3], 2, v[2:3]
	v_add_nc_u64_e32 v[30:31], 2, v[30:31]
	s_and_not1_b32 s22, s22, exec_lo
	s_delay_alu instid0(VALU_DEP_3)
	v_cmp_eq_u64_e64 s9, 0, v[32:33]
	s_or_not1_b32 s9, s9, exec_lo
	s_branch .LBB1115_254
.LBB1115_259:
	s_or_b32 exec_lo, exec_lo, s21
	s_and_saveexec_b32 s9, s22
	s_delay_alu instid0(SALU_CYCLE_1)
	s_xor_b32 s9, exec_lo, s9
; %bb.260:
	v_dual_cndmask_b32 v3, v25, v23, s10 :: v_dual_cndmask_b32 v2, v24, v22, s10
	v_dual_cndmask_b32 v23, v23, v25, s10 :: v_dual_cndmask_b32 v22, v22, v24, s10
	s_delay_alu instid0(VALU_DEP_2)
	v_mov_b64_e32 v[24:25], v[2:3]
; %bb.261:
	s_or_b32 exec_lo, exec_lo, s9
	s_delay_alu instid0(SALU_CYCLE_1)
	s_or_b32 exec_lo, exec_lo, s20
	s_and_saveexec_b32 s10, s11
	s_cbranch_execnz .LBB1115_253
.LBB1115_262:
	s_or_b32 exec_lo, exec_lo, s10
	s_and_saveexec_b32 s10, s15
	s_cbranch_execz .LBB1115_272
.LBB1115_263:
	v_mul_u64_e32 v[2:3], v[14:15], v[6:7]
	v_mul_u64_e32 v[30:31], v[16:17], v[6:7]
	v_mov_b64_e32 v[32:33], v[6:7]
	s_mov_b32 s15, 0
                                        ; implicit-def: $sgpr11
                                        ; implicit-def: $sgpr20
                                        ; implicit-def: $sgpr21
                                        ; implicit-def: $sgpr22
                                        ; implicit-def: $sgpr23
	s_delay_alu instid0(VALU_DEP_3) | instskip(NEXT) | instid1(VALU_DEP_3)
	v_lshl_add_u64 v[2:3], v[2:3], 1, v[8:9]
	v_lshl_add_u64 v[30:31], v[30:31], 1, v[8:9]
	s_branch .LBB1115_265
.LBB1115_264:                           ;   in Loop: Header=BB1115_265 Depth=1
	s_or_b32 exec_lo, exec_lo, s23
	s_delay_alu instid0(SALU_CYCLE_1) | instskip(NEXT) | instid1(SALU_CYCLE_1)
	s_and_b32 s9, exec_lo, s9
	s_or_b32 s15, s9, s15
	s_and_not1_b32 s9, s20, exec_lo
	s_and_b32 s20, s21, exec_lo
	s_and_not1_b32 s11, s11, exec_lo
	s_and_b32 s23, s22, exec_lo
	s_or_b32 s20, s9, s20
	s_or_b32 s11, s11, s23
	s_mov_b32 s23, s22
	s_and_not1_b32 exec_lo, exec_lo, s15
	s_cbranch_execz .LBB1115_279
.LBB1115_265:                           ; =>This Inner Loop Header: Depth=1
	flat_load_u16 v35, v[30:31]
	flat_load_u16 v36, v[2:3]
	s_or_b32 s22, s22, exec_lo
	s_mov_b32 s24, 0
	s_mov_b32 s25, exec_lo
	s_wait_loadcnt_dscnt 0x0
	v_dual_lshlrev_b32 v35, 16, v35 :: v_dual_lshlrev_b32 v36, 16, v36
	s_delay_alu instid0(VALU_DEP_1)
	v_cmpx_nlt_f32_e32 v35, v36
; %bb.266:                              ;   in Loop: Header=BB1115_265 Depth=1
	v_cmp_ngt_f32_e64 s9, v35, v36
	s_and_not1_b32 s22, s22, exec_lo
	s_and_b32 s23, s9, s23
	s_and_b32 s24, s9, exec_lo
	s_and_b32 s23, s23, exec_lo
	s_delay_alu instid0(SALU_CYCLE_1)
	s_or_b32 s22, s22, s23
; %bb.267:                              ;   in Loop: Header=BB1115_265 Depth=1
	s_or_b32 exec_lo, exec_lo, s25
	s_mov_b32 s9, -1
	s_or_b32 s21, s21, exec_lo
	s_and_saveexec_b32 s23, s24
	s_cbranch_execz .LBB1115_264
; %bb.268:                              ;   in Loop: Header=BB1115_265 Depth=1
	v_add_nc_u64_e32 v[32:33], -1, v[32:33]
	v_add_nc_u64_e32 v[2:3], 2, v[2:3]
	v_add_nc_u64_e32 v[30:31], 2, v[30:31]
	s_and_not1_b32 s21, s21, exec_lo
	s_delay_alu instid0(VALU_DEP_3)
	v_cmp_eq_u64_e64 s9, 0, v[32:33]
	s_or_not1_b32 s9, s9, exec_lo
	s_branch .LBB1115_264
.LBB1115_269:
	s_or_b32 exec_lo, exec_lo, s20
	s_and_saveexec_b32 s9, s21
	s_delay_alu instid0(SALU_CYCLE_1)
	s_xor_b32 s9, exec_lo, s9
; %bb.270:
	v_dual_cndmask_b32 v3, v19, v21, s11 :: v_dual_cndmask_b32 v2, v18, v20, s11
	v_dual_cndmask_b32 v21, v21, v19, s11 :: v_dual_cndmask_b32 v20, v20, v18, s11
	s_delay_alu instid0(VALU_DEP_2)
	v_mov_b64_e32 v[18:19], v[2:3]
; %bb.271:
	s_or_b32 exec_lo, exec_lo, s9
	s_delay_alu instid0(SALU_CYCLE_1)
	s_or_b32 exec_lo, exec_lo, s10
	s_and_saveexec_b32 s10, s15
	s_cbranch_execnz .LBB1115_263
.LBB1115_272:
	s_or_b32 exec_lo, exec_lo, s10
	s_and_saveexec_b32 s10, s16
	s_cbranch_execz .LBB1115_282
.LBB1115_273:
	v_mul_u64_e32 v[2:3], v[10:11], v[6:7]
	v_mul_u64_e32 v[30:31], v[12:13], v[6:7]
	v_mov_b64_e32 v[32:33], v[6:7]
	s_mov_b32 s15, 0
                                        ; implicit-def: $sgpr11
                                        ; implicit-def: $sgpr16
                                        ; implicit-def: $sgpr20
                                        ; implicit-def: $sgpr21
                                        ; implicit-def: $sgpr22
	s_delay_alu instid0(VALU_DEP_3) | instskip(NEXT) | instid1(VALU_DEP_3)
	v_lshl_add_u64 v[2:3], v[2:3], 1, v[8:9]
	v_lshl_add_u64 v[30:31], v[30:31], 1, v[8:9]
	s_branch .LBB1115_275
.LBB1115_274:                           ;   in Loop: Header=BB1115_275 Depth=1
	s_or_b32 exec_lo, exec_lo, s22
	s_delay_alu instid0(SALU_CYCLE_1) | instskip(NEXT) | instid1(SALU_CYCLE_1)
	s_and_b32 s9, exec_lo, s9
	s_or_b32 s15, s9, s15
	s_and_not1_b32 s9, s16, exec_lo
	s_and_b32 s16, s20, exec_lo
	s_and_not1_b32 s11, s11, exec_lo
	s_and_b32 s22, s21, exec_lo
	s_or_b32 s16, s9, s16
	s_or_b32 s11, s11, s22
	s_mov_b32 s22, s21
	s_and_not1_b32 exec_lo, exec_lo, s15
	s_cbranch_execz .LBB1115_289
.LBB1115_275:                           ; =>This Inner Loop Header: Depth=1
	flat_load_u16 v35, v[30:31]
	flat_load_u16 v36, v[2:3]
	s_or_b32 s21, s21, exec_lo
	s_mov_b32 s23, 0
	s_mov_b32 s24, exec_lo
	s_wait_loadcnt_dscnt 0x0
	v_dual_lshlrev_b32 v35, 16, v35 :: v_dual_lshlrev_b32 v36, 16, v36
	s_delay_alu instid0(VALU_DEP_1)
	v_cmpx_nlt_f32_e32 v35, v36
; %bb.276:                              ;   in Loop: Header=BB1115_275 Depth=1
	v_cmp_ngt_f32_e64 s9, v35, v36
	s_and_not1_b32 s21, s21, exec_lo
	s_and_b32 s22, s9, s22
	s_and_b32 s23, s9, exec_lo
	s_and_b32 s22, s22, exec_lo
	s_delay_alu instid0(SALU_CYCLE_1)
	s_or_b32 s21, s21, s22
; %bb.277:                              ;   in Loop: Header=BB1115_275 Depth=1
	s_or_b32 exec_lo, exec_lo, s24
	s_mov_b32 s9, -1
	s_or_b32 s20, s20, exec_lo
	s_and_saveexec_b32 s22, s23
	s_cbranch_execz .LBB1115_274
; %bb.278:                              ;   in Loop: Header=BB1115_275 Depth=1
	v_add_nc_u64_e32 v[32:33], -1, v[32:33]
	v_add_nc_u64_e32 v[2:3], 2, v[2:3]
	v_add_nc_u64_e32 v[30:31], 2, v[30:31]
	s_and_not1_b32 s20, s20, exec_lo
	s_delay_alu instid0(VALU_DEP_3)
	v_cmp_eq_u64_e64 s9, 0, v[32:33]
	s_or_not1_b32 s9, s9, exec_lo
	s_branch .LBB1115_274
.LBB1115_279:
	s_or_b32 exec_lo, exec_lo, s15
	s_and_saveexec_b32 s9, s20
	s_delay_alu instid0(SALU_CYCLE_1)
	s_xor_b32 s9, exec_lo, s9
; %bb.280:
	v_dual_cndmask_b32 v3, v15, v17, s11 :: v_dual_cndmask_b32 v2, v14, v16, s11
	v_dual_cndmask_b32 v17, v17, v15, s11 :: v_dual_cndmask_b32 v16, v16, v14, s11
	s_delay_alu instid0(VALU_DEP_2)
	v_mov_b64_e32 v[14:15], v[2:3]
; %bb.281:
	s_or_b32 exec_lo, exec_lo, s9
	s_delay_alu instid0(SALU_CYCLE_1)
	s_or_b32 exec_lo, exec_lo, s10
	s_and_saveexec_b32 s10, s16
	s_cbranch_execnz .LBB1115_273
.LBB1115_282:
	s_or_b32 exec_lo, exec_lo, s10
	s_and_saveexec_b32 s10, s17
	s_cbranch_execz .LBB1115_292
.LBB1115_283:
	v_mul_u64_e32 v[2:3], v[24:25], v[6:7]
	v_mul_u64_e32 v[30:31], v[18:19], v[6:7]
	v_mov_b64_e32 v[32:33], v[6:7]
	s_mov_b32 s15, 0
                                        ; implicit-def: $sgpr11
                                        ; implicit-def: $sgpr16
                                        ; implicit-def: $sgpr17
                                        ; implicit-def: $sgpr20
                                        ; implicit-def: $sgpr21
	s_delay_alu instid0(VALU_DEP_3) | instskip(NEXT) | instid1(VALU_DEP_3)
	v_lshl_add_u64 v[2:3], v[2:3], 1, v[8:9]
	v_lshl_add_u64 v[30:31], v[30:31], 1, v[8:9]
	s_branch .LBB1115_285
.LBB1115_284:                           ;   in Loop: Header=BB1115_285 Depth=1
	s_or_b32 exec_lo, exec_lo, s21
	s_delay_alu instid0(SALU_CYCLE_1) | instskip(NEXT) | instid1(SALU_CYCLE_1)
	s_and_b32 s9, exec_lo, s9
	s_or_b32 s15, s9, s15
	s_and_not1_b32 s9, s16, exec_lo
	s_and_b32 s16, s17, exec_lo
	s_and_not1_b32 s11, s11, exec_lo
	s_and_b32 s21, s20, exec_lo
	s_or_b32 s16, s9, s16
	s_or_b32 s11, s11, s21
	s_mov_b32 s21, s20
	s_and_not1_b32 exec_lo, exec_lo, s15
	s_cbranch_execz .LBB1115_299
.LBB1115_285:                           ; =>This Inner Loop Header: Depth=1
	flat_load_u16 v35, v[30:31]
	flat_load_u16 v36, v[2:3]
	s_or_b32 s20, s20, exec_lo
	s_mov_b32 s22, 0
	s_mov_b32 s23, exec_lo
	s_wait_loadcnt_dscnt 0x0
	v_dual_lshlrev_b32 v35, 16, v35 :: v_dual_lshlrev_b32 v36, 16, v36
	s_delay_alu instid0(VALU_DEP_1)
	v_cmpx_nlt_f32_e32 v35, v36
; %bb.286:                              ;   in Loop: Header=BB1115_285 Depth=1
	v_cmp_ngt_f32_e64 s9, v35, v36
	s_and_not1_b32 s20, s20, exec_lo
	s_and_b32 s21, s9, s21
	s_and_b32 s22, s9, exec_lo
	s_and_b32 s21, s21, exec_lo
	s_delay_alu instid0(SALU_CYCLE_1)
	s_or_b32 s20, s20, s21
; %bb.287:                              ;   in Loop: Header=BB1115_285 Depth=1
	s_or_b32 exec_lo, exec_lo, s23
	s_mov_b32 s9, -1
	s_or_b32 s17, s17, exec_lo
	s_and_saveexec_b32 s21, s22
	s_cbranch_execz .LBB1115_284
; %bb.288:                              ;   in Loop: Header=BB1115_285 Depth=1
	v_add_nc_u64_e32 v[32:33], -1, v[32:33]
	v_add_nc_u64_e32 v[2:3], 2, v[2:3]
	v_add_nc_u64_e32 v[30:31], 2, v[30:31]
	s_and_not1_b32 s17, s17, exec_lo
	s_delay_alu instid0(VALU_DEP_3)
	v_cmp_eq_u64_e64 s9, 0, v[32:33]
	s_or_not1_b32 s9, s9, exec_lo
	s_branch .LBB1115_284
.LBB1115_289:
	s_or_b32 exec_lo, exec_lo, s15
	s_and_saveexec_b32 s9, s16
	s_delay_alu instid0(SALU_CYCLE_1)
	s_xor_b32 s9, exec_lo, s9
; %bb.290:
	v_dual_cndmask_b32 v3, v11, v13, s11 :: v_dual_cndmask_b32 v2, v10, v12, s11
	v_dual_cndmask_b32 v13, v13, v11, s11 :: v_dual_cndmask_b32 v12, v12, v10, s11
	s_delay_alu instid0(VALU_DEP_2)
	v_mov_b64_e32 v[10:11], v[2:3]
; %bb.291:
	s_or_b32 exec_lo, exec_lo, s9
	s_delay_alu instid0(SALU_CYCLE_1)
	s_or_b32 exec_lo, exec_lo, s10
	s_and_saveexec_b32 s10, s17
	s_cbranch_execnz .LBB1115_283
.LBB1115_292:
	s_or_b32 exec_lo, exec_lo, s10
	s_and_saveexec_b32 s10, s18
	s_cbranch_execz .LBB1115_302
.LBB1115_293:
	v_mul_u64_e32 v[2:3], v[20:21], v[6:7]
	v_mul_u64_e32 v[30:31], v[14:15], v[6:7]
	v_mov_b64_e32 v[32:33], v[6:7]
	s_mov_b32 s15, 0
                                        ; implicit-def: $sgpr11
                                        ; implicit-def: $sgpr16
                                        ; implicit-def: $sgpr17
                                        ; implicit-def: $sgpr18
                                        ; implicit-def: $sgpr20
	s_delay_alu instid0(VALU_DEP_3) | instskip(NEXT) | instid1(VALU_DEP_3)
	v_lshl_add_u64 v[2:3], v[2:3], 1, v[8:9]
	v_lshl_add_u64 v[30:31], v[30:31], 1, v[8:9]
	s_branch .LBB1115_295
.LBB1115_294:                           ;   in Loop: Header=BB1115_295 Depth=1
	s_or_b32 exec_lo, exec_lo, s20
	s_delay_alu instid0(SALU_CYCLE_1) | instskip(NEXT) | instid1(SALU_CYCLE_1)
	s_and_b32 s9, exec_lo, s9
	s_or_b32 s15, s9, s15
	s_and_not1_b32 s9, s16, exec_lo
	s_and_b32 s16, s17, exec_lo
	s_and_not1_b32 s11, s11, exec_lo
	s_and_b32 s20, s18, exec_lo
	s_or_b32 s16, s9, s16
	s_or_b32 s11, s11, s20
	s_mov_b32 s20, s18
	s_and_not1_b32 exec_lo, exec_lo, s15
	s_cbranch_execz .LBB1115_303
.LBB1115_295:                           ; =>This Inner Loop Header: Depth=1
	flat_load_u16 v35, v[30:31]
	flat_load_u16 v36, v[2:3]
	s_or_b32 s18, s18, exec_lo
	s_mov_b32 s21, 0
	s_mov_b32 s22, exec_lo
	s_wait_loadcnt_dscnt 0x0
	v_dual_lshlrev_b32 v35, 16, v35 :: v_dual_lshlrev_b32 v36, 16, v36
	s_delay_alu instid0(VALU_DEP_1)
	v_cmpx_nlt_f32_e32 v35, v36
; %bb.296:                              ;   in Loop: Header=BB1115_295 Depth=1
	v_cmp_ngt_f32_e64 s9, v35, v36
	s_and_not1_b32 s18, s18, exec_lo
	s_and_b32 s20, s9, s20
	s_and_b32 s21, s9, exec_lo
	s_and_b32 s20, s20, exec_lo
	s_delay_alu instid0(SALU_CYCLE_1)
	s_or_b32 s18, s18, s20
; %bb.297:                              ;   in Loop: Header=BB1115_295 Depth=1
	s_or_b32 exec_lo, exec_lo, s22
	s_mov_b32 s9, -1
	s_or_b32 s17, s17, exec_lo
	s_and_saveexec_b32 s20, s21
	s_cbranch_execz .LBB1115_294
; %bb.298:                              ;   in Loop: Header=BB1115_295 Depth=1
	v_add_nc_u64_e32 v[32:33], -1, v[32:33]
	v_add_nc_u64_e32 v[2:3], 2, v[2:3]
	v_add_nc_u64_e32 v[30:31], 2, v[30:31]
	s_and_not1_b32 s17, s17, exec_lo
	s_delay_alu instid0(VALU_DEP_3)
	v_cmp_eq_u64_e64 s9, 0, v[32:33]
	s_or_not1_b32 s9, s9, exec_lo
	s_branch .LBB1115_294
.LBB1115_299:
	s_or_b32 exec_lo, exec_lo, s15
	s_and_saveexec_b32 s9, s16
	s_delay_alu instid0(SALU_CYCLE_1)
	s_xor_b32 s9, exec_lo, s9
; %bb.300:
	v_dual_cndmask_b32 v3, v25, v19, s11 :: v_dual_cndmask_b32 v2, v24, v18, s11
	v_dual_cndmask_b32 v19, v19, v25, s11 :: v_dual_cndmask_b32 v18, v18, v24, s11
	s_delay_alu instid0(VALU_DEP_2)
	v_mov_b64_e32 v[24:25], v[2:3]
; %bb.301:
	s_or_b32 exec_lo, exec_lo, s9
	s_delay_alu instid0(SALU_CYCLE_1)
	s_or_b32 exec_lo, exec_lo, s10
	s_and_saveexec_b32 s10, s18
	s_cbranch_execnz .LBB1115_293
.LBB1115_302:
	s_or_b32 exec_lo, exec_lo, s10
	s_and_saveexec_b32 s10, s19
	s_cbranch_execnz .LBB1115_306
	s_branch .LBB1115_315
.LBB1115_303:
	s_or_b32 exec_lo, exec_lo, s15
	s_and_saveexec_b32 s9, s16
	s_delay_alu instid0(SALU_CYCLE_1)
	s_xor_b32 s9, exec_lo, s9
; %bb.304:
	v_dual_cndmask_b32 v3, v21, v15, s11 :: v_dual_cndmask_b32 v2, v20, v14, s11
	v_dual_cndmask_b32 v15, v15, v21, s11 :: v_dual_cndmask_b32 v14, v14, v20, s11
	s_delay_alu instid0(VALU_DEP_2)
	v_mov_b64_e32 v[20:21], v[2:3]
; %bb.305:
	s_or_b32 exec_lo, exec_lo, s9
	s_delay_alu instid0(SALU_CYCLE_1)
	s_or_b32 exec_lo, exec_lo, s10
	s_and_saveexec_b32 s10, s19
	s_cbranch_execz .LBB1115_315
.LBB1115_306:
	v_mul_u64_e32 v[2:3], v[16:17], v[6:7]
	v_mul_u64_e32 v[30:31], v[10:11], v[6:7]
	v_mov_b64_e32 v[32:33], v[6:7]
	s_mov_b32 s15, 0
                                        ; implicit-def: $sgpr11
                                        ; implicit-def: $sgpr16
                                        ; implicit-def: $sgpr17
                                        ; implicit-def: $sgpr18
                                        ; implicit-def: $sgpr19
	s_delay_alu instid0(VALU_DEP_3) | instskip(NEXT) | instid1(VALU_DEP_3)
	v_lshl_add_u64 v[2:3], v[2:3], 1, v[8:9]
	v_lshl_add_u64 v[30:31], v[30:31], 1, v[8:9]
	s_branch .LBB1115_308
.LBB1115_307:                           ;   in Loop: Header=BB1115_308 Depth=1
	s_or_b32 exec_lo, exec_lo, s19
	s_delay_alu instid0(SALU_CYCLE_1) | instskip(NEXT) | instid1(SALU_CYCLE_1)
	s_and_b32 s9, exec_lo, s9
	s_or_b32 s15, s9, s15
	s_and_not1_b32 s9, s16, exec_lo
	s_and_b32 s16, s17, exec_lo
	s_and_not1_b32 s11, s11, exec_lo
	s_and_b32 s19, s18, exec_lo
	s_or_b32 s16, s9, s16
	s_or_b32 s11, s11, s19
	s_mov_b32 s19, s18
	s_and_not1_b32 exec_lo, exec_lo, s15
	s_cbranch_execz .LBB1115_312
.LBB1115_308:                           ; =>This Inner Loop Header: Depth=1
	flat_load_u16 v35, v[30:31]
	flat_load_u16 v36, v[2:3]
	s_or_b32 s18, s18, exec_lo
	s_mov_b32 s20, 0
	s_mov_b32 s21, exec_lo
	s_wait_loadcnt_dscnt 0x0
	v_dual_lshlrev_b32 v35, 16, v35 :: v_dual_lshlrev_b32 v36, 16, v36
	s_delay_alu instid0(VALU_DEP_1)
	v_cmpx_nlt_f32_e32 v35, v36
; %bb.309:                              ;   in Loop: Header=BB1115_308 Depth=1
	v_cmp_ngt_f32_e64 s9, v35, v36
	s_and_not1_b32 s18, s18, exec_lo
	s_and_b32 s19, s9, s19
	s_and_b32 s20, s9, exec_lo
	s_and_b32 s19, s19, exec_lo
	s_delay_alu instid0(SALU_CYCLE_1)
	s_or_b32 s18, s18, s19
; %bb.310:                              ;   in Loop: Header=BB1115_308 Depth=1
	s_or_b32 exec_lo, exec_lo, s21
	s_mov_b32 s9, -1
	s_or_b32 s17, s17, exec_lo
	s_and_saveexec_b32 s19, s20
	s_cbranch_execz .LBB1115_307
; %bb.311:                              ;   in Loop: Header=BB1115_308 Depth=1
	v_add_nc_u64_e32 v[32:33], -1, v[32:33]
	v_add_nc_u64_e32 v[2:3], 2, v[2:3]
	v_add_nc_u64_e32 v[30:31], 2, v[30:31]
	s_and_not1_b32 s17, s17, exec_lo
	s_delay_alu instid0(VALU_DEP_3)
	v_cmp_eq_u64_e64 s9, 0, v[32:33]
	s_or_not1_b32 s9, s9, exec_lo
	s_branch .LBB1115_307
.LBB1115_312:
	s_or_b32 exec_lo, exec_lo, s15
	s_and_saveexec_b32 s9, s16
	s_delay_alu instid0(SALU_CYCLE_1)
	s_xor_b32 s9, exec_lo, s9
; %bb.313:
	v_dual_cndmask_b32 v3, v17, v11, s11 :: v_dual_cndmask_b32 v2, v16, v10, s11
	v_dual_cndmask_b32 v11, v11, v17, s11 :: v_dual_cndmask_b32 v10, v10, v16, s11
	s_delay_alu instid0(VALU_DEP_2)
	v_mov_b64_e32 v[16:17], v[2:3]
; %bb.314:
	s_or_b32 exec_lo, exec_lo, s9
.LBB1115_315:
	s_delay_alu instid0(SALU_CYCLE_1) | instskip(SKIP_4) | instid1(VALU_DEP_2)
	s_or_b32 exec_lo, exec_lo, s10
	v_mbcnt_lo_u32_b32 v2, -1, 0
	v_and_b32_e32 v34, 0xffffff00, v34
	s_mov_b64 s[10:11], src_shared_base
	s_mov_b32 s10, 0
	v_dual_mov_b32 v35, 0 :: v_dual_lshlrev_b32 v97, 3, v2
	s_delay_alu instid0(VALU_DEP_2) | instskip(NEXT) | instid1(VALU_DEP_2)
	v_sub_nc_u32_e64 v96, v0, v34 clamp
	v_lshl_add_u64 v[30:31], v[34:35], 3, s[10:11]
	s_delay_alu instid0(VALU_DEP_3) | instskip(SKIP_2) | instid1(VALU_DEP_3)
	v_and_b32_e32 v50, 0xf0, v97
	v_or_b32_e32 v3, 8, v97
	s_mov_b32 s11, exec_lo
	v_lshl_add_u32 v98, v2, 6, v30
	s_delay_alu instid0(VALU_DEP_2)
	v_min_u32_e32 v114, v96, v3
	v_and_b32_e32 v3, 8, v97
	ds_store_2addr_b64 v98, v[22:23], v[24:25] offset1:1
	ds_store_2addr_b64 v98, v[18:19], v[20:21] offset0:2 offset1:3
	ds_store_2addr_b64 v98, v[14:15], v[16:17] offset0:4 offset1:5
	;; [unrolled: 1-line block ×3, first 2 shown]
	v_add_min_u32_e64 v115, v114, 8, v96
	v_min_u32_e32 v51, v96, v3
	v_sub_nc_u32_e32 v32, v114, v50
	; wave barrier
	s_delay_alu instid0(VALU_DEP_3) | instskip(NEXT) | instid1(VALU_DEP_2)
	v_sub_nc_u32_e32 v3, v115, v114
	v_min_u32_e32 v53, v51, v32
	s_delay_alu instid0(VALU_DEP_2) | instskip(SKIP_1) | instid1(VALU_DEP_2)
	v_sub_nc_u32_e64 v52, v51, v3 clamp
	v_lshlrev_b64_e32 v[2:3], 1, v[6:7]
	v_cmpx_lt_u32_e64 v52, v53
	s_cbranch_execz .LBB1115_327
; %bb.316:
	v_lshlrev_b32_e32 v34, 3, v50
	s_delay_alu instid0(VALU_DEP_1) | instskip(SKIP_1) | instid1(VALU_DEP_1)
	v_add_nc_u64_e32 v[32:33], v[30:31], v[34:35]
	v_lshlrev_b32_e32 v34, 3, v114
	v_add_nc_u64_e32 v[34:35], v[30:31], v[34:35]
	s_branch .LBB1115_319
.LBB1115_317:                           ;   in Loop: Header=BB1115_319 Depth=1
	s_or_b32 exec_lo, exec_lo, s16
	s_delay_alu instid0(SALU_CYCLE_1)
	s_and_b32 s9, s17, exec_lo
.LBB1115_318:                           ;   in Loop: Header=BB1115_319 Depth=1
	s_or_b32 exec_lo, exec_lo, s15
	s_delay_alu instid0(VALU_DEP_1) | instskip(NEXT) | instid1(VALU_DEP_1)
	v_dual_add_nc_u32 v35, 1, v33 :: v_dual_cndmask_b32 v53, v53, v33, s9
	v_cndmask_b32_e64 v52, v35, v52, s9
	s_delay_alu instid0(VALU_DEP_1) | instskip(SKIP_1) | instid1(SALU_CYCLE_1)
	v_cmp_ge_u32_e64 s9, v52, v53
	s_or_b32 s10, s9, s10
	s_and_not1_b32 exec_lo, exec_lo, s10
	s_cbranch_execz .LBB1115_326
.LBB1115_319:                           ; =>This Loop Header: Depth=1
                                        ;     Child Loop BB1115_322 Depth 2
	v_add_nc_u32_e32 v33, v53, v52
	s_mov_b32 s9, 0
	s_delay_alu instid0(VALU_DEP_1)
	v_lshrrev_b32_e32 v33, 1, v33
	s_and_saveexec_b32 s15, s7
	s_cbranch_execz .LBB1115_318
; %bb.320:                              ;   in Loop: Header=BB1115_319 Depth=1
	s_delay_alu instid0(VALU_DEP_1) | instskip(SKIP_2) | instid1(VALU_DEP_2)
	v_xad_u32 v35, v33, -1, v51
	v_lshl_add_u32 v36, v33, 3, v32
	s_mov_b32 s16, 0
                                        ; implicit-def: $sgpr17
                                        ; implicit-def: $sgpr18
                                        ; implicit-def: $sgpr21
	v_lshl_add_u32 v35, v35, 3, v34
	ds_load_b64 v[48:49], v36
	ds_load_b64 v[54:55], v35
	s_wait_dscnt 0x1
	v_mad_nc_u64_u32 v[36:37], v2, v48, v[8:9]
	s_wait_dscnt 0x0
	v_mad_nc_u64_u32 v[38:39], v2, v54, v[8:9]
	s_delay_alu instid0(VALU_DEP_2) | instskip(NEXT) | instid1(VALU_DEP_2)
	v_mad_u32 v35, v3, v48, v37
	v_mad_u32 v39, v3, v54, v39
	s_delay_alu instid0(VALU_DEP_2) | instskip(NEXT) | instid1(VALU_DEP_2)
	v_mad_u32 v37, v2, v49, v35
	v_mad_u32 v39, v2, v55, v39
	v_mov_b64_e32 v[48:49], v[6:7]
	s_branch .LBB1115_322
.LBB1115_321:                           ;   in Loop: Header=BB1115_322 Depth=2
	s_or_b32 exec_lo, exec_lo, s21
	s_delay_alu instid0(SALU_CYCLE_1) | instskip(SKIP_4) | instid1(SALU_CYCLE_1)
	s_and_b32 s9, exec_lo, s20
	s_mov_b32 s21, s19
	s_or_b32 s16, s9, s16
	s_and_not1_b32 s9, s17, exec_lo
	s_and_b32 s17, s18, exec_lo
	s_or_b32 s17, s9, s17
	s_and_not1_b32 exec_lo, exec_lo, s16
	s_cbranch_execz .LBB1115_317
.LBB1115_322:                           ;   Parent Loop BB1115_319 Depth=1
                                        ; =>  This Inner Loop Header: Depth=2
	flat_load_u16 v35, v[38:39]
	flat_load_u16 v54, v[36:37]
	s_mov_b32 s20, -1
	s_mov_b32 s22, 0
	s_mov_b32 s19, -1
	s_mov_b32 s23, exec_lo
	s_wait_loadcnt_dscnt 0x0
	v_dual_lshlrev_b32 v35, 16, v35 :: v_dual_lshlrev_b32 v54, 16, v54
	s_delay_alu instid0(VALU_DEP_1)
	v_cmpx_nlt_f32_e32 v35, v54
; %bb.323:                              ;   in Loop: Header=BB1115_322 Depth=2
	v_cmp_ngt_f32_e64 s9, v35, v54
	s_and_b32 s19, s9, s21
	s_and_b32 s22, s9, exec_lo
	s_or_not1_b32 s19, s19, exec_lo
; %bb.324:                              ;   in Loop: Header=BB1115_322 Depth=2
	s_or_b32 exec_lo, exec_lo, s23
	s_delay_alu instid0(SALU_CYCLE_1) | instskip(SKIP_1) | instid1(SALU_CYCLE_1)
	s_and_not1_b32 s9, s18, exec_lo
	s_and_b32 s18, s19, exec_lo
	s_or_b32 s18, s9, s18
	s_and_saveexec_b32 s21, s22
	s_cbranch_execz .LBB1115_321
; %bb.325:                              ;   in Loop: Header=BB1115_322 Depth=2
	v_add_nc_u64_e32 v[48:49], -1, v[48:49]
	v_add_nc_u64_e32 v[36:37], 2, v[36:37]
	v_add_nc_u64_e32 v[38:39], 2, v[38:39]
	s_and_not1_b32 s18, s18, exec_lo
	s_delay_alu instid0(VALU_DEP_3)
	v_cmp_eq_u64_e64 s9, 0, v[48:49]
	s_or_not1_b32 s20, s9, exec_lo
	s_branch .LBB1115_321
.LBB1115_326:
	s_or_b32 exec_lo, exec_lo, s10
.LBB1115_327:
	s_delay_alu instid0(SALU_CYCLE_1) | instskip(SKIP_4) | instid1(VALU_DEP_4)
	s_or_b32 exec_lo, exec_lo, s11
	v_dual_add_nc_u32 v100, 56, v98 :: v_dual_add_nc_u32 v33, v114, v51
	v_add_nc_u32_e32 v32, v52, v50
	v_dual_add_nc_u32 v113, 8, v98 :: v_dual_add_nc_u32 v101, 16, v98
	v_dual_add_nc_u32 v102, 24, v98 :: v_dual_add_nc_u32 v103, 32, v98
	v_sub_nc_u32_e32 v33, v33, v52
	s_delay_alu instid0(VALU_DEP_4) | instskip(SKIP_1) | instid1(VALU_DEP_3)
	v_cmp_le_u32_e64 s9, v32, v114
	v_dual_add_nc_u32 v112, 40, v98 :: v_dual_add_nc_u32 v99, 48, v98
	v_cmp_le_u32_e64 s10, v33, v115
	s_or_b32 s9, s9, s10
	s_delay_alu instid0(SALU_CYCLE_1)
	s_and_saveexec_b32 s15, s9
	s_cbranch_execz .LBB1115_737
; %bb.328:
	v_cmp_ge_u32_e64 s9, v32, v114
	s_mov_b32 s11, exec_lo
                                        ; implicit-def: $vgpr10_vgpr11
	v_cmpx_lt_u32_e64 v32, v114
; %bb.329:
	v_lshl_add_u32 v10, v32, 3, v30
	ds_load_b64 v[10:11], v10
; %bb.330:
	s_or_b32 exec_lo, exec_lo, s11
	v_cmp_ge_u32_e64 s10, v33, v115
	s_mov_b32 s16, exec_lo
                                        ; implicit-def: $vgpr12_vgpr13
	v_cmpx_lt_u32_e64 v33, v115
; %bb.331:
	v_lshl_add_u32 v12, v33, 3, v30
	ds_load_b64 v[12:13], v12
; %bb.332:
	s_or_b32 exec_lo, exec_lo, s16
	s_or_b32 s11, s9, s10
	s_xor_b32 s9, s9, -1
	s_nor_b32 s16, s11, s8
	s_or_b32 s10, s10, s9
	s_and_saveexec_b32 s11, s16
	s_cbranch_execz .LBB1115_356
; %bb.333:
	s_wait_dscnt 0x0
	v_mul_u64_e32 v[14:15], v[10:11], v[6:7]
	v_mul_u64_e32 v[16:17], v[12:13], v[6:7]
	v_mov_b64_e32 v[18:19], v[6:7]
	s_mov_b32 s16, 0
                                        ; implicit-def: $sgpr17
                                        ; implicit-def: $sgpr18
                                        ; implicit-def: $sgpr21
	s_delay_alu instid0(VALU_DEP_3) | instskip(NEXT) | instid1(VALU_DEP_3)
	v_lshl_add_u64 v[14:15], v[14:15], 1, v[8:9]
	v_lshl_add_u64 v[16:17], v[16:17], 1, v[8:9]
	s_branch .LBB1115_335
.LBB1115_334:                           ;   in Loop: Header=BB1115_335 Depth=1
	s_or_b32 exec_lo, exec_lo, s21
	s_delay_alu instid0(SALU_CYCLE_1) | instskip(SKIP_4) | instid1(SALU_CYCLE_1)
	s_and_b32 s9, exec_lo, s20
	s_mov_b32 s21, s19
	s_or_b32 s16, s9, s16
	s_and_not1_b32 s9, s17, exec_lo
	s_and_b32 s17, s18, exec_lo
	s_or_b32 s17, s9, s17
	s_and_not1_b32 exec_lo, exec_lo, s16
	s_cbranch_execz .LBB1115_355
.LBB1115_335:                           ; =>This Inner Loop Header: Depth=1
	flat_load_u16 v20, v[16:17]
	flat_load_u16 v21, v[14:15]
	s_mov_b32 s20, -1
	s_mov_b32 s22, 0
	s_mov_b32 s19, -1
	s_mov_b32 s23, exec_lo
	s_wait_loadcnt_dscnt 0x0
	v_dual_lshlrev_b32 v20, 16, v20 :: v_dual_lshlrev_b32 v21, 16, v21
	s_delay_alu instid0(VALU_DEP_1)
	v_cmpx_nlt_f32_e32 v20, v21
; %bb.336:                              ;   in Loop: Header=BB1115_335 Depth=1
	v_cmp_ngt_f32_e64 s9, v20, v21
	s_and_b32 s19, s9, s21
	s_and_b32 s22, s9, exec_lo
	s_or_not1_b32 s19, s19, exec_lo
; %bb.337:                              ;   in Loop: Header=BB1115_335 Depth=1
	s_or_b32 exec_lo, exec_lo, s23
	s_delay_alu instid0(SALU_CYCLE_1) | instskip(SKIP_1) | instid1(SALU_CYCLE_1)
	s_and_not1_b32 s9, s18, exec_lo
	s_and_b32 s18, s19, exec_lo
	s_or_b32 s18, s9, s18
	s_and_saveexec_b32 s21, s22
	s_cbranch_execz .LBB1115_334
; %bb.338:                              ;   in Loop: Header=BB1115_335 Depth=1
	v_add_nc_u64_e32 v[18:19], -1, v[18:19]
	v_add_nc_u64_e32 v[14:15], 2, v[14:15]
	v_add_nc_u64_e32 v[16:17], 2, v[16:17]
	s_and_not1_b32 s18, s18, exec_lo
	s_delay_alu instid0(VALU_DEP_3)
	v_cmp_eq_u64_e64 s9, 0, v[18:19]
	s_or_not1_b32 s20, s9, exec_lo
	s_branch .LBB1115_334
.LBB1115_339:
	s_or_b32 exec_lo, exec_lo, s5
	s_and_saveexec_b32 s0, s6
	s_delay_alu instid0(SALU_CYCLE_1)
	s_xor_b32 s0, exec_lo, s0
; %bb.340:
	v_dual_cndmask_b32 v23, v21, v19, s3 :: v_dual_cndmask_b32 v22, v20, v18, s3
	v_dual_cndmask_b32 v19, v19, v21, s3 :: v_dual_cndmask_b32 v18, v18, v20, s3
	s_delay_alu instid0(VALU_DEP_2)
	v_mov_b64_e32 v[20:21], v[22:23]
; %bb.341:
	s_or_b32 exec_lo, exec_lo, s0
	v_mul_u64_e32 v[22:23], v[14:15], v[6:7]
	v_mul_u64_e32 v[24:25], v[16:17], v[6:7]
	v_mov_b64_e32 v[30:31], v[6:7]
	s_mov_b32 s5, 0
                                        ; implicit-def: $sgpr3
                                        ; implicit-def: $sgpr6
                                        ; implicit-def: $sgpr7
                                        ; implicit-def: $sgpr11
                                        ; implicit-def: $sgpr12
	s_delay_alu instid0(VALU_DEP_3) | instskip(NEXT) | instid1(VALU_DEP_3)
	v_lshl_add_u64 v[22:23], v[22:23], 1, v[8:9]
	v_lshl_add_u64 v[24:25], v[24:25], 1, v[8:9]
	s_branch .LBB1115_343
.LBB1115_342:                           ;   in Loop: Header=BB1115_343 Depth=1
	s_or_b32 exec_lo, exec_lo, s12
	s_delay_alu instid0(SALU_CYCLE_1) | instskip(NEXT) | instid1(SALU_CYCLE_1)
	s_and_b32 s0, exec_lo, s0
	s_or_b32 s5, s0, s5
	s_and_not1_b32 s0, s6, exec_lo
	s_and_b32 s6, s7, exec_lo
	s_and_not1_b32 s3, s3, exec_lo
	s_and_b32 s12, s11, exec_lo
	s_or_b32 s6, s0, s6
	s_or_b32 s3, s3, s12
	s_mov_b32 s12, s11
	s_and_not1_b32 exec_lo, exec_lo, s5
	s_cbranch_execz .LBB1115_364
.LBB1115_343:                           ; =>This Inner Loop Header: Depth=1
	flat_load_u16 v48, v[24:25]
	flat_load_u16 v49, v[22:23]
	s_or_b32 s11, s11, exec_lo
	s_mov_b32 s13, 0
	s_mov_b32 s14, exec_lo
	s_wait_loadcnt_dscnt 0x0
	v_dual_lshlrev_b32 v48, 16, v48 :: v_dual_lshlrev_b32 v49, 16, v49
	s_delay_alu instid0(VALU_DEP_1)
	v_cmpx_nlt_f32_e32 v48, v49
; %bb.344:                              ;   in Loop: Header=BB1115_343 Depth=1
	v_cmp_ngt_f32_e64 s0, v48, v49
	s_and_not1_b32 s11, s11, exec_lo
	s_and_b32 s12, s0, s12
	s_and_b32 s13, s0, exec_lo
	s_and_b32 s12, s12, exec_lo
	s_delay_alu instid0(SALU_CYCLE_1)
	s_or_b32 s11, s11, s12
; %bb.345:                              ;   in Loop: Header=BB1115_343 Depth=1
	s_or_b32 exec_lo, exec_lo, s14
	s_mov_b32 s0, -1
	s_or_b32 s7, s7, exec_lo
	s_and_saveexec_b32 s12, s13
	s_cbranch_execz .LBB1115_342
; %bb.346:                              ;   in Loop: Header=BB1115_343 Depth=1
	v_add_nc_u64_e32 v[30:31], -1, v[30:31]
	v_add_nc_u64_e32 v[22:23], 2, v[22:23]
	v_add_nc_u64_e32 v[24:25], 2, v[24:25]
	s_and_not1_b32 s7, s7, exec_lo
	s_delay_alu instid0(VALU_DEP_3)
	v_cmp_eq_u64_e64 s0, 0, v[30:31]
	s_or_not1_b32 s0, s0, exec_lo
	s_branch .LBB1115_342
.LBB1115_347:
	s_or_b32 exec_lo, exec_lo, s5
	s_and_saveexec_b32 s0, s6
	s_delay_alu instid0(SALU_CYCLE_1)
	s_xor_b32 s0, exec_lo, s0
; %bb.348:
	v_dual_cndmask_b32 v23, v11, v13, s3 :: v_dual_cndmask_b32 v22, v10, v12, s3
	v_dual_cndmask_b32 v13, v13, v11, s3 :: v_dual_cndmask_b32 v12, v12, v10, s3
	s_delay_alu instid0(VALU_DEP_2)
	v_mov_b64_e32 v[10:11], v[22:23]
; %bb.349:
	s_or_b32 exec_lo, exec_lo, s0
	v_mul_u64_e32 v[22:23], v[0:1], v[6:7]
	v_mul_u64_e32 v[24:25], v[2:3], v[6:7]
	v_mov_b64_e32 v[30:31], v[6:7]
	s_mov_b32 s5, 0
                                        ; implicit-def: $sgpr3
                                        ; implicit-def: $sgpr6
                                        ; implicit-def: $sgpr7
                                        ; implicit-def: $sgpr11
                                        ; implicit-def: $sgpr12
	s_delay_alu instid0(VALU_DEP_3) | instskip(NEXT) | instid1(VALU_DEP_3)
	v_lshl_add_u64 v[22:23], v[22:23], 1, v[8:9]
	v_lshl_add_u64 v[24:25], v[24:25], 1, v[8:9]
	s_branch .LBB1115_351
.LBB1115_350:                           ;   in Loop: Header=BB1115_351 Depth=1
	s_or_b32 exec_lo, exec_lo, s12
	s_delay_alu instid0(SALU_CYCLE_1) | instskip(NEXT) | instid1(SALU_CYCLE_1)
	s_and_b32 s0, exec_lo, s0
	s_or_b32 s5, s0, s5
	s_and_not1_b32 s0, s6, exec_lo
	s_and_b32 s6, s7, exec_lo
	s_and_not1_b32 s3, s3, exec_lo
	s_and_b32 s12, s11, exec_lo
	s_or_b32 s6, s0, s6
	s_or_b32 s3, s3, s12
	s_mov_b32 s12, s11
	s_and_not1_b32 exec_lo, exec_lo, s5
	s_cbranch_execz .LBB1115_374
.LBB1115_351:                           ; =>This Inner Loop Header: Depth=1
	flat_load_u16 v48, v[24:25]
	flat_load_u16 v49, v[22:23]
	s_or_b32 s11, s11, exec_lo
	s_mov_b32 s13, 0
	s_mov_b32 s14, exec_lo
	s_wait_loadcnt_dscnt 0x0
	v_dual_lshlrev_b32 v48, 16, v48 :: v_dual_lshlrev_b32 v49, 16, v49
	s_delay_alu instid0(VALU_DEP_1)
	v_cmpx_nlt_f32_e32 v48, v49
; %bb.352:                              ;   in Loop: Header=BB1115_351 Depth=1
	v_cmp_ngt_f32_e64 s0, v48, v49
	s_and_not1_b32 s11, s11, exec_lo
	s_and_b32 s12, s0, s12
	s_and_b32 s13, s0, exec_lo
	s_and_b32 s12, s12, exec_lo
	s_delay_alu instid0(SALU_CYCLE_1)
	s_or_b32 s11, s11, s12
; %bb.353:                              ;   in Loop: Header=BB1115_351 Depth=1
	s_or_b32 exec_lo, exec_lo, s14
	s_mov_b32 s0, -1
	s_or_b32 s7, s7, exec_lo
	s_and_saveexec_b32 s12, s13
	s_cbranch_execz .LBB1115_350
; %bb.354:                              ;   in Loop: Header=BB1115_351 Depth=1
	v_add_nc_u64_e32 v[30:31], -1, v[30:31]
	v_add_nc_u64_e32 v[22:23], 2, v[22:23]
	v_add_nc_u64_e32 v[24:25], 2, v[24:25]
	s_and_not1_b32 s7, s7, exec_lo
	s_delay_alu instid0(VALU_DEP_3)
	v_cmp_eq_u64_e64 s0, 0, v[30:31]
	s_or_not1_b32 s0, s0, exec_lo
	s_branch .LBB1115_350
.LBB1115_355:
	s_or_b32 exec_lo, exec_lo, s16
	s_xor_b32 s9, s17, -1
	s_and_not1_b32 s10, s10, exec_lo
	s_and_b32 s9, s9, exec_lo
	s_delay_alu instid0(SALU_CYCLE_1)
	s_or_b32 s10, s10, s9
.LBB1115_356:
	s_or_b32 exec_lo, exec_lo, s11
	v_dual_cndmask_b32 v14, v33, v32, s10 :: v_dual_cndmask_b32 v15, v115, v114, s10
	s_mov_b32 s16, -1
	s_mov_b32 s11, -1
	s_mov_b32 s17, exec_lo
	s_delay_alu instid0(VALU_DEP_1) | instskip(NEXT) | instid1(VALU_DEP_1)
	v_add_nc_u32_e32 v16, 1, v14
	v_add_min_u32_e64 v14, v15, -1, v16
	s_delay_alu instid0(VALU_DEP_1)
	v_lshl_add_u32 v14, v14, 3, v30
	ds_load_b64 v[14:15], v14
	s_wait_dscnt 0x0
	v_cndmask_b32_e64 v23, v15, v13, s10
	v_dual_cndmask_b32 v20, v16, v33, s10 :: v_dual_cndmask_b32 v22, v14, v12, s10
	v_dual_cndmask_b32 v21, v32, v16, s10 :: v_dual_cndmask_b32 v25, v11, v15, s10
	v_cndmask_b32_e64 v24, v10, v14, s10
	s_delay_alu instid0(VALU_DEP_3)
	v_cmpx_lt_u32_e64 v20, v115
	s_cbranch_execz .LBB1115_616
; %bb.357:
	s_delay_alu instid0(VALU_DEP_3) | instskip(SKIP_1) | instid1(SALU_CYCLE_1)
	v_cmp_lt_u32_e64 s11, v21, v114
	s_and_b32 s9, s11, s14
	s_and_saveexec_b32 s18, s9
	s_cbranch_execz .LBB1115_615
; %bb.358:
	v_mul_u64_e32 v[14:15], v[24:25], v[6:7]
	v_mul_u64_e32 v[16:17], v[22:23], v[6:7]
	v_mov_b64_e32 v[18:19], v[6:7]
	s_mov_b32 s19, 0
                                        ; implicit-def: $sgpr20
                                        ; implicit-def: $sgpr21
                                        ; implicit-def: $sgpr24
	s_delay_alu instid0(VALU_DEP_3) | instskip(NEXT) | instid1(VALU_DEP_3)
	v_lshl_add_u64 v[14:15], v[14:15], 1, v[8:9]
	v_lshl_add_u64 v[16:17], v[16:17], 1, v[8:9]
	s_branch .LBB1115_360
.LBB1115_359:                           ;   in Loop: Header=BB1115_360 Depth=1
	s_or_b32 exec_lo, exec_lo, s24
	s_delay_alu instid0(SALU_CYCLE_1) | instskip(SKIP_4) | instid1(SALU_CYCLE_1)
	s_and_b32 s9, exec_lo, s23
	s_mov_b32 s24, s22
	s_or_b32 s19, s9, s19
	s_and_not1_b32 s9, s20, exec_lo
	s_and_b32 s20, s21, exec_lo
	s_or_b32 s20, s9, s20
	s_and_not1_b32 exec_lo, exec_lo, s19
	s_cbranch_execz .LBB1115_614
.LBB1115_360:                           ; =>This Inner Loop Header: Depth=1
	flat_load_u16 v32, v[16:17]
	flat_load_u16 v33, v[14:15]
	s_mov_b32 s23, -1
	s_mov_b32 s25, 0
	s_mov_b32 s22, -1
	s_mov_b32 s26, exec_lo
	s_wait_loadcnt_dscnt 0x0
	v_dual_lshlrev_b32 v32, 16, v32 :: v_dual_lshlrev_b32 v33, 16, v33
	s_delay_alu instid0(VALU_DEP_1)
	v_cmpx_nlt_f32_e32 v32, v33
; %bb.361:                              ;   in Loop: Header=BB1115_360 Depth=1
	v_cmp_ngt_f32_e64 s9, v32, v33
	s_and_b32 s22, s9, s24
	s_and_b32 s25, s9, exec_lo
	s_or_not1_b32 s22, s22, exec_lo
; %bb.362:                              ;   in Loop: Header=BB1115_360 Depth=1
	s_or_b32 exec_lo, exec_lo, s26
	s_delay_alu instid0(SALU_CYCLE_1) | instskip(SKIP_1) | instid1(SALU_CYCLE_1)
	s_and_not1_b32 s9, s21, exec_lo
	s_and_b32 s21, s22, exec_lo
	s_or_b32 s21, s9, s21
	s_and_saveexec_b32 s24, s25
	s_cbranch_execz .LBB1115_359
; %bb.363:                              ;   in Loop: Header=BB1115_360 Depth=1
	v_add_nc_u64_e32 v[18:19], -1, v[18:19]
	v_add_nc_u64_e32 v[14:15], 2, v[14:15]
	v_add_nc_u64_e32 v[16:17], 2, v[16:17]
	s_and_not1_b32 s21, s21, exec_lo
	s_delay_alu instid0(VALU_DEP_3)
	v_cmp_eq_u64_e64 s9, 0, v[18:19]
	s_or_not1_b32 s23, s9, exec_lo
	s_branch .LBB1115_359
.LBB1115_364:
	s_or_b32 exec_lo, exec_lo, s5
	s_and_saveexec_b32 s0, s6
	s_delay_alu instid0(SALU_CYCLE_1)
	s_xor_b32 s0, exec_lo, s0
; %bb.365:
	v_dual_cndmask_b32 v23, v15, v17, s3 :: v_dual_cndmask_b32 v22, v14, v16, s3
	v_dual_cndmask_b32 v17, v17, v15, s3 :: v_dual_cndmask_b32 v16, v16, v14, s3
	s_delay_alu instid0(VALU_DEP_2)
	v_mov_b64_e32 v[14:15], v[22:23]
; %bb.366:
	s_or_b32 exec_lo, exec_lo, s0
	s_delay_alu instid0(SALU_CYCLE_1)
	s_or_b32 exec_lo, exec_lo, s2
	s_and_saveexec_b32 s2, vcc_lo
	s_cbranch_execnz .LBB1115_36
.LBB1115_367:
	s_or_b32 exec_lo, exec_lo, s2
	s_and_saveexec_b32 s0, vcc_lo
	s_delay_alu instid0(SALU_CYCLE_1)
	s_xor_b32 s2, exec_lo, s0
	s_cbranch_execz .LBB1115_377
.LBB1115_368:
	v_mul_u64_e32 v[22:23], v[20:21], v[6:7]
	v_mul_u64_e32 v[24:25], v[14:15], v[6:7]
	v_mov_b64_e32 v[30:31], v[6:7]
	s_mov_b32 s5, 0
                                        ; implicit-def: $sgpr3
                                        ; implicit-def: $sgpr6
                                        ; implicit-def: $sgpr7
                                        ; implicit-def: $sgpr11
                                        ; implicit-def: $sgpr12
	s_delay_alu instid0(VALU_DEP_3) | instskip(NEXT) | instid1(VALU_DEP_3)
	v_lshl_add_u64 v[22:23], v[22:23], 1, v[8:9]
	v_lshl_add_u64 v[24:25], v[24:25], 1, v[8:9]
	s_branch .LBB1115_370
.LBB1115_369:                           ;   in Loop: Header=BB1115_370 Depth=1
	s_or_b32 exec_lo, exec_lo, s12
	s_delay_alu instid0(SALU_CYCLE_1) | instskip(NEXT) | instid1(SALU_CYCLE_1)
	s_and_b32 s0, exec_lo, s0
	s_or_b32 s5, s0, s5
	s_and_not1_b32 s0, s6, exec_lo
	s_and_b32 s6, s7, exec_lo
	s_and_not1_b32 s3, s3, exec_lo
	s_and_b32 s12, s11, exec_lo
	s_or_b32 s6, s0, s6
	s_or_b32 s3, s3, s12
	s_mov_b32 s12, s11
	s_and_not1_b32 exec_lo, exec_lo, s5
	s_cbranch_execz .LBB1115_384
.LBB1115_370:                           ; =>This Inner Loop Header: Depth=1
	flat_load_u16 v48, v[24:25]
	flat_load_u16 v49, v[22:23]
	s_or_b32 s11, s11, exec_lo
	s_mov_b32 s13, 0
	s_mov_b32 s14, exec_lo
	s_wait_loadcnt_dscnt 0x0
	v_dual_lshlrev_b32 v48, 16, v48 :: v_dual_lshlrev_b32 v49, 16, v49
	s_delay_alu instid0(VALU_DEP_1)
	v_cmpx_nlt_f32_e32 v48, v49
; %bb.371:                              ;   in Loop: Header=BB1115_370 Depth=1
	v_cmp_ngt_f32_e64 s0, v48, v49
	s_and_not1_b32 s11, s11, exec_lo
	s_and_b32 s12, s0, s12
	s_and_b32 s13, s0, exec_lo
	s_and_b32 s12, s12, exec_lo
	s_delay_alu instid0(SALU_CYCLE_1)
	s_or_b32 s11, s11, s12
; %bb.372:                              ;   in Loop: Header=BB1115_370 Depth=1
	s_or_b32 exec_lo, exec_lo, s14
	s_mov_b32 s0, -1
	s_or_b32 s7, s7, exec_lo
	s_and_saveexec_b32 s12, s13
	s_cbranch_execz .LBB1115_369
; %bb.373:                              ;   in Loop: Header=BB1115_370 Depth=1
	v_add_nc_u64_e32 v[30:31], -1, v[30:31]
	v_add_nc_u64_e32 v[22:23], 2, v[22:23]
	v_add_nc_u64_e32 v[24:25], 2, v[24:25]
	s_and_not1_b32 s7, s7, exec_lo
	s_delay_alu instid0(VALU_DEP_3)
	v_cmp_eq_u64_e64 s0, 0, v[30:31]
	s_or_not1_b32 s0, s0, exec_lo
	s_branch .LBB1115_369
.LBB1115_374:
	s_or_b32 exec_lo, exec_lo, s5
	s_and_saveexec_b32 s0, s6
	s_delay_alu instid0(SALU_CYCLE_1)
	s_xor_b32 s0, exec_lo, s0
; %bb.375:
	v_dual_cndmask_b32 v23, v1, v3, s3 :: v_dual_cndmask_b32 v22, v0, v2, s3
	v_dual_cndmask_b32 v3, v3, v1, s3 :: v_dual_cndmask_b32 v2, v2, v0, s3
	s_delay_alu instid0(VALU_DEP_2)
	v_mov_b64_e32 v[0:1], v[22:23]
; %bb.376:
	s_or_b32 exec_lo, exec_lo, s0
	s_delay_alu instid0(SALU_CYCLE_1) | instskip(SKIP_1) | instid1(SALU_CYCLE_1)
	s_or_b32 exec_lo, exec_lo, s2
	s_and_saveexec_b32 s0, vcc_lo
	s_xor_b32 s2, exec_lo, s0
	s_cbranch_execnz .LBB1115_368
.LBB1115_377:
	s_or_b32 exec_lo, exec_lo, s2
	s_and_saveexec_b32 s2, vcc_lo
	s_cbranch_execz .LBB1115_403
.LBB1115_378:
	v_mul_u64_e32 v[22:23], v[12:13], v[6:7]
	v_mul_u64_e32 v[24:25], v[0:1], v[6:7]
	v_mov_b64_e32 v[30:31], v[6:7]
	s_mov_b32 s5, 0
                                        ; implicit-def: $sgpr3
                                        ; implicit-def: $sgpr6
                                        ; implicit-def: $sgpr7
                                        ; implicit-def: $sgpr11
                                        ; implicit-def: $sgpr12
	s_delay_alu instid0(VALU_DEP_3) | instskip(NEXT) | instid1(VALU_DEP_3)
	v_lshl_add_u64 v[22:23], v[22:23], 1, v[8:9]
	v_lshl_add_u64 v[24:25], v[24:25], 1, v[8:9]
	s_branch .LBB1115_380
.LBB1115_379:                           ;   in Loop: Header=BB1115_380 Depth=1
	s_or_b32 exec_lo, exec_lo, s12
	s_delay_alu instid0(SALU_CYCLE_1) | instskip(NEXT) | instid1(SALU_CYCLE_1)
	s_and_b32 s0, exec_lo, s0
	s_or_b32 s5, s0, s5
	s_and_not1_b32 s0, s6, exec_lo
	s_and_b32 s6, s7, exec_lo
	s_and_not1_b32 s3, s3, exec_lo
	s_and_b32 s12, s11, exec_lo
	s_or_b32 s6, s0, s6
	s_or_b32 s3, s3, s12
	s_mov_b32 s12, s11
	s_and_not1_b32 exec_lo, exec_lo, s5
	s_cbranch_execz .LBB1115_392
.LBB1115_380:                           ; =>This Inner Loop Header: Depth=1
	flat_load_u16 v48, v[24:25]
	flat_load_u16 v49, v[22:23]
	s_or_b32 s11, s11, exec_lo
	s_mov_b32 s13, 0
	s_mov_b32 s14, exec_lo
	s_wait_loadcnt_dscnt 0x0
	v_dual_lshlrev_b32 v48, 16, v48 :: v_dual_lshlrev_b32 v49, 16, v49
	s_delay_alu instid0(VALU_DEP_1)
	v_cmpx_nlt_f32_e32 v48, v49
; %bb.381:                              ;   in Loop: Header=BB1115_380 Depth=1
	v_cmp_ngt_f32_e64 s0, v48, v49
	s_and_not1_b32 s11, s11, exec_lo
	s_and_b32 s12, s0, s12
	s_and_b32 s13, s0, exec_lo
	s_and_b32 s12, s12, exec_lo
	s_delay_alu instid0(SALU_CYCLE_1)
	s_or_b32 s11, s11, s12
; %bb.382:                              ;   in Loop: Header=BB1115_380 Depth=1
	s_or_b32 exec_lo, exec_lo, s14
	s_mov_b32 s0, -1
	s_or_b32 s7, s7, exec_lo
	s_and_saveexec_b32 s12, s13
	s_cbranch_execz .LBB1115_379
; %bb.383:                              ;   in Loop: Header=BB1115_380 Depth=1
	v_add_nc_u64_e32 v[30:31], -1, v[30:31]
	v_add_nc_u64_e32 v[22:23], 2, v[22:23]
	v_add_nc_u64_e32 v[24:25], 2, v[24:25]
	s_and_not1_b32 s7, s7, exec_lo
	s_delay_alu instid0(VALU_DEP_3)
	v_cmp_eq_u64_e64 s0, 0, v[30:31]
	s_or_not1_b32 s0, s0, exec_lo
	s_branch .LBB1115_379
.LBB1115_384:
	s_or_b32 exec_lo, exec_lo, s5
	s_and_saveexec_b32 s0, s6
	s_delay_alu instid0(SALU_CYCLE_1)
	s_xor_b32 s0, exec_lo, s0
; %bb.385:
	v_dual_cndmask_b32 v23, v21, v15, s3 :: v_dual_cndmask_b32 v22, v20, v14, s3
	v_dual_cndmask_b32 v15, v15, v21, s3 :: v_dual_cndmask_b32 v14, v14, v20, s3
	s_delay_alu instid0(VALU_DEP_2)
	v_mov_b64_e32 v[20:21], v[22:23]
; %bb.386:
	s_or_b32 exec_lo, exec_lo, s0
	v_mul_u64_e32 v[22:23], v[16:17], v[6:7]
	v_mul_u64_e32 v[24:25], v[10:11], v[6:7]
	v_mov_b64_e32 v[30:31], v[6:7]
	s_mov_b32 s5, 0
                                        ; implicit-def: $sgpr3
                                        ; implicit-def: $sgpr6
                                        ; implicit-def: $sgpr7
                                        ; implicit-def: $sgpr11
                                        ; implicit-def: $sgpr12
	s_delay_alu instid0(VALU_DEP_3) | instskip(NEXT) | instid1(VALU_DEP_3)
	v_lshl_add_u64 v[22:23], v[22:23], 1, v[8:9]
	v_lshl_add_u64 v[24:25], v[24:25], 1, v[8:9]
	s_branch .LBB1115_388
.LBB1115_387:                           ;   in Loop: Header=BB1115_388 Depth=1
	s_or_b32 exec_lo, exec_lo, s12
	s_delay_alu instid0(SALU_CYCLE_1) | instskip(NEXT) | instid1(SALU_CYCLE_1)
	s_and_b32 s0, exec_lo, s0
	s_or_b32 s5, s0, s5
	s_and_not1_b32 s0, s6, exec_lo
	s_and_b32 s6, s7, exec_lo
	s_and_not1_b32 s3, s3, exec_lo
	s_and_b32 s12, s11, exec_lo
	s_or_b32 s6, s0, s6
	s_or_b32 s3, s3, s12
	s_mov_b32 s12, s11
	s_and_not1_b32 exec_lo, exec_lo, s5
	s_cbranch_execz .LBB1115_400
.LBB1115_388:                           ; =>This Inner Loop Header: Depth=1
	flat_load_u16 v48, v[24:25]
	flat_load_u16 v49, v[22:23]
	s_or_b32 s11, s11, exec_lo
	s_mov_b32 s13, 0
	s_mov_b32 s14, exec_lo
	s_wait_loadcnt_dscnt 0x0
	v_dual_lshlrev_b32 v48, 16, v48 :: v_dual_lshlrev_b32 v49, 16, v49
	s_delay_alu instid0(VALU_DEP_1)
	v_cmpx_nlt_f32_e32 v48, v49
; %bb.389:                              ;   in Loop: Header=BB1115_388 Depth=1
	v_cmp_ngt_f32_e64 s0, v48, v49
	s_and_not1_b32 s11, s11, exec_lo
	s_and_b32 s12, s0, s12
	s_and_b32 s13, s0, exec_lo
	s_and_b32 s12, s12, exec_lo
	s_delay_alu instid0(SALU_CYCLE_1)
	s_or_b32 s11, s11, s12
; %bb.390:                              ;   in Loop: Header=BB1115_388 Depth=1
	s_or_b32 exec_lo, exec_lo, s14
	s_mov_b32 s0, -1
	s_or_b32 s7, s7, exec_lo
	s_and_saveexec_b32 s12, s13
	s_cbranch_execz .LBB1115_387
; %bb.391:                              ;   in Loop: Header=BB1115_388 Depth=1
	v_add_nc_u64_e32 v[30:31], -1, v[30:31]
	v_add_nc_u64_e32 v[22:23], 2, v[22:23]
	v_add_nc_u64_e32 v[24:25], 2, v[24:25]
	s_and_not1_b32 s7, s7, exec_lo
	s_delay_alu instid0(VALU_DEP_3)
	v_cmp_eq_u64_e64 s0, 0, v[30:31]
	s_or_not1_b32 s0, s0, exec_lo
	s_branch .LBB1115_387
.LBB1115_392:
	s_or_b32 exec_lo, exec_lo, s5
	s_and_saveexec_b32 s0, s6
	s_delay_alu instid0(SALU_CYCLE_1)
	s_xor_b32 s0, exec_lo, s0
; %bb.393:
	v_dual_cndmask_b32 v23, v13, v1, s3 :: v_dual_cndmask_b32 v22, v12, v0, s3
	v_dual_cndmask_b32 v1, v1, v13, s3 :: v_dual_cndmask_b32 v0, v0, v12, s3
	s_delay_alu instid0(VALU_DEP_2)
	v_mov_b64_e32 v[12:13], v[22:23]
; %bb.394:
	s_or_b32 exec_lo, exec_lo, s0
	v_mul_u64_e32 v[22:23], v[18:19], v[6:7]
	v_mul_u64_e32 v[24:25], v[20:21], v[6:7]
	v_mov_b64_e32 v[30:31], v[6:7]
	s_mov_b32 s5, 0
                                        ; implicit-def: $sgpr3
                                        ; implicit-def: $sgpr6
                                        ; implicit-def: $sgpr7
                                        ; implicit-def: $sgpr11
                                        ; implicit-def: $sgpr12
	s_delay_alu instid0(VALU_DEP_3) | instskip(NEXT) | instid1(VALU_DEP_3)
	v_lshl_add_u64 v[22:23], v[22:23], 1, v[8:9]
	v_lshl_add_u64 v[24:25], v[24:25], 1, v[8:9]
	s_branch .LBB1115_396
.LBB1115_395:                           ;   in Loop: Header=BB1115_396 Depth=1
	s_or_b32 exec_lo, exec_lo, s12
	s_delay_alu instid0(SALU_CYCLE_1) | instskip(NEXT) | instid1(SALU_CYCLE_1)
	s_and_b32 s0, exec_lo, s0
	s_or_b32 s5, s0, s5
	s_and_not1_b32 s0, s6, exec_lo
	s_and_b32 s6, s7, exec_lo
	s_and_not1_b32 s3, s3, exec_lo
	s_and_b32 s12, s11, exec_lo
	s_or_b32 s6, s0, s6
	s_or_b32 s3, s3, s12
	s_mov_b32 s12, s11
	s_and_not1_b32 exec_lo, exec_lo, s5
	s_cbranch_execz .LBB1115_410
.LBB1115_396:                           ; =>This Inner Loop Header: Depth=1
	flat_load_u16 v48, v[24:25]
	flat_load_u16 v49, v[22:23]
	s_or_b32 s11, s11, exec_lo
	s_mov_b32 s13, 0
	s_mov_b32 s14, exec_lo
	s_wait_loadcnt_dscnt 0x0
	v_dual_lshlrev_b32 v48, 16, v48 :: v_dual_lshlrev_b32 v49, 16, v49
	s_delay_alu instid0(VALU_DEP_1)
	v_cmpx_nlt_f32_e32 v48, v49
; %bb.397:                              ;   in Loop: Header=BB1115_396 Depth=1
	v_cmp_ngt_f32_e64 s0, v48, v49
	s_and_not1_b32 s11, s11, exec_lo
	s_and_b32 s12, s0, s12
	s_and_b32 s13, s0, exec_lo
	s_and_b32 s12, s12, exec_lo
	s_delay_alu instid0(SALU_CYCLE_1)
	s_or_b32 s11, s11, s12
; %bb.398:                              ;   in Loop: Header=BB1115_396 Depth=1
	s_or_b32 exec_lo, exec_lo, s14
	s_mov_b32 s0, -1
	s_or_b32 s7, s7, exec_lo
	s_and_saveexec_b32 s12, s13
	s_cbranch_execz .LBB1115_395
; %bb.399:                              ;   in Loop: Header=BB1115_396 Depth=1
	v_add_nc_u64_e32 v[30:31], -1, v[30:31]
	v_add_nc_u64_e32 v[22:23], 2, v[22:23]
	v_add_nc_u64_e32 v[24:25], 2, v[24:25]
	s_and_not1_b32 s7, s7, exec_lo
	s_delay_alu instid0(VALU_DEP_3)
	v_cmp_eq_u64_e64 s0, 0, v[30:31]
	s_or_not1_b32 s0, s0, exec_lo
	s_branch .LBB1115_395
.LBB1115_400:
	s_or_b32 exec_lo, exec_lo, s5
	s_and_saveexec_b32 s0, s6
	s_delay_alu instid0(SALU_CYCLE_1)
	s_xor_b32 s0, exec_lo, s0
; %bb.401:
	v_dual_cndmask_b32 v23, v17, v11, s3 :: v_dual_cndmask_b32 v22, v16, v10, s3
	v_dual_cndmask_b32 v11, v11, v17, s3 :: v_dual_cndmask_b32 v10, v10, v16, s3
	s_delay_alu instid0(VALU_DEP_2)
	v_mov_b64_e32 v[16:17], v[22:23]
; %bb.402:
	s_or_b32 exec_lo, exec_lo, s0
	s_delay_alu instid0(SALU_CYCLE_1)
	s_or_b32 exec_lo, exec_lo, s2
	s_and_saveexec_b32 s2, vcc_lo
	s_cbranch_execnz .LBB1115_378
.LBB1115_403:
	s_or_b32 exec_lo, exec_lo, s2
	s_and_saveexec_b32 s2, vcc_lo
	s_cbranch_execz .LBB1115_413
.LBB1115_404:
	v_mul_u64_e32 v[22:23], v[14:15], v[6:7]
	v_mul_u64_e32 v[24:25], v[16:17], v[6:7]
	v_mov_b64_e32 v[30:31], v[6:7]
	s_mov_b32 s5, 0
                                        ; implicit-def: $sgpr3
                                        ; implicit-def: $sgpr6
                                        ; implicit-def: $sgpr7
                                        ; implicit-def: $sgpr11
                                        ; implicit-def: $sgpr12
	s_delay_alu instid0(VALU_DEP_3) | instskip(NEXT) | instid1(VALU_DEP_3)
	v_lshl_add_u64 v[22:23], v[22:23], 1, v[8:9]
	v_lshl_add_u64 v[24:25], v[24:25], 1, v[8:9]
	s_branch .LBB1115_406
.LBB1115_405:                           ;   in Loop: Header=BB1115_406 Depth=1
	s_or_b32 exec_lo, exec_lo, s12
	s_delay_alu instid0(SALU_CYCLE_1) | instskip(NEXT) | instid1(SALU_CYCLE_1)
	s_and_b32 s0, exec_lo, s0
	s_or_b32 s5, s0, s5
	s_and_not1_b32 s0, s6, exec_lo
	s_and_b32 s6, s7, exec_lo
	s_and_not1_b32 s3, s3, exec_lo
	s_and_b32 s12, s11, exec_lo
	s_or_b32 s6, s0, s6
	s_or_b32 s3, s3, s12
	s_mov_b32 s12, s11
	s_and_not1_b32 exec_lo, exec_lo, s5
	s_cbranch_execz .LBB1115_420
.LBB1115_406:                           ; =>This Inner Loop Header: Depth=1
	flat_load_u16 v48, v[24:25]
	flat_load_u16 v49, v[22:23]
	s_or_b32 s11, s11, exec_lo
	s_mov_b32 s13, 0
	s_mov_b32 s14, exec_lo
	s_wait_loadcnt_dscnt 0x0
	v_dual_lshlrev_b32 v48, 16, v48 :: v_dual_lshlrev_b32 v49, 16, v49
	s_delay_alu instid0(VALU_DEP_1)
	v_cmpx_nlt_f32_e32 v48, v49
; %bb.407:                              ;   in Loop: Header=BB1115_406 Depth=1
	v_cmp_ngt_f32_e64 s0, v48, v49
	s_and_not1_b32 s11, s11, exec_lo
	s_and_b32 s12, s0, s12
	s_and_b32 s13, s0, exec_lo
	s_and_b32 s12, s12, exec_lo
	s_delay_alu instid0(SALU_CYCLE_1)
	s_or_b32 s11, s11, s12
; %bb.408:                              ;   in Loop: Header=BB1115_406 Depth=1
	s_or_b32 exec_lo, exec_lo, s14
	s_mov_b32 s0, -1
	s_or_b32 s7, s7, exec_lo
	s_and_saveexec_b32 s12, s13
	s_cbranch_execz .LBB1115_405
; %bb.409:                              ;   in Loop: Header=BB1115_406 Depth=1
	v_add_nc_u64_e32 v[30:31], -1, v[30:31]
	v_add_nc_u64_e32 v[22:23], 2, v[22:23]
	v_add_nc_u64_e32 v[24:25], 2, v[24:25]
	s_and_not1_b32 s7, s7, exec_lo
	s_delay_alu instid0(VALU_DEP_3)
	v_cmp_eq_u64_e64 s0, 0, v[30:31]
	s_or_not1_b32 s0, s0, exec_lo
	s_branch .LBB1115_405
.LBB1115_410:
	s_or_b32 exec_lo, exec_lo, s5
	s_and_saveexec_b32 s0, s6
	s_delay_alu instid0(SALU_CYCLE_1)
	s_xor_b32 s0, exec_lo, s0
; %bb.411:
	v_dual_cndmask_b32 v23, v21, v19, s3 :: v_dual_cndmask_b32 v22, v20, v18, s3
	v_dual_cndmask_b32 v19, v19, v21, s3 :: v_dual_cndmask_b32 v18, v18, v20, s3
	s_delay_alu instid0(VALU_DEP_2)
	v_mov_b64_e32 v[20:21], v[22:23]
; %bb.412:
	s_or_b32 exec_lo, exec_lo, s0
	s_delay_alu instid0(SALU_CYCLE_1)
	s_or_b32 exec_lo, exec_lo, s2
	s_and_saveexec_b32 s2, vcc_lo
	s_cbranch_execnz .LBB1115_404
.LBB1115_413:
	s_or_b32 exec_lo, exec_lo, s2
	s_and_saveexec_b32 s2, vcc_lo
	s_cbranch_execz .LBB1115_439
.LBB1115_414:
	v_mul_u64_e32 v[22:23], v[0:1], v[6:7]
	v_mul_u64_e32 v[24:25], v[2:3], v[6:7]
	v_mov_b64_e32 v[30:31], v[6:7]
	s_mov_b32 s5, 0
                                        ; implicit-def: $sgpr3
                                        ; implicit-def: $sgpr6
                                        ; implicit-def: $sgpr7
                                        ; implicit-def: $sgpr11
                                        ; implicit-def: $sgpr12
	s_delay_alu instid0(VALU_DEP_3) | instskip(NEXT) | instid1(VALU_DEP_3)
	v_lshl_add_u64 v[22:23], v[22:23], 1, v[8:9]
	v_lshl_add_u64 v[24:25], v[24:25], 1, v[8:9]
	s_branch .LBB1115_416
.LBB1115_415:                           ;   in Loop: Header=BB1115_416 Depth=1
	s_or_b32 exec_lo, exec_lo, s12
	s_delay_alu instid0(SALU_CYCLE_1) | instskip(NEXT) | instid1(SALU_CYCLE_1)
	s_and_b32 s0, exec_lo, s0
	s_or_b32 s5, s0, s5
	s_and_not1_b32 s0, s6, exec_lo
	s_and_b32 s6, s7, exec_lo
	s_and_not1_b32 s3, s3, exec_lo
	s_and_b32 s12, s11, exec_lo
	s_or_b32 s6, s0, s6
	s_or_b32 s3, s3, s12
	s_mov_b32 s12, s11
	s_and_not1_b32 exec_lo, exec_lo, s5
	s_cbranch_execz .LBB1115_428
.LBB1115_416:                           ; =>This Inner Loop Header: Depth=1
	flat_load_u16 v48, v[24:25]
	flat_load_u16 v49, v[22:23]
	s_or_b32 s11, s11, exec_lo
	s_mov_b32 s13, 0
	s_mov_b32 s14, exec_lo
	s_wait_loadcnt_dscnt 0x0
	v_dual_lshlrev_b32 v48, 16, v48 :: v_dual_lshlrev_b32 v49, 16, v49
	s_delay_alu instid0(VALU_DEP_1)
	v_cmpx_nlt_f32_e32 v48, v49
; %bb.417:                              ;   in Loop: Header=BB1115_416 Depth=1
	v_cmp_ngt_f32_e64 s0, v48, v49
	s_and_not1_b32 s11, s11, exec_lo
	s_and_b32 s12, s0, s12
	s_and_b32 s13, s0, exec_lo
	s_and_b32 s12, s12, exec_lo
	s_delay_alu instid0(SALU_CYCLE_1)
	s_or_b32 s11, s11, s12
; %bb.418:                              ;   in Loop: Header=BB1115_416 Depth=1
	s_or_b32 exec_lo, exec_lo, s14
	s_mov_b32 s0, -1
	s_or_b32 s7, s7, exec_lo
	s_and_saveexec_b32 s12, s13
	s_cbranch_execz .LBB1115_415
; %bb.419:                              ;   in Loop: Header=BB1115_416 Depth=1
	v_add_nc_u64_e32 v[30:31], -1, v[30:31]
	v_add_nc_u64_e32 v[22:23], 2, v[22:23]
	v_add_nc_u64_e32 v[24:25], 2, v[24:25]
	s_and_not1_b32 s7, s7, exec_lo
	s_delay_alu instid0(VALU_DEP_3)
	v_cmp_eq_u64_e64 s0, 0, v[30:31]
	s_or_not1_b32 s0, s0, exec_lo
	s_branch .LBB1115_415
.LBB1115_420:
	s_or_b32 exec_lo, exec_lo, s5
	s_and_saveexec_b32 s0, s6
	s_delay_alu instid0(SALU_CYCLE_1)
	s_xor_b32 s0, exec_lo, s0
; %bb.421:
	v_dual_cndmask_b32 v23, v15, v17, s3 :: v_dual_cndmask_b32 v22, v14, v16, s3
	v_dual_cndmask_b32 v17, v17, v15, s3 :: v_dual_cndmask_b32 v16, v16, v14, s3
	s_delay_alu instid0(VALU_DEP_2)
	v_mov_b64_e32 v[14:15], v[22:23]
; %bb.422:
	s_or_b32 exec_lo, exec_lo, s0
	v_mul_u64_e32 v[22:23], v[10:11], v[6:7]
	v_mul_u64_e32 v[24:25], v[12:13], v[6:7]
	v_mov_b64_e32 v[30:31], v[6:7]
	s_mov_b32 s5, 0
                                        ; implicit-def: $sgpr3
                                        ; implicit-def: $sgpr6
                                        ; implicit-def: $sgpr7
                                        ; implicit-def: $sgpr11
                                        ; implicit-def: $sgpr12
	s_delay_alu instid0(VALU_DEP_3) | instskip(NEXT) | instid1(VALU_DEP_3)
	v_lshl_add_u64 v[22:23], v[22:23], 1, v[8:9]
	v_lshl_add_u64 v[24:25], v[24:25], 1, v[8:9]
	s_branch .LBB1115_424
.LBB1115_423:                           ;   in Loop: Header=BB1115_424 Depth=1
	s_or_b32 exec_lo, exec_lo, s12
	s_delay_alu instid0(SALU_CYCLE_1) | instskip(NEXT) | instid1(SALU_CYCLE_1)
	s_and_b32 s0, exec_lo, s0
	s_or_b32 s5, s0, s5
	s_and_not1_b32 s0, s6, exec_lo
	s_and_b32 s6, s7, exec_lo
	s_and_not1_b32 s3, s3, exec_lo
	s_and_b32 s12, s11, exec_lo
	s_or_b32 s6, s0, s6
	s_or_b32 s3, s3, s12
	s_mov_b32 s12, s11
	s_and_not1_b32 exec_lo, exec_lo, s5
	s_cbranch_execz .LBB1115_436
.LBB1115_424:                           ; =>This Inner Loop Header: Depth=1
	flat_load_u16 v48, v[24:25]
	flat_load_u16 v49, v[22:23]
	s_or_b32 s11, s11, exec_lo
	s_mov_b32 s13, 0
	s_mov_b32 s14, exec_lo
	s_wait_loadcnt_dscnt 0x0
	v_dual_lshlrev_b32 v48, 16, v48 :: v_dual_lshlrev_b32 v49, 16, v49
	s_delay_alu instid0(VALU_DEP_1)
	v_cmpx_nlt_f32_e32 v48, v49
; %bb.425:                              ;   in Loop: Header=BB1115_424 Depth=1
	v_cmp_ngt_f32_e64 s0, v48, v49
	s_and_not1_b32 s11, s11, exec_lo
	s_and_b32 s12, s0, s12
	s_and_b32 s13, s0, exec_lo
	s_and_b32 s12, s12, exec_lo
	s_delay_alu instid0(SALU_CYCLE_1)
	s_or_b32 s11, s11, s12
; %bb.426:                              ;   in Loop: Header=BB1115_424 Depth=1
	s_or_b32 exec_lo, exec_lo, s14
	s_mov_b32 s0, -1
	s_or_b32 s7, s7, exec_lo
	s_and_saveexec_b32 s12, s13
	s_cbranch_execz .LBB1115_423
; %bb.427:                              ;   in Loop: Header=BB1115_424 Depth=1
	v_add_nc_u64_e32 v[30:31], -1, v[30:31]
	v_add_nc_u64_e32 v[22:23], 2, v[22:23]
	v_add_nc_u64_e32 v[24:25], 2, v[24:25]
	s_and_not1_b32 s7, s7, exec_lo
	s_delay_alu instid0(VALU_DEP_3)
	v_cmp_eq_u64_e64 s0, 0, v[30:31]
	s_or_not1_b32 s0, s0, exec_lo
	s_branch .LBB1115_423
.LBB1115_428:
	s_or_b32 exec_lo, exec_lo, s5
	s_and_saveexec_b32 s0, s6
	s_delay_alu instid0(SALU_CYCLE_1)
	s_xor_b32 s0, exec_lo, s0
; %bb.429:
	v_dual_cndmask_b32 v23, v1, v3, s3 :: v_dual_cndmask_b32 v22, v0, v2, s3
	v_dual_cndmask_b32 v3, v3, v1, s3 :: v_dual_cndmask_b32 v2, v2, v0, s3
	s_delay_alu instid0(VALU_DEP_2)
	v_mov_b64_e32 v[0:1], v[22:23]
; %bb.430:
	s_or_b32 exec_lo, exec_lo, s0
	v_mul_u64_e32 v[22:23], v[20:21], v[6:7]
	v_mul_u64_e32 v[24:25], v[14:15], v[6:7]
	v_mov_b64_e32 v[30:31], v[6:7]
	s_mov_b32 s5, 0
                                        ; implicit-def: $sgpr3
                                        ; implicit-def: $sgpr6
                                        ; implicit-def: $sgpr7
                                        ; implicit-def: $sgpr11
                                        ; implicit-def: $sgpr12
	s_delay_alu instid0(VALU_DEP_3) | instskip(NEXT) | instid1(VALU_DEP_3)
	v_lshl_add_u64 v[22:23], v[22:23], 1, v[8:9]
	v_lshl_add_u64 v[24:25], v[24:25], 1, v[8:9]
	s_branch .LBB1115_432
.LBB1115_431:                           ;   in Loop: Header=BB1115_432 Depth=1
	s_or_b32 exec_lo, exec_lo, s12
	s_delay_alu instid0(SALU_CYCLE_1) | instskip(NEXT) | instid1(SALU_CYCLE_1)
	s_and_b32 s0, exec_lo, s0
	s_or_b32 s5, s0, s5
	s_and_not1_b32 s0, s6, exec_lo
	s_and_b32 s6, s7, exec_lo
	s_and_not1_b32 s3, s3, exec_lo
	s_and_b32 s12, s11, exec_lo
	s_or_b32 s6, s0, s6
	s_or_b32 s3, s3, s12
	s_mov_b32 s12, s11
	s_and_not1_b32 exec_lo, exec_lo, s5
	s_cbranch_execz .LBB1115_446
.LBB1115_432:                           ; =>This Inner Loop Header: Depth=1
	flat_load_u16 v48, v[24:25]
	flat_load_u16 v49, v[22:23]
	s_or_b32 s11, s11, exec_lo
	s_mov_b32 s13, 0
	s_mov_b32 s14, exec_lo
	s_wait_loadcnt_dscnt 0x0
	v_dual_lshlrev_b32 v48, 16, v48 :: v_dual_lshlrev_b32 v49, 16, v49
	s_delay_alu instid0(VALU_DEP_1)
	v_cmpx_nlt_f32_e32 v48, v49
; %bb.433:                              ;   in Loop: Header=BB1115_432 Depth=1
	v_cmp_ngt_f32_e64 s0, v48, v49
	s_and_not1_b32 s11, s11, exec_lo
	s_and_b32 s12, s0, s12
	s_and_b32 s13, s0, exec_lo
	s_and_b32 s12, s12, exec_lo
	s_delay_alu instid0(SALU_CYCLE_1)
	s_or_b32 s11, s11, s12
; %bb.434:                              ;   in Loop: Header=BB1115_432 Depth=1
	s_or_b32 exec_lo, exec_lo, s14
	s_mov_b32 s0, -1
	s_or_b32 s7, s7, exec_lo
	s_and_saveexec_b32 s12, s13
	s_cbranch_execz .LBB1115_431
; %bb.435:                              ;   in Loop: Header=BB1115_432 Depth=1
	v_add_nc_u64_e32 v[30:31], -1, v[30:31]
	v_add_nc_u64_e32 v[22:23], 2, v[22:23]
	v_add_nc_u64_e32 v[24:25], 2, v[24:25]
	s_and_not1_b32 s7, s7, exec_lo
	s_delay_alu instid0(VALU_DEP_3)
	v_cmp_eq_u64_e64 s0, 0, v[30:31]
	s_or_not1_b32 s0, s0, exec_lo
	s_branch .LBB1115_431
.LBB1115_436:
	s_or_b32 exec_lo, exec_lo, s5
	s_and_saveexec_b32 s0, s6
	s_delay_alu instid0(SALU_CYCLE_1)
	s_xor_b32 s0, exec_lo, s0
; %bb.437:
	v_dual_cndmask_b32 v23, v11, v13, s3 :: v_dual_cndmask_b32 v22, v10, v12, s3
	v_dual_cndmask_b32 v13, v13, v11, s3 :: v_dual_cndmask_b32 v12, v12, v10, s3
	s_delay_alu instid0(VALU_DEP_2)
	v_mov_b64_e32 v[10:11], v[22:23]
; %bb.438:
	s_or_b32 exec_lo, exec_lo, s0
	s_delay_alu instid0(SALU_CYCLE_1)
	s_or_b32 exec_lo, exec_lo, s2
	s_and_saveexec_b32 s2, vcc_lo
	s_cbranch_execnz .LBB1115_414
.LBB1115_439:
	s_or_b32 exec_lo, exec_lo, s2
	s_and_saveexec_b32 s2, vcc_lo
	s_cbranch_execz .LBB1115_449
.LBB1115_440:
	v_mul_u64_e32 v[22:23], v[16:17], v[6:7]
	v_mul_u64_e32 v[24:25], v[10:11], v[6:7]
	v_mov_b64_e32 v[30:31], v[6:7]
	s_mov_b32 s5, 0
                                        ; implicit-def: $sgpr3
                                        ; implicit-def: $sgpr6
                                        ; implicit-def: $sgpr7
                                        ; implicit-def: $sgpr11
                                        ; implicit-def: $sgpr12
	s_delay_alu instid0(VALU_DEP_3) | instskip(NEXT) | instid1(VALU_DEP_3)
	v_lshl_add_u64 v[22:23], v[22:23], 1, v[8:9]
	v_lshl_add_u64 v[24:25], v[24:25], 1, v[8:9]
	s_branch .LBB1115_442
.LBB1115_441:                           ;   in Loop: Header=BB1115_442 Depth=1
	s_or_b32 exec_lo, exec_lo, s12
	s_delay_alu instid0(SALU_CYCLE_1) | instskip(NEXT) | instid1(SALU_CYCLE_1)
	s_and_b32 s0, exec_lo, s0
	s_or_b32 s5, s0, s5
	s_and_not1_b32 s0, s6, exec_lo
	s_and_b32 s6, s7, exec_lo
	s_and_not1_b32 s3, s3, exec_lo
	s_and_b32 s12, s11, exec_lo
	s_or_b32 s6, s0, s6
	s_or_b32 s3, s3, s12
	s_mov_b32 s12, s11
	s_and_not1_b32 exec_lo, exec_lo, s5
	s_cbranch_execz .LBB1115_456
.LBB1115_442:                           ; =>This Inner Loop Header: Depth=1
	flat_load_u16 v48, v[24:25]
	flat_load_u16 v49, v[22:23]
	s_or_b32 s11, s11, exec_lo
	s_mov_b32 s13, 0
	s_mov_b32 s14, exec_lo
	s_wait_loadcnt_dscnt 0x0
	v_dual_lshlrev_b32 v48, 16, v48 :: v_dual_lshlrev_b32 v49, 16, v49
	s_delay_alu instid0(VALU_DEP_1)
	v_cmpx_nlt_f32_e32 v48, v49
; %bb.443:                              ;   in Loop: Header=BB1115_442 Depth=1
	v_cmp_ngt_f32_e64 s0, v48, v49
	s_and_not1_b32 s11, s11, exec_lo
	s_and_b32 s12, s0, s12
	s_and_b32 s13, s0, exec_lo
	s_and_b32 s12, s12, exec_lo
	s_delay_alu instid0(SALU_CYCLE_1)
	s_or_b32 s11, s11, s12
; %bb.444:                              ;   in Loop: Header=BB1115_442 Depth=1
	s_or_b32 exec_lo, exec_lo, s14
	s_mov_b32 s0, -1
	s_or_b32 s7, s7, exec_lo
	s_and_saveexec_b32 s12, s13
	s_cbranch_execz .LBB1115_441
; %bb.445:                              ;   in Loop: Header=BB1115_442 Depth=1
	v_add_nc_u64_e32 v[30:31], -1, v[30:31]
	v_add_nc_u64_e32 v[22:23], 2, v[22:23]
	v_add_nc_u64_e32 v[24:25], 2, v[24:25]
	s_and_not1_b32 s7, s7, exec_lo
	s_delay_alu instid0(VALU_DEP_3)
	v_cmp_eq_u64_e64 s0, 0, v[30:31]
	s_or_not1_b32 s0, s0, exec_lo
	s_branch .LBB1115_441
.LBB1115_446:
	s_or_b32 exec_lo, exec_lo, s5
	s_and_saveexec_b32 s0, s6
	s_delay_alu instid0(SALU_CYCLE_1)
	s_xor_b32 s0, exec_lo, s0
; %bb.447:
	v_dual_cndmask_b32 v23, v21, v15, s3 :: v_dual_cndmask_b32 v22, v20, v14, s3
	v_dual_cndmask_b32 v15, v15, v21, s3 :: v_dual_cndmask_b32 v14, v14, v20, s3
	s_delay_alu instid0(VALU_DEP_2)
	v_mov_b64_e32 v[20:21], v[22:23]
; %bb.448:
	s_or_b32 exec_lo, exec_lo, s0
	s_delay_alu instid0(SALU_CYCLE_1)
	s_or_b32 exec_lo, exec_lo, s2
	s_and_saveexec_b32 s2, vcc_lo
	s_cbranch_execnz .LBB1115_440
.LBB1115_449:
	s_or_b32 exec_lo, exec_lo, s2
	s_and_saveexec_b32 s2, vcc_lo
	s_cbranch_execz .LBB1115_475
.LBB1115_450:
	v_mul_u64_e32 v[22:23], v[18:19], v[6:7]
	v_mul_u64_e32 v[24:25], v[20:21], v[6:7]
	v_mov_b64_e32 v[30:31], v[6:7]
	s_mov_b32 s5, 0
                                        ; implicit-def: $sgpr3
                                        ; implicit-def: $sgpr6
                                        ; implicit-def: $sgpr7
                                        ; implicit-def: $sgpr11
                                        ; implicit-def: $sgpr12
	s_delay_alu instid0(VALU_DEP_3) | instskip(NEXT) | instid1(VALU_DEP_3)
	v_lshl_add_u64 v[22:23], v[22:23], 1, v[8:9]
	v_lshl_add_u64 v[24:25], v[24:25], 1, v[8:9]
	s_branch .LBB1115_452
.LBB1115_451:                           ;   in Loop: Header=BB1115_452 Depth=1
	s_or_b32 exec_lo, exec_lo, s12
	s_delay_alu instid0(SALU_CYCLE_1) | instskip(NEXT) | instid1(SALU_CYCLE_1)
	s_and_b32 s0, exec_lo, s0
	s_or_b32 s5, s0, s5
	s_and_not1_b32 s0, s6, exec_lo
	s_and_b32 s6, s7, exec_lo
	s_and_not1_b32 s3, s3, exec_lo
	s_and_b32 s12, s11, exec_lo
	s_or_b32 s6, s0, s6
	s_or_b32 s3, s3, s12
	s_mov_b32 s12, s11
	s_and_not1_b32 exec_lo, exec_lo, s5
	s_cbranch_execz .LBB1115_464
.LBB1115_452:                           ; =>This Inner Loop Header: Depth=1
	flat_load_u16 v48, v[24:25]
	flat_load_u16 v49, v[22:23]
	s_or_b32 s11, s11, exec_lo
	s_mov_b32 s13, 0
	s_mov_b32 s14, exec_lo
	s_wait_loadcnt_dscnt 0x0
	v_dual_lshlrev_b32 v48, 16, v48 :: v_dual_lshlrev_b32 v49, 16, v49
	s_delay_alu instid0(VALU_DEP_1)
	v_cmpx_nlt_f32_e32 v48, v49
; %bb.453:                              ;   in Loop: Header=BB1115_452 Depth=1
	v_cmp_ngt_f32_e64 s0, v48, v49
	s_and_not1_b32 s11, s11, exec_lo
	s_and_b32 s12, s0, s12
	s_and_b32 s13, s0, exec_lo
	s_and_b32 s12, s12, exec_lo
	s_delay_alu instid0(SALU_CYCLE_1)
	s_or_b32 s11, s11, s12
; %bb.454:                              ;   in Loop: Header=BB1115_452 Depth=1
	s_or_b32 exec_lo, exec_lo, s14
	s_mov_b32 s0, -1
	s_or_b32 s7, s7, exec_lo
	s_and_saveexec_b32 s12, s13
	s_cbranch_execz .LBB1115_451
; %bb.455:                              ;   in Loop: Header=BB1115_452 Depth=1
	v_add_nc_u64_e32 v[30:31], -1, v[30:31]
	v_add_nc_u64_e32 v[22:23], 2, v[22:23]
	v_add_nc_u64_e32 v[24:25], 2, v[24:25]
	s_and_not1_b32 s7, s7, exec_lo
	s_delay_alu instid0(VALU_DEP_3)
	v_cmp_eq_u64_e64 s0, 0, v[30:31]
	s_or_not1_b32 s0, s0, exec_lo
	s_branch .LBB1115_451
.LBB1115_456:
	s_or_b32 exec_lo, exec_lo, s5
	s_and_saveexec_b32 s0, s6
	s_delay_alu instid0(SALU_CYCLE_1)
	s_xor_b32 s0, exec_lo, s0
; %bb.457:
	v_dual_cndmask_b32 v23, v17, v11, s3 :: v_dual_cndmask_b32 v22, v16, v10, s3
	v_dual_cndmask_b32 v11, v11, v17, s3 :: v_dual_cndmask_b32 v10, v10, v16, s3
	s_delay_alu instid0(VALU_DEP_2)
	v_mov_b64_e32 v[16:17], v[22:23]
; %bb.458:
	s_or_b32 exec_lo, exec_lo, s0
	v_mul_u64_e32 v[22:23], v[12:13], v[6:7]
	v_mul_u64_e32 v[24:25], v[0:1], v[6:7]
	v_mov_b64_e32 v[30:31], v[6:7]
	s_mov_b32 s5, 0
                                        ; implicit-def: $sgpr3
                                        ; implicit-def: $sgpr6
                                        ; implicit-def: $sgpr7
                                        ; implicit-def: $sgpr11
                                        ; implicit-def: $sgpr12
	s_delay_alu instid0(VALU_DEP_3) | instskip(NEXT) | instid1(VALU_DEP_3)
	v_lshl_add_u64 v[22:23], v[22:23], 1, v[8:9]
	v_lshl_add_u64 v[24:25], v[24:25], 1, v[8:9]
	s_branch .LBB1115_460
.LBB1115_459:                           ;   in Loop: Header=BB1115_460 Depth=1
	s_or_b32 exec_lo, exec_lo, s12
	s_delay_alu instid0(SALU_CYCLE_1) | instskip(NEXT) | instid1(SALU_CYCLE_1)
	s_and_b32 s0, exec_lo, s0
	s_or_b32 s5, s0, s5
	s_and_not1_b32 s0, s6, exec_lo
	s_and_b32 s6, s7, exec_lo
	s_and_not1_b32 s3, s3, exec_lo
	s_and_b32 s12, s11, exec_lo
	s_or_b32 s6, s0, s6
	s_or_b32 s3, s3, s12
	s_mov_b32 s12, s11
	s_and_not1_b32 exec_lo, exec_lo, s5
	s_cbranch_execz .LBB1115_472
.LBB1115_460:                           ; =>This Inner Loop Header: Depth=1
	flat_load_u16 v48, v[24:25]
	flat_load_u16 v49, v[22:23]
	s_or_b32 s11, s11, exec_lo
	s_mov_b32 s13, 0
	s_mov_b32 s14, exec_lo
	s_wait_loadcnt_dscnt 0x0
	v_dual_lshlrev_b32 v48, 16, v48 :: v_dual_lshlrev_b32 v49, 16, v49
	s_delay_alu instid0(VALU_DEP_1)
	v_cmpx_nlt_f32_e32 v48, v49
; %bb.461:                              ;   in Loop: Header=BB1115_460 Depth=1
	v_cmp_ngt_f32_e64 s0, v48, v49
	s_and_not1_b32 s11, s11, exec_lo
	s_and_b32 s12, s0, s12
	s_and_b32 s13, s0, exec_lo
	s_and_b32 s12, s12, exec_lo
	s_delay_alu instid0(SALU_CYCLE_1)
	s_or_b32 s11, s11, s12
; %bb.462:                              ;   in Loop: Header=BB1115_460 Depth=1
	s_or_b32 exec_lo, exec_lo, s14
	s_mov_b32 s0, -1
	s_or_b32 s7, s7, exec_lo
	s_and_saveexec_b32 s12, s13
	s_cbranch_execz .LBB1115_459
; %bb.463:                              ;   in Loop: Header=BB1115_460 Depth=1
	v_add_nc_u64_e32 v[30:31], -1, v[30:31]
	v_add_nc_u64_e32 v[22:23], 2, v[22:23]
	v_add_nc_u64_e32 v[24:25], 2, v[24:25]
	s_and_not1_b32 s7, s7, exec_lo
	s_delay_alu instid0(VALU_DEP_3)
	v_cmp_eq_u64_e64 s0, 0, v[30:31]
	s_or_not1_b32 s0, s0, exec_lo
	s_branch .LBB1115_459
.LBB1115_464:
	s_or_b32 exec_lo, exec_lo, s5
	s_and_saveexec_b32 s0, s6
	s_delay_alu instid0(SALU_CYCLE_1)
	s_xor_b32 s0, exec_lo, s0
; %bb.465:
	v_dual_cndmask_b32 v23, v21, v19, s3 :: v_dual_cndmask_b32 v22, v20, v18, s3
	v_dual_cndmask_b32 v19, v19, v21, s3 :: v_dual_cndmask_b32 v18, v18, v20, s3
	s_delay_alu instid0(VALU_DEP_2)
	v_mov_b64_e32 v[20:21], v[22:23]
; %bb.466:
	s_or_b32 exec_lo, exec_lo, s0
	v_mul_u64_e32 v[22:23], v[14:15], v[6:7]
	v_mul_u64_e32 v[24:25], v[16:17], v[6:7]
	v_mov_b64_e32 v[30:31], v[6:7]
	s_mov_b32 s5, 0
                                        ; implicit-def: $sgpr3
                                        ; implicit-def: $sgpr6
                                        ; implicit-def: $sgpr7
                                        ; implicit-def: $sgpr11
                                        ; implicit-def: $sgpr12
	s_delay_alu instid0(VALU_DEP_3) | instskip(NEXT) | instid1(VALU_DEP_3)
	v_lshl_add_u64 v[22:23], v[22:23], 1, v[8:9]
	v_lshl_add_u64 v[24:25], v[24:25], 1, v[8:9]
	s_branch .LBB1115_468
.LBB1115_467:                           ;   in Loop: Header=BB1115_468 Depth=1
	s_or_b32 exec_lo, exec_lo, s12
	s_delay_alu instid0(SALU_CYCLE_1) | instskip(NEXT) | instid1(SALU_CYCLE_1)
	s_and_b32 s0, exec_lo, s0
	s_or_b32 s5, s0, s5
	s_and_not1_b32 s0, s6, exec_lo
	s_and_b32 s6, s7, exec_lo
	s_and_not1_b32 s3, s3, exec_lo
	s_and_b32 s12, s11, exec_lo
	s_or_b32 s6, s0, s6
	s_or_b32 s3, s3, s12
	s_mov_b32 s12, s11
	s_and_not1_b32 exec_lo, exec_lo, s5
	s_cbranch_execz .LBB1115_482
.LBB1115_468:                           ; =>This Inner Loop Header: Depth=1
	flat_load_u16 v48, v[24:25]
	flat_load_u16 v49, v[22:23]
	s_or_b32 s11, s11, exec_lo
	s_mov_b32 s13, 0
	s_mov_b32 s14, exec_lo
	s_wait_loadcnt_dscnt 0x0
	v_dual_lshlrev_b32 v48, 16, v48 :: v_dual_lshlrev_b32 v49, 16, v49
	s_delay_alu instid0(VALU_DEP_1)
	v_cmpx_nlt_f32_e32 v48, v49
; %bb.469:                              ;   in Loop: Header=BB1115_468 Depth=1
	v_cmp_ngt_f32_e64 s0, v48, v49
	s_and_not1_b32 s11, s11, exec_lo
	s_and_b32 s12, s0, s12
	s_and_b32 s13, s0, exec_lo
	s_and_b32 s12, s12, exec_lo
	s_delay_alu instid0(SALU_CYCLE_1)
	s_or_b32 s11, s11, s12
; %bb.470:                              ;   in Loop: Header=BB1115_468 Depth=1
	s_or_b32 exec_lo, exec_lo, s14
	s_mov_b32 s0, -1
	s_or_b32 s7, s7, exec_lo
	s_and_saveexec_b32 s12, s13
	s_cbranch_execz .LBB1115_467
; %bb.471:                              ;   in Loop: Header=BB1115_468 Depth=1
	v_add_nc_u64_e32 v[30:31], -1, v[30:31]
	v_add_nc_u64_e32 v[22:23], 2, v[22:23]
	v_add_nc_u64_e32 v[24:25], 2, v[24:25]
	s_and_not1_b32 s7, s7, exec_lo
	s_delay_alu instid0(VALU_DEP_3)
	v_cmp_eq_u64_e64 s0, 0, v[30:31]
	s_or_not1_b32 s0, s0, exec_lo
	s_branch .LBB1115_467
.LBB1115_472:
	s_or_b32 exec_lo, exec_lo, s5
	s_and_saveexec_b32 s0, s6
	s_delay_alu instid0(SALU_CYCLE_1)
	s_xor_b32 s0, exec_lo, s0
; %bb.473:
	v_dual_cndmask_b32 v23, v13, v1, s3 :: v_dual_cndmask_b32 v22, v12, v0, s3
	v_dual_cndmask_b32 v1, v1, v13, s3 :: v_dual_cndmask_b32 v0, v0, v12, s3
	s_delay_alu instid0(VALU_DEP_2)
	v_mov_b64_e32 v[12:13], v[22:23]
; %bb.474:
	s_or_b32 exec_lo, exec_lo, s0
	s_delay_alu instid0(SALU_CYCLE_1)
	s_or_b32 exec_lo, exec_lo, s2
	s_and_saveexec_b32 s2, vcc_lo
	s_cbranch_execnz .LBB1115_450
.LBB1115_475:
	s_or_b32 exec_lo, exec_lo, s2
	s_and_saveexec_b32 s2, vcc_lo
	s_cbranch_execz .LBB1115_485
.LBB1115_476:
	v_mul_u64_e32 v[22:23], v[10:11], v[6:7]
	v_mul_u64_e32 v[24:25], v[12:13], v[6:7]
	v_mov_b64_e32 v[30:31], v[6:7]
	s_mov_b32 s5, 0
                                        ; implicit-def: $sgpr3
                                        ; implicit-def: $sgpr6
                                        ; implicit-def: $sgpr7
                                        ; implicit-def: $sgpr11
                                        ; implicit-def: $sgpr12
	s_delay_alu instid0(VALU_DEP_3) | instskip(NEXT) | instid1(VALU_DEP_3)
	v_lshl_add_u64 v[22:23], v[22:23], 1, v[8:9]
	v_lshl_add_u64 v[24:25], v[24:25], 1, v[8:9]
	s_branch .LBB1115_478
.LBB1115_477:                           ;   in Loop: Header=BB1115_478 Depth=1
	s_or_b32 exec_lo, exec_lo, s12
	s_delay_alu instid0(SALU_CYCLE_1) | instskip(NEXT) | instid1(SALU_CYCLE_1)
	s_and_b32 s0, exec_lo, s0
	s_or_b32 s5, s0, s5
	s_and_not1_b32 s0, s6, exec_lo
	s_and_b32 s6, s7, exec_lo
	s_and_not1_b32 s3, s3, exec_lo
	s_and_b32 s12, s11, exec_lo
	s_or_b32 s6, s0, s6
	s_or_b32 s3, s3, s12
	s_mov_b32 s12, s11
	s_and_not1_b32 exec_lo, exec_lo, s5
	s_cbranch_execz .LBB1115_492
.LBB1115_478:                           ; =>This Inner Loop Header: Depth=1
	flat_load_u16 v48, v[24:25]
	flat_load_u16 v49, v[22:23]
	s_or_b32 s11, s11, exec_lo
	s_mov_b32 s13, 0
	s_mov_b32 s14, exec_lo
	s_wait_loadcnt_dscnt 0x0
	v_dual_lshlrev_b32 v48, 16, v48 :: v_dual_lshlrev_b32 v49, 16, v49
	s_delay_alu instid0(VALU_DEP_1)
	v_cmpx_nlt_f32_e32 v48, v49
; %bb.479:                              ;   in Loop: Header=BB1115_478 Depth=1
	v_cmp_ngt_f32_e64 s0, v48, v49
	s_and_not1_b32 s11, s11, exec_lo
	s_and_b32 s12, s0, s12
	s_and_b32 s13, s0, exec_lo
	s_and_b32 s12, s12, exec_lo
	s_delay_alu instid0(SALU_CYCLE_1)
	s_or_b32 s11, s11, s12
; %bb.480:                              ;   in Loop: Header=BB1115_478 Depth=1
	s_or_b32 exec_lo, exec_lo, s14
	s_mov_b32 s0, -1
	s_or_b32 s7, s7, exec_lo
	s_and_saveexec_b32 s12, s13
	s_cbranch_execz .LBB1115_477
; %bb.481:                              ;   in Loop: Header=BB1115_478 Depth=1
	v_add_nc_u64_e32 v[30:31], -1, v[30:31]
	v_add_nc_u64_e32 v[22:23], 2, v[22:23]
	v_add_nc_u64_e32 v[24:25], 2, v[24:25]
	s_and_not1_b32 s7, s7, exec_lo
	s_delay_alu instid0(VALU_DEP_3)
	v_cmp_eq_u64_e64 s0, 0, v[30:31]
	s_or_not1_b32 s0, s0, exec_lo
	s_branch .LBB1115_477
.LBB1115_482:
	s_or_b32 exec_lo, exec_lo, s5
	s_and_saveexec_b32 s0, s6
	s_delay_alu instid0(SALU_CYCLE_1)
	s_xor_b32 s0, exec_lo, s0
; %bb.483:
	v_dual_cndmask_b32 v23, v15, v17, s3 :: v_dual_cndmask_b32 v22, v14, v16, s3
	v_dual_cndmask_b32 v17, v17, v15, s3 :: v_dual_cndmask_b32 v16, v16, v14, s3
	s_delay_alu instid0(VALU_DEP_2)
	v_mov_b64_e32 v[14:15], v[22:23]
; %bb.484:
	s_or_b32 exec_lo, exec_lo, s0
	s_delay_alu instid0(SALU_CYCLE_1)
	s_or_b32 exec_lo, exec_lo, s2
	s_and_saveexec_b32 s2, vcc_lo
	s_cbranch_execnz .LBB1115_476
.LBB1115_485:
	s_or_b32 exec_lo, exec_lo, s2
	s_and_saveexec_b32 s2, vcc_lo
	s_cbranch_execz .LBB1115_511
.LBB1115_486:
	v_mul_u64_e32 v[22:23], v[20:21], v[6:7]
	v_mul_u64_e32 v[24:25], v[14:15], v[6:7]
	v_mov_b64_e32 v[30:31], v[6:7]
	s_mov_b32 s5, 0
                                        ; implicit-def: $sgpr3
                                        ; implicit-def: $sgpr6
                                        ; implicit-def: $sgpr7
                                        ; implicit-def: $sgpr11
                                        ; implicit-def: $sgpr12
	s_delay_alu instid0(VALU_DEP_3) | instskip(NEXT) | instid1(VALU_DEP_3)
	v_lshl_add_u64 v[22:23], v[22:23], 1, v[8:9]
	v_lshl_add_u64 v[24:25], v[24:25], 1, v[8:9]
	s_branch .LBB1115_488
.LBB1115_487:                           ;   in Loop: Header=BB1115_488 Depth=1
	s_or_b32 exec_lo, exec_lo, s12
	s_delay_alu instid0(SALU_CYCLE_1) | instskip(NEXT) | instid1(SALU_CYCLE_1)
	s_and_b32 s0, exec_lo, s0
	s_or_b32 s5, s0, s5
	s_and_not1_b32 s0, s6, exec_lo
	s_and_b32 s6, s7, exec_lo
	s_and_not1_b32 s3, s3, exec_lo
	s_and_b32 s12, s11, exec_lo
	s_or_b32 s6, s0, s6
	s_or_b32 s3, s3, s12
	s_mov_b32 s12, s11
	s_and_not1_b32 exec_lo, exec_lo, s5
	s_cbranch_execz .LBB1115_500
.LBB1115_488:                           ; =>This Inner Loop Header: Depth=1
	flat_load_u16 v48, v[24:25]
	flat_load_u16 v49, v[22:23]
	s_or_b32 s11, s11, exec_lo
	s_mov_b32 s13, 0
	s_mov_b32 s14, exec_lo
	s_wait_loadcnt_dscnt 0x0
	v_dual_lshlrev_b32 v48, 16, v48 :: v_dual_lshlrev_b32 v49, 16, v49
	s_delay_alu instid0(VALU_DEP_1)
	v_cmpx_nlt_f32_e32 v48, v49
; %bb.489:                              ;   in Loop: Header=BB1115_488 Depth=1
	v_cmp_ngt_f32_e64 s0, v48, v49
	s_and_not1_b32 s11, s11, exec_lo
	s_and_b32 s12, s0, s12
	s_and_b32 s13, s0, exec_lo
	s_and_b32 s12, s12, exec_lo
	s_delay_alu instid0(SALU_CYCLE_1)
	s_or_b32 s11, s11, s12
; %bb.490:                              ;   in Loop: Header=BB1115_488 Depth=1
	s_or_b32 exec_lo, exec_lo, s14
	s_mov_b32 s0, -1
	s_or_b32 s7, s7, exec_lo
	s_and_saveexec_b32 s12, s13
	s_cbranch_execz .LBB1115_487
; %bb.491:                              ;   in Loop: Header=BB1115_488 Depth=1
	v_add_nc_u64_e32 v[30:31], -1, v[30:31]
	v_add_nc_u64_e32 v[22:23], 2, v[22:23]
	v_add_nc_u64_e32 v[24:25], 2, v[24:25]
	s_and_not1_b32 s7, s7, exec_lo
	s_delay_alu instid0(VALU_DEP_3)
	v_cmp_eq_u64_e64 s0, 0, v[30:31]
	s_or_not1_b32 s0, s0, exec_lo
	s_branch .LBB1115_487
.LBB1115_492:
	s_or_b32 exec_lo, exec_lo, s5
	s_and_saveexec_b32 s0, s6
	s_delay_alu instid0(SALU_CYCLE_1)
	s_xor_b32 s0, exec_lo, s0
; %bb.493:
	v_dual_cndmask_b32 v23, v11, v13, s3 :: v_dual_cndmask_b32 v22, v10, v12, s3
	v_dual_cndmask_b32 v13, v13, v11, s3 :: v_dual_cndmask_b32 v12, v12, v10, s3
	s_delay_alu instid0(VALU_DEP_2)
	v_mov_b64_e32 v[10:11], v[22:23]
; %bb.494:
	s_or_b32 exec_lo, exec_lo, s0
	v_mul_u64_e32 v[22:23], v[0:1], v[6:7]
	v_mul_u64_e32 v[24:25], v[2:3], v[6:7]
	v_mov_b64_e32 v[30:31], v[6:7]
	s_mov_b32 s5, 0
                                        ; implicit-def: $sgpr3
                                        ; implicit-def: $sgpr6
                                        ; implicit-def: $sgpr7
                                        ; implicit-def: $sgpr11
                                        ; implicit-def: $sgpr12
	s_delay_alu instid0(VALU_DEP_3) | instskip(NEXT) | instid1(VALU_DEP_3)
	v_lshl_add_u64 v[22:23], v[22:23], 1, v[8:9]
	v_lshl_add_u64 v[24:25], v[24:25], 1, v[8:9]
	s_branch .LBB1115_496
.LBB1115_495:                           ;   in Loop: Header=BB1115_496 Depth=1
	s_or_b32 exec_lo, exec_lo, s12
	s_delay_alu instid0(SALU_CYCLE_1) | instskip(NEXT) | instid1(SALU_CYCLE_1)
	s_and_b32 s0, exec_lo, s0
	s_or_b32 s5, s0, s5
	s_and_not1_b32 s0, s6, exec_lo
	s_and_b32 s6, s7, exec_lo
	s_and_not1_b32 s3, s3, exec_lo
	s_and_b32 s12, s11, exec_lo
	s_or_b32 s6, s0, s6
	s_or_b32 s3, s3, s12
	s_mov_b32 s12, s11
	s_and_not1_b32 exec_lo, exec_lo, s5
	s_cbranch_execz .LBB1115_508
.LBB1115_496:                           ; =>This Inner Loop Header: Depth=1
	flat_load_u16 v48, v[24:25]
	flat_load_u16 v49, v[22:23]
	s_or_b32 s11, s11, exec_lo
	s_mov_b32 s13, 0
	s_mov_b32 s14, exec_lo
	s_wait_loadcnt_dscnt 0x0
	v_dual_lshlrev_b32 v48, 16, v48 :: v_dual_lshlrev_b32 v49, 16, v49
	s_delay_alu instid0(VALU_DEP_1)
	v_cmpx_nlt_f32_e32 v48, v49
; %bb.497:                              ;   in Loop: Header=BB1115_496 Depth=1
	v_cmp_ngt_f32_e64 s0, v48, v49
	s_and_not1_b32 s11, s11, exec_lo
	s_and_b32 s12, s0, s12
	s_and_b32 s13, s0, exec_lo
	s_and_b32 s12, s12, exec_lo
	s_delay_alu instid0(SALU_CYCLE_1)
	s_or_b32 s11, s11, s12
; %bb.498:                              ;   in Loop: Header=BB1115_496 Depth=1
	s_or_b32 exec_lo, exec_lo, s14
	s_mov_b32 s0, -1
	s_or_b32 s7, s7, exec_lo
	s_and_saveexec_b32 s12, s13
	s_cbranch_execz .LBB1115_495
; %bb.499:                              ;   in Loop: Header=BB1115_496 Depth=1
	v_add_nc_u64_e32 v[30:31], -1, v[30:31]
	v_add_nc_u64_e32 v[22:23], 2, v[22:23]
	v_add_nc_u64_e32 v[24:25], 2, v[24:25]
	s_and_not1_b32 s7, s7, exec_lo
	s_delay_alu instid0(VALU_DEP_3)
	v_cmp_eq_u64_e64 s0, 0, v[30:31]
	s_or_not1_b32 s0, s0, exec_lo
	s_branch .LBB1115_495
.LBB1115_500:
	s_or_b32 exec_lo, exec_lo, s5
	s_and_saveexec_b32 s0, s6
	s_delay_alu instid0(SALU_CYCLE_1)
	s_xor_b32 s0, exec_lo, s0
; %bb.501:
	v_dual_cndmask_b32 v23, v21, v15, s3 :: v_dual_cndmask_b32 v22, v20, v14, s3
	v_dual_cndmask_b32 v15, v15, v21, s3 :: v_dual_cndmask_b32 v14, v14, v20, s3
	s_delay_alu instid0(VALU_DEP_2)
	v_mov_b64_e32 v[20:21], v[22:23]
; %bb.502:
	s_or_b32 exec_lo, exec_lo, s0
	v_mul_u64_e32 v[22:23], v[16:17], v[6:7]
	v_mul_u64_e32 v[24:25], v[10:11], v[6:7]
	v_mov_b64_e32 v[30:31], v[6:7]
	s_mov_b32 s5, 0
                                        ; implicit-def: $sgpr3
                                        ; implicit-def: $sgpr6
                                        ; implicit-def: $sgpr7
                                        ; implicit-def: $sgpr11
                                        ; implicit-def: $sgpr12
	s_delay_alu instid0(VALU_DEP_3) | instskip(NEXT) | instid1(VALU_DEP_3)
	v_lshl_add_u64 v[22:23], v[22:23], 1, v[8:9]
	v_lshl_add_u64 v[24:25], v[24:25], 1, v[8:9]
	s_branch .LBB1115_504
.LBB1115_503:                           ;   in Loop: Header=BB1115_504 Depth=1
	s_or_b32 exec_lo, exec_lo, s12
	s_delay_alu instid0(SALU_CYCLE_1) | instskip(NEXT) | instid1(SALU_CYCLE_1)
	s_and_b32 s0, exec_lo, s0
	s_or_b32 s5, s0, s5
	s_and_not1_b32 s0, s6, exec_lo
	s_and_b32 s6, s7, exec_lo
	s_and_not1_b32 s3, s3, exec_lo
	s_and_b32 s12, s11, exec_lo
	s_or_b32 s6, s0, s6
	s_or_b32 s3, s3, s12
	s_mov_b32 s12, s11
	s_and_not1_b32 exec_lo, exec_lo, s5
	s_cbranch_execz .LBB1115_512
.LBB1115_504:                           ; =>This Inner Loop Header: Depth=1
	flat_load_u16 v48, v[24:25]
	flat_load_u16 v49, v[22:23]
	s_or_b32 s11, s11, exec_lo
	s_mov_b32 s13, 0
	s_mov_b32 s14, exec_lo
	s_wait_loadcnt_dscnt 0x0
	v_dual_lshlrev_b32 v48, 16, v48 :: v_dual_lshlrev_b32 v49, 16, v49
	s_delay_alu instid0(VALU_DEP_1)
	v_cmpx_nlt_f32_e32 v48, v49
; %bb.505:                              ;   in Loop: Header=BB1115_504 Depth=1
	v_cmp_ngt_f32_e64 s0, v48, v49
	s_and_not1_b32 s11, s11, exec_lo
	s_and_b32 s12, s0, s12
	s_and_b32 s13, s0, exec_lo
	s_and_b32 s12, s12, exec_lo
	s_delay_alu instid0(SALU_CYCLE_1)
	s_or_b32 s11, s11, s12
; %bb.506:                              ;   in Loop: Header=BB1115_504 Depth=1
	s_or_b32 exec_lo, exec_lo, s14
	s_mov_b32 s0, -1
	s_or_b32 s7, s7, exec_lo
	s_and_saveexec_b32 s12, s13
	s_cbranch_execz .LBB1115_503
; %bb.507:                              ;   in Loop: Header=BB1115_504 Depth=1
	v_add_nc_u64_e32 v[30:31], -1, v[30:31]
	v_add_nc_u64_e32 v[22:23], 2, v[22:23]
	v_add_nc_u64_e32 v[24:25], 2, v[24:25]
	s_and_not1_b32 s7, s7, exec_lo
	s_delay_alu instid0(VALU_DEP_3)
	v_cmp_eq_u64_e64 s0, 0, v[30:31]
	s_or_not1_b32 s0, s0, exec_lo
	s_branch .LBB1115_503
.LBB1115_508:
	s_or_b32 exec_lo, exec_lo, s5
	s_and_saveexec_b32 s0, s6
	s_delay_alu instid0(SALU_CYCLE_1)
	s_xor_b32 s0, exec_lo, s0
; %bb.509:
	v_dual_cndmask_b32 v23, v1, v3, s3 :: v_dual_cndmask_b32 v22, v0, v2, s3
	v_dual_cndmask_b32 v3, v3, v1, s3 :: v_dual_cndmask_b32 v2, v2, v0, s3
	s_delay_alu instid0(VALU_DEP_2)
	v_mov_b64_e32 v[0:1], v[22:23]
; %bb.510:
	s_or_b32 exec_lo, exec_lo, s0
	s_delay_alu instid0(SALU_CYCLE_1)
	s_or_b32 exec_lo, exec_lo, s2
	s_and_saveexec_b32 s2, vcc_lo
	s_cbranch_execnz .LBB1115_486
.LBB1115_511:
	s_or_b32 exec_lo, exec_lo, s2
	s_and_saveexec_b32 s2, vcc_lo
	s_cbranch_execnz .LBB1115_515
	s_branch .LBB1115_580
.LBB1115_512:
	s_or_b32 exec_lo, exec_lo, s5
	s_and_saveexec_b32 s0, s6
	s_delay_alu instid0(SALU_CYCLE_1)
	s_xor_b32 s0, exec_lo, s0
; %bb.513:
	v_dual_cndmask_b32 v23, v17, v11, s3 :: v_dual_cndmask_b32 v22, v16, v10, s3
	v_dual_cndmask_b32 v11, v11, v17, s3 :: v_dual_cndmask_b32 v10, v10, v16, s3
	s_delay_alu instid0(VALU_DEP_2)
	v_mov_b64_e32 v[16:17], v[22:23]
; %bb.514:
	s_or_b32 exec_lo, exec_lo, s0
	s_delay_alu instid0(SALU_CYCLE_1)
	s_or_b32 exec_lo, exec_lo, s2
	s_and_saveexec_b32 s2, vcc_lo
	s_cbranch_execz .LBB1115_580
.LBB1115_515:
	v_mul_u64_e32 v[22:23], v[12:13], v[6:7]
	v_mul_u64_e32 v[24:25], v[0:1], v[6:7]
	v_mov_b64_e32 v[30:31], v[6:7]
	s_mov_b32 s5, 0
                                        ; implicit-def: $sgpr3
                                        ; implicit-def: $sgpr6
                                        ; implicit-def: $sgpr7
                                        ; implicit-def: $sgpr11
                                        ; implicit-def: $sgpr12
	s_delay_alu instid0(VALU_DEP_3) | instskip(NEXT) | instid1(VALU_DEP_3)
	v_lshl_add_u64 v[22:23], v[22:23], 1, v[8:9]
	v_lshl_add_u64 v[24:25], v[24:25], 1, v[8:9]
	s_branch .LBB1115_517
.LBB1115_516:                           ;   in Loop: Header=BB1115_517 Depth=1
	s_or_b32 exec_lo, exec_lo, s12
	s_delay_alu instid0(SALU_CYCLE_1) | instskip(NEXT) | instid1(SALU_CYCLE_1)
	s_and_b32 s0, exec_lo, s0
	s_or_b32 s5, s0, s5
	s_and_not1_b32 s0, s6, exec_lo
	s_and_b32 s6, s7, exec_lo
	s_and_not1_b32 s3, s3, exec_lo
	s_and_b32 s12, s11, exec_lo
	s_or_b32 s6, s0, s6
	s_or_b32 s3, s3, s12
	s_mov_b32 s12, s11
	s_and_not1_b32 exec_lo, exec_lo, s5
	s_cbranch_execz .LBB1115_521
.LBB1115_517:                           ; =>This Inner Loop Header: Depth=1
	flat_load_u16 v48, v[24:25]
	flat_load_u16 v49, v[22:23]
	s_or_b32 s11, s11, exec_lo
	s_mov_b32 s13, 0
	s_mov_b32 s14, exec_lo
	s_wait_loadcnt_dscnt 0x0
	v_dual_lshlrev_b32 v48, 16, v48 :: v_dual_lshlrev_b32 v49, 16, v49
	s_delay_alu instid0(VALU_DEP_1)
	v_cmpx_nlt_f32_e32 v48, v49
; %bb.518:                              ;   in Loop: Header=BB1115_517 Depth=1
	v_cmp_ngt_f32_e64 s0, v48, v49
	s_and_not1_b32 s11, s11, exec_lo
	s_and_b32 s12, s0, s12
	s_and_b32 s13, s0, exec_lo
	s_and_b32 s12, s12, exec_lo
	s_delay_alu instid0(SALU_CYCLE_1)
	s_or_b32 s11, s11, s12
; %bb.519:                              ;   in Loop: Header=BB1115_517 Depth=1
	s_or_b32 exec_lo, exec_lo, s14
	s_mov_b32 s0, -1
	s_or_b32 s7, s7, exec_lo
	s_and_saveexec_b32 s12, s13
	s_cbranch_execz .LBB1115_516
; %bb.520:                              ;   in Loop: Header=BB1115_517 Depth=1
	v_add_nc_u64_e32 v[30:31], -1, v[30:31]
	v_add_nc_u64_e32 v[22:23], 2, v[22:23]
	v_add_nc_u64_e32 v[24:25], 2, v[24:25]
	s_and_not1_b32 s7, s7, exec_lo
	s_delay_alu instid0(VALU_DEP_3)
	v_cmp_eq_u64_e64 s0, 0, v[30:31]
	s_or_not1_b32 s0, s0, exec_lo
	s_branch .LBB1115_516
.LBB1115_521:
	s_or_b32 exec_lo, exec_lo, s5
	s_and_saveexec_b32 s0, s6
	s_delay_alu instid0(SALU_CYCLE_1)
	s_xor_b32 s0, exec_lo, s0
; %bb.522:
	v_dual_cndmask_b32 v23, v13, v1, s3 :: v_dual_cndmask_b32 v22, v12, v0, s3
	v_dual_cndmask_b32 v1, v1, v13, s3 :: v_dual_cndmask_b32 v0, v0, v12, s3
	s_delay_alu instid0(VALU_DEP_2)
	v_mov_b64_e32 v[12:13], v[22:23]
; %bb.523:
	s_or_b32 exec_lo, exec_lo, s0
	v_mul_u64_e32 v[22:23], v[18:19], v[6:7]
	v_mul_u64_e32 v[24:25], v[20:21], v[6:7]
	v_mov_b64_e32 v[30:31], v[6:7]
	s_mov_b32 s5, 0
                                        ; implicit-def: $sgpr3
                                        ; implicit-def: $sgpr6
                                        ; implicit-def: $sgpr7
                                        ; implicit-def: $sgpr11
                                        ; implicit-def: $sgpr12
	s_delay_alu instid0(VALU_DEP_3) | instskip(NEXT) | instid1(VALU_DEP_3)
	v_lshl_add_u64 v[22:23], v[22:23], 1, v[8:9]
	v_lshl_add_u64 v[24:25], v[24:25], 1, v[8:9]
	s_branch .LBB1115_525
.LBB1115_524:                           ;   in Loop: Header=BB1115_525 Depth=1
	s_or_b32 exec_lo, exec_lo, s12
	s_delay_alu instid0(SALU_CYCLE_1) | instskip(NEXT) | instid1(SALU_CYCLE_1)
	s_and_b32 s0, exec_lo, s0
	s_or_b32 s5, s0, s5
	s_and_not1_b32 s0, s6, exec_lo
	s_and_b32 s6, s7, exec_lo
	s_and_not1_b32 s3, s3, exec_lo
	s_and_b32 s12, s11, exec_lo
	s_or_b32 s6, s0, s6
	s_or_b32 s3, s3, s12
	s_mov_b32 s12, s11
	s_and_not1_b32 exec_lo, exec_lo, s5
	s_cbranch_execz .LBB1115_529
.LBB1115_525:                           ; =>This Inner Loop Header: Depth=1
	flat_load_u16 v48, v[24:25]
	flat_load_u16 v49, v[22:23]
	s_or_b32 s11, s11, exec_lo
	s_mov_b32 s13, 0
	s_mov_b32 s14, exec_lo
	s_wait_loadcnt_dscnt 0x0
	v_dual_lshlrev_b32 v48, 16, v48 :: v_dual_lshlrev_b32 v49, 16, v49
	s_delay_alu instid0(VALU_DEP_1)
	v_cmpx_nlt_f32_e32 v48, v49
; %bb.526:                              ;   in Loop: Header=BB1115_525 Depth=1
	v_cmp_ngt_f32_e64 s0, v48, v49
	s_and_not1_b32 s11, s11, exec_lo
	s_and_b32 s12, s0, s12
	s_and_b32 s13, s0, exec_lo
	s_and_b32 s12, s12, exec_lo
	s_delay_alu instid0(SALU_CYCLE_1)
	s_or_b32 s11, s11, s12
; %bb.527:                              ;   in Loop: Header=BB1115_525 Depth=1
	s_or_b32 exec_lo, exec_lo, s14
	s_mov_b32 s0, -1
	s_or_b32 s7, s7, exec_lo
	s_and_saveexec_b32 s12, s13
	s_cbranch_execz .LBB1115_524
; %bb.528:                              ;   in Loop: Header=BB1115_525 Depth=1
	v_add_nc_u64_e32 v[30:31], -1, v[30:31]
	v_add_nc_u64_e32 v[22:23], 2, v[22:23]
	v_add_nc_u64_e32 v[24:25], 2, v[24:25]
	s_and_not1_b32 s7, s7, exec_lo
	s_delay_alu instid0(VALU_DEP_3)
	v_cmp_eq_u64_e64 s0, 0, v[30:31]
	s_or_not1_b32 s0, s0, exec_lo
	s_branch .LBB1115_524
.LBB1115_529:
	s_or_b32 exec_lo, exec_lo, s5
	s_and_saveexec_b32 s0, s6
	s_delay_alu instid0(SALU_CYCLE_1)
	s_xor_b32 s0, exec_lo, s0
; %bb.530:
	v_dual_cndmask_b32 v23, v21, v19, s3 :: v_dual_cndmask_b32 v22, v20, v18, s3
	v_dual_cndmask_b32 v19, v19, v21, s3 :: v_dual_cndmask_b32 v18, v18, v20, s3
	s_delay_alu instid0(VALU_DEP_2)
	v_mov_b64_e32 v[20:21], v[22:23]
; %bb.531:
	s_or_b32 exec_lo, exec_lo, s0
	v_mul_u64_e32 v[22:23], v[14:15], v[6:7]
	v_mul_u64_e32 v[24:25], v[16:17], v[6:7]
	v_mov_b64_e32 v[30:31], v[6:7]
	s_mov_b32 s5, 0
                                        ; implicit-def: $sgpr3
                                        ; implicit-def: $sgpr6
                                        ; implicit-def: $sgpr7
                                        ; implicit-def: $sgpr11
                                        ; implicit-def: $sgpr12
	s_delay_alu instid0(VALU_DEP_3) | instskip(NEXT) | instid1(VALU_DEP_3)
	v_lshl_add_u64 v[22:23], v[22:23], 1, v[8:9]
	v_lshl_add_u64 v[24:25], v[24:25], 1, v[8:9]
	s_branch .LBB1115_533
.LBB1115_532:                           ;   in Loop: Header=BB1115_533 Depth=1
	s_or_b32 exec_lo, exec_lo, s12
	s_delay_alu instid0(SALU_CYCLE_1) | instskip(NEXT) | instid1(SALU_CYCLE_1)
	s_and_b32 s0, exec_lo, s0
	s_or_b32 s5, s0, s5
	s_and_not1_b32 s0, s6, exec_lo
	s_and_b32 s6, s7, exec_lo
	s_and_not1_b32 s3, s3, exec_lo
	s_and_b32 s12, s11, exec_lo
	s_or_b32 s6, s0, s6
	s_or_b32 s3, s3, s12
	s_mov_b32 s12, s11
	s_and_not1_b32 exec_lo, exec_lo, s5
	s_cbranch_execz .LBB1115_537
.LBB1115_533:                           ; =>This Inner Loop Header: Depth=1
	flat_load_u16 v48, v[24:25]
	flat_load_u16 v49, v[22:23]
	s_or_b32 s11, s11, exec_lo
	s_mov_b32 s13, 0
	s_mov_b32 s14, exec_lo
	s_wait_loadcnt_dscnt 0x0
	v_dual_lshlrev_b32 v48, 16, v48 :: v_dual_lshlrev_b32 v49, 16, v49
	s_delay_alu instid0(VALU_DEP_1)
	v_cmpx_nlt_f32_e32 v48, v49
; %bb.534:                              ;   in Loop: Header=BB1115_533 Depth=1
	v_cmp_ngt_f32_e64 s0, v48, v49
	s_and_not1_b32 s11, s11, exec_lo
	s_and_b32 s12, s0, s12
	s_and_b32 s13, s0, exec_lo
	s_and_b32 s12, s12, exec_lo
	s_delay_alu instid0(SALU_CYCLE_1)
	s_or_b32 s11, s11, s12
; %bb.535:                              ;   in Loop: Header=BB1115_533 Depth=1
	s_or_b32 exec_lo, exec_lo, s14
	s_mov_b32 s0, -1
	s_or_b32 s7, s7, exec_lo
	s_and_saveexec_b32 s12, s13
	s_cbranch_execz .LBB1115_532
; %bb.536:                              ;   in Loop: Header=BB1115_533 Depth=1
	v_add_nc_u64_e32 v[30:31], -1, v[30:31]
	v_add_nc_u64_e32 v[22:23], 2, v[22:23]
	v_add_nc_u64_e32 v[24:25], 2, v[24:25]
	s_and_not1_b32 s7, s7, exec_lo
	s_delay_alu instid0(VALU_DEP_3)
	v_cmp_eq_u64_e64 s0, 0, v[30:31]
	s_or_not1_b32 s0, s0, exec_lo
	s_branch .LBB1115_532
.LBB1115_537:
	s_or_b32 exec_lo, exec_lo, s5
	s_and_saveexec_b32 s0, s6
	s_delay_alu instid0(SALU_CYCLE_1)
	s_xor_b32 s0, exec_lo, s0
; %bb.538:
	v_dual_cndmask_b32 v23, v15, v17, s3 :: v_dual_cndmask_b32 v22, v14, v16, s3
	v_dual_cndmask_b32 v17, v17, v15, s3 :: v_dual_cndmask_b32 v16, v16, v14, s3
	s_delay_alu instid0(VALU_DEP_2)
	v_mov_b64_e32 v[14:15], v[22:23]
; %bb.539:
	s_or_b32 exec_lo, exec_lo, s0
	v_mul_u64_e32 v[22:23], v[10:11], v[6:7]
	v_mul_u64_e32 v[24:25], v[12:13], v[6:7]
	v_mov_b64_e32 v[30:31], v[6:7]
	s_mov_b32 s5, 0
                                        ; implicit-def: $sgpr3
                                        ; implicit-def: $sgpr6
                                        ; implicit-def: $sgpr7
                                        ; implicit-def: $sgpr11
                                        ; implicit-def: $sgpr12
	s_delay_alu instid0(VALU_DEP_3) | instskip(NEXT) | instid1(VALU_DEP_3)
	v_lshl_add_u64 v[22:23], v[22:23], 1, v[8:9]
	v_lshl_add_u64 v[24:25], v[24:25], 1, v[8:9]
	s_branch .LBB1115_541
.LBB1115_540:                           ;   in Loop: Header=BB1115_541 Depth=1
	s_or_b32 exec_lo, exec_lo, s12
	s_delay_alu instid0(SALU_CYCLE_1) | instskip(NEXT) | instid1(SALU_CYCLE_1)
	s_and_b32 s0, exec_lo, s0
	s_or_b32 s5, s0, s5
	s_and_not1_b32 s0, s6, exec_lo
	s_and_b32 s6, s7, exec_lo
	s_and_not1_b32 s3, s3, exec_lo
	s_and_b32 s12, s11, exec_lo
	s_or_b32 s6, s0, s6
	s_or_b32 s3, s3, s12
	s_mov_b32 s12, s11
	s_and_not1_b32 exec_lo, exec_lo, s5
	s_cbranch_execz .LBB1115_545
.LBB1115_541:                           ; =>This Inner Loop Header: Depth=1
	flat_load_u16 v48, v[24:25]
	flat_load_u16 v49, v[22:23]
	s_or_b32 s11, s11, exec_lo
	s_mov_b32 s13, 0
	s_mov_b32 s14, exec_lo
	s_wait_loadcnt_dscnt 0x0
	v_dual_lshlrev_b32 v48, 16, v48 :: v_dual_lshlrev_b32 v49, 16, v49
	s_delay_alu instid0(VALU_DEP_1)
	v_cmpx_nlt_f32_e32 v48, v49
; %bb.542:                              ;   in Loop: Header=BB1115_541 Depth=1
	v_cmp_ngt_f32_e64 s0, v48, v49
	s_and_not1_b32 s11, s11, exec_lo
	s_and_b32 s12, s0, s12
	s_and_b32 s13, s0, exec_lo
	s_and_b32 s12, s12, exec_lo
	s_delay_alu instid0(SALU_CYCLE_1)
	s_or_b32 s11, s11, s12
; %bb.543:                              ;   in Loop: Header=BB1115_541 Depth=1
	s_or_b32 exec_lo, exec_lo, s14
	s_mov_b32 s0, -1
	s_or_b32 s7, s7, exec_lo
	s_and_saveexec_b32 s12, s13
	s_cbranch_execz .LBB1115_540
; %bb.544:                              ;   in Loop: Header=BB1115_541 Depth=1
	v_add_nc_u64_e32 v[30:31], -1, v[30:31]
	v_add_nc_u64_e32 v[22:23], 2, v[22:23]
	v_add_nc_u64_e32 v[24:25], 2, v[24:25]
	s_and_not1_b32 s7, s7, exec_lo
	s_delay_alu instid0(VALU_DEP_3)
	v_cmp_eq_u64_e64 s0, 0, v[30:31]
	s_or_not1_b32 s0, s0, exec_lo
	s_branch .LBB1115_540
.LBB1115_545:
	s_or_b32 exec_lo, exec_lo, s5
	s_and_saveexec_b32 s0, s6
	s_delay_alu instid0(SALU_CYCLE_1)
	s_xor_b32 s0, exec_lo, s0
; %bb.546:
	v_dual_cndmask_b32 v23, v11, v13, s3 :: v_dual_cndmask_b32 v22, v10, v12, s3
	v_dual_cndmask_b32 v13, v13, v11, s3 :: v_dual_cndmask_b32 v12, v12, v10, s3
	s_delay_alu instid0(VALU_DEP_2)
	v_mov_b64_e32 v[10:11], v[22:23]
; %bb.547:
	s_or_b32 exec_lo, exec_lo, s0
	v_mul_u64_e32 v[22:23], v[0:1], v[6:7]
	v_mul_u64_e32 v[24:25], v[2:3], v[6:7]
	v_mov_b64_e32 v[30:31], v[6:7]
	s_mov_b32 s5, 0
                                        ; implicit-def: $sgpr3
                                        ; implicit-def: $sgpr6
                                        ; implicit-def: $sgpr7
                                        ; implicit-def: $sgpr11
                                        ; implicit-def: $sgpr12
	s_delay_alu instid0(VALU_DEP_3) | instskip(NEXT) | instid1(VALU_DEP_3)
	v_lshl_add_u64 v[22:23], v[22:23], 1, v[8:9]
	v_lshl_add_u64 v[24:25], v[24:25], 1, v[8:9]
	s_branch .LBB1115_549
.LBB1115_548:                           ;   in Loop: Header=BB1115_549 Depth=1
	s_or_b32 exec_lo, exec_lo, s12
	s_delay_alu instid0(SALU_CYCLE_1) | instskip(NEXT) | instid1(SALU_CYCLE_1)
	s_and_b32 s0, exec_lo, s0
	s_or_b32 s5, s0, s5
	s_and_not1_b32 s0, s6, exec_lo
	s_and_b32 s6, s7, exec_lo
	s_and_not1_b32 s3, s3, exec_lo
	s_and_b32 s12, s11, exec_lo
	s_or_b32 s6, s0, s6
	s_or_b32 s3, s3, s12
	s_mov_b32 s12, s11
	s_and_not1_b32 exec_lo, exec_lo, s5
	s_cbranch_execz .LBB1115_553
.LBB1115_549:                           ; =>This Inner Loop Header: Depth=1
	flat_load_u16 v48, v[24:25]
	flat_load_u16 v49, v[22:23]
	s_or_b32 s11, s11, exec_lo
	s_mov_b32 s13, 0
	s_mov_b32 s14, exec_lo
	s_wait_loadcnt_dscnt 0x0
	v_dual_lshlrev_b32 v48, 16, v48 :: v_dual_lshlrev_b32 v49, 16, v49
	s_delay_alu instid0(VALU_DEP_1)
	v_cmpx_nlt_f32_e32 v48, v49
; %bb.550:                              ;   in Loop: Header=BB1115_549 Depth=1
	v_cmp_ngt_f32_e64 s0, v48, v49
	s_and_not1_b32 s11, s11, exec_lo
	s_and_b32 s12, s0, s12
	s_and_b32 s13, s0, exec_lo
	s_and_b32 s12, s12, exec_lo
	s_delay_alu instid0(SALU_CYCLE_1)
	s_or_b32 s11, s11, s12
; %bb.551:                              ;   in Loop: Header=BB1115_549 Depth=1
	s_or_b32 exec_lo, exec_lo, s14
	s_mov_b32 s0, -1
	s_or_b32 s7, s7, exec_lo
	s_and_saveexec_b32 s12, s13
	s_cbranch_execz .LBB1115_548
; %bb.552:                              ;   in Loop: Header=BB1115_549 Depth=1
	v_add_nc_u64_e32 v[30:31], -1, v[30:31]
	v_add_nc_u64_e32 v[22:23], 2, v[22:23]
	v_add_nc_u64_e32 v[24:25], 2, v[24:25]
	s_and_not1_b32 s7, s7, exec_lo
	s_delay_alu instid0(VALU_DEP_3)
	v_cmp_eq_u64_e64 s0, 0, v[30:31]
	s_or_not1_b32 s0, s0, exec_lo
	s_branch .LBB1115_548
.LBB1115_553:
	s_or_b32 exec_lo, exec_lo, s5
	s_and_saveexec_b32 s0, s6
	s_delay_alu instid0(SALU_CYCLE_1)
	s_xor_b32 s0, exec_lo, s0
; %bb.554:
	v_dual_cndmask_b32 v23, v1, v3, s3 :: v_dual_cndmask_b32 v22, v0, v2, s3
	v_dual_cndmask_b32 v3, v3, v1, s3 :: v_dual_cndmask_b32 v2, v2, v0, s3
	s_delay_alu instid0(VALU_DEP_2)
	v_mov_b64_e32 v[0:1], v[22:23]
; %bb.555:
	s_or_b32 exec_lo, exec_lo, s0
	v_mul_u64_e32 v[22:23], v[20:21], v[6:7]
	v_mul_u64_e32 v[24:25], v[14:15], v[6:7]
	v_mov_b64_e32 v[30:31], v[6:7]
	s_mov_b32 s5, 0
                                        ; implicit-def: $sgpr3
                                        ; implicit-def: $sgpr6
                                        ; implicit-def: $sgpr7
                                        ; implicit-def: $sgpr11
                                        ; implicit-def: $sgpr12
	s_delay_alu instid0(VALU_DEP_3) | instskip(NEXT) | instid1(VALU_DEP_3)
	v_lshl_add_u64 v[22:23], v[22:23], 1, v[8:9]
	v_lshl_add_u64 v[24:25], v[24:25], 1, v[8:9]
	s_branch .LBB1115_557
.LBB1115_556:                           ;   in Loop: Header=BB1115_557 Depth=1
	s_or_b32 exec_lo, exec_lo, s12
	s_delay_alu instid0(SALU_CYCLE_1) | instskip(NEXT) | instid1(SALU_CYCLE_1)
	s_and_b32 s0, exec_lo, s0
	s_or_b32 s5, s0, s5
	s_and_not1_b32 s0, s6, exec_lo
	s_and_b32 s6, s7, exec_lo
	s_and_not1_b32 s3, s3, exec_lo
	s_and_b32 s12, s11, exec_lo
	s_or_b32 s6, s0, s6
	s_or_b32 s3, s3, s12
	s_mov_b32 s12, s11
	s_and_not1_b32 exec_lo, exec_lo, s5
	s_cbranch_execz .LBB1115_561
.LBB1115_557:                           ; =>This Inner Loop Header: Depth=1
	flat_load_u16 v48, v[24:25]
	flat_load_u16 v49, v[22:23]
	s_or_b32 s11, s11, exec_lo
	s_mov_b32 s13, 0
	s_mov_b32 s14, exec_lo
	s_wait_loadcnt_dscnt 0x0
	v_dual_lshlrev_b32 v48, 16, v48 :: v_dual_lshlrev_b32 v49, 16, v49
	s_delay_alu instid0(VALU_DEP_1)
	v_cmpx_nlt_f32_e32 v48, v49
; %bb.558:                              ;   in Loop: Header=BB1115_557 Depth=1
	v_cmp_ngt_f32_e64 s0, v48, v49
	s_and_not1_b32 s11, s11, exec_lo
	s_and_b32 s12, s0, s12
	s_and_b32 s13, s0, exec_lo
	s_and_b32 s12, s12, exec_lo
	s_delay_alu instid0(SALU_CYCLE_1)
	s_or_b32 s11, s11, s12
; %bb.559:                              ;   in Loop: Header=BB1115_557 Depth=1
	s_or_b32 exec_lo, exec_lo, s14
	s_mov_b32 s0, -1
	s_or_b32 s7, s7, exec_lo
	s_and_saveexec_b32 s12, s13
	s_cbranch_execz .LBB1115_556
; %bb.560:                              ;   in Loop: Header=BB1115_557 Depth=1
	v_add_nc_u64_e32 v[30:31], -1, v[30:31]
	v_add_nc_u64_e32 v[22:23], 2, v[22:23]
	v_add_nc_u64_e32 v[24:25], 2, v[24:25]
	s_and_not1_b32 s7, s7, exec_lo
	s_delay_alu instid0(VALU_DEP_3)
	v_cmp_eq_u64_e64 s0, 0, v[30:31]
	s_or_not1_b32 s0, s0, exec_lo
	s_branch .LBB1115_556
.LBB1115_561:
	s_or_b32 exec_lo, exec_lo, s5
	s_and_saveexec_b32 s0, s6
	s_delay_alu instid0(SALU_CYCLE_1)
	s_xor_b32 s0, exec_lo, s0
; %bb.562:
	v_dual_cndmask_b32 v23, v21, v15, s3 :: v_dual_cndmask_b32 v22, v20, v14, s3
	v_dual_cndmask_b32 v15, v15, v21, s3 :: v_dual_cndmask_b32 v14, v14, v20, s3
	s_delay_alu instid0(VALU_DEP_2)
	v_mov_b64_e32 v[20:21], v[22:23]
; %bb.563:
	s_or_b32 exec_lo, exec_lo, s0
	v_mul_u64_e32 v[22:23], v[16:17], v[6:7]
	v_mul_u64_e32 v[24:25], v[10:11], v[6:7]
	v_mov_b64_e32 v[30:31], v[6:7]
	s_mov_b32 s5, 0
                                        ; implicit-def: $sgpr3
                                        ; implicit-def: $sgpr6
                                        ; implicit-def: $sgpr7
                                        ; implicit-def: $sgpr11
                                        ; implicit-def: $sgpr12
	s_delay_alu instid0(VALU_DEP_3) | instskip(NEXT) | instid1(VALU_DEP_3)
	v_lshl_add_u64 v[22:23], v[22:23], 1, v[8:9]
	v_lshl_add_u64 v[24:25], v[24:25], 1, v[8:9]
	s_branch .LBB1115_565
.LBB1115_564:                           ;   in Loop: Header=BB1115_565 Depth=1
	s_or_b32 exec_lo, exec_lo, s12
	s_delay_alu instid0(SALU_CYCLE_1) | instskip(NEXT) | instid1(SALU_CYCLE_1)
	s_and_b32 s0, exec_lo, s0
	s_or_b32 s5, s0, s5
	s_and_not1_b32 s0, s6, exec_lo
	s_and_b32 s6, s7, exec_lo
	s_and_not1_b32 s3, s3, exec_lo
	s_and_b32 s12, s11, exec_lo
	s_or_b32 s6, s0, s6
	s_or_b32 s3, s3, s12
	s_mov_b32 s12, s11
	s_and_not1_b32 exec_lo, exec_lo, s5
	s_cbranch_execz .LBB1115_569
.LBB1115_565:                           ; =>This Inner Loop Header: Depth=1
	flat_load_u16 v48, v[24:25]
	flat_load_u16 v49, v[22:23]
	s_or_b32 s11, s11, exec_lo
	s_mov_b32 s13, 0
	s_mov_b32 s14, exec_lo
	s_wait_loadcnt_dscnt 0x0
	v_dual_lshlrev_b32 v48, 16, v48 :: v_dual_lshlrev_b32 v49, 16, v49
	s_delay_alu instid0(VALU_DEP_1)
	v_cmpx_nlt_f32_e32 v48, v49
; %bb.566:                              ;   in Loop: Header=BB1115_565 Depth=1
	v_cmp_ngt_f32_e64 s0, v48, v49
	s_and_not1_b32 s11, s11, exec_lo
	s_and_b32 s12, s0, s12
	s_and_b32 s13, s0, exec_lo
	s_and_b32 s12, s12, exec_lo
	s_delay_alu instid0(SALU_CYCLE_1)
	s_or_b32 s11, s11, s12
; %bb.567:                              ;   in Loop: Header=BB1115_565 Depth=1
	s_or_b32 exec_lo, exec_lo, s14
	s_mov_b32 s0, -1
	s_or_b32 s7, s7, exec_lo
	s_and_saveexec_b32 s12, s13
	s_cbranch_execz .LBB1115_564
; %bb.568:                              ;   in Loop: Header=BB1115_565 Depth=1
	v_add_nc_u64_e32 v[30:31], -1, v[30:31]
	v_add_nc_u64_e32 v[22:23], 2, v[22:23]
	v_add_nc_u64_e32 v[24:25], 2, v[24:25]
	s_and_not1_b32 s7, s7, exec_lo
	s_delay_alu instid0(VALU_DEP_3)
	v_cmp_eq_u64_e64 s0, 0, v[30:31]
	s_or_not1_b32 s0, s0, exec_lo
	s_branch .LBB1115_564
.LBB1115_569:
	s_or_b32 exec_lo, exec_lo, s5
	s_and_saveexec_b32 s0, s6
	s_delay_alu instid0(SALU_CYCLE_1)
	s_xor_b32 s0, exec_lo, s0
; %bb.570:
	v_dual_cndmask_b32 v23, v17, v11, s3 :: v_dual_cndmask_b32 v22, v16, v10, s3
	v_dual_cndmask_b32 v11, v11, v17, s3 :: v_dual_cndmask_b32 v10, v10, v16, s3
	s_delay_alu instid0(VALU_DEP_2)
	v_mov_b64_e32 v[16:17], v[22:23]
; %bb.571:
	s_or_b32 exec_lo, exec_lo, s0
	v_mul_u64_e32 v[22:23], v[12:13], v[6:7]
	v_mul_u64_e32 v[24:25], v[0:1], v[6:7]
	v_mov_b64_e32 v[30:31], v[6:7]
	s_mov_b32 s6, 0
                                        ; implicit-def: $sgpr3
                                        ; implicit-def: $sgpr5
                                        ; implicit-def: $sgpr7
                                        ; implicit-def: $sgpr11
                                        ; implicit-def: $sgpr12
	s_delay_alu instid0(VALU_DEP_3) | instskip(NEXT) | instid1(VALU_DEP_3)
	v_lshl_add_u64 v[22:23], v[22:23], 1, v[8:9]
	v_lshl_add_u64 v[24:25], v[24:25], 1, v[8:9]
	s_branch .LBB1115_573
.LBB1115_572:                           ;   in Loop: Header=BB1115_573 Depth=1
	s_or_b32 exec_lo, exec_lo, s12
	s_delay_alu instid0(SALU_CYCLE_1) | instskip(NEXT) | instid1(SALU_CYCLE_1)
	s_and_b32 s0, exec_lo, s0
	s_or_b32 s6, s0, s6
	s_and_not1_b32 s0, s5, exec_lo
	s_and_b32 s5, s7, exec_lo
	s_and_not1_b32 s3, s3, exec_lo
	s_and_b32 s12, s11, exec_lo
	s_or_b32 s5, s0, s5
	s_or_b32 s3, s3, s12
	s_mov_b32 s12, s11
	s_and_not1_b32 exec_lo, exec_lo, s6
	s_cbranch_execz .LBB1115_577
.LBB1115_573:                           ; =>This Inner Loop Header: Depth=1
	flat_load_u16 v48, v[24:25]
	flat_load_u16 v49, v[22:23]
	s_or_b32 s11, s11, exec_lo
	s_mov_b32 s13, 0
	s_mov_b32 s14, exec_lo
	s_wait_loadcnt_dscnt 0x0
	v_dual_lshlrev_b32 v48, 16, v48 :: v_dual_lshlrev_b32 v49, 16, v49
	s_delay_alu instid0(VALU_DEP_1)
	v_cmpx_nlt_f32_e32 v48, v49
; %bb.574:                              ;   in Loop: Header=BB1115_573 Depth=1
	v_cmp_ngt_f32_e64 s0, v48, v49
	s_and_not1_b32 s11, s11, exec_lo
	s_and_b32 s12, s0, s12
	s_and_b32 s13, s0, exec_lo
	s_and_b32 s12, s12, exec_lo
	s_delay_alu instid0(SALU_CYCLE_1)
	s_or_b32 s11, s11, s12
; %bb.575:                              ;   in Loop: Header=BB1115_573 Depth=1
	s_or_b32 exec_lo, exec_lo, s14
	s_mov_b32 s0, -1
	s_or_b32 s7, s7, exec_lo
	s_and_saveexec_b32 s12, s13
	s_cbranch_execz .LBB1115_572
; %bb.576:                              ;   in Loop: Header=BB1115_573 Depth=1
	v_add_nc_u64_e32 v[30:31], -1, v[30:31]
	v_add_nc_u64_e32 v[22:23], 2, v[22:23]
	v_add_nc_u64_e32 v[24:25], 2, v[24:25]
	s_and_not1_b32 s7, s7, exec_lo
	s_delay_alu instid0(VALU_DEP_3)
	v_cmp_eq_u64_e64 s0, 0, v[30:31]
	s_or_not1_b32 s0, s0, exec_lo
	s_branch .LBB1115_572
.LBB1115_577:
	s_or_b32 exec_lo, exec_lo, s6
	s_and_saveexec_b32 s0, s5
	s_delay_alu instid0(SALU_CYCLE_1)
	s_xor_b32 s0, exec_lo, s0
; %bb.578:
	v_dual_cndmask_b32 v23, v13, v1, s3 :: v_dual_cndmask_b32 v22, v12, v0, s3
	v_dual_cndmask_b32 v1, v1, v13, s3 :: v_dual_cndmask_b32 v0, v0, v12, s3
	s_delay_alu instid0(VALU_DEP_2)
	v_mov_b64_e32 v[12:13], v[22:23]
; %bb.579:
	s_or_b32 exec_lo, exec_lo, s0
.LBB1115_580:
	s_delay_alu instid0(SALU_CYCLE_1)
	s_or_b32 exec_lo, exec_lo, s2
.LBB1115_581:
	s_delay_alu instid0(SALU_CYCLE_1) | instskip(SKIP_4) | instid1(VALU_DEP_4)
	s_or_b32 exec_lo, exec_lo, s1
	v_mbcnt_lo_u32_b32 v24, -1, 0
	v_add_nc_u32_e32 v84, 56, v54
	v_and_b32_e32 v30, 0xffffff00, v39
	v_dual_mov_b32 v31, 0 :: v_dual_add_nc_u32 v64, 0x1000, v33
	v_lshlrev_b32_e32 v86, 3, v24
	s_mov_b64 s[2:3], src_shared_base
	s_delay_alu instid0(VALU_DEP_3)
	v_sub_nc_u32_e64 v85, 0x800, v30 clamp
	s_mov_b32 s2, 0
	v_add_nc_u32_e32 v55, 0x800, v32
	v_or_b32_e32 v22, 8, v86
	v_and_b32_e32 v48, 0xf0, v86
	v_add_nc_u32_e32 v65, 0x1800, v34
	v_add_nc_u32_e32 v66, 0x2000, v35
	;; [unrolled: 1-line block ×3, first 2 shown]
	v_min_u32_e32 v103, v85, v22
	v_and_b32_e32 v25, 8, v86
	v_lshl_add_u64 v[22:23], v[30:31], 3, s[2:3]
	v_add_nc_u32_e32 v68, 0x3000, v37
	v_add_nc_u32_e32 v69, 0x3800, v38
	v_add_min_u32_e64 v112, v103, 8, v85
	v_sub_nc_u32_e32 v30, v103, v48
	v_min_u32_e32 v49, v85, v25
	v_dual_add_nc_u32 v70, 8, v54 :: v_dual_add_nc_u32 v71, 16, v54
	s_delay_alu instid0(VALU_DEP_4) | instskip(SKIP_3) | instid1(VALU_DEP_4)
	v_dual_sub_nc_u32 v25, v112, v103 :: v_dual_add_nc_u32 v80, 24, v54
	v_dual_add_nc_u32 v81, 32, v54 :: v_dual_add_nc_u32 v82, 40, v54
	v_add_nc_u32_e32 v83, 48, v54
	v_lshl_add_u32 v87, v24, 6, v22
	v_sub_nc_u32_e64 v50, v49, v25 clamp
	v_min_u32_e32 v51, v49, v30
	s_mov_b32 s1, exec_lo
	ds_store_2addr_b64 v87, v[18:19], v[20:21] offset1:1
	ds_store_2addr_b64 v87, v[14:15], v[16:17] offset0:2 offset1:3
	ds_store_2addr_b64 v87, v[10:11], v[12:13] offset0:4 offset1:5
	;; [unrolled: 1-line block ×3, first 2 shown]
	; wave barrier
	v_cmpx_lt_u32_e64 v50, v51
	s_cbranch_execz .LBB1115_593
; %bb.582:
	v_lshlrev_b32_e32 v30, 3, v48
	v_lshlrev_b64_e32 v[32:33], 1, v[6:7]
	s_delay_alu instid0(VALU_DEP_2) | instskip(SKIP_1) | instid1(VALU_DEP_1)
	v_add_nc_u64_e32 v[24:25], v[22:23], v[30:31]
	v_lshlrev_b32_e32 v30, 3, v103
	v_add_nc_u64_e32 v[30:31], v[22:23], v[30:31]
	s_branch .LBB1115_585
.LBB1115_583:                           ;   in Loop: Header=BB1115_585 Depth=1
	s_or_b32 exec_lo, exec_lo, s5
	s_delay_alu instid0(SALU_CYCLE_1)
	s_and_b32 s0, s6, exec_lo
.LBB1115_584:                           ;   in Loop: Header=BB1115_585 Depth=1
	s_or_b32 exec_lo, exec_lo, s3
	s_delay_alu instid0(VALU_DEP_1) | instskip(NEXT) | instid1(VALU_DEP_1)
	v_dual_add_nc_u32 v31, 1, v25 :: v_dual_cndmask_b32 v51, v51, v25, s0
	v_cndmask_b32_e64 v50, v31, v50, s0
	s_delay_alu instid0(VALU_DEP_1) | instskip(SKIP_1) | instid1(SALU_CYCLE_1)
	v_cmp_ge_u32_e64 s0, v50, v51
	s_or_b32 s2, s0, s2
	s_and_not1_b32 exec_lo, exec_lo, s2
	s_cbranch_execz .LBB1115_592
.LBB1115_585:                           ; =>This Loop Header: Depth=1
                                        ;     Child Loop BB1115_588 Depth 2
	v_add_nc_u32_e32 v25, v51, v50
	s_mov_b32 s0, 0
	s_delay_alu instid0(VALU_DEP_1)
	v_lshrrev_b32_e32 v25, 1, v25
	s_and_saveexec_b32 s3, vcc_lo
	s_cbranch_execz .LBB1115_584
; %bb.586:                              ;   in Loop: Header=BB1115_585 Depth=1
	s_delay_alu instid0(VALU_DEP_1) | instskip(SKIP_2) | instid1(VALU_DEP_2)
	v_xad_u32 v31, v25, -1, v49
	v_lshl_add_u32 v34, v25, 3, v24
	s_mov_b32 s5, 0
                                        ; implicit-def: $sgpr6
                                        ; implicit-def: $sgpr7
                                        ; implicit-def: $sgpr13
	v_lshl_add_u32 v31, v31, 3, v30
	ds_load_b64 v[38:39], v34
	ds_load_b64 v[52:53], v31
	s_wait_dscnt 0x1
	v_mad_nc_u64_u32 v[34:35], v32, v38, v[8:9]
	s_wait_dscnt 0x0
	v_mad_nc_u64_u32 v[36:37], v32, v52, v[8:9]
	s_delay_alu instid0(VALU_DEP_2) | instskip(NEXT) | instid1(VALU_DEP_2)
	v_mad_u32 v31, v33, v38, v35
	v_mad_u32 v37, v33, v52, v37
	s_delay_alu instid0(VALU_DEP_2) | instskip(NEXT) | instid1(VALU_DEP_2)
	v_mad_u32 v35, v32, v39, v31
	v_mad_u32 v37, v32, v53, v37
	v_mov_b64_e32 v[38:39], v[6:7]
	s_branch .LBB1115_588
.LBB1115_587:                           ;   in Loop: Header=BB1115_588 Depth=2
	s_or_b32 exec_lo, exec_lo, s13
	s_delay_alu instid0(SALU_CYCLE_1) | instskip(SKIP_4) | instid1(SALU_CYCLE_1)
	s_and_b32 s0, exec_lo, s12
	s_mov_b32 s13, s11
	s_or_b32 s5, s0, s5
	s_and_not1_b32 s0, s6, exec_lo
	s_and_b32 s6, s7, exec_lo
	s_or_b32 s6, s0, s6
	s_and_not1_b32 exec_lo, exec_lo, s5
	s_cbranch_execz .LBB1115_583
.LBB1115_588:                           ;   Parent Loop BB1115_585 Depth=1
                                        ; =>  This Inner Loop Header: Depth=2
	flat_load_u16 v31, v[36:37]
	flat_load_u16 v52, v[34:35]
	s_mov_b32 s12, -1
	s_mov_b32 s14, 0
	s_mov_b32 s11, -1
	s_mov_b32 s15, exec_lo
	s_wait_loadcnt_dscnt 0x0
	v_dual_lshlrev_b32 v31, 16, v31 :: v_dual_lshlrev_b32 v52, 16, v52
	s_delay_alu instid0(VALU_DEP_1)
	v_cmpx_nlt_f32_e32 v31, v52
; %bb.589:                              ;   in Loop: Header=BB1115_588 Depth=2
	v_cmp_ngt_f32_e64 s0, v31, v52
	s_and_b32 s11, s0, s13
	s_and_b32 s14, s0, exec_lo
	s_or_not1_b32 s11, s11, exec_lo
; %bb.590:                              ;   in Loop: Header=BB1115_588 Depth=2
	s_or_b32 exec_lo, exec_lo, s15
	s_delay_alu instid0(SALU_CYCLE_1) | instskip(SKIP_1) | instid1(SALU_CYCLE_1)
	s_and_not1_b32 s0, s7, exec_lo
	s_and_b32 s7, s11, exec_lo
	s_or_b32 s7, s0, s7
	s_and_saveexec_b32 s13, s14
	s_cbranch_execz .LBB1115_587
; %bb.591:                              ;   in Loop: Header=BB1115_588 Depth=2
	v_add_nc_u64_e32 v[38:39], -1, v[38:39]
	v_add_nc_u64_e32 v[34:35], 2, v[34:35]
	v_add_nc_u64_e32 v[36:37], 2, v[36:37]
	s_and_not1_b32 s7, s7, exec_lo
	s_delay_alu instid0(VALU_DEP_3)
	v_cmp_eq_u64_e64 s0, 0, v[38:39]
	s_or_not1_b32 s12, s0, exec_lo
	s_branch .LBB1115_587
.LBB1115_592:
	s_or_b32 exec_lo, exec_lo, s2
.LBB1115_593:
	s_delay_alu instid0(SALU_CYCLE_1) | instskip(SKIP_4) | instid1(VALU_DEP_4)
	s_or_b32 exec_lo, exec_lo, s1
	v_dual_add_nc_u32 v97, 56, v87 :: v_dual_add_nc_u32 v25, v103, v49
	v_add_nc_u32_e32 v24, v50, v48
	v_cmp_gt_i64_e64 s0, 1, v[6:7]
	v_dual_add_nc_u32 v102, 8, v87 :: v_dual_add_nc_u32 v98, 16, v87
	v_sub_nc_u32_e32 v25, v25, v50
	s_delay_alu instid0(VALU_DEP_4) | instskip(SKIP_2) | instid1(VALU_DEP_4)
	v_cmp_le_u32_e64 s1, v24, v103
	v_dual_add_nc_u32 v99, 24, v87 :: v_dual_add_nc_u32 v100, 32, v87
	v_dual_add_nc_u32 v101, 40, v87 :: v_dual_add_nc_u32 v96, 48, v87
	v_cmp_le_u32_e64 s2, v25, v112
	s_or_b32 s1, s1, s2
	s_delay_alu instid0(SALU_CYCLE_1)
	s_and_saveexec_b32 s5, s1
	s_cbranch_execz .LBB1115_773
; %bb.594:
	v_cmp_ge_u32_e64 s1, v24, v103
	s_mov_b32 s3, exec_lo
                                        ; implicit-def: $vgpr0_vgpr1
	v_cmpx_lt_u32_e64 v24, v103
; %bb.595:
	v_lshl_add_u32 v0, v24, 3, v22
	ds_load_b64 v[0:1], v0
; %bb.596:
	s_or_b32 exec_lo, exec_lo, s3
	v_cmp_ge_u32_e64 s2, v25, v112
	s_mov_b32 s6, exec_lo
                                        ; implicit-def: $vgpr2_vgpr3
	v_cmpx_lt_u32_e64 v25, v112
; %bb.597:
	v_lshl_add_u32 v2, v25, 3, v22
	ds_load_b64 v[2:3], v2
; %bb.598:
	s_or_b32 exec_lo, exec_lo, s6
	s_or_b32 s3, s1, s2
	s_xor_b32 s1, s1, -1
	s_nor_b32 s6, s3, s0
	s_or_b32 s2, s2, s1
	s_and_saveexec_b32 s3, s6
	s_cbranch_execz .LBB1115_606
; %bb.599:
	s_wait_dscnt 0x0
	v_mul_u64_e32 v[10:11], v[0:1], v[6:7]
	v_mul_u64_e32 v[12:13], v[2:3], v[6:7]
	v_mov_b64_e32 v[14:15], v[6:7]
	s_mov_b32 s6, 0
                                        ; implicit-def: $sgpr7
                                        ; implicit-def: $sgpr11
                                        ; implicit-def: $sgpr14
	s_delay_alu instid0(VALU_DEP_3) | instskip(NEXT) | instid1(VALU_DEP_3)
	v_lshl_add_u64 v[10:11], v[10:11], 1, v[8:9]
	v_lshl_add_u64 v[12:13], v[12:13], 1, v[8:9]
	s_branch .LBB1115_601
.LBB1115_600:                           ;   in Loop: Header=BB1115_601 Depth=1
	s_or_b32 exec_lo, exec_lo, s14
	s_delay_alu instid0(SALU_CYCLE_1) | instskip(SKIP_4) | instid1(SALU_CYCLE_1)
	s_and_b32 s1, exec_lo, s13
	s_mov_b32 s14, s12
	s_or_b32 s6, s1, s6
	s_and_not1_b32 s1, s7, exec_lo
	s_and_b32 s7, s11, exec_lo
	s_or_b32 s7, s1, s7
	s_and_not1_b32 exec_lo, exec_lo, s6
	s_cbranch_execz .LBB1115_605
.LBB1115_601:                           ; =>This Inner Loop Header: Depth=1
	flat_load_u16 v16, v[12:13]
	flat_load_u16 v17, v[10:11]
	s_mov_b32 s13, -1
	s_mov_b32 s15, 0
	s_mov_b32 s12, -1
	s_mov_b32 s16, exec_lo
	s_wait_loadcnt_dscnt 0x0
	v_dual_lshlrev_b32 v16, 16, v16 :: v_dual_lshlrev_b32 v17, 16, v17
	s_delay_alu instid0(VALU_DEP_1)
	v_cmpx_nlt_f32_e32 v16, v17
; %bb.602:                              ;   in Loop: Header=BB1115_601 Depth=1
	v_cmp_ngt_f32_e64 s1, v16, v17
	s_and_b32 s12, s1, s14
	s_and_b32 s15, s1, exec_lo
	s_or_not1_b32 s12, s12, exec_lo
; %bb.603:                              ;   in Loop: Header=BB1115_601 Depth=1
	s_or_b32 exec_lo, exec_lo, s16
	s_delay_alu instid0(SALU_CYCLE_1) | instskip(SKIP_1) | instid1(SALU_CYCLE_1)
	s_and_not1_b32 s1, s11, exec_lo
	s_and_b32 s11, s12, exec_lo
	s_or_b32 s11, s1, s11
	s_and_saveexec_b32 s14, s15
	s_cbranch_execz .LBB1115_600
; %bb.604:                              ;   in Loop: Header=BB1115_601 Depth=1
	v_add_nc_u64_e32 v[14:15], -1, v[14:15]
	v_add_nc_u64_e32 v[10:11], 2, v[10:11]
	v_add_nc_u64_e32 v[12:13], 2, v[12:13]
	s_and_not1_b32 s11, s11, exec_lo
	s_delay_alu instid0(VALU_DEP_3)
	v_cmp_eq_u64_e64 s1, 0, v[14:15]
	s_or_not1_b32 s13, s1, exec_lo
	s_branch .LBB1115_600
.LBB1115_605:
	s_or_b32 exec_lo, exec_lo, s6
	s_xor_b32 s1, s7, -1
	s_and_not1_b32 s2, s2, exec_lo
	s_and_b32 s1, s1, exec_lo
	s_delay_alu instid0(SALU_CYCLE_1)
	s_or_b32 s2, s2, s1
.LBB1115_606:
	s_or_b32 exec_lo, exec_lo, s3
	v_dual_cndmask_b32 v10, v25, v24, s2 :: v_dual_cndmask_b32 v11, v112, v103, s2
	s_mov_b32 s6, -1
	s_mov_b32 s3, -1
	s_mov_b32 s7, exec_lo
	s_delay_alu instid0(VALU_DEP_1) | instskip(NEXT) | instid1(VALU_DEP_1)
	v_add_nc_u32_e32 v12, 1, v10
	v_add_min_u32_e64 v10, v11, -1, v12
	s_delay_alu instid0(VALU_DEP_1)
	v_lshl_add_u32 v10, v10, 3, v22
	ds_load_b64 v[10:11], v10
	s_wait_dscnt 0x0
	v_dual_cndmask_b32 v19, v11, v3, s2 :: v_dual_cndmask_b32 v16, v12, v25, s2
	v_dual_cndmask_b32 v18, v10, v2, s2 :: v_dual_cndmask_b32 v17, v24, v12, s2
	;; [unrolled: 1-line block ×3, first 2 shown]
	s_delay_alu instid0(VALU_DEP_3)
	v_cmpx_lt_u32_e64 v16, v112
	s_cbranch_execz .LBB1115_626
; %bb.607:
	s_delay_alu instid0(VALU_DEP_3) | instskip(SKIP_1) | instid1(SALU_CYCLE_1)
	v_cmp_lt_u32_e64 s3, v17, v103
	s_xor_b32 s1, s0, -1
	s_and_b32 s1, s3, s1
	s_delay_alu instid0(SALU_CYCLE_1)
	s_and_saveexec_b32 s11, s1
	s_cbranch_execz .LBB1115_625
; %bb.608:
	v_mul_u64_e32 v[10:11], v[20:21], v[6:7]
	v_mul_u64_e32 v[12:13], v[18:19], v[6:7]
	v_mov_b64_e32 v[14:15], v[6:7]
	s_mov_b32 s12, 0
                                        ; implicit-def: $sgpr13
                                        ; implicit-def: $sgpr14
                                        ; implicit-def: $sgpr17
	s_delay_alu instid0(VALU_DEP_3) | instskip(NEXT) | instid1(VALU_DEP_3)
	v_lshl_add_u64 v[10:11], v[10:11], 1, v[8:9]
	v_lshl_add_u64 v[12:13], v[12:13], 1, v[8:9]
	s_branch .LBB1115_610
.LBB1115_609:                           ;   in Loop: Header=BB1115_610 Depth=1
	s_or_b32 exec_lo, exec_lo, s17
	s_delay_alu instid0(SALU_CYCLE_1) | instskip(SKIP_4) | instid1(SALU_CYCLE_1)
	s_and_b32 s1, exec_lo, s16
	s_mov_b32 s17, s15
	s_or_b32 s12, s1, s12
	s_and_not1_b32 s1, s13, exec_lo
	s_and_b32 s13, s14, exec_lo
	s_or_b32 s13, s1, s13
	s_and_not1_b32 exec_lo, exec_lo, s12
	s_cbranch_execz .LBB1115_624
.LBB1115_610:                           ; =>This Inner Loop Header: Depth=1
	flat_load_u16 v24, v[12:13]
	flat_load_u16 v25, v[10:11]
	s_mov_b32 s16, -1
	s_mov_b32 s18, 0
	s_mov_b32 s15, -1
	s_mov_b32 s19, exec_lo
	s_wait_loadcnt_dscnt 0x0
	v_dual_lshlrev_b32 v24, 16, v24 :: v_dual_lshlrev_b32 v25, 16, v25
	s_delay_alu instid0(VALU_DEP_1)
	v_cmpx_nlt_f32_e32 v24, v25
; %bb.611:                              ;   in Loop: Header=BB1115_610 Depth=1
	v_cmp_ngt_f32_e64 s1, v24, v25
	s_and_b32 s15, s1, s17
	s_and_b32 s18, s1, exec_lo
	s_or_not1_b32 s15, s15, exec_lo
; %bb.612:                              ;   in Loop: Header=BB1115_610 Depth=1
	s_or_b32 exec_lo, exec_lo, s19
	s_delay_alu instid0(SALU_CYCLE_1) | instskip(SKIP_1) | instid1(SALU_CYCLE_1)
	s_and_not1_b32 s1, s14, exec_lo
	s_and_b32 s14, s15, exec_lo
	s_or_b32 s14, s1, s14
	s_and_saveexec_b32 s17, s18
	s_cbranch_execz .LBB1115_609
; %bb.613:                              ;   in Loop: Header=BB1115_610 Depth=1
	v_add_nc_u64_e32 v[14:15], -1, v[14:15]
	v_add_nc_u64_e32 v[10:11], 2, v[10:11]
	v_add_nc_u64_e32 v[12:13], 2, v[12:13]
	s_and_not1_b32 s14, s14, exec_lo
	s_delay_alu instid0(VALU_DEP_3)
	v_cmp_eq_u64_e64 s1, 0, v[14:15]
	s_or_not1_b32 s16, s1, exec_lo
	s_branch .LBB1115_609
.LBB1115_614:
	s_or_b32 exec_lo, exec_lo, s19
	s_xor_b32 s9, s20, -1
	s_and_not1_b32 s11, s11, exec_lo
	s_and_b32 s9, s9, exec_lo
	s_delay_alu instid0(SALU_CYCLE_1)
	s_or_b32 s11, s11, s9
.LBB1115_615:
	s_or_b32 exec_lo, exec_lo, s18
	s_delay_alu instid0(SALU_CYCLE_1)
	s_or_not1_b32 s11, s11, exec_lo
.LBB1115_616:
	s_or_b32 exec_lo, exec_lo, s17
	v_dual_cndmask_b32 v14, v20, v21, s11 :: v_dual_cndmask_b32 v15, v115, v114, s11
	s_mov_b32 s17, exec_lo
	s_delay_alu instid0(VALU_DEP_1) | instskip(NEXT) | instid1(VALU_DEP_1)
	v_add_nc_u32_e32 v16, 1, v14
	v_add_min_u32_e64 v14, v15, -1, v16
	s_delay_alu instid0(VALU_DEP_1)
	v_lshl_add_u32 v14, v14, 3, v30
	ds_load_b64 v[14:15], v14
	s_wait_dscnt 0x0
	v_dual_cndmask_b32 v19, v15, v23, s11 :: v_dual_cndmask_b32 v34, v16, v20, s11
	v_dual_cndmask_b32 v18, v14, v22, s11 :: v_dual_cndmask_b32 v35, v21, v16, s11
	;; [unrolled: 1-line block ×3, first 2 shown]
	s_delay_alu instid0(VALU_DEP_3)
	v_cmpx_lt_u32_e64 v34, v115
	s_cbranch_execz .LBB1115_636
; %bb.617:
	s_delay_alu instid0(VALU_DEP_3) | instskip(SKIP_1) | instid1(SALU_CYCLE_1)
	v_cmp_lt_u32_e64 s16, v35, v114
	s_and_b32 s9, s16, s14
	s_and_saveexec_b32 s18, s9
	s_cbranch_execz .LBB1115_635
; %bb.618:
	v_mul_u64_e32 v[14:15], v[32:33], v[6:7]
	v_mul_u64_e32 v[16:17], v[18:19], v[6:7]
	v_mov_b64_e32 v[20:21], v[6:7]
	s_mov_b32 s19, 0
                                        ; implicit-def: $sgpr20
                                        ; implicit-def: $sgpr21
                                        ; implicit-def: $sgpr24
	s_delay_alu instid0(VALU_DEP_3) | instskip(NEXT) | instid1(VALU_DEP_3)
	v_lshl_add_u64 v[14:15], v[14:15], 1, v[8:9]
	v_lshl_add_u64 v[16:17], v[16:17], 1, v[8:9]
	s_branch .LBB1115_620
.LBB1115_619:                           ;   in Loop: Header=BB1115_620 Depth=1
	s_or_b32 exec_lo, exec_lo, s24
	s_delay_alu instid0(SALU_CYCLE_1) | instskip(SKIP_4) | instid1(SALU_CYCLE_1)
	s_and_b32 s9, exec_lo, s23
	s_mov_b32 s24, s22
	s_or_b32 s19, s9, s19
	s_and_not1_b32 s9, s20, exec_lo
	s_and_b32 s20, s21, exec_lo
	s_or_b32 s20, s9, s20
	s_and_not1_b32 exec_lo, exec_lo, s19
	s_cbranch_execz .LBB1115_634
.LBB1115_620:                           ; =>This Inner Loop Header: Depth=1
	flat_load_u16 v36, v[16:17]
	flat_load_u16 v37, v[14:15]
	s_mov_b32 s23, -1
	s_mov_b32 s25, 0
	s_mov_b32 s22, -1
	s_mov_b32 s26, exec_lo
	s_wait_loadcnt_dscnt 0x0
	v_dual_lshlrev_b32 v36, 16, v36 :: v_dual_lshlrev_b32 v37, 16, v37
	s_delay_alu instid0(VALU_DEP_1)
	v_cmpx_nlt_f32_e32 v36, v37
; %bb.621:                              ;   in Loop: Header=BB1115_620 Depth=1
	v_cmp_ngt_f32_e64 s9, v36, v37
	s_and_b32 s22, s9, s24
	s_and_b32 s25, s9, exec_lo
	s_or_not1_b32 s22, s22, exec_lo
; %bb.622:                              ;   in Loop: Header=BB1115_620 Depth=1
	s_or_b32 exec_lo, exec_lo, s26
	s_delay_alu instid0(SALU_CYCLE_1) | instskip(SKIP_1) | instid1(SALU_CYCLE_1)
	s_and_not1_b32 s9, s21, exec_lo
	s_and_b32 s21, s22, exec_lo
	s_or_b32 s21, s9, s21
	s_and_saveexec_b32 s24, s25
	s_cbranch_execz .LBB1115_619
; %bb.623:                              ;   in Loop: Header=BB1115_620 Depth=1
	v_add_nc_u64_e32 v[20:21], -1, v[20:21]
	v_add_nc_u64_e32 v[14:15], 2, v[14:15]
	v_add_nc_u64_e32 v[16:17], 2, v[16:17]
	s_and_not1_b32 s21, s21, exec_lo
	s_delay_alu instid0(VALU_DEP_3)
	v_cmp_eq_u64_e64 s9, 0, v[20:21]
	s_or_not1_b32 s23, s9, exec_lo
	s_branch .LBB1115_619
.LBB1115_624:
	s_or_b32 exec_lo, exec_lo, s12
	s_xor_b32 s1, s13, -1
	s_and_not1_b32 s3, s3, exec_lo
	s_and_b32 s1, s1, exec_lo
	s_delay_alu instid0(SALU_CYCLE_1)
	s_or_b32 s3, s3, s1
.LBB1115_625:
	s_or_b32 exec_lo, exec_lo, s11
	s_delay_alu instid0(SALU_CYCLE_1)
	s_or_not1_b32 s3, s3, exec_lo
.LBB1115_626:
	s_or_b32 exec_lo, exec_lo, s7
	v_cndmask_b32_e64 v10, v16, v17, s3
	v_cndmask_b32_e64 v11, v112, v103, s3
	s_mov_b32 s7, exec_lo
	s_delay_alu instid0(VALU_DEP_2) | instskip(NEXT) | instid1(VALU_DEP_1)
	v_add_nc_u32_e32 v12, 1, v10
	v_add_min_u32_e64 v10, v11, -1, v12
	v_cndmask_b32_e64 v31, v17, v12, s3
	s_delay_alu instid0(VALU_DEP_2)
	v_lshl_add_u32 v10, v10, 3, v22
	ds_load_b64 v[10:11], v10
	s_wait_dscnt 0x0
	v_dual_cndmask_b32 v30, v12, v16, s3 :: v_dual_cndmask_b32 v15, v11, v19, s3
	v_dual_cndmask_b32 v14, v10, v18, s3 :: v_dual_cndmask_b32 v25, v21, v11, s3
	v_cndmask_b32_e64 v24, v20, v10, s3
	s_delay_alu instid0(VALU_DEP_3)
	v_cmpx_lt_u32_e64 v30, v112
	s_cbranch_execz .LBB1115_646
; %bb.627:
	v_cmp_lt_u32_e64 s6, v31, v103
	s_xor_b32 s1, s0, -1
	s_delay_alu instid0(SALU_CYCLE_1) | instskip(NEXT) | instid1(SALU_CYCLE_1)
	s_and_b32 s1, s6, s1
	s_and_saveexec_b32 s11, s1
	s_cbranch_execz .LBB1115_645
; %bb.628:
	v_mul_u64_e32 v[10:11], v[24:25], v[6:7]
	v_mul_u64_e32 v[12:13], v[14:15], v[6:7]
	v_mov_b64_e32 v[16:17], v[6:7]
	s_mov_b32 s12, 0
                                        ; implicit-def: $sgpr13
                                        ; implicit-def: $sgpr14
                                        ; implicit-def: $sgpr17
	s_delay_alu instid0(VALU_DEP_3) | instskip(NEXT) | instid1(VALU_DEP_3)
	v_lshl_add_u64 v[10:11], v[10:11], 1, v[8:9]
	v_lshl_add_u64 v[12:13], v[12:13], 1, v[8:9]
	s_branch .LBB1115_630
.LBB1115_629:                           ;   in Loop: Header=BB1115_630 Depth=1
	s_or_b32 exec_lo, exec_lo, s17
	s_delay_alu instid0(SALU_CYCLE_1) | instskip(SKIP_4) | instid1(SALU_CYCLE_1)
	s_and_b32 s1, exec_lo, s16
	s_mov_b32 s17, s15
	s_or_b32 s12, s1, s12
	s_and_not1_b32 s1, s13, exec_lo
	s_and_b32 s13, s14, exec_lo
	s_or_b32 s13, s1, s13
	s_and_not1_b32 exec_lo, exec_lo, s12
	s_cbranch_execz .LBB1115_644
.LBB1115_630:                           ; =>This Inner Loop Header: Depth=1
	flat_load_u16 v32, v[12:13]
	flat_load_u16 v33, v[10:11]
	s_mov_b32 s16, -1
	s_mov_b32 s18, 0
	s_mov_b32 s15, -1
	s_mov_b32 s19, exec_lo
	s_wait_loadcnt_dscnt 0x0
	v_dual_lshlrev_b32 v32, 16, v32 :: v_dual_lshlrev_b32 v33, 16, v33
	s_delay_alu instid0(VALU_DEP_1)
	v_cmpx_nlt_f32_e32 v32, v33
; %bb.631:                              ;   in Loop: Header=BB1115_630 Depth=1
	v_cmp_ngt_f32_e64 s1, v32, v33
	s_and_b32 s15, s1, s17
	s_and_b32 s18, s1, exec_lo
	s_or_not1_b32 s15, s15, exec_lo
; %bb.632:                              ;   in Loop: Header=BB1115_630 Depth=1
	s_or_b32 exec_lo, exec_lo, s19
	s_delay_alu instid0(SALU_CYCLE_1) | instskip(SKIP_1) | instid1(SALU_CYCLE_1)
	s_and_not1_b32 s1, s14, exec_lo
	s_and_b32 s14, s15, exec_lo
	s_or_b32 s14, s1, s14
	s_and_saveexec_b32 s17, s18
	s_cbranch_execz .LBB1115_629
; %bb.633:                              ;   in Loop: Header=BB1115_630 Depth=1
	v_add_nc_u64_e32 v[16:17], -1, v[16:17]
	v_add_nc_u64_e32 v[10:11], 2, v[10:11]
	v_add_nc_u64_e32 v[12:13], 2, v[12:13]
	s_and_not1_b32 s14, s14, exec_lo
	s_delay_alu instid0(VALU_DEP_3)
	v_cmp_eq_u64_e64 s1, 0, v[16:17]
	s_or_not1_b32 s16, s1, exec_lo
	s_branch .LBB1115_629
.LBB1115_634:
	s_or_b32 exec_lo, exec_lo, s19
	s_xor_b32 s9, s20, -1
	s_and_not1_b32 s16, s16, exec_lo
	s_and_b32 s9, s9, exec_lo
	s_delay_alu instid0(SALU_CYCLE_1)
	s_or_b32 s16, s16, s9
.LBB1115_635:
	s_or_b32 exec_lo, exec_lo, s18
	s_delay_alu instid0(SALU_CYCLE_1)
	s_or_not1_b32 s16, s16, exec_lo
.LBB1115_636:
	s_or_b32 exec_lo, exec_lo, s17
	v_dual_cndmask_b32 v14, v34, v35, s16 :: v_dual_cndmask_b32 v15, v115, v114, s16
	s_mov_b32 s18, -1
	s_mov_b32 s17, -1
	s_mov_b32 s19, exec_lo
	s_delay_alu instid0(VALU_DEP_1) | instskip(NEXT) | instid1(VALU_DEP_1)
	v_add_nc_u32_e32 v16, 1, v14
	v_add_min_u32_e64 v14, v15, -1, v16
	s_delay_alu instid0(VALU_DEP_1)
	v_lshl_add_u32 v14, v14, 3, v30
	ds_load_b64 v[14:15], v14
	s_wait_dscnt 0x0
	v_dual_cndmask_b32 v21, v15, v19, s16 :: v_dual_cndmask_b32 v38, v16, v34, s16
	v_dual_cndmask_b32 v39, v35, v16, s16 :: v_dual_cndmask_b32 v20, v14, v18, s16
	;; [unrolled: 1-line block ×3, first 2 shown]
	s_delay_alu instid0(VALU_DEP_3)
	v_cmpx_lt_u32_e64 v38, v115
	s_cbranch_execz .LBB1115_656
; %bb.637:
	s_delay_alu instid0(VALU_DEP_3) | instskip(SKIP_1) | instid1(SALU_CYCLE_1)
	v_cmp_lt_u32_e64 s17, v39, v114
	s_and_b32 s9, s17, s14
	s_and_saveexec_b32 s20, s9
	s_cbranch_execz .LBB1115_655
; %bb.638:
	v_mul_u64_e32 v[14:15], v[34:35], v[6:7]
	v_mul_u64_e32 v[16:17], v[20:21], v[6:7]
	v_mov_b64_e32 v[36:37], v[6:7]
	s_mov_b32 s21, 0
                                        ; implicit-def: $sgpr22
                                        ; implicit-def: $sgpr23
                                        ; implicit-def: $sgpr26
	s_delay_alu instid0(VALU_DEP_3) | instskip(NEXT) | instid1(VALU_DEP_3)
	v_lshl_add_u64 v[14:15], v[14:15], 1, v[8:9]
	v_lshl_add_u64 v[16:17], v[16:17], 1, v[8:9]
	s_branch .LBB1115_640
.LBB1115_639:                           ;   in Loop: Header=BB1115_640 Depth=1
	s_or_b32 exec_lo, exec_lo, s26
	s_delay_alu instid0(SALU_CYCLE_1) | instskip(SKIP_4) | instid1(SALU_CYCLE_1)
	s_and_b32 s9, exec_lo, s25
	s_mov_b32 s26, s24
	s_or_b32 s21, s9, s21
	s_and_not1_b32 s9, s22, exec_lo
	s_and_b32 s22, s23, exec_lo
	s_or_b32 s22, s9, s22
	s_and_not1_b32 exec_lo, exec_lo, s21
	s_cbranch_execz .LBB1115_654
.LBB1115_640:                           ; =>This Inner Loop Header: Depth=1
	flat_load_u16 v48, v[16:17]
	flat_load_u16 v49, v[14:15]
	s_mov_b32 s25, -1
	s_mov_b32 s27, 0
	s_mov_b32 s24, -1
	s_mov_b32 s28, exec_lo
	s_wait_loadcnt_dscnt 0x0
	v_dual_lshlrev_b32 v48, 16, v48 :: v_dual_lshlrev_b32 v49, 16, v49
	s_delay_alu instid0(VALU_DEP_1)
	v_cmpx_nlt_f32_e32 v48, v49
; %bb.641:                              ;   in Loop: Header=BB1115_640 Depth=1
	v_cmp_ngt_f32_e64 s9, v48, v49
	s_and_b32 s24, s9, s26
	s_and_b32 s27, s9, exec_lo
	s_or_not1_b32 s24, s24, exec_lo
; %bb.642:                              ;   in Loop: Header=BB1115_640 Depth=1
	s_or_b32 exec_lo, exec_lo, s28
	s_delay_alu instid0(SALU_CYCLE_1) | instskip(SKIP_1) | instid1(SALU_CYCLE_1)
	s_and_not1_b32 s9, s23, exec_lo
	s_and_b32 s23, s24, exec_lo
	s_or_b32 s23, s9, s23
	s_and_saveexec_b32 s26, s27
	s_cbranch_execz .LBB1115_639
; %bb.643:                              ;   in Loop: Header=BB1115_640 Depth=1
	v_add_nc_u64_e32 v[36:37], -1, v[36:37]
	v_add_nc_u64_e32 v[14:15], 2, v[14:15]
	v_add_nc_u64_e32 v[16:17], 2, v[16:17]
	s_and_not1_b32 s23, s23, exec_lo
	s_delay_alu instid0(VALU_DEP_3)
	v_cmp_eq_u64_e64 s9, 0, v[36:37]
	s_or_not1_b32 s25, s9, exec_lo
	s_branch .LBB1115_639
.LBB1115_644:
	s_or_b32 exec_lo, exec_lo, s12
	s_xor_b32 s1, s13, -1
	s_and_not1_b32 s6, s6, exec_lo
	s_and_b32 s1, s1, exec_lo
	s_delay_alu instid0(SALU_CYCLE_1)
	s_or_b32 s6, s6, s1
.LBB1115_645:
	s_or_b32 exec_lo, exec_lo, s11
	s_delay_alu instid0(SALU_CYCLE_1)
	s_or_not1_b32 s6, s6, exec_lo
.LBB1115_646:
	s_or_b32 exec_lo, exec_lo, s7
	v_cndmask_b32_e64 v10, v30, v31, s6
	v_cndmask_b32_e64 v11, v112, v103, s6
	s_mov_b32 s11, -1
	s_mov_b32 s7, -1
	s_mov_b32 s12, exec_lo
	v_add_nc_u32_e32 v12, 1, v10
	s_delay_alu instid0(VALU_DEP_1) | instskip(SKIP_1) | instid1(VALU_DEP_2)
	v_add_min_u32_e64 v10, v11, -1, v12
	v_cndmask_b32_e64 v34, v12, v30, s6
	v_lshl_add_u32 v10, v10, 3, v22
	ds_load_b64 v[10:11], v10
	s_wait_dscnt 0x0
	v_dual_cndmask_b32 v35, v31, v12, s6 :: v_dual_cndmask_b32 v16, v10, v14, s6
	v_dual_cndmask_b32 v17, v11, v15, s6 :: v_dual_cndmask_b32 v30, v24, v10, s6
	v_cndmask_b32_e64 v31, v25, v11, s6
	v_cmpx_lt_u32_e64 v34, v112
	s_cbranch_execz .LBB1115_666
; %bb.647:
	v_cmp_lt_u32_e64 s7, v35, v103
	s_xor_b32 s1, s0, -1
	s_delay_alu instid0(SALU_CYCLE_1) | instskip(NEXT) | instid1(SALU_CYCLE_1)
	s_and_b32 s1, s7, s1
	s_and_saveexec_b32 s13, s1
	s_cbranch_execz .LBB1115_665
; %bb.648:
	v_mul_u64_e32 v[10:11], v[30:31], v[6:7]
	v_mul_u64_e32 v[12:13], v[16:17], v[6:7]
	v_mov_b64_e32 v[32:33], v[6:7]
	s_mov_b32 s14, 0
                                        ; implicit-def: $sgpr15
                                        ; implicit-def: $sgpr16
                                        ; implicit-def: $sgpr19
	s_delay_alu instid0(VALU_DEP_3) | instskip(NEXT) | instid1(VALU_DEP_3)
	v_lshl_add_u64 v[10:11], v[10:11], 1, v[8:9]
	v_lshl_add_u64 v[12:13], v[12:13], 1, v[8:9]
	s_branch .LBB1115_650
.LBB1115_649:                           ;   in Loop: Header=BB1115_650 Depth=1
	s_or_b32 exec_lo, exec_lo, s19
	s_delay_alu instid0(SALU_CYCLE_1) | instskip(SKIP_4) | instid1(SALU_CYCLE_1)
	s_and_b32 s1, exec_lo, s18
	s_mov_b32 s19, s17
	s_or_b32 s14, s1, s14
	s_and_not1_b32 s1, s15, exec_lo
	s_and_b32 s15, s16, exec_lo
	s_or_b32 s15, s1, s15
	s_and_not1_b32 exec_lo, exec_lo, s14
	s_cbranch_execz .LBB1115_664
.LBB1115_650:                           ; =>This Inner Loop Header: Depth=1
	flat_load_u16 v36, v[12:13]
	flat_load_u16 v37, v[10:11]
	s_mov_b32 s18, -1
	s_mov_b32 s20, 0
	s_mov_b32 s17, -1
	s_mov_b32 s21, exec_lo
	s_wait_loadcnt_dscnt 0x0
	v_dual_lshlrev_b32 v36, 16, v36 :: v_dual_lshlrev_b32 v37, 16, v37
	s_delay_alu instid0(VALU_DEP_1)
	v_cmpx_nlt_f32_e32 v36, v37
; %bb.651:                              ;   in Loop: Header=BB1115_650 Depth=1
	v_cmp_ngt_f32_e64 s1, v36, v37
	s_and_b32 s17, s1, s19
	s_and_b32 s20, s1, exec_lo
	s_or_not1_b32 s17, s17, exec_lo
; %bb.652:                              ;   in Loop: Header=BB1115_650 Depth=1
	s_or_b32 exec_lo, exec_lo, s21
	s_delay_alu instid0(SALU_CYCLE_1) | instskip(SKIP_1) | instid1(SALU_CYCLE_1)
	s_and_not1_b32 s1, s16, exec_lo
	s_and_b32 s16, s17, exec_lo
	s_or_b32 s16, s1, s16
	s_and_saveexec_b32 s19, s20
	s_cbranch_execz .LBB1115_649
; %bb.653:                              ;   in Loop: Header=BB1115_650 Depth=1
	v_add_nc_u64_e32 v[32:33], -1, v[32:33]
	v_add_nc_u64_e32 v[10:11], 2, v[10:11]
	v_add_nc_u64_e32 v[12:13], 2, v[12:13]
	s_and_not1_b32 s16, s16, exec_lo
	s_delay_alu instid0(VALU_DEP_3)
	v_cmp_eq_u64_e64 s1, 0, v[32:33]
	s_or_not1_b32 s18, s1, exec_lo
	s_branch .LBB1115_649
.LBB1115_654:
	s_or_b32 exec_lo, exec_lo, s21
	s_xor_b32 s9, s22, -1
	s_and_not1_b32 s17, s17, exec_lo
	s_and_b32 s9, s9, exec_lo
	s_delay_alu instid0(SALU_CYCLE_1)
	s_or_b32 s17, s17, s9
.LBB1115_655:
	s_or_b32 exec_lo, exec_lo, s20
	s_delay_alu instid0(SALU_CYCLE_1)
	s_or_not1_b32 s17, s17, exec_lo
.LBB1115_656:
	s_or_b32 exec_lo, exec_lo, s19
	v_dual_cndmask_b32 v14, v38, v39, s17 :: v_dual_cndmask_b32 v15, v115, v114, s17
	s_mov_b32 s19, exec_lo
	s_delay_alu instid0(VALU_DEP_1) | instskip(NEXT) | instid1(VALU_DEP_1)
	v_add_nc_u32_e32 v14, 1, v14
	v_add_min_u32_e64 v15, v15, -1, v14
	s_delay_alu instid0(VALU_DEP_1)
	v_lshl_add_u32 v15, v15, 3, v30
	ds_load_b64 v[16:17], v15
	s_wait_dscnt 0x0
	v_dual_cndmask_b32 v15, v17, v21, s17 :: v_dual_cndmask_b32 v50, v14, v38, s17
	v_dual_cndmask_b32 v51, v39, v14, s17 :: v_dual_cndmask_b32 v36, v34, v16, s17
	;; [unrolled: 1-line block ×3, first 2 shown]
	s_delay_alu instid0(VALU_DEP_3)
	v_cmpx_lt_u32_e64 v50, v115
	s_cbranch_execz .LBB1115_676
; %bb.657:
	s_delay_alu instid0(VALU_DEP_3) | instskip(SKIP_1) | instid1(SALU_CYCLE_1)
	v_cmp_lt_u32_e64 s18, v51, v114
	s_and_b32 s9, s18, s14
	s_and_saveexec_b32 s20, s9
	s_cbranch_execz .LBB1115_675
; %bb.658:
	v_mul_u64_e32 v[16:17], v[36:37], v[6:7]
	v_mul_u64_e32 v[38:39], v[14:15], v[6:7]
	v_mov_b64_e32 v[48:49], v[6:7]
	s_mov_b32 s21, 0
                                        ; implicit-def: $sgpr22
                                        ; implicit-def: $sgpr23
                                        ; implicit-def: $sgpr26
	s_delay_alu instid0(VALU_DEP_3) | instskip(NEXT) | instid1(VALU_DEP_3)
	v_lshl_add_u64 v[16:17], v[16:17], 1, v[8:9]
	v_lshl_add_u64 v[38:39], v[38:39], 1, v[8:9]
	s_branch .LBB1115_660
.LBB1115_659:                           ;   in Loop: Header=BB1115_660 Depth=1
	s_or_b32 exec_lo, exec_lo, s26
	s_delay_alu instid0(SALU_CYCLE_1) | instskip(SKIP_4) | instid1(SALU_CYCLE_1)
	s_and_b32 s9, exec_lo, s25
	s_mov_b32 s26, s24
	s_or_b32 s21, s9, s21
	s_and_not1_b32 s9, s22, exec_lo
	s_and_b32 s22, s23, exec_lo
	s_or_b32 s22, s9, s22
	s_and_not1_b32 exec_lo, exec_lo, s21
	s_cbranch_execz .LBB1115_674
.LBB1115_660:                           ; =>This Inner Loop Header: Depth=1
	flat_load_u16 v52, v[38:39]
	flat_load_u16 v53, v[16:17]
	s_mov_b32 s25, -1
	s_mov_b32 s27, 0
	s_mov_b32 s24, -1
	s_mov_b32 s28, exec_lo
	s_wait_loadcnt_dscnt 0x0
	v_dual_lshlrev_b32 v52, 16, v52 :: v_dual_lshlrev_b32 v53, 16, v53
	s_delay_alu instid0(VALU_DEP_1)
	v_cmpx_nlt_f32_e32 v52, v53
; %bb.661:                              ;   in Loop: Header=BB1115_660 Depth=1
	v_cmp_ngt_f32_e64 s9, v52, v53
	s_and_b32 s24, s9, s26
	s_and_b32 s27, s9, exec_lo
	s_or_not1_b32 s24, s24, exec_lo
; %bb.662:                              ;   in Loop: Header=BB1115_660 Depth=1
	s_or_b32 exec_lo, exec_lo, s28
	s_delay_alu instid0(SALU_CYCLE_1) | instskip(SKIP_1) | instid1(SALU_CYCLE_1)
	s_and_not1_b32 s9, s23, exec_lo
	s_and_b32 s23, s24, exec_lo
	s_or_b32 s23, s9, s23
	s_and_saveexec_b32 s26, s27
	s_cbranch_execz .LBB1115_659
; %bb.663:                              ;   in Loop: Header=BB1115_660 Depth=1
	v_add_nc_u64_e32 v[48:49], -1, v[48:49]
	v_add_nc_u64_e32 v[16:17], 2, v[16:17]
	v_add_nc_u64_e32 v[38:39], 2, v[38:39]
	s_and_not1_b32 s23, s23, exec_lo
	s_delay_alu instid0(VALU_DEP_3)
	v_cmp_eq_u64_e64 s9, 0, v[48:49]
	s_or_not1_b32 s25, s9, exec_lo
	s_branch .LBB1115_659
.LBB1115_664:
	s_or_b32 exec_lo, exec_lo, s14
	s_xor_b32 s1, s15, -1
	s_and_not1_b32 s7, s7, exec_lo
	s_and_b32 s1, s1, exec_lo
	s_delay_alu instid0(SALU_CYCLE_1)
	s_or_b32 s7, s7, s1
.LBB1115_665:
	s_or_b32 exec_lo, exec_lo, s13
	s_delay_alu instid0(SALU_CYCLE_1)
	s_or_not1_b32 s7, s7, exec_lo
.LBB1115_666:
	s_or_b32 exec_lo, exec_lo, s12
	v_cndmask_b32_e64 v10, v34, v35, s7
	v_cndmask_b32_e64 v11, v112, v103, s7
	s_mov_b32 s12, exec_lo
	s_delay_alu instid0(VALU_DEP_2) | instskip(NEXT) | instid1(VALU_DEP_1)
	v_add_nc_u32_e32 v10, 1, v10
	v_add_min_u32_e64 v11, v11, -1, v10
	s_delay_alu instid0(VALU_DEP_1)
	v_lshl_add_u32 v11, v11, 3, v22
	ds_load_b64 v[12:13], v11
	v_cndmask_b32_e64 v38, v10, v34, s7
	s_wait_dscnt 0x0
	v_dual_cndmask_b32 v39, v35, v10, s7 :: v_dual_cndmask_b32 v32, v30, v12, s7
	v_dual_cndmask_b32 v11, v13, v17, s7 :: v_dual_cndmask_b32 v10, v12, v16, s7
	v_cndmask_b32_e64 v33, v31, v13, s7
	v_cmpx_lt_u32_e64 v38, v112
	s_cbranch_execz .LBB1115_686
; %bb.667:
	v_cmp_lt_u32_e64 s11, v39, v103
	s_xor_b32 s1, s0, -1
	s_delay_alu instid0(SALU_CYCLE_1) | instskip(NEXT) | instid1(SALU_CYCLE_1)
	s_and_b32 s1, s11, s1
	s_and_saveexec_b32 s13, s1
	s_cbranch_execz .LBB1115_685
; %bb.668:
	v_mul_u64_e32 v[12:13], v[32:33], v[6:7]
	v_mul_u64_e32 v[34:35], v[10:11], v[6:7]
	v_mov_b64_e32 v[36:37], v[6:7]
	s_mov_b32 s14, 0
                                        ; implicit-def: $sgpr15
                                        ; implicit-def: $sgpr16
                                        ; implicit-def: $sgpr19
	s_delay_alu instid0(VALU_DEP_3) | instskip(NEXT) | instid1(VALU_DEP_3)
	v_lshl_add_u64 v[12:13], v[12:13], 1, v[8:9]
	v_lshl_add_u64 v[34:35], v[34:35], 1, v[8:9]
	s_branch .LBB1115_670
.LBB1115_669:                           ;   in Loop: Header=BB1115_670 Depth=1
	s_or_b32 exec_lo, exec_lo, s19
	s_delay_alu instid0(SALU_CYCLE_1) | instskip(SKIP_4) | instid1(SALU_CYCLE_1)
	s_and_b32 s1, exec_lo, s18
	s_mov_b32 s19, s17
	s_or_b32 s14, s1, s14
	s_and_not1_b32 s1, s15, exec_lo
	s_and_b32 s15, s16, exec_lo
	s_or_b32 s15, s1, s15
	s_and_not1_b32 exec_lo, exec_lo, s14
	s_cbranch_execz .LBB1115_684
.LBB1115_670:                           ; =>This Inner Loop Header: Depth=1
	flat_load_u16 v48, v[34:35]
	flat_load_u16 v49, v[12:13]
	s_mov_b32 s18, -1
	s_mov_b32 s20, 0
	s_mov_b32 s17, -1
	s_mov_b32 s21, exec_lo
	s_wait_loadcnt_dscnt 0x0
	v_dual_lshlrev_b32 v48, 16, v48 :: v_dual_lshlrev_b32 v49, 16, v49
	s_delay_alu instid0(VALU_DEP_1)
	v_cmpx_nlt_f32_e32 v48, v49
; %bb.671:                              ;   in Loop: Header=BB1115_670 Depth=1
	v_cmp_ngt_f32_e64 s1, v48, v49
	s_and_b32 s17, s1, s19
	s_and_b32 s20, s1, exec_lo
	s_or_not1_b32 s17, s17, exec_lo
; %bb.672:                              ;   in Loop: Header=BB1115_670 Depth=1
	s_or_b32 exec_lo, exec_lo, s21
	s_delay_alu instid0(SALU_CYCLE_1) | instskip(SKIP_1) | instid1(SALU_CYCLE_1)
	s_and_not1_b32 s1, s16, exec_lo
	s_and_b32 s16, s17, exec_lo
	s_or_b32 s16, s1, s16
	s_and_saveexec_b32 s19, s20
	s_cbranch_execz .LBB1115_669
; %bb.673:                              ;   in Loop: Header=BB1115_670 Depth=1
	v_add_nc_u64_e32 v[36:37], -1, v[36:37]
	v_add_nc_u64_e32 v[12:13], 2, v[12:13]
	v_add_nc_u64_e32 v[34:35], 2, v[34:35]
	s_and_not1_b32 s16, s16, exec_lo
	s_delay_alu instid0(VALU_DEP_3)
	v_cmp_eq_u64_e64 s1, 0, v[36:37]
	s_or_not1_b32 s18, s1, exec_lo
	s_branch .LBB1115_669
.LBB1115_674:
	s_or_b32 exec_lo, exec_lo, s21
	s_xor_b32 s9, s22, -1
	s_and_not1_b32 s18, s18, exec_lo
	s_and_b32 s9, s9, exec_lo
	s_delay_alu instid0(SALU_CYCLE_1)
	s_or_b32 s18, s18, s9
.LBB1115_675:
	s_or_b32 exec_lo, exec_lo, s20
	s_delay_alu instid0(SALU_CYCLE_1)
	s_or_not1_b32 s18, s18, exec_lo
.LBB1115_676:
	s_or_b32 exec_lo, exec_lo, s19
	v_dual_cndmask_b32 v16, v50, v51, s18 :: v_dual_cndmask_b32 v17, v115, v114, s18
	s_mov_b32 s19, -1
	s_mov_b32 s20, -1
	s_mov_b32 s21, exec_lo
	s_delay_alu instid0(VALU_DEP_1) | instskip(NEXT) | instid1(VALU_DEP_1)
	v_add_nc_u32_e32 v16, 1, v16
	v_add_min_u32_e64 v17, v17, -1, v16
	s_delay_alu instid0(VALU_DEP_1)
	v_lshl_add_u32 v17, v17, 3, v30
	ds_load_b64 v[38:39], v17
	s_wait_dscnt 0x0
	v_dual_cndmask_b32 v17, v39, v15, s18 :: v_dual_cndmask_b32 v54, v16, v50, s18
	v_dual_cndmask_b32 v55, v51, v16, s18 :: v_dual_cndmask_b32 v16, v38, v14, s18
	;; [unrolled: 1-line block ×3, first 2 shown]
	s_delay_alu instid0(VALU_DEP_3)
	v_cmpx_lt_u32_e64 v54, v115
	s_cbranch_execz .LBB1115_696
; %bb.677:
	s_delay_alu instid0(VALU_DEP_3) | instskip(SKIP_1) | instid1(SALU_CYCLE_1)
	v_cmp_lt_u32_e64 s20, v55, v114
	s_and_b32 s9, s20, s14
	s_and_saveexec_b32 s22, s9
	s_cbranch_execz .LBB1115_695
; %bb.678:
	v_mul_u64_e32 v[48:49], v[38:39], v[6:7]
	v_mul_u64_e32 v[50:51], v[16:17], v[6:7]
	v_mov_b64_e32 v[52:53], v[6:7]
	s_mov_b32 s23, 0
                                        ; implicit-def: $sgpr24
                                        ; implicit-def: $sgpr25
                                        ; implicit-def: $sgpr28
	s_delay_alu instid0(VALU_DEP_3) | instskip(NEXT) | instid1(VALU_DEP_3)
	v_lshl_add_u64 v[48:49], v[48:49], 1, v[8:9]
	v_lshl_add_u64 v[50:51], v[50:51], 1, v[8:9]
	s_branch .LBB1115_680
.LBB1115_679:                           ;   in Loop: Header=BB1115_680 Depth=1
	s_or_b32 exec_lo, exec_lo, s28
	s_delay_alu instid0(SALU_CYCLE_1) | instskip(SKIP_4) | instid1(SALU_CYCLE_1)
	s_and_b32 s9, exec_lo, s27
	s_mov_b32 s28, s26
	s_or_b32 s23, s9, s23
	s_and_not1_b32 s9, s24, exec_lo
	s_and_b32 s24, s25, exec_lo
	s_or_b32 s24, s9, s24
	s_and_not1_b32 exec_lo, exec_lo, s23
	s_cbranch_execz .LBB1115_694
.LBB1115_680:                           ; =>This Inner Loop Header: Depth=1
	flat_load_u16 v64, v[50:51]
	flat_load_u16 v65, v[48:49]
	s_mov_b32 s27, -1
	s_mov_b32 s29, 0
	s_mov_b32 s26, -1
	s_mov_b32 s40, exec_lo
	s_wait_loadcnt_dscnt 0x0
	v_dual_lshlrev_b32 v64, 16, v64 :: v_dual_lshlrev_b32 v65, 16, v65
	s_delay_alu instid0(VALU_DEP_1)
	v_cmpx_nlt_f32_e32 v64, v65
; %bb.681:                              ;   in Loop: Header=BB1115_680 Depth=1
	v_cmp_ngt_f32_e64 s9, v64, v65
	s_and_b32 s26, s9, s28
	s_and_b32 s29, s9, exec_lo
	s_or_not1_b32 s26, s26, exec_lo
; %bb.682:                              ;   in Loop: Header=BB1115_680 Depth=1
	s_or_b32 exec_lo, exec_lo, s40
	s_delay_alu instid0(SALU_CYCLE_1) | instskip(SKIP_1) | instid1(SALU_CYCLE_1)
	s_and_not1_b32 s9, s25, exec_lo
	s_and_b32 s25, s26, exec_lo
	s_or_b32 s25, s9, s25
	s_and_saveexec_b32 s28, s29
	s_cbranch_execz .LBB1115_679
; %bb.683:                              ;   in Loop: Header=BB1115_680 Depth=1
	v_add_nc_u64_e32 v[52:53], -1, v[52:53]
	v_add_nc_u64_e32 v[48:49], 2, v[48:49]
	v_add_nc_u64_e32 v[50:51], 2, v[50:51]
	s_and_not1_b32 s25, s25, exec_lo
	s_delay_alu instid0(VALU_DEP_3)
	v_cmp_eq_u64_e64 s9, 0, v[52:53]
	s_or_not1_b32 s27, s9, exec_lo
	s_branch .LBB1115_679
.LBB1115_684:
	s_or_b32 exec_lo, exec_lo, s14
	s_xor_b32 s1, s15, -1
	s_and_not1_b32 s11, s11, exec_lo
	s_and_b32 s1, s1, exec_lo
	s_delay_alu instid0(SALU_CYCLE_1)
	s_or_b32 s11, s11, s1
.LBB1115_685:
	s_or_b32 exec_lo, exec_lo, s13
	s_delay_alu instid0(SALU_CYCLE_1)
	s_or_not1_b32 s11, s11, exec_lo
.LBB1115_686:
	s_or_b32 exec_lo, exec_lo, s12
	v_cndmask_b32_e64 v12, v38, v39, s11
	v_cndmask_b32_e64 v13, v112, v103, s11
	s_mov_b32 s12, -1
	s_mov_b32 s13, -1
	s_mov_b32 s14, exec_lo
	v_add_nc_u32_e32 v12, 1, v12
	s_delay_alu instid0(VALU_DEP_1) | instskip(SKIP_1) | instid1(VALU_DEP_2)
	v_add_min_u32_e64 v13, v13, -1, v12
	v_dual_cndmask_b32 v50, v12, v38, s11 :: v_dual_cndmask_b32 v51, v39, v12, s11
	v_lshl_add_u32 v13, v13, 3, v22
	ds_load_b64 v[34:35], v13
	s_wait_dscnt 0x0
	v_dual_cndmask_b32 v13, v35, v11, s11 :: v_dual_cndmask_b32 v12, v34, v10, s11
	v_dual_cndmask_b32 v35, v33, v35, s11 :: v_dual_cndmask_b32 v34, v32, v34, s11
	v_cmpx_lt_u32_e64 v50, v112
	s_cbranch_execz .LBB1115_706
; %bb.687:
	v_cmp_lt_u32_e64 s13, v51, v103
	s_xor_b32 s1, s0, -1
	s_delay_alu instid0(SALU_CYCLE_1) | instskip(NEXT) | instid1(SALU_CYCLE_1)
	s_and_b32 s1, s13, s1
	s_and_saveexec_b32 s15, s1
	s_cbranch_execz .LBB1115_705
; %bb.688:
	v_mul_u64_e32 v[36:37], v[34:35], v[6:7]
	v_mul_u64_e32 v[38:39], v[12:13], v[6:7]
	v_mov_b64_e32 v[48:49], v[6:7]
	s_mov_b32 s16, 0
                                        ; implicit-def: $sgpr17
                                        ; implicit-def: $sgpr18
                                        ; implicit-def: $sgpr21
	s_delay_alu instid0(VALU_DEP_3) | instskip(NEXT) | instid1(VALU_DEP_3)
	v_lshl_add_u64 v[36:37], v[36:37], 1, v[8:9]
	v_lshl_add_u64 v[38:39], v[38:39], 1, v[8:9]
	s_branch .LBB1115_690
.LBB1115_689:                           ;   in Loop: Header=BB1115_690 Depth=1
	s_or_b32 exec_lo, exec_lo, s21
	s_delay_alu instid0(SALU_CYCLE_1) | instskip(SKIP_4) | instid1(SALU_CYCLE_1)
	s_and_b32 s1, exec_lo, s20
	s_mov_b32 s21, s19
	s_or_b32 s16, s1, s16
	s_and_not1_b32 s1, s17, exec_lo
	s_and_b32 s17, s18, exec_lo
	s_or_b32 s17, s1, s17
	s_and_not1_b32 exec_lo, exec_lo, s16
	s_cbranch_execz .LBB1115_704
.LBB1115_690:                           ; =>This Inner Loop Header: Depth=1
	flat_load_u16 v52, v[38:39]
	flat_load_u16 v53, v[36:37]
	s_mov_b32 s20, -1
	s_mov_b32 s22, 0
	s_mov_b32 s19, -1
	s_mov_b32 s23, exec_lo
	s_wait_loadcnt_dscnt 0x0
	v_dual_lshlrev_b32 v52, 16, v52 :: v_dual_lshlrev_b32 v53, 16, v53
	s_delay_alu instid0(VALU_DEP_1)
	v_cmpx_nlt_f32_e32 v52, v53
; %bb.691:                              ;   in Loop: Header=BB1115_690 Depth=1
	v_cmp_ngt_f32_e64 s1, v52, v53
	s_and_b32 s19, s1, s21
	s_and_b32 s22, s1, exec_lo
	s_or_not1_b32 s19, s19, exec_lo
; %bb.692:                              ;   in Loop: Header=BB1115_690 Depth=1
	s_or_b32 exec_lo, exec_lo, s23
	s_delay_alu instid0(SALU_CYCLE_1) | instskip(SKIP_1) | instid1(SALU_CYCLE_1)
	s_and_not1_b32 s1, s18, exec_lo
	s_and_b32 s18, s19, exec_lo
	s_or_b32 s18, s1, s18
	s_and_saveexec_b32 s21, s22
	s_cbranch_execz .LBB1115_689
; %bb.693:                              ;   in Loop: Header=BB1115_690 Depth=1
	v_add_nc_u64_e32 v[48:49], -1, v[48:49]
	v_add_nc_u64_e32 v[36:37], 2, v[36:37]
	v_add_nc_u64_e32 v[38:39], 2, v[38:39]
	s_and_not1_b32 s18, s18, exec_lo
	s_delay_alu instid0(VALU_DEP_3)
	v_cmp_eq_u64_e64 s1, 0, v[48:49]
	s_or_not1_b32 s20, s1, exec_lo
	s_branch .LBB1115_689
.LBB1115_694:
	s_or_b32 exec_lo, exec_lo, s23
	s_xor_b32 s9, s24, -1
	s_and_not1_b32 s20, s20, exec_lo
	s_and_b32 s9, s9, exec_lo
	s_delay_alu instid0(SALU_CYCLE_1)
	s_or_b32 s20, s20, s9
.LBB1115_695:
	s_or_b32 exec_lo, exec_lo, s22
	s_delay_alu instid0(SALU_CYCLE_1)
	s_or_not1_b32 s20, s20, exec_lo
.LBB1115_696:
	s_or_b32 exec_lo, exec_lo, s21
	v_dual_cndmask_b32 v48, v54, v55, s20 :: v_dual_cndmask_b32 v49, v115, v114, s20
	s_mov_b32 s21, exec_lo
	s_delay_alu instid0(VALU_DEP_1) | instskip(NEXT) | instid1(VALU_DEP_1)
	v_add_nc_u32_e32 v48, 1, v48
	v_add_min_u32_e64 v49, v49, -1, v48
	s_delay_alu instid0(VALU_DEP_1)
	v_lshl_add_u32 v49, v49, 3, v30
	ds_load_b64 v[50:51], v49
	s_wait_dscnt 0x0
	v_dual_cndmask_b32 v49, v51, v17, s20 :: v_dual_cndmask_b32 v117, v48, v54, s20
	v_cndmask_b32_e64 v116, v55, v48, s20
	v_dual_cndmask_b32 v48, v50, v16, s20 :: v_dual_cndmask_b32 v51, v39, v51, s20
	v_cndmask_b32_e64 v50, v38, v50, s20
	s_delay_alu instid0(VALU_DEP_4)
	v_cmpx_lt_u32_e64 v117, v115
	s_cbranch_execz .LBB1115_716
; %bb.697:
	v_cmp_lt_u32_e64 s19, v116, v114
	s_and_b32 s9, s19, s14
	s_delay_alu instid0(SALU_CYCLE_1)
	s_and_saveexec_b32 s22, s9
	s_cbranch_execz .LBB1115_715
; %bb.698:
	v_mul_u64_e32 v[52:53], v[50:51], v[6:7]
	v_mul_u64_e32 v[54:55], v[48:49], v[6:7]
	v_mov_b64_e32 v[64:65], v[6:7]
	s_mov_b32 s23, 0
                                        ; implicit-def: $sgpr24
                                        ; implicit-def: $sgpr25
                                        ; implicit-def: $sgpr28
	s_delay_alu instid0(VALU_DEP_3) | instskip(NEXT) | instid1(VALU_DEP_3)
	v_lshl_add_u64 v[52:53], v[52:53], 1, v[8:9]
	v_lshl_add_u64 v[54:55], v[54:55], 1, v[8:9]
	s_branch .LBB1115_700
.LBB1115_699:                           ;   in Loop: Header=BB1115_700 Depth=1
	s_or_b32 exec_lo, exec_lo, s28
	s_delay_alu instid0(SALU_CYCLE_1) | instskip(SKIP_4) | instid1(SALU_CYCLE_1)
	s_and_b32 s9, exec_lo, s27
	s_mov_b32 s28, s26
	s_or_b32 s23, s9, s23
	s_and_not1_b32 s9, s24, exec_lo
	s_and_b32 s24, s25, exec_lo
	s_or_b32 s24, s9, s24
	s_and_not1_b32 exec_lo, exec_lo, s23
	s_cbranch_execz .LBB1115_714
.LBB1115_700:                           ; =>This Inner Loop Header: Depth=1
	flat_load_u16 v118, v[54:55]
	flat_load_u16 v119, v[52:53]
	s_mov_b32 s27, -1
	s_mov_b32 s29, 0
	s_mov_b32 s26, -1
	s_mov_b32 s40, exec_lo
	s_wait_loadcnt_dscnt 0x0
	v_dual_lshlrev_b32 v118, 16, v118 :: v_dual_lshlrev_b32 v119, 16, v119
	s_delay_alu instid0(VALU_DEP_1)
	v_cmpx_nlt_f32_e32 v118, v119
; %bb.701:                              ;   in Loop: Header=BB1115_700 Depth=1
	v_cmp_ngt_f32_e64 s9, v118, v119
	s_and_b32 s26, s9, s28
	s_and_b32 s29, s9, exec_lo
	s_or_not1_b32 s26, s26, exec_lo
; %bb.702:                              ;   in Loop: Header=BB1115_700 Depth=1
	s_or_b32 exec_lo, exec_lo, s40
	s_delay_alu instid0(SALU_CYCLE_1) | instskip(SKIP_1) | instid1(SALU_CYCLE_1)
	s_and_not1_b32 s9, s25, exec_lo
	s_and_b32 s25, s26, exec_lo
	s_or_b32 s25, s9, s25
	s_and_saveexec_b32 s28, s29
	s_cbranch_execz .LBB1115_699
; %bb.703:                              ;   in Loop: Header=BB1115_700 Depth=1
	v_add_nc_u64_e32 v[64:65], -1, v[64:65]
	v_add_nc_u64_e32 v[52:53], 2, v[52:53]
	v_add_nc_u64_e32 v[54:55], 2, v[54:55]
	s_and_not1_b32 s25, s25, exec_lo
	s_delay_alu instid0(VALU_DEP_3)
	v_cmp_eq_u64_e64 s9, 0, v[64:65]
	s_or_not1_b32 s27, s9, exec_lo
	s_branch .LBB1115_699
.LBB1115_704:
	s_or_b32 exec_lo, exec_lo, s16
	s_xor_b32 s1, s17, -1
	s_and_not1_b32 s13, s13, exec_lo
	s_and_b32 s1, s1, exec_lo
	s_delay_alu instid0(SALU_CYCLE_1)
	s_or_b32 s13, s13, s1
.LBB1115_705:
	s_or_b32 exec_lo, exec_lo, s15
	s_delay_alu instid0(SALU_CYCLE_1)
	s_or_not1_b32 s13, s13, exec_lo
.LBB1115_706:
	s_or_b32 exec_lo, exec_lo, s14
	v_cndmask_b32_e64 v36, v50, v51, s13
	v_cndmask_b32_e64 v37, v112, v103, s13
	s_mov_b32 s14, exec_lo
	s_delay_alu instid0(VALU_DEP_2) | instskip(NEXT) | instid1(VALU_DEP_1)
	v_add_nc_u32_e32 v36, 1, v36
	v_add_min_u32_e64 v37, v37, -1, v36
	v_dual_cndmask_b32 v114, v36, v50, s13 :: v_dual_cndmask_b32 v113, v51, v36, s13
	s_delay_alu instid0(VALU_DEP_2)
	v_lshl_add_u32 v37, v37, 3, v22
	ds_load_b64 v[38:39], v37
	s_wait_dscnt 0x0
	v_dual_cndmask_b32 v37, v39, v13, s13 :: v_dual_cndmask_b32 v36, v38, v12, s13
	v_dual_cndmask_b32 v39, v35, v39, s13 :: v_dual_cndmask_b32 v38, v34, v38, s13
	v_cmpx_lt_u32_e64 v114, v112
	s_cbranch_execz .LBB1115_726
; %bb.707:
	v_cmp_lt_u32_e64 s12, v113, v103
	s_xor_b32 s1, s0, -1
	s_delay_alu instid0(SALU_CYCLE_1) | instskip(NEXT) | instid1(SALU_CYCLE_1)
	s_and_b32 s1, s12, s1
	s_and_saveexec_b32 s15, s1
	s_cbranch_execz .LBB1115_725
; %bb.708:
	v_mul_u64_e32 v[48:49], v[38:39], v[6:7]
	v_mul_u64_e32 v[50:51], v[36:37], v[6:7]
	v_mov_b64_e32 v[52:53], v[6:7]
	s_mov_b32 s16, 0
                                        ; implicit-def: $sgpr17
                                        ; implicit-def: $sgpr18
                                        ; implicit-def: $sgpr21
	s_delay_alu instid0(VALU_DEP_3) | instskip(NEXT) | instid1(VALU_DEP_3)
	v_lshl_add_u64 v[48:49], v[48:49], 1, v[8:9]
	v_lshl_add_u64 v[50:51], v[50:51], 1, v[8:9]
	s_branch .LBB1115_710
.LBB1115_709:                           ;   in Loop: Header=BB1115_710 Depth=1
	s_or_b32 exec_lo, exec_lo, s21
	s_delay_alu instid0(SALU_CYCLE_1) | instskip(SKIP_4) | instid1(SALU_CYCLE_1)
	s_and_b32 s1, exec_lo, s20
	s_mov_b32 s21, s19
	s_or_b32 s16, s1, s16
	s_and_not1_b32 s1, s17, exec_lo
	s_and_b32 s17, s18, exec_lo
	s_or_b32 s17, s1, s17
	s_and_not1_b32 exec_lo, exec_lo, s16
	s_cbranch_execz .LBB1115_724
.LBB1115_710:                           ; =>This Inner Loop Header: Depth=1
	flat_load_u16 v115, v[50:51]
	flat_load_u16 v116, v[48:49]
	s_mov_b32 s20, -1
	s_mov_b32 s22, 0
	s_mov_b32 s19, -1
	s_mov_b32 s23, exec_lo
	s_wait_loadcnt_dscnt 0x0
	v_dual_lshlrev_b32 v115, 16, v115 :: v_dual_lshlrev_b32 v116, 16, v116
	s_delay_alu instid0(VALU_DEP_1)
	v_cmpx_nlt_f32_e32 v115, v116
; %bb.711:                              ;   in Loop: Header=BB1115_710 Depth=1
	v_cmp_ngt_f32_e64 s1, v115, v116
	s_and_b32 s19, s1, s21
	s_and_b32 s22, s1, exec_lo
	s_or_not1_b32 s19, s19, exec_lo
; %bb.712:                              ;   in Loop: Header=BB1115_710 Depth=1
	s_or_b32 exec_lo, exec_lo, s23
	s_delay_alu instid0(SALU_CYCLE_1) | instskip(SKIP_1) | instid1(SALU_CYCLE_1)
	s_and_not1_b32 s1, s18, exec_lo
	s_and_b32 s18, s19, exec_lo
	s_or_b32 s18, s1, s18
	s_and_saveexec_b32 s21, s22
	s_cbranch_execz .LBB1115_709
; %bb.713:                              ;   in Loop: Header=BB1115_710 Depth=1
	v_add_nc_u64_e32 v[52:53], -1, v[52:53]
	v_add_nc_u64_e32 v[48:49], 2, v[48:49]
	v_add_nc_u64_e32 v[50:51], 2, v[50:51]
	s_and_not1_b32 s18, s18, exec_lo
	s_delay_alu instid0(VALU_DEP_3)
	v_cmp_eq_u64_e64 s1, 0, v[52:53]
	s_or_not1_b32 s20, s1, exec_lo
	s_branch .LBB1115_709
.LBB1115_714:
	s_or_b32 exec_lo, exec_lo, s23
	s_xor_b32 s9, s24, -1
	s_and_not1_b32 s19, s19, exec_lo
	s_and_b32 s9, s9, exec_lo
	s_delay_alu instid0(SALU_CYCLE_1)
	s_or_b32 s19, s19, s9
.LBB1115_715:
	s_or_b32 exec_lo, exec_lo, s22
	s_delay_alu instid0(SALU_CYCLE_1)
	s_or_not1_b32 s19, s19, exec_lo
.LBB1115_716:
	s_or_b32 exec_lo, exec_lo, s21
	v_dual_cndmask_b32 v52, v117, v116, s19 :: v_dual_cndmask_b32 v53, v115, v114, s19
	v_dual_cndmask_b32 v16, v16, v38, s20 :: v_dual_cndmask_b32 v15, v15, v37, s18
	;; [unrolled: 1-line block ×3, first 2 shown]
	s_delay_alu instid0(VALU_DEP_3) | instskip(SKIP_2) | instid1(VALU_DEP_3)
	v_dual_add_nc_u32 v54, 1, v52 :: v_dual_cndmask_b32 v17, v17, v39, s20
	v_dual_cndmask_b32 v20, v20, v34, s17 :: v_dual_cndmask_b32 v19, v19, v33, s16
	v_dual_cndmask_b32 v18, v18, v32, s16 :: v_dual_cndmask_b32 v25, v23, v25, s11
	v_add_min_u32_e64 v52, v53, -1, v54
	v_dual_cndmask_b32 v24, v22, v24, s11 :: v_dual_cndmask_b32 v23, v13, v11, s10
	v_dual_cndmask_b32 v22, v12, v10, s10 :: v_dual_cndmask_b32 v32, v54, v117, s19
	s_delay_alu instid0(VALU_DEP_3)
	v_lshl_add_u32 v52, v52, 3, v30
	v_dual_cndmask_b32 v11, v49, v51, s19 :: v_dual_cndmask_b32 v10, v48, v50, s19
	s_mov_b32 s10, exec_lo
	ds_load_b64 v[52:53], v52
	s_wait_dscnt 0x0
	v_dual_cndmask_b32 v13, v51, v53, s19 :: v_dual_cndmask_b32 v12, v50, v52, s19
	v_cmpx_lt_u32_e64 v32, v115
	s_cbranch_execz .LBB1115_736
; %bb.717:
	v_dual_cndmask_b32 v34, v116, v54, s19 :: v_dual_cndmask_b32 v33, v53, v49, s19
	s_delay_alu instid0(VALU_DEP_1) | instskip(NEXT) | instid1(VALU_DEP_1)
	v_cmp_ge_u32_e64 s9, v34, v114
	v_dual_cndmask_b32 v32, v52, v48, s19 :: v_dual_cndmask_b32 v35, v13, v33, s9
	s_delay_alu instid0(VALU_DEP_1) | instskip(SKIP_1) | instid1(SALU_CYCLE_1)
	v_cndmask_b32_e64 v34, v12, v32, s9
	s_nor_b32 s9, s9, s8
	s_and_saveexec_b32 s11, s9
	s_cbranch_execz .LBB1115_735
; %bb.718:
	v_mul_u64_e32 v[34:35], v[12:13], v[6:7]
	v_mul_u64_e32 v[36:37], v[32:33], v[6:7]
	v_mov_b64_e32 v[38:39], v[6:7]
	s_mov_b32 s16, 0
                                        ; implicit-def: $sgpr17
                                        ; implicit-def: $sgpr18
                                        ; implicit-def: $sgpr21
	s_delay_alu instid0(VALU_DEP_3) | instskip(NEXT) | instid1(VALU_DEP_3)
	v_lshl_add_u64 v[34:35], v[34:35], 1, v[8:9]
	v_lshl_add_u64 v[36:37], v[36:37], 1, v[8:9]
	s_branch .LBB1115_720
.LBB1115_719:                           ;   in Loop: Header=BB1115_720 Depth=1
	s_or_b32 exec_lo, exec_lo, s21
	s_delay_alu instid0(SALU_CYCLE_1) | instskip(SKIP_4) | instid1(SALU_CYCLE_1)
	s_and_b32 s9, exec_lo, s20
	s_mov_b32 s21, s19
	s_or_b32 s16, s9, s16
	s_and_not1_b32 s9, s17, exec_lo
	s_and_b32 s17, s18, exec_lo
	s_or_b32 s17, s9, s17
	s_and_not1_b32 exec_lo, exec_lo, s16
	s_cbranch_execz .LBB1115_734
.LBB1115_720:                           ; =>This Inner Loop Header: Depth=1
	flat_load_u16 v48, v[36:37]
	flat_load_u16 v49, v[34:35]
	s_mov_b32 s20, -1
	s_mov_b32 s22, 0
	s_mov_b32 s19, -1
	s_mov_b32 s23, exec_lo
	s_wait_loadcnt_dscnt 0x0
	v_dual_lshlrev_b32 v48, 16, v48 :: v_dual_lshlrev_b32 v49, 16, v49
	s_delay_alu instid0(VALU_DEP_1)
	v_cmpx_nlt_f32_e32 v48, v49
; %bb.721:                              ;   in Loop: Header=BB1115_720 Depth=1
	v_cmp_ngt_f32_e64 s9, v48, v49
	s_and_b32 s19, s9, s21
	s_and_b32 s22, s9, exec_lo
	s_or_not1_b32 s19, s19, exec_lo
; %bb.722:                              ;   in Loop: Header=BB1115_720 Depth=1
	s_or_b32 exec_lo, exec_lo, s23
	s_delay_alu instid0(SALU_CYCLE_1) | instskip(SKIP_1) | instid1(SALU_CYCLE_1)
	s_and_not1_b32 s9, s18, exec_lo
	s_and_b32 s18, s19, exec_lo
	s_or_b32 s18, s9, s18
	s_and_saveexec_b32 s21, s22
	s_cbranch_execz .LBB1115_719
; %bb.723:                              ;   in Loop: Header=BB1115_720 Depth=1
	v_add_nc_u64_e32 v[38:39], -1, v[38:39]
	v_add_nc_u64_e32 v[34:35], 2, v[34:35]
	v_add_nc_u64_e32 v[36:37], 2, v[36:37]
	s_and_not1_b32 s18, s18, exec_lo
	s_delay_alu instid0(VALU_DEP_3)
	v_cmp_eq_u64_e64 s9, 0, v[38:39]
	s_or_not1_b32 s20, s9, exec_lo
	s_branch .LBB1115_719
.LBB1115_724:
	s_or_b32 exec_lo, exec_lo, s16
	s_xor_b32 s1, s17, -1
	s_and_not1_b32 s12, s12, exec_lo
	s_and_b32 s1, s1, exec_lo
	s_delay_alu instid0(SALU_CYCLE_1)
	s_or_b32 s12, s12, s1
.LBB1115_725:
	s_or_b32 exec_lo, exec_lo, s15
	s_delay_alu instid0(SALU_CYCLE_1)
	s_or_not1_b32 s12, s12, exec_lo
.LBB1115_726:
	s_or_b32 exec_lo, exec_lo, s14
	v_dual_cndmask_b32 v48, v114, v113, s12 :: v_dual_cndmask_b32 v49, v112, v103, s12
	v_dual_cndmask_b32 v12, v12, v34, s13 :: v_dual_cndmask_b32 v11, v11, v33, s11
	;; [unrolled: 1-line block ×3, first 2 shown]
	s_delay_alu instid0(VALU_DEP_3) | instskip(SKIP_2) | instid1(VALU_DEP_3)
	v_dual_add_nc_u32 v50, 1, v48 :: v_dual_cndmask_b32 v13, v13, v35, s13
	v_dual_cndmask_b32 v16, v16, v30, s7 :: v_dual_cndmask_b32 v15, v15, v25, s6
	v_dual_cndmask_b32 v14, v14, v24, s6 :: v_dual_cndmask_b32 v21, v19, v21, s3
	v_add_min_u32_e64 v48, v49, -1, v50
	v_dual_cndmask_b32 v20, v18, v20, s3 :: v_dual_cndmask_b32 v19, v3, v1, s2
	v_dual_cndmask_b32 v18, v2, v0, s2 :: v_dual_cndmask_b32 v1, v37, v39, s12
	s_delay_alu instid0(VALU_DEP_3)
	v_lshl_add_u32 v48, v48, 3, v22
	s_mov_b32 s2, exec_lo
	ds_load_b64 v[48:49], v48
	v_cndmask_b32_e64 v24, v50, v114, s12
	s_wait_dscnt 0x0
	v_dual_cndmask_b32 v0, v36, v38, s12 :: v_dual_cndmask_b32 v2, v38, v48, s12
	v_cndmask_b32_e64 v3, v39, v49, s12
	s_delay_alu instid0(VALU_DEP_3)
	v_cmpx_lt_u32_e64 v24, v112
	s_cbranch_execz .LBB1115_772
; %bb.727:
	v_dual_cndmask_b32 v30, v113, v50, s12 :: v_dual_cndmask_b32 v24, v48, v36, s12
	s_delay_alu instid0(VALU_DEP_1) | instskip(NEXT) | instid1(VALU_DEP_1)
	v_cmp_ge_u32_e64 s1, v30, v103
	v_dual_cndmask_b32 v25, v49, v37, s12 :: v_dual_cndmask_b32 v30, v2, v24, s1
	s_delay_alu instid0(VALU_DEP_1) | instskip(SKIP_1) | instid1(SALU_CYCLE_1)
	v_cndmask_b32_e64 v31, v3, v25, s1
	s_nor_b32 s1, s1, s0
	s_and_saveexec_b32 s3, s1
	s_cbranch_execz .LBB1115_771
; %bb.728:
	v_mul_u64_e32 v[30:31], v[2:3], v[6:7]
	v_mul_u64_e32 v[32:33], v[24:25], v[6:7]
	v_mov_b64_e32 v[34:35], v[6:7]
	s_mov_b32 s6, 0
                                        ; implicit-def: $sgpr7
                                        ; implicit-def: $sgpr11
                                        ; implicit-def: $sgpr14
	s_delay_alu instid0(VALU_DEP_3) | instskip(NEXT) | instid1(VALU_DEP_3)
	v_lshl_add_u64 v[30:31], v[30:31], 1, v[8:9]
	v_lshl_add_u64 v[32:33], v[32:33], 1, v[8:9]
	s_branch .LBB1115_730
.LBB1115_729:                           ;   in Loop: Header=BB1115_730 Depth=1
	s_or_b32 exec_lo, exec_lo, s14
	s_delay_alu instid0(SALU_CYCLE_1) | instskip(SKIP_4) | instid1(SALU_CYCLE_1)
	s_and_b32 s1, exec_lo, s13
	s_mov_b32 s14, s12
	s_or_b32 s6, s1, s6
	s_and_not1_b32 s1, s7, exec_lo
	s_and_b32 s7, s11, exec_lo
	s_or_b32 s7, s1, s7
	s_and_not1_b32 exec_lo, exec_lo, s6
	s_cbranch_execz .LBB1115_770
.LBB1115_730:                           ; =>This Inner Loop Header: Depth=1
	flat_load_u16 v36, v[32:33]
	flat_load_u16 v37, v[30:31]
	s_mov_b32 s13, -1
	s_mov_b32 s15, 0
	s_mov_b32 s12, -1
	s_mov_b32 s16, exec_lo
	s_wait_loadcnt_dscnt 0x0
	v_dual_lshlrev_b32 v36, 16, v36 :: v_dual_lshlrev_b32 v37, 16, v37
	s_delay_alu instid0(VALU_DEP_1)
	v_cmpx_nlt_f32_e32 v36, v37
; %bb.731:                              ;   in Loop: Header=BB1115_730 Depth=1
	v_cmp_ngt_f32_e64 s1, v36, v37
	s_and_b32 s12, s1, s14
	s_and_b32 s15, s1, exec_lo
	s_or_not1_b32 s12, s12, exec_lo
; %bb.732:                              ;   in Loop: Header=BB1115_730 Depth=1
	s_or_b32 exec_lo, exec_lo, s16
	s_delay_alu instid0(SALU_CYCLE_1) | instskip(SKIP_1) | instid1(SALU_CYCLE_1)
	s_and_not1_b32 s1, s11, exec_lo
	s_and_b32 s11, s12, exec_lo
	s_or_b32 s11, s1, s11
	s_and_saveexec_b32 s14, s15
	s_cbranch_execz .LBB1115_729
; %bb.733:                              ;   in Loop: Header=BB1115_730 Depth=1
	v_add_nc_u64_e32 v[34:35], -1, v[34:35]
	v_add_nc_u64_e32 v[30:31], 2, v[30:31]
	v_add_nc_u64_e32 v[32:33], 2, v[32:33]
	s_and_not1_b32 s11, s11, exec_lo
	s_delay_alu instid0(VALU_DEP_3)
	v_cmp_eq_u64_e64 s1, 0, v[34:35]
	s_or_not1_b32 s13, s1, exec_lo
	s_branch .LBB1115_729
.LBB1115_734:
	s_or_b32 exec_lo, exec_lo, s16
	v_dual_cndmask_b32 v35, v13, v33, s17 :: v_dual_cndmask_b32 v34, v12, v32, s17
.LBB1115_735:
	s_or_b32 exec_lo, exec_lo, s11
	s_delay_alu instid0(VALU_DEP_1)
	v_mov_b64_e32 v[12:13], v[34:35]
.LBB1115_736:
	s_or_b32 exec_lo, exec_lo, s10
.LBB1115_737:
	s_delay_alu instid0(SALU_CYCLE_1)
	s_or_b32 exec_lo, exec_lo, s15
	v_and_b32_e32 v50, 0xe0, v97
	s_mov_b32 s10, exec_lo
	; wave barrier
	ds_store_b64 v98, v[22:23]
	ds_store_b64 v113, v[24:25]
	v_or_b32_e32 v32, 16, v50
	ds_store_b64 v101, v[18:19]
	ds_store_b64 v102, v[20:21]
	;; [unrolled: 1-line block ×6, first 2 shown]
	; wave barrier
	v_min_u32_e32 v114, v96, v32
	v_and_b32_e32 v32, 24, v97
	s_delay_alu instid0(VALU_DEP_2) | instskip(NEXT) | instid1(VALU_DEP_2)
	v_add_min_u32_e64 v115, v114, 16, v96
	v_min_u32_e32 v51, v96, v32
	v_sub_nc_u32_e32 v33, v114, v50
	s_delay_alu instid0(VALU_DEP_3) | instskip(NEXT) | instid1(VALU_DEP_2)
	v_sub_nc_u32_e32 v32, v115, v114
	v_min_u32_e32 v53, v51, v33
	s_delay_alu instid0(VALU_DEP_2) | instskip(NEXT) | instid1(VALU_DEP_1)
	v_sub_nc_u32_e64 v52, v51, v32 clamp
	v_cmpx_lt_u32_e64 v52, v53
	s_cbranch_execz .LBB1115_749
; %bb.738:
	v_dual_mov_b32 v35, 0 :: v_dual_lshlrev_b32 v34, 3, v50
	s_mov_b32 s11, 0
	s_delay_alu instid0(VALU_DEP_1) | instskip(SKIP_1) | instid1(VALU_DEP_1)
	v_add_nc_u64_e32 v[32:33], v[30:31], v[34:35]
	v_lshlrev_b32_e32 v34, 3, v114
	v_add_nc_u64_e32 v[34:35], v[30:31], v[34:35]
	s_branch .LBB1115_741
.LBB1115_739:                           ;   in Loop: Header=BB1115_741 Depth=1
	s_or_b32 exec_lo, exec_lo, s16
	s_delay_alu instid0(SALU_CYCLE_1)
	s_and_b32 s9, s17, exec_lo
.LBB1115_740:                           ;   in Loop: Header=BB1115_741 Depth=1
	s_or_b32 exec_lo, exec_lo, s15
	s_delay_alu instid0(VALU_DEP_1) | instskip(NEXT) | instid1(VALU_DEP_1)
	v_dual_add_nc_u32 v35, 1, v33 :: v_dual_cndmask_b32 v53, v53, v33, s9
	v_cndmask_b32_e64 v52, v35, v52, s9
	s_delay_alu instid0(VALU_DEP_1) | instskip(SKIP_1) | instid1(SALU_CYCLE_1)
	v_cmp_ge_u32_e64 s9, v52, v53
	s_or_b32 s11, s9, s11
	s_and_not1_b32 exec_lo, exec_lo, s11
	s_cbranch_execz .LBB1115_748
.LBB1115_741:                           ; =>This Loop Header: Depth=1
                                        ;     Child Loop BB1115_744 Depth 2
	v_add_nc_u32_e32 v33, v53, v52
	s_mov_b32 s9, 0
	s_delay_alu instid0(VALU_DEP_1)
	v_lshrrev_b32_e32 v33, 1, v33
	s_and_saveexec_b32 s15, s7
	s_cbranch_execz .LBB1115_740
; %bb.742:                              ;   in Loop: Header=BB1115_741 Depth=1
	s_delay_alu instid0(VALU_DEP_1) | instskip(SKIP_2) | instid1(VALU_DEP_2)
	v_xad_u32 v35, v33, -1, v51
	v_lshl_add_u32 v36, v33, 3, v32
	s_mov_b32 s16, 0
                                        ; implicit-def: $sgpr17
                                        ; implicit-def: $sgpr18
                                        ; implicit-def: $sgpr21
	v_lshl_add_u32 v35, v35, 3, v34
	ds_load_b64 v[48:49], v36
	ds_load_b64 v[54:55], v35
	s_wait_dscnt 0x1
	v_mad_nc_u64_u32 v[36:37], v2, v48, v[8:9]
	s_wait_dscnt 0x0
	v_mad_nc_u64_u32 v[38:39], v2, v54, v[8:9]
	s_delay_alu instid0(VALU_DEP_2) | instskip(NEXT) | instid1(VALU_DEP_2)
	v_mad_u32 v35, v3, v48, v37
	v_mad_u32 v39, v3, v54, v39
	s_delay_alu instid0(VALU_DEP_2) | instskip(NEXT) | instid1(VALU_DEP_2)
	v_mad_u32 v37, v2, v49, v35
	v_mad_u32 v39, v2, v55, v39
	v_mov_b64_e32 v[48:49], v[6:7]
	s_branch .LBB1115_744
.LBB1115_743:                           ;   in Loop: Header=BB1115_744 Depth=2
	s_or_b32 exec_lo, exec_lo, s21
	s_delay_alu instid0(SALU_CYCLE_1) | instskip(SKIP_4) | instid1(SALU_CYCLE_1)
	s_and_b32 s9, exec_lo, s20
	s_mov_b32 s21, s19
	s_or_b32 s16, s9, s16
	s_and_not1_b32 s9, s17, exec_lo
	s_and_b32 s17, s18, exec_lo
	s_or_b32 s17, s9, s17
	s_and_not1_b32 exec_lo, exec_lo, s16
	s_cbranch_execz .LBB1115_739
.LBB1115_744:                           ;   Parent Loop BB1115_741 Depth=1
                                        ; =>  This Inner Loop Header: Depth=2
	flat_load_u16 v35, v[38:39]
	flat_load_u16 v54, v[36:37]
	s_mov_b32 s20, -1
	s_mov_b32 s22, 0
	s_mov_b32 s19, -1
	s_mov_b32 s23, exec_lo
	s_wait_loadcnt_dscnt 0x0
	v_dual_lshlrev_b32 v35, 16, v35 :: v_dual_lshlrev_b32 v54, 16, v54
	s_delay_alu instid0(VALU_DEP_1)
	v_cmpx_nlt_f32_e32 v35, v54
; %bb.745:                              ;   in Loop: Header=BB1115_744 Depth=2
	v_cmp_ngt_f32_e64 s9, v35, v54
	s_and_b32 s19, s9, s21
	s_and_b32 s22, s9, exec_lo
	s_or_not1_b32 s19, s19, exec_lo
; %bb.746:                              ;   in Loop: Header=BB1115_744 Depth=2
	s_or_b32 exec_lo, exec_lo, s23
	s_delay_alu instid0(SALU_CYCLE_1) | instskip(SKIP_1) | instid1(SALU_CYCLE_1)
	s_and_not1_b32 s9, s18, exec_lo
	s_and_b32 s18, s19, exec_lo
	s_or_b32 s18, s9, s18
	s_and_saveexec_b32 s21, s22
	s_cbranch_execz .LBB1115_743
; %bb.747:                              ;   in Loop: Header=BB1115_744 Depth=2
	v_add_nc_u64_e32 v[48:49], -1, v[48:49]
	v_add_nc_u64_e32 v[36:37], 2, v[36:37]
	v_add_nc_u64_e32 v[38:39], 2, v[38:39]
	s_and_not1_b32 s18, s18, exec_lo
	s_delay_alu instid0(VALU_DEP_3)
	v_cmp_eq_u64_e64 s9, 0, v[48:49]
	s_or_not1_b32 s20, s9, exec_lo
	s_branch .LBB1115_743
.LBB1115_748:
	s_or_b32 exec_lo, exec_lo, s11
.LBB1115_749:
	s_delay_alu instid0(SALU_CYCLE_1) | instskip(SKIP_1) | instid1(VALU_DEP_1)
	s_or_b32 exec_lo, exec_lo, s10
	v_dual_add_nc_u32 v33, v114, v51 :: v_dual_add_nc_u32 v32, v52, v50
	v_sub_nc_u32_e32 v33, v33, v52
	s_delay_alu instid0(VALU_DEP_2) | instskip(NEXT) | instid1(VALU_DEP_2)
	v_cmp_le_u32_e64 s9, v32, v114
	v_cmp_le_u32_e64 s10, v33, v115
	s_or_b32 s9, s9, s10
	s_delay_alu instid0(SALU_CYCLE_1)
	s_and_saveexec_b32 s15, s9
	s_cbranch_execz .LBB1115_929
; %bb.750:
	v_cmp_ge_u32_e64 s9, v32, v114
	s_mov_b32 s11, exec_lo
                                        ; implicit-def: $vgpr10_vgpr11
	v_cmpx_lt_u32_e64 v32, v114
; %bb.751:
	v_lshl_add_u32 v10, v32, 3, v30
	ds_load_b64 v[10:11], v10
; %bb.752:
	s_or_b32 exec_lo, exec_lo, s11
	v_cmp_ge_u32_e64 s10, v33, v115
	s_mov_b32 s16, exec_lo
                                        ; implicit-def: $vgpr12_vgpr13
	v_cmpx_lt_u32_e64 v33, v115
; %bb.753:
	v_lshl_add_u32 v12, v33, 3, v30
	ds_load_b64 v[12:13], v12
; %bb.754:
	s_or_b32 exec_lo, exec_lo, s16
	s_or_b32 s11, s9, s10
	s_xor_b32 s9, s9, -1
	s_nor_b32 s16, s11, s8
	s_or_b32 s10, s10, s9
	s_and_saveexec_b32 s11, s16
	s_cbranch_execz .LBB1115_762
; %bb.755:
	s_wait_dscnt 0x0
	v_mul_u64_e32 v[14:15], v[10:11], v[6:7]
	v_mul_u64_e32 v[16:17], v[12:13], v[6:7]
	v_mov_b64_e32 v[18:19], v[6:7]
	s_mov_b32 s16, 0
                                        ; implicit-def: $sgpr17
                                        ; implicit-def: $sgpr18
                                        ; implicit-def: $sgpr21
	s_delay_alu instid0(VALU_DEP_3) | instskip(NEXT) | instid1(VALU_DEP_3)
	v_lshl_add_u64 v[14:15], v[14:15], 1, v[8:9]
	v_lshl_add_u64 v[16:17], v[16:17], 1, v[8:9]
	s_branch .LBB1115_757
.LBB1115_756:                           ;   in Loop: Header=BB1115_757 Depth=1
	s_or_b32 exec_lo, exec_lo, s21
	s_delay_alu instid0(SALU_CYCLE_1) | instskip(SKIP_4) | instid1(SALU_CYCLE_1)
	s_and_b32 s9, exec_lo, s20
	s_mov_b32 s21, s19
	s_or_b32 s16, s9, s16
	s_and_not1_b32 s9, s17, exec_lo
	s_and_b32 s17, s18, exec_lo
	s_or_b32 s17, s9, s17
	s_and_not1_b32 exec_lo, exec_lo, s16
	s_cbranch_execz .LBB1115_761
.LBB1115_757:                           ; =>This Inner Loop Header: Depth=1
	flat_load_u16 v20, v[16:17]
	flat_load_u16 v21, v[14:15]
	s_mov_b32 s20, -1
	s_mov_b32 s22, 0
	s_mov_b32 s19, -1
	s_mov_b32 s23, exec_lo
	s_wait_loadcnt_dscnt 0x0
	v_dual_lshlrev_b32 v20, 16, v20 :: v_dual_lshlrev_b32 v21, 16, v21
	s_delay_alu instid0(VALU_DEP_1)
	v_cmpx_nlt_f32_e32 v20, v21
; %bb.758:                              ;   in Loop: Header=BB1115_757 Depth=1
	v_cmp_ngt_f32_e64 s9, v20, v21
	s_and_b32 s19, s9, s21
	s_and_b32 s22, s9, exec_lo
	s_or_not1_b32 s19, s19, exec_lo
; %bb.759:                              ;   in Loop: Header=BB1115_757 Depth=1
	s_or_b32 exec_lo, exec_lo, s23
	s_delay_alu instid0(SALU_CYCLE_1) | instskip(SKIP_1) | instid1(SALU_CYCLE_1)
	s_and_not1_b32 s9, s18, exec_lo
	s_and_b32 s18, s19, exec_lo
	s_or_b32 s18, s9, s18
	s_and_saveexec_b32 s21, s22
	s_cbranch_execz .LBB1115_756
; %bb.760:                              ;   in Loop: Header=BB1115_757 Depth=1
	v_add_nc_u64_e32 v[18:19], -1, v[18:19]
	v_add_nc_u64_e32 v[14:15], 2, v[14:15]
	v_add_nc_u64_e32 v[16:17], 2, v[16:17]
	s_and_not1_b32 s18, s18, exec_lo
	s_delay_alu instid0(VALU_DEP_3)
	v_cmp_eq_u64_e64 s9, 0, v[18:19]
	s_or_not1_b32 s20, s9, exec_lo
	s_branch .LBB1115_756
.LBB1115_761:
	s_or_b32 exec_lo, exec_lo, s16
	s_xor_b32 s9, s17, -1
	s_and_not1_b32 s10, s10, exec_lo
	s_and_b32 s9, s9, exec_lo
	s_delay_alu instid0(SALU_CYCLE_1)
	s_or_b32 s10, s10, s9
.LBB1115_762:
	s_or_b32 exec_lo, exec_lo, s11
	v_dual_cndmask_b32 v14, v33, v32, s10 :: v_dual_cndmask_b32 v15, v115, v114, s10
	s_mov_b32 s16, -1
	s_mov_b32 s11, -1
	s_mov_b32 s17, exec_lo
	s_delay_alu instid0(VALU_DEP_1) | instskip(NEXT) | instid1(VALU_DEP_1)
	v_add_nc_u32_e32 v16, 1, v14
	v_add_min_u32_e64 v14, v15, -1, v16
	s_delay_alu instid0(VALU_DEP_1)
	v_lshl_add_u32 v14, v14, 3, v30
	ds_load_b64 v[14:15], v14
	s_wait_dscnt 0x0
	v_cndmask_b32_e64 v23, v15, v13, s10
	v_dual_cndmask_b32 v20, v16, v33, s10 :: v_dual_cndmask_b32 v22, v14, v12, s10
	v_dual_cndmask_b32 v21, v32, v16, s10 :: v_dual_cndmask_b32 v25, v11, v15, s10
	v_cndmask_b32_e64 v24, v10, v14, s10
	s_delay_alu instid0(VALU_DEP_3)
	v_cmpx_lt_u32_e64 v20, v115
	s_cbranch_execz .LBB1115_808
; %bb.763:
	s_delay_alu instid0(VALU_DEP_3) | instskip(SKIP_1) | instid1(SALU_CYCLE_1)
	v_cmp_lt_u32_e64 s11, v21, v114
	s_and_b32 s9, s11, s14
	s_and_saveexec_b32 s18, s9
	s_cbranch_execz .LBB1115_807
; %bb.764:
	v_mul_u64_e32 v[14:15], v[24:25], v[6:7]
	v_mul_u64_e32 v[16:17], v[22:23], v[6:7]
	v_mov_b64_e32 v[18:19], v[6:7]
	s_mov_b32 s19, 0
                                        ; implicit-def: $sgpr20
                                        ; implicit-def: $sgpr21
                                        ; implicit-def: $sgpr24
	s_delay_alu instid0(VALU_DEP_3) | instskip(NEXT) | instid1(VALU_DEP_3)
	v_lshl_add_u64 v[14:15], v[14:15], 1, v[8:9]
	v_lshl_add_u64 v[16:17], v[16:17], 1, v[8:9]
	s_branch .LBB1115_766
.LBB1115_765:                           ;   in Loop: Header=BB1115_766 Depth=1
	s_or_b32 exec_lo, exec_lo, s24
	s_delay_alu instid0(SALU_CYCLE_1) | instskip(SKIP_4) | instid1(SALU_CYCLE_1)
	s_and_b32 s9, exec_lo, s23
	s_mov_b32 s24, s22
	s_or_b32 s19, s9, s19
	s_and_not1_b32 s9, s20, exec_lo
	s_and_b32 s20, s21, exec_lo
	s_or_b32 s20, s9, s20
	s_and_not1_b32 exec_lo, exec_lo, s19
	s_cbranch_execz .LBB1115_806
.LBB1115_766:                           ; =>This Inner Loop Header: Depth=1
	flat_load_u16 v32, v[16:17]
	flat_load_u16 v33, v[14:15]
	s_mov_b32 s23, -1
	s_mov_b32 s25, 0
	s_mov_b32 s22, -1
	s_mov_b32 s26, exec_lo
	s_wait_loadcnt_dscnt 0x0
	v_dual_lshlrev_b32 v32, 16, v32 :: v_dual_lshlrev_b32 v33, 16, v33
	s_delay_alu instid0(VALU_DEP_1)
	v_cmpx_nlt_f32_e32 v32, v33
; %bb.767:                              ;   in Loop: Header=BB1115_766 Depth=1
	v_cmp_ngt_f32_e64 s9, v32, v33
	s_and_b32 s22, s9, s24
	s_and_b32 s25, s9, exec_lo
	s_or_not1_b32 s22, s22, exec_lo
; %bb.768:                              ;   in Loop: Header=BB1115_766 Depth=1
	s_or_b32 exec_lo, exec_lo, s26
	s_delay_alu instid0(SALU_CYCLE_1) | instskip(SKIP_1) | instid1(SALU_CYCLE_1)
	s_and_not1_b32 s9, s21, exec_lo
	s_and_b32 s21, s22, exec_lo
	s_or_b32 s21, s9, s21
	s_and_saveexec_b32 s24, s25
	s_cbranch_execz .LBB1115_765
; %bb.769:                              ;   in Loop: Header=BB1115_766 Depth=1
	v_add_nc_u64_e32 v[18:19], -1, v[18:19]
	v_add_nc_u64_e32 v[14:15], 2, v[14:15]
	v_add_nc_u64_e32 v[16:17], 2, v[16:17]
	s_and_not1_b32 s21, s21, exec_lo
	s_delay_alu instid0(VALU_DEP_3)
	v_cmp_eq_u64_e64 s9, 0, v[18:19]
	s_or_not1_b32 s23, s9, exec_lo
	s_branch .LBB1115_765
.LBB1115_770:
	s_or_b32 exec_lo, exec_lo, s6
	v_dual_cndmask_b32 v31, v3, v25, s7 :: v_dual_cndmask_b32 v30, v2, v24, s7
.LBB1115_771:
	s_or_b32 exec_lo, exec_lo, s3
	s_delay_alu instid0(VALU_DEP_1)
	v_mov_b64_e32 v[2:3], v[30:31]
.LBB1115_772:
	s_or_b32 exec_lo, exec_lo, s2
.LBB1115_773:
	s_delay_alu instid0(SALU_CYCLE_1)
	s_or_b32 exec_lo, exec_lo, s5
	v_and_b32_e32 v48, 0xe0, v86
	s_mov_b32 s2, exec_lo
	; wave barrier
	ds_store_b64 v87, v[18:19]
	ds_store_b64 v102, v[20:21]
	v_or_b32_e32 v24, 16, v48
	ds_store_b64 v98, v[14:15]
	ds_store_b64 v99, v[16:17]
	;; [unrolled: 1-line block ×6, first 2 shown]
	; wave barrier
	v_min_u32_e32 v103, v85, v24
	v_and_b32_e32 v24, 24, v86
	s_delay_alu instid0(VALU_DEP_2) | instskip(NEXT) | instid1(VALU_DEP_2)
	v_add_min_u32_e64 v112, v103, 16, v85
	v_min_u32_e32 v49, v85, v24
	s_delay_alu instid0(VALU_DEP_2) | instskip(NEXT) | instid1(VALU_DEP_1)
	v_dual_sub_nc_u32 v25, v103, v48 :: v_dual_sub_nc_u32 v24, v112, v103
	v_min_u32_e32 v51, v49, v25
	s_delay_alu instid0(VALU_DEP_2) | instskip(NEXT) | instid1(VALU_DEP_1)
	v_sub_nc_u32_e64 v50, v49, v24 clamp
	v_cmpx_lt_u32_e64 v50, v51
	s_cbranch_execz .LBB1115_785
; %bb.774:
	v_dual_mov_b32 v31, 0 :: v_dual_lshlrev_b32 v30, 3, v48
	v_lshlrev_b64_e32 v[32:33], 1, v[6:7]
	s_mov_b32 s3, 0
	s_delay_alu instid0(VALU_DEP_2) | instskip(SKIP_1) | instid1(VALU_DEP_1)
	v_add_nc_u64_e32 v[24:25], v[22:23], v[30:31]
	v_lshlrev_b32_e32 v30, 3, v103
	v_add_nc_u64_e32 v[30:31], v[22:23], v[30:31]
	s_branch .LBB1115_777
.LBB1115_775:                           ;   in Loop: Header=BB1115_777 Depth=1
	s_or_b32 exec_lo, exec_lo, s6
	s_delay_alu instid0(SALU_CYCLE_1)
	s_and_b32 s1, s7, exec_lo
.LBB1115_776:                           ;   in Loop: Header=BB1115_777 Depth=1
	s_or_b32 exec_lo, exec_lo, s5
	s_delay_alu instid0(VALU_DEP_1) | instskip(NEXT) | instid1(VALU_DEP_1)
	v_dual_add_nc_u32 v31, 1, v25 :: v_dual_cndmask_b32 v51, v51, v25, s1
	v_cndmask_b32_e64 v50, v31, v50, s1
	s_delay_alu instid0(VALU_DEP_1) | instskip(SKIP_1) | instid1(SALU_CYCLE_1)
	v_cmp_ge_u32_e64 s1, v50, v51
	s_or_b32 s3, s1, s3
	s_and_not1_b32 exec_lo, exec_lo, s3
	s_cbranch_execz .LBB1115_784
.LBB1115_777:                           ; =>This Loop Header: Depth=1
                                        ;     Child Loop BB1115_780 Depth 2
	v_add_nc_u32_e32 v25, v51, v50
	s_mov_b32 s1, 0
	s_delay_alu instid0(VALU_DEP_1)
	v_lshrrev_b32_e32 v25, 1, v25
	s_and_saveexec_b32 s5, vcc_lo
	s_cbranch_execz .LBB1115_776
; %bb.778:                              ;   in Loop: Header=BB1115_777 Depth=1
	s_delay_alu instid0(VALU_DEP_1) | instskip(SKIP_2) | instid1(VALU_DEP_2)
	v_xad_u32 v31, v25, -1, v49
	v_lshl_add_u32 v34, v25, 3, v24
	s_mov_b32 s6, 0
                                        ; implicit-def: $sgpr7
                                        ; implicit-def: $sgpr11
                                        ; implicit-def: $sgpr14
	v_lshl_add_u32 v31, v31, 3, v30
	ds_load_b64 v[38:39], v34
	ds_load_b64 v[52:53], v31
	s_wait_dscnt 0x1
	v_mad_nc_u64_u32 v[34:35], v32, v38, v[8:9]
	s_wait_dscnt 0x0
	v_mad_nc_u64_u32 v[36:37], v32, v52, v[8:9]
	s_delay_alu instid0(VALU_DEP_2) | instskip(NEXT) | instid1(VALU_DEP_2)
	v_mad_u32 v31, v33, v38, v35
	v_mad_u32 v37, v33, v52, v37
	s_delay_alu instid0(VALU_DEP_2) | instskip(NEXT) | instid1(VALU_DEP_2)
	v_mad_u32 v35, v32, v39, v31
	v_mad_u32 v37, v32, v53, v37
	v_mov_b64_e32 v[38:39], v[6:7]
	s_branch .LBB1115_780
.LBB1115_779:                           ;   in Loop: Header=BB1115_780 Depth=2
	s_or_b32 exec_lo, exec_lo, s14
	s_delay_alu instid0(SALU_CYCLE_1) | instskip(SKIP_4) | instid1(SALU_CYCLE_1)
	s_and_b32 s1, exec_lo, s13
	s_mov_b32 s14, s12
	s_or_b32 s6, s1, s6
	s_and_not1_b32 s1, s7, exec_lo
	s_and_b32 s7, s11, exec_lo
	s_or_b32 s7, s1, s7
	s_and_not1_b32 exec_lo, exec_lo, s6
	s_cbranch_execz .LBB1115_775
.LBB1115_780:                           ;   Parent Loop BB1115_777 Depth=1
                                        ; =>  This Inner Loop Header: Depth=2
	flat_load_u16 v31, v[36:37]
	flat_load_u16 v52, v[34:35]
	s_mov_b32 s13, -1
	s_mov_b32 s15, 0
	s_mov_b32 s12, -1
	s_mov_b32 s16, exec_lo
	s_wait_loadcnt_dscnt 0x0
	v_dual_lshlrev_b32 v31, 16, v31 :: v_dual_lshlrev_b32 v52, 16, v52
	s_delay_alu instid0(VALU_DEP_1)
	v_cmpx_nlt_f32_e32 v31, v52
; %bb.781:                              ;   in Loop: Header=BB1115_780 Depth=2
	v_cmp_ngt_f32_e64 s1, v31, v52
	s_and_b32 s12, s1, s14
	s_and_b32 s15, s1, exec_lo
	s_or_not1_b32 s12, s12, exec_lo
; %bb.782:                              ;   in Loop: Header=BB1115_780 Depth=2
	s_or_b32 exec_lo, exec_lo, s16
	s_delay_alu instid0(SALU_CYCLE_1) | instskip(SKIP_1) | instid1(SALU_CYCLE_1)
	s_and_not1_b32 s1, s11, exec_lo
	s_and_b32 s11, s12, exec_lo
	s_or_b32 s11, s1, s11
	s_and_saveexec_b32 s14, s15
	s_cbranch_execz .LBB1115_779
; %bb.783:                              ;   in Loop: Header=BB1115_780 Depth=2
	v_add_nc_u64_e32 v[38:39], -1, v[38:39]
	v_add_nc_u64_e32 v[34:35], 2, v[34:35]
	v_add_nc_u64_e32 v[36:37], 2, v[36:37]
	s_and_not1_b32 s11, s11, exec_lo
	s_delay_alu instid0(VALU_DEP_3)
	v_cmp_eq_u64_e64 s1, 0, v[38:39]
	s_or_not1_b32 s13, s1, exec_lo
	s_branch .LBB1115_779
.LBB1115_784:
	s_or_b32 exec_lo, exec_lo, s3
.LBB1115_785:
	s_delay_alu instid0(SALU_CYCLE_1) | instskip(SKIP_1) | instid1(VALU_DEP_1)
	s_or_b32 exec_lo, exec_lo, s2
	v_dual_add_nc_u32 v25, v103, v49 :: v_dual_add_nc_u32 v24, v50, v48
	v_sub_nc_u32_e32 v25, v25, v50
	s_delay_alu instid0(VALU_DEP_2) | instskip(NEXT) | instid1(VALU_DEP_2)
	v_cmp_le_u32_e64 s1, v24, v103
	v_cmp_le_u32_e64 s2, v25, v112
	s_or_b32 s1, s1, s2
	s_delay_alu instid0(SALU_CYCLE_1)
	s_and_saveexec_b32 s5, s1
	s_cbranch_execz .LBB1115_965
; %bb.786:
	v_cmp_ge_u32_e64 s1, v24, v103
	s_mov_b32 s3, exec_lo
                                        ; implicit-def: $vgpr0_vgpr1
	v_cmpx_lt_u32_e64 v24, v103
; %bb.787:
	v_lshl_add_u32 v0, v24, 3, v22
	ds_load_b64 v[0:1], v0
; %bb.788:
	s_or_b32 exec_lo, exec_lo, s3
	v_cmp_ge_u32_e64 s2, v25, v112
	s_mov_b32 s6, exec_lo
                                        ; implicit-def: $vgpr2_vgpr3
	v_cmpx_lt_u32_e64 v25, v112
; %bb.789:
	v_lshl_add_u32 v2, v25, 3, v22
	ds_load_b64 v[2:3], v2
; %bb.790:
	s_or_b32 exec_lo, exec_lo, s6
	s_or_b32 s3, s1, s2
	s_xor_b32 s1, s1, -1
	s_nor_b32 s6, s3, s0
	s_or_b32 s2, s2, s1
	s_and_saveexec_b32 s3, s6
	s_cbranch_execz .LBB1115_798
; %bb.791:
	s_wait_dscnt 0x0
	v_mul_u64_e32 v[10:11], v[0:1], v[6:7]
	v_mul_u64_e32 v[12:13], v[2:3], v[6:7]
	v_mov_b64_e32 v[14:15], v[6:7]
	s_mov_b32 s6, 0
                                        ; implicit-def: $sgpr7
                                        ; implicit-def: $sgpr11
                                        ; implicit-def: $sgpr14
	s_delay_alu instid0(VALU_DEP_3) | instskip(NEXT) | instid1(VALU_DEP_3)
	v_lshl_add_u64 v[10:11], v[10:11], 1, v[8:9]
	v_lshl_add_u64 v[12:13], v[12:13], 1, v[8:9]
	s_branch .LBB1115_793
.LBB1115_792:                           ;   in Loop: Header=BB1115_793 Depth=1
	s_or_b32 exec_lo, exec_lo, s14
	s_delay_alu instid0(SALU_CYCLE_1) | instskip(SKIP_4) | instid1(SALU_CYCLE_1)
	s_and_b32 s1, exec_lo, s13
	s_mov_b32 s14, s12
	s_or_b32 s6, s1, s6
	s_and_not1_b32 s1, s7, exec_lo
	s_and_b32 s7, s11, exec_lo
	s_or_b32 s7, s1, s7
	s_and_not1_b32 exec_lo, exec_lo, s6
	s_cbranch_execz .LBB1115_797
.LBB1115_793:                           ; =>This Inner Loop Header: Depth=1
	flat_load_u16 v16, v[12:13]
	flat_load_u16 v17, v[10:11]
	s_mov_b32 s13, -1
	s_mov_b32 s15, 0
	s_mov_b32 s12, -1
	s_mov_b32 s16, exec_lo
	s_wait_loadcnt_dscnt 0x0
	v_dual_lshlrev_b32 v16, 16, v16 :: v_dual_lshlrev_b32 v17, 16, v17
	s_delay_alu instid0(VALU_DEP_1)
	v_cmpx_nlt_f32_e32 v16, v17
; %bb.794:                              ;   in Loop: Header=BB1115_793 Depth=1
	v_cmp_ngt_f32_e64 s1, v16, v17
	s_and_b32 s12, s1, s14
	s_and_b32 s15, s1, exec_lo
	s_or_not1_b32 s12, s12, exec_lo
; %bb.795:                              ;   in Loop: Header=BB1115_793 Depth=1
	s_or_b32 exec_lo, exec_lo, s16
	s_delay_alu instid0(SALU_CYCLE_1) | instskip(SKIP_1) | instid1(SALU_CYCLE_1)
	s_and_not1_b32 s1, s11, exec_lo
	s_and_b32 s11, s12, exec_lo
	s_or_b32 s11, s1, s11
	s_and_saveexec_b32 s14, s15
	s_cbranch_execz .LBB1115_792
; %bb.796:                              ;   in Loop: Header=BB1115_793 Depth=1
	v_add_nc_u64_e32 v[14:15], -1, v[14:15]
	v_add_nc_u64_e32 v[10:11], 2, v[10:11]
	v_add_nc_u64_e32 v[12:13], 2, v[12:13]
	s_and_not1_b32 s11, s11, exec_lo
	s_delay_alu instid0(VALU_DEP_3)
	v_cmp_eq_u64_e64 s1, 0, v[14:15]
	s_or_not1_b32 s13, s1, exec_lo
	s_branch .LBB1115_792
.LBB1115_797:
	s_or_b32 exec_lo, exec_lo, s6
	s_xor_b32 s1, s7, -1
	s_and_not1_b32 s2, s2, exec_lo
	s_and_b32 s1, s1, exec_lo
	s_delay_alu instid0(SALU_CYCLE_1)
	s_or_b32 s2, s2, s1
.LBB1115_798:
	s_or_b32 exec_lo, exec_lo, s3
	v_dual_cndmask_b32 v10, v25, v24, s2 :: v_dual_cndmask_b32 v11, v112, v103, s2
	s_mov_b32 s6, -1
	s_mov_b32 s3, -1
	s_mov_b32 s7, exec_lo
	s_delay_alu instid0(VALU_DEP_1) | instskip(NEXT) | instid1(VALU_DEP_1)
	v_add_nc_u32_e32 v12, 1, v10
	v_add_min_u32_e64 v10, v11, -1, v12
	s_delay_alu instid0(VALU_DEP_1)
	v_lshl_add_u32 v10, v10, 3, v22
	ds_load_b64 v[10:11], v10
	s_wait_dscnt 0x0
	v_dual_cndmask_b32 v19, v11, v3, s2 :: v_dual_cndmask_b32 v16, v12, v25, s2
	v_dual_cndmask_b32 v18, v10, v2, s2 :: v_dual_cndmask_b32 v17, v24, v12, s2
	;; [unrolled: 1-line block ×3, first 2 shown]
	s_delay_alu instid0(VALU_DEP_3)
	v_cmpx_lt_u32_e64 v16, v112
	s_cbranch_execz .LBB1115_818
; %bb.799:
	s_delay_alu instid0(VALU_DEP_3) | instskip(SKIP_1) | instid1(SALU_CYCLE_1)
	v_cmp_lt_u32_e64 s3, v17, v103
	s_xor_b32 s1, s0, -1
	s_and_b32 s1, s3, s1
	s_delay_alu instid0(SALU_CYCLE_1)
	s_and_saveexec_b32 s11, s1
	s_cbranch_execz .LBB1115_817
; %bb.800:
	v_mul_u64_e32 v[10:11], v[20:21], v[6:7]
	v_mul_u64_e32 v[12:13], v[18:19], v[6:7]
	v_mov_b64_e32 v[14:15], v[6:7]
	s_mov_b32 s12, 0
                                        ; implicit-def: $sgpr13
                                        ; implicit-def: $sgpr14
                                        ; implicit-def: $sgpr17
	s_delay_alu instid0(VALU_DEP_3) | instskip(NEXT) | instid1(VALU_DEP_3)
	v_lshl_add_u64 v[10:11], v[10:11], 1, v[8:9]
	v_lshl_add_u64 v[12:13], v[12:13], 1, v[8:9]
	s_branch .LBB1115_802
.LBB1115_801:                           ;   in Loop: Header=BB1115_802 Depth=1
	s_or_b32 exec_lo, exec_lo, s17
	s_delay_alu instid0(SALU_CYCLE_1) | instskip(SKIP_4) | instid1(SALU_CYCLE_1)
	s_and_b32 s1, exec_lo, s16
	s_mov_b32 s17, s15
	s_or_b32 s12, s1, s12
	s_and_not1_b32 s1, s13, exec_lo
	s_and_b32 s13, s14, exec_lo
	s_or_b32 s13, s1, s13
	s_and_not1_b32 exec_lo, exec_lo, s12
	s_cbranch_execz .LBB1115_816
.LBB1115_802:                           ; =>This Inner Loop Header: Depth=1
	flat_load_u16 v24, v[12:13]
	flat_load_u16 v25, v[10:11]
	s_mov_b32 s16, -1
	s_mov_b32 s18, 0
	s_mov_b32 s15, -1
	s_mov_b32 s19, exec_lo
	s_wait_loadcnt_dscnt 0x0
	v_dual_lshlrev_b32 v24, 16, v24 :: v_dual_lshlrev_b32 v25, 16, v25
	s_delay_alu instid0(VALU_DEP_1)
	v_cmpx_nlt_f32_e32 v24, v25
; %bb.803:                              ;   in Loop: Header=BB1115_802 Depth=1
	v_cmp_ngt_f32_e64 s1, v24, v25
	s_and_b32 s15, s1, s17
	s_and_b32 s18, s1, exec_lo
	s_or_not1_b32 s15, s15, exec_lo
; %bb.804:                              ;   in Loop: Header=BB1115_802 Depth=1
	s_or_b32 exec_lo, exec_lo, s19
	s_delay_alu instid0(SALU_CYCLE_1) | instskip(SKIP_1) | instid1(SALU_CYCLE_1)
	s_and_not1_b32 s1, s14, exec_lo
	s_and_b32 s14, s15, exec_lo
	s_or_b32 s14, s1, s14
	s_and_saveexec_b32 s17, s18
	s_cbranch_execz .LBB1115_801
; %bb.805:                              ;   in Loop: Header=BB1115_802 Depth=1
	v_add_nc_u64_e32 v[14:15], -1, v[14:15]
	v_add_nc_u64_e32 v[10:11], 2, v[10:11]
	v_add_nc_u64_e32 v[12:13], 2, v[12:13]
	s_and_not1_b32 s14, s14, exec_lo
	s_delay_alu instid0(VALU_DEP_3)
	v_cmp_eq_u64_e64 s1, 0, v[14:15]
	s_or_not1_b32 s16, s1, exec_lo
	s_branch .LBB1115_801
.LBB1115_806:
	s_or_b32 exec_lo, exec_lo, s19
	s_xor_b32 s9, s20, -1
	s_and_not1_b32 s11, s11, exec_lo
	s_and_b32 s9, s9, exec_lo
	s_delay_alu instid0(SALU_CYCLE_1)
	s_or_b32 s11, s11, s9
.LBB1115_807:
	s_or_b32 exec_lo, exec_lo, s18
	s_delay_alu instid0(SALU_CYCLE_1)
	s_or_not1_b32 s11, s11, exec_lo
.LBB1115_808:
	s_or_b32 exec_lo, exec_lo, s17
	v_dual_cndmask_b32 v14, v20, v21, s11 :: v_dual_cndmask_b32 v15, v115, v114, s11
	s_mov_b32 s17, exec_lo
	s_delay_alu instid0(VALU_DEP_1) | instskip(NEXT) | instid1(VALU_DEP_1)
	v_add_nc_u32_e32 v16, 1, v14
	v_add_min_u32_e64 v14, v15, -1, v16
	s_delay_alu instid0(VALU_DEP_1)
	v_lshl_add_u32 v14, v14, 3, v30
	ds_load_b64 v[14:15], v14
	s_wait_dscnt 0x0
	v_dual_cndmask_b32 v19, v15, v23, s11 :: v_dual_cndmask_b32 v34, v16, v20, s11
	v_dual_cndmask_b32 v18, v14, v22, s11 :: v_dual_cndmask_b32 v35, v21, v16, s11
	;; [unrolled: 1-line block ×3, first 2 shown]
	s_delay_alu instid0(VALU_DEP_3)
	v_cmpx_lt_u32_e64 v34, v115
	s_cbranch_execz .LBB1115_828
; %bb.809:
	s_delay_alu instid0(VALU_DEP_3) | instskip(SKIP_1) | instid1(SALU_CYCLE_1)
	v_cmp_lt_u32_e64 s16, v35, v114
	s_and_b32 s9, s16, s14
	s_and_saveexec_b32 s18, s9
	s_cbranch_execz .LBB1115_827
; %bb.810:
	v_mul_u64_e32 v[14:15], v[32:33], v[6:7]
	v_mul_u64_e32 v[16:17], v[18:19], v[6:7]
	v_mov_b64_e32 v[20:21], v[6:7]
	s_mov_b32 s19, 0
                                        ; implicit-def: $sgpr20
                                        ; implicit-def: $sgpr21
                                        ; implicit-def: $sgpr24
	s_delay_alu instid0(VALU_DEP_3) | instskip(NEXT) | instid1(VALU_DEP_3)
	v_lshl_add_u64 v[14:15], v[14:15], 1, v[8:9]
	v_lshl_add_u64 v[16:17], v[16:17], 1, v[8:9]
	s_branch .LBB1115_812
.LBB1115_811:                           ;   in Loop: Header=BB1115_812 Depth=1
	s_or_b32 exec_lo, exec_lo, s24
	s_delay_alu instid0(SALU_CYCLE_1) | instskip(SKIP_4) | instid1(SALU_CYCLE_1)
	s_and_b32 s9, exec_lo, s23
	s_mov_b32 s24, s22
	s_or_b32 s19, s9, s19
	s_and_not1_b32 s9, s20, exec_lo
	s_and_b32 s20, s21, exec_lo
	s_or_b32 s20, s9, s20
	s_and_not1_b32 exec_lo, exec_lo, s19
	s_cbranch_execz .LBB1115_826
.LBB1115_812:                           ; =>This Inner Loop Header: Depth=1
	flat_load_u16 v36, v[16:17]
	flat_load_u16 v37, v[14:15]
	s_mov_b32 s23, -1
	s_mov_b32 s25, 0
	s_mov_b32 s22, -1
	s_mov_b32 s26, exec_lo
	s_wait_loadcnt_dscnt 0x0
	v_dual_lshlrev_b32 v36, 16, v36 :: v_dual_lshlrev_b32 v37, 16, v37
	s_delay_alu instid0(VALU_DEP_1)
	v_cmpx_nlt_f32_e32 v36, v37
; %bb.813:                              ;   in Loop: Header=BB1115_812 Depth=1
	v_cmp_ngt_f32_e64 s9, v36, v37
	s_and_b32 s22, s9, s24
	s_and_b32 s25, s9, exec_lo
	s_or_not1_b32 s22, s22, exec_lo
; %bb.814:                              ;   in Loop: Header=BB1115_812 Depth=1
	s_or_b32 exec_lo, exec_lo, s26
	s_delay_alu instid0(SALU_CYCLE_1) | instskip(SKIP_1) | instid1(SALU_CYCLE_1)
	s_and_not1_b32 s9, s21, exec_lo
	s_and_b32 s21, s22, exec_lo
	s_or_b32 s21, s9, s21
	s_and_saveexec_b32 s24, s25
	s_cbranch_execz .LBB1115_811
; %bb.815:                              ;   in Loop: Header=BB1115_812 Depth=1
	v_add_nc_u64_e32 v[20:21], -1, v[20:21]
	v_add_nc_u64_e32 v[14:15], 2, v[14:15]
	v_add_nc_u64_e32 v[16:17], 2, v[16:17]
	s_and_not1_b32 s21, s21, exec_lo
	s_delay_alu instid0(VALU_DEP_3)
	v_cmp_eq_u64_e64 s9, 0, v[20:21]
	s_or_not1_b32 s23, s9, exec_lo
	s_branch .LBB1115_811
.LBB1115_816:
	s_or_b32 exec_lo, exec_lo, s12
	s_xor_b32 s1, s13, -1
	s_and_not1_b32 s3, s3, exec_lo
	s_and_b32 s1, s1, exec_lo
	s_delay_alu instid0(SALU_CYCLE_1)
	s_or_b32 s3, s3, s1
.LBB1115_817:
	s_or_b32 exec_lo, exec_lo, s11
	s_delay_alu instid0(SALU_CYCLE_1)
	s_or_not1_b32 s3, s3, exec_lo
.LBB1115_818:
	s_or_b32 exec_lo, exec_lo, s7
	v_cndmask_b32_e64 v10, v16, v17, s3
	v_cndmask_b32_e64 v11, v112, v103, s3
	s_mov_b32 s7, exec_lo
	s_delay_alu instid0(VALU_DEP_2) | instskip(NEXT) | instid1(VALU_DEP_1)
	v_add_nc_u32_e32 v12, 1, v10
	v_add_min_u32_e64 v10, v11, -1, v12
	v_cndmask_b32_e64 v31, v17, v12, s3
	s_delay_alu instid0(VALU_DEP_2)
	v_lshl_add_u32 v10, v10, 3, v22
	ds_load_b64 v[10:11], v10
	s_wait_dscnt 0x0
	v_dual_cndmask_b32 v30, v12, v16, s3 :: v_dual_cndmask_b32 v15, v11, v19, s3
	v_dual_cndmask_b32 v14, v10, v18, s3 :: v_dual_cndmask_b32 v25, v21, v11, s3
	v_cndmask_b32_e64 v24, v20, v10, s3
	s_delay_alu instid0(VALU_DEP_3)
	v_cmpx_lt_u32_e64 v30, v112
	s_cbranch_execz .LBB1115_838
; %bb.819:
	v_cmp_lt_u32_e64 s6, v31, v103
	s_xor_b32 s1, s0, -1
	s_delay_alu instid0(SALU_CYCLE_1) | instskip(NEXT) | instid1(SALU_CYCLE_1)
	s_and_b32 s1, s6, s1
	s_and_saveexec_b32 s11, s1
	s_cbranch_execz .LBB1115_837
; %bb.820:
	v_mul_u64_e32 v[10:11], v[24:25], v[6:7]
	v_mul_u64_e32 v[12:13], v[14:15], v[6:7]
	v_mov_b64_e32 v[16:17], v[6:7]
	s_mov_b32 s12, 0
                                        ; implicit-def: $sgpr13
                                        ; implicit-def: $sgpr14
                                        ; implicit-def: $sgpr17
	s_delay_alu instid0(VALU_DEP_3) | instskip(NEXT) | instid1(VALU_DEP_3)
	v_lshl_add_u64 v[10:11], v[10:11], 1, v[8:9]
	v_lshl_add_u64 v[12:13], v[12:13], 1, v[8:9]
	s_branch .LBB1115_822
.LBB1115_821:                           ;   in Loop: Header=BB1115_822 Depth=1
	s_or_b32 exec_lo, exec_lo, s17
	s_delay_alu instid0(SALU_CYCLE_1) | instskip(SKIP_4) | instid1(SALU_CYCLE_1)
	s_and_b32 s1, exec_lo, s16
	s_mov_b32 s17, s15
	s_or_b32 s12, s1, s12
	s_and_not1_b32 s1, s13, exec_lo
	s_and_b32 s13, s14, exec_lo
	s_or_b32 s13, s1, s13
	s_and_not1_b32 exec_lo, exec_lo, s12
	s_cbranch_execz .LBB1115_836
.LBB1115_822:                           ; =>This Inner Loop Header: Depth=1
	flat_load_u16 v32, v[12:13]
	flat_load_u16 v33, v[10:11]
	s_mov_b32 s16, -1
	s_mov_b32 s18, 0
	s_mov_b32 s15, -1
	s_mov_b32 s19, exec_lo
	s_wait_loadcnt_dscnt 0x0
	v_dual_lshlrev_b32 v32, 16, v32 :: v_dual_lshlrev_b32 v33, 16, v33
	s_delay_alu instid0(VALU_DEP_1)
	v_cmpx_nlt_f32_e32 v32, v33
; %bb.823:                              ;   in Loop: Header=BB1115_822 Depth=1
	v_cmp_ngt_f32_e64 s1, v32, v33
	s_and_b32 s15, s1, s17
	s_and_b32 s18, s1, exec_lo
	s_or_not1_b32 s15, s15, exec_lo
; %bb.824:                              ;   in Loop: Header=BB1115_822 Depth=1
	s_or_b32 exec_lo, exec_lo, s19
	s_delay_alu instid0(SALU_CYCLE_1) | instskip(SKIP_1) | instid1(SALU_CYCLE_1)
	s_and_not1_b32 s1, s14, exec_lo
	s_and_b32 s14, s15, exec_lo
	s_or_b32 s14, s1, s14
	s_and_saveexec_b32 s17, s18
	s_cbranch_execz .LBB1115_821
; %bb.825:                              ;   in Loop: Header=BB1115_822 Depth=1
	v_add_nc_u64_e32 v[16:17], -1, v[16:17]
	v_add_nc_u64_e32 v[10:11], 2, v[10:11]
	v_add_nc_u64_e32 v[12:13], 2, v[12:13]
	s_and_not1_b32 s14, s14, exec_lo
	s_delay_alu instid0(VALU_DEP_3)
	v_cmp_eq_u64_e64 s1, 0, v[16:17]
	s_or_not1_b32 s16, s1, exec_lo
	s_branch .LBB1115_821
.LBB1115_826:
	s_or_b32 exec_lo, exec_lo, s19
	s_xor_b32 s9, s20, -1
	s_and_not1_b32 s16, s16, exec_lo
	s_and_b32 s9, s9, exec_lo
	s_delay_alu instid0(SALU_CYCLE_1)
	s_or_b32 s16, s16, s9
.LBB1115_827:
	s_or_b32 exec_lo, exec_lo, s18
	s_delay_alu instid0(SALU_CYCLE_1)
	s_or_not1_b32 s16, s16, exec_lo
.LBB1115_828:
	s_or_b32 exec_lo, exec_lo, s17
	v_dual_cndmask_b32 v14, v34, v35, s16 :: v_dual_cndmask_b32 v15, v115, v114, s16
	s_mov_b32 s18, -1
	s_mov_b32 s17, -1
	s_mov_b32 s19, exec_lo
	s_delay_alu instid0(VALU_DEP_1) | instskip(NEXT) | instid1(VALU_DEP_1)
	v_add_nc_u32_e32 v16, 1, v14
	v_add_min_u32_e64 v14, v15, -1, v16
	s_delay_alu instid0(VALU_DEP_1)
	v_lshl_add_u32 v14, v14, 3, v30
	ds_load_b64 v[14:15], v14
	s_wait_dscnt 0x0
	v_dual_cndmask_b32 v21, v15, v19, s16 :: v_dual_cndmask_b32 v38, v16, v34, s16
	v_dual_cndmask_b32 v39, v35, v16, s16 :: v_dual_cndmask_b32 v20, v14, v18, s16
	;; [unrolled: 1-line block ×3, first 2 shown]
	s_delay_alu instid0(VALU_DEP_3)
	v_cmpx_lt_u32_e64 v38, v115
	s_cbranch_execz .LBB1115_848
; %bb.829:
	s_delay_alu instid0(VALU_DEP_3) | instskip(SKIP_1) | instid1(SALU_CYCLE_1)
	v_cmp_lt_u32_e64 s17, v39, v114
	s_and_b32 s9, s17, s14
	s_and_saveexec_b32 s20, s9
	s_cbranch_execz .LBB1115_847
; %bb.830:
	v_mul_u64_e32 v[14:15], v[34:35], v[6:7]
	v_mul_u64_e32 v[16:17], v[20:21], v[6:7]
	v_mov_b64_e32 v[36:37], v[6:7]
	s_mov_b32 s21, 0
                                        ; implicit-def: $sgpr22
                                        ; implicit-def: $sgpr23
                                        ; implicit-def: $sgpr26
	s_delay_alu instid0(VALU_DEP_3) | instskip(NEXT) | instid1(VALU_DEP_3)
	v_lshl_add_u64 v[14:15], v[14:15], 1, v[8:9]
	v_lshl_add_u64 v[16:17], v[16:17], 1, v[8:9]
	s_branch .LBB1115_832
.LBB1115_831:                           ;   in Loop: Header=BB1115_832 Depth=1
	s_or_b32 exec_lo, exec_lo, s26
	s_delay_alu instid0(SALU_CYCLE_1) | instskip(SKIP_4) | instid1(SALU_CYCLE_1)
	s_and_b32 s9, exec_lo, s25
	s_mov_b32 s26, s24
	s_or_b32 s21, s9, s21
	s_and_not1_b32 s9, s22, exec_lo
	s_and_b32 s22, s23, exec_lo
	s_or_b32 s22, s9, s22
	s_and_not1_b32 exec_lo, exec_lo, s21
	s_cbranch_execz .LBB1115_846
.LBB1115_832:                           ; =>This Inner Loop Header: Depth=1
	flat_load_u16 v48, v[16:17]
	flat_load_u16 v49, v[14:15]
	s_mov_b32 s25, -1
	s_mov_b32 s27, 0
	s_mov_b32 s24, -1
	s_mov_b32 s28, exec_lo
	s_wait_loadcnt_dscnt 0x0
	v_dual_lshlrev_b32 v48, 16, v48 :: v_dual_lshlrev_b32 v49, 16, v49
	s_delay_alu instid0(VALU_DEP_1)
	v_cmpx_nlt_f32_e32 v48, v49
; %bb.833:                              ;   in Loop: Header=BB1115_832 Depth=1
	v_cmp_ngt_f32_e64 s9, v48, v49
	s_and_b32 s24, s9, s26
	s_and_b32 s27, s9, exec_lo
	s_or_not1_b32 s24, s24, exec_lo
; %bb.834:                              ;   in Loop: Header=BB1115_832 Depth=1
	s_or_b32 exec_lo, exec_lo, s28
	s_delay_alu instid0(SALU_CYCLE_1) | instskip(SKIP_1) | instid1(SALU_CYCLE_1)
	s_and_not1_b32 s9, s23, exec_lo
	s_and_b32 s23, s24, exec_lo
	s_or_b32 s23, s9, s23
	s_and_saveexec_b32 s26, s27
	s_cbranch_execz .LBB1115_831
; %bb.835:                              ;   in Loop: Header=BB1115_832 Depth=1
	v_add_nc_u64_e32 v[36:37], -1, v[36:37]
	v_add_nc_u64_e32 v[14:15], 2, v[14:15]
	v_add_nc_u64_e32 v[16:17], 2, v[16:17]
	s_and_not1_b32 s23, s23, exec_lo
	s_delay_alu instid0(VALU_DEP_3)
	v_cmp_eq_u64_e64 s9, 0, v[36:37]
	s_or_not1_b32 s25, s9, exec_lo
	s_branch .LBB1115_831
.LBB1115_836:
	s_or_b32 exec_lo, exec_lo, s12
	s_xor_b32 s1, s13, -1
	s_and_not1_b32 s6, s6, exec_lo
	s_and_b32 s1, s1, exec_lo
	s_delay_alu instid0(SALU_CYCLE_1)
	s_or_b32 s6, s6, s1
.LBB1115_837:
	s_or_b32 exec_lo, exec_lo, s11
	s_delay_alu instid0(SALU_CYCLE_1)
	s_or_not1_b32 s6, s6, exec_lo
.LBB1115_838:
	s_or_b32 exec_lo, exec_lo, s7
	v_cndmask_b32_e64 v10, v30, v31, s6
	v_cndmask_b32_e64 v11, v112, v103, s6
	s_mov_b32 s11, -1
	s_mov_b32 s7, -1
	s_mov_b32 s12, exec_lo
	v_add_nc_u32_e32 v12, 1, v10
	s_delay_alu instid0(VALU_DEP_1) | instskip(SKIP_1) | instid1(VALU_DEP_2)
	v_add_min_u32_e64 v10, v11, -1, v12
	v_cndmask_b32_e64 v34, v12, v30, s6
	v_lshl_add_u32 v10, v10, 3, v22
	ds_load_b64 v[10:11], v10
	s_wait_dscnt 0x0
	v_dual_cndmask_b32 v35, v31, v12, s6 :: v_dual_cndmask_b32 v16, v10, v14, s6
	v_dual_cndmask_b32 v17, v11, v15, s6 :: v_dual_cndmask_b32 v30, v24, v10, s6
	v_cndmask_b32_e64 v31, v25, v11, s6
	v_cmpx_lt_u32_e64 v34, v112
	s_cbranch_execz .LBB1115_858
; %bb.839:
	v_cmp_lt_u32_e64 s7, v35, v103
	s_xor_b32 s1, s0, -1
	s_delay_alu instid0(SALU_CYCLE_1) | instskip(NEXT) | instid1(SALU_CYCLE_1)
	s_and_b32 s1, s7, s1
	s_and_saveexec_b32 s13, s1
	s_cbranch_execz .LBB1115_857
; %bb.840:
	v_mul_u64_e32 v[10:11], v[30:31], v[6:7]
	v_mul_u64_e32 v[12:13], v[16:17], v[6:7]
	v_mov_b64_e32 v[32:33], v[6:7]
	s_mov_b32 s14, 0
                                        ; implicit-def: $sgpr15
                                        ; implicit-def: $sgpr16
                                        ; implicit-def: $sgpr19
	s_delay_alu instid0(VALU_DEP_3) | instskip(NEXT) | instid1(VALU_DEP_3)
	v_lshl_add_u64 v[10:11], v[10:11], 1, v[8:9]
	v_lshl_add_u64 v[12:13], v[12:13], 1, v[8:9]
	s_branch .LBB1115_842
.LBB1115_841:                           ;   in Loop: Header=BB1115_842 Depth=1
	s_or_b32 exec_lo, exec_lo, s19
	s_delay_alu instid0(SALU_CYCLE_1) | instskip(SKIP_4) | instid1(SALU_CYCLE_1)
	s_and_b32 s1, exec_lo, s18
	s_mov_b32 s19, s17
	s_or_b32 s14, s1, s14
	s_and_not1_b32 s1, s15, exec_lo
	s_and_b32 s15, s16, exec_lo
	s_or_b32 s15, s1, s15
	s_and_not1_b32 exec_lo, exec_lo, s14
	s_cbranch_execz .LBB1115_856
.LBB1115_842:                           ; =>This Inner Loop Header: Depth=1
	flat_load_u16 v36, v[12:13]
	flat_load_u16 v37, v[10:11]
	s_mov_b32 s18, -1
	s_mov_b32 s20, 0
	s_mov_b32 s17, -1
	s_mov_b32 s21, exec_lo
	s_wait_loadcnt_dscnt 0x0
	v_dual_lshlrev_b32 v36, 16, v36 :: v_dual_lshlrev_b32 v37, 16, v37
	s_delay_alu instid0(VALU_DEP_1)
	v_cmpx_nlt_f32_e32 v36, v37
; %bb.843:                              ;   in Loop: Header=BB1115_842 Depth=1
	v_cmp_ngt_f32_e64 s1, v36, v37
	s_and_b32 s17, s1, s19
	s_and_b32 s20, s1, exec_lo
	s_or_not1_b32 s17, s17, exec_lo
; %bb.844:                              ;   in Loop: Header=BB1115_842 Depth=1
	s_or_b32 exec_lo, exec_lo, s21
	s_delay_alu instid0(SALU_CYCLE_1) | instskip(SKIP_1) | instid1(SALU_CYCLE_1)
	s_and_not1_b32 s1, s16, exec_lo
	s_and_b32 s16, s17, exec_lo
	s_or_b32 s16, s1, s16
	s_and_saveexec_b32 s19, s20
	s_cbranch_execz .LBB1115_841
; %bb.845:                              ;   in Loop: Header=BB1115_842 Depth=1
	v_add_nc_u64_e32 v[32:33], -1, v[32:33]
	v_add_nc_u64_e32 v[10:11], 2, v[10:11]
	v_add_nc_u64_e32 v[12:13], 2, v[12:13]
	s_and_not1_b32 s16, s16, exec_lo
	s_delay_alu instid0(VALU_DEP_3)
	v_cmp_eq_u64_e64 s1, 0, v[32:33]
	s_or_not1_b32 s18, s1, exec_lo
	s_branch .LBB1115_841
.LBB1115_846:
	s_or_b32 exec_lo, exec_lo, s21
	s_xor_b32 s9, s22, -1
	s_and_not1_b32 s17, s17, exec_lo
	s_and_b32 s9, s9, exec_lo
	s_delay_alu instid0(SALU_CYCLE_1)
	s_or_b32 s17, s17, s9
.LBB1115_847:
	s_or_b32 exec_lo, exec_lo, s20
	s_delay_alu instid0(SALU_CYCLE_1)
	s_or_not1_b32 s17, s17, exec_lo
.LBB1115_848:
	s_or_b32 exec_lo, exec_lo, s19
	v_dual_cndmask_b32 v14, v38, v39, s17 :: v_dual_cndmask_b32 v15, v115, v114, s17
	s_mov_b32 s19, exec_lo
	s_delay_alu instid0(VALU_DEP_1) | instskip(NEXT) | instid1(VALU_DEP_1)
	v_add_nc_u32_e32 v14, 1, v14
	v_add_min_u32_e64 v15, v15, -1, v14
	s_delay_alu instid0(VALU_DEP_1)
	v_lshl_add_u32 v15, v15, 3, v30
	ds_load_b64 v[16:17], v15
	s_wait_dscnt 0x0
	v_dual_cndmask_b32 v15, v17, v21, s17 :: v_dual_cndmask_b32 v50, v14, v38, s17
	v_dual_cndmask_b32 v51, v39, v14, s17 :: v_dual_cndmask_b32 v36, v34, v16, s17
	;; [unrolled: 1-line block ×3, first 2 shown]
	s_delay_alu instid0(VALU_DEP_3)
	v_cmpx_lt_u32_e64 v50, v115
	s_cbranch_execz .LBB1115_868
; %bb.849:
	s_delay_alu instid0(VALU_DEP_3) | instskip(SKIP_1) | instid1(SALU_CYCLE_1)
	v_cmp_lt_u32_e64 s18, v51, v114
	s_and_b32 s9, s18, s14
	s_and_saveexec_b32 s20, s9
	s_cbranch_execz .LBB1115_867
; %bb.850:
	v_mul_u64_e32 v[16:17], v[36:37], v[6:7]
	v_mul_u64_e32 v[38:39], v[14:15], v[6:7]
	v_mov_b64_e32 v[48:49], v[6:7]
	s_mov_b32 s21, 0
                                        ; implicit-def: $sgpr22
                                        ; implicit-def: $sgpr23
                                        ; implicit-def: $sgpr26
	s_delay_alu instid0(VALU_DEP_3) | instskip(NEXT) | instid1(VALU_DEP_3)
	v_lshl_add_u64 v[16:17], v[16:17], 1, v[8:9]
	v_lshl_add_u64 v[38:39], v[38:39], 1, v[8:9]
	s_branch .LBB1115_852
.LBB1115_851:                           ;   in Loop: Header=BB1115_852 Depth=1
	s_or_b32 exec_lo, exec_lo, s26
	s_delay_alu instid0(SALU_CYCLE_1) | instskip(SKIP_4) | instid1(SALU_CYCLE_1)
	s_and_b32 s9, exec_lo, s25
	s_mov_b32 s26, s24
	s_or_b32 s21, s9, s21
	s_and_not1_b32 s9, s22, exec_lo
	s_and_b32 s22, s23, exec_lo
	s_or_b32 s22, s9, s22
	s_and_not1_b32 exec_lo, exec_lo, s21
	s_cbranch_execz .LBB1115_866
.LBB1115_852:                           ; =>This Inner Loop Header: Depth=1
	flat_load_u16 v52, v[38:39]
	flat_load_u16 v53, v[16:17]
	s_mov_b32 s25, -1
	s_mov_b32 s27, 0
	s_mov_b32 s24, -1
	s_mov_b32 s28, exec_lo
	s_wait_loadcnt_dscnt 0x0
	v_dual_lshlrev_b32 v52, 16, v52 :: v_dual_lshlrev_b32 v53, 16, v53
	s_delay_alu instid0(VALU_DEP_1)
	v_cmpx_nlt_f32_e32 v52, v53
; %bb.853:                              ;   in Loop: Header=BB1115_852 Depth=1
	v_cmp_ngt_f32_e64 s9, v52, v53
	s_and_b32 s24, s9, s26
	s_and_b32 s27, s9, exec_lo
	s_or_not1_b32 s24, s24, exec_lo
; %bb.854:                              ;   in Loop: Header=BB1115_852 Depth=1
	s_or_b32 exec_lo, exec_lo, s28
	s_delay_alu instid0(SALU_CYCLE_1) | instskip(SKIP_1) | instid1(SALU_CYCLE_1)
	s_and_not1_b32 s9, s23, exec_lo
	s_and_b32 s23, s24, exec_lo
	s_or_b32 s23, s9, s23
	s_and_saveexec_b32 s26, s27
	s_cbranch_execz .LBB1115_851
; %bb.855:                              ;   in Loop: Header=BB1115_852 Depth=1
	v_add_nc_u64_e32 v[48:49], -1, v[48:49]
	v_add_nc_u64_e32 v[16:17], 2, v[16:17]
	v_add_nc_u64_e32 v[38:39], 2, v[38:39]
	s_and_not1_b32 s23, s23, exec_lo
	s_delay_alu instid0(VALU_DEP_3)
	v_cmp_eq_u64_e64 s9, 0, v[48:49]
	s_or_not1_b32 s25, s9, exec_lo
	s_branch .LBB1115_851
.LBB1115_856:
	s_or_b32 exec_lo, exec_lo, s14
	s_xor_b32 s1, s15, -1
	s_and_not1_b32 s7, s7, exec_lo
	s_and_b32 s1, s1, exec_lo
	s_delay_alu instid0(SALU_CYCLE_1)
	s_or_b32 s7, s7, s1
.LBB1115_857:
	s_or_b32 exec_lo, exec_lo, s13
	s_delay_alu instid0(SALU_CYCLE_1)
	s_or_not1_b32 s7, s7, exec_lo
.LBB1115_858:
	s_or_b32 exec_lo, exec_lo, s12
	v_cndmask_b32_e64 v10, v34, v35, s7
	v_cndmask_b32_e64 v11, v112, v103, s7
	s_mov_b32 s12, exec_lo
	s_delay_alu instid0(VALU_DEP_2) | instskip(NEXT) | instid1(VALU_DEP_1)
	v_add_nc_u32_e32 v10, 1, v10
	v_add_min_u32_e64 v11, v11, -1, v10
	s_delay_alu instid0(VALU_DEP_1)
	v_lshl_add_u32 v11, v11, 3, v22
	ds_load_b64 v[12:13], v11
	v_cndmask_b32_e64 v38, v10, v34, s7
	s_wait_dscnt 0x0
	v_dual_cndmask_b32 v39, v35, v10, s7 :: v_dual_cndmask_b32 v32, v30, v12, s7
	v_dual_cndmask_b32 v11, v13, v17, s7 :: v_dual_cndmask_b32 v10, v12, v16, s7
	v_cndmask_b32_e64 v33, v31, v13, s7
	v_cmpx_lt_u32_e64 v38, v112
	s_cbranch_execz .LBB1115_878
; %bb.859:
	v_cmp_lt_u32_e64 s11, v39, v103
	s_xor_b32 s1, s0, -1
	s_delay_alu instid0(SALU_CYCLE_1) | instskip(NEXT) | instid1(SALU_CYCLE_1)
	s_and_b32 s1, s11, s1
	s_and_saveexec_b32 s13, s1
	s_cbranch_execz .LBB1115_877
; %bb.860:
	v_mul_u64_e32 v[12:13], v[32:33], v[6:7]
	v_mul_u64_e32 v[34:35], v[10:11], v[6:7]
	v_mov_b64_e32 v[36:37], v[6:7]
	s_mov_b32 s14, 0
                                        ; implicit-def: $sgpr15
                                        ; implicit-def: $sgpr16
                                        ; implicit-def: $sgpr19
	s_delay_alu instid0(VALU_DEP_3) | instskip(NEXT) | instid1(VALU_DEP_3)
	v_lshl_add_u64 v[12:13], v[12:13], 1, v[8:9]
	v_lshl_add_u64 v[34:35], v[34:35], 1, v[8:9]
	s_branch .LBB1115_862
.LBB1115_861:                           ;   in Loop: Header=BB1115_862 Depth=1
	s_or_b32 exec_lo, exec_lo, s19
	s_delay_alu instid0(SALU_CYCLE_1) | instskip(SKIP_4) | instid1(SALU_CYCLE_1)
	s_and_b32 s1, exec_lo, s18
	s_mov_b32 s19, s17
	s_or_b32 s14, s1, s14
	s_and_not1_b32 s1, s15, exec_lo
	s_and_b32 s15, s16, exec_lo
	s_or_b32 s15, s1, s15
	s_and_not1_b32 exec_lo, exec_lo, s14
	s_cbranch_execz .LBB1115_876
.LBB1115_862:                           ; =>This Inner Loop Header: Depth=1
	flat_load_u16 v48, v[34:35]
	flat_load_u16 v49, v[12:13]
	s_mov_b32 s18, -1
	s_mov_b32 s20, 0
	s_mov_b32 s17, -1
	s_mov_b32 s21, exec_lo
	s_wait_loadcnt_dscnt 0x0
	v_dual_lshlrev_b32 v48, 16, v48 :: v_dual_lshlrev_b32 v49, 16, v49
	s_delay_alu instid0(VALU_DEP_1)
	v_cmpx_nlt_f32_e32 v48, v49
; %bb.863:                              ;   in Loop: Header=BB1115_862 Depth=1
	v_cmp_ngt_f32_e64 s1, v48, v49
	s_and_b32 s17, s1, s19
	s_and_b32 s20, s1, exec_lo
	s_or_not1_b32 s17, s17, exec_lo
; %bb.864:                              ;   in Loop: Header=BB1115_862 Depth=1
	s_or_b32 exec_lo, exec_lo, s21
	s_delay_alu instid0(SALU_CYCLE_1) | instskip(SKIP_1) | instid1(SALU_CYCLE_1)
	s_and_not1_b32 s1, s16, exec_lo
	s_and_b32 s16, s17, exec_lo
	s_or_b32 s16, s1, s16
	s_and_saveexec_b32 s19, s20
	s_cbranch_execz .LBB1115_861
; %bb.865:                              ;   in Loop: Header=BB1115_862 Depth=1
	v_add_nc_u64_e32 v[36:37], -1, v[36:37]
	v_add_nc_u64_e32 v[12:13], 2, v[12:13]
	v_add_nc_u64_e32 v[34:35], 2, v[34:35]
	s_and_not1_b32 s16, s16, exec_lo
	s_delay_alu instid0(VALU_DEP_3)
	v_cmp_eq_u64_e64 s1, 0, v[36:37]
	s_or_not1_b32 s18, s1, exec_lo
	s_branch .LBB1115_861
.LBB1115_866:
	s_or_b32 exec_lo, exec_lo, s21
	s_xor_b32 s9, s22, -1
	s_and_not1_b32 s18, s18, exec_lo
	s_and_b32 s9, s9, exec_lo
	s_delay_alu instid0(SALU_CYCLE_1)
	s_or_b32 s18, s18, s9
.LBB1115_867:
	s_or_b32 exec_lo, exec_lo, s20
	s_delay_alu instid0(SALU_CYCLE_1)
	s_or_not1_b32 s18, s18, exec_lo
.LBB1115_868:
	s_or_b32 exec_lo, exec_lo, s19
	v_dual_cndmask_b32 v16, v50, v51, s18 :: v_dual_cndmask_b32 v17, v115, v114, s18
	s_mov_b32 s19, -1
	s_mov_b32 s20, -1
	s_mov_b32 s21, exec_lo
	s_delay_alu instid0(VALU_DEP_1) | instskip(NEXT) | instid1(VALU_DEP_1)
	v_add_nc_u32_e32 v16, 1, v16
	v_add_min_u32_e64 v17, v17, -1, v16
	s_delay_alu instid0(VALU_DEP_1)
	v_lshl_add_u32 v17, v17, 3, v30
	ds_load_b64 v[38:39], v17
	s_wait_dscnt 0x0
	v_dual_cndmask_b32 v17, v39, v15, s18 :: v_dual_cndmask_b32 v54, v16, v50, s18
	v_dual_cndmask_b32 v55, v51, v16, s18 :: v_dual_cndmask_b32 v16, v38, v14, s18
	;; [unrolled: 1-line block ×3, first 2 shown]
	s_delay_alu instid0(VALU_DEP_3)
	v_cmpx_lt_u32_e64 v54, v115
	s_cbranch_execz .LBB1115_888
; %bb.869:
	s_delay_alu instid0(VALU_DEP_3) | instskip(SKIP_1) | instid1(SALU_CYCLE_1)
	v_cmp_lt_u32_e64 s20, v55, v114
	s_and_b32 s9, s20, s14
	s_and_saveexec_b32 s22, s9
	s_cbranch_execz .LBB1115_887
; %bb.870:
	v_mul_u64_e32 v[48:49], v[38:39], v[6:7]
	v_mul_u64_e32 v[50:51], v[16:17], v[6:7]
	v_mov_b64_e32 v[52:53], v[6:7]
	s_mov_b32 s23, 0
                                        ; implicit-def: $sgpr24
                                        ; implicit-def: $sgpr25
                                        ; implicit-def: $sgpr28
	s_delay_alu instid0(VALU_DEP_3) | instskip(NEXT) | instid1(VALU_DEP_3)
	v_lshl_add_u64 v[48:49], v[48:49], 1, v[8:9]
	v_lshl_add_u64 v[50:51], v[50:51], 1, v[8:9]
	s_branch .LBB1115_872
.LBB1115_871:                           ;   in Loop: Header=BB1115_872 Depth=1
	s_or_b32 exec_lo, exec_lo, s28
	s_delay_alu instid0(SALU_CYCLE_1) | instskip(SKIP_4) | instid1(SALU_CYCLE_1)
	s_and_b32 s9, exec_lo, s27
	s_mov_b32 s28, s26
	s_or_b32 s23, s9, s23
	s_and_not1_b32 s9, s24, exec_lo
	s_and_b32 s24, s25, exec_lo
	s_or_b32 s24, s9, s24
	s_and_not1_b32 exec_lo, exec_lo, s23
	s_cbranch_execz .LBB1115_886
.LBB1115_872:                           ; =>This Inner Loop Header: Depth=1
	flat_load_u16 v64, v[50:51]
	flat_load_u16 v65, v[48:49]
	s_mov_b32 s27, -1
	s_mov_b32 s29, 0
	s_mov_b32 s26, -1
	s_mov_b32 s40, exec_lo
	s_wait_loadcnt_dscnt 0x0
	v_dual_lshlrev_b32 v64, 16, v64 :: v_dual_lshlrev_b32 v65, 16, v65
	s_delay_alu instid0(VALU_DEP_1)
	v_cmpx_nlt_f32_e32 v64, v65
; %bb.873:                              ;   in Loop: Header=BB1115_872 Depth=1
	v_cmp_ngt_f32_e64 s9, v64, v65
	s_and_b32 s26, s9, s28
	s_and_b32 s29, s9, exec_lo
	s_or_not1_b32 s26, s26, exec_lo
; %bb.874:                              ;   in Loop: Header=BB1115_872 Depth=1
	s_or_b32 exec_lo, exec_lo, s40
	s_delay_alu instid0(SALU_CYCLE_1) | instskip(SKIP_1) | instid1(SALU_CYCLE_1)
	s_and_not1_b32 s9, s25, exec_lo
	s_and_b32 s25, s26, exec_lo
	s_or_b32 s25, s9, s25
	s_and_saveexec_b32 s28, s29
	s_cbranch_execz .LBB1115_871
; %bb.875:                              ;   in Loop: Header=BB1115_872 Depth=1
	v_add_nc_u64_e32 v[52:53], -1, v[52:53]
	v_add_nc_u64_e32 v[48:49], 2, v[48:49]
	v_add_nc_u64_e32 v[50:51], 2, v[50:51]
	s_and_not1_b32 s25, s25, exec_lo
	s_delay_alu instid0(VALU_DEP_3)
	v_cmp_eq_u64_e64 s9, 0, v[52:53]
	s_or_not1_b32 s27, s9, exec_lo
	s_branch .LBB1115_871
.LBB1115_876:
	s_or_b32 exec_lo, exec_lo, s14
	s_xor_b32 s1, s15, -1
	s_and_not1_b32 s11, s11, exec_lo
	s_and_b32 s1, s1, exec_lo
	s_delay_alu instid0(SALU_CYCLE_1)
	s_or_b32 s11, s11, s1
.LBB1115_877:
	s_or_b32 exec_lo, exec_lo, s13
	s_delay_alu instid0(SALU_CYCLE_1)
	s_or_not1_b32 s11, s11, exec_lo
.LBB1115_878:
	s_or_b32 exec_lo, exec_lo, s12
	v_cndmask_b32_e64 v12, v38, v39, s11
	v_cndmask_b32_e64 v13, v112, v103, s11
	s_mov_b32 s12, -1
	s_mov_b32 s13, -1
	s_mov_b32 s14, exec_lo
	v_add_nc_u32_e32 v12, 1, v12
	s_delay_alu instid0(VALU_DEP_1) | instskip(SKIP_1) | instid1(VALU_DEP_2)
	v_add_min_u32_e64 v13, v13, -1, v12
	v_dual_cndmask_b32 v50, v12, v38, s11 :: v_dual_cndmask_b32 v51, v39, v12, s11
	v_lshl_add_u32 v13, v13, 3, v22
	ds_load_b64 v[34:35], v13
	s_wait_dscnt 0x0
	v_dual_cndmask_b32 v13, v35, v11, s11 :: v_dual_cndmask_b32 v12, v34, v10, s11
	v_dual_cndmask_b32 v35, v33, v35, s11 :: v_dual_cndmask_b32 v34, v32, v34, s11
	v_cmpx_lt_u32_e64 v50, v112
	s_cbranch_execz .LBB1115_898
; %bb.879:
	v_cmp_lt_u32_e64 s13, v51, v103
	s_xor_b32 s1, s0, -1
	s_delay_alu instid0(SALU_CYCLE_1) | instskip(NEXT) | instid1(SALU_CYCLE_1)
	s_and_b32 s1, s13, s1
	s_and_saveexec_b32 s15, s1
	s_cbranch_execz .LBB1115_897
; %bb.880:
	v_mul_u64_e32 v[36:37], v[34:35], v[6:7]
	v_mul_u64_e32 v[38:39], v[12:13], v[6:7]
	v_mov_b64_e32 v[48:49], v[6:7]
	s_mov_b32 s16, 0
                                        ; implicit-def: $sgpr17
                                        ; implicit-def: $sgpr18
                                        ; implicit-def: $sgpr21
	s_delay_alu instid0(VALU_DEP_3) | instskip(NEXT) | instid1(VALU_DEP_3)
	v_lshl_add_u64 v[36:37], v[36:37], 1, v[8:9]
	v_lshl_add_u64 v[38:39], v[38:39], 1, v[8:9]
	s_branch .LBB1115_882
.LBB1115_881:                           ;   in Loop: Header=BB1115_882 Depth=1
	s_or_b32 exec_lo, exec_lo, s21
	s_delay_alu instid0(SALU_CYCLE_1) | instskip(SKIP_4) | instid1(SALU_CYCLE_1)
	s_and_b32 s1, exec_lo, s20
	s_mov_b32 s21, s19
	s_or_b32 s16, s1, s16
	s_and_not1_b32 s1, s17, exec_lo
	s_and_b32 s17, s18, exec_lo
	s_or_b32 s17, s1, s17
	s_and_not1_b32 exec_lo, exec_lo, s16
	s_cbranch_execz .LBB1115_896
.LBB1115_882:                           ; =>This Inner Loop Header: Depth=1
	flat_load_u16 v52, v[38:39]
	flat_load_u16 v53, v[36:37]
	s_mov_b32 s20, -1
	s_mov_b32 s22, 0
	s_mov_b32 s19, -1
	s_mov_b32 s23, exec_lo
	s_wait_loadcnt_dscnt 0x0
	v_dual_lshlrev_b32 v52, 16, v52 :: v_dual_lshlrev_b32 v53, 16, v53
	s_delay_alu instid0(VALU_DEP_1)
	v_cmpx_nlt_f32_e32 v52, v53
; %bb.883:                              ;   in Loop: Header=BB1115_882 Depth=1
	v_cmp_ngt_f32_e64 s1, v52, v53
	s_and_b32 s19, s1, s21
	s_and_b32 s22, s1, exec_lo
	s_or_not1_b32 s19, s19, exec_lo
; %bb.884:                              ;   in Loop: Header=BB1115_882 Depth=1
	s_or_b32 exec_lo, exec_lo, s23
	s_delay_alu instid0(SALU_CYCLE_1) | instskip(SKIP_1) | instid1(SALU_CYCLE_1)
	s_and_not1_b32 s1, s18, exec_lo
	s_and_b32 s18, s19, exec_lo
	s_or_b32 s18, s1, s18
	s_and_saveexec_b32 s21, s22
	s_cbranch_execz .LBB1115_881
; %bb.885:                              ;   in Loop: Header=BB1115_882 Depth=1
	v_add_nc_u64_e32 v[48:49], -1, v[48:49]
	v_add_nc_u64_e32 v[36:37], 2, v[36:37]
	v_add_nc_u64_e32 v[38:39], 2, v[38:39]
	s_and_not1_b32 s18, s18, exec_lo
	s_delay_alu instid0(VALU_DEP_3)
	v_cmp_eq_u64_e64 s1, 0, v[48:49]
	s_or_not1_b32 s20, s1, exec_lo
	s_branch .LBB1115_881
.LBB1115_886:
	s_or_b32 exec_lo, exec_lo, s23
	s_xor_b32 s9, s24, -1
	s_and_not1_b32 s20, s20, exec_lo
	s_and_b32 s9, s9, exec_lo
	s_delay_alu instid0(SALU_CYCLE_1)
	s_or_b32 s20, s20, s9
.LBB1115_887:
	s_or_b32 exec_lo, exec_lo, s22
	s_delay_alu instid0(SALU_CYCLE_1)
	s_or_not1_b32 s20, s20, exec_lo
.LBB1115_888:
	s_or_b32 exec_lo, exec_lo, s21
	v_dual_cndmask_b32 v48, v54, v55, s20 :: v_dual_cndmask_b32 v49, v115, v114, s20
	s_mov_b32 s21, exec_lo
	s_delay_alu instid0(VALU_DEP_1) | instskip(NEXT) | instid1(VALU_DEP_1)
	v_add_nc_u32_e32 v48, 1, v48
	v_add_min_u32_e64 v49, v49, -1, v48
	s_delay_alu instid0(VALU_DEP_1)
	v_lshl_add_u32 v49, v49, 3, v30
	ds_load_b64 v[50:51], v49
	s_wait_dscnt 0x0
	v_dual_cndmask_b32 v49, v51, v17, s20 :: v_dual_cndmask_b32 v117, v48, v54, s20
	v_cndmask_b32_e64 v116, v55, v48, s20
	v_dual_cndmask_b32 v48, v50, v16, s20 :: v_dual_cndmask_b32 v51, v39, v51, s20
	v_cndmask_b32_e64 v50, v38, v50, s20
	s_delay_alu instid0(VALU_DEP_4)
	v_cmpx_lt_u32_e64 v117, v115
	s_cbranch_execz .LBB1115_908
; %bb.889:
	v_cmp_lt_u32_e64 s19, v116, v114
	s_and_b32 s9, s19, s14
	s_delay_alu instid0(SALU_CYCLE_1)
	s_and_saveexec_b32 s22, s9
	s_cbranch_execz .LBB1115_907
; %bb.890:
	v_mul_u64_e32 v[52:53], v[50:51], v[6:7]
	v_mul_u64_e32 v[54:55], v[48:49], v[6:7]
	v_mov_b64_e32 v[64:65], v[6:7]
	s_mov_b32 s23, 0
                                        ; implicit-def: $sgpr24
                                        ; implicit-def: $sgpr25
                                        ; implicit-def: $sgpr28
	s_delay_alu instid0(VALU_DEP_3) | instskip(NEXT) | instid1(VALU_DEP_3)
	v_lshl_add_u64 v[52:53], v[52:53], 1, v[8:9]
	v_lshl_add_u64 v[54:55], v[54:55], 1, v[8:9]
	s_branch .LBB1115_892
.LBB1115_891:                           ;   in Loop: Header=BB1115_892 Depth=1
	s_or_b32 exec_lo, exec_lo, s28
	s_delay_alu instid0(SALU_CYCLE_1) | instskip(SKIP_4) | instid1(SALU_CYCLE_1)
	s_and_b32 s9, exec_lo, s27
	s_mov_b32 s28, s26
	s_or_b32 s23, s9, s23
	s_and_not1_b32 s9, s24, exec_lo
	s_and_b32 s24, s25, exec_lo
	s_or_b32 s24, s9, s24
	s_and_not1_b32 exec_lo, exec_lo, s23
	s_cbranch_execz .LBB1115_906
.LBB1115_892:                           ; =>This Inner Loop Header: Depth=1
	flat_load_u16 v118, v[54:55]
	flat_load_u16 v119, v[52:53]
	s_mov_b32 s27, -1
	s_mov_b32 s29, 0
	s_mov_b32 s26, -1
	s_mov_b32 s40, exec_lo
	s_wait_loadcnt_dscnt 0x0
	v_dual_lshlrev_b32 v118, 16, v118 :: v_dual_lshlrev_b32 v119, 16, v119
	s_delay_alu instid0(VALU_DEP_1)
	v_cmpx_nlt_f32_e32 v118, v119
; %bb.893:                              ;   in Loop: Header=BB1115_892 Depth=1
	v_cmp_ngt_f32_e64 s9, v118, v119
	s_and_b32 s26, s9, s28
	s_and_b32 s29, s9, exec_lo
	s_or_not1_b32 s26, s26, exec_lo
; %bb.894:                              ;   in Loop: Header=BB1115_892 Depth=1
	s_or_b32 exec_lo, exec_lo, s40
	s_delay_alu instid0(SALU_CYCLE_1) | instskip(SKIP_1) | instid1(SALU_CYCLE_1)
	s_and_not1_b32 s9, s25, exec_lo
	s_and_b32 s25, s26, exec_lo
	s_or_b32 s25, s9, s25
	s_and_saveexec_b32 s28, s29
	s_cbranch_execz .LBB1115_891
; %bb.895:                              ;   in Loop: Header=BB1115_892 Depth=1
	v_add_nc_u64_e32 v[64:65], -1, v[64:65]
	v_add_nc_u64_e32 v[52:53], 2, v[52:53]
	v_add_nc_u64_e32 v[54:55], 2, v[54:55]
	s_and_not1_b32 s25, s25, exec_lo
	s_delay_alu instid0(VALU_DEP_3)
	v_cmp_eq_u64_e64 s9, 0, v[64:65]
	s_or_not1_b32 s27, s9, exec_lo
	s_branch .LBB1115_891
.LBB1115_896:
	s_or_b32 exec_lo, exec_lo, s16
	s_xor_b32 s1, s17, -1
	s_and_not1_b32 s13, s13, exec_lo
	s_and_b32 s1, s1, exec_lo
	s_delay_alu instid0(SALU_CYCLE_1)
	s_or_b32 s13, s13, s1
.LBB1115_897:
	s_or_b32 exec_lo, exec_lo, s15
	s_delay_alu instid0(SALU_CYCLE_1)
	s_or_not1_b32 s13, s13, exec_lo
.LBB1115_898:
	s_or_b32 exec_lo, exec_lo, s14
	v_cndmask_b32_e64 v36, v50, v51, s13
	v_cndmask_b32_e64 v37, v112, v103, s13
	s_mov_b32 s14, exec_lo
	s_delay_alu instid0(VALU_DEP_2) | instskip(NEXT) | instid1(VALU_DEP_1)
	v_add_nc_u32_e32 v36, 1, v36
	v_add_min_u32_e64 v37, v37, -1, v36
	v_dual_cndmask_b32 v114, v36, v50, s13 :: v_dual_cndmask_b32 v113, v51, v36, s13
	s_delay_alu instid0(VALU_DEP_2)
	v_lshl_add_u32 v37, v37, 3, v22
	ds_load_b64 v[38:39], v37
	s_wait_dscnt 0x0
	v_dual_cndmask_b32 v37, v39, v13, s13 :: v_dual_cndmask_b32 v36, v38, v12, s13
	v_dual_cndmask_b32 v39, v35, v39, s13 :: v_dual_cndmask_b32 v38, v34, v38, s13
	v_cmpx_lt_u32_e64 v114, v112
	s_cbranch_execz .LBB1115_918
; %bb.899:
	v_cmp_lt_u32_e64 s12, v113, v103
	s_xor_b32 s1, s0, -1
	s_delay_alu instid0(SALU_CYCLE_1) | instskip(NEXT) | instid1(SALU_CYCLE_1)
	s_and_b32 s1, s12, s1
	s_and_saveexec_b32 s15, s1
	s_cbranch_execz .LBB1115_917
; %bb.900:
	v_mul_u64_e32 v[48:49], v[38:39], v[6:7]
	v_mul_u64_e32 v[50:51], v[36:37], v[6:7]
	v_mov_b64_e32 v[52:53], v[6:7]
	s_mov_b32 s16, 0
                                        ; implicit-def: $sgpr17
                                        ; implicit-def: $sgpr18
                                        ; implicit-def: $sgpr21
	s_delay_alu instid0(VALU_DEP_3) | instskip(NEXT) | instid1(VALU_DEP_3)
	v_lshl_add_u64 v[48:49], v[48:49], 1, v[8:9]
	v_lshl_add_u64 v[50:51], v[50:51], 1, v[8:9]
	s_branch .LBB1115_902
.LBB1115_901:                           ;   in Loop: Header=BB1115_902 Depth=1
	s_or_b32 exec_lo, exec_lo, s21
	s_delay_alu instid0(SALU_CYCLE_1) | instskip(SKIP_4) | instid1(SALU_CYCLE_1)
	s_and_b32 s1, exec_lo, s20
	s_mov_b32 s21, s19
	s_or_b32 s16, s1, s16
	s_and_not1_b32 s1, s17, exec_lo
	s_and_b32 s17, s18, exec_lo
	s_or_b32 s17, s1, s17
	s_and_not1_b32 exec_lo, exec_lo, s16
	s_cbranch_execz .LBB1115_916
.LBB1115_902:                           ; =>This Inner Loop Header: Depth=1
	flat_load_u16 v115, v[50:51]
	flat_load_u16 v116, v[48:49]
	s_mov_b32 s20, -1
	s_mov_b32 s22, 0
	s_mov_b32 s19, -1
	s_mov_b32 s23, exec_lo
	s_wait_loadcnt_dscnt 0x0
	v_dual_lshlrev_b32 v115, 16, v115 :: v_dual_lshlrev_b32 v116, 16, v116
	s_delay_alu instid0(VALU_DEP_1)
	v_cmpx_nlt_f32_e32 v115, v116
; %bb.903:                              ;   in Loop: Header=BB1115_902 Depth=1
	v_cmp_ngt_f32_e64 s1, v115, v116
	s_and_b32 s19, s1, s21
	s_and_b32 s22, s1, exec_lo
	s_or_not1_b32 s19, s19, exec_lo
; %bb.904:                              ;   in Loop: Header=BB1115_902 Depth=1
	s_or_b32 exec_lo, exec_lo, s23
	s_delay_alu instid0(SALU_CYCLE_1) | instskip(SKIP_1) | instid1(SALU_CYCLE_1)
	s_and_not1_b32 s1, s18, exec_lo
	s_and_b32 s18, s19, exec_lo
	s_or_b32 s18, s1, s18
	s_and_saveexec_b32 s21, s22
	s_cbranch_execz .LBB1115_901
; %bb.905:                              ;   in Loop: Header=BB1115_902 Depth=1
	v_add_nc_u64_e32 v[52:53], -1, v[52:53]
	v_add_nc_u64_e32 v[48:49], 2, v[48:49]
	v_add_nc_u64_e32 v[50:51], 2, v[50:51]
	s_and_not1_b32 s18, s18, exec_lo
	s_delay_alu instid0(VALU_DEP_3)
	v_cmp_eq_u64_e64 s1, 0, v[52:53]
	s_or_not1_b32 s20, s1, exec_lo
	s_branch .LBB1115_901
.LBB1115_906:
	s_or_b32 exec_lo, exec_lo, s23
	s_xor_b32 s9, s24, -1
	s_and_not1_b32 s19, s19, exec_lo
	s_and_b32 s9, s9, exec_lo
	s_delay_alu instid0(SALU_CYCLE_1)
	s_or_b32 s19, s19, s9
.LBB1115_907:
	s_or_b32 exec_lo, exec_lo, s22
	s_delay_alu instid0(SALU_CYCLE_1)
	s_or_not1_b32 s19, s19, exec_lo
.LBB1115_908:
	s_or_b32 exec_lo, exec_lo, s21
	v_dual_cndmask_b32 v52, v117, v116, s19 :: v_dual_cndmask_b32 v53, v115, v114, s19
	v_dual_cndmask_b32 v16, v16, v38, s20 :: v_dual_cndmask_b32 v15, v15, v37, s18
	;; [unrolled: 1-line block ×3, first 2 shown]
	s_delay_alu instid0(VALU_DEP_3) | instskip(SKIP_2) | instid1(VALU_DEP_3)
	v_dual_add_nc_u32 v54, 1, v52 :: v_dual_cndmask_b32 v17, v17, v39, s20
	v_dual_cndmask_b32 v20, v20, v34, s17 :: v_dual_cndmask_b32 v19, v19, v33, s16
	v_dual_cndmask_b32 v18, v18, v32, s16 :: v_dual_cndmask_b32 v25, v23, v25, s11
	v_add_min_u32_e64 v52, v53, -1, v54
	v_dual_cndmask_b32 v24, v22, v24, s11 :: v_dual_cndmask_b32 v23, v13, v11, s10
	v_dual_cndmask_b32 v22, v12, v10, s10 :: v_dual_cndmask_b32 v32, v54, v117, s19
	s_delay_alu instid0(VALU_DEP_3)
	v_lshl_add_u32 v52, v52, 3, v30
	v_dual_cndmask_b32 v11, v49, v51, s19 :: v_dual_cndmask_b32 v10, v48, v50, s19
	s_mov_b32 s10, exec_lo
	ds_load_b64 v[52:53], v52
	s_wait_dscnt 0x0
	v_dual_cndmask_b32 v13, v51, v53, s19 :: v_dual_cndmask_b32 v12, v50, v52, s19
	v_cmpx_lt_u32_e64 v32, v115
	s_cbranch_execz .LBB1115_928
; %bb.909:
	v_dual_cndmask_b32 v34, v116, v54, s19 :: v_dual_cndmask_b32 v33, v53, v49, s19
	s_delay_alu instid0(VALU_DEP_1) | instskip(NEXT) | instid1(VALU_DEP_1)
	v_cmp_ge_u32_e64 s9, v34, v114
	v_dual_cndmask_b32 v32, v52, v48, s19 :: v_dual_cndmask_b32 v35, v13, v33, s9
	s_delay_alu instid0(VALU_DEP_1) | instskip(SKIP_1) | instid1(SALU_CYCLE_1)
	v_cndmask_b32_e64 v34, v12, v32, s9
	s_nor_b32 s9, s9, s8
	s_and_saveexec_b32 s11, s9
	s_cbranch_execz .LBB1115_927
; %bb.910:
	v_mul_u64_e32 v[34:35], v[12:13], v[6:7]
	v_mul_u64_e32 v[36:37], v[32:33], v[6:7]
	v_mov_b64_e32 v[38:39], v[6:7]
	s_mov_b32 s16, 0
                                        ; implicit-def: $sgpr17
                                        ; implicit-def: $sgpr18
                                        ; implicit-def: $sgpr21
	s_delay_alu instid0(VALU_DEP_3) | instskip(NEXT) | instid1(VALU_DEP_3)
	v_lshl_add_u64 v[34:35], v[34:35], 1, v[8:9]
	v_lshl_add_u64 v[36:37], v[36:37], 1, v[8:9]
	s_branch .LBB1115_912
.LBB1115_911:                           ;   in Loop: Header=BB1115_912 Depth=1
	s_or_b32 exec_lo, exec_lo, s21
	s_delay_alu instid0(SALU_CYCLE_1) | instskip(SKIP_4) | instid1(SALU_CYCLE_1)
	s_and_b32 s9, exec_lo, s20
	s_mov_b32 s21, s19
	s_or_b32 s16, s9, s16
	s_and_not1_b32 s9, s17, exec_lo
	s_and_b32 s17, s18, exec_lo
	s_or_b32 s17, s9, s17
	s_and_not1_b32 exec_lo, exec_lo, s16
	s_cbranch_execz .LBB1115_926
.LBB1115_912:                           ; =>This Inner Loop Header: Depth=1
	flat_load_u16 v48, v[36:37]
	flat_load_u16 v49, v[34:35]
	s_mov_b32 s20, -1
	s_mov_b32 s22, 0
	s_mov_b32 s19, -1
	s_mov_b32 s23, exec_lo
	s_wait_loadcnt_dscnt 0x0
	v_dual_lshlrev_b32 v48, 16, v48 :: v_dual_lshlrev_b32 v49, 16, v49
	s_delay_alu instid0(VALU_DEP_1)
	v_cmpx_nlt_f32_e32 v48, v49
; %bb.913:                              ;   in Loop: Header=BB1115_912 Depth=1
	v_cmp_ngt_f32_e64 s9, v48, v49
	s_and_b32 s19, s9, s21
	s_and_b32 s22, s9, exec_lo
	s_or_not1_b32 s19, s19, exec_lo
; %bb.914:                              ;   in Loop: Header=BB1115_912 Depth=1
	s_or_b32 exec_lo, exec_lo, s23
	s_delay_alu instid0(SALU_CYCLE_1) | instskip(SKIP_1) | instid1(SALU_CYCLE_1)
	s_and_not1_b32 s9, s18, exec_lo
	s_and_b32 s18, s19, exec_lo
	s_or_b32 s18, s9, s18
	s_and_saveexec_b32 s21, s22
	s_cbranch_execz .LBB1115_911
; %bb.915:                              ;   in Loop: Header=BB1115_912 Depth=1
	v_add_nc_u64_e32 v[38:39], -1, v[38:39]
	v_add_nc_u64_e32 v[34:35], 2, v[34:35]
	v_add_nc_u64_e32 v[36:37], 2, v[36:37]
	s_and_not1_b32 s18, s18, exec_lo
	s_delay_alu instid0(VALU_DEP_3)
	v_cmp_eq_u64_e64 s9, 0, v[38:39]
	s_or_not1_b32 s20, s9, exec_lo
	s_branch .LBB1115_911
.LBB1115_916:
	s_or_b32 exec_lo, exec_lo, s16
	s_xor_b32 s1, s17, -1
	s_and_not1_b32 s12, s12, exec_lo
	s_and_b32 s1, s1, exec_lo
	s_delay_alu instid0(SALU_CYCLE_1)
	s_or_b32 s12, s12, s1
.LBB1115_917:
	s_or_b32 exec_lo, exec_lo, s15
	s_delay_alu instid0(SALU_CYCLE_1)
	s_or_not1_b32 s12, s12, exec_lo
.LBB1115_918:
	s_or_b32 exec_lo, exec_lo, s14
	v_dual_cndmask_b32 v48, v114, v113, s12 :: v_dual_cndmask_b32 v49, v112, v103, s12
	v_dual_cndmask_b32 v12, v12, v34, s13 :: v_dual_cndmask_b32 v11, v11, v33, s11
	;; [unrolled: 1-line block ×3, first 2 shown]
	s_delay_alu instid0(VALU_DEP_3) | instskip(SKIP_2) | instid1(VALU_DEP_3)
	v_dual_add_nc_u32 v50, 1, v48 :: v_dual_cndmask_b32 v13, v13, v35, s13
	v_dual_cndmask_b32 v16, v16, v30, s7 :: v_dual_cndmask_b32 v15, v15, v25, s6
	v_dual_cndmask_b32 v14, v14, v24, s6 :: v_dual_cndmask_b32 v21, v19, v21, s3
	v_add_min_u32_e64 v48, v49, -1, v50
	v_dual_cndmask_b32 v20, v18, v20, s3 :: v_dual_cndmask_b32 v19, v3, v1, s2
	v_dual_cndmask_b32 v18, v2, v0, s2 :: v_dual_cndmask_b32 v1, v37, v39, s12
	s_delay_alu instid0(VALU_DEP_3)
	v_lshl_add_u32 v48, v48, 3, v22
	s_mov_b32 s2, exec_lo
	ds_load_b64 v[48:49], v48
	v_cndmask_b32_e64 v24, v50, v114, s12
	s_wait_dscnt 0x0
	v_dual_cndmask_b32 v0, v36, v38, s12 :: v_dual_cndmask_b32 v2, v38, v48, s12
	v_cndmask_b32_e64 v3, v39, v49, s12
	s_delay_alu instid0(VALU_DEP_3)
	v_cmpx_lt_u32_e64 v24, v112
	s_cbranch_execz .LBB1115_964
; %bb.919:
	v_dual_cndmask_b32 v30, v113, v50, s12 :: v_dual_cndmask_b32 v24, v48, v36, s12
	s_delay_alu instid0(VALU_DEP_1) | instskip(NEXT) | instid1(VALU_DEP_1)
	v_cmp_ge_u32_e64 s1, v30, v103
	v_dual_cndmask_b32 v25, v49, v37, s12 :: v_dual_cndmask_b32 v30, v2, v24, s1
	s_delay_alu instid0(VALU_DEP_1) | instskip(SKIP_1) | instid1(SALU_CYCLE_1)
	v_cndmask_b32_e64 v31, v3, v25, s1
	s_nor_b32 s1, s1, s0
	s_and_saveexec_b32 s3, s1
	s_cbranch_execz .LBB1115_963
; %bb.920:
	v_mul_u64_e32 v[30:31], v[2:3], v[6:7]
	v_mul_u64_e32 v[32:33], v[24:25], v[6:7]
	v_mov_b64_e32 v[34:35], v[6:7]
	s_mov_b32 s6, 0
                                        ; implicit-def: $sgpr7
                                        ; implicit-def: $sgpr11
                                        ; implicit-def: $sgpr14
	s_delay_alu instid0(VALU_DEP_3) | instskip(NEXT) | instid1(VALU_DEP_3)
	v_lshl_add_u64 v[30:31], v[30:31], 1, v[8:9]
	v_lshl_add_u64 v[32:33], v[32:33], 1, v[8:9]
	s_branch .LBB1115_922
.LBB1115_921:                           ;   in Loop: Header=BB1115_922 Depth=1
	s_or_b32 exec_lo, exec_lo, s14
	s_delay_alu instid0(SALU_CYCLE_1) | instskip(SKIP_4) | instid1(SALU_CYCLE_1)
	s_and_b32 s1, exec_lo, s13
	s_mov_b32 s14, s12
	s_or_b32 s6, s1, s6
	s_and_not1_b32 s1, s7, exec_lo
	s_and_b32 s7, s11, exec_lo
	s_or_b32 s7, s1, s7
	s_and_not1_b32 exec_lo, exec_lo, s6
	s_cbranch_execz .LBB1115_962
.LBB1115_922:                           ; =>This Inner Loop Header: Depth=1
	flat_load_u16 v36, v[32:33]
	flat_load_u16 v37, v[30:31]
	s_mov_b32 s13, -1
	s_mov_b32 s15, 0
	s_mov_b32 s12, -1
	s_mov_b32 s16, exec_lo
	s_wait_loadcnt_dscnt 0x0
	v_dual_lshlrev_b32 v36, 16, v36 :: v_dual_lshlrev_b32 v37, 16, v37
	s_delay_alu instid0(VALU_DEP_1)
	v_cmpx_nlt_f32_e32 v36, v37
; %bb.923:                              ;   in Loop: Header=BB1115_922 Depth=1
	v_cmp_ngt_f32_e64 s1, v36, v37
	s_and_b32 s12, s1, s14
	s_and_b32 s15, s1, exec_lo
	s_or_not1_b32 s12, s12, exec_lo
; %bb.924:                              ;   in Loop: Header=BB1115_922 Depth=1
	s_or_b32 exec_lo, exec_lo, s16
	s_delay_alu instid0(SALU_CYCLE_1) | instskip(SKIP_1) | instid1(SALU_CYCLE_1)
	s_and_not1_b32 s1, s11, exec_lo
	s_and_b32 s11, s12, exec_lo
	s_or_b32 s11, s1, s11
	s_and_saveexec_b32 s14, s15
	s_cbranch_execz .LBB1115_921
; %bb.925:                              ;   in Loop: Header=BB1115_922 Depth=1
	v_add_nc_u64_e32 v[34:35], -1, v[34:35]
	v_add_nc_u64_e32 v[30:31], 2, v[30:31]
	v_add_nc_u64_e32 v[32:33], 2, v[32:33]
	s_and_not1_b32 s11, s11, exec_lo
	s_delay_alu instid0(VALU_DEP_3)
	v_cmp_eq_u64_e64 s1, 0, v[34:35]
	s_or_not1_b32 s13, s1, exec_lo
	s_branch .LBB1115_921
.LBB1115_926:
	s_or_b32 exec_lo, exec_lo, s16
	v_dual_cndmask_b32 v35, v13, v33, s17 :: v_dual_cndmask_b32 v34, v12, v32, s17
.LBB1115_927:
	s_or_b32 exec_lo, exec_lo, s11
	s_delay_alu instid0(VALU_DEP_1)
	v_mov_b64_e32 v[12:13], v[34:35]
.LBB1115_928:
	s_or_b32 exec_lo, exec_lo, s10
.LBB1115_929:
	s_delay_alu instid0(SALU_CYCLE_1)
	s_or_b32 exec_lo, exec_lo, s15
	v_and_b32_e32 v50, 0xc0, v97
	s_mov_b32 s10, exec_lo
	; wave barrier
	ds_store_b64 v98, v[22:23]
	ds_store_b64 v113, v[24:25]
	v_or_b32_e32 v32, 32, v50
	ds_store_b64 v101, v[18:19]
	ds_store_b64 v102, v[20:21]
	;; [unrolled: 1-line block ×6, first 2 shown]
	; wave barrier
	v_min_u32_e32 v114, v96, v32
	v_and_b32_e32 v32, 56, v97
	s_delay_alu instid0(VALU_DEP_2) | instskip(NEXT) | instid1(VALU_DEP_2)
	v_add_min_u32_e64 v115, v114, 32, v96
	v_min_u32_e32 v51, v96, v32
	v_sub_nc_u32_e32 v33, v114, v50
	s_delay_alu instid0(VALU_DEP_3) | instskip(NEXT) | instid1(VALU_DEP_2)
	v_sub_nc_u32_e32 v32, v115, v114
	v_min_u32_e32 v53, v51, v33
	s_delay_alu instid0(VALU_DEP_2) | instskip(NEXT) | instid1(VALU_DEP_1)
	v_sub_nc_u32_e64 v52, v51, v32 clamp
	v_cmpx_lt_u32_e64 v52, v53
	s_cbranch_execz .LBB1115_941
; %bb.930:
	v_dual_mov_b32 v35, 0 :: v_dual_lshlrev_b32 v34, 3, v50
	s_mov_b32 s11, 0
	s_delay_alu instid0(VALU_DEP_1) | instskip(SKIP_1) | instid1(VALU_DEP_1)
	v_add_nc_u64_e32 v[32:33], v[30:31], v[34:35]
	v_lshlrev_b32_e32 v34, 3, v114
	v_add_nc_u64_e32 v[34:35], v[30:31], v[34:35]
	s_branch .LBB1115_933
.LBB1115_931:                           ;   in Loop: Header=BB1115_933 Depth=1
	s_or_b32 exec_lo, exec_lo, s16
	s_delay_alu instid0(SALU_CYCLE_1)
	s_and_b32 s9, s17, exec_lo
.LBB1115_932:                           ;   in Loop: Header=BB1115_933 Depth=1
	s_or_b32 exec_lo, exec_lo, s15
	s_delay_alu instid0(VALU_DEP_1) | instskip(NEXT) | instid1(VALU_DEP_1)
	v_dual_add_nc_u32 v35, 1, v33 :: v_dual_cndmask_b32 v53, v53, v33, s9
	v_cndmask_b32_e64 v52, v35, v52, s9
	s_delay_alu instid0(VALU_DEP_1) | instskip(SKIP_1) | instid1(SALU_CYCLE_1)
	v_cmp_ge_u32_e64 s9, v52, v53
	s_or_b32 s11, s9, s11
	s_and_not1_b32 exec_lo, exec_lo, s11
	s_cbranch_execz .LBB1115_940
.LBB1115_933:                           ; =>This Loop Header: Depth=1
                                        ;     Child Loop BB1115_936 Depth 2
	v_add_nc_u32_e32 v33, v53, v52
	s_mov_b32 s9, 0
	s_delay_alu instid0(VALU_DEP_1)
	v_lshrrev_b32_e32 v33, 1, v33
	s_and_saveexec_b32 s15, s7
	s_cbranch_execz .LBB1115_932
; %bb.934:                              ;   in Loop: Header=BB1115_933 Depth=1
	s_delay_alu instid0(VALU_DEP_1) | instskip(SKIP_2) | instid1(VALU_DEP_2)
	v_xad_u32 v35, v33, -1, v51
	v_lshl_add_u32 v36, v33, 3, v32
	s_mov_b32 s16, 0
                                        ; implicit-def: $sgpr17
                                        ; implicit-def: $sgpr18
                                        ; implicit-def: $sgpr21
	v_lshl_add_u32 v35, v35, 3, v34
	ds_load_b64 v[48:49], v36
	ds_load_b64 v[54:55], v35
	s_wait_dscnt 0x1
	v_mad_nc_u64_u32 v[36:37], v2, v48, v[8:9]
	s_wait_dscnt 0x0
	v_mad_nc_u64_u32 v[38:39], v2, v54, v[8:9]
	s_delay_alu instid0(VALU_DEP_2) | instskip(NEXT) | instid1(VALU_DEP_2)
	v_mad_u32 v35, v3, v48, v37
	v_mad_u32 v39, v3, v54, v39
	s_delay_alu instid0(VALU_DEP_2) | instskip(NEXT) | instid1(VALU_DEP_2)
	v_mad_u32 v37, v2, v49, v35
	v_mad_u32 v39, v2, v55, v39
	v_mov_b64_e32 v[48:49], v[6:7]
	s_branch .LBB1115_936
.LBB1115_935:                           ;   in Loop: Header=BB1115_936 Depth=2
	s_or_b32 exec_lo, exec_lo, s21
	s_delay_alu instid0(SALU_CYCLE_1) | instskip(SKIP_4) | instid1(SALU_CYCLE_1)
	s_and_b32 s9, exec_lo, s20
	s_mov_b32 s21, s19
	s_or_b32 s16, s9, s16
	s_and_not1_b32 s9, s17, exec_lo
	s_and_b32 s17, s18, exec_lo
	s_or_b32 s17, s9, s17
	s_and_not1_b32 exec_lo, exec_lo, s16
	s_cbranch_execz .LBB1115_931
.LBB1115_936:                           ;   Parent Loop BB1115_933 Depth=1
                                        ; =>  This Inner Loop Header: Depth=2
	flat_load_u16 v35, v[38:39]
	flat_load_u16 v54, v[36:37]
	s_mov_b32 s20, -1
	s_mov_b32 s22, 0
	s_mov_b32 s19, -1
	s_mov_b32 s23, exec_lo
	s_wait_loadcnt_dscnt 0x0
	v_dual_lshlrev_b32 v35, 16, v35 :: v_dual_lshlrev_b32 v54, 16, v54
	s_delay_alu instid0(VALU_DEP_1)
	v_cmpx_nlt_f32_e32 v35, v54
; %bb.937:                              ;   in Loop: Header=BB1115_936 Depth=2
	v_cmp_ngt_f32_e64 s9, v35, v54
	s_and_b32 s19, s9, s21
	s_and_b32 s22, s9, exec_lo
	s_or_not1_b32 s19, s19, exec_lo
; %bb.938:                              ;   in Loop: Header=BB1115_936 Depth=2
	s_or_b32 exec_lo, exec_lo, s23
	s_delay_alu instid0(SALU_CYCLE_1) | instskip(SKIP_1) | instid1(SALU_CYCLE_1)
	s_and_not1_b32 s9, s18, exec_lo
	s_and_b32 s18, s19, exec_lo
	s_or_b32 s18, s9, s18
	s_and_saveexec_b32 s21, s22
	s_cbranch_execz .LBB1115_935
; %bb.939:                              ;   in Loop: Header=BB1115_936 Depth=2
	v_add_nc_u64_e32 v[48:49], -1, v[48:49]
	v_add_nc_u64_e32 v[36:37], 2, v[36:37]
	v_add_nc_u64_e32 v[38:39], 2, v[38:39]
	s_and_not1_b32 s18, s18, exec_lo
	s_delay_alu instid0(VALU_DEP_3)
	v_cmp_eq_u64_e64 s9, 0, v[48:49]
	s_or_not1_b32 s20, s9, exec_lo
	s_branch .LBB1115_935
.LBB1115_940:
	s_or_b32 exec_lo, exec_lo, s11
.LBB1115_941:
	s_delay_alu instid0(SALU_CYCLE_1) | instskip(SKIP_1) | instid1(VALU_DEP_1)
	s_or_b32 exec_lo, exec_lo, s10
	v_dual_add_nc_u32 v33, v114, v51 :: v_dual_add_nc_u32 v32, v52, v50
	v_sub_nc_u32_e32 v33, v33, v52
	s_delay_alu instid0(VALU_DEP_2) | instskip(NEXT) | instid1(VALU_DEP_2)
	v_cmp_le_u32_e64 s9, v32, v114
	v_cmp_le_u32_e64 s10, v33, v115
	s_or_b32 s9, s9, s10
	s_delay_alu instid0(SALU_CYCLE_1)
	s_and_saveexec_b32 s15, s9
	s_cbranch_execz .LBB1115_1121
; %bb.942:
	v_cmp_ge_u32_e64 s9, v32, v114
	s_mov_b32 s11, exec_lo
                                        ; implicit-def: $vgpr10_vgpr11
	v_cmpx_lt_u32_e64 v32, v114
; %bb.943:
	v_lshl_add_u32 v10, v32, 3, v30
	ds_load_b64 v[10:11], v10
; %bb.944:
	s_or_b32 exec_lo, exec_lo, s11
	v_cmp_ge_u32_e64 s10, v33, v115
	s_mov_b32 s16, exec_lo
                                        ; implicit-def: $vgpr12_vgpr13
	v_cmpx_lt_u32_e64 v33, v115
; %bb.945:
	v_lshl_add_u32 v12, v33, 3, v30
	ds_load_b64 v[12:13], v12
; %bb.946:
	s_or_b32 exec_lo, exec_lo, s16
	s_or_b32 s11, s9, s10
	s_xor_b32 s9, s9, -1
	s_nor_b32 s16, s11, s8
	s_or_b32 s10, s10, s9
	s_and_saveexec_b32 s11, s16
	s_cbranch_execz .LBB1115_954
; %bb.947:
	s_wait_dscnt 0x0
	v_mul_u64_e32 v[14:15], v[10:11], v[6:7]
	v_mul_u64_e32 v[16:17], v[12:13], v[6:7]
	v_mov_b64_e32 v[18:19], v[6:7]
	s_mov_b32 s16, 0
                                        ; implicit-def: $sgpr17
                                        ; implicit-def: $sgpr18
                                        ; implicit-def: $sgpr21
	s_delay_alu instid0(VALU_DEP_3) | instskip(NEXT) | instid1(VALU_DEP_3)
	v_lshl_add_u64 v[14:15], v[14:15], 1, v[8:9]
	v_lshl_add_u64 v[16:17], v[16:17], 1, v[8:9]
	s_branch .LBB1115_949
.LBB1115_948:                           ;   in Loop: Header=BB1115_949 Depth=1
	s_or_b32 exec_lo, exec_lo, s21
	s_delay_alu instid0(SALU_CYCLE_1) | instskip(SKIP_4) | instid1(SALU_CYCLE_1)
	s_and_b32 s9, exec_lo, s20
	s_mov_b32 s21, s19
	s_or_b32 s16, s9, s16
	s_and_not1_b32 s9, s17, exec_lo
	s_and_b32 s17, s18, exec_lo
	s_or_b32 s17, s9, s17
	s_and_not1_b32 exec_lo, exec_lo, s16
	s_cbranch_execz .LBB1115_953
.LBB1115_949:                           ; =>This Inner Loop Header: Depth=1
	flat_load_u16 v20, v[16:17]
	flat_load_u16 v21, v[14:15]
	s_mov_b32 s20, -1
	s_mov_b32 s22, 0
	s_mov_b32 s19, -1
	s_mov_b32 s23, exec_lo
	s_wait_loadcnt_dscnt 0x0
	v_dual_lshlrev_b32 v20, 16, v20 :: v_dual_lshlrev_b32 v21, 16, v21
	s_delay_alu instid0(VALU_DEP_1)
	v_cmpx_nlt_f32_e32 v20, v21
; %bb.950:                              ;   in Loop: Header=BB1115_949 Depth=1
	v_cmp_ngt_f32_e64 s9, v20, v21
	s_and_b32 s19, s9, s21
	s_and_b32 s22, s9, exec_lo
	s_or_not1_b32 s19, s19, exec_lo
; %bb.951:                              ;   in Loop: Header=BB1115_949 Depth=1
	s_or_b32 exec_lo, exec_lo, s23
	s_delay_alu instid0(SALU_CYCLE_1) | instskip(SKIP_1) | instid1(SALU_CYCLE_1)
	s_and_not1_b32 s9, s18, exec_lo
	s_and_b32 s18, s19, exec_lo
	s_or_b32 s18, s9, s18
	s_and_saveexec_b32 s21, s22
	s_cbranch_execz .LBB1115_948
; %bb.952:                              ;   in Loop: Header=BB1115_949 Depth=1
	v_add_nc_u64_e32 v[18:19], -1, v[18:19]
	v_add_nc_u64_e32 v[14:15], 2, v[14:15]
	v_add_nc_u64_e32 v[16:17], 2, v[16:17]
	s_and_not1_b32 s18, s18, exec_lo
	s_delay_alu instid0(VALU_DEP_3)
	v_cmp_eq_u64_e64 s9, 0, v[18:19]
	s_or_not1_b32 s20, s9, exec_lo
	s_branch .LBB1115_948
.LBB1115_953:
	s_or_b32 exec_lo, exec_lo, s16
	s_xor_b32 s9, s17, -1
	s_and_not1_b32 s10, s10, exec_lo
	s_and_b32 s9, s9, exec_lo
	s_delay_alu instid0(SALU_CYCLE_1)
	s_or_b32 s10, s10, s9
.LBB1115_954:
	s_or_b32 exec_lo, exec_lo, s11
	v_dual_cndmask_b32 v14, v33, v32, s10 :: v_dual_cndmask_b32 v15, v115, v114, s10
	s_mov_b32 s16, -1
	s_mov_b32 s11, -1
	s_mov_b32 s17, exec_lo
	s_delay_alu instid0(VALU_DEP_1) | instskip(NEXT) | instid1(VALU_DEP_1)
	v_add_nc_u32_e32 v16, 1, v14
	v_add_min_u32_e64 v14, v15, -1, v16
	s_delay_alu instid0(VALU_DEP_1)
	v_lshl_add_u32 v14, v14, 3, v30
	ds_load_b64 v[14:15], v14
	s_wait_dscnt 0x0
	v_cndmask_b32_e64 v23, v15, v13, s10
	v_dual_cndmask_b32 v20, v16, v33, s10 :: v_dual_cndmask_b32 v22, v14, v12, s10
	v_dual_cndmask_b32 v21, v32, v16, s10 :: v_dual_cndmask_b32 v25, v11, v15, s10
	v_cndmask_b32_e64 v24, v10, v14, s10
	s_delay_alu instid0(VALU_DEP_3)
	v_cmpx_lt_u32_e64 v20, v115
	s_cbranch_execz .LBB1115_1000
; %bb.955:
	s_delay_alu instid0(VALU_DEP_3) | instskip(SKIP_1) | instid1(SALU_CYCLE_1)
	v_cmp_lt_u32_e64 s11, v21, v114
	s_and_b32 s9, s11, s14
	s_and_saveexec_b32 s18, s9
	s_cbranch_execz .LBB1115_999
; %bb.956:
	v_mul_u64_e32 v[14:15], v[24:25], v[6:7]
	v_mul_u64_e32 v[16:17], v[22:23], v[6:7]
	v_mov_b64_e32 v[18:19], v[6:7]
	s_mov_b32 s19, 0
                                        ; implicit-def: $sgpr20
                                        ; implicit-def: $sgpr21
                                        ; implicit-def: $sgpr24
	s_delay_alu instid0(VALU_DEP_3) | instskip(NEXT) | instid1(VALU_DEP_3)
	v_lshl_add_u64 v[14:15], v[14:15], 1, v[8:9]
	v_lshl_add_u64 v[16:17], v[16:17], 1, v[8:9]
	s_branch .LBB1115_958
.LBB1115_957:                           ;   in Loop: Header=BB1115_958 Depth=1
	s_or_b32 exec_lo, exec_lo, s24
	s_delay_alu instid0(SALU_CYCLE_1) | instskip(SKIP_4) | instid1(SALU_CYCLE_1)
	s_and_b32 s9, exec_lo, s23
	s_mov_b32 s24, s22
	s_or_b32 s19, s9, s19
	s_and_not1_b32 s9, s20, exec_lo
	s_and_b32 s20, s21, exec_lo
	s_or_b32 s20, s9, s20
	s_and_not1_b32 exec_lo, exec_lo, s19
	s_cbranch_execz .LBB1115_998
.LBB1115_958:                           ; =>This Inner Loop Header: Depth=1
	flat_load_u16 v32, v[16:17]
	flat_load_u16 v33, v[14:15]
	s_mov_b32 s23, -1
	s_mov_b32 s25, 0
	s_mov_b32 s22, -1
	s_mov_b32 s26, exec_lo
	s_wait_loadcnt_dscnt 0x0
	v_dual_lshlrev_b32 v32, 16, v32 :: v_dual_lshlrev_b32 v33, 16, v33
	s_delay_alu instid0(VALU_DEP_1)
	v_cmpx_nlt_f32_e32 v32, v33
; %bb.959:                              ;   in Loop: Header=BB1115_958 Depth=1
	v_cmp_ngt_f32_e64 s9, v32, v33
	s_and_b32 s22, s9, s24
	s_and_b32 s25, s9, exec_lo
	s_or_not1_b32 s22, s22, exec_lo
; %bb.960:                              ;   in Loop: Header=BB1115_958 Depth=1
	s_or_b32 exec_lo, exec_lo, s26
	s_delay_alu instid0(SALU_CYCLE_1) | instskip(SKIP_1) | instid1(SALU_CYCLE_1)
	s_and_not1_b32 s9, s21, exec_lo
	s_and_b32 s21, s22, exec_lo
	s_or_b32 s21, s9, s21
	s_and_saveexec_b32 s24, s25
	s_cbranch_execz .LBB1115_957
; %bb.961:                              ;   in Loop: Header=BB1115_958 Depth=1
	v_add_nc_u64_e32 v[18:19], -1, v[18:19]
	v_add_nc_u64_e32 v[14:15], 2, v[14:15]
	v_add_nc_u64_e32 v[16:17], 2, v[16:17]
	s_and_not1_b32 s21, s21, exec_lo
	s_delay_alu instid0(VALU_DEP_3)
	v_cmp_eq_u64_e64 s9, 0, v[18:19]
	s_or_not1_b32 s23, s9, exec_lo
	s_branch .LBB1115_957
.LBB1115_962:
	s_or_b32 exec_lo, exec_lo, s6
	v_dual_cndmask_b32 v31, v3, v25, s7 :: v_dual_cndmask_b32 v30, v2, v24, s7
.LBB1115_963:
	s_or_b32 exec_lo, exec_lo, s3
	s_delay_alu instid0(VALU_DEP_1)
	v_mov_b64_e32 v[2:3], v[30:31]
.LBB1115_964:
	s_or_b32 exec_lo, exec_lo, s2
.LBB1115_965:
	s_delay_alu instid0(SALU_CYCLE_1)
	s_or_b32 exec_lo, exec_lo, s5
	v_and_b32_e32 v48, 0xc0, v86
	s_mov_b32 s2, exec_lo
	; wave barrier
	ds_store_b64 v87, v[18:19]
	ds_store_b64 v102, v[20:21]
	v_or_b32_e32 v24, 32, v48
	ds_store_b64 v98, v[14:15]
	ds_store_b64 v99, v[16:17]
	;; [unrolled: 1-line block ×6, first 2 shown]
	; wave barrier
	v_min_u32_e32 v103, v85, v24
	v_and_b32_e32 v24, 56, v86
	s_delay_alu instid0(VALU_DEP_2) | instskip(NEXT) | instid1(VALU_DEP_2)
	v_add_min_u32_e64 v112, v103, 32, v85
	v_min_u32_e32 v49, v85, v24
	s_delay_alu instid0(VALU_DEP_2) | instskip(NEXT) | instid1(VALU_DEP_1)
	v_dual_sub_nc_u32 v25, v103, v48 :: v_dual_sub_nc_u32 v24, v112, v103
	v_min_u32_e32 v51, v49, v25
	s_delay_alu instid0(VALU_DEP_2) | instskip(NEXT) | instid1(VALU_DEP_1)
	v_sub_nc_u32_e64 v50, v49, v24 clamp
	v_cmpx_lt_u32_e64 v50, v51
	s_cbranch_execz .LBB1115_977
; %bb.966:
	v_dual_mov_b32 v31, 0 :: v_dual_lshlrev_b32 v30, 3, v48
	v_lshlrev_b64_e32 v[32:33], 1, v[6:7]
	s_mov_b32 s3, 0
	s_delay_alu instid0(VALU_DEP_2) | instskip(SKIP_1) | instid1(VALU_DEP_1)
	v_add_nc_u64_e32 v[24:25], v[22:23], v[30:31]
	v_lshlrev_b32_e32 v30, 3, v103
	v_add_nc_u64_e32 v[30:31], v[22:23], v[30:31]
	s_branch .LBB1115_969
.LBB1115_967:                           ;   in Loop: Header=BB1115_969 Depth=1
	s_or_b32 exec_lo, exec_lo, s6
	s_delay_alu instid0(SALU_CYCLE_1)
	s_and_b32 s1, s7, exec_lo
.LBB1115_968:                           ;   in Loop: Header=BB1115_969 Depth=1
	s_or_b32 exec_lo, exec_lo, s5
	s_delay_alu instid0(VALU_DEP_1) | instskip(NEXT) | instid1(VALU_DEP_1)
	v_dual_add_nc_u32 v31, 1, v25 :: v_dual_cndmask_b32 v51, v51, v25, s1
	v_cndmask_b32_e64 v50, v31, v50, s1
	s_delay_alu instid0(VALU_DEP_1) | instskip(SKIP_1) | instid1(SALU_CYCLE_1)
	v_cmp_ge_u32_e64 s1, v50, v51
	s_or_b32 s3, s1, s3
	s_and_not1_b32 exec_lo, exec_lo, s3
	s_cbranch_execz .LBB1115_976
.LBB1115_969:                           ; =>This Loop Header: Depth=1
                                        ;     Child Loop BB1115_972 Depth 2
	v_add_nc_u32_e32 v25, v51, v50
	s_mov_b32 s1, 0
	s_delay_alu instid0(VALU_DEP_1)
	v_lshrrev_b32_e32 v25, 1, v25
	s_and_saveexec_b32 s5, vcc_lo
	s_cbranch_execz .LBB1115_968
; %bb.970:                              ;   in Loop: Header=BB1115_969 Depth=1
	s_delay_alu instid0(VALU_DEP_1) | instskip(SKIP_2) | instid1(VALU_DEP_2)
	v_xad_u32 v31, v25, -1, v49
	v_lshl_add_u32 v34, v25, 3, v24
	s_mov_b32 s6, 0
                                        ; implicit-def: $sgpr7
                                        ; implicit-def: $sgpr11
                                        ; implicit-def: $sgpr14
	v_lshl_add_u32 v31, v31, 3, v30
	ds_load_b64 v[38:39], v34
	ds_load_b64 v[52:53], v31
	s_wait_dscnt 0x1
	v_mad_nc_u64_u32 v[34:35], v32, v38, v[8:9]
	s_wait_dscnt 0x0
	v_mad_nc_u64_u32 v[36:37], v32, v52, v[8:9]
	s_delay_alu instid0(VALU_DEP_2) | instskip(NEXT) | instid1(VALU_DEP_2)
	v_mad_u32 v31, v33, v38, v35
	v_mad_u32 v37, v33, v52, v37
	s_delay_alu instid0(VALU_DEP_2) | instskip(NEXT) | instid1(VALU_DEP_2)
	v_mad_u32 v35, v32, v39, v31
	v_mad_u32 v37, v32, v53, v37
	v_mov_b64_e32 v[38:39], v[6:7]
	s_branch .LBB1115_972
.LBB1115_971:                           ;   in Loop: Header=BB1115_972 Depth=2
	s_or_b32 exec_lo, exec_lo, s14
	s_delay_alu instid0(SALU_CYCLE_1) | instskip(SKIP_4) | instid1(SALU_CYCLE_1)
	s_and_b32 s1, exec_lo, s13
	s_mov_b32 s14, s12
	s_or_b32 s6, s1, s6
	s_and_not1_b32 s1, s7, exec_lo
	s_and_b32 s7, s11, exec_lo
	s_or_b32 s7, s1, s7
	s_and_not1_b32 exec_lo, exec_lo, s6
	s_cbranch_execz .LBB1115_967
.LBB1115_972:                           ;   Parent Loop BB1115_969 Depth=1
                                        ; =>  This Inner Loop Header: Depth=2
	flat_load_u16 v31, v[36:37]
	flat_load_u16 v52, v[34:35]
	s_mov_b32 s13, -1
	s_mov_b32 s15, 0
	s_mov_b32 s12, -1
	s_mov_b32 s16, exec_lo
	s_wait_loadcnt_dscnt 0x0
	v_dual_lshlrev_b32 v31, 16, v31 :: v_dual_lshlrev_b32 v52, 16, v52
	s_delay_alu instid0(VALU_DEP_1)
	v_cmpx_nlt_f32_e32 v31, v52
; %bb.973:                              ;   in Loop: Header=BB1115_972 Depth=2
	v_cmp_ngt_f32_e64 s1, v31, v52
	s_and_b32 s12, s1, s14
	s_and_b32 s15, s1, exec_lo
	s_or_not1_b32 s12, s12, exec_lo
; %bb.974:                              ;   in Loop: Header=BB1115_972 Depth=2
	s_or_b32 exec_lo, exec_lo, s16
	s_delay_alu instid0(SALU_CYCLE_1) | instskip(SKIP_1) | instid1(SALU_CYCLE_1)
	s_and_not1_b32 s1, s11, exec_lo
	s_and_b32 s11, s12, exec_lo
	s_or_b32 s11, s1, s11
	s_and_saveexec_b32 s14, s15
	s_cbranch_execz .LBB1115_971
; %bb.975:                              ;   in Loop: Header=BB1115_972 Depth=2
	v_add_nc_u64_e32 v[38:39], -1, v[38:39]
	v_add_nc_u64_e32 v[34:35], 2, v[34:35]
	v_add_nc_u64_e32 v[36:37], 2, v[36:37]
	s_and_not1_b32 s11, s11, exec_lo
	s_delay_alu instid0(VALU_DEP_3)
	v_cmp_eq_u64_e64 s1, 0, v[38:39]
	s_or_not1_b32 s13, s1, exec_lo
	s_branch .LBB1115_971
.LBB1115_976:
	s_or_b32 exec_lo, exec_lo, s3
.LBB1115_977:
	s_delay_alu instid0(SALU_CYCLE_1) | instskip(SKIP_1) | instid1(VALU_DEP_1)
	s_or_b32 exec_lo, exec_lo, s2
	v_dual_add_nc_u32 v25, v103, v49 :: v_dual_add_nc_u32 v24, v50, v48
	v_sub_nc_u32_e32 v25, v25, v50
	s_delay_alu instid0(VALU_DEP_2) | instskip(NEXT) | instid1(VALU_DEP_2)
	v_cmp_le_u32_e64 s1, v24, v103
	v_cmp_le_u32_e64 s2, v25, v112
	s_or_b32 s1, s1, s2
	s_delay_alu instid0(SALU_CYCLE_1)
	s_and_saveexec_b32 s5, s1
	s_cbranch_execz .LBB1115_1157
; %bb.978:
	v_cmp_ge_u32_e64 s1, v24, v103
	s_mov_b32 s3, exec_lo
                                        ; implicit-def: $vgpr0_vgpr1
	v_cmpx_lt_u32_e64 v24, v103
; %bb.979:
	v_lshl_add_u32 v0, v24, 3, v22
	ds_load_b64 v[0:1], v0
; %bb.980:
	s_or_b32 exec_lo, exec_lo, s3
	v_cmp_ge_u32_e64 s2, v25, v112
	s_mov_b32 s6, exec_lo
                                        ; implicit-def: $vgpr2_vgpr3
	v_cmpx_lt_u32_e64 v25, v112
; %bb.981:
	v_lshl_add_u32 v2, v25, 3, v22
	ds_load_b64 v[2:3], v2
; %bb.982:
	s_or_b32 exec_lo, exec_lo, s6
	s_or_b32 s3, s1, s2
	s_xor_b32 s1, s1, -1
	s_nor_b32 s6, s3, s0
	s_or_b32 s2, s2, s1
	s_and_saveexec_b32 s3, s6
	s_cbranch_execz .LBB1115_990
; %bb.983:
	s_wait_dscnt 0x0
	v_mul_u64_e32 v[10:11], v[0:1], v[6:7]
	v_mul_u64_e32 v[12:13], v[2:3], v[6:7]
	v_mov_b64_e32 v[14:15], v[6:7]
	s_mov_b32 s6, 0
                                        ; implicit-def: $sgpr7
                                        ; implicit-def: $sgpr11
                                        ; implicit-def: $sgpr14
	s_delay_alu instid0(VALU_DEP_3) | instskip(NEXT) | instid1(VALU_DEP_3)
	v_lshl_add_u64 v[10:11], v[10:11], 1, v[8:9]
	v_lshl_add_u64 v[12:13], v[12:13], 1, v[8:9]
	s_branch .LBB1115_985
.LBB1115_984:                           ;   in Loop: Header=BB1115_985 Depth=1
	s_or_b32 exec_lo, exec_lo, s14
	s_delay_alu instid0(SALU_CYCLE_1) | instskip(SKIP_4) | instid1(SALU_CYCLE_1)
	s_and_b32 s1, exec_lo, s13
	s_mov_b32 s14, s12
	s_or_b32 s6, s1, s6
	s_and_not1_b32 s1, s7, exec_lo
	s_and_b32 s7, s11, exec_lo
	s_or_b32 s7, s1, s7
	s_and_not1_b32 exec_lo, exec_lo, s6
	s_cbranch_execz .LBB1115_989
.LBB1115_985:                           ; =>This Inner Loop Header: Depth=1
	flat_load_u16 v16, v[12:13]
	flat_load_u16 v17, v[10:11]
	s_mov_b32 s13, -1
	s_mov_b32 s15, 0
	s_mov_b32 s12, -1
	s_mov_b32 s16, exec_lo
	s_wait_loadcnt_dscnt 0x0
	v_dual_lshlrev_b32 v16, 16, v16 :: v_dual_lshlrev_b32 v17, 16, v17
	s_delay_alu instid0(VALU_DEP_1)
	v_cmpx_nlt_f32_e32 v16, v17
; %bb.986:                              ;   in Loop: Header=BB1115_985 Depth=1
	v_cmp_ngt_f32_e64 s1, v16, v17
	s_and_b32 s12, s1, s14
	s_and_b32 s15, s1, exec_lo
	s_or_not1_b32 s12, s12, exec_lo
; %bb.987:                              ;   in Loop: Header=BB1115_985 Depth=1
	s_or_b32 exec_lo, exec_lo, s16
	s_delay_alu instid0(SALU_CYCLE_1) | instskip(SKIP_1) | instid1(SALU_CYCLE_1)
	s_and_not1_b32 s1, s11, exec_lo
	s_and_b32 s11, s12, exec_lo
	s_or_b32 s11, s1, s11
	s_and_saveexec_b32 s14, s15
	s_cbranch_execz .LBB1115_984
; %bb.988:                              ;   in Loop: Header=BB1115_985 Depth=1
	v_add_nc_u64_e32 v[14:15], -1, v[14:15]
	v_add_nc_u64_e32 v[10:11], 2, v[10:11]
	v_add_nc_u64_e32 v[12:13], 2, v[12:13]
	s_and_not1_b32 s11, s11, exec_lo
	s_delay_alu instid0(VALU_DEP_3)
	v_cmp_eq_u64_e64 s1, 0, v[14:15]
	s_or_not1_b32 s13, s1, exec_lo
	s_branch .LBB1115_984
.LBB1115_989:
	s_or_b32 exec_lo, exec_lo, s6
	s_xor_b32 s1, s7, -1
	s_and_not1_b32 s2, s2, exec_lo
	s_and_b32 s1, s1, exec_lo
	s_delay_alu instid0(SALU_CYCLE_1)
	s_or_b32 s2, s2, s1
.LBB1115_990:
	s_or_b32 exec_lo, exec_lo, s3
	v_dual_cndmask_b32 v10, v25, v24, s2 :: v_dual_cndmask_b32 v11, v112, v103, s2
	s_mov_b32 s6, -1
	s_mov_b32 s3, -1
	s_mov_b32 s7, exec_lo
	s_delay_alu instid0(VALU_DEP_1) | instskip(NEXT) | instid1(VALU_DEP_1)
	v_add_nc_u32_e32 v12, 1, v10
	v_add_min_u32_e64 v10, v11, -1, v12
	s_delay_alu instid0(VALU_DEP_1)
	v_lshl_add_u32 v10, v10, 3, v22
	ds_load_b64 v[10:11], v10
	s_wait_dscnt 0x0
	v_dual_cndmask_b32 v19, v11, v3, s2 :: v_dual_cndmask_b32 v16, v12, v25, s2
	v_dual_cndmask_b32 v18, v10, v2, s2 :: v_dual_cndmask_b32 v17, v24, v12, s2
	;; [unrolled: 1-line block ×3, first 2 shown]
	s_delay_alu instid0(VALU_DEP_3)
	v_cmpx_lt_u32_e64 v16, v112
	s_cbranch_execz .LBB1115_1010
; %bb.991:
	s_delay_alu instid0(VALU_DEP_3) | instskip(SKIP_1) | instid1(SALU_CYCLE_1)
	v_cmp_lt_u32_e64 s3, v17, v103
	s_xor_b32 s1, s0, -1
	s_and_b32 s1, s3, s1
	s_delay_alu instid0(SALU_CYCLE_1)
	s_and_saveexec_b32 s11, s1
	s_cbranch_execz .LBB1115_1009
; %bb.992:
	v_mul_u64_e32 v[10:11], v[20:21], v[6:7]
	v_mul_u64_e32 v[12:13], v[18:19], v[6:7]
	v_mov_b64_e32 v[14:15], v[6:7]
	s_mov_b32 s12, 0
                                        ; implicit-def: $sgpr13
                                        ; implicit-def: $sgpr14
                                        ; implicit-def: $sgpr17
	s_delay_alu instid0(VALU_DEP_3) | instskip(NEXT) | instid1(VALU_DEP_3)
	v_lshl_add_u64 v[10:11], v[10:11], 1, v[8:9]
	v_lshl_add_u64 v[12:13], v[12:13], 1, v[8:9]
	s_branch .LBB1115_994
.LBB1115_993:                           ;   in Loop: Header=BB1115_994 Depth=1
	s_or_b32 exec_lo, exec_lo, s17
	s_delay_alu instid0(SALU_CYCLE_1) | instskip(SKIP_4) | instid1(SALU_CYCLE_1)
	s_and_b32 s1, exec_lo, s16
	s_mov_b32 s17, s15
	s_or_b32 s12, s1, s12
	s_and_not1_b32 s1, s13, exec_lo
	s_and_b32 s13, s14, exec_lo
	s_or_b32 s13, s1, s13
	s_and_not1_b32 exec_lo, exec_lo, s12
	s_cbranch_execz .LBB1115_1008
.LBB1115_994:                           ; =>This Inner Loop Header: Depth=1
	flat_load_u16 v24, v[12:13]
	flat_load_u16 v25, v[10:11]
	s_mov_b32 s16, -1
	s_mov_b32 s18, 0
	s_mov_b32 s15, -1
	s_mov_b32 s19, exec_lo
	s_wait_loadcnt_dscnt 0x0
	v_dual_lshlrev_b32 v24, 16, v24 :: v_dual_lshlrev_b32 v25, 16, v25
	s_delay_alu instid0(VALU_DEP_1)
	v_cmpx_nlt_f32_e32 v24, v25
; %bb.995:                              ;   in Loop: Header=BB1115_994 Depth=1
	v_cmp_ngt_f32_e64 s1, v24, v25
	s_and_b32 s15, s1, s17
	s_and_b32 s18, s1, exec_lo
	s_or_not1_b32 s15, s15, exec_lo
; %bb.996:                              ;   in Loop: Header=BB1115_994 Depth=1
	s_or_b32 exec_lo, exec_lo, s19
	s_delay_alu instid0(SALU_CYCLE_1) | instskip(SKIP_1) | instid1(SALU_CYCLE_1)
	s_and_not1_b32 s1, s14, exec_lo
	s_and_b32 s14, s15, exec_lo
	s_or_b32 s14, s1, s14
	s_and_saveexec_b32 s17, s18
	s_cbranch_execz .LBB1115_993
; %bb.997:                              ;   in Loop: Header=BB1115_994 Depth=1
	v_add_nc_u64_e32 v[14:15], -1, v[14:15]
	v_add_nc_u64_e32 v[10:11], 2, v[10:11]
	v_add_nc_u64_e32 v[12:13], 2, v[12:13]
	s_and_not1_b32 s14, s14, exec_lo
	s_delay_alu instid0(VALU_DEP_3)
	v_cmp_eq_u64_e64 s1, 0, v[14:15]
	s_or_not1_b32 s16, s1, exec_lo
	s_branch .LBB1115_993
.LBB1115_998:
	s_or_b32 exec_lo, exec_lo, s19
	s_xor_b32 s9, s20, -1
	s_and_not1_b32 s11, s11, exec_lo
	s_and_b32 s9, s9, exec_lo
	s_delay_alu instid0(SALU_CYCLE_1)
	s_or_b32 s11, s11, s9
.LBB1115_999:
	s_or_b32 exec_lo, exec_lo, s18
	s_delay_alu instid0(SALU_CYCLE_1)
	s_or_not1_b32 s11, s11, exec_lo
.LBB1115_1000:
	s_or_b32 exec_lo, exec_lo, s17
	v_dual_cndmask_b32 v14, v20, v21, s11 :: v_dual_cndmask_b32 v15, v115, v114, s11
	s_mov_b32 s17, exec_lo
	s_delay_alu instid0(VALU_DEP_1) | instskip(NEXT) | instid1(VALU_DEP_1)
	v_add_nc_u32_e32 v16, 1, v14
	v_add_min_u32_e64 v14, v15, -1, v16
	s_delay_alu instid0(VALU_DEP_1)
	v_lshl_add_u32 v14, v14, 3, v30
	ds_load_b64 v[14:15], v14
	s_wait_dscnt 0x0
	v_dual_cndmask_b32 v19, v15, v23, s11 :: v_dual_cndmask_b32 v34, v16, v20, s11
	v_dual_cndmask_b32 v18, v14, v22, s11 :: v_dual_cndmask_b32 v35, v21, v16, s11
	;; [unrolled: 1-line block ×3, first 2 shown]
	s_delay_alu instid0(VALU_DEP_3)
	v_cmpx_lt_u32_e64 v34, v115
	s_cbranch_execz .LBB1115_1020
; %bb.1001:
	s_delay_alu instid0(VALU_DEP_3) | instskip(SKIP_1) | instid1(SALU_CYCLE_1)
	v_cmp_lt_u32_e64 s16, v35, v114
	s_and_b32 s9, s16, s14
	s_and_saveexec_b32 s18, s9
	s_cbranch_execz .LBB1115_1019
; %bb.1002:
	v_mul_u64_e32 v[14:15], v[32:33], v[6:7]
	v_mul_u64_e32 v[16:17], v[18:19], v[6:7]
	v_mov_b64_e32 v[20:21], v[6:7]
	s_mov_b32 s19, 0
                                        ; implicit-def: $sgpr20
                                        ; implicit-def: $sgpr21
                                        ; implicit-def: $sgpr24
	s_delay_alu instid0(VALU_DEP_3) | instskip(NEXT) | instid1(VALU_DEP_3)
	v_lshl_add_u64 v[14:15], v[14:15], 1, v[8:9]
	v_lshl_add_u64 v[16:17], v[16:17], 1, v[8:9]
	s_branch .LBB1115_1004
.LBB1115_1003:                          ;   in Loop: Header=BB1115_1004 Depth=1
	s_or_b32 exec_lo, exec_lo, s24
	s_delay_alu instid0(SALU_CYCLE_1) | instskip(SKIP_4) | instid1(SALU_CYCLE_1)
	s_and_b32 s9, exec_lo, s23
	s_mov_b32 s24, s22
	s_or_b32 s19, s9, s19
	s_and_not1_b32 s9, s20, exec_lo
	s_and_b32 s20, s21, exec_lo
	s_or_b32 s20, s9, s20
	s_and_not1_b32 exec_lo, exec_lo, s19
	s_cbranch_execz .LBB1115_1018
.LBB1115_1004:                          ; =>This Inner Loop Header: Depth=1
	flat_load_u16 v36, v[16:17]
	flat_load_u16 v37, v[14:15]
	s_mov_b32 s23, -1
	s_mov_b32 s25, 0
	s_mov_b32 s22, -1
	s_mov_b32 s26, exec_lo
	s_wait_loadcnt_dscnt 0x0
	v_dual_lshlrev_b32 v36, 16, v36 :: v_dual_lshlrev_b32 v37, 16, v37
	s_delay_alu instid0(VALU_DEP_1)
	v_cmpx_nlt_f32_e32 v36, v37
; %bb.1005:                             ;   in Loop: Header=BB1115_1004 Depth=1
	v_cmp_ngt_f32_e64 s9, v36, v37
	s_and_b32 s22, s9, s24
	s_and_b32 s25, s9, exec_lo
	s_or_not1_b32 s22, s22, exec_lo
; %bb.1006:                             ;   in Loop: Header=BB1115_1004 Depth=1
	s_or_b32 exec_lo, exec_lo, s26
	s_delay_alu instid0(SALU_CYCLE_1) | instskip(SKIP_1) | instid1(SALU_CYCLE_1)
	s_and_not1_b32 s9, s21, exec_lo
	s_and_b32 s21, s22, exec_lo
	s_or_b32 s21, s9, s21
	s_and_saveexec_b32 s24, s25
	s_cbranch_execz .LBB1115_1003
; %bb.1007:                             ;   in Loop: Header=BB1115_1004 Depth=1
	v_add_nc_u64_e32 v[20:21], -1, v[20:21]
	v_add_nc_u64_e32 v[14:15], 2, v[14:15]
	v_add_nc_u64_e32 v[16:17], 2, v[16:17]
	s_and_not1_b32 s21, s21, exec_lo
	s_delay_alu instid0(VALU_DEP_3)
	v_cmp_eq_u64_e64 s9, 0, v[20:21]
	s_or_not1_b32 s23, s9, exec_lo
	s_branch .LBB1115_1003
.LBB1115_1008:
	s_or_b32 exec_lo, exec_lo, s12
	s_xor_b32 s1, s13, -1
	s_and_not1_b32 s3, s3, exec_lo
	s_and_b32 s1, s1, exec_lo
	s_delay_alu instid0(SALU_CYCLE_1)
	s_or_b32 s3, s3, s1
.LBB1115_1009:
	s_or_b32 exec_lo, exec_lo, s11
	s_delay_alu instid0(SALU_CYCLE_1)
	s_or_not1_b32 s3, s3, exec_lo
.LBB1115_1010:
	s_or_b32 exec_lo, exec_lo, s7
	v_cndmask_b32_e64 v10, v16, v17, s3
	v_cndmask_b32_e64 v11, v112, v103, s3
	s_mov_b32 s7, exec_lo
	s_delay_alu instid0(VALU_DEP_2) | instskip(NEXT) | instid1(VALU_DEP_1)
	v_add_nc_u32_e32 v12, 1, v10
	v_add_min_u32_e64 v10, v11, -1, v12
	v_cndmask_b32_e64 v31, v17, v12, s3
	s_delay_alu instid0(VALU_DEP_2)
	v_lshl_add_u32 v10, v10, 3, v22
	ds_load_b64 v[10:11], v10
	s_wait_dscnt 0x0
	v_dual_cndmask_b32 v30, v12, v16, s3 :: v_dual_cndmask_b32 v15, v11, v19, s3
	v_dual_cndmask_b32 v14, v10, v18, s3 :: v_dual_cndmask_b32 v25, v21, v11, s3
	v_cndmask_b32_e64 v24, v20, v10, s3
	s_delay_alu instid0(VALU_DEP_3)
	v_cmpx_lt_u32_e64 v30, v112
	s_cbranch_execz .LBB1115_1030
; %bb.1011:
	v_cmp_lt_u32_e64 s6, v31, v103
	s_xor_b32 s1, s0, -1
	s_delay_alu instid0(SALU_CYCLE_1) | instskip(NEXT) | instid1(SALU_CYCLE_1)
	s_and_b32 s1, s6, s1
	s_and_saveexec_b32 s11, s1
	s_cbranch_execz .LBB1115_1029
; %bb.1012:
	v_mul_u64_e32 v[10:11], v[24:25], v[6:7]
	v_mul_u64_e32 v[12:13], v[14:15], v[6:7]
	v_mov_b64_e32 v[16:17], v[6:7]
	s_mov_b32 s12, 0
                                        ; implicit-def: $sgpr13
                                        ; implicit-def: $sgpr14
                                        ; implicit-def: $sgpr17
	s_delay_alu instid0(VALU_DEP_3) | instskip(NEXT) | instid1(VALU_DEP_3)
	v_lshl_add_u64 v[10:11], v[10:11], 1, v[8:9]
	v_lshl_add_u64 v[12:13], v[12:13], 1, v[8:9]
	s_branch .LBB1115_1014
.LBB1115_1013:                          ;   in Loop: Header=BB1115_1014 Depth=1
	s_or_b32 exec_lo, exec_lo, s17
	s_delay_alu instid0(SALU_CYCLE_1) | instskip(SKIP_4) | instid1(SALU_CYCLE_1)
	s_and_b32 s1, exec_lo, s16
	s_mov_b32 s17, s15
	s_or_b32 s12, s1, s12
	s_and_not1_b32 s1, s13, exec_lo
	s_and_b32 s13, s14, exec_lo
	s_or_b32 s13, s1, s13
	s_and_not1_b32 exec_lo, exec_lo, s12
	s_cbranch_execz .LBB1115_1028
.LBB1115_1014:                          ; =>This Inner Loop Header: Depth=1
	flat_load_u16 v32, v[12:13]
	flat_load_u16 v33, v[10:11]
	s_mov_b32 s16, -1
	s_mov_b32 s18, 0
	s_mov_b32 s15, -1
	s_mov_b32 s19, exec_lo
	s_wait_loadcnt_dscnt 0x0
	v_dual_lshlrev_b32 v32, 16, v32 :: v_dual_lshlrev_b32 v33, 16, v33
	s_delay_alu instid0(VALU_DEP_1)
	v_cmpx_nlt_f32_e32 v32, v33
; %bb.1015:                             ;   in Loop: Header=BB1115_1014 Depth=1
	v_cmp_ngt_f32_e64 s1, v32, v33
	s_and_b32 s15, s1, s17
	s_and_b32 s18, s1, exec_lo
	s_or_not1_b32 s15, s15, exec_lo
; %bb.1016:                             ;   in Loop: Header=BB1115_1014 Depth=1
	s_or_b32 exec_lo, exec_lo, s19
	s_delay_alu instid0(SALU_CYCLE_1) | instskip(SKIP_1) | instid1(SALU_CYCLE_1)
	s_and_not1_b32 s1, s14, exec_lo
	s_and_b32 s14, s15, exec_lo
	s_or_b32 s14, s1, s14
	s_and_saveexec_b32 s17, s18
	s_cbranch_execz .LBB1115_1013
; %bb.1017:                             ;   in Loop: Header=BB1115_1014 Depth=1
	v_add_nc_u64_e32 v[16:17], -1, v[16:17]
	v_add_nc_u64_e32 v[10:11], 2, v[10:11]
	v_add_nc_u64_e32 v[12:13], 2, v[12:13]
	s_and_not1_b32 s14, s14, exec_lo
	s_delay_alu instid0(VALU_DEP_3)
	v_cmp_eq_u64_e64 s1, 0, v[16:17]
	s_or_not1_b32 s16, s1, exec_lo
	s_branch .LBB1115_1013
.LBB1115_1018:
	s_or_b32 exec_lo, exec_lo, s19
	s_xor_b32 s9, s20, -1
	s_and_not1_b32 s16, s16, exec_lo
	s_and_b32 s9, s9, exec_lo
	s_delay_alu instid0(SALU_CYCLE_1)
	s_or_b32 s16, s16, s9
.LBB1115_1019:
	s_or_b32 exec_lo, exec_lo, s18
	s_delay_alu instid0(SALU_CYCLE_1)
	s_or_not1_b32 s16, s16, exec_lo
.LBB1115_1020:
	s_or_b32 exec_lo, exec_lo, s17
	v_dual_cndmask_b32 v14, v34, v35, s16 :: v_dual_cndmask_b32 v15, v115, v114, s16
	s_mov_b32 s18, -1
	s_mov_b32 s17, -1
	s_mov_b32 s19, exec_lo
	s_delay_alu instid0(VALU_DEP_1) | instskip(NEXT) | instid1(VALU_DEP_1)
	v_add_nc_u32_e32 v16, 1, v14
	v_add_min_u32_e64 v14, v15, -1, v16
	s_delay_alu instid0(VALU_DEP_1)
	v_lshl_add_u32 v14, v14, 3, v30
	ds_load_b64 v[14:15], v14
	s_wait_dscnt 0x0
	v_dual_cndmask_b32 v21, v15, v19, s16 :: v_dual_cndmask_b32 v38, v16, v34, s16
	v_dual_cndmask_b32 v39, v35, v16, s16 :: v_dual_cndmask_b32 v20, v14, v18, s16
	;; [unrolled: 1-line block ×3, first 2 shown]
	s_delay_alu instid0(VALU_DEP_3)
	v_cmpx_lt_u32_e64 v38, v115
	s_cbranch_execz .LBB1115_1040
; %bb.1021:
	s_delay_alu instid0(VALU_DEP_3) | instskip(SKIP_1) | instid1(SALU_CYCLE_1)
	v_cmp_lt_u32_e64 s17, v39, v114
	s_and_b32 s9, s17, s14
	s_and_saveexec_b32 s20, s9
	s_cbranch_execz .LBB1115_1039
; %bb.1022:
	v_mul_u64_e32 v[14:15], v[34:35], v[6:7]
	v_mul_u64_e32 v[16:17], v[20:21], v[6:7]
	v_mov_b64_e32 v[36:37], v[6:7]
	s_mov_b32 s21, 0
                                        ; implicit-def: $sgpr22
                                        ; implicit-def: $sgpr23
                                        ; implicit-def: $sgpr26
	s_delay_alu instid0(VALU_DEP_3) | instskip(NEXT) | instid1(VALU_DEP_3)
	v_lshl_add_u64 v[14:15], v[14:15], 1, v[8:9]
	v_lshl_add_u64 v[16:17], v[16:17], 1, v[8:9]
	s_branch .LBB1115_1024
.LBB1115_1023:                          ;   in Loop: Header=BB1115_1024 Depth=1
	s_or_b32 exec_lo, exec_lo, s26
	s_delay_alu instid0(SALU_CYCLE_1) | instskip(SKIP_4) | instid1(SALU_CYCLE_1)
	s_and_b32 s9, exec_lo, s25
	s_mov_b32 s26, s24
	s_or_b32 s21, s9, s21
	s_and_not1_b32 s9, s22, exec_lo
	s_and_b32 s22, s23, exec_lo
	s_or_b32 s22, s9, s22
	s_and_not1_b32 exec_lo, exec_lo, s21
	s_cbranch_execz .LBB1115_1038
.LBB1115_1024:                          ; =>This Inner Loop Header: Depth=1
	flat_load_u16 v48, v[16:17]
	flat_load_u16 v49, v[14:15]
	s_mov_b32 s25, -1
	s_mov_b32 s27, 0
	s_mov_b32 s24, -1
	s_mov_b32 s28, exec_lo
	s_wait_loadcnt_dscnt 0x0
	v_dual_lshlrev_b32 v48, 16, v48 :: v_dual_lshlrev_b32 v49, 16, v49
	s_delay_alu instid0(VALU_DEP_1)
	v_cmpx_nlt_f32_e32 v48, v49
; %bb.1025:                             ;   in Loop: Header=BB1115_1024 Depth=1
	v_cmp_ngt_f32_e64 s9, v48, v49
	s_and_b32 s24, s9, s26
	s_and_b32 s27, s9, exec_lo
	s_or_not1_b32 s24, s24, exec_lo
; %bb.1026:                             ;   in Loop: Header=BB1115_1024 Depth=1
	s_or_b32 exec_lo, exec_lo, s28
	s_delay_alu instid0(SALU_CYCLE_1) | instskip(SKIP_1) | instid1(SALU_CYCLE_1)
	s_and_not1_b32 s9, s23, exec_lo
	s_and_b32 s23, s24, exec_lo
	s_or_b32 s23, s9, s23
	s_and_saveexec_b32 s26, s27
	s_cbranch_execz .LBB1115_1023
; %bb.1027:                             ;   in Loop: Header=BB1115_1024 Depth=1
	v_add_nc_u64_e32 v[36:37], -1, v[36:37]
	v_add_nc_u64_e32 v[14:15], 2, v[14:15]
	v_add_nc_u64_e32 v[16:17], 2, v[16:17]
	s_and_not1_b32 s23, s23, exec_lo
	s_delay_alu instid0(VALU_DEP_3)
	v_cmp_eq_u64_e64 s9, 0, v[36:37]
	s_or_not1_b32 s25, s9, exec_lo
	s_branch .LBB1115_1023
.LBB1115_1028:
	s_or_b32 exec_lo, exec_lo, s12
	s_xor_b32 s1, s13, -1
	s_and_not1_b32 s6, s6, exec_lo
	s_and_b32 s1, s1, exec_lo
	s_delay_alu instid0(SALU_CYCLE_1)
	s_or_b32 s6, s6, s1
.LBB1115_1029:
	s_or_b32 exec_lo, exec_lo, s11
	s_delay_alu instid0(SALU_CYCLE_1)
	s_or_not1_b32 s6, s6, exec_lo
.LBB1115_1030:
	s_or_b32 exec_lo, exec_lo, s7
	v_cndmask_b32_e64 v10, v30, v31, s6
	v_cndmask_b32_e64 v11, v112, v103, s6
	s_mov_b32 s11, -1
	s_mov_b32 s7, -1
	s_mov_b32 s12, exec_lo
	v_add_nc_u32_e32 v12, 1, v10
	s_delay_alu instid0(VALU_DEP_1) | instskip(SKIP_1) | instid1(VALU_DEP_2)
	v_add_min_u32_e64 v10, v11, -1, v12
	v_cndmask_b32_e64 v34, v12, v30, s6
	v_lshl_add_u32 v10, v10, 3, v22
	ds_load_b64 v[10:11], v10
	s_wait_dscnt 0x0
	v_dual_cndmask_b32 v35, v31, v12, s6 :: v_dual_cndmask_b32 v16, v10, v14, s6
	v_dual_cndmask_b32 v17, v11, v15, s6 :: v_dual_cndmask_b32 v30, v24, v10, s6
	v_cndmask_b32_e64 v31, v25, v11, s6
	v_cmpx_lt_u32_e64 v34, v112
	s_cbranch_execz .LBB1115_1050
; %bb.1031:
	v_cmp_lt_u32_e64 s7, v35, v103
	s_xor_b32 s1, s0, -1
	s_delay_alu instid0(SALU_CYCLE_1) | instskip(NEXT) | instid1(SALU_CYCLE_1)
	s_and_b32 s1, s7, s1
	s_and_saveexec_b32 s13, s1
	s_cbranch_execz .LBB1115_1049
; %bb.1032:
	v_mul_u64_e32 v[10:11], v[30:31], v[6:7]
	v_mul_u64_e32 v[12:13], v[16:17], v[6:7]
	v_mov_b64_e32 v[32:33], v[6:7]
	s_mov_b32 s14, 0
                                        ; implicit-def: $sgpr15
                                        ; implicit-def: $sgpr16
                                        ; implicit-def: $sgpr19
	s_delay_alu instid0(VALU_DEP_3) | instskip(NEXT) | instid1(VALU_DEP_3)
	v_lshl_add_u64 v[10:11], v[10:11], 1, v[8:9]
	v_lshl_add_u64 v[12:13], v[12:13], 1, v[8:9]
	s_branch .LBB1115_1034
.LBB1115_1033:                          ;   in Loop: Header=BB1115_1034 Depth=1
	s_or_b32 exec_lo, exec_lo, s19
	s_delay_alu instid0(SALU_CYCLE_1) | instskip(SKIP_4) | instid1(SALU_CYCLE_1)
	s_and_b32 s1, exec_lo, s18
	s_mov_b32 s19, s17
	s_or_b32 s14, s1, s14
	s_and_not1_b32 s1, s15, exec_lo
	s_and_b32 s15, s16, exec_lo
	s_or_b32 s15, s1, s15
	s_and_not1_b32 exec_lo, exec_lo, s14
	s_cbranch_execz .LBB1115_1048
.LBB1115_1034:                          ; =>This Inner Loop Header: Depth=1
	flat_load_u16 v36, v[12:13]
	flat_load_u16 v37, v[10:11]
	s_mov_b32 s18, -1
	s_mov_b32 s20, 0
	s_mov_b32 s17, -1
	s_mov_b32 s21, exec_lo
	s_wait_loadcnt_dscnt 0x0
	v_dual_lshlrev_b32 v36, 16, v36 :: v_dual_lshlrev_b32 v37, 16, v37
	s_delay_alu instid0(VALU_DEP_1)
	v_cmpx_nlt_f32_e32 v36, v37
; %bb.1035:                             ;   in Loop: Header=BB1115_1034 Depth=1
	v_cmp_ngt_f32_e64 s1, v36, v37
	s_and_b32 s17, s1, s19
	s_and_b32 s20, s1, exec_lo
	s_or_not1_b32 s17, s17, exec_lo
; %bb.1036:                             ;   in Loop: Header=BB1115_1034 Depth=1
	s_or_b32 exec_lo, exec_lo, s21
	s_delay_alu instid0(SALU_CYCLE_1) | instskip(SKIP_1) | instid1(SALU_CYCLE_1)
	s_and_not1_b32 s1, s16, exec_lo
	s_and_b32 s16, s17, exec_lo
	s_or_b32 s16, s1, s16
	s_and_saveexec_b32 s19, s20
	s_cbranch_execz .LBB1115_1033
; %bb.1037:                             ;   in Loop: Header=BB1115_1034 Depth=1
	v_add_nc_u64_e32 v[32:33], -1, v[32:33]
	v_add_nc_u64_e32 v[10:11], 2, v[10:11]
	v_add_nc_u64_e32 v[12:13], 2, v[12:13]
	s_and_not1_b32 s16, s16, exec_lo
	s_delay_alu instid0(VALU_DEP_3)
	v_cmp_eq_u64_e64 s1, 0, v[32:33]
	s_or_not1_b32 s18, s1, exec_lo
	s_branch .LBB1115_1033
.LBB1115_1038:
	s_or_b32 exec_lo, exec_lo, s21
	s_xor_b32 s9, s22, -1
	s_and_not1_b32 s17, s17, exec_lo
	s_and_b32 s9, s9, exec_lo
	s_delay_alu instid0(SALU_CYCLE_1)
	s_or_b32 s17, s17, s9
.LBB1115_1039:
	s_or_b32 exec_lo, exec_lo, s20
	s_delay_alu instid0(SALU_CYCLE_1)
	s_or_not1_b32 s17, s17, exec_lo
.LBB1115_1040:
	s_or_b32 exec_lo, exec_lo, s19
	v_dual_cndmask_b32 v14, v38, v39, s17 :: v_dual_cndmask_b32 v15, v115, v114, s17
	s_mov_b32 s19, exec_lo
	s_delay_alu instid0(VALU_DEP_1) | instskip(NEXT) | instid1(VALU_DEP_1)
	v_add_nc_u32_e32 v14, 1, v14
	v_add_min_u32_e64 v15, v15, -1, v14
	s_delay_alu instid0(VALU_DEP_1)
	v_lshl_add_u32 v15, v15, 3, v30
	ds_load_b64 v[16:17], v15
	s_wait_dscnt 0x0
	v_dual_cndmask_b32 v15, v17, v21, s17 :: v_dual_cndmask_b32 v50, v14, v38, s17
	v_dual_cndmask_b32 v51, v39, v14, s17 :: v_dual_cndmask_b32 v36, v34, v16, s17
	v_dual_cndmask_b32 v14, v16, v20, s17 :: v_dual_cndmask_b32 v37, v35, v17, s17
	s_delay_alu instid0(VALU_DEP_3)
	v_cmpx_lt_u32_e64 v50, v115
	s_cbranch_execz .LBB1115_1060
; %bb.1041:
	s_delay_alu instid0(VALU_DEP_3) | instskip(SKIP_1) | instid1(SALU_CYCLE_1)
	v_cmp_lt_u32_e64 s18, v51, v114
	s_and_b32 s9, s18, s14
	s_and_saveexec_b32 s20, s9
	s_cbranch_execz .LBB1115_1059
; %bb.1042:
	v_mul_u64_e32 v[16:17], v[36:37], v[6:7]
	v_mul_u64_e32 v[38:39], v[14:15], v[6:7]
	v_mov_b64_e32 v[48:49], v[6:7]
	s_mov_b32 s21, 0
                                        ; implicit-def: $sgpr22
                                        ; implicit-def: $sgpr23
                                        ; implicit-def: $sgpr26
	s_delay_alu instid0(VALU_DEP_3) | instskip(NEXT) | instid1(VALU_DEP_3)
	v_lshl_add_u64 v[16:17], v[16:17], 1, v[8:9]
	v_lshl_add_u64 v[38:39], v[38:39], 1, v[8:9]
	s_branch .LBB1115_1044
.LBB1115_1043:                          ;   in Loop: Header=BB1115_1044 Depth=1
	s_or_b32 exec_lo, exec_lo, s26
	s_delay_alu instid0(SALU_CYCLE_1) | instskip(SKIP_4) | instid1(SALU_CYCLE_1)
	s_and_b32 s9, exec_lo, s25
	s_mov_b32 s26, s24
	s_or_b32 s21, s9, s21
	s_and_not1_b32 s9, s22, exec_lo
	s_and_b32 s22, s23, exec_lo
	s_or_b32 s22, s9, s22
	s_and_not1_b32 exec_lo, exec_lo, s21
	s_cbranch_execz .LBB1115_1058
.LBB1115_1044:                          ; =>This Inner Loop Header: Depth=1
	flat_load_u16 v52, v[38:39]
	flat_load_u16 v53, v[16:17]
	s_mov_b32 s25, -1
	s_mov_b32 s27, 0
	s_mov_b32 s24, -1
	s_mov_b32 s28, exec_lo
	s_wait_loadcnt_dscnt 0x0
	v_dual_lshlrev_b32 v52, 16, v52 :: v_dual_lshlrev_b32 v53, 16, v53
	s_delay_alu instid0(VALU_DEP_1)
	v_cmpx_nlt_f32_e32 v52, v53
; %bb.1045:                             ;   in Loop: Header=BB1115_1044 Depth=1
	v_cmp_ngt_f32_e64 s9, v52, v53
	s_and_b32 s24, s9, s26
	s_and_b32 s27, s9, exec_lo
	s_or_not1_b32 s24, s24, exec_lo
; %bb.1046:                             ;   in Loop: Header=BB1115_1044 Depth=1
	s_or_b32 exec_lo, exec_lo, s28
	s_delay_alu instid0(SALU_CYCLE_1) | instskip(SKIP_1) | instid1(SALU_CYCLE_1)
	s_and_not1_b32 s9, s23, exec_lo
	s_and_b32 s23, s24, exec_lo
	s_or_b32 s23, s9, s23
	s_and_saveexec_b32 s26, s27
	s_cbranch_execz .LBB1115_1043
; %bb.1047:                             ;   in Loop: Header=BB1115_1044 Depth=1
	v_add_nc_u64_e32 v[48:49], -1, v[48:49]
	v_add_nc_u64_e32 v[16:17], 2, v[16:17]
	v_add_nc_u64_e32 v[38:39], 2, v[38:39]
	s_and_not1_b32 s23, s23, exec_lo
	s_delay_alu instid0(VALU_DEP_3)
	v_cmp_eq_u64_e64 s9, 0, v[48:49]
	s_or_not1_b32 s25, s9, exec_lo
	s_branch .LBB1115_1043
.LBB1115_1048:
	s_or_b32 exec_lo, exec_lo, s14
	s_xor_b32 s1, s15, -1
	s_and_not1_b32 s7, s7, exec_lo
	s_and_b32 s1, s1, exec_lo
	s_delay_alu instid0(SALU_CYCLE_1)
	s_or_b32 s7, s7, s1
.LBB1115_1049:
	s_or_b32 exec_lo, exec_lo, s13
	s_delay_alu instid0(SALU_CYCLE_1)
	s_or_not1_b32 s7, s7, exec_lo
.LBB1115_1050:
	s_or_b32 exec_lo, exec_lo, s12
	v_cndmask_b32_e64 v10, v34, v35, s7
	v_cndmask_b32_e64 v11, v112, v103, s7
	s_mov_b32 s12, exec_lo
	s_delay_alu instid0(VALU_DEP_2) | instskip(NEXT) | instid1(VALU_DEP_1)
	v_add_nc_u32_e32 v10, 1, v10
	v_add_min_u32_e64 v11, v11, -1, v10
	s_delay_alu instid0(VALU_DEP_1)
	v_lshl_add_u32 v11, v11, 3, v22
	ds_load_b64 v[12:13], v11
	v_cndmask_b32_e64 v38, v10, v34, s7
	s_wait_dscnt 0x0
	v_dual_cndmask_b32 v39, v35, v10, s7 :: v_dual_cndmask_b32 v32, v30, v12, s7
	v_dual_cndmask_b32 v11, v13, v17, s7 :: v_dual_cndmask_b32 v10, v12, v16, s7
	v_cndmask_b32_e64 v33, v31, v13, s7
	v_cmpx_lt_u32_e64 v38, v112
	s_cbranch_execz .LBB1115_1070
; %bb.1051:
	v_cmp_lt_u32_e64 s11, v39, v103
	s_xor_b32 s1, s0, -1
	s_delay_alu instid0(SALU_CYCLE_1) | instskip(NEXT) | instid1(SALU_CYCLE_1)
	s_and_b32 s1, s11, s1
	s_and_saveexec_b32 s13, s1
	s_cbranch_execz .LBB1115_1069
; %bb.1052:
	v_mul_u64_e32 v[12:13], v[32:33], v[6:7]
	v_mul_u64_e32 v[34:35], v[10:11], v[6:7]
	v_mov_b64_e32 v[36:37], v[6:7]
	s_mov_b32 s14, 0
                                        ; implicit-def: $sgpr15
                                        ; implicit-def: $sgpr16
                                        ; implicit-def: $sgpr19
	s_delay_alu instid0(VALU_DEP_3) | instskip(NEXT) | instid1(VALU_DEP_3)
	v_lshl_add_u64 v[12:13], v[12:13], 1, v[8:9]
	v_lshl_add_u64 v[34:35], v[34:35], 1, v[8:9]
	s_branch .LBB1115_1054
.LBB1115_1053:                          ;   in Loop: Header=BB1115_1054 Depth=1
	s_or_b32 exec_lo, exec_lo, s19
	s_delay_alu instid0(SALU_CYCLE_1) | instskip(SKIP_4) | instid1(SALU_CYCLE_1)
	s_and_b32 s1, exec_lo, s18
	s_mov_b32 s19, s17
	s_or_b32 s14, s1, s14
	s_and_not1_b32 s1, s15, exec_lo
	s_and_b32 s15, s16, exec_lo
	s_or_b32 s15, s1, s15
	s_and_not1_b32 exec_lo, exec_lo, s14
	s_cbranch_execz .LBB1115_1068
.LBB1115_1054:                          ; =>This Inner Loop Header: Depth=1
	flat_load_u16 v48, v[34:35]
	flat_load_u16 v49, v[12:13]
	s_mov_b32 s18, -1
	s_mov_b32 s20, 0
	s_mov_b32 s17, -1
	s_mov_b32 s21, exec_lo
	s_wait_loadcnt_dscnt 0x0
	v_dual_lshlrev_b32 v48, 16, v48 :: v_dual_lshlrev_b32 v49, 16, v49
	s_delay_alu instid0(VALU_DEP_1)
	v_cmpx_nlt_f32_e32 v48, v49
; %bb.1055:                             ;   in Loop: Header=BB1115_1054 Depth=1
	v_cmp_ngt_f32_e64 s1, v48, v49
	s_and_b32 s17, s1, s19
	s_and_b32 s20, s1, exec_lo
	s_or_not1_b32 s17, s17, exec_lo
; %bb.1056:                             ;   in Loop: Header=BB1115_1054 Depth=1
	s_or_b32 exec_lo, exec_lo, s21
	s_delay_alu instid0(SALU_CYCLE_1) | instskip(SKIP_1) | instid1(SALU_CYCLE_1)
	s_and_not1_b32 s1, s16, exec_lo
	s_and_b32 s16, s17, exec_lo
	s_or_b32 s16, s1, s16
	s_and_saveexec_b32 s19, s20
	s_cbranch_execz .LBB1115_1053
; %bb.1057:                             ;   in Loop: Header=BB1115_1054 Depth=1
	v_add_nc_u64_e32 v[36:37], -1, v[36:37]
	v_add_nc_u64_e32 v[12:13], 2, v[12:13]
	v_add_nc_u64_e32 v[34:35], 2, v[34:35]
	s_and_not1_b32 s16, s16, exec_lo
	s_delay_alu instid0(VALU_DEP_3)
	v_cmp_eq_u64_e64 s1, 0, v[36:37]
	s_or_not1_b32 s18, s1, exec_lo
	s_branch .LBB1115_1053
.LBB1115_1058:
	s_or_b32 exec_lo, exec_lo, s21
	s_xor_b32 s9, s22, -1
	s_and_not1_b32 s18, s18, exec_lo
	s_and_b32 s9, s9, exec_lo
	s_delay_alu instid0(SALU_CYCLE_1)
	s_or_b32 s18, s18, s9
.LBB1115_1059:
	s_or_b32 exec_lo, exec_lo, s20
	s_delay_alu instid0(SALU_CYCLE_1)
	s_or_not1_b32 s18, s18, exec_lo
.LBB1115_1060:
	s_or_b32 exec_lo, exec_lo, s19
	v_dual_cndmask_b32 v16, v50, v51, s18 :: v_dual_cndmask_b32 v17, v115, v114, s18
	s_mov_b32 s19, -1
	s_mov_b32 s20, -1
	s_mov_b32 s21, exec_lo
	s_delay_alu instid0(VALU_DEP_1) | instskip(NEXT) | instid1(VALU_DEP_1)
	v_add_nc_u32_e32 v16, 1, v16
	v_add_min_u32_e64 v17, v17, -1, v16
	s_delay_alu instid0(VALU_DEP_1)
	v_lshl_add_u32 v17, v17, 3, v30
	ds_load_b64 v[38:39], v17
	s_wait_dscnt 0x0
	v_dual_cndmask_b32 v17, v39, v15, s18 :: v_dual_cndmask_b32 v54, v16, v50, s18
	v_dual_cndmask_b32 v55, v51, v16, s18 :: v_dual_cndmask_b32 v16, v38, v14, s18
	v_dual_cndmask_b32 v39, v37, v39, s18 :: v_dual_cndmask_b32 v38, v36, v38, s18
	s_delay_alu instid0(VALU_DEP_3)
	v_cmpx_lt_u32_e64 v54, v115
	s_cbranch_execz .LBB1115_1080
; %bb.1061:
	s_delay_alu instid0(VALU_DEP_3) | instskip(SKIP_1) | instid1(SALU_CYCLE_1)
	v_cmp_lt_u32_e64 s20, v55, v114
	s_and_b32 s9, s20, s14
	s_and_saveexec_b32 s22, s9
	s_cbranch_execz .LBB1115_1079
; %bb.1062:
	v_mul_u64_e32 v[48:49], v[38:39], v[6:7]
	v_mul_u64_e32 v[50:51], v[16:17], v[6:7]
	v_mov_b64_e32 v[52:53], v[6:7]
	s_mov_b32 s23, 0
                                        ; implicit-def: $sgpr24
                                        ; implicit-def: $sgpr25
                                        ; implicit-def: $sgpr28
	s_delay_alu instid0(VALU_DEP_3) | instskip(NEXT) | instid1(VALU_DEP_3)
	v_lshl_add_u64 v[48:49], v[48:49], 1, v[8:9]
	v_lshl_add_u64 v[50:51], v[50:51], 1, v[8:9]
	s_branch .LBB1115_1064
.LBB1115_1063:                          ;   in Loop: Header=BB1115_1064 Depth=1
	s_or_b32 exec_lo, exec_lo, s28
	s_delay_alu instid0(SALU_CYCLE_1) | instskip(SKIP_4) | instid1(SALU_CYCLE_1)
	s_and_b32 s9, exec_lo, s27
	s_mov_b32 s28, s26
	s_or_b32 s23, s9, s23
	s_and_not1_b32 s9, s24, exec_lo
	s_and_b32 s24, s25, exec_lo
	s_or_b32 s24, s9, s24
	s_and_not1_b32 exec_lo, exec_lo, s23
	s_cbranch_execz .LBB1115_1078
.LBB1115_1064:                          ; =>This Inner Loop Header: Depth=1
	flat_load_u16 v64, v[50:51]
	flat_load_u16 v65, v[48:49]
	s_mov_b32 s27, -1
	s_mov_b32 s29, 0
	s_mov_b32 s26, -1
	s_mov_b32 s40, exec_lo
	s_wait_loadcnt_dscnt 0x0
	v_dual_lshlrev_b32 v64, 16, v64 :: v_dual_lshlrev_b32 v65, 16, v65
	s_delay_alu instid0(VALU_DEP_1)
	v_cmpx_nlt_f32_e32 v64, v65
; %bb.1065:                             ;   in Loop: Header=BB1115_1064 Depth=1
	v_cmp_ngt_f32_e64 s9, v64, v65
	s_and_b32 s26, s9, s28
	s_and_b32 s29, s9, exec_lo
	s_or_not1_b32 s26, s26, exec_lo
; %bb.1066:                             ;   in Loop: Header=BB1115_1064 Depth=1
	s_or_b32 exec_lo, exec_lo, s40
	s_delay_alu instid0(SALU_CYCLE_1) | instskip(SKIP_1) | instid1(SALU_CYCLE_1)
	s_and_not1_b32 s9, s25, exec_lo
	s_and_b32 s25, s26, exec_lo
	s_or_b32 s25, s9, s25
	s_and_saveexec_b32 s28, s29
	s_cbranch_execz .LBB1115_1063
; %bb.1067:                             ;   in Loop: Header=BB1115_1064 Depth=1
	v_add_nc_u64_e32 v[52:53], -1, v[52:53]
	v_add_nc_u64_e32 v[48:49], 2, v[48:49]
	v_add_nc_u64_e32 v[50:51], 2, v[50:51]
	s_and_not1_b32 s25, s25, exec_lo
	s_delay_alu instid0(VALU_DEP_3)
	v_cmp_eq_u64_e64 s9, 0, v[52:53]
	s_or_not1_b32 s27, s9, exec_lo
	s_branch .LBB1115_1063
.LBB1115_1068:
	s_or_b32 exec_lo, exec_lo, s14
	s_xor_b32 s1, s15, -1
	s_and_not1_b32 s11, s11, exec_lo
	s_and_b32 s1, s1, exec_lo
	s_delay_alu instid0(SALU_CYCLE_1)
	s_or_b32 s11, s11, s1
.LBB1115_1069:
	s_or_b32 exec_lo, exec_lo, s13
	s_delay_alu instid0(SALU_CYCLE_1)
	s_or_not1_b32 s11, s11, exec_lo
.LBB1115_1070:
	s_or_b32 exec_lo, exec_lo, s12
	v_cndmask_b32_e64 v12, v38, v39, s11
	v_cndmask_b32_e64 v13, v112, v103, s11
	s_mov_b32 s12, -1
	s_mov_b32 s13, -1
	s_mov_b32 s14, exec_lo
	v_add_nc_u32_e32 v12, 1, v12
	s_delay_alu instid0(VALU_DEP_1) | instskip(SKIP_1) | instid1(VALU_DEP_2)
	v_add_min_u32_e64 v13, v13, -1, v12
	v_dual_cndmask_b32 v50, v12, v38, s11 :: v_dual_cndmask_b32 v51, v39, v12, s11
	v_lshl_add_u32 v13, v13, 3, v22
	ds_load_b64 v[34:35], v13
	s_wait_dscnt 0x0
	v_dual_cndmask_b32 v13, v35, v11, s11 :: v_dual_cndmask_b32 v12, v34, v10, s11
	v_dual_cndmask_b32 v35, v33, v35, s11 :: v_dual_cndmask_b32 v34, v32, v34, s11
	v_cmpx_lt_u32_e64 v50, v112
	s_cbranch_execz .LBB1115_1090
; %bb.1071:
	v_cmp_lt_u32_e64 s13, v51, v103
	s_xor_b32 s1, s0, -1
	s_delay_alu instid0(SALU_CYCLE_1) | instskip(NEXT) | instid1(SALU_CYCLE_1)
	s_and_b32 s1, s13, s1
	s_and_saveexec_b32 s15, s1
	s_cbranch_execz .LBB1115_1089
; %bb.1072:
	v_mul_u64_e32 v[36:37], v[34:35], v[6:7]
	v_mul_u64_e32 v[38:39], v[12:13], v[6:7]
	v_mov_b64_e32 v[48:49], v[6:7]
	s_mov_b32 s16, 0
                                        ; implicit-def: $sgpr17
                                        ; implicit-def: $sgpr18
                                        ; implicit-def: $sgpr21
	s_delay_alu instid0(VALU_DEP_3) | instskip(NEXT) | instid1(VALU_DEP_3)
	v_lshl_add_u64 v[36:37], v[36:37], 1, v[8:9]
	v_lshl_add_u64 v[38:39], v[38:39], 1, v[8:9]
	s_branch .LBB1115_1074
.LBB1115_1073:                          ;   in Loop: Header=BB1115_1074 Depth=1
	s_or_b32 exec_lo, exec_lo, s21
	s_delay_alu instid0(SALU_CYCLE_1) | instskip(SKIP_4) | instid1(SALU_CYCLE_1)
	s_and_b32 s1, exec_lo, s20
	s_mov_b32 s21, s19
	s_or_b32 s16, s1, s16
	s_and_not1_b32 s1, s17, exec_lo
	s_and_b32 s17, s18, exec_lo
	s_or_b32 s17, s1, s17
	s_and_not1_b32 exec_lo, exec_lo, s16
	s_cbranch_execz .LBB1115_1088
.LBB1115_1074:                          ; =>This Inner Loop Header: Depth=1
	flat_load_u16 v52, v[38:39]
	flat_load_u16 v53, v[36:37]
	s_mov_b32 s20, -1
	s_mov_b32 s22, 0
	s_mov_b32 s19, -1
	s_mov_b32 s23, exec_lo
	s_wait_loadcnt_dscnt 0x0
	v_dual_lshlrev_b32 v52, 16, v52 :: v_dual_lshlrev_b32 v53, 16, v53
	s_delay_alu instid0(VALU_DEP_1)
	v_cmpx_nlt_f32_e32 v52, v53
; %bb.1075:                             ;   in Loop: Header=BB1115_1074 Depth=1
	v_cmp_ngt_f32_e64 s1, v52, v53
	s_and_b32 s19, s1, s21
	s_and_b32 s22, s1, exec_lo
	s_or_not1_b32 s19, s19, exec_lo
; %bb.1076:                             ;   in Loop: Header=BB1115_1074 Depth=1
	s_or_b32 exec_lo, exec_lo, s23
	s_delay_alu instid0(SALU_CYCLE_1) | instskip(SKIP_1) | instid1(SALU_CYCLE_1)
	s_and_not1_b32 s1, s18, exec_lo
	s_and_b32 s18, s19, exec_lo
	s_or_b32 s18, s1, s18
	s_and_saveexec_b32 s21, s22
	s_cbranch_execz .LBB1115_1073
; %bb.1077:                             ;   in Loop: Header=BB1115_1074 Depth=1
	v_add_nc_u64_e32 v[48:49], -1, v[48:49]
	v_add_nc_u64_e32 v[36:37], 2, v[36:37]
	v_add_nc_u64_e32 v[38:39], 2, v[38:39]
	s_and_not1_b32 s18, s18, exec_lo
	s_delay_alu instid0(VALU_DEP_3)
	v_cmp_eq_u64_e64 s1, 0, v[48:49]
	s_or_not1_b32 s20, s1, exec_lo
	s_branch .LBB1115_1073
.LBB1115_1078:
	s_or_b32 exec_lo, exec_lo, s23
	s_xor_b32 s9, s24, -1
	s_and_not1_b32 s20, s20, exec_lo
	s_and_b32 s9, s9, exec_lo
	s_delay_alu instid0(SALU_CYCLE_1)
	s_or_b32 s20, s20, s9
.LBB1115_1079:
	s_or_b32 exec_lo, exec_lo, s22
	s_delay_alu instid0(SALU_CYCLE_1)
	s_or_not1_b32 s20, s20, exec_lo
.LBB1115_1080:
	s_or_b32 exec_lo, exec_lo, s21
	v_dual_cndmask_b32 v48, v54, v55, s20 :: v_dual_cndmask_b32 v49, v115, v114, s20
	s_mov_b32 s21, exec_lo
	s_delay_alu instid0(VALU_DEP_1) | instskip(NEXT) | instid1(VALU_DEP_1)
	v_add_nc_u32_e32 v48, 1, v48
	v_add_min_u32_e64 v49, v49, -1, v48
	s_delay_alu instid0(VALU_DEP_1)
	v_lshl_add_u32 v49, v49, 3, v30
	ds_load_b64 v[50:51], v49
	s_wait_dscnt 0x0
	v_dual_cndmask_b32 v49, v51, v17, s20 :: v_dual_cndmask_b32 v117, v48, v54, s20
	v_cndmask_b32_e64 v116, v55, v48, s20
	v_dual_cndmask_b32 v48, v50, v16, s20 :: v_dual_cndmask_b32 v51, v39, v51, s20
	v_cndmask_b32_e64 v50, v38, v50, s20
	s_delay_alu instid0(VALU_DEP_4)
	v_cmpx_lt_u32_e64 v117, v115
	s_cbranch_execz .LBB1115_1100
; %bb.1081:
	v_cmp_lt_u32_e64 s19, v116, v114
	s_and_b32 s9, s19, s14
	s_delay_alu instid0(SALU_CYCLE_1)
	s_and_saveexec_b32 s22, s9
	s_cbranch_execz .LBB1115_1099
; %bb.1082:
	v_mul_u64_e32 v[52:53], v[50:51], v[6:7]
	v_mul_u64_e32 v[54:55], v[48:49], v[6:7]
	v_mov_b64_e32 v[64:65], v[6:7]
	s_mov_b32 s23, 0
                                        ; implicit-def: $sgpr24
                                        ; implicit-def: $sgpr25
                                        ; implicit-def: $sgpr28
	s_delay_alu instid0(VALU_DEP_3) | instskip(NEXT) | instid1(VALU_DEP_3)
	v_lshl_add_u64 v[52:53], v[52:53], 1, v[8:9]
	v_lshl_add_u64 v[54:55], v[54:55], 1, v[8:9]
	s_branch .LBB1115_1084
.LBB1115_1083:                          ;   in Loop: Header=BB1115_1084 Depth=1
	s_or_b32 exec_lo, exec_lo, s28
	s_delay_alu instid0(SALU_CYCLE_1) | instskip(SKIP_4) | instid1(SALU_CYCLE_1)
	s_and_b32 s9, exec_lo, s27
	s_mov_b32 s28, s26
	s_or_b32 s23, s9, s23
	s_and_not1_b32 s9, s24, exec_lo
	s_and_b32 s24, s25, exec_lo
	s_or_b32 s24, s9, s24
	s_and_not1_b32 exec_lo, exec_lo, s23
	s_cbranch_execz .LBB1115_1098
.LBB1115_1084:                          ; =>This Inner Loop Header: Depth=1
	flat_load_u16 v118, v[54:55]
	flat_load_u16 v119, v[52:53]
	s_mov_b32 s27, -1
	s_mov_b32 s29, 0
	s_mov_b32 s26, -1
	s_mov_b32 s40, exec_lo
	s_wait_loadcnt_dscnt 0x0
	v_dual_lshlrev_b32 v118, 16, v118 :: v_dual_lshlrev_b32 v119, 16, v119
	s_delay_alu instid0(VALU_DEP_1)
	v_cmpx_nlt_f32_e32 v118, v119
; %bb.1085:                             ;   in Loop: Header=BB1115_1084 Depth=1
	v_cmp_ngt_f32_e64 s9, v118, v119
	s_and_b32 s26, s9, s28
	s_and_b32 s29, s9, exec_lo
	s_or_not1_b32 s26, s26, exec_lo
; %bb.1086:                             ;   in Loop: Header=BB1115_1084 Depth=1
	s_or_b32 exec_lo, exec_lo, s40
	s_delay_alu instid0(SALU_CYCLE_1) | instskip(SKIP_1) | instid1(SALU_CYCLE_1)
	s_and_not1_b32 s9, s25, exec_lo
	s_and_b32 s25, s26, exec_lo
	s_or_b32 s25, s9, s25
	s_and_saveexec_b32 s28, s29
	s_cbranch_execz .LBB1115_1083
; %bb.1087:                             ;   in Loop: Header=BB1115_1084 Depth=1
	v_add_nc_u64_e32 v[64:65], -1, v[64:65]
	v_add_nc_u64_e32 v[52:53], 2, v[52:53]
	v_add_nc_u64_e32 v[54:55], 2, v[54:55]
	s_and_not1_b32 s25, s25, exec_lo
	s_delay_alu instid0(VALU_DEP_3)
	v_cmp_eq_u64_e64 s9, 0, v[64:65]
	s_or_not1_b32 s27, s9, exec_lo
	s_branch .LBB1115_1083
.LBB1115_1088:
	s_or_b32 exec_lo, exec_lo, s16
	s_xor_b32 s1, s17, -1
	s_and_not1_b32 s13, s13, exec_lo
	s_and_b32 s1, s1, exec_lo
	s_delay_alu instid0(SALU_CYCLE_1)
	s_or_b32 s13, s13, s1
.LBB1115_1089:
	s_or_b32 exec_lo, exec_lo, s15
	s_delay_alu instid0(SALU_CYCLE_1)
	s_or_not1_b32 s13, s13, exec_lo
.LBB1115_1090:
	s_or_b32 exec_lo, exec_lo, s14
	v_cndmask_b32_e64 v36, v50, v51, s13
	v_cndmask_b32_e64 v37, v112, v103, s13
	s_mov_b32 s14, exec_lo
	s_delay_alu instid0(VALU_DEP_2) | instskip(NEXT) | instid1(VALU_DEP_1)
	v_add_nc_u32_e32 v36, 1, v36
	v_add_min_u32_e64 v37, v37, -1, v36
	v_dual_cndmask_b32 v114, v36, v50, s13 :: v_dual_cndmask_b32 v113, v51, v36, s13
	s_delay_alu instid0(VALU_DEP_2)
	v_lshl_add_u32 v37, v37, 3, v22
	ds_load_b64 v[38:39], v37
	s_wait_dscnt 0x0
	v_dual_cndmask_b32 v37, v39, v13, s13 :: v_dual_cndmask_b32 v36, v38, v12, s13
	v_dual_cndmask_b32 v39, v35, v39, s13 :: v_dual_cndmask_b32 v38, v34, v38, s13
	v_cmpx_lt_u32_e64 v114, v112
	s_cbranch_execz .LBB1115_1110
; %bb.1091:
	v_cmp_lt_u32_e64 s12, v113, v103
	s_xor_b32 s1, s0, -1
	s_delay_alu instid0(SALU_CYCLE_1) | instskip(NEXT) | instid1(SALU_CYCLE_1)
	s_and_b32 s1, s12, s1
	s_and_saveexec_b32 s15, s1
	s_cbranch_execz .LBB1115_1109
; %bb.1092:
	v_mul_u64_e32 v[48:49], v[38:39], v[6:7]
	v_mul_u64_e32 v[50:51], v[36:37], v[6:7]
	v_mov_b64_e32 v[52:53], v[6:7]
	s_mov_b32 s16, 0
                                        ; implicit-def: $sgpr17
                                        ; implicit-def: $sgpr18
                                        ; implicit-def: $sgpr21
	s_delay_alu instid0(VALU_DEP_3) | instskip(NEXT) | instid1(VALU_DEP_3)
	v_lshl_add_u64 v[48:49], v[48:49], 1, v[8:9]
	v_lshl_add_u64 v[50:51], v[50:51], 1, v[8:9]
	s_branch .LBB1115_1094
.LBB1115_1093:                          ;   in Loop: Header=BB1115_1094 Depth=1
	s_or_b32 exec_lo, exec_lo, s21
	s_delay_alu instid0(SALU_CYCLE_1) | instskip(SKIP_4) | instid1(SALU_CYCLE_1)
	s_and_b32 s1, exec_lo, s20
	s_mov_b32 s21, s19
	s_or_b32 s16, s1, s16
	s_and_not1_b32 s1, s17, exec_lo
	s_and_b32 s17, s18, exec_lo
	s_or_b32 s17, s1, s17
	s_and_not1_b32 exec_lo, exec_lo, s16
	s_cbranch_execz .LBB1115_1108
.LBB1115_1094:                          ; =>This Inner Loop Header: Depth=1
	flat_load_u16 v115, v[50:51]
	flat_load_u16 v116, v[48:49]
	s_mov_b32 s20, -1
	s_mov_b32 s22, 0
	s_mov_b32 s19, -1
	s_mov_b32 s23, exec_lo
	s_wait_loadcnt_dscnt 0x0
	v_dual_lshlrev_b32 v115, 16, v115 :: v_dual_lshlrev_b32 v116, 16, v116
	s_delay_alu instid0(VALU_DEP_1)
	v_cmpx_nlt_f32_e32 v115, v116
; %bb.1095:                             ;   in Loop: Header=BB1115_1094 Depth=1
	v_cmp_ngt_f32_e64 s1, v115, v116
	s_and_b32 s19, s1, s21
	s_and_b32 s22, s1, exec_lo
	s_or_not1_b32 s19, s19, exec_lo
; %bb.1096:                             ;   in Loop: Header=BB1115_1094 Depth=1
	s_or_b32 exec_lo, exec_lo, s23
	s_delay_alu instid0(SALU_CYCLE_1) | instskip(SKIP_1) | instid1(SALU_CYCLE_1)
	s_and_not1_b32 s1, s18, exec_lo
	s_and_b32 s18, s19, exec_lo
	s_or_b32 s18, s1, s18
	s_and_saveexec_b32 s21, s22
	s_cbranch_execz .LBB1115_1093
; %bb.1097:                             ;   in Loop: Header=BB1115_1094 Depth=1
	v_add_nc_u64_e32 v[52:53], -1, v[52:53]
	v_add_nc_u64_e32 v[48:49], 2, v[48:49]
	v_add_nc_u64_e32 v[50:51], 2, v[50:51]
	s_and_not1_b32 s18, s18, exec_lo
	s_delay_alu instid0(VALU_DEP_3)
	v_cmp_eq_u64_e64 s1, 0, v[52:53]
	s_or_not1_b32 s20, s1, exec_lo
	s_branch .LBB1115_1093
.LBB1115_1098:
	s_or_b32 exec_lo, exec_lo, s23
	s_xor_b32 s9, s24, -1
	s_and_not1_b32 s19, s19, exec_lo
	s_and_b32 s9, s9, exec_lo
	s_delay_alu instid0(SALU_CYCLE_1)
	s_or_b32 s19, s19, s9
.LBB1115_1099:
	s_or_b32 exec_lo, exec_lo, s22
	s_delay_alu instid0(SALU_CYCLE_1)
	s_or_not1_b32 s19, s19, exec_lo
.LBB1115_1100:
	s_or_b32 exec_lo, exec_lo, s21
	v_dual_cndmask_b32 v52, v117, v116, s19 :: v_dual_cndmask_b32 v53, v115, v114, s19
	v_dual_cndmask_b32 v16, v16, v38, s20 :: v_dual_cndmask_b32 v15, v15, v37, s18
	;; [unrolled: 1-line block ×3, first 2 shown]
	s_delay_alu instid0(VALU_DEP_3) | instskip(SKIP_2) | instid1(VALU_DEP_3)
	v_dual_add_nc_u32 v54, 1, v52 :: v_dual_cndmask_b32 v17, v17, v39, s20
	v_dual_cndmask_b32 v20, v20, v34, s17 :: v_dual_cndmask_b32 v19, v19, v33, s16
	v_dual_cndmask_b32 v18, v18, v32, s16 :: v_dual_cndmask_b32 v25, v23, v25, s11
	v_add_min_u32_e64 v52, v53, -1, v54
	v_dual_cndmask_b32 v24, v22, v24, s11 :: v_dual_cndmask_b32 v23, v13, v11, s10
	v_dual_cndmask_b32 v22, v12, v10, s10 :: v_dual_cndmask_b32 v32, v54, v117, s19
	s_delay_alu instid0(VALU_DEP_3)
	v_lshl_add_u32 v52, v52, 3, v30
	v_dual_cndmask_b32 v11, v49, v51, s19 :: v_dual_cndmask_b32 v10, v48, v50, s19
	s_mov_b32 s10, exec_lo
	ds_load_b64 v[52:53], v52
	s_wait_dscnt 0x0
	v_dual_cndmask_b32 v13, v51, v53, s19 :: v_dual_cndmask_b32 v12, v50, v52, s19
	v_cmpx_lt_u32_e64 v32, v115
	s_cbranch_execz .LBB1115_1120
; %bb.1101:
	v_dual_cndmask_b32 v34, v116, v54, s19 :: v_dual_cndmask_b32 v33, v53, v49, s19
	s_delay_alu instid0(VALU_DEP_1) | instskip(NEXT) | instid1(VALU_DEP_1)
	v_cmp_ge_u32_e64 s9, v34, v114
	v_dual_cndmask_b32 v32, v52, v48, s19 :: v_dual_cndmask_b32 v35, v13, v33, s9
	s_delay_alu instid0(VALU_DEP_1) | instskip(SKIP_1) | instid1(SALU_CYCLE_1)
	v_cndmask_b32_e64 v34, v12, v32, s9
	s_nor_b32 s9, s9, s8
	s_and_saveexec_b32 s11, s9
	s_cbranch_execz .LBB1115_1119
; %bb.1102:
	v_mul_u64_e32 v[34:35], v[12:13], v[6:7]
	v_mul_u64_e32 v[36:37], v[32:33], v[6:7]
	v_mov_b64_e32 v[38:39], v[6:7]
	s_mov_b32 s16, 0
                                        ; implicit-def: $sgpr17
                                        ; implicit-def: $sgpr18
                                        ; implicit-def: $sgpr21
	s_delay_alu instid0(VALU_DEP_3) | instskip(NEXT) | instid1(VALU_DEP_3)
	v_lshl_add_u64 v[34:35], v[34:35], 1, v[8:9]
	v_lshl_add_u64 v[36:37], v[36:37], 1, v[8:9]
	s_branch .LBB1115_1104
.LBB1115_1103:                          ;   in Loop: Header=BB1115_1104 Depth=1
	s_or_b32 exec_lo, exec_lo, s21
	s_delay_alu instid0(SALU_CYCLE_1) | instskip(SKIP_4) | instid1(SALU_CYCLE_1)
	s_and_b32 s9, exec_lo, s20
	s_mov_b32 s21, s19
	s_or_b32 s16, s9, s16
	s_and_not1_b32 s9, s17, exec_lo
	s_and_b32 s17, s18, exec_lo
	s_or_b32 s17, s9, s17
	s_and_not1_b32 exec_lo, exec_lo, s16
	s_cbranch_execz .LBB1115_1118
.LBB1115_1104:                          ; =>This Inner Loop Header: Depth=1
	flat_load_u16 v48, v[36:37]
	flat_load_u16 v49, v[34:35]
	s_mov_b32 s20, -1
	s_mov_b32 s22, 0
	s_mov_b32 s19, -1
	s_mov_b32 s23, exec_lo
	s_wait_loadcnt_dscnt 0x0
	v_dual_lshlrev_b32 v48, 16, v48 :: v_dual_lshlrev_b32 v49, 16, v49
	s_delay_alu instid0(VALU_DEP_1)
	v_cmpx_nlt_f32_e32 v48, v49
; %bb.1105:                             ;   in Loop: Header=BB1115_1104 Depth=1
	v_cmp_ngt_f32_e64 s9, v48, v49
	s_and_b32 s19, s9, s21
	s_and_b32 s22, s9, exec_lo
	s_or_not1_b32 s19, s19, exec_lo
; %bb.1106:                             ;   in Loop: Header=BB1115_1104 Depth=1
	s_or_b32 exec_lo, exec_lo, s23
	s_delay_alu instid0(SALU_CYCLE_1) | instskip(SKIP_1) | instid1(SALU_CYCLE_1)
	s_and_not1_b32 s9, s18, exec_lo
	s_and_b32 s18, s19, exec_lo
	s_or_b32 s18, s9, s18
	s_and_saveexec_b32 s21, s22
	s_cbranch_execz .LBB1115_1103
; %bb.1107:                             ;   in Loop: Header=BB1115_1104 Depth=1
	v_add_nc_u64_e32 v[38:39], -1, v[38:39]
	v_add_nc_u64_e32 v[34:35], 2, v[34:35]
	v_add_nc_u64_e32 v[36:37], 2, v[36:37]
	s_and_not1_b32 s18, s18, exec_lo
	s_delay_alu instid0(VALU_DEP_3)
	v_cmp_eq_u64_e64 s9, 0, v[38:39]
	s_or_not1_b32 s20, s9, exec_lo
	s_branch .LBB1115_1103
.LBB1115_1108:
	s_or_b32 exec_lo, exec_lo, s16
	s_xor_b32 s1, s17, -1
	s_and_not1_b32 s12, s12, exec_lo
	s_and_b32 s1, s1, exec_lo
	s_delay_alu instid0(SALU_CYCLE_1)
	s_or_b32 s12, s12, s1
.LBB1115_1109:
	s_or_b32 exec_lo, exec_lo, s15
	s_delay_alu instid0(SALU_CYCLE_1)
	s_or_not1_b32 s12, s12, exec_lo
.LBB1115_1110:
	s_or_b32 exec_lo, exec_lo, s14
	v_dual_cndmask_b32 v48, v114, v113, s12 :: v_dual_cndmask_b32 v49, v112, v103, s12
	v_dual_cndmask_b32 v12, v12, v34, s13 :: v_dual_cndmask_b32 v11, v11, v33, s11
	;; [unrolled: 1-line block ×3, first 2 shown]
	s_delay_alu instid0(VALU_DEP_3) | instskip(SKIP_2) | instid1(VALU_DEP_3)
	v_dual_add_nc_u32 v50, 1, v48 :: v_dual_cndmask_b32 v13, v13, v35, s13
	v_dual_cndmask_b32 v16, v16, v30, s7 :: v_dual_cndmask_b32 v15, v15, v25, s6
	v_dual_cndmask_b32 v14, v14, v24, s6 :: v_dual_cndmask_b32 v21, v19, v21, s3
	v_add_min_u32_e64 v48, v49, -1, v50
	v_dual_cndmask_b32 v20, v18, v20, s3 :: v_dual_cndmask_b32 v19, v3, v1, s2
	v_dual_cndmask_b32 v18, v2, v0, s2 :: v_dual_cndmask_b32 v1, v37, v39, s12
	s_delay_alu instid0(VALU_DEP_3)
	v_lshl_add_u32 v48, v48, 3, v22
	s_mov_b32 s2, exec_lo
	ds_load_b64 v[48:49], v48
	v_cndmask_b32_e64 v24, v50, v114, s12
	s_wait_dscnt 0x0
	v_dual_cndmask_b32 v0, v36, v38, s12 :: v_dual_cndmask_b32 v2, v38, v48, s12
	v_cndmask_b32_e64 v3, v39, v49, s12
	s_delay_alu instid0(VALU_DEP_3)
	v_cmpx_lt_u32_e64 v24, v112
	s_cbranch_execz .LBB1115_1156
; %bb.1111:
	v_dual_cndmask_b32 v30, v113, v50, s12 :: v_dual_cndmask_b32 v24, v48, v36, s12
	s_delay_alu instid0(VALU_DEP_1) | instskip(NEXT) | instid1(VALU_DEP_1)
	v_cmp_ge_u32_e64 s1, v30, v103
	v_dual_cndmask_b32 v25, v49, v37, s12 :: v_dual_cndmask_b32 v30, v2, v24, s1
	s_delay_alu instid0(VALU_DEP_1) | instskip(SKIP_1) | instid1(SALU_CYCLE_1)
	v_cndmask_b32_e64 v31, v3, v25, s1
	s_nor_b32 s1, s1, s0
	s_and_saveexec_b32 s3, s1
	s_cbranch_execz .LBB1115_1155
; %bb.1112:
	v_mul_u64_e32 v[30:31], v[2:3], v[6:7]
	v_mul_u64_e32 v[32:33], v[24:25], v[6:7]
	v_mov_b64_e32 v[34:35], v[6:7]
	s_mov_b32 s6, 0
                                        ; implicit-def: $sgpr7
                                        ; implicit-def: $sgpr11
                                        ; implicit-def: $sgpr14
	s_delay_alu instid0(VALU_DEP_3) | instskip(NEXT) | instid1(VALU_DEP_3)
	v_lshl_add_u64 v[30:31], v[30:31], 1, v[8:9]
	v_lshl_add_u64 v[32:33], v[32:33], 1, v[8:9]
	s_branch .LBB1115_1114
.LBB1115_1113:                          ;   in Loop: Header=BB1115_1114 Depth=1
	s_or_b32 exec_lo, exec_lo, s14
	s_delay_alu instid0(SALU_CYCLE_1) | instskip(SKIP_4) | instid1(SALU_CYCLE_1)
	s_and_b32 s1, exec_lo, s13
	s_mov_b32 s14, s12
	s_or_b32 s6, s1, s6
	s_and_not1_b32 s1, s7, exec_lo
	s_and_b32 s7, s11, exec_lo
	s_or_b32 s7, s1, s7
	s_and_not1_b32 exec_lo, exec_lo, s6
	s_cbranch_execz .LBB1115_1154
.LBB1115_1114:                          ; =>This Inner Loop Header: Depth=1
	flat_load_u16 v36, v[32:33]
	flat_load_u16 v37, v[30:31]
	s_mov_b32 s13, -1
	s_mov_b32 s15, 0
	s_mov_b32 s12, -1
	s_mov_b32 s16, exec_lo
	s_wait_loadcnt_dscnt 0x0
	v_dual_lshlrev_b32 v36, 16, v36 :: v_dual_lshlrev_b32 v37, 16, v37
	s_delay_alu instid0(VALU_DEP_1)
	v_cmpx_nlt_f32_e32 v36, v37
; %bb.1115:                             ;   in Loop: Header=BB1115_1114 Depth=1
	v_cmp_ngt_f32_e64 s1, v36, v37
	s_and_b32 s12, s1, s14
	s_and_b32 s15, s1, exec_lo
	s_or_not1_b32 s12, s12, exec_lo
; %bb.1116:                             ;   in Loop: Header=BB1115_1114 Depth=1
	s_or_b32 exec_lo, exec_lo, s16
	s_delay_alu instid0(SALU_CYCLE_1) | instskip(SKIP_1) | instid1(SALU_CYCLE_1)
	s_and_not1_b32 s1, s11, exec_lo
	s_and_b32 s11, s12, exec_lo
	s_or_b32 s11, s1, s11
	s_and_saveexec_b32 s14, s15
	s_cbranch_execz .LBB1115_1113
; %bb.1117:                             ;   in Loop: Header=BB1115_1114 Depth=1
	v_add_nc_u64_e32 v[34:35], -1, v[34:35]
	v_add_nc_u64_e32 v[30:31], 2, v[30:31]
	v_add_nc_u64_e32 v[32:33], 2, v[32:33]
	s_and_not1_b32 s11, s11, exec_lo
	s_delay_alu instid0(VALU_DEP_3)
	v_cmp_eq_u64_e64 s1, 0, v[34:35]
	s_or_not1_b32 s13, s1, exec_lo
	s_branch .LBB1115_1113
.LBB1115_1118:
	s_or_b32 exec_lo, exec_lo, s16
	v_dual_cndmask_b32 v35, v13, v33, s17 :: v_dual_cndmask_b32 v34, v12, v32, s17
.LBB1115_1119:
	s_or_b32 exec_lo, exec_lo, s11
	s_delay_alu instid0(VALU_DEP_1)
	v_mov_b64_e32 v[12:13], v[34:35]
.LBB1115_1120:
	s_or_b32 exec_lo, exec_lo, s10
.LBB1115_1121:
	s_delay_alu instid0(SALU_CYCLE_1)
	s_or_b32 exec_lo, exec_lo, s15
	v_and_b32_e32 v50, 0x80, v97
	s_mov_b32 s10, exec_lo
	; wave barrier
	ds_store_b64 v98, v[22:23]
	ds_store_b64 v113, v[24:25]
	v_or_b32_e32 v32, 64, v50
	ds_store_b64 v101, v[18:19]
	ds_store_b64 v102, v[20:21]
	;; [unrolled: 1-line block ×6, first 2 shown]
	; wave barrier
	v_min_u32_e32 v114, v96, v32
	v_and_b32_e32 v32, 0x78, v97
	s_delay_alu instid0(VALU_DEP_2) | instskip(NEXT) | instid1(VALU_DEP_2)
	v_add_min_u32_e64 v97, v114, 64, v96
	v_min_u32_e32 v51, v96, v32
	v_sub_nc_u32_e32 v33, v114, v50
	s_delay_alu instid0(VALU_DEP_3) | instskip(NEXT) | instid1(VALU_DEP_2)
	v_sub_nc_u32_e32 v32, v97, v114
	v_min_u32_e32 v53, v51, v33
	s_delay_alu instid0(VALU_DEP_2) | instskip(NEXT) | instid1(VALU_DEP_1)
	v_sub_nc_u32_e64 v52, v51, v32 clamp
	v_cmpx_lt_u32_e64 v52, v53
	s_cbranch_execz .LBB1115_1133
; %bb.1122:
	v_dual_mov_b32 v35, 0 :: v_dual_lshlrev_b32 v34, 3, v50
	s_mov_b32 s11, 0
	s_delay_alu instid0(VALU_DEP_1) | instskip(SKIP_1) | instid1(VALU_DEP_1)
	v_add_nc_u64_e32 v[32:33], v[30:31], v[34:35]
	v_lshlrev_b32_e32 v34, 3, v114
	v_add_nc_u64_e32 v[34:35], v[30:31], v[34:35]
	s_branch .LBB1115_1125
.LBB1115_1123:                          ;   in Loop: Header=BB1115_1125 Depth=1
	s_or_b32 exec_lo, exec_lo, s16
	s_delay_alu instid0(SALU_CYCLE_1)
	s_and_b32 s9, s17, exec_lo
.LBB1115_1124:                          ;   in Loop: Header=BB1115_1125 Depth=1
	s_or_b32 exec_lo, exec_lo, s15
	s_delay_alu instid0(VALU_DEP_1) | instskip(NEXT) | instid1(VALU_DEP_1)
	v_dual_add_nc_u32 v33, 1, v31 :: v_dual_cndmask_b32 v53, v53, v31, s9
	v_cndmask_b32_e64 v52, v33, v52, s9
	s_delay_alu instid0(VALU_DEP_1) | instskip(SKIP_1) | instid1(SALU_CYCLE_1)
	v_cmp_ge_u32_e64 s9, v52, v53
	s_or_b32 s11, s9, s11
	s_and_not1_b32 exec_lo, exec_lo, s11
	s_cbranch_execz .LBB1115_1132
.LBB1115_1125:                          ; =>This Loop Header: Depth=1
                                        ;     Child Loop BB1115_1128 Depth 2
	v_add_nc_u32_e32 v31, v53, v52
	s_mov_b32 s9, 0
	s_delay_alu instid0(VALU_DEP_1)
	v_lshrrev_b32_e32 v31, 1, v31
	s_and_saveexec_b32 s15, s7
	s_cbranch_execz .LBB1115_1124
; %bb.1126:                             ;   in Loop: Header=BB1115_1125 Depth=1
	s_delay_alu instid0(VALU_DEP_1) | instskip(SKIP_2) | instid1(VALU_DEP_2)
	v_xad_u32 v33, v31, -1, v51
	v_lshl_add_u32 v35, v31, 3, v32
	s_mov_b32 s16, 0
                                        ; implicit-def: $sgpr17
                                        ; implicit-def: $sgpr18
                                        ; implicit-def: $sgpr21
	v_lshl_add_u32 v33, v33, 3, v34
	ds_load_b64 v[48:49], v35
	ds_load_b64 v[54:55], v33
	s_wait_dscnt 0x1
	v_mad_nc_u64_u32 v[36:37], v2, v48, v[8:9]
	s_wait_dscnt 0x0
	v_mad_nc_u64_u32 v[38:39], v2, v54, v[8:9]
	s_delay_alu instid0(VALU_DEP_2) | instskip(NEXT) | instid1(VALU_DEP_2)
	v_mad_u32 v33, v3, v48, v37
	v_mad_u32 v35, v3, v54, v39
	s_delay_alu instid0(VALU_DEP_2) | instskip(NEXT) | instid1(VALU_DEP_2)
	v_mad_u32 v37, v2, v49, v33
	v_mad_u32 v39, v2, v55, v35
	v_mov_b64_e32 v[48:49], v[6:7]
	s_branch .LBB1115_1128
.LBB1115_1127:                          ;   in Loop: Header=BB1115_1128 Depth=2
	s_or_b32 exec_lo, exec_lo, s21
	s_delay_alu instid0(SALU_CYCLE_1) | instskip(SKIP_4) | instid1(SALU_CYCLE_1)
	s_and_b32 s9, exec_lo, s20
	s_mov_b32 s21, s19
	s_or_b32 s16, s9, s16
	s_and_not1_b32 s9, s17, exec_lo
	s_and_b32 s17, s18, exec_lo
	s_or_b32 s17, s9, s17
	s_and_not1_b32 exec_lo, exec_lo, s16
	s_cbranch_execz .LBB1115_1123
.LBB1115_1128:                          ;   Parent Loop BB1115_1125 Depth=1
                                        ; =>  This Inner Loop Header: Depth=2
	flat_load_u16 v33, v[38:39]
	flat_load_u16 v35, v[36:37]
	s_mov_b32 s20, -1
	s_mov_b32 s22, 0
	s_mov_b32 s19, -1
	s_mov_b32 s23, exec_lo
	s_wait_loadcnt_dscnt 0x0
	v_dual_lshlrev_b32 v33, 16, v33 :: v_dual_lshlrev_b32 v35, 16, v35
	s_delay_alu instid0(VALU_DEP_1)
	v_cmpx_nlt_f32_e32 v33, v35
; %bb.1129:                             ;   in Loop: Header=BB1115_1128 Depth=2
	v_cmp_ngt_f32_e64 s9, v33, v35
	s_and_b32 s19, s9, s21
	s_and_b32 s22, s9, exec_lo
	s_or_not1_b32 s19, s19, exec_lo
; %bb.1130:                             ;   in Loop: Header=BB1115_1128 Depth=2
	s_or_b32 exec_lo, exec_lo, s23
	s_delay_alu instid0(SALU_CYCLE_1) | instskip(SKIP_1) | instid1(SALU_CYCLE_1)
	s_and_not1_b32 s9, s18, exec_lo
	s_and_b32 s18, s19, exec_lo
	s_or_b32 s18, s9, s18
	s_and_saveexec_b32 s21, s22
	s_cbranch_execz .LBB1115_1127
; %bb.1131:                             ;   in Loop: Header=BB1115_1128 Depth=2
	v_add_nc_u64_e32 v[48:49], -1, v[48:49]
	v_add_nc_u64_e32 v[36:37], 2, v[36:37]
	v_add_nc_u64_e32 v[38:39], 2, v[38:39]
	s_and_not1_b32 s18, s18, exec_lo
	s_delay_alu instid0(VALU_DEP_3)
	v_cmp_eq_u64_e64 s9, 0, v[48:49]
	s_or_not1_b32 s20, s9, exec_lo
	s_branch .LBB1115_1127
.LBB1115_1132:
	s_or_b32 exec_lo, exec_lo, s11
.LBB1115_1133:
	s_delay_alu instid0(SALU_CYCLE_1) | instskip(SKIP_1) | instid1(VALU_DEP_1)
	s_or_b32 exec_lo, exec_lo, s10
	v_dual_add_nc_u32 v32, v114, v51 :: v_dual_add_nc_u32 v31, v52, v50
	v_sub_nc_u32_e32 v32, v32, v52
	s_delay_alu instid0(VALU_DEP_2) | instskip(NEXT) | instid1(VALU_DEP_2)
	v_cmp_le_u32_e64 s9, v31, v114
	v_cmp_le_u32_e64 s10, v32, v97
	s_or_b32 s9, s9, s10
	s_delay_alu instid0(SALU_CYCLE_1)
	s_and_saveexec_b32 s15, s9
	s_cbranch_execz .LBB1115_1313
; %bb.1134:
	v_cmp_ge_u32_e64 s9, v31, v114
	s_mov_b32 s11, exec_lo
                                        ; implicit-def: $vgpr10_vgpr11
	v_cmpx_lt_u32_e64 v31, v114
; %bb.1135:
	v_lshl_add_u32 v10, v31, 3, v30
	ds_load_b64 v[10:11], v10
; %bb.1136:
	s_or_b32 exec_lo, exec_lo, s11
	v_cmp_ge_u32_e64 s10, v32, v97
	s_mov_b32 s16, exec_lo
                                        ; implicit-def: $vgpr12_vgpr13
	v_cmpx_lt_u32_e64 v32, v97
; %bb.1137:
	v_lshl_add_u32 v12, v32, 3, v30
	ds_load_b64 v[12:13], v12
; %bb.1138:
	s_or_b32 exec_lo, exec_lo, s16
	s_or_b32 s11, s9, s10
	s_xor_b32 s9, s9, -1
	s_nor_b32 s16, s11, s8
	s_or_b32 s10, s10, s9
	s_and_saveexec_b32 s11, s16
	s_cbranch_execz .LBB1115_1146
; %bb.1139:
	s_wait_dscnt 0x0
	v_mul_u64_e32 v[14:15], v[10:11], v[6:7]
	v_mul_u64_e32 v[16:17], v[12:13], v[6:7]
	v_mov_b64_e32 v[18:19], v[6:7]
	s_mov_b32 s16, 0
                                        ; implicit-def: $sgpr17
                                        ; implicit-def: $sgpr18
                                        ; implicit-def: $sgpr21
	s_delay_alu instid0(VALU_DEP_3) | instskip(NEXT) | instid1(VALU_DEP_3)
	v_lshl_add_u64 v[14:15], v[14:15], 1, v[8:9]
	v_lshl_add_u64 v[16:17], v[16:17], 1, v[8:9]
	s_branch .LBB1115_1141
.LBB1115_1140:                          ;   in Loop: Header=BB1115_1141 Depth=1
	s_or_b32 exec_lo, exec_lo, s21
	s_delay_alu instid0(SALU_CYCLE_1) | instskip(SKIP_4) | instid1(SALU_CYCLE_1)
	s_and_b32 s9, exec_lo, s20
	s_mov_b32 s21, s19
	s_or_b32 s16, s9, s16
	s_and_not1_b32 s9, s17, exec_lo
	s_and_b32 s17, s18, exec_lo
	s_or_b32 s17, s9, s17
	s_and_not1_b32 exec_lo, exec_lo, s16
	s_cbranch_execz .LBB1115_1145
.LBB1115_1141:                          ; =>This Inner Loop Header: Depth=1
	flat_load_u16 v20, v[16:17]
	flat_load_u16 v21, v[14:15]
	s_mov_b32 s20, -1
	s_mov_b32 s22, 0
	s_mov_b32 s19, -1
	s_mov_b32 s23, exec_lo
	s_wait_loadcnt_dscnt 0x0
	v_dual_lshlrev_b32 v20, 16, v20 :: v_dual_lshlrev_b32 v21, 16, v21
	s_delay_alu instid0(VALU_DEP_1)
	v_cmpx_nlt_f32_e32 v20, v21
; %bb.1142:                             ;   in Loop: Header=BB1115_1141 Depth=1
	v_cmp_ngt_f32_e64 s9, v20, v21
	s_and_b32 s19, s9, s21
	s_and_b32 s22, s9, exec_lo
	s_or_not1_b32 s19, s19, exec_lo
; %bb.1143:                             ;   in Loop: Header=BB1115_1141 Depth=1
	s_or_b32 exec_lo, exec_lo, s23
	s_delay_alu instid0(SALU_CYCLE_1) | instskip(SKIP_1) | instid1(SALU_CYCLE_1)
	s_and_not1_b32 s9, s18, exec_lo
	s_and_b32 s18, s19, exec_lo
	s_or_b32 s18, s9, s18
	s_and_saveexec_b32 s21, s22
	s_cbranch_execz .LBB1115_1140
; %bb.1144:                             ;   in Loop: Header=BB1115_1141 Depth=1
	v_add_nc_u64_e32 v[18:19], -1, v[18:19]
	v_add_nc_u64_e32 v[14:15], 2, v[14:15]
	v_add_nc_u64_e32 v[16:17], 2, v[16:17]
	s_and_not1_b32 s18, s18, exec_lo
	s_delay_alu instid0(VALU_DEP_3)
	v_cmp_eq_u64_e64 s9, 0, v[18:19]
	s_or_not1_b32 s20, s9, exec_lo
	s_branch .LBB1115_1140
.LBB1115_1145:
	s_or_b32 exec_lo, exec_lo, s16
	s_xor_b32 s9, s17, -1
	s_and_not1_b32 s10, s10, exec_lo
	s_and_b32 s9, s9, exec_lo
	s_delay_alu instid0(SALU_CYCLE_1)
	s_or_b32 s10, s10, s9
.LBB1115_1146:
	s_or_b32 exec_lo, exec_lo, s11
	v_dual_cndmask_b32 v14, v32, v31, s10 :: v_dual_cndmask_b32 v15, v97, v114, s10
	s_mov_b32 s16, -1
	s_mov_b32 s11, -1
	s_mov_b32 s17, exec_lo
	s_delay_alu instid0(VALU_DEP_1) | instskip(NEXT) | instid1(VALU_DEP_1)
	v_add_nc_u32_e32 v16, 1, v14
	v_add_min_u32_e64 v14, v15, -1, v16
	s_delay_alu instid0(VALU_DEP_1)
	v_lshl_add_u32 v14, v14, 3, v30
	ds_load_b64 v[14:15], v14
	s_wait_dscnt 0x0
	v_dual_cndmask_b32 v23, v15, v13, s10 :: v_dual_cndmask_b32 v20, v16, v32, s10
	v_cndmask_b32_e64 v25, v11, v15, s10
	v_dual_cndmask_b32 v21, v31, v16, s10 :: v_dual_cndmask_b32 v24, v10, v14, s10
	v_cndmask_b32_e64 v22, v14, v12, s10
	s_delay_alu instid0(VALU_DEP_4)
	v_cmpx_lt_u32_e64 v20, v97
	s_cbranch_execz .LBB1115_1192
; %bb.1147:
	s_delay_alu instid0(VALU_DEP_3) | instskip(SKIP_1) | instid1(SALU_CYCLE_1)
	v_cmp_lt_u32_e64 s11, v21, v114
	s_and_b32 s9, s11, s14
	s_and_saveexec_b32 s18, s9
	s_cbranch_execz .LBB1115_1191
; %bb.1148:
	v_mul_u64_e32 v[14:15], v[24:25], v[6:7]
	v_mul_u64_e32 v[16:17], v[22:23], v[6:7]
	v_mov_b64_e32 v[18:19], v[6:7]
	s_mov_b32 s19, 0
                                        ; implicit-def: $sgpr20
                                        ; implicit-def: $sgpr21
                                        ; implicit-def: $sgpr24
	s_delay_alu instid0(VALU_DEP_3) | instskip(NEXT) | instid1(VALU_DEP_3)
	v_lshl_add_u64 v[14:15], v[14:15], 1, v[8:9]
	v_lshl_add_u64 v[16:17], v[16:17], 1, v[8:9]
	s_branch .LBB1115_1150
.LBB1115_1149:                          ;   in Loop: Header=BB1115_1150 Depth=1
	s_or_b32 exec_lo, exec_lo, s24
	s_delay_alu instid0(SALU_CYCLE_1) | instskip(SKIP_4) | instid1(SALU_CYCLE_1)
	s_and_b32 s9, exec_lo, s23
	s_mov_b32 s24, s22
	s_or_b32 s19, s9, s19
	s_and_not1_b32 s9, s20, exec_lo
	s_and_b32 s20, s21, exec_lo
	s_or_b32 s20, s9, s20
	s_and_not1_b32 exec_lo, exec_lo, s19
	s_cbranch_execz .LBB1115_1190
.LBB1115_1150:                          ; =>This Inner Loop Header: Depth=1
	flat_load_u16 v31, v[16:17]
	flat_load_u16 v32, v[14:15]
	s_mov_b32 s23, -1
	s_mov_b32 s25, 0
	s_mov_b32 s22, -1
	s_mov_b32 s26, exec_lo
	s_wait_loadcnt_dscnt 0x0
	v_dual_lshlrev_b32 v31, 16, v31 :: v_dual_lshlrev_b32 v32, 16, v32
	s_delay_alu instid0(VALU_DEP_1)
	v_cmpx_nlt_f32_e32 v31, v32
; %bb.1151:                             ;   in Loop: Header=BB1115_1150 Depth=1
	v_cmp_ngt_f32_e64 s9, v31, v32
	s_and_b32 s22, s9, s24
	s_and_b32 s25, s9, exec_lo
	s_or_not1_b32 s22, s22, exec_lo
; %bb.1152:                             ;   in Loop: Header=BB1115_1150 Depth=1
	s_or_b32 exec_lo, exec_lo, s26
	s_delay_alu instid0(SALU_CYCLE_1) | instskip(SKIP_1) | instid1(SALU_CYCLE_1)
	s_and_not1_b32 s9, s21, exec_lo
	s_and_b32 s21, s22, exec_lo
	s_or_b32 s21, s9, s21
	s_and_saveexec_b32 s24, s25
	s_cbranch_execz .LBB1115_1149
; %bb.1153:                             ;   in Loop: Header=BB1115_1150 Depth=1
	v_add_nc_u64_e32 v[18:19], -1, v[18:19]
	v_add_nc_u64_e32 v[14:15], 2, v[14:15]
	v_add_nc_u64_e32 v[16:17], 2, v[16:17]
	s_and_not1_b32 s21, s21, exec_lo
	s_delay_alu instid0(VALU_DEP_3)
	v_cmp_eq_u64_e64 s9, 0, v[18:19]
	s_or_not1_b32 s23, s9, exec_lo
	s_branch .LBB1115_1149
.LBB1115_1154:
	s_or_b32 exec_lo, exec_lo, s6
	v_dual_cndmask_b32 v31, v3, v25, s7 :: v_dual_cndmask_b32 v30, v2, v24, s7
.LBB1115_1155:
	s_or_b32 exec_lo, exec_lo, s3
	s_delay_alu instid0(VALU_DEP_1)
	v_mov_b64_e32 v[2:3], v[30:31]
.LBB1115_1156:
	s_or_b32 exec_lo, exec_lo, s2
.LBB1115_1157:
	s_delay_alu instid0(SALU_CYCLE_1)
	s_or_b32 exec_lo, exec_lo, s5
	v_and_b32_e32 v48, 0x80, v86
	s_mov_b32 s2, exec_lo
	; wave barrier
	ds_store_b64 v87, v[18:19]
	ds_store_b64 v102, v[20:21]
	v_or_b32_e32 v24, 64, v48
	ds_store_b64 v98, v[14:15]
	ds_store_b64 v99, v[16:17]
	;; [unrolled: 1-line block ×6, first 2 shown]
	; wave barrier
	v_min_u32_e32 v103, v85, v24
	v_and_b32_e32 v24, 0x78, v86
	s_delay_alu instid0(VALU_DEP_2) | instskip(NEXT) | instid1(VALU_DEP_2)
	v_add_min_u32_e64 v86, v103, 64, v85
	v_min_u32_e32 v49, v85, v24
	s_delay_alu instid0(VALU_DEP_2) | instskip(NEXT) | instid1(VALU_DEP_1)
	v_dual_sub_nc_u32 v25, v103, v48 :: v_dual_sub_nc_u32 v24, v86, v103
	v_min_u32_e32 v51, v49, v25
	s_delay_alu instid0(VALU_DEP_2) | instskip(NEXT) | instid1(VALU_DEP_1)
	v_sub_nc_u32_e64 v50, v49, v24 clamp
	v_cmpx_lt_u32_e64 v50, v51
	s_cbranch_execz .LBB1115_1169
; %bb.1158:
	v_dual_mov_b32 v31, 0 :: v_dual_lshlrev_b32 v30, 3, v48
	v_lshlrev_b64_e32 v[32:33], 1, v[6:7]
	s_mov_b32 s3, 0
	s_delay_alu instid0(VALU_DEP_2) | instskip(SKIP_1) | instid1(VALU_DEP_1)
	v_add_nc_u64_e32 v[24:25], v[22:23], v[30:31]
	v_lshlrev_b32_e32 v30, 3, v103
	v_add_nc_u64_e32 v[30:31], v[22:23], v[30:31]
	s_branch .LBB1115_1161
.LBB1115_1159:                          ;   in Loop: Header=BB1115_1161 Depth=1
	s_or_b32 exec_lo, exec_lo, s6
	s_delay_alu instid0(SALU_CYCLE_1)
	s_and_b32 s1, s7, exec_lo
.LBB1115_1160:                          ;   in Loop: Header=BB1115_1161 Depth=1
	s_or_b32 exec_lo, exec_lo, s5
	s_delay_alu instid0(VALU_DEP_1) | instskip(NEXT) | instid1(VALU_DEP_1)
	v_dual_add_nc_u32 v25, 1, v23 :: v_dual_cndmask_b32 v51, v51, v23, s1
	v_cndmask_b32_e64 v50, v25, v50, s1
	s_delay_alu instid0(VALU_DEP_1) | instskip(SKIP_1) | instid1(SALU_CYCLE_1)
	v_cmp_ge_u32_e64 s1, v50, v51
	s_or_b32 s3, s1, s3
	s_and_not1_b32 exec_lo, exec_lo, s3
	s_cbranch_execz .LBB1115_1168
.LBB1115_1161:                          ; =>This Loop Header: Depth=1
                                        ;     Child Loop BB1115_1164 Depth 2
	v_add_nc_u32_e32 v23, v51, v50
	s_mov_b32 s1, 0
	s_delay_alu instid0(VALU_DEP_1)
	v_lshrrev_b32_e32 v23, 1, v23
	s_and_saveexec_b32 s5, vcc_lo
	s_cbranch_execz .LBB1115_1160
; %bb.1162:                             ;   in Loop: Header=BB1115_1161 Depth=1
	s_delay_alu instid0(VALU_DEP_1) | instskip(SKIP_2) | instid1(VALU_DEP_2)
	v_xad_u32 v25, v23, -1, v49
	v_lshl_add_u32 v31, v23, 3, v24
	s_mov_b32 s6, 0
                                        ; implicit-def: $sgpr7
                                        ; implicit-def: $sgpr11
                                        ; implicit-def: $sgpr14
	v_lshl_add_u32 v25, v25, 3, v30
	ds_load_b64 v[38:39], v31
	ds_load_b64 v[52:53], v25
	s_wait_dscnt 0x1
	v_mad_nc_u64_u32 v[34:35], v32, v38, v[8:9]
	s_wait_dscnt 0x0
	v_mad_nc_u64_u32 v[36:37], v32, v52, v[8:9]
	s_delay_alu instid0(VALU_DEP_2) | instskip(NEXT) | instid1(VALU_DEP_2)
	v_mad_u32 v25, v33, v38, v35
	v_mad_u32 v31, v33, v52, v37
	s_delay_alu instid0(VALU_DEP_2) | instskip(NEXT) | instid1(VALU_DEP_2)
	v_mad_u32 v35, v32, v39, v25
	v_mad_u32 v37, v32, v53, v31
	v_mov_b64_e32 v[38:39], v[6:7]
	s_branch .LBB1115_1164
.LBB1115_1163:                          ;   in Loop: Header=BB1115_1164 Depth=2
	s_or_b32 exec_lo, exec_lo, s14
	s_delay_alu instid0(SALU_CYCLE_1) | instskip(SKIP_4) | instid1(SALU_CYCLE_1)
	s_and_b32 s1, exec_lo, s13
	s_mov_b32 s14, s12
	s_or_b32 s6, s1, s6
	s_and_not1_b32 s1, s7, exec_lo
	s_and_b32 s7, s11, exec_lo
	s_or_b32 s7, s1, s7
	s_and_not1_b32 exec_lo, exec_lo, s6
	s_cbranch_execz .LBB1115_1159
.LBB1115_1164:                          ;   Parent Loop BB1115_1161 Depth=1
                                        ; =>  This Inner Loop Header: Depth=2
	flat_load_u16 v25, v[36:37]
	flat_load_u16 v31, v[34:35]
	s_mov_b32 s13, -1
	s_mov_b32 s15, 0
	s_mov_b32 s12, -1
	s_mov_b32 s16, exec_lo
	s_wait_loadcnt_dscnt 0x0
	v_dual_lshlrev_b32 v25, 16, v25 :: v_dual_lshlrev_b32 v31, 16, v31
	s_delay_alu instid0(VALU_DEP_1)
	v_cmpx_nlt_f32_e32 v25, v31
; %bb.1165:                             ;   in Loop: Header=BB1115_1164 Depth=2
	v_cmp_ngt_f32_e64 s1, v25, v31
	s_and_b32 s12, s1, s14
	s_and_b32 s15, s1, exec_lo
	s_or_not1_b32 s12, s12, exec_lo
; %bb.1166:                             ;   in Loop: Header=BB1115_1164 Depth=2
	s_or_b32 exec_lo, exec_lo, s16
	s_delay_alu instid0(SALU_CYCLE_1) | instskip(SKIP_1) | instid1(SALU_CYCLE_1)
	s_and_not1_b32 s1, s11, exec_lo
	s_and_b32 s11, s12, exec_lo
	s_or_b32 s11, s1, s11
	s_and_saveexec_b32 s14, s15
	s_cbranch_execz .LBB1115_1163
; %bb.1167:                             ;   in Loop: Header=BB1115_1164 Depth=2
	v_add_nc_u64_e32 v[38:39], -1, v[38:39]
	v_add_nc_u64_e32 v[34:35], 2, v[34:35]
	v_add_nc_u64_e32 v[36:37], 2, v[36:37]
	s_and_not1_b32 s11, s11, exec_lo
	s_delay_alu instid0(VALU_DEP_3)
	v_cmp_eq_u64_e64 s1, 0, v[38:39]
	s_or_not1_b32 s13, s1, exec_lo
	s_branch .LBB1115_1163
.LBB1115_1168:
	s_or_b32 exec_lo, exec_lo, s3
.LBB1115_1169:
	s_delay_alu instid0(SALU_CYCLE_1) | instskip(SKIP_1) | instid1(VALU_DEP_1)
	s_or_b32 exec_lo, exec_lo, s2
	v_dual_add_nc_u32 v24, v103, v49 :: v_dual_add_nc_u32 v23, v50, v48
	v_sub_nc_u32_e32 v24, v24, v50
	s_delay_alu instid0(VALU_DEP_2) | instskip(NEXT) | instid1(VALU_DEP_2)
	v_cmp_le_u32_e64 s1, v23, v103
	v_cmp_le_u32_e64 s2, v24, v86
	s_or_b32 s1, s1, s2
	s_delay_alu instid0(SALU_CYCLE_1)
	s_and_saveexec_b32 s5, s1
	s_cbranch_execz .LBB1115_1432
; %bb.1170:
	v_cmp_ge_u32_e64 s1, v23, v103
	s_mov_b32 s3, exec_lo
                                        ; implicit-def: $vgpr0_vgpr1
	v_cmpx_lt_u32_e64 v23, v103
; %bb.1171:
	v_lshl_add_u32 v0, v23, 3, v22
	ds_load_b64 v[0:1], v0
; %bb.1172:
	s_or_b32 exec_lo, exec_lo, s3
	v_cmp_ge_u32_e64 s2, v24, v86
	s_mov_b32 s6, exec_lo
                                        ; implicit-def: $vgpr2_vgpr3
	v_cmpx_lt_u32_e64 v24, v86
; %bb.1173:
	v_lshl_add_u32 v2, v24, 3, v22
	ds_load_b64 v[2:3], v2
; %bb.1174:
	s_or_b32 exec_lo, exec_lo, s6
	s_or_b32 s3, s1, s2
	s_xor_b32 s1, s1, -1
	s_nor_b32 s6, s3, s0
	s_or_b32 s2, s2, s1
	s_and_saveexec_b32 s3, s6
	s_cbranch_execz .LBB1115_1182
; %bb.1175:
	s_wait_dscnt 0x0
	v_mul_u64_e32 v[10:11], v[0:1], v[6:7]
	v_mul_u64_e32 v[12:13], v[2:3], v[6:7]
	v_mov_b64_e32 v[14:15], v[6:7]
	s_mov_b32 s6, 0
                                        ; implicit-def: $sgpr7
                                        ; implicit-def: $sgpr11
                                        ; implicit-def: $sgpr14
	s_delay_alu instid0(VALU_DEP_3) | instskip(NEXT) | instid1(VALU_DEP_3)
	v_lshl_add_u64 v[10:11], v[10:11], 1, v[8:9]
	v_lshl_add_u64 v[12:13], v[12:13], 1, v[8:9]
	s_branch .LBB1115_1177
.LBB1115_1176:                          ;   in Loop: Header=BB1115_1177 Depth=1
	s_or_b32 exec_lo, exec_lo, s14
	s_delay_alu instid0(SALU_CYCLE_1) | instskip(SKIP_4) | instid1(SALU_CYCLE_1)
	s_and_b32 s1, exec_lo, s13
	s_mov_b32 s14, s12
	s_or_b32 s6, s1, s6
	s_and_not1_b32 s1, s7, exec_lo
	s_and_b32 s7, s11, exec_lo
	s_or_b32 s7, s1, s7
	s_and_not1_b32 exec_lo, exec_lo, s6
	s_cbranch_execz .LBB1115_1181
.LBB1115_1177:                          ; =>This Inner Loop Header: Depth=1
	flat_load_u16 v16, v[12:13]
	flat_load_u16 v17, v[10:11]
	s_mov_b32 s13, -1
	s_mov_b32 s15, 0
	s_mov_b32 s12, -1
	s_mov_b32 s16, exec_lo
	s_wait_loadcnt_dscnt 0x0
	v_dual_lshlrev_b32 v16, 16, v16 :: v_dual_lshlrev_b32 v17, 16, v17
	s_delay_alu instid0(VALU_DEP_1)
	v_cmpx_nlt_f32_e32 v16, v17
; %bb.1178:                             ;   in Loop: Header=BB1115_1177 Depth=1
	v_cmp_ngt_f32_e64 s1, v16, v17
	s_and_b32 s12, s1, s14
	s_and_b32 s15, s1, exec_lo
	s_or_not1_b32 s12, s12, exec_lo
; %bb.1179:                             ;   in Loop: Header=BB1115_1177 Depth=1
	s_or_b32 exec_lo, exec_lo, s16
	s_delay_alu instid0(SALU_CYCLE_1) | instskip(SKIP_1) | instid1(SALU_CYCLE_1)
	s_and_not1_b32 s1, s11, exec_lo
	s_and_b32 s11, s12, exec_lo
	s_or_b32 s11, s1, s11
	s_and_saveexec_b32 s14, s15
	s_cbranch_execz .LBB1115_1176
; %bb.1180:                             ;   in Loop: Header=BB1115_1177 Depth=1
	v_add_nc_u64_e32 v[14:15], -1, v[14:15]
	v_add_nc_u64_e32 v[10:11], 2, v[10:11]
	v_add_nc_u64_e32 v[12:13], 2, v[12:13]
	s_and_not1_b32 s11, s11, exec_lo
	s_delay_alu instid0(VALU_DEP_3)
	v_cmp_eq_u64_e64 s1, 0, v[14:15]
	s_or_not1_b32 s13, s1, exec_lo
	s_branch .LBB1115_1176
.LBB1115_1181:
	s_or_b32 exec_lo, exec_lo, s6
	s_xor_b32 s1, s7, -1
	s_and_not1_b32 s2, s2, exec_lo
	s_and_b32 s1, s1, exec_lo
	s_delay_alu instid0(SALU_CYCLE_1)
	s_or_b32 s2, s2, s1
.LBB1115_1182:
	s_or_b32 exec_lo, exec_lo, s3
	v_cndmask_b32_e64 v10, v24, v23, s2
	v_cndmask_b32_e64 v11, v86, v103, s2
	s_mov_b32 s6, -1
	s_mov_b32 s3, -1
	s_mov_b32 s7, exec_lo
	v_add_nc_u32_e32 v12, 1, v10
	s_delay_alu instid0(VALU_DEP_1) | instskip(SKIP_1) | instid1(VALU_DEP_2)
	v_add_min_u32_e64 v10, v11, -1, v12
	v_cndmask_b32_e64 v17, v23, v12, s2
	v_lshl_add_u32 v10, v10, 3, v22
	ds_load_b64 v[10:11], v10
	s_wait_dscnt 0x0
	v_dual_cndmask_b32 v16, v12, v24, s2 :: v_dual_cndmask_b32 v19, v11, v3, s2
	v_dual_cndmask_b32 v18, v10, v2, s2 :: v_dual_cndmask_b32 v21, v1, v11, s2
	v_cndmask_b32_e64 v20, v0, v10, s2
	s_delay_alu instid0(VALU_DEP_3)
	v_cmpx_lt_u32_e64 v16, v86
	s_cbranch_execz .LBB1115_1202
; %bb.1183:
	v_cmp_lt_u32_e64 s3, v17, v103
	s_xor_b32 s1, s0, -1
	s_delay_alu instid0(SALU_CYCLE_1) | instskip(NEXT) | instid1(SALU_CYCLE_1)
	s_and_b32 s1, s3, s1
	s_and_saveexec_b32 s11, s1
	s_cbranch_execz .LBB1115_1201
; %bb.1184:
	v_mul_u64_e32 v[10:11], v[20:21], v[6:7]
	v_mul_u64_e32 v[12:13], v[18:19], v[6:7]
	v_mov_b64_e32 v[14:15], v[6:7]
	s_mov_b32 s12, 0
                                        ; implicit-def: $sgpr13
                                        ; implicit-def: $sgpr14
                                        ; implicit-def: $sgpr17
	s_delay_alu instid0(VALU_DEP_3) | instskip(NEXT) | instid1(VALU_DEP_3)
	v_lshl_add_u64 v[10:11], v[10:11], 1, v[8:9]
	v_lshl_add_u64 v[12:13], v[12:13], 1, v[8:9]
	s_branch .LBB1115_1186
.LBB1115_1185:                          ;   in Loop: Header=BB1115_1186 Depth=1
	s_or_b32 exec_lo, exec_lo, s17
	s_delay_alu instid0(SALU_CYCLE_1) | instskip(SKIP_4) | instid1(SALU_CYCLE_1)
	s_and_b32 s1, exec_lo, s16
	s_mov_b32 s17, s15
	s_or_b32 s12, s1, s12
	s_and_not1_b32 s1, s13, exec_lo
	s_and_b32 s13, s14, exec_lo
	s_or_b32 s13, s1, s13
	s_and_not1_b32 exec_lo, exec_lo, s12
	s_cbranch_execz .LBB1115_1200
.LBB1115_1186:                          ; =>This Inner Loop Header: Depth=1
	flat_load_u16 v23, v[12:13]
	flat_load_u16 v24, v[10:11]
	s_mov_b32 s16, -1
	s_mov_b32 s18, 0
	s_mov_b32 s15, -1
	s_mov_b32 s19, exec_lo
	s_wait_loadcnt_dscnt 0x0
	v_dual_lshlrev_b32 v23, 16, v23 :: v_dual_lshlrev_b32 v24, 16, v24
	s_delay_alu instid0(VALU_DEP_1)
	v_cmpx_nlt_f32_e32 v23, v24
; %bb.1187:                             ;   in Loop: Header=BB1115_1186 Depth=1
	v_cmp_ngt_f32_e64 s1, v23, v24
	s_and_b32 s15, s1, s17
	s_and_b32 s18, s1, exec_lo
	s_or_not1_b32 s15, s15, exec_lo
; %bb.1188:                             ;   in Loop: Header=BB1115_1186 Depth=1
	s_or_b32 exec_lo, exec_lo, s19
	s_delay_alu instid0(SALU_CYCLE_1) | instskip(SKIP_1) | instid1(SALU_CYCLE_1)
	s_and_not1_b32 s1, s14, exec_lo
	s_and_b32 s14, s15, exec_lo
	s_or_b32 s14, s1, s14
	s_and_saveexec_b32 s17, s18
	s_cbranch_execz .LBB1115_1185
; %bb.1189:                             ;   in Loop: Header=BB1115_1186 Depth=1
	v_add_nc_u64_e32 v[14:15], -1, v[14:15]
	v_add_nc_u64_e32 v[10:11], 2, v[10:11]
	v_add_nc_u64_e32 v[12:13], 2, v[12:13]
	s_and_not1_b32 s14, s14, exec_lo
	s_delay_alu instid0(VALU_DEP_3)
	v_cmp_eq_u64_e64 s1, 0, v[14:15]
	s_or_not1_b32 s16, s1, exec_lo
	s_branch .LBB1115_1185
.LBB1115_1190:
	s_or_b32 exec_lo, exec_lo, s19
	s_xor_b32 s9, s20, -1
	s_and_not1_b32 s11, s11, exec_lo
	s_and_b32 s9, s9, exec_lo
	s_delay_alu instid0(SALU_CYCLE_1)
	s_or_b32 s11, s11, s9
.LBB1115_1191:
	s_or_b32 exec_lo, exec_lo, s18
	s_delay_alu instid0(SALU_CYCLE_1)
	s_or_not1_b32 s11, s11, exec_lo
.LBB1115_1192:
	s_or_b32 exec_lo, exec_lo, s17
	v_dual_cndmask_b32 v14, v20, v21, s11 :: v_dual_cndmask_b32 v15, v97, v114, s11
	s_mov_b32 s17, exec_lo
	s_delay_alu instid0(VALU_DEP_1) | instskip(NEXT) | instid1(VALU_DEP_1)
	v_add_nc_u32_e32 v16, 1, v14
	v_add_min_u32_e64 v14, v15, -1, v16
	s_delay_alu instid0(VALU_DEP_1)
	v_lshl_add_u32 v14, v14, 3, v30
	ds_load_b64 v[14:15], v14
	s_wait_dscnt 0x0
	v_dual_cndmask_b32 v19, v15, v23, s11 :: v_dual_cndmask_b32 v31, v16, v20, s11
	v_dual_cndmask_b32 v18, v14, v22, s11 :: v_dual_cndmask_b32 v34, v21, v16, s11
	v_dual_cndmask_b32 v32, v24, v14, s11 :: v_dual_cndmask_b32 v33, v25, v15, s11
	s_delay_alu instid0(VALU_DEP_3)
	v_cmpx_lt_u32_e64 v31, v97
	s_cbranch_execz .LBB1115_1212
; %bb.1193:
	s_delay_alu instid0(VALU_DEP_3) | instskip(SKIP_1) | instid1(SALU_CYCLE_1)
	v_cmp_lt_u32_e64 s16, v34, v114
	s_and_b32 s9, s16, s14
	s_and_saveexec_b32 s18, s9
	s_cbranch_execz .LBB1115_1211
; %bb.1194:
	v_mul_u64_e32 v[14:15], v[32:33], v[6:7]
	v_mul_u64_e32 v[16:17], v[18:19], v[6:7]
	v_mov_b64_e32 v[20:21], v[6:7]
	s_mov_b32 s19, 0
                                        ; implicit-def: $sgpr20
                                        ; implicit-def: $sgpr21
                                        ; implicit-def: $sgpr24
	s_delay_alu instid0(VALU_DEP_3) | instskip(NEXT) | instid1(VALU_DEP_3)
	v_lshl_add_u64 v[14:15], v[14:15], 1, v[8:9]
	v_lshl_add_u64 v[16:17], v[16:17], 1, v[8:9]
	s_branch .LBB1115_1196
.LBB1115_1195:                          ;   in Loop: Header=BB1115_1196 Depth=1
	s_or_b32 exec_lo, exec_lo, s24
	s_delay_alu instid0(SALU_CYCLE_1) | instskip(SKIP_4) | instid1(SALU_CYCLE_1)
	s_and_b32 s9, exec_lo, s23
	s_mov_b32 s24, s22
	s_or_b32 s19, s9, s19
	s_and_not1_b32 s9, s20, exec_lo
	s_and_b32 s20, s21, exec_lo
	s_or_b32 s20, s9, s20
	s_and_not1_b32 exec_lo, exec_lo, s19
	s_cbranch_execz .LBB1115_1210
.LBB1115_1196:                          ; =>This Inner Loop Header: Depth=1
	flat_load_u16 v35, v[16:17]
	flat_load_u16 v36, v[14:15]
	s_mov_b32 s23, -1
	s_mov_b32 s25, 0
	s_mov_b32 s22, -1
	s_mov_b32 s26, exec_lo
	s_wait_loadcnt_dscnt 0x0
	v_dual_lshlrev_b32 v35, 16, v35 :: v_dual_lshlrev_b32 v36, 16, v36
	s_delay_alu instid0(VALU_DEP_1)
	v_cmpx_nlt_f32_e32 v35, v36
; %bb.1197:                             ;   in Loop: Header=BB1115_1196 Depth=1
	v_cmp_ngt_f32_e64 s9, v35, v36
	s_and_b32 s22, s9, s24
	s_and_b32 s25, s9, exec_lo
	s_or_not1_b32 s22, s22, exec_lo
; %bb.1198:                             ;   in Loop: Header=BB1115_1196 Depth=1
	s_or_b32 exec_lo, exec_lo, s26
	s_delay_alu instid0(SALU_CYCLE_1) | instskip(SKIP_1) | instid1(SALU_CYCLE_1)
	s_and_not1_b32 s9, s21, exec_lo
	s_and_b32 s21, s22, exec_lo
	s_or_b32 s21, s9, s21
	s_and_saveexec_b32 s24, s25
	s_cbranch_execz .LBB1115_1195
; %bb.1199:                             ;   in Loop: Header=BB1115_1196 Depth=1
	v_add_nc_u64_e32 v[20:21], -1, v[20:21]
	v_add_nc_u64_e32 v[14:15], 2, v[14:15]
	v_add_nc_u64_e32 v[16:17], 2, v[16:17]
	s_and_not1_b32 s21, s21, exec_lo
	s_delay_alu instid0(VALU_DEP_3)
	v_cmp_eq_u64_e64 s9, 0, v[20:21]
	s_or_not1_b32 s23, s9, exec_lo
	s_branch .LBB1115_1195
.LBB1115_1200:
	s_or_b32 exec_lo, exec_lo, s12
	s_xor_b32 s1, s13, -1
	s_and_not1_b32 s3, s3, exec_lo
	s_and_b32 s1, s1, exec_lo
	s_delay_alu instid0(SALU_CYCLE_1)
	s_or_b32 s3, s3, s1
.LBB1115_1201:
	s_or_b32 exec_lo, exec_lo, s11
	s_delay_alu instid0(SALU_CYCLE_1)
	s_or_not1_b32 s3, s3, exec_lo
.LBB1115_1202:
	s_or_b32 exec_lo, exec_lo, s7
	v_dual_cndmask_b32 v10, v16, v17, s3 :: v_dual_cndmask_b32 v11, v86, v103, s3
	s_mov_b32 s7, exec_lo
	s_delay_alu instid0(VALU_DEP_1) | instskip(NEXT) | instid1(VALU_DEP_1)
	v_add_nc_u32_e32 v12, 1, v10
	v_add_min_u32_e64 v10, v11, -1, v12
	s_delay_alu instid0(VALU_DEP_1)
	v_lshl_add_u32 v10, v10, 3, v22
	ds_load_b64 v[10:11], v10
	s_wait_dscnt 0x0
	v_dual_cndmask_b32 v15, v11, v19, s3 :: v_dual_cndmask_b32 v23, v12, v16, s3
	v_dual_cndmask_b32 v14, v10, v18, s3 :: v_dual_cndmask_b32 v30, v17, v12, s3
	;; [unrolled: 1-line block ×3, first 2 shown]
	s_delay_alu instid0(VALU_DEP_3)
	v_cmpx_lt_u32_e64 v23, v86
	s_cbranch_execz .LBB1115_1222
; %bb.1203:
	s_delay_alu instid0(VALU_DEP_3) | instskip(SKIP_1) | instid1(SALU_CYCLE_1)
	v_cmp_lt_u32_e64 s6, v30, v103
	s_xor_b32 s1, s0, -1
	s_and_b32 s1, s6, s1
	s_delay_alu instid0(SALU_CYCLE_1)
	s_and_saveexec_b32 s11, s1
	s_cbranch_execz .LBB1115_1221
; %bb.1204:
	v_mul_u64_e32 v[10:11], v[24:25], v[6:7]
	v_mul_u64_e32 v[12:13], v[14:15], v[6:7]
	v_mov_b64_e32 v[16:17], v[6:7]
	s_mov_b32 s12, 0
                                        ; implicit-def: $sgpr13
                                        ; implicit-def: $sgpr14
                                        ; implicit-def: $sgpr17
	s_delay_alu instid0(VALU_DEP_3) | instskip(NEXT) | instid1(VALU_DEP_3)
	v_lshl_add_u64 v[10:11], v[10:11], 1, v[8:9]
	v_lshl_add_u64 v[12:13], v[12:13], 1, v[8:9]
	s_branch .LBB1115_1206
.LBB1115_1205:                          ;   in Loop: Header=BB1115_1206 Depth=1
	s_or_b32 exec_lo, exec_lo, s17
	s_delay_alu instid0(SALU_CYCLE_1) | instskip(SKIP_4) | instid1(SALU_CYCLE_1)
	s_and_b32 s1, exec_lo, s16
	s_mov_b32 s17, s15
	s_or_b32 s12, s1, s12
	s_and_not1_b32 s1, s13, exec_lo
	s_and_b32 s13, s14, exec_lo
	s_or_b32 s13, s1, s13
	s_and_not1_b32 exec_lo, exec_lo, s12
	s_cbranch_execz .LBB1115_1220
.LBB1115_1206:                          ; =>This Inner Loop Header: Depth=1
	flat_load_u16 v31, v[12:13]
	flat_load_u16 v32, v[10:11]
	s_mov_b32 s16, -1
	s_mov_b32 s18, 0
	s_mov_b32 s15, -1
	s_mov_b32 s19, exec_lo
	s_wait_loadcnt_dscnt 0x0
	v_dual_lshlrev_b32 v31, 16, v31 :: v_dual_lshlrev_b32 v32, 16, v32
	s_delay_alu instid0(VALU_DEP_1)
	v_cmpx_nlt_f32_e32 v31, v32
; %bb.1207:                             ;   in Loop: Header=BB1115_1206 Depth=1
	v_cmp_ngt_f32_e64 s1, v31, v32
	s_and_b32 s15, s1, s17
	s_and_b32 s18, s1, exec_lo
	s_or_not1_b32 s15, s15, exec_lo
; %bb.1208:                             ;   in Loop: Header=BB1115_1206 Depth=1
	s_or_b32 exec_lo, exec_lo, s19
	s_delay_alu instid0(SALU_CYCLE_1) | instskip(SKIP_1) | instid1(SALU_CYCLE_1)
	s_and_not1_b32 s1, s14, exec_lo
	s_and_b32 s14, s15, exec_lo
	s_or_b32 s14, s1, s14
	s_and_saveexec_b32 s17, s18
	s_cbranch_execz .LBB1115_1205
; %bb.1209:                             ;   in Loop: Header=BB1115_1206 Depth=1
	v_add_nc_u64_e32 v[16:17], -1, v[16:17]
	v_add_nc_u64_e32 v[10:11], 2, v[10:11]
	v_add_nc_u64_e32 v[12:13], 2, v[12:13]
	s_and_not1_b32 s14, s14, exec_lo
	s_delay_alu instid0(VALU_DEP_3)
	v_cmp_eq_u64_e64 s1, 0, v[16:17]
	s_or_not1_b32 s16, s1, exec_lo
	s_branch .LBB1115_1205
.LBB1115_1210:
	s_or_b32 exec_lo, exec_lo, s19
	s_xor_b32 s9, s20, -1
	s_and_not1_b32 s16, s16, exec_lo
	s_and_b32 s9, s9, exec_lo
	s_delay_alu instid0(SALU_CYCLE_1)
	s_or_b32 s16, s16, s9
.LBB1115_1211:
	s_or_b32 exec_lo, exec_lo, s18
	s_delay_alu instid0(SALU_CYCLE_1)
	s_or_not1_b32 s16, s16, exec_lo
.LBB1115_1212:
	s_or_b32 exec_lo, exec_lo, s17
	v_cndmask_b32_e64 v14, v31, v34, s16
	s_mov_b32 s18, -1
	s_mov_b32 s17, -1
	s_mov_b32 s19, exec_lo
	s_delay_alu instid0(VALU_DEP_1) | instskip(NEXT) | instid1(VALU_DEP_1)
	v_add_nc_u32_e32 v16, 1, v14
	v_dual_cndmask_b32 v15, v97, v114, s16 :: v_dual_cndmask_b32 v38, v34, v16, s16
	s_delay_alu instid0(VALU_DEP_1) | instskip(NEXT) | instid1(VALU_DEP_1)
	v_add_min_u32_e64 v14, v15, -1, v16
	v_lshl_add_u32 v14, v14, 3, v30
	ds_load_b64 v[14:15], v14
	s_wait_dscnt 0x0
	v_cndmask_b32_e64 v21, v15, v19, s16
	v_dual_cndmask_b32 v31, v16, v31, s16 :: v_dual_cndmask_b32 v20, v14, v18, s16
	v_dual_cndmask_b32 v35, v33, v15, s16 :: v_dual_cndmask_b32 v34, v32, v14, s16
	s_delay_alu instid0(VALU_DEP_2)
	v_cmpx_lt_u32_e64 v31, v97
	s_cbranch_execz .LBB1115_1232
; %bb.1213:
	v_cmp_lt_u32_e64 s17, v38, v114
	s_and_b32 s9, s17, s14
	s_delay_alu instid0(SALU_CYCLE_1)
	s_and_saveexec_b32 s20, s9
	s_cbranch_execz .LBB1115_1231
; %bb.1214:
	v_mul_u64_e32 v[14:15], v[34:35], v[6:7]
	v_mul_u64_e32 v[16:17], v[20:21], v[6:7]
	v_mov_b64_e32 v[36:37], v[6:7]
	s_mov_b32 s21, 0
                                        ; implicit-def: $sgpr22
                                        ; implicit-def: $sgpr23
                                        ; implicit-def: $sgpr26
	s_delay_alu instid0(VALU_DEP_3) | instskip(NEXT) | instid1(VALU_DEP_3)
	v_lshl_add_u64 v[14:15], v[14:15], 1, v[8:9]
	v_lshl_add_u64 v[16:17], v[16:17], 1, v[8:9]
	s_branch .LBB1115_1216
.LBB1115_1215:                          ;   in Loop: Header=BB1115_1216 Depth=1
	s_or_b32 exec_lo, exec_lo, s26
	s_delay_alu instid0(SALU_CYCLE_1) | instskip(SKIP_4) | instid1(SALU_CYCLE_1)
	s_and_b32 s9, exec_lo, s25
	s_mov_b32 s26, s24
	s_or_b32 s21, s9, s21
	s_and_not1_b32 s9, s22, exec_lo
	s_and_b32 s22, s23, exec_lo
	s_or_b32 s22, s9, s22
	s_and_not1_b32 exec_lo, exec_lo, s21
	s_cbranch_execz .LBB1115_1230
.LBB1115_1216:                          ; =>This Inner Loop Header: Depth=1
	flat_load_u16 v39, v[16:17]
	flat_load_u16 v48, v[14:15]
	s_mov_b32 s25, -1
	s_mov_b32 s27, 0
	s_mov_b32 s24, -1
	s_mov_b32 s28, exec_lo
	s_wait_loadcnt_dscnt 0x0
	v_dual_lshlrev_b32 v39, 16, v39 :: v_dual_lshlrev_b32 v48, 16, v48
	s_delay_alu instid0(VALU_DEP_1)
	v_cmpx_nlt_f32_e32 v39, v48
; %bb.1217:                             ;   in Loop: Header=BB1115_1216 Depth=1
	v_cmp_ngt_f32_e64 s9, v39, v48
	s_and_b32 s24, s9, s26
	s_and_b32 s27, s9, exec_lo
	s_or_not1_b32 s24, s24, exec_lo
; %bb.1218:                             ;   in Loop: Header=BB1115_1216 Depth=1
	s_or_b32 exec_lo, exec_lo, s28
	s_delay_alu instid0(SALU_CYCLE_1) | instskip(SKIP_1) | instid1(SALU_CYCLE_1)
	s_and_not1_b32 s9, s23, exec_lo
	s_and_b32 s23, s24, exec_lo
	s_or_b32 s23, s9, s23
	s_and_saveexec_b32 s26, s27
	s_cbranch_execz .LBB1115_1215
; %bb.1219:                             ;   in Loop: Header=BB1115_1216 Depth=1
	v_add_nc_u64_e32 v[36:37], -1, v[36:37]
	v_add_nc_u64_e32 v[14:15], 2, v[14:15]
	v_add_nc_u64_e32 v[16:17], 2, v[16:17]
	s_and_not1_b32 s23, s23, exec_lo
	s_delay_alu instid0(VALU_DEP_3)
	v_cmp_eq_u64_e64 s9, 0, v[36:37]
	s_or_not1_b32 s25, s9, exec_lo
	s_branch .LBB1115_1215
.LBB1115_1220:
	s_or_b32 exec_lo, exec_lo, s12
	s_xor_b32 s1, s13, -1
	s_and_not1_b32 s6, s6, exec_lo
	s_and_b32 s1, s1, exec_lo
	s_delay_alu instid0(SALU_CYCLE_1)
	s_or_b32 s6, s6, s1
.LBB1115_1221:
	s_or_b32 exec_lo, exec_lo, s11
	s_delay_alu instid0(SALU_CYCLE_1)
	s_or_not1_b32 s6, s6, exec_lo
.LBB1115_1222:
	s_or_b32 exec_lo, exec_lo, s7
	v_dual_cndmask_b32 v10, v23, v30, s6 :: v_dual_cndmask_b32 v11, v86, v103, s6
	s_mov_b32 s11, -1
	s_mov_b32 s7, -1
	s_mov_b32 s12, exec_lo
	s_delay_alu instid0(VALU_DEP_1) | instskip(NEXT) | instid1(VALU_DEP_1)
	v_add_nc_u32_e32 v12, 1, v10
	v_add_min_u32_e64 v10, v11, -1, v12
	s_delay_alu instid0(VALU_DEP_1)
	v_lshl_add_u32 v10, v10, 3, v22
	ds_load_b64 v[10:11], v10
	s_wait_dscnt 0x0
	v_cndmask_b32_e64 v17, v11, v15, s6
	v_dual_cndmask_b32 v23, v12, v23, s6 :: v_dual_cndmask_b32 v34, v30, v12, s6
	v_dual_cndmask_b32 v16, v10, v14, s6 :: v_dual_cndmask_b32 v31, v25, v11, s6
	v_cndmask_b32_e64 v30, v24, v10, s6
	s_delay_alu instid0(VALU_DEP_3)
	v_cmpx_lt_u32_e64 v23, v86
	s_cbranch_execz .LBB1115_1242
; %bb.1223:
	v_cmp_lt_u32_e64 s7, v34, v103
	s_xor_b32 s1, s0, -1
	s_delay_alu instid0(SALU_CYCLE_1) | instskip(NEXT) | instid1(SALU_CYCLE_1)
	s_and_b32 s1, s7, s1
	s_and_saveexec_b32 s13, s1
	s_cbranch_execz .LBB1115_1241
; %bb.1224:
	v_mul_u64_e32 v[10:11], v[30:31], v[6:7]
	v_mul_u64_e32 v[12:13], v[16:17], v[6:7]
	v_mov_b64_e32 v[32:33], v[6:7]
	s_mov_b32 s14, 0
                                        ; implicit-def: $sgpr15
                                        ; implicit-def: $sgpr16
                                        ; implicit-def: $sgpr19
	s_delay_alu instid0(VALU_DEP_3) | instskip(NEXT) | instid1(VALU_DEP_3)
	v_lshl_add_u64 v[10:11], v[10:11], 1, v[8:9]
	v_lshl_add_u64 v[12:13], v[12:13], 1, v[8:9]
	s_branch .LBB1115_1226
.LBB1115_1225:                          ;   in Loop: Header=BB1115_1226 Depth=1
	s_or_b32 exec_lo, exec_lo, s19
	s_delay_alu instid0(SALU_CYCLE_1) | instskip(SKIP_4) | instid1(SALU_CYCLE_1)
	s_and_b32 s1, exec_lo, s18
	s_mov_b32 s19, s17
	s_or_b32 s14, s1, s14
	s_and_not1_b32 s1, s15, exec_lo
	s_and_b32 s15, s16, exec_lo
	s_or_b32 s15, s1, s15
	s_and_not1_b32 exec_lo, exec_lo, s14
	s_cbranch_execz .LBB1115_1240
.LBB1115_1226:                          ; =>This Inner Loop Header: Depth=1
	flat_load_u16 v35, v[12:13]
	flat_load_u16 v36, v[10:11]
	s_mov_b32 s18, -1
	s_mov_b32 s20, 0
	s_mov_b32 s17, -1
	s_mov_b32 s21, exec_lo
	s_wait_loadcnt_dscnt 0x0
	v_dual_lshlrev_b32 v35, 16, v35 :: v_dual_lshlrev_b32 v36, 16, v36
	s_delay_alu instid0(VALU_DEP_1)
	v_cmpx_nlt_f32_e32 v35, v36
; %bb.1227:                             ;   in Loop: Header=BB1115_1226 Depth=1
	v_cmp_ngt_f32_e64 s1, v35, v36
	s_and_b32 s17, s1, s19
	s_and_b32 s20, s1, exec_lo
	s_or_not1_b32 s17, s17, exec_lo
; %bb.1228:                             ;   in Loop: Header=BB1115_1226 Depth=1
	s_or_b32 exec_lo, exec_lo, s21
	s_delay_alu instid0(SALU_CYCLE_1) | instskip(SKIP_1) | instid1(SALU_CYCLE_1)
	s_and_not1_b32 s1, s16, exec_lo
	s_and_b32 s16, s17, exec_lo
	s_or_b32 s16, s1, s16
	s_and_saveexec_b32 s19, s20
	s_cbranch_execz .LBB1115_1225
; %bb.1229:                             ;   in Loop: Header=BB1115_1226 Depth=1
	v_add_nc_u64_e32 v[32:33], -1, v[32:33]
	v_add_nc_u64_e32 v[10:11], 2, v[10:11]
	v_add_nc_u64_e32 v[12:13], 2, v[12:13]
	s_and_not1_b32 s16, s16, exec_lo
	s_delay_alu instid0(VALU_DEP_3)
	v_cmp_eq_u64_e64 s1, 0, v[32:33]
	s_or_not1_b32 s18, s1, exec_lo
	s_branch .LBB1115_1225
.LBB1115_1230:
	s_or_b32 exec_lo, exec_lo, s21
	s_xor_b32 s9, s22, -1
	s_and_not1_b32 s17, s17, exec_lo
	s_and_b32 s9, s9, exec_lo
	s_delay_alu instid0(SALU_CYCLE_1)
	s_or_b32 s17, s17, s9
.LBB1115_1231:
	s_or_b32 exec_lo, exec_lo, s20
	s_delay_alu instid0(SALU_CYCLE_1)
	s_or_not1_b32 s17, s17, exec_lo
.LBB1115_1232:
	s_or_b32 exec_lo, exec_lo, s19
	v_cndmask_b32_e64 v14, v31, v38, s17
	s_mov_b32 s19, exec_lo
	s_delay_alu instid0(VALU_DEP_1) | instskip(NEXT) | instid1(VALU_DEP_1)
	v_add_nc_u32_e32 v14, 1, v14
	v_dual_cndmask_b32 v15, v97, v114, s17 :: v_dual_cndmask_b32 v31, v14, v31, s17
	s_delay_alu instid0(VALU_DEP_1) | instskip(NEXT) | instid1(VALU_DEP_1)
	v_add_min_u32_e64 v15, v15, -1, v14
	v_lshl_add_u32 v15, v15, 3, v30
	ds_load_b64 v[16:17], v15
	s_wait_dscnt 0x0
	v_cndmask_b32_e64 v15, v17, v21, s17
	v_dual_cndmask_b32 v37, v35, v17, s17 :: v_dual_cndmask_b32 v50, v38, v14, s17
	v_cndmask_b32_e64 v14, v16, v20, s17
	v_cndmask_b32_e64 v36, v34, v16, s17
	v_cmpx_lt_u32_e64 v31, v97
	s_cbranch_execz .LBB1115_1252
; %bb.1233:
	v_cmp_lt_u32_e64 s18, v50, v114
	s_and_b32 s9, s18, s14
	s_delay_alu instid0(SALU_CYCLE_1)
	s_and_saveexec_b32 s20, s9
	s_cbranch_execz .LBB1115_1251
; %bb.1234:
	v_mul_u64_e32 v[16:17], v[36:37], v[6:7]
	v_mul_u64_e32 v[38:39], v[14:15], v[6:7]
	v_mov_b64_e32 v[48:49], v[6:7]
	s_mov_b32 s21, 0
                                        ; implicit-def: $sgpr22
                                        ; implicit-def: $sgpr23
                                        ; implicit-def: $sgpr26
	s_delay_alu instid0(VALU_DEP_3) | instskip(NEXT) | instid1(VALU_DEP_3)
	v_lshl_add_u64 v[16:17], v[16:17], 1, v[8:9]
	v_lshl_add_u64 v[38:39], v[38:39], 1, v[8:9]
	s_branch .LBB1115_1236
.LBB1115_1235:                          ;   in Loop: Header=BB1115_1236 Depth=1
	s_or_b32 exec_lo, exec_lo, s26
	s_delay_alu instid0(SALU_CYCLE_1) | instskip(SKIP_4) | instid1(SALU_CYCLE_1)
	s_and_b32 s9, exec_lo, s25
	s_mov_b32 s26, s24
	s_or_b32 s21, s9, s21
	s_and_not1_b32 s9, s22, exec_lo
	s_and_b32 s22, s23, exec_lo
	s_or_b32 s22, s9, s22
	s_and_not1_b32 exec_lo, exec_lo, s21
	s_cbranch_execz .LBB1115_1250
.LBB1115_1236:                          ; =>This Inner Loop Header: Depth=1
	flat_load_u16 v51, v[38:39]
	flat_load_u16 v52, v[16:17]
	s_mov_b32 s25, -1
	s_mov_b32 s27, 0
	s_mov_b32 s24, -1
	s_mov_b32 s28, exec_lo
	s_wait_loadcnt_dscnt 0x0
	v_dual_lshlrev_b32 v51, 16, v51 :: v_dual_lshlrev_b32 v52, 16, v52
	s_delay_alu instid0(VALU_DEP_1)
	v_cmpx_nlt_f32_e32 v51, v52
; %bb.1237:                             ;   in Loop: Header=BB1115_1236 Depth=1
	v_cmp_ngt_f32_e64 s9, v51, v52
	s_and_b32 s24, s9, s26
	s_and_b32 s27, s9, exec_lo
	s_or_not1_b32 s24, s24, exec_lo
; %bb.1238:                             ;   in Loop: Header=BB1115_1236 Depth=1
	s_or_b32 exec_lo, exec_lo, s28
	s_delay_alu instid0(SALU_CYCLE_1) | instskip(SKIP_1) | instid1(SALU_CYCLE_1)
	s_and_not1_b32 s9, s23, exec_lo
	s_and_b32 s23, s24, exec_lo
	s_or_b32 s23, s9, s23
	s_and_saveexec_b32 s26, s27
	s_cbranch_execz .LBB1115_1235
; %bb.1239:                             ;   in Loop: Header=BB1115_1236 Depth=1
	v_add_nc_u64_e32 v[48:49], -1, v[48:49]
	v_add_nc_u64_e32 v[16:17], 2, v[16:17]
	v_add_nc_u64_e32 v[38:39], 2, v[38:39]
	s_and_not1_b32 s23, s23, exec_lo
	s_delay_alu instid0(VALU_DEP_3)
	v_cmp_eq_u64_e64 s9, 0, v[48:49]
	s_or_not1_b32 s25, s9, exec_lo
	s_branch .LBB1115_1235
.LBB1115_1240:
	s_or_b32 exec_lo, exec_lo, s14
	s_xor_b32 s1, s15, -1
	s_and_not1_b32 s7, s7, exec_lo
	s_and_b32 s1, s1, exec_lo
	s_delay_alu instid0(SALU_CYCLE_1)
	s_or_b32 s7, s7, s1
.LBB1115_1241:
	s_or_b32 exec_lo, exec_lo, s13
	s_delay_alu instid0(SALU_CYCLE_1)
	s_or_not1_b32 s7, s7, exec_lo
.LBB1115_1242:
	s_or_b32 exec_lo, exec_lo, s12
	v_dual_cndmask_b32 v10, v23, v34, s7 :: v_dual_cndmask_b32 v11, v86, v103, s7
	s_mov_b32 s12, exec_lo
	s_delay_alu instid0(VALU_DEP_1) | instskip(NEXT) | instid1(VALU_DEP_1)
	v_add_nc_u32_e32 v10, 1, v10
	v_add_min_u32_e64 v11, v11, -1, v10
	s_delay_alu instid0(VALU_DEP_1)
	v_lshl_add_u32 v11, v11, 3, v22
	ds_load_b64 v[12:13], v11
	s_wait_dscnt 0x0
	v_dual_cndmask_b32 v11, v13, v17, s7 :: v_dual_cndmask_b32 v23, v10, v23, s7
	v_dual_cndmask_b32 v38, v34, v10, s7 :: v_dual_cndmask_b32 v33, v31, v13, s7
	v_cndmask_b32_e64 v10, v12, v16, s7
	v_cndmask_b32_e64 v32, v30, v12, s7
	s_delay_alu instid0(VALU_DEP_4)
	v_cmpx_lt_u32_e64 v23, v86
	s_cbranch_execz .LBB1115_1262
; %bb.1243:
	v_cmp_lt_u32_e64 s11, v38, v103
	s_xor_b32 s1, s0, -1
	s_delay_alu instid0(SALU_CYCLE_1) | instskip(NEXT) | instid1(SALU_CYCLE_1)
	s_and_b32 s1, s11, s1
	s_and_saveexec_b32 s13, s1
	s_cbranch_execz .LBB1115_1261
; %bb.1244:
	v_mul_u64_e32 v[12:13], v[32:33], v[6:7]
	v_mul_u64_e32 v[34:35], v[10:11], v[6:7]
	v_mov_b64_e32 v[36:37], v[6:7]
	s_mov_b32 s14, 0
                                        ; implicit-def: $sgpr15
                                        ; implicit-def: $sgpr16
                                        ; implicit-def: $sgpr19
	s_delay_alu instid0(VALU_DEP_3) | instskip(NEXT) | instid1(VALU_DEP_3)
	v_lshl_add_u64 v[12:13], v[12:13], 1, v[8:9]
	v_lshl_add_u64 v[34:35], v[34:35], 1, v[8:9]
	s_branch .LBB1115_1246
.LBB1115_1245:                          ;   in Loop: Header=BB1115_1246 Depth=1
	s_or_b32 exec_lo, exec_lo, s19
	s_delay_alu instid0(SALU_CYCLE_1) | instskip(SKIP_4) | instid1(SALU_CYCLE_1)
	s_and_b32 s1, exec_lo, s18
	s_mov_b32 s19, s17
	s_or_b32 s14, s1, s14
	s_and_not1_b32 s1, s15, exec_lo
	s_and_b32 s15, s16, exec_lo
	s_or_b32 s15, s1, s15
	s_and_not1_b32 exec_lo, exec_lo, s14
	s_cbranch_execz .LBB1115_1260
.LBB1115_1246:                          ; =>This Inner Loop Header: Depth=1
	flat_load_u16 v39, v[34:35]
	flat_load_u16 v48, v[12:13]
	s_mov_b32 s18, -1
	s_mov_b32 s20, 0
	s_mov_b32 s17, -1
	s_mov_b32 s21, exec_lo
	s_wait_loadcnt_dscnt 0x0
	v_dual_lshlrev_b32 v39, 16, v39 :: v_dual_lshlrev_b32 v48, 16, v48
	s_delay_alu instid0(VALU_DEP_1)
	v_cmpx_nlt_f32_e32 v39, v48
; %bb.1247:                             ;   in Loop: Header=BB1115_1246 Depth=1
	v_cmp_ngt_f32_e64 s1, v39, v48
	s_and_b32 s17, s1, s19
	s_and_b32 s20, s1, exec_lo
	s_or_not1_b32 s17, s17, exec_lo
; %bb.1248:                             ;   in Loop: Header=BB1115_1246 Depth=1
	s_or_b32 exec_lo, exec_lo, s21
	s_delay_alu instid0(SALU_CYCLE_1) | instskip(SKIP_1) | instid1(SALU_CYCLE_1)
	s_and_not1_b32 s1, s16, exec_lo
	s_and_b32 s16, s17, exec_lo
	s_or_b32 s16, s1, s16
	s_and_saveexec_b32 s19, s20
	s_cbranch_execz .LBB1115_1245
; %bb.1249:                             ;   in Loop: Header=BB1115_1246 Depth=1
	v_add_nc_u64_e32 v[36:37], -1, v[36:37]
	v_add_nc_u64_e32 v[12:13], 2, v[12:13]
	v_add_nc_u64_e32 v[34:35], 2, v[34:35]
	s_and_not1_b32 s16, s16, exec_lo
	s_delay_alu instid0(VALU_DEP_3)
	v_cmp_eq_u64_e64 s1, 0, v[36:37]
	s_or_not1_b32 s18, s1, exec_lo
	s_branch .LBB1115_1245
.LBB1115_1250:
	s_or_b32 exec_lo, exec_lo, s21
	s_xor_b32 s9, s22, -1
	s_and_not1_b32 s18, s18, exec_lo
	s_and_b32 s9, s9, exec_lo
	s_delay_alu instid0(SALU_CYCLE_1)
	s_or_b32 s18, s18, s9
.LBB1115_1251:
	s_or_b32 exec_lo, exec_lo, s20
	s_delay_alu instid0(SALU_CYCLE_1)
	s_or_not1_b32 s18, s18, exec_lo
.LBB1115_1252:
	s_or_b32 exec_lo, exec_lo, s19
	v_cndmask_b32_e64 v16, v31, v50, s18
	v_cndmask_b32_e64 v17, v97, v114, s18
	s_mov_b32 s19, -1
	s_mov_b32 s20, -1
	s_mov_b32 s21, exec_lo
	v_add_nc_u32_e32 v16, 1, v16
	s_delay_alu instid0(VALU_DEP_1) | instskip(SKIP_1) | instid1(VALU_DEP_2)
	v_add_min_u32_e64 v17, v17, -1, v16
	v_dual_cndmask_b32 v31, v16, v31, s18 :: v_dual_cndmask_b32 v54, v50, v16, s18
	v_lshl_add_u32 v17, v17, 3, v30
	ds_load_b64 v[38:39], v17
	s_wait_dscnt 0x0
	v_dual_cndmask_b32 v17, v39, v15, s18 :: v_dual_cndmask_b32 v16, v38, v14, s18
	v_dual_cndmask_b32 v39, v37, v39, s18 :: v_dual_cndmask_b32 v38, v36, v38, s18
	v_cmpx_lt_u32_e64 v31, v97
	s_cbranch_execz .LBB1115_1272
; %bb.1253:
	v_cmp_lt_u32_e64 s20, v54, v114
	s_and_b32 s9, s20, s14
	s_delay_alu instid0(SALU_CYCLE_1)
	s_and_saveexec_b32 s22, s9
	s_cbranch_execz .LBB1115_1271
; %bb.1254:
	v_mul_u64_e32 v[48:49], v[38:39], v[6:7]
	v_mul_u64_e32 v[50:51], v[16:17], v[6:7]
	v_mov_b64_e32 v[52:53], v[6:7]
	s_mov_b32 s23, 0
                                        ; implicit-def: $sgpr24
                                        ; implicit-def: $sgpr25
                                        ; implicit-def: $sgpr28
	s_delay_alu instid0(VALU_DEP_3) | instskip(NEXT) | instid1(VALU_DEP_3)
	v_lshl_add_u64 v[48:49], v[48:49], 1, v[8:9]
	v_lshl_add_u64 v[50:51], v[50:51], 1, v[8:9]
	s_branch .LBB1115_1256
.LBB1115_1255:                          ;   in Loop: Header=BB1115_1256 Depth=1
	s_or_b32 exec_lo, exec_lo, s28
	s_delay_alu instid0(SALU_CYCLE_1) | instskip(SKIP_4) | instid1(SALU_CYCLE_1)
	s_and_b32 s9, exec_lo, s27
	s_mov_b32 s28, s26
	s_or_b32 s23, s9, s23
	s_and_not1_b32 s9, s24, exec_lo
	s_and_b32 s24, s25, exec_lo
	s_or_b32 s24, s9, s24
	s_and_not1_b32 exec_lo, exec_lo, s23
	s_cbranch_execz .LBB1115_1270
.LBB1115_1256:                          ; =>This Inner Loop Header: Depth=1
	flat_load_u16 v55, v[50:51]
	flat_load_u16 v64, v[48:49]
	s_mov_b32 s27, -1
	s_mov_b32 s29, 0
	s_mov_b32 s26, -1
	s_mov_b32 s40, exec_lo
	s_wait_loadcnt_dscnt 0x0
	v_dual_lshlrev_b32 v55, 16, v55 :: v_dual_lshlrev_b32 v64, 16, v64
	s_delay_alu instid0(VALU_DEP_1)
	v_cmpx_nlt_f32_e32 v55, v64
; %bb.1257:                             ;   in Loop: Header=BB1115_1256 Depth=1
	v_cmp_ngt_f32_e64 s9, v55, v64
	s_and_b32 s26, s9, s28
	s_and_b32 s29, s9, exec_lo
	s_or_not1_b32 s26, s26, exec_lo
; %bb.1258:                             ;   in Loop: Header=BB1115_1256 Depth=1
	s_or_b32 exec_lo, exec_lo, s40
	s_delay_alu instid0(SALU_CYCLE_1) | instskip(SKIP_1) | instid1(SALU_CYCLE_1)
	s_and_not1_b32 s9, s25, exec_lo
	s_and_b32 s25, s26, exec_lo
	s_or_b32 s25, s9, s25
	s_and_saveexec_b32 s28, s29
	s_cbranch_execz .LBB1115_1255
; %bb.1259:                             ;   in Loop: Header=BB1115_1256 Depth=1
	v_add_nc_u64_e32 v[52:53], -1, v[52:53]
	v_add_nc_u64_e32 v[48:49], 2, v[48:49]
	v_add_nc_u64_e32 v[50:51], 2, v[50:51]
	s_and_not1_b32 s25, s25, exec_lo
	s_delay_alu instid0(VALU_DEP_3)
	v_cmp_eq_u64_e64 s9, 0, v[52:53]
	s_or_not1_b32 s27, s9, exec_lo
	s_branch .LBB1115_1255
.LBB1115_1260:
	s_or_b32 exec_lo, exec_lo, s14
	s_xor_b32 s1, s15, -1
	s_and_not1_b32 s11, s11, exec_lo
	s_and_b32 s1, s1, exec_lo
	s_delay_alu instid0(SALU_CYCLE_1)
	s_or_b32 s11, s11, s1
.LBB1115_1261:
	s_or_b32 exec_lo, exec_lo, s13
	s_delay_alu instid0(SALU_CYCLE_1)
	s_or_not1_b32 s11, s11, exec_lo
.LBB1115_1262:
	s_or_b32 exec_lo, exec_lo, s12
	v_dual_cndmask_b32 v12, v23, v38, s11 :: v_dual_cndmask_b32 v13, v86, v103, s11
	s_mov_b32 s12, -1
	s_mov_b32 s13, -1
	s_mov_b32 s14, exec_lo
	s_delay_alu instid0(VALU_DEP_1) | instskip(NEXT) | instid1(VALU_DEP_1)
	v_add_nc_u32_e32 v12, 1, v12
	v_add_min_u32_e64 v13, v13, -1, v12
	s_delay_alu instid0(VALU_DEP_1)
	v_lshl_add_u32 v13, v13, 3, v22
	ds_load_b64 v[34:35], v13
	s_wait_dscnt 0x0
	v_cndmask_b32_e64 v13, v35, v11, s11
	v_dual_cndmask_b32 v23, v12, v23, s11 :: v_dual_cndmask_b32 v50, v38, v12, s11
	v_dual_cndmask_b32 v12, v34, v10, s11 :: v_dual_cndmask_b32 v35, v33, v35, s11
	v_cndmask_b32_e64 v34, v32, v34, s11
	s_delay_alu instid0(VALU_DEP_3)
	v_cmpx_lt_u32_e64 v23, v86
	s_cbranch_execz .LBB1115_1282
; %bb.1263:
	v_cmp_lt_u32_e64 s13, v50, v103
	s_xor_b32 s1, s0, -1
	s_delay_alu instid0(SALU_CYCLE_1) | instskip(NEXT) | instid1(SALU_CYCLE_1)
	s_and_b32 s1, s13, s1
	s_and_saveexec_b32 s15, s1
	s_cbranch_execz .LBB1115_1281
; %bb.1264:
	v_mul_u64_e32 v[36:37], v[34:35], v[6:7]
	v_mul_u64_e32 v[38:39], v[12:13], v[6:7]
	v_mov_b64_e32 v[48:49], v[6:7]
	s_mov_b32 s16, 0
                                        ; implicit-def: $sgpr17
                                        ; implicit-def: $sgpr18
                                        ; implicit-def: $sgpr21
	s_delay_alu instid0(VALU_DEP_3) | instskip(NEXT) | instid1(VALU_DEP_3)
	v_lshl_add_u64 v[36:37], v[36:37], 1, v[8:9]
	v_lshl_add_u64 v[38:39], v[38:39], 1, v[8:9]
	s_branch .LBB1115_1266
.LBB1115_1265:                          ;   in Loop: Header=BB1115_1266 Depth=1
	s_or_b32 exec_lo, exec_lo, s21
	s_delay_alu instid0(SALU_CYCLE_1) | instskip(SKIP_4) | instid1(SALU_CYCLE_1)
	s_and_b32 s1, exec_lo, s20
	s_mov_b32 s21, s19
	s_or_b32 s16, s1, s16
	s_and_not1_b32 s1, s17, exec_lo
	s_and_b32 s17, s18, exec_lo
	s_or_b32 s17, s1, s17
	s_and_not1_b32 exec_lo, exec_lo, s16
	s_cbranch_execz .LBB1115_1280
.LBB1115_1266:                          ; =>This Inner Loop Header: Depth=1
	flat_load_u16 v51, v[38:39]
	flat_load_u16 v52, v[36:37]
	s_mov_b32 s20, -1
	s_mov_b32 s22, 0
	s_mov_b32 s19, -1
	s_mov_b32 s23, exec_lo
	s_wait_loadcnt_dscnt 0x0
	v_dual_lshlrev_b32 v51, 16, v51 :: v_dual_lshlrev_b32 v52, 16, v52
	s_delay_alu instid0(VALU_DEP_1)
	v_cmpx_nlt_f32_e32 v51, v52
; %bb.1267:                             ;   in Loop: Header=BB1115_1266 Depth=1
	v_cmp_ngt_f32_e64 s1, v51, v52
	s_and_b32 s19, s1, s21
	s_and_b32 s22, s1, exec_lo
	s_or_not1_b32 s19, s19, exec_lo
; %bb.1268:                             ;   in Loop: Header=BB1115_1266 Depth=1
	s_or_b32 exec_lo, exec_lo, s23
	s_delay_alu instid0(SALU_CYCLE_1) | instskip(SKIP_1) | instid1(SALU_CYCLE_1)
	s_and_not1_b32 s1, s18, exec_lo
	s_and_b32 s18, s19, exec_lo
	s_or_b32 s18, s1, s18
	s_and_saveexec_b32 s21, s22
	s_cbranch_execz .LBB1115_1265
; %bb.1269:                             ;   in Loop: Header=BB1115_1266 Depth=1
	v_add_nc_u64_e32 v[48:49], -1, v[48:49]
	v_add_nc_u64_e32 v[36:37], 2, v[36:37]
	v_add_nc_u64_e32 v[38:39], 2, v[38:39]
	s_and_not1_b32 s18, s18, exec_lo
	s_delay_alu instid0(VALU_DEP_3)
	v_cmp_eq_u64_e64 s1, 0, v[48:49]
	s_or_not1_b32 s20, s1, exec_lo
	s_branch .LBB1115_1265
.LBB1115_1270:
	s_or_b32 exec_lo, exec_lo, s23
	s_xor_b32 s9, s24, -1
	s_and_not1_b32 s20, s20, exec_lo
	s_and_b32 s9, s9, exec_lo
	s_delay_alu instid0(SALU_CYCLE_1)
	s_or_b32 s20, s20, s9
.LBB1115_1271:
	s_or_b32 exec_lo, exec_lo, s22
	s_delay_alu instid0(SALU_CYCLE_1)
	s_or_not1_b32 s20, s20, exec_lo
.LBB1115_1272:
	s_or_b32 exec_lo, exec_lo, s21
	v_cndmask_b32_e64 v48, v31, v54, s20
	v_cndmask_b32_e64 v49, v97, v114, s20
	s_mov_b32 s21, exec_lo
	s_delay_alu instid0(VALU_DEP_2) | instskip(NEXT) | instid1(VALU_DEP_1)
	v_add_nc_u32_e32 v48, 1, v48
	v_add_min_u32_e64 v49, v49, -1, v48
	v_dual_cndmask_b32 v98, v48, v31, s20 :: v_dual_cndmask_b32 v96, v54, v48, s20
	s_delay_alu instid0(VALU_DEP_2)
	v_lshl_add_u32 v49, v49, 3, v30
	ds_load_b64 v[50:51], v49
	s_wait_dscnt 0x0
	v_dual_cndmask_b32 v49, v51, v17, s20 :: v_dual_cndmask_b32 v48, v50, v16, s20
	v_dual_cndmask_b32 v51, v39, v51, s20 :: v_dual_cndmask_b32 v50, v38, v50, s20
	v_cmpx_lt_u32_e64 v98, v97
	s_cbranch_execz .LBB1115_1292
; %bb.1273:
	v_cmp_lt_u32_e64 s19, v96, v114
	s_and_b32 s9, s19, s14
	s_delay_alu instid0(SALU_CYCLE_1)
	s_and_saveexec_b32 s22, s9
	s_cbranch_execz .LBB1115_1291
; %bb.1274:
	v_mul_u64_e32 v[52:53], v[50:51], v[6:7]
	v_mul_u64_e32 v[54:55], v[48:49], v[6:7]
	v_mov_b64_e32 v[64:65], v[6:7]
	s_mov_b32 s23, 0
                                        ; implicit-def: $sgpr24
                                        ; implicit-def: $sgpr25
                                        ; implicit-def: $sgpr28
	s_delay_alu instid0(VALU_DEP_3) | instskip(NEXT) | instid1(VALU_DEP_3)
	v_lshl_add_u64 v[52:53], v[52:53], 1, v[8:9]
	v_lshl_add_u64 v[54:55], v[54:55], 1, v[8:9]
	s_branch .LBB1115_1276
.LBB1115_1275:                          ;   in Loop: Header=BB1115_1276 Depth=1
	s_or_b32 exec_lo, exec_lo, s28
	s_delay_alu instid0(SALU_CYCLE_1) | instskip(SKIP_4) | instid1(SALU_CYCLE_1)
	s_and_b32 s9, exec_lo, s27
	s_mov_b32 s28, s26
	s_or_b32 s23, s9, s23
	s_and_not1_b32 s9, s24, exec_lo
	s_and_b32 s24, s25, exec_lo
	s_or_b32 s24, s9, s24
	s_and_not1_b32 exec_lo, exec_lo, s23
	s_cbranch_execz .LBB1115_1290
.LBB1115_1276:                          ; =>This Inner Loop Header: Depth=1
	flat_load_u16 v31, v[54:55]
	flat_load_u16 v99, v[52:53]
	s_mov_b32 s27, -1
	s_mov_b32 s29, 0
	s_mov_b32 s26, -1
	s_mov_b32 s40, exec_lo
	s_wait_loadcnt_dscnt 0x101
	v_lshlrev_b32_e32 v31, 16, v31
	s_wait_loadcnt_dscnt 0x0
	v_lshlrev_b32_e32 v99, 16, v99
	s_delay_alu instid0(VALU_DEP_1)
	v_cmpx_nlt_f32_e32 v31, v99
; %bb.1277:                             ;   in Loop: Header=BB1115_1276 Depth=1
	v_cmp_ngt_f32_e64 s9, v31, v99
	s_and_b32 s26, s9, s28
	s_and_b32 s29, s9, exec_lo
	s_or_not1_b32 s26, s26, exec_lo
; %bb.1278:                             ;   in Loop: Header=BB1115_1276 Depth=1
	s_or_b32 exec_lo, exec_lo, s40
	s_delay_alu instid0(SALU_CYCLE_1) | instskip(SKIP_1) | instid1(SALU_CYCLE_1)
	s_and_not1_b32 s9, s25, exec_lo
	s_and_b32 s25, s26, exec_lo
	s_or_b32 s25, s9, s25
	s_and_saveexec_b32 s28, s29
	s_cbranch_execz .LBB1115_1275
; %bb.1279:                             ;   in Loop: Header=BB1115_1276 Depth=1
	v_add_nc_u64_e32 v[64:65], -1, v[64:65]
	v_add_nc_u64_e32 v[52:53], 2, v[52:53]
	v_add_nc_u64_e32 v[54:55], 2, v[54:55]
	s_and_not1_b32 s25, s25, exec_lo
	s_delay_alu instid0(VALU_DEP_3)
	v_cmp_eq_u64_e64 s9, 0, v[64:65]
	s_or_not1_b32 s27, s9, exec_lo
	s_branch .LBB1115_1275
.LBB1115_1280:
	s_or_b32 exec_lo, exec_lo, s16
	s_xor_b32 s1, s17, -1
	s_and_not1_b32 s13, s13, exec_lo
	s_and_b32 s1, s1, exec_lo
	s_delay_alu instid0(SALU_CYCLE_1)
	s_or_b32 s13, s13, s1
.LBB1115_1281:
	s_or_b32 exec_lo, exec_lo, s15
	s_delay_alu instid0(SALU_CYCLE_1)
	s_or_not1_b32 s13, s13, exec_lo
.LBB1115_1282:
	s_or_b32 exec_lo, exec_lo, s14
	v_dual_cndmask_b32 v36, v23, v50, s13 :: v_dual_cndmask_b32 v37, v86, v103, s13
	s_mov_b32 s14, exec_lo
	s_delay_alu instid0(VALU_DEP_1) | instskip(NEXT) | instid1(VALU_DEP_1)
	v_add_nc_u32_e32 v36, 1, v36
	v_add_min_u32_e64 v37, v37, -1, v36
	s_delay_alu instid0(VALU_DEP_1)
	v_lshl_add_u32 v37, v37, 3, v22
	ds_load_b64 v[38:39], v37
	s_wait_dscnt 0x0
	v_dual_cndmask_b32 v37, v39, v13, s13 :: v_dual_cndmask_b32 v87, v36, v23, s13
	v_cndmask_b32_e64 v85, v50, v36, s13
	v_dual_cndmask_b32 v36, v38, v12, s13 :: v_dual_cndmask_b32 v39, v35, v39, s13
	v_cndmask_b32_e64 v38, v34, v38, s13
	s_delay_alu instid0(VALU_DEP_4)
	v_cmpx_lt_u32_e64 v87, v86
	s_cbranch_execz .LBB1115_1302
; %bb.1283:
	v_cmp_lt_u32_e64 s12, v85, v103
	s_xor_b32 s1, s0, -1
	s_delay_alu instid0(SALU_CYCLE_1) | instskip(NEXT) | instid1(SALU_CYCLE_1)
	s_and_b32 s1, s12, s1
	s_and_saveexec_b32 s15, s1
	s_cbranch_execz .LBB1115_1301
; %bb.1284:
	v_mul_u64_e32 v[48:49], v[38:39], v[6:7]
	v_mul_u64_e32 v[50:51], v[36:37], v[6:7]
	v_mov_b64_e32 v[52:53], v[6:7]
	s_mov_b32 s16, 0
                                        ; implicit-def: $sgpr17
                                        ; implicit-def: $sgpr18
                                        ; implicit-def: $sgpr21
	s_delay_alu instid0(VALU_DEP_3) | instskip(NEXT) | instid1(VALU_DEP_3)
	v_lshl_add_u64 v[48:49], v[48:49], 1, v[8:9]
	v_lshl_add_u64 v[50:51], v[50:51], 1, v[8:9]
	s_branch .LBB1115_1286
.LBB1115_1285:                          ;   in Loop: Header=BB1115_1286 Depth=1
	s_or_b32 exec_lo, exec_lo, s21
	s_delay_alu instid0(SALU_CYCLE_1) | instskip(SKIP_4) | instid1(SALU_CYCLE_1)
	s_and_b32 s1, exec_lo, s20
	s_mov_b32 s21, s19
	s_or_b32 s16, s1, s16
	s_and_not1_b32 s1, s17, exec_lo
	s_and_b32 s17, s18, exec_lo
	s_or_b32 s17, s1, s17
	s_and_not1_b32 exec_lo, exec_lo, s16
	s_cbranch_execz .LBB1115_1300
.LBB1115_1286:                          ; =>This Inner Loop Header: Depth=1
	flat_load_u16 v23, v[50:51]
	flat_load_u16 v96, v[48:49]
	s_mov_b32 s20, -1
	s_mov_b32 s22, 0
	s_mov_b32 s19, -1
	s_mov_b32 s23, exec_lo
	s_wait_loadcnt_dscnt 0x0
	v_dual_lshlrev_b32 v23, 16, v23 :: v_dual_lshlrev_b32 v96, 16, v96
	s_delay_alu instid0(VALU_DEP_1)
	v_cmpx_nlt_f32_e32 v23, v96
; %bb.1287:                             ;   in Loop: Header=BB1115_1286 Depth=1
	v_cmp_ngt_f32_e64 s1, v23, v96
	s_and_b32 s19, s1, s21
	s_and_b32 s22, s1, exec_lo
	s_or_not1_b32 s19, s19, exec_lo
; %bb.1288:                             ;   in Loop: Header=BB1115_1286 Depth=1
	s_or_b32 exec_lo, exec_lo, s23
	s_delay_alu instid0(SALU_CYCLE_1) | instskip(SKIP_1) | instid1(SALU_CYCLE_1)
	s_and_not1_b32 s1, s18, exec_lo
	s_and_b32 s18, s19, exec_lo
	s_or_b32 s18, s1, s18
	s_and_saveexec_b32 s21, s22
	s_cbranch_execz .LBB1115_1285
; %bb.1289:                             ;   in Loop: Header=BB1115_1286 Depth=1
	v_add_nc_u64_e32 v[52:53], -1, v[52:53]
	v_add_nc_u64_e32 v[48:49], 2, v[48:49]
	v_add_nc_u64_e32 v[50:51], 2, v[50:51]
	s_and_not1_b32 s18, s18, exec_lo
	s_delay_alu instid0(VALU_DEP_3)
	v_cmp_eq_u64_e64 s1, 0, v[52:53]
	s_or_not1_b32 s20, s1, exec_lo
	s_branch .LBB1115_1285
.LBB1115_1290:
	s_or_b32 exec_lo, exec_lo, s23
	s_xor_b32 s9, s24, -1
	s_and_not1_b32 s19, s19, exec_lo
	s_and_b32 s9, s9, exec_lo
	s_delay_alu instid0(SALU_CYCLE_1)
	s_or_b32 s19, s19, s9
.LBB1115_1291:
	s_or_b32 exec_lo, exec_lo, s22
	s_delay_alu instid0(SALU_CYCLE_1)
	s_or_not1_b32 s19, s19, exec_lo
.LBB1115_1292:
	s_or_b32 exec_lo, exec_lo, s21
	v_dual_cndmask_b32 v31, v98, v96, s19 :: v_dual_cndmask_b32 v53, v97, v114, s19
	v_dual_cndmask_b32 v17, v17, v39, s20 :: v_dual_cndmask_b32 v15, v15, v37, s18
	;; [unrolled: 1-line block ×3, first 2 shown]
	s_delay_alu instid0(VALU_DEP_3) | instskip(SKIP_2) | instid1(VALU_DEP_3)
	v_dual_add_nc_u32 v52, 1, v31 :: v_dual_cndmask_b32 v16, v16, v38, s20
	v_dual_cndmask_b32 v20, v20, v34, s17 :: v_dual_cndmask_b32 v19, v19, v33, s16
	v_dual_cndmask_b32 v18, v18, v32, s16 :: v_dual_cndmask_b32 v25, v23, v25, s11
	v_add_min_u32_e64 v31, v53, -1, v52
	v_dual_cndmask_b32 v24, v22, v24, s11 :: v_dual_cndmask_b32 v23, v13, v11, s10
	v_dual_cndmask_b32 v22, v12, v10, s10 :: v_dual_cndmask_b32 v11, v49, v51, s19
	s_delay_alu instid0(VALU_DEP_3)
	v_lshl_add_u32 v30, v31, 3, v30
	v_cndmask_b32_e64 v10, v48, v50, s19
	s_mov_b32 s10, exec_lo
	ds_load_b64 v[30:31], v30
	s_wait_dscnt 0x0
	v_dual_cndmask_b32 v32, v52, v98, s19 :: v_dual_cndmask_b32 v13, v51, v31, s19
	v_cndmask_b32_e64 v12, v50, v30, s19
	s_delay_alu instid0(VALU_DEP_2)
	v_cmpx_lt_u32_e64 v32, v97
	s_cbranch_execz .LBB1115_1312
; %bb.1293:
	v_dual_cndmask_b32 v32, v96, v52, s19 :: v_dual_cndmask_b32 v31, v31, v49, s19
	s_delay_alu instid0(VALU_DEP_1) | instskip(NEXT) | instid1(VALU_DEP_1)
	v_cmp_ge_u32_e64 s9, v32, v114
	v_dual_cndmask_b32 v30, v30, v48, s19 :: v_dual_cndmask_b32 v33, v13, v31, s9
	s_delay_alu instid0(VALU_DEP_1) | instskip(SKIP_1) | instid1(SALU_CYCLE_1)
	v_cndmask_b32_e64 v32, v12, v30, s9
	s_nor_b32 s9, s9, s8
	s_and_saveexec_b32 s11, s9
	s_cbranch_execz .LBB1115_1311
; %bb.1294:
	v_mul_u64_e32 v[32:33], v[12:13], v[6:7]
	v_mul_u64_e32 v[34:35], v[30:31], v[6:7]
	v_mov_b64_e32 v[36:37], v[6:7]
	s_mov_b32 s16, 0
                                        ; implicit-def: $sgpr17
                                        ; implicit-def: $sgpr18
                                        ; implicit-def: $sgpr21
	s_delay_alu instid0(VALU_DEP_3) | instskip(NEXT) | instid1(VALU_DEP_3)
	v_lshl_add_u64 v[32:33], v[32:33], 1, v[8:9]
	v_lshl_add_u64 v[34:35], v[34:35], 1, v[8:9]
	s_branch .LBB1115_1296
.LBB1115_1295:                          ;   in Loop: Header=BB1115_1296 Depth=1
	s_or_b32 exec_lo, exec_lo, s21
	s_delay_alu instid0(SALU_CYCLE_1) | instskip(SKIP_4) | instid1(SALU_CYCLE_1)
	s_and_b32 s9, exec_lo, s20
	s_mov_b32 s21, s19
	s_or_b32 s16, s9, s16
	s_and_not1_b32 s9, s17, exec_lo
	s_and_b32 s17, s18, exec_lo
	s_or_b32 s17, s9, s17
	s_and_not1_b32 exec_lo, exec_lo, s16
	s_cbranch_execz .LBB1115_1310
.LBB1115_1296:                          ; =>This Inner Loop Header: Depth=1
	flat_load_u16 v38, v[34:35]
	flat_load_u16 v39, v[32:33]
	s_mov_b32 s20, -1
	s_mov_b32 s22, 0
	s_mov_b32 s19, -1
	s_mov_b32 s23, exec_lo
	s_wait_loadcnt_dscnt 0x0
	v_dual_lshlrev_b32 v38, 16, v38 :: v_dual_lshlrev_b32 v39, 16, v39
	s_delay_alu instid0(VALU_DEP_1)
	v_cmpx_nlt_f32_e32 v38, v39
; %bb.1297:                             ;   in Loop: Header=BB1115_1296 Depth=1
	v_cmp_ngt_f32_e64 s9, v38, v39
	s_and_b32 s19, s9, s21
	s_and_b32 s22, s9, exec_lo
	s_or_not1_b32 s19, s19, exec_lo
; %bb.1298:                             ;   in Loop: Header=BB1115_1296 Depth=1
	s_or_b32 exec_lo, exec_lo, s23
	s_delay_alu instid0(SALU_CYCLE_1) | instskip(SKIP_1) | instid1(SALU_CYCLE_1)
	s_and_not1_b32 s9, s18, exec_lo
	s_and_b32 s18, s19, exec_lo
	s_or_b32 s18, s9, s18
	s_and_saveexec_b32 s21, s22
	s_cbranch_execz .LBB1115_1295
; %bb.1299:                             ;   in Loop: Header=BB1115_1296 Depth=1
	v_add_nc_u64_e32 v[36:37], -1, v[36:37]
	v_add_nc_u64_e32 v[32:33], 2, v[32:33]
	v_add_nc_u64_e32 v[34:35], 2, v[34:35]
	s_and_not1_b32 s18, s18, exec_lo
	s_delay_alu instid0(VALU_DEP_3)
	v_cmp_eq_u64_e64 s9, 0, v[36:37]
	s_or_not1_b32 s20, s9, exec_lo
	s_branch .LBB1115_1295
.LBB1115_1300:
	s_or_b32 exec_lo, exec_lo, s16
	s_xor_b32 s1, s17, -1
	s_and_not1_b32 s12, s12, exec_lo
	s_and_b32 s1, s1, exec_lo
	s_delay_alu instid0(SALU_CYCLE_1)
	s_or_b32 s12, s12, s1
.LBB1115_1301:
	s_or_b32 exec_lo, exec_lo, s15
	s_delay_alu instid0(SALU_CYCLE_1)
	s_or_not1_b32 s12, s12, exec_lo
.LBB1115_1302:
	s_or_b32 exec_lo, exec_lo, s14
	v_dual_cndmask_b32 v23, v87, v85, s12 :: v_dual_cndmask_b32 v49, v86, v103, s12
	v_dual_cndmask_b32 v13, v13, v35, s13 :: v_dual_cndmask_b32 v11, v11, v33, s11
	;; [unrolled: 1-line block ×3, first 2 shown]
	s_delay_alu instid0(VALU_DEP_3) | instskip(SKIP_2) | instid1(VALU_DEP_3)
	v_dual_add_nc_u32 v48, 1, v23 :: v_dual_cndmask_b32 v12, v12, v34, s13
	v_dual_cndmask_b32 v16, v16, v30, s7 :: v_dual_cndmask_b32 v15, v15, v25, s6
	v_dual_cndmask_b32 v14, v14, v24, s6 :: v_dual_cndmask_b32 v21, v19, v21, s3
	v_add_min_u32_e64 v23, v49, -1, v48
	v_dual_cndmask_b32 v20, v18, v20, s3 :: v_dual_cndmask_b32 v19, v3, v1, s2
	v_dual_cndmask_b32 v18, v2, v0, s2 :: v_dual_cndmask_b32 v24, v48, v87, s12
	s_delay_alu instid0(VALU_DEP_3)
	v_lshl_add_u32 v22, v23, 3, v22
	v_dual_cndmask_b32 v1, v37, v39, s12 :: v_dual_cndmask_b32 v0, v36, v38, s12
	s_mov_b32 s2, exec_lo
	ds_load_b64 v[22:23], v22
	s_wait_dscnt 0x0
	v_dual_cndmask_b32 v3, v39, v23, s12 :: v_dual_cndmask_b32 v2, v38, v22, s12
	v_cmpx_lt_u32_e64 v24, v86
	s_cbranch_execz .LBB1115_1431
; %bb.1303:
	v_dual_cndmask_b32 v24, v85, v48, s12 :: v_dual_cndmask_b32 v23, v23, v37, s12
	s_delay_alu instid0(VALU_DEP_1) | instskip(NEXT) | instid1(VALU_DEP_1)
	v_cmp_ge_u32_e64 s1, v24, v103
	v_dual_cndmask_b32 v22, v22, v36, s12 :: v_dual_cndmask_b32 v25, v3, v23, s1
	s_delay_alu instid0(VALU_DEP_1) | instskip(SKIP_1) | instid1(SALU_CYCLE_1)
	v_cndmask_b32_e64 v24, v2, v22, s1
	s_nor_b32 s1, s1, s0
	s_and_saveexec_b32 s3, s1
	s_cbranch_execz .LBB1115_1430
; %bb.1304:
	v_mul_u64_e32 v[24:25], v[2:3], v[6:7]
	v_mul_u64_e32 v[30:31], v[22:23], v[6:7]
	v_mov_b64_e32 v[32:33], v[6:7]
	s_mov_b32 s6, 0
                                        ; implicit-def: $sgpr7
                                        ; implicit-def: $sgpr11
                                        ; implicit-def: $sgpr14
	s_delay_alu instid0(VALU_DEP_3) | instskip(NEXT) | instid1(VALU_DEP_3)
	v_lshl_add_u64 v[24:25], v[24:25], 1, v[8:9]
	v_lshl_add_u64 v[30:31], v[30:31], 1, v[8:9]
	s_branch .LBB1115_1306
.LBB1115_1305:                          ;   in Loop: Header=BB1115_1306 Depth=1
	s_or_b32 exec_lo, exec_lo, s14
	s_delay_alu instid0(SALU_CYCLE_1) | instskip(SKIP_4) | instid1(SALU_CYCLE_1)
	s_and_b32 s1, exec_lo, s13
	s_mov_b32 s14, s12
	s_or_b32 s6, s1, s6
	s_and_not1_b32 s1, s7, exec_lo
	s_and_b32 s7, s11, exec_lo
	s_or_b32 s7, s1, s7
	s_and_not1_b32 exec_lo, exec_lo, s6
	s_cbranch_execz .LBB1115_1429
.LBB1115_1306:                          ; =>This Inner Loop Header: Depth=1
	flat_load_u16 v34, v[30:31]
	flat_load_u16 v35, v[24:25]
	s_mov_b32 s13, -1
	s_mov_b32 s15, 0
	s_mov_b32 s12, -1
	s_mov_b32 s16, exec_lo
	s_wait_loadcnt_dscnt 0x0
	v_dual_lshlrev_b32 v34, 16, v34 :: v_dual_lshlrev_b32 v35, 16, v35
	s_delay_alu instid0(VALU_DEP_1)
	v_cmpx_nlt_f32_e32 v34, v35
; %bb.1307:                             ;   in Loop: Header=BB1115_1306 Depth=1
	v_cmp_ngt_f32_e64 s1, v34, v35
	s_and_b32 s12, s1, s14
	s_and_b32 s15, s1, exec_lo
	s_or_not1_b32 s12, s12, exec_lo
; %bb.1308:                             ;   in Loop: Header=BB1115_1306 Depth=1
	s_or_b32 exec_lo, exec_lo, s16
	s_delay_alu instid0(SALU_CYCLE_1) | instskip(SKIP_1) | instid1(SALU_CYCLE_1)
	s_and_not1_b32 s1, s11, exec_lo
	s_and_b32 s11, s12, exec_lo
	s_or_b32 s11, s1, s11
	s_and_saveexec_b32 s14, s15
	s_cbranch_execz .LBB1115_1305
; %bb.1309:                             ;   in Loop: Header=BB1115_1306 Depth=1
	v_add_nc_u64_e32 v[32:33], -1, v[32:33]
	v_add_nc_u64_e32 v[24:25], 2, v[24:25]
	v_add_nc_u64_e32 v[30:31], 2, v[30:31]
	s_and_not1_b32 s11, s11, exec_lo
	s_delay_alu instid0(VALU_DEP_3)
	v_cmp_eq_u64_e64 s1, 0, v[32:33]
	s_or_not1_b32 s13, s1, exec_lo
	s_branch .LBB1115_1305
.LBB1115_1310:
	s_or_b32 exec_lo, exec_lo, s16
	v_dual_cndmask_b32 v33, v13, v31, s17 :: v_dual_cndmask_b32 v32, v12, v30, s17
.LBB1115_1311:
	s_or_b32 exec_lo, exec_lo, s11
	s_delay_alu instid0(VALU_DEP_1)
	v_mov_b64_e32 v[12:13], v[32:33]
.LBB1115_1312:
	s_or_b32 exec_lo, exec_lo, s10
.LBB1115_1313:
	s_delay_alu instid0(SALU_CYCLE_1)
	s_or_b32 exec_lo, exec_lo, s15
	s_movk_i32 s16, 0x80
	s_mov_b32 s15, exec_lo
	; wave barrier
	s_wait_dscnt 0x0
	s_barrier_signal -1
	s_barrier_wait -1
	v_cmpx_lt_u32_e32 0x80, v0
	s_cbranch_execz .LBB1115_1413
; %bb.1314:
	v_dual_lshlrev_b32 v33, 3, v28 :: v_dual_mov_b32 v31, 0
	s_mov_b32 s17, 0
	s_delay_alu instid0(VALU_DEP_1)
	v_dual_add_nc_u32 v50, 8, v33 :: v_dual_add_nc_u32 v51, 16, v33
	v_dual_add_nc_u32 v52, 24, v33 :: v_dual_add_nc_u32 v53, 32, v33
	;; [unrolled: 1-line block ×3, first 2 shown]
	v_add_nc_u32_e32 v64, 56, v33
	s_branch .LBB1115_1319
.LBB1115_1315:                          ;   in Loop: Header=BB1115_1319 Depth=1
	s_or_b32 exec_lo, exec_lo, s26
	v_dual_cndmask_b32 v15, v13, v65, s27 :: v_dual_cndmask_b32 v14, v12, v115, s27
.LBB1115_1316:                          ;   in Loop: Header=BB1115_1319 Depth=1
	s_or_b32 exec_lo, exec_lo, s25
	s_delay_alu instid0(VALU_DEP_1)
	v_mov_b64_e32 v[12:13], v[14:15]
.LBB1115_1317:                          ;   in Loop: Header=BB1115_1319 Depth=1
	s_or_b32 exec_lo, exec_lo, s24
	v_dual_cndmask_b32 v17, v99, v101, s23 :: v_dual_cndmask_b32 v16, v100, v102, s23
	v_dual_cndmask_b32 v15, v49, v97, s21 :: v_dual_cndmask_b32 v14, v96, v98, s21
	;; [unrolled: 1-line block ×6, first 2 shown]
	v_cndmask_b32_e64 v22, v22, v10, s10
	v_cndmask_b32_e64 v10, v112, v114, s22
.LBB1115_1318:                          ;   in Loop: Header=BB1115_1319 Depth=1
	s_or_b32 exec_lo, exec_lo, s18
	v_cmp_ge_u32_e64 s9, s16, v0
	s_barrier_signal -1
	s_barrier_wait -1
	s_or_b32 s17, s9, s17
	s_delay_alu instid0(SALU_CYCLE_1)
	s_and_not1_b32 exec_lo, exec_lo, s17
	s_cbranch_execz .LBB1115_1412
.LBB1115_1319:                          ; =>This Loop Header: Depth=1
                                        ;     Child Loop BB1115_1323 Depth 2
                                        ;       Child Loop BB1115_1326 Depth 3
                                        ;     Child Loop BB1115_1339 Depth 2
                                        ;     Child Loop BB1115_1348 Depth 2
	;; [unrolled: 1-line block ×8, first 2 shown]
	s_mov_b32 s9, s16
	s_lshl_b32 s16, s16, 1
	s_mov_b32 s18, exec_lo
	s_sub_co_i32 s10, 0, s16
	ds_store_b64 v33, v[22:23]
	v_and_b32_e32 v96, s10, v28
	s_add_co_i32 s10, s16, -1
	ds_store_b64 v50, v[24:25]
	ds_store_b64 v51, v[18:19]
	;; [unrolled: 1-line block ×3, first 2 shown]
	v_and_b32_e32 v32, s10, v28
	ds_store_b64 v53, v[14:15]
	ds_store_b64 v54, v[16:17]
	;; [unrolled: 1-line block ×4, first 2 shown]
	v_add_min_u32_e64 v30, v96, s9, v0
	s_wait_dscnt 0x0
	s_barrier_signal -1
	v_min_u32_e32 v97, v32, v0
	s_barrier_wait -1
	v_add_min_u32_e64 v65, v30, s9, v0
	s_delay_alu instid0(VALU_DEP_1) | instskip(NEXT) | instid1(VALU_DEP_1)
	v_dual_sub_nc_u32 v32, v65, v30 :: v_dual_sub_nc_u32 v34, v30, v96
	v_sub_nc_u32_e64 v98, v97, v32 clamp
	s_delay_alu instid0(VALU_DEP_2) | instskip(NEXT) | instid1(VALU_DEP_1)
	v_min_u32_e32 v99, v97, v34
	v_cmpx_lt_u32_e64 v98, v99
	s_cbranch_execz .LBB1115_1331
; %bb.1320:                             ;   in Loop: Header=BB1115_1319 Depth=1
	s_mov_b64 s[10:11], src_shared_base
	s_mov_b32 s10, 0
	v_lshlrev_b32_e32 v32, 3, v96
	v_lshl_add_u64 v[34:35], v[30:31], 3, s[10:11]
	s_branch .LBB1115_1323
.LBB1115_1321:                          ;   in Loop: Header=BB1115_1323 Depth=2
	s_or_b32 exec_lo, exec_lo, s19
	s_delay_alu instid0(SALU_CYCLE_1)
	s_and_b32 s9, s20, exec_lo
.LBB1115_1322:                          ;   in Loop: Header=BB1115_1323 Depth=2
	s_or_b32 exec_lo, exec_lo, s11
	s_delay_alu instid0(VALU_DEP_1) | instskip(NEXT) | instid1(VALU_DEP_1)
	v_dual_add_nc_u32 v36, 1, v35 :: v_dual_cndmask_b32 v99, v99, v35, s9
	v_cndmask_b32_e64 v98, v36, v98, s9
	s_delay_alu instid0(VALU_DEP_1) | instskip(SKIP_1) | instid1(SALU_CYCLE_1)
	v_cmp_ge_u32_e64 s9, v98, v99
	s_or_b32 s10, s9, s10
	s_and_not1_b32 exec_lo, exec_lo, s10
	s_cbranch_execz .LBB1115_1330
.LBB1115_1323:                          ;   Parent Loop BB1115_1319 Depth=1
                                        ; =>  This Loop Header: Depth=2
                                        ;       Child Loop BB1115_1326 Depth 3
	v_add_nc_u32_e32 v35, v99, v98
	s_mov_b32 s9, 0
	s_delay_alu instid0(VALU_DEP_1)
	v_lshrrev_b32_e32 v35, 1, v35
	s_and_saveexec_b32 s11, s7
	s_cbranch_execz .LBB1115_1322
; %bb.1324:                             ;   in Loop: Header=BB1115_1323 Depth=2
	s_delay_alu instid0(VALU_DEP_1) | instskip(SKIP_2) | instid1(VALU_DEP_2)
	v_xad_u32 v36, v35, -1, v97
	v_lshl_add_u32 v37, v35, 3, v32
	s_mov_b32 s19, 0
                                        ; implicit-def: $sgpr20
                                        ; implicit-def: $sgpr21
                                        ; implicit-def: $sgpr24
	v_lshl_add_u32 v36, v36, 3, v34
	ds_load_b64 v[48:49], v37
	ds_load_b64 v[100:101], v36
	s_wait_dscnt 0x1
	v_mad_nc_u64_u32 v[36:37], v2, v48, v[8:9]
	s_wait_dscnt 0x0
	v_mad_nc_u64_u32 v[38:39], v2, v100, v[8:9]
	s_delay_alu instid0(VALU_DEP_2) | instskip(NEXT) | instid1(VALU_DEP_2)
	v_mad_u32 v37, v3, v48, v37
	v_mad_u32 v39, v3, v100, v39
	s_delay_alu instid0(VALU_DEP_2) | instskip(NEXT) | instid1(VALU_DEP_2)
	v_mad_u32 v37, v2, v49, v37
	v_mad_u32 v39, v2, v101, v39
	v_mov_b64_e32 v[48:49], v[6:7]
	s_branch .LBB1115_1326
.LBB1115_1325:                          ;   in Loop: Header=BB1115_1326 Depth=3
	s_or_b32 exec_lo, exec_lo, s24
	s_delay_alu instid0(SALU_CYCLE_1) | instskip(SKIP_4) | instid1(SALU_CYCLE_1)
	s_and_b32 s9, exec_lo, s23
	s_mov_b32 s24, s22
	s_or_b32 s19, s9, s19
	s_and_not1_b32 s9, s20, exec_lo
	s_and_b32 s20, s21, exec_lo
	s_or_b32 s20, s9, s20
	s_and_not1_b32 exec_lo, exec_lo, s19
	s_cbranch_execz .LBB1115_1321
.LBB1115_1326:                          ;   Parent Loop BB1115_1319 Depth=1
                                        ;     Parent Loop BB1115_1323 Depth=2
                                        ; =>    This Inner Loop Header: Depth=3
	flat_load_u16 v100, v[38:39]
	flat_load_u16 v101, v[36:37]
	s_mov_b32 s23, -1
	s_mov_b32 s25, 0
	s_mov_b32 s22, -1
	s_mov_b32 s26, exec_lo
	s_wait_loadcnt_dscnt 0x0
	v_dual_lshlrev_b32 v100, 16, v100 :: v_dual_lshlrev_b32 v101, 16, v101
	s_delay_alu instid0(VALU_DEP_1)
	v_cmpx_nlt_f32_e32 v100, v101
; %bb.1327:                             ;   in Loop: Header=BB1115_1326 Depth=3
	v_cmp_ngt_f32_e64 s9, v100, v101
	s_and_b32 s22, s9, s24
	s_and_b32 s25, s9, exec_lo
	s_or_not1_b32 s22, s22, exec_lo
; %bb.1328:                             ;   in Loop: Header=BB1115_1326 Depth=3
	s_or_b32 exec_lo, exec_lo, s26
	s_delay_alu instid0(SALU_CYCLE_1) | instskip(SKIP_1) | instid1(SALU_CYCLE_1)
	s_and_not1_b32 s9, s21, exec_lo
	s_and_b32 s21, s22, exec_lo
	s_or_b32 s21, s9, s21
	s_and_saveexec_b32 s24, s25
	s_cbranch_execz .LBB1115_1325
; %bb.1329:                             ;   in Loop: Header=BB1115_1326 Depth=3
	v_add_nc_u64_e32 v[48:49], -1, v[48:49]
	v_add_nc_u64_e32 v[36:37], 2, v[36:37]
	v_add_nc_u64_e32 v[38:39], 2, v[38:39]
	s_and_not1_b32 s21, s21, exec_lo
	s_delay_alu instid0(VALU_DEP_3)
	v_cmp_eq_u64_e64 s9, 0, v[48:49]
	s_or_not1_b32 s23, s9, exec_lo
	s_branch .LBB1115_1325
.LBB1115_1330:                          ;   in Loop: Header=BB1115_1319 Depth=1
	s_or_b32 exec_lo, exec_lo, s10
.LBB1115_1331:                          ;   in Loop: Header=BB1115_1319 Depth=1
	s_delay_alu instid0(SALU_CYCLE_1) | instskip(SKIP_1) | instid1(VALU_DEP_1)
	s_or_b32 exec_lo, exec_lo, s18
	v_dual_sub_nc_u32 v34, v97, v98 :: v_dual_add_nc_u32 v32, v98, v96
	v_add_nc_u32_e32 v34, v34, v30
	s_delay_alu instid0(VALU_DEP_2) | instskip(NEXT) | instid1(VALU_DEP_2)
	v_cmp_le_u32_e64 s9, v32, v30
	v_cmp_le_u32_e64 s10, v34, v65
	s_or_b32 s9, s9, s10
	s_delay_alu instid0(SALU_CYCLE_1)
	s_and_saveexec_b32 s18, s9
	s_cbranch_execz .LBB1115_1318
; %bb.1332:                             ;   in Loop: Header=BB1115_1319 Depth=1
	v_cmp_ge_u32_e64 s9, v32, v30
	s_mov_b32 s11, exec_lo
                                        ; implicit-def: $vgpr10_vgpr11
	v_cmpx_lt_u32_e64 v32, v30
; %bb.1333:                             ;   in Loop: Header=BB1115_1319 Depth=1
	v_lshlrev_b32_e32 v10, 3, v32
	ds_load_b64 v[10:11], v10
; %bb.1334:                             ;   in Loop: Header=BB1115_1319 Depth=1
	s_or_b32 exec_lo, exec_lo, s11
	v_cmp_ge_u32_e64 s10, v34, v65
	s_mov_b32 s19, exec_lo
                                        ; implicit-def: $vgpr22_vgpr23
	v_cmpx_lt_u32_e64 v34, v65
; %bb.1335:                             ;   in Loop: Header=BB1115_1319 Depth=1
	v_lshlrev_b32_e32 v12, 3, v34
	ds_load_b64 v[22:23], v12
; %bb.1336:                             ;   in Loop: Header=BB1115_1319 Depth=1
	s_or_b32 exec_lo, exec_lo, s19
	s_or_b32 s11, s9, s10
	s_xor_b32 s9, s9, -1
	s_nor_b32 s19, s11, s8
	s_or_b32 s10, s10, s9
	s_and_saveexec_b32 s11, s19
	s_cbranch_execz .LBB1115_1344
; %bb.1337:                             ;   in Loop: Header=BB1115_1319 Depth=1
	s_wait_dscnt 0x0
	v_mad_nc_u64_u32 v[12:13], v2, v10, v[8:9]
	v_mad_nc_u64_u32 v[14:15], v2, v22, v[8:9]
	v_mov_b64_e32 v[16:17], v[6:7]
	s_mov_b32 s19, 0
                                        ; implicit-def: $sgpr20
                                        ; implicit-def: $sgpr21
                                        ; implicit-def: $sgpr24
	s_delay_alu instid0(VALU_DEP_3) | instskip(NEXT) | instid1(VALU_DEP_3)
	v_mad_u32 v13, v3, v10, v13
	v_mad_u32 v15, v3, v22, v15
	s_delay_alu instid0(VALU_DEP_2) | instskip(NEXT) | instid1(VALU_DEP_2)
	v_mad_u32 v13, v2, v11, v13
	v_mad_u32 v15, v2, v23, v15
	s_branch .LBB1115_1339
.LBB1115_1338:                          ;   in Loop: Header=BB1115_1339 Depth=2
	s_or_b32 exec_lo, exec_lo, s24
	s_delay_alu instid0(SALU_CYCLE_1) | instskip(SKIP_4) | instid1(SALU_CYCLE_1)
	s_and_b32 s9, exec_lo, s23
	s_mov_b32 s24, s22
	s_or_b32 s19, s9, s19
	s_and_not1_b32 s9, s20, exec_lo
	s_and_b32 s20, s21, exec_lo
	s_or_b32 s20, s9, s20
	s_and_not1_b32 exec_lo, exec_lo, s19
	s_cbranch_execz .LBB1115_1343
.LBB1115_1339:                          ;   Parent Loop BB1115_1319 Depth=1
                                        ; =>  This Inner Loop Header: Depth=2
	flat_load_u16 v18, v[14:15]
	flat_load_u16 v19, v[12:13]
	s_mov_b32 s23, -1
	s_mov_b32 s25, 0
	s_mov_b32 s22, -1
	s_mov_b32 s26, exec_lo
	s_wait_loadcnt_dscnt 0x0
	v_dual_lshlrev_b32 v18, 16, v18 :: v_dual_lshlrev_b32 v19, 16, v19
	s_delay_alu instid0(VALU_DEP_1)
	v_cmpx_nlt_f32_e32 v18, v19
; %bb.1340:                             ;   in Loop: Header=BB1115_1339 Depth=2
	v_cmp_ngt_f32_e64 s9, v18, v19
	s_and_b32 s22, s9, s24
	s_and_b32 s25, s9, exec_lo
	s_or_not1_b32 s22, s22, exec_lo
; %bb.1341:                             ;   in Loop: Header=BB1115_1339 Depth=2
	s_or_b32 exec_lo, exec_lo, s26
	s_delay_alu instid0(SALU_CYCLE_1) | instskip(SKIP_1) | instid1(SALU_CYCLE_1)
	s_and_not1_b32 s9, s21, exec_lo
	s_and_b32 s21, s22, exec_lo
	s_or_b32 s21, s9, s21
	s_and_saveexec_b32 s24, s25
	s_cbranch_execz .LBB1115_1338
; %bb.1342:                             ;   in Loop: Header=BB1115_1339 Depth=2
	v_add_nc_u64_e32 v[16:17], -1, v[16:17]
	v_add_nc_u64_e32 v[12:13], 2, v[12:13]
	v_add_nc_u64_e32 v[14:15], 2, v[14:15]
	s_and_not1_b32 s21, s21, exec_lo
	s_delay_alu instid0(VALU_DEP_3)
	v_cmp_eq_u64_e64 s9, 0, v[16:17]
	s_or_not1_b32 s23, s9, exec_lo
	s_branch .LBB1115_1338
.LBB1115_1343:                          ;   in Loop: Header=BB1115_1319 Depth=1
	s_or_b32 exec_lo, exec_lo, s19
	s_xor_b32 s9, s20, -1
	s_and_not1_b32 s10, s10, exec_lo
	s_and_b32 s9, s9, exec_lo
	s_delay_alu instid0(SALU_CYCLE_1)
	s_or_b32 s10, s10, s9
.LBB1115_1344:                          ;   in Loop: Header=BB1115_1319 Depth=1
	s_or_b32 exec_lo, exec_lo, s11
	v_dual_cndmask_b32 v12, v34, v32, s10 :: v_dual_cndmask_b32 v13, v65, v30, s10
	s_mov_b32 s19, -1
	s_mov_b32 s11, -1
	s_mov_b32 s20, exec_lo
	s_delay_alu instid0(VALU_DEP_1) | instskip(NEXT) | instid1(VALU_DEP_1)
	v_add_nc_u32_e32 v14, 1, v12
	v_add_min_u32_e64 v12, v13, -1, v14
	s_delay_alu instid0(VALU_DEP_1)
	v_lshlrev_b32_e32 v12, 3, v12
	ds_load_b64 v[12:13], v12
	v_cndmask_b32_e64 v18, v14, v34, s10
	s_wait_dscnt 0x0
	v_dual_cndmask_b32 v19, v32, v14, s10 :: v_dual_cndmask_b32 v25, v11, v13, s10
	v_dual_cndmask_b32 v24, v13, v23, s10 :: v_dual_cndmask_b32 v32, v12, v22, s10
	v_cndmask_b32_e64 v34, v10, v12, s10
	v_cmpx_lt_u32_e64 v18, v65
	s_cbranch_execz .LBB1115_1354
; %bb.1345:                             ;   in Loop: Header=BB1115_1319 Depth=1
	v_cmp_lt_u32_e64 s11, v19, v30
	s_and_b32 s9, s11, s14
	s_delay_alu instid0(SALU_CYCLE_1)
	s_and_saveexec_b32 s21, s9
	s_cbranch_execz .LBB1115_1353
; %bb.1346:                             ;   in Loop: Header=BB1115_1319 Depth=1
	v_mad_nc_u64_u32 v[12:13], v2, v34, v[8:9]
	v_mad_nc_u64_u32 v[14:15], v2, v32, v[8:9]
	v_mov_b64_e32 v[16:17], v[6:7]
	s_mov_b32 s22, 0
                                        ; implicit-def: $sgpr23
                                        ; implicit-def: $sgpr24
                                        ; implicit-def: $sgpr27
	s_delay_alu instid0(VALU_DEP_3) | instskip(NEXT) | instid1(VALU_DEP_3)
	v_mad_u32 v13, v3, v34, v13
	v_mad_u32 v15, v3, v32, v15
	s_delay_alu instid0(VALU_DEP_2) | instskip(NEXT) | instid1(VALU_DEP_2)
	v_mad_u32 v13, v2, v25, v13
	v_mad_u32 v15, v2, v24, v15
	s_branch .LBB1115_1348
.LBB1115_1347:                          ;   in Loop: Header=BB1115_1348 Depth=2
	s_or_b32 exec_lo, exec_lo, s27
	s_delay_alu instid0(SALU_CYCLE_1) | instskip(SKIP_4) | instid1(SALU_CYCLE_1)
	s_and_b32 s9, exec_lo, s26
	s_mov_b32 s27, s25
	s_or_b32 s22, s9, s22
	s_and_not1_b32 s9, s23, exec_lo
	s_and_b32 s23, s24, exec_lo
	s_or_b32 s23, s9, s23
	s_and_not1_b32 exec_lo, exec_lo, s22
	s_cbranch_execz .LBB1115_1352
.LBB1115_1348:                          ;   Parent Loop BB1115_1319 Depth=1
                                        ; =>  This Inner Loop Header: Depth=2
	flat_load_u16 v20, v[14:15]
	flat_load_u16 v21, v[12:13]
	s_mov_b32 s26, -1
	s_mov_b32 s28, 0
	s_mov_b32 s25, -1
	s_mov_b32 s29, exec_lo
	s_wait_loadcnt_dscnt 0x0
	v_dual_lshlrev_b32 v20, 16, v20 :: v_dual_lshlrev_b32 v21, 16, v21
	s_delay_alu instid0(VALU_DEP_1)
	v_cmpx_nlt_f32_e32 v20, v21
; %bb.1349:                             ;   in Loop: Header=BB1115_1348 Depth=2
	v_cmp_ngt_f32_e64 s9, v20, v21
	s_and_b32 s25, s9, s27
	s_and_b32 s28, s9, exec_lo
	s_or_not1_b32 s25, s25, exec_lo
; %bb.1350:                             ;   in Loop: Header=BB1115_1348 Depth=2
	s_or_b32 exec_lo, exec_lo, s29
	s_delay_alu instid0(SALU_CYCLE_1) | instskip(SKIP_1) | instid1(SALU_CYCLE_1)
	s_and_not1_b32 s9, s24, exec_lo
	s_and_b32 s24, s25, exec_lo
	s_or_b32 s24, s9, s24
	s_and_saveexec_b32 s27, s28
	s_cbranch_execz .LBB1115_1347
; %bb.1351:                             ;   in Loop: Header=BB1115_1348 Depth=2
	v_add_nc_u64_e32 v[16:17], -1, v[16:17]
	v_add_nc_u64_e32 v[12:13], 2, v[12:13]
	v_add_nc_u64_e32 v[14:15], 2, v[14:15]
	s_and_not1_b32 s24, s24, exec_lo
	s_delay_alu instid0(VALU_DEP_3)
	v_cmp_eq_u64_e64 s9, 0, v[16:17]
	s_or_not1_b32 s26, s9, exec_lo
	s_branch .LBB1115_1347
.LBB1115_1352:                          ;   in Loop: Header=BB1115_1319 Depth=1
	s_or_b32 exec_lo, exec_lo, s22
	s_xor_b32 s9, s23, -1
	s_and_not1_b32 s11, s11, exec_lo
	s_and_b32 s9, s9, exec_lo
	s_delay_alu instid0(SALU_CYCLE_1)
	s_or_b32 s11, s11, s9
.LBB1115_1353:                          ;   in Loop: Header=BB1115_1319 Depth=1
	s_or_b32 exec_lo, exec_lo, s21
	s_delay_alu instid0(SALU_CYCLE_1)
	s_or_not1_b32 s11, s11, exec_lo
.LBB1115_1354:                          ;   in Loop: Header=BB1115_1319 Depth=1
	s_or_b32 exec_lo, exec_lo, s20
	v_dual_cndmask_b32 v12, v18, v19, s11 :: v_dual_cndmask_b32 v13, v65, v30, s11
	s_mov_b32 s20, exec_lo
	s_delay_alu instid0(VALU_DEP_1) | instskip(NEXT) | instid1(VALU_DEP_1)
	v_add_nc_u32_e32 v14, 1, v12
	v_add_min_u32_e64 v12, v13, -1, v14
	s_delay_alu instid0(VALU_DEP_1)
	v_lshlrev_b32_e32 v12, 3, v12
	ds_load_b64 v[12:13], v12
	v_cndmask_b32_e64 v18, v14, v18, s11
	s_wait_dscnt 0x0
	v_dual_cndmask_b32 v19, v19, v14, s11 :: v_dual_cndmask_b32 v36, v12, v32, s11
	v_cndmask_b32_e64 v35, v13, v24, s11
	v_dual_cndmask_b32 v37, v25, v13, s11 :: v_dual_cndmask_b32 v38, v34, v12, s11
	v_cmpx_lt_u32_e64 v18, v65
	s_cbranch_execz .LBB1115_1364
; %bb.1355:                             ;   in Loop: Header=BB1115_1319 Depth=1
	v_cmp_lt_u32_e64 s19, v19, v30
	s_and_b32 s9, s19, s14
	s_delay_alu instid0(SALU_CYCLE_1)
	s_and_saveexec_b32 s21, s9
	s_cbranch_execz .LBB1115_1363
; %bb.1356:                             ;   in Loop: Header=BB1115_1319 Depth=1
	v_mad_nc_u64_u32 v[12:13], v2, v38, v[8:9]
	v_mad_nc_u64_u32 v[14:15], v2, v36, v[8:9]
	v_mov_b64_e32 v[16:17], v[6:7]
	s_mov_b32 s22, 0
                                        ; implicit-def: $sgpr23
                                        ; implicit-def: $sgpr24
                                        ; implicit-def: $sgpr27
	s_delay_alu instid0(VALU_DEP_3) | instskip(NEXT) | instid1(VALU_DEP_3)
	v_mad_u32 v13, v3, v38, v13
	v_mad_u32 v15, v3, v36, v15
	s_delay_alu instid0(VALU_DEP_2) | instskip(NEXT) | instid1(VALU_DEP_2)
	v_mad_u32 v13, v2, v37, v13
	v_mad_u32 v15, v2, v35, v15
	s_branch .LBB1115_1358
.LBB1115_1357:                          ;   in Loop: Header=BB1115_1358 Depth=2
	s_or_b32 exec_lo, exec_lo, s27
	s_delay_alu instid0(SALU_CYCLE_1) | instskip(SKIP_4) | instid1(SALU_CYCLE_1)
	s_and_b32 s9, exec_lo, s26
	s_mov_b32 s27, s25
	s_or_b32 s22, s9, s22
	s_and_not1_b32 s9, s23, exec_lo
	s_and_b32 s23, s24, exec_lo
	s_or_b32 s23, s9, s23
	s_and_not1_b32 exec_lo, exec_lo, s22
	s_cbranch_execz .LBB1115_1362
.LBB1115_1358:                          ;   Parent Loop BB1115_1319 Depth=1
                                        ; =>  This Inner Loop Header: Depth=2
	flat_load_u16 v20, v[14:15]
	flat_load_u16 v21, v[12:13]
	s_mov_b32 s26, -1
	s_mov_b32 s28, 0
	s_mov_b32 s25, -1
	s_mov_b32 s29, exec_lo
	s_wait_loadcnt_dscnt 0x0
	v_dual_lshlrev_b32 v20, 16, v20 :: v_dual_lshlrev_b32 v21, 16, v21
	s_delay_alu instid0(VALU_DEP_1)
	v_cmpx_nlt_f32_e32 v20, v21
; %bb.1359:                             ;   in Loop: Header=BB1115_1358 Depth=2
	v_cmp_ngt_f32_e64 s9, v20, v21
	s_and_b32 s25, s9, s27
	s_and_b32 s28, s9, exec_lo
	s_or_not1_b32 s25, s25, exec_lo
; %bb.1360:                             ;   in Loop: Header=BB1115_1358 Depth=2
	s_or_b32 exec_lo, exec_lo, s29
	s_delay_alu instid0(SALU_CYCLE_1) | instskip(SKIP_1) | instid1(SALU_CYCLE_1)
	s_and_not1_b32 s9, s24, exec_lo
	s_and_b32 s24, s25, exec_lo
	s_or_b32 s24, s9, s24
	s_and_saveexec_b32 s27, s28
	s_cbranch_execz .LBB1115_1357
; %bb.1361:                             ;   in Loop: Header=BB1115_1358 Depth=2
	v_add_nc_u64_e32 v[16:17], -1, v[16:17]
	v_add_nc_u64_e32 v[12:13], 2, v[12:13]
	v_add_nc_u64_e32 v[14:15], 2, v[14:15]
	s_and_not1_b32 s24, s24, exec_lo
	s_delay_alu instid0(VALU_DEP_3)
	v_cmp_eq_u64_e64 s9, 0, v[16:17]
	s_or_not1_b32 s26, s9, exec_lo
	s_branch .LBB1115_1357
.LBB1115_1362:                          ;   in Loop: Header=BB1115_1319 Depth=1
	s_or_b32 exec_lo, exec_lo, s22
	s_xor_b32 s9, s23, -1
	s_and_not1_b32 s19, s19, exec_lo
	s_and_b32 s9, s9, exec_lo
	s_delay_alu instid0(SALU_CYCLE_1)
	s_or_b32 s19, s19, s9
.LBB1115_1363:                          ;   in Loop: Header=BB1115_1319 Depth=1
	s_or_b32 exec_lo, exec_lo, s21
	s_delay_alu instid0(SALU_CYCLE_1)
	s_or_not1_b32 s19, s19, exec_lo
.LBB1115_1364:                          ;   in Loop: Header=BB1115_1319 Depth=1
	s_or_b32 exec_lo, exec_lo, s20
	v_dual_cndmask_b32 v12, v18, v19, s19 :: v_dual_cndmask_b32 v13, v65, v30, s19
	s_mov_b32 s21, -1
	s_mov_b32 s20, -1
	s_mov_b32 s22, exec_lo
	s_delay_alu instid0(VALU_DEP_1) | instskip(NEXT) | instid1(VALU_DEP_1)
	v_add_nc_u32_e32 v14, 1, v12
	v_add_min_u32_e64 v12, v13, -1, v14
	s_delay_alu instid0(VALU_DEP_1)
	v_lshlrev_b32_e32 v12, 3, v12
	ds_load_b64 v[12:13], v12
	v_cndmask_b32_e64 v18, v14, v18, s19
	s_wait_dscnt 0x0
	v_dual_cndmask_b32 v19, v19, v14, s19 :: v_dual_cndmask_b32 v39, v12, v36, s19
	v_cndmask_b32_e64 v20, v13, v35, s19
	v_dual_cndmask_b32 v21, v37, v13, s19 :: v_dual_cndmask_b32 v48, v38, v12, s19
	v_cmpx_lt_u32_e64 v18, v65
	s_cbranch_execz .LBB1115_1374
; %bb.1365:                             ;   in Loop: Header=BB1115_1319 Depth=1
	v_cmp_lt_u32_e64 s20, v19, v30
	s_and_b32 s9, s20, s14
	s_delay_alu instid0(SALU_CYCLE_1)
	s_and_saveexec_b32 s23, s9
	s_cbranch_execz .LBB1115_1373
; %bb.1366:                             ;   in Loop: Header=BB1115_1319 Depth=1
	v_mad_nc_u64_u32 v[12:13], v2, v48, v[8:9]
	v_mad_nc_u64_u32 v[14:15], v2, v39, v[8:9]
	v_mov_b64_e32 v[16:17], v[6:7]
	s_mov_b32 s24, 0
                                        ; implicit-def: $sgpr25
                                        ; implicit-def: $sgpr26
                                        ; implicit-def: $sgpr29
	s_delay_alu instid0(VALU_DEP_3) | instskip(NEXT) | instid1(VALU_DEP_3)
	v_mad_u32 v13, v3, v48, v13
	v_mad_u32 v15, v3, v39, v15
	s_delay_alu instid0(VALU_DEP_2) | instskip(NEXT) | instid1(VALU_DEP_2)
	v_mad_u32 v13, v2, v21, v13
	v_mad_u32 v15, v2, v20, v15
	s_branch .LBB1115_1368
.LBB1115_1367:                          ;   in Loop: Header=BB1115_1368 Depth=2
	s_or_b32 exec_lo, exec_lo, s29
	s_delay_alu instid0(SALU_CYCLE_1) | instskip(SKIP_4) | instid1(SALU_CYCLE_1)
	s_and_b32 s9, exec_lo, s28
	s_mov_b32 s29, s27
	s_or_b32 s24, s9, s24
	s_and_not1_b32 s9, s25, exec_lo
	s_and_b32 s25, s26, exec_lo
	s_or_b32 s25, s9, s25
	s_and_not1_b32 exec_lo, exec_lo, s24
	s_cbranch_execz .LBB1115_1372
.LBB1115_1368:                          ;   Parent Loop BB1115_1319 Depth=1
                                        ; =>  This Inner Loop Header: Depth=2
	flat_load_u16 v49, v[14:15]
	flat_load_u16 v96, v[12:13]
	s_mov_b32 s28, -1
	s_mov_b32 s40, 0
	s_mov_b32 s27, -1
	s_mov_b32 s41, exec_lo
	s_wait_loadcnt_dscnt 0x0
	v_dual_lshlrev_b32 v49, 16, v49 :: v_dual_lshlrev_b32 v96, 16, v96
	s_delay_alu instid0(VALU_DEP_1)
	v_cmpx_nlt_f32_e32 v49, v96
; %bb.1369:                             ;   in Loop: Header=BB1115_1368 Depth=2
	v_cmp_ngt_f32_e64 s9, v49, v96
	s_and_b32 s27, s9, s29
	s_and_b32 s40, s9, exec_lo
	s_or_not1_b32 s27, s27, exec_lo
; %bb.1370:                             ;   in Loop: Header=BB1115_1368 Depth=2
	s_or_b32 exec_lo, exec_lo, s41
	s_delay_alu instid0(SALU_CYCLE_1) | instskip(SKIP_1) | instid1(SALU_CYCLE_1)
	s_and_not1_b32 s9, s26, exec_lo
	s_and_b32 s26, s27, exec_lo
	s_or_b32 s26, s9, s26
	s_and_saveexec_b32 s29, s40
	s_cbranch_execz .LBB1115_1367
; %bb.1371:                             ;   in Loop: Header=BB1115_1368 Depth=2
	v_add_nc_u64_e32 v[16:17], -1, v[16:17]
	v_add_nc_u64_e32 v[12:13], 2, v[12:13]
	v_add_nc_u64_e32 v[14:15], 2, v[14:15]
	s_and_not1_b32 s26, s26, exec_lo
	s_delay_alu instid0(VALU_DEP_3)
	v_cmp_eq_u64_e64 s9, 0, v[16:17]
	s_or_not1_b32 s28, s9, exec_lo
	s_branch .LBB1115_1367
.LBB1115_1372:                          ;   in Loop: Header=BB1115_1319 Depth=1
	s_or_b32 exec_lo, exec_lo, s24
	s_xor_b32 s9, s25, -1
	s_and_not1_b32 s20, s20, exec_lo
	s_and_b32 s9, s9, exec_lo
	s_delay_alu instid0(SALU_CYCLE_1)
	s_or_b32 s20, s20, s9
.LBB1115_1373:                          ;   in Loop: Header=BB1115_1319 Depth=1
	s_or_b32 exec_lo, exec_lo, s23
	s_delay_alu instid0(SALU_CYCLE_1)
	s_or_not1_b32 s20, s20, exec_lo
.LBB1115_1374:                          ;   in Loop: Header=BB1115_1319 Depth=1
	s_or_b32 exec_lo, exec_lo, s22
	v_dual_cndmask_b32 v12, v18, v19, s20 :: v_dual_cndmask_b32 v13, v65, v30, s20
	s_mov_b32 s22, exec_lo
	s_delay_alu instid0(VALU_DEP_1) | instskip(NEXT) | instid1(VALU_DEP_1)
	v_add_nc_u32_e32 v14, 1, v12
	v_add_min_u32_e64 v12, v13, -1, v14
	s_delay_alu instid0(VALU_DEP_1)
	v_lshlrev_b32_e32 v12, 3, v12
	ds_load_b64 v[12:13], v12
	v_cndmask_b32_e64 v18, v14, v18, s20
	s_wait_dscnt 0x0
	v_dual_cndmask_b32 v19, v19, v14, s20 :: v_dual_cndmask_b32 v96, v12, v39, s20
	v_cndmask_b32_e64 v49, v13, v20, s20
	v_dual_cndmask_b32 v97, v21, v13, s20 :: v_dual_cndmask_b32 v98, v48, v12, s20
	v_cmpx_lt_u32_e64 v18, v65
	s_cbranch_execz .LBB1115_1384
; %bb.1375:                             ;   in Loop: Header=BB1115_1319 Depth=1
	v_cmp_lt_u32_e64 s21, v19, v30
	s_and_b32 s9, s21, s14
	s_delay_alu instid0(SALU_CYCLE_1)
	s_and_saveexec_b32 s23, s9
	s_cbranch_execz .LBB1115_1383
; %bb.1376:                             ;   in Loop: Header=BB1115_1319 Depth=1
	v_mad_nc_u64_u32 v[12:13], v2, v98, v[8:9]
	v_mad_nc_u64_u32 v[14:15], v2, v96, v[8:9]
	v_mov_b64_e32 v[16:17], v[6:7]
	s_mov_b32 s24, 0
                                        ; implicit-def: $sgpr25
                                        ; implicit-def: $sgpr26
                                        ; implicit-def: $sgpr29
	s_delay_alu instid0(VALU_DEP_3) | instskip(NEXT) | instid1(VALU_DEP_3)
	v_mad_u32 v13, v3, v98, v13
	v_mad_u32 v15, v3, v96, v15
	s_delay_alu instid0(VALU_DEP_2) | instskip(NEXT) | instid1(VALU_DEP_2)
	v_mad_u32 v13, v2, v97, v13
	v_mad_u32 v15, v2, v49, v15
	s_branch .LBB1115_1378
.LBB1115_1377:                          ;   in Loop: Header=BB1115_1378 Depth=2
	s_or_b32 exec_lo, exec_lo, s29
	s_delay_alu instid0(SALU_CYCLE_1) | instskip(SKIP_4) | instid1(SALU_CYCLE_1)
	s_and_b32 s9, exec_lo, s28
	s_mov_b32 s29, s27
	s_or_b32 s24, s9, s24
	s_and_not1_b32 s9, s25, exec_lo
	s_and_b32 s25, s26, exec_lo
	s_or_b32 s25, s9, s25
	s_and_not1_b32 exec_lo, exec_lo, s24
	s_cbranch_execz .LBB1115_1382
.LBB1115_1378:                          ;   Parent Loop BB1115_1319 Depth=1
                                        ; =>  This Inner Loop Header: Depth=2
	flat_load_u16 v99, v[14:15]
	flat_load_u16 v100, v[12:13]
	s_mov_b32 s28, -1
	s_mov_b32 s40, 0
	s_mov_b32 s27, -1
	s_mov_b32 s41, exec_lo
	s_wait_loadcnt_dscnt 0x0
	v_dual_lshlrev_b32 v99, 16, v99 :: v_dual_lshlrev_b32 v100, 16, v100
	s_delay_alu instid0(VALU_DEP_1)
	v_cmpx_nlt_f32_e32 v99, v100
; %bb.1379:                             ;   in Loop: Header=BB1115_1378 Depth=2
	v_cmp_ngt_f32_e64 s9, v99, v100
	s_and_b32 s27, s9, s29
	s_and_b32 s40, s9, exec_lo
	s_or_not1_b32 s27, s27, exec_lo
; %bb.1380:                             ;   in Loop: Header=BB1115_1378 Depth=2
	s_or_b32 exec_lo, exec_lo, s41
	s_delay_alu instid0(SALU_CYCLE_1) | instskip(SKIP_1) | instid1(SALU_CYCLE_1)
	s_and_not1_b32 s9, s26, exec_lo
	s_and_b32 s26, s27, exec_lo
	s_or_b32 s26, s9, s26
	s_and_saveexec_b32 s29, s40
	s_cbranch_execz .LBB1115_1377
; %bb.1381:                             ;   in Loop: Header=BB1115_1378 Depth=2
	v_add_nc_u64_e32 v[16:17], -1, v[16:17]
	v_add_nc_u64_e32 v[12:13], 2, v[12:13]
	v_add_nc_u64_e32 v[14:15], 2, v[14:15]
	s_and_not1_b32 s26, s26, exec_lo
	s_delay_alu instid0(VALU_DEP_3)
	v_cmp_eq_u64_e64 s9, 0, v[16:17]
	s_or_not1_b32 s28, s9, exec_lo
	s_branch .LBB1115_1377
.LBB1115_1382:                          ;   in Loop: Header=BB1115_1319 Depth=1
	s_or_b32 exec_lo, exec_lo, s24
	s_xor_b32 s9, s25, -1
	s_and_not1_b32 s21, s21, exec_lo
	s_and_b32 s9, s9, exec_lo
	s_delay_alu instid0(SALU_CYCLE_1)
	s_or_b32 s21, s21, s9
.LBB1115_1383:                          ;   in Loop: Header=BB1115_1319 Depth=1
	s_or_b32 exec_lo, exec_lo, s23
	s_delay_alu instid0(SALU_CYCLE_1)
	s_or_not1_b32 s21, s21, exec_lo
.LBB1115_1384:                          ;   in Loop: Header=BB1115_1319 Depth=1
	s_or_b32 exec_lo, exec_lo, s22
	v_dual_cndmask_b32 v12, v18, v19, s21 :: v_dual_cndmask_b32 v13, v65, v30, s21
	s_mov_b32 s22, -1
	s_mov_b32 s23, -1
	s_mov_b32 s24, exec_lo
	s_delay_alu instid0(VALU_DEP_1) | instskip(NEXT) | instid1(VALU_DEP_1)
	v_add_nc_u32_e32 v14, 1, v12
	v_add_min_u32_e64 v12, v13, -1, v14
	s_delay_alu instid0(VALU_DEP_1)
	v_lshlrev_b32_e32 v12, 3, v12
	ds_load_b64 v[12:13], v12
	v_cndmask_b32_e64 v18, v14, v18, s21
	s_wait_dscnt 0x0
	v_dual_cndmask_b32 v19, v19, v14, s21 :: v_dual_cndmask_b32 v100, v12, v96, s21
	v_cndmask_b32_e64 v99, v13, v49, s21
	v_dual_cndmask_b32 v101, v97, v13, s21 :: v_dual_cndmask_b32 v102, v98, v12, s21
	v_cmpx_lt_u32_e64 v18, v65
	s_cbranch_execz .LBB1115_1394
; %bb.1385:                             ;   in Loop: Header=BB1115_1319 Depth=1
	v_cmp_lt_u32_e64 s23, v19, v30
	s_and_b32 s9, s23, s14
	s_delay_alu instid0(SALU_CYCLE_1)
	s_and_saveexec_b32 s25, s9
	s_cbranch_execz .LBB1115_1393
; %bb.1386:                             ;   in Loop: Header=BB1115_1319 Depth=1
	v_mad_nc_u64_u32 v[12:13], v2, v102, v[8:9]
	v_mad_nc_u64_u32 v[14:15], v2, v100, v[8:9]
	v_mov_b64_e32 v[16:17], v[6:7]
	s_mov_b32 s26, 0
                                        ; implicit-def: $sgpr27
                                        ; implicit-def: $sgpr28
                                        ; implicit-def: $sgpr41
	s_delay_alu instid0(VALU_DEP_3) | instskip(NEXT) | instid1(VALU_DEP_3)
	v_mad_u32 v13, v3, v102, v13
	v_mad_u32 v15, v3, v100, v15
	s_delay_alu instid0(VALU_DEP_2) | instskip(NEXT) | instid1(VALU_DEP_2)
	v_mad_u32 v13, v2, v101, v13
	v_mad_u32 v15, v2, v99, v15
	s_branch .LBB1115_1388
.LBB1115_1387:                          ;   in Loop: Header=BB1115_1388 Depth=2
	s_or_b32 exec_lo, exec_lo, s41
	s_delay_alu instid0(SALU_CYCLE_1) | instskip(SKIP_4) | instid1(SALU_CYCLE_1)
	s_and_b32 s9, exec_lo, s40
	s_mov_b32 s41, s29
	s_or_b32 s26, s9, s26
	s_and_not1_b32 s9, s27, exec_lo
	s_and_b32 s27, s28, exec_lo
	s_or_b32 s27, s9, s27
	s_and_not1_b32 exec_lo, exec_lo, s26
	s_cbranch_execz .LBB1115_1392
.LBB1115_1388:                          ;   Parent Loop BB1115_1319 Depth=1
                                        ; =>  This Inner Loop Header: Depth=2
	flat_load_u16 v103, v[14:15]
	flat_load_u16 v112, v[12:13]
	s_mov_b32 s40, -1
	s_mov_b32 s42, 0
	s_mov_b32 s29, -1
	s_mov_b32 s43, exec_lo
	s_wait_loadcnt_dscnt 0x0
	v_dual_lshlrev_b32 v103, 16, v103 :: v_dual_lshlrev_b32 v112, 16, v112
	s_delay_alu instid0(VALU_DEP_1)
	v_cmpx_nlt_f32_e32 v103, v112
; %bb.1389:                             ;   in Loop: Header=BB1115_1388 Depth=2
	v_cmp_ngt_f32_e64 s9, v103, v112
	s_and_b32 s29, s9, s41
	s_and_b32 s42, s9, exec_lo
	s_or_not1_b32 s29, s29, exec_lo
; %bb.1390:                             ;   in Loop: Header=BB1115_1388 Depth=2
	s_or_b32 exec_lo, exec_lo, s43
	s_delay_alu instid0(SALU_CYCLE_1) | instskip(SKIP_1) | instid1(SALU_CYCLE_1)
	s_and_not1_b32 s9, s28, exec_lo
	s_and_b32 s28, s29, exec_lo
	s_or_b32 s28, s9, s28
	s_and_saveexec_b32 s41, s42
	s_cbranch_execz .LBB1115_1387
; %bb.1391:                             ;   in Loop: Header=BB1115_1388 Depth=2
	v_add_nc_u64_e32 v[16:17], -1, v[16:17]
	v_add_nc_u64_e32 v[12:13], 2, v[12:13]
	v_add_nc_u64_e32 v[14:15], 2, v[14:15]
	s_and_not1_b32 s28, s28, exec_lo
	s_delay_alu instid0(VALU_DEP_3)
	v_cmp_eq_u64_e64 s9, 0, v[16:17]
	s_or_not1_b32 s40, s9, exec_lo
	s_branch .LBB1115_1387
.LBB1115_1392:                          ;   in Loop: Header=BB1115_1319 Depth=1
	s_or_b32 exec_lo, exec_lo, s26
	s_xor_b32 s9, s27, -1
	s_and_not1_b32 s23, s23, exec_lo
	s_and_b32 s9, s9, exec_lo
	s_delay_alu instid0(SALU_CYCLE_1)
	s_or_b32 s23, s23, s9
.LBB1115_1393:                          ;   in Loop: Header=BB1115_1319 Depth=1
	s_or_b32 exec_lo, exec_lo, s25
	s_delay_alu instid0(SALU_CYCLE_1)
	s_or_not1_b32 s23, s23, exec_lo
.LBB1115_1394:                          ;   in Loop: Header=BB1115_1319 Depth=1
	s_or_b32 exec_lo, exec_lo, s24
	v_dual_cndmask_b32 v12, v18, v19, s23 :: v_dual_cndmask_b32 v13, v65, v30, s23
	s_mov_b32 s24, exec_lo
	s_delay_alu instid0(VALU_DEP_1) | instskip(NEXT) | instid1(VALU_DEP_1)
	v_add_nc_u32_e32 v14, 1, v12
	v_add_min_u32_e64 v12, v13, -1, v14
	s_delay_alu instid0(VALU_DEP_1)
	v_lshlrev_b32_e32 v12, 3, v12
	ds_load_b64 v[12:13], v12
	v_cndmask_b32_e64 v115, v14, v18, s23
	s_wait_dscnt 0x0
	v_dual_cndmask_b32 v18, v19, v14, s23 :: v_dual_cndmask_b32 v112, v12, v100, s23
	v_cndmask_b32_e64 v103, v13, v99, s23
	v_dual_cndmask_b32 v113, v101, v13, s23 :: v_dual_cndmask_b32 v114, v102, v12, s23
	v_cmpx_lt_u32_e64 v115, v65
	s_cbranch_execz .LBB1115_1404
; %bb.1395:                             ;   in Loop: Header=BB1115_1319 Depth=1
	v_cmp_lt_u32_e64 s22, v18, v30
	s_and_b32 s9, s22, s14
	s_delay_alu instid0(SALU_CYCLE_1)
	s_and_saveexec_b32 s25, s9
	s_cbranch_execz .LBB1115_1403
; %bb.1396:                             ;   in Loop: Header=BB1115_1319 Depth=1
	v_mad_nc_u64_u32 v[12:13], v2, v114, v[8:9]
	v_mad_nc_u64_u32 v[14:15], v2, v112, v[8:9]
	v_mov_b64_e32 v[16:17], v[6:7]
	s_mov_b32 s26, 0
                                        ; implicit-def: $sgpr27
                                        ; implicit-def: $sgpr28
                                        ; implicit-def: $sgpr41
	s_delay_alu instid0(VALU_DEP_3) | instskip(NEXT) | instid1(VALU_DEP_3)
	v_mad_u32 v13, v3, v114, v13
	v_mad_u32 v15, v3, v112, v15
	s_delay_alu instid0(VALU_DEP_2) | instskip(NEXT) | instid1(VALU_DEP_2)
	v_mad_u32 v13, v2, v113, v13
	v_mad_u32 v15, v2, v103, v15
	s_branch .LBB1115_1398
.LBB1115_1397:                          ;   in Loop: Header=BB1115_1398 Depth=2
	s_or_b32 exec_lo, exec_lo, s41
	s_delay_alu instid0(SALU_CYCLE_1) | instskip(SKIP_4) | instid1(SALU_CYCLE_1)
	s_and_b32 s9, exec_lo, s40
	s_mov_b32 s41, s29
	s_or_b32 s26, s9, s26
	s_and_not1_b32 s9, s27, exec_lo
	s_and_b32 s27, s28, exec_lo
	s_or_b32 s27, s9, s27
	s_and_not1_b32 exec_lo, exec_lo, s26
	s_cbranch_execz .LBB1115_1402
.LBB1115_1398:                          ;   Parent Loop BB1115_1319 Depth=1
                                        ; =>  This Inner Loop Header: Depth=2
	flat_load_u16 v19, v[14:15]
	flat_load_u16 v116, v[12:13]
	s_mov_b32 s40, -1
	s_mov_b32 s42, 0
	s_mov_b32 s29, -1
	s_mov_b32 s43, exec_lo
	s_wait_loadcnt_dscnt 0x0
	v_dual_lshlrev_b32 v19, 16, v19 :: v_dual_lshlrev_b32 v116, 16, v116
	s_delay_alu instid0(VALU_DEP_1)
	v_cmpx_nlt_f32_e32 v19, v116
; %bb.1399:                             ;   in Loop: Header=BB1115_1398 Depth=2
	v_cmp_ngt_f32_e64 s9, v19, v116
	s_and_b32 s29, s9, s41
	s_and_b32 s42, s9, exec_lo
	s_or_not1_b32 s29, s29, exec_lo
; %bb.1400:                             ;   in Loop: Header=BB1115_1398 Depth=2
	s_or_b32 exec_lo, exec_lo, s43
	s_delay_alu instid0(SALU_CYCLE_1) | instskip(SKIP_1) | instid1(SALU_CYCLE_1)
	s_and_not1_b32 s9, s28, exec_lo
	s_and_b32 s28, s29, exec_lo
	s_or_b32 s28, s9, s28
	s_and_saveexec_b32 s41, s42
	s_cbranch_execz .LBB1115_1397
; %bb.1401:                             ;   in Loop: Header=BB1115_1398 Depth=2
	v_add_nc_u64_e32 v[16:17], -1, v[16:17]
	v_add_nc_u64_e32 v[12:13], 2, v[12:13]
	v_add_nc_u64_e32 v[14:15], 2, v[14:15]
	s_and_not1_b32 s28, s28, exec_lo
	s_delay_alu instid0(VALU_DEP_3)
	v_cmp_eq_u64_e64 s9, 0, v[16:17]
	s_or_not1_b32 s40, s9, exec_lo
	s_branch .LBB1115_1397
.LBB1115_1402:                          ;   in Loop: Header=BB1115_1319 Depth=1
	s_or_b32 exec_lo, exec_lo, s26
	s_xor_b32 s9, s27, -1
	s_and_not1_b32 s22, s22, exec_lo
	s_and_b32 s9, s9, exec_lo
	s_delay_alu instid0(SALU_CYCLE_1)
	s_or_b32 s22, s22, s9
.LBB1115_1403:                          ;   in Loop: Header=BB1115_1319 Depth=1
	s_or_b32 exec_lo, exec_lo, s25
	s_delay_alu instid0(SALU_CYCLE_1)
	s_or_not1_b32 s22, s22, exec_lo
.LBB1115_1404:                          ;   in Loop: Header=BB1115_1319 Depth=1
	s_or_b32 exec_lo, exec_lo, s24
	v_cndmask_b32_e64 v12, v115, v18, s22
	v_cndmask_b32_e64 v13, v65, v30, s22
	s_mov_b32 s24, exec_lo
	s_delay_alu instid0(VALU_DEP_2) | instskip(NEXT) | instid1(VALU_DEP_1)
	v_add_nc_u32_e32 v16, 1, v12
	v_add_min_u32_e64 v12, v13, -1, v16
	s_delay_alu instid0(VALU_DEP_1)
	v_dual_cndmask_b32 v17, v16, v115, s22 :: v_dual_lshlrev_b32 v12, 3, v12
	ds_load_b64 v[14:15], v12
	s_wait_dscnt 0x0
	v_dual_cndmask_b32 v13, v113, v15, s22 :: v_dual_cndmask_b32 v12, v114, v14, s22
	v_cmpx_lt_u32_e64 v17, v65
	s_cbranch_execz .LBB1115_1317
; %bb.1405:                             ;   in Loop: Header=BB1115_1319 Depth=1
	v_dual_cndmask_b32 v16, v18, v16, s22 :: v_dual_cndmask_b32 v65, v15, v103, s22
	s_delay_alu instid0(VALU_DEP_1) | instskip(NEXT) | instid1(VALU_DEP_1)
	v_cmp_ge_u32_e64 s9, v16, v30
	v_dual_cndmask_b32 v115, v14, v112, s22 :: v_dual_cndmask_b32 v15, v13, v65, s9
	s_delay_alu instid0(VALU_DEP_1) | instskip(SKIP_1) | instid1(SALU_CYCLE_1)
	v_cndmask_b32_e64 v14, v12, v115, s9
	s_nor_b32 s9, s9, s8
	s_and_saveexec_b32 s25, s9
	s_cbranch_execz .LBB1115_1316
; %bb.1406:                             ;   in Loop: Header=BB1115_1319 Depth=1
	v_mad_nc_u64_u32 v[14:15], v2, v12, v[8:9]
	v_mad_nc_u64_u32 v[16:17], v2, v115, v[8:9]
	v_mov_b64_e32 v[18:19], v[6:7]
	s_mov_b32 s26, 0
                                        ; implicit-def: $sgpr27
                                        ; implicit-def: $sgpr28
                                        ; implicit-def: $sgpr41
	s_delay_alu instid0(VALU_DEP_3) | instskip(NEXT) | instid1(VALU_DEP_3)
	v_mad_u32 v15, v3, v12, v15
	v_mad_u32 v17, v3, v115, v17
	s_delay_alu instid0(VALU_DEP_2) | instskip(NEXT) | instid1(VALU_DEP_2)
	v_mad_u32 v15, v2, v13, v15
	v_mad_u32 v17, v2, v65, v17
	s_branch .LBB1115_1408
.LBB1115_1407:                          ;   in Loop: Header=BB1115_1408 Depth=2
	s_or_b32 exec_lo, exec_lo, s41
	s_delay_alu instid0(SALU_CYCLE_1) | instskip(SKIP_4) | instid1(SALU_CYCLE_1)
	s_and_b32 s9, exec_lo, s40
	s_mov_b32 s41, s29
	s_or_b32 s26, s9, s26
	s_and_not1_b32 s9, s27, exec_lo
	s_and_b32 s27, s28, exec_lo
	s_or_b32 s27, s9, s27
	s_and_not1_b32 exec_lo, exec_lo, s26
	s_cbranch_execz .LBB1115_1315
.LBB1115_1408:                          ;   Parent Loop BB1115_1319 Depth=1
                                        ; =>  This Inner Loop Header: Depth=2
	flat_load_u16 v30, v[16:17]
	flat_load_u16 v116, v[14:15]
	s_mov_b32 s40, -1
	s_mov_b32 s42, 0
	s_mov_b32 s29, -1
	s_mov_b32 s43, exec_lo
	s_wait_loadcnt_dscnt 0x0
	v_dual_lshlrev_b32 v30, 16, v30 :: v_dual_lshlrev_b32 v116, 16, v116
	s_delay_alu instid0(VALU_DEP_1)
	v_cmpx_nlt_f32_e32 v30, v116
; %bb.1409:                             ;   in Loop: Header=BB1115_1408 Depth=2
	v_cmp_ngt_f32_e64 s9, v30, v116
	s_and_b32 s29, s9, s41
	s_and_b32 s42, s9, exec_lo
	s_or_not1_b32 s29, s29, exec_lo
; %bb.1410:                             ;   in Loop: Header=BB1115_1408 Depth=2
	s_or_b32 exec_lo, exec_lo, s43
	s_delay_alu instid0(SALU_CYCLE_1) | instskip(SKIP_1) | instid1(SALU_CYCLE_1)
	s_and_not1_b32 s9, s28, exec_lo
	s_and_b32 s28, s29, exec_lo
	s_or_b32 s28, s9, s28
	s_and_saveexec_b32 s41, s42
	s_cbranch_execz .LBB1115_1407
; %bb.1411:                             ;   in Loop: Header=BB1115_1408 Depth=2
	v_add_nc_u64_e32 v[18:19], -1, v[18:19]
	v_add_nc_u64_e32 v[14:15], 2, v[14:15]
	v_add_nc_u64_e32 v[16:17], 2, v[16:17]
	s_and_not1_b32 s28, s28, exec_lo
	s_delay_alu instid0(VALU_DEP_3)
	v_cmp_eq_u64_e64 s9, 0, v[18:19]
	s_or_not1_b32 s40, s9, exec_lo
	s_branch .LBB1115_1407
.LBB1115_1412:
	s_or_b32 exec_lo, exec_lo, s17
.LBB1115_1413:
	s_delay_alu instid0(SALU_CYCLE_1)
	s_or_b32 exec_lo, exec_lo, s15
	s_barrier_signal -1
	s_barrier_wait -1
	ds_store_b64 v1, v[22:23]
	ds_store_b64 v81, v[24:25]
	;; [unrolled: 1-line block ×8, first 2 shown]
	s_wait_dscnt 0x0
	s_barrier_signal -1
	s_barrier_wait -1
	ds_load_b64 v[16:17], v66
	ds_load_b64 v[14:15], v67
	;; [unrolled: 1-line block ×7, first 2 shown]
	v_dual_mov_b32 v3, 0 :: v_dual_lshlrev_b32 v2, 3, v26
	s_delay_alu instid0(VALU_DEP_1)
	v_add_nc_u64_e32 v[2:3], v[4:5], v[2:3]
	s_and_saveexec_b32 s7, vcc_lo
	s_cbranch_execz .LBB1115_1423
; %bb.1414:
	ds_load_b64 v[18:19], v29
	s_wait_dscnt 0x0
	flat_store_b64 v[2:3], v[18:19]
	s_wait_xcnt 0x0
	s_or_b32 exec_lo, exec_lo, s7
	s_and_saveexec_b32 s7, s0
	s_cbranch_execnz .LBB1115_1424
.LBB1115_1415:
	s_or_b32 exec_lo, exec_lo, s7
	s_and_saveexec_b32 s0, s1
	s_cbranch_execz .LBB1115_1425
.LBB1115_1416:
	s_wait_dscnt 0x5
	flat_store_b64 v[2:3], v[14:15] offset:4096
	s_wait_xcnt 0x0
	s_or_b32 exec_lo, exec_lo, s0
	s_and_saveexec_b32 s0, s2
	s_cbranch_execnz .LBB1115_1426
.LBB1115_1417:
	s_or_b32 exec_lo, exec_lo, s0
	s_and_saveexec_b32 s0, s3
	s_cbranch_execz .LBB1115_1427
.LBB1115_1418:
	s_wait_dscnt 0x3
	flat_store_b64 v[2:3], v[8:9] offset:8192
	s_wait_xcnt 0x0
	s_or_b32 exec_lo, exec_lo, s0
	s_and_saveexec_b32 s0, s4
	s_cbranch_execnz .LBB1115_1428
.LBB1115_1419:
	s_or_b32 exec_lo, exec_lo, s0
	s_and_saveexec_b32 s0, s5
	s_cbranch_execz .LBB1115_1421
.LBB1115_1420:
	s_wait_dscnt 0x1
	flat_store_b64 v[2:3], v[0:1] offset:12288
.LBB1115_1421:
	s_wait_xcnt 0x0
	s_or_b32 exec_lo, exec_lo, s0
	s_delay_alu instid0(SALU_CYCLE_1) | instskip(SKIP_1) | instid1(SALU_CYCLE_1)
	s_and_not1_b32 s0, s12, exec_lo
	s_and_b32 s1, s6, exec_lo
	s_or_b32 s12, s0, s1
	s_or_b32 exec_lo, exec_lo, s13
	s_and_saveexec_b32 s0, s12
	s_cbranch_execnz .LBB1115_1533
.LBB1115_1422:
	s_or_b32 exec_lo, exec_lo, s0
	s_wait_dscnt 0x0
	s_set_pc_i64 s[30:31]
.LBB1115_1423:
	s_or_b32 exec_lo, exec_lo, s7
	s_and_saveexec_b32 s7, s0
	s_cbranch_execz .LBB1115_1415
.LBB1115_1424:
	s_wait_dscnt 0x6
	flat_store_b64 v[2:3], v[16:17] offset:2048
	s_wait_xcnt 0x0
	s_or_b32 exec_lo, exec_lo, s7
	s_and_saveexec_b32 s0, s1
	s_cbranch_execnz .LBB1115_1416
.LBB1115_1425:
	s_or_b32 exec_lo, exec_lo, s0
	s_and_saveexec_b32 s0, s2
	s_cbranch_execz .LBB1115_1417
.LBB1115_1426:
	s_wait_dscnt 0x4
	flat_store_b64 v[2:3], v[12:13] offset:6144
	s_wait_xcnt 0x0
	s_or_b32 exec_lo, exec_lo, s0
	s_and_saveexec_b32 s0, s3
	s_cbranch_execnz .LBB1115_1418
.LBB1115_1427:
	s_or_b32 exec_lo, exec_lo, s0
	s_and_saveexec_b32 s0, s4
	s_cbranch_execz .LBB1115_1419
.LBB1115_1428:
	s_wait_dscnt 0x2
	flat_store_b64 v[2:3], v[6:7] offset:10240
	s_wait_xcnt 0x0
	s_or_b32 exec_lo, exec_lo, s0
	s_and_saveexec_b32 s0, s5
	s_cbranch_execnz .LBB1115_1420
	s_branch .LBB1115_1421
.LBB1115_1429:
	s_or_b32 exec_lo, exec_lo, s6
	v_dual_cndmask_b32 v25, v3, v23, s7 :: v_dual_cndmask_b32 v24, v2, v22, s7
.LBB1115_1430:
	s_or_b32 exec_lo, exec_lo, s3
	s_delay_alu instid0(VALU_DEP_1)
	v_mov_b64_e32 v[2:3], v[24:25]
.LBB1115_1431:
	s_or_b32 exec_lo, exec_lo, s2
.LBB1115_1432:
	s_delay_alu instid0(SALU_CYCLE_1) | instskip(SKIP_4) | instid1(VALU_DEP_2)
	s_or_b32 exec_lo, exec_lo, s5
	v_lshlrev_b32_e32 v25, 3, v28
	v_lshlrev_b64_e32 v[22:23], 1, v[6:7]
	s_movk_i32 s6, 0x80
	s_xor_b32 s5, s0, -1
	v_dual_add_nc_u32 v31, 8, v25 :: v_dual_add_nc_u32 v38, 16, v25
	v_dual_add_nc_u32 v39, 24, v25 :: v_dual_add_nc_u32 v48, 32, v25
	;; [unrolled: 1-line block ×3, first 2 shown]
	v_add_nc_u32_e32 v51, 56, v25
	; wave barrier
	s_wait_dscnt 0x0
	s_barrier_signal -1
	s_barrier_wait -1
.LBB1115_1433:                          ; =>This Loop Header: Depth=1
                                        ;     Child Loop BB1115_1437 Depth 2
                                        ;       Child Loop BB1115_1440 Depth 3
                                        ;     Child Loop BB1115_1453 Depth 2
                                        ;     Child Loop BB1115_1462 Depth 2
	;; [unrolled: 1-line block ×8, first 2 shown]
	s_lshl_b32 s7, s6, 1
	s_mov_b32 s2, exec_lo
	s_sub_co_i32 s1, 0, s7
	ds_store_b64 v25, v[18:19]
	v_and_b32_e32 v85, s1, v28
	s_add_co_i32 s1, s7, -1
	ds_store_b64 v31, v[20:21]
	ds_store_b64 v38, v[14:15]
	;; [unrolled: 1-line block ×7, first 2 shown]
	s_wait_dscnt 0x0
	v_add_min_u32_e64 v52, v85, s6, 0x800
	v_and_b32_e32 v24, s1, v28
	s_barrier_signal -1
	s_barrier_wait -1
	s_delay_alu instid0(VALU_DEP_2) | instskip(SKIP_2) | instid1(VALU_DEP_3)
	v_add_min_u32_e64 v53, v52, s6, 0x800
	v_sub_nc_u32_e32 v30, v52, v85
	v_min_u32_e32 v86, 0x800, v24
	v_sub_nc_u32_e32 v24, v53, v52
	s_delay_alu instid0(VALU_DEP_2) | instskip(NEXT) | instid1(VALU_DEP_2)
	v_min_u32_e32 v96, v86, v30
	v_sub_nc_u32_e64 v87, v86, v24 clamp
	s_delay_alu instid0(VALU_DEP_1)
	v_cmpx_lt_u32_e64 v87, v96
	s_cbranch_execz .LBB1115_1445
; %bb.1434:                             ;   in Loop: Header=BB1115_1433 Depth=1
	v_dual_lshlrev_b32 v24, 3, v85 :: v_dual_lshlrev_b32 v30, 3, v52
	s_mov_b32 s3, 0
	s_branch .LBB1115_1437
.LBB1115_1435:                          ;   in Loop: Header=BB1115_1437 Depth=2
	s_or_b32 exec_lo, exec_lo, s12
	s_delay_alu instid0(SALU_CYCLE_1)
	s_and_b32 s1, s13, exec_lo
.LBB1115_1436:                          ;   in Loop: Header=BB1115_1437 Depth=2
	s_or_b32 exec_lo, exec_lo, s11
	s_delay_alu instid0(VALU_DEP_1) | instskip(NEXT) | instid1(VALU_DEP_1)
	v_dual_add_nc_u32 v32, 1, v97 :: v_dual_cndmask_b32 v96, v96, v97, s1
	v_cndmask_b32_e64 v87, v32, v87, s1
	s_delay_alu instid0(VALU_DEP_1) | instskip(SKIP_1) | instid1(SALU_CYCLE_1)
	v_cmp_ge_u32_e64 s1, v87, v96
	s_or_b32 s3, s1, s3
	s_and_not1_b32 exec_lo, exec_lo, s3
	s_cbranch_execz .LBB1115_1444
.LBB1115_1437:                          ;   Parent Loop BB1115_1433 Depth=1
                                        ; =>  This Loop Header: Depth=2
                                        ;       Child Loop BB1115_1440 Depth 3
	v_add_nc_u32_e32 v32, v96, v87
	s_mov_b32 s1, 0
	s_delay_alu instid0(VALU_DEP_1)
	v_lshrrev_b32_e32 v97, 1, v32
	s_and_saveexec_b32 s11, vcc_lo
	s_cbranch_execz .LBB1115_1436
; %bb.1438:                             ;   in Loop: Header=BB1115_1437 Depth=2
	s_delay_alu instid0(VALU_DEP_1) | instskip(SKIP_2) | instid1(VALU_DEP_2)
	v_xad_u32 v32, v97, -1, v86
	v_lshl_add_u32 v33, v97, 3, v24
	s_mov_b32 s12, 0
                                        ; implicit-def: $sgpr13
                                        ; implicit-def: $sgpr14
                                        ; implicit-def: $sgpr17
	v_lshl_add_u32 v32, v32, 3, v30
	ds_load_b64 v[36:37], v33
	ds_load_b64 v[98:99], v32
	s_wait_dscnt 0x1
	v_mad_nc_u64_u32 v[32:33], v22, v36, v[8:9]
	s_wait_dscnt 0x0
	v_mad_nc_u64_u32 v[34:35], v22, v98, v[8:9]
	s_delay_alu instid0(VALU_DEP_2) | instskip(NEXT) | instid1(VALU_DEP_2)
	v_mad_u32 v33, v23, v36, v33
	v_mad_u32 v35, v23, v98, v35
	s_delay_alu instid0(VALU_DEP_2) | instskip(NEXT) | instid1(VALU_DEP_2)
	v_mad_u32 v33, v22, v37, v33
	v_mad_u32 v35, v22, v99, v35
	v_mov_b64_e32 v[36:37], v[6:7]
	s_branch .LBB1115_1440
.LBB1115_1439:                          ;   in Loop: Header=BB1115_1440 Depth=3
	s_or_b32 exec_lo, exec_lo, s17
	s_delay_alu instid0(SALU_CYCLE_1) | instskip(SKIP_4) | instid1(SALU_CYCLE_1)
	s_and_b32 s1, exec_lo, s16
	s_mov_b32 s17, s15
	s_or_b32 s12, s1, s12
	s_and_not1_b32 s1, s13, exec_lo
	s_and_b32 s13, s14, exec_lo
	s_or_b32 s13, s1, s13
	s_and_not1_b32 exec_lo, exec_lo, s12
	s_cbranch_execz .LBB1115_1435
.LBB1115_1440:                          ;   Parent Loop BB1115_1433 Depth=1
                                        ;     Parent Loop BB1115_1437 Depth=2
                                        ; =>    This Inner Loop Header: Depth=3
	flat_load_u16 v98, v[34:35]
	flat_load_u16 v99, v[32:33]
	s_mov_b32 s16, -1
	s_mov_b32 s18, 0
	s_mov_b32 s15, -1
	s_mov_b32 s19, exec_lo
	s_wait_loadcnt_dscnt 0x0
	v_dual_lshlrev_b32 v98, 16, v98 :: v_dual_lshlrev_b32 v99, 16, v99
	s_delay_alu instid0(VALU_DEP_1)
	v_cmpx_nlt_f32_e32 v98, v99
; %bb.1441:                             ;   in Loop: Header=BB1115_1440 Depth=3
	v_cmp_ngt_f32_e64 s1, v98, v99
	s_and_b32 s15, s1, s17
	s_and_b32 s18, s1, exec_lo
	s_or_not1_b32 s15, s15, exec_lo
; %bb.1442:                             ;   in Loop: Header=BB1115_1440 Depth=3
	s_or_b32 exec_lo, exec_lo, s19
	s_delay_alu instid0(SALU_CYCLE_1) | instskip(SKIP_1) | instid1(SALU_CYCLE_1)
	s_and_not1_b32 s1, s14, exec_lo
	s_and_b32 s14, s15, exec_lo
	s_or_b32 s14, s1, s14
	s_and_saveexec_b32 s17, s18
	s_cbranch_execz .LBB1115_1439
; %bb.1443:                             ;   in Loop: Header=BB1115_1440 Depth=3
	v_add_nc_u64_e32 v[36:37], -1, v[36:37]
	v_add_nc_u64_e32 v[32:33], 2, v[32:33]
	v_add_nc_u64_e32 v[34:35], 2, v[34:35]
	s_and_not1_b32 s14, s14, exec_lo
	s_delay_alu instid0(VALU_DEP_3)
	v_cmp_eq_u64_e64 s1, 0, v[36:37]
	s_or_not1_b32 s16, s1, exec_lo
	s_branch .LBB1115_1439
.LBB1115_1444:                          ;   in Loop: Header=BB1115_1433 Depth=1
	s_or_b32 exec_lo, exec_lo, s3
.LBB1115_1445:                          ;   in Loop: Header=BB1115_1433 Depth=1
	s_delay_alu instid0(SALU_CYCLE_1) | instskip(SKIP_1) | instid1(VALU_DEP_1)
	s_or_b32 exec_lo, exec_lo, s2
	v_dual_sub_nc_u32 v30, v86, v87 :: v_dual_add_nc_u32 v24, v87, v85
	v_add_nc_u32_e32 v30, v30, v52
	s_delay_alu instid0(VALU_DEP_2) | instskip(NEXT) | instid1(VALU_DEP_2)
	v_cmp_le_u32_e64 s1, v24, v52
	v_cmp_le_u32_e64 s2, v30, v53
	s_or_b32 s1, s1, s2
	s_delay_alu instid0(SALU_CYCLE_1)
	s_and_saveexec_b32 s11, s1
	s_cbranch_execz .LBB1115_1529
; %bb.1446:                             ;   in Loop: Header=BB1115_1433 Depth=1
	v_cmp_ge_u32_e64 s1, v24, v52
	s_mov_b32 s3, exec_lo
                                        ; implicit-def: $vgpr0_vgpr1
	v_cmpx_lt_u32_e64 v24, v52
; %bb.1447:                             ;   in Loop: Header=BB1115_1433 Depth=1
	v_lshlrev_b32_e32 v0, 3, v24
	ds_load_b64 v[0:1], v0
; %bb.1448:                             ;   in Loop: Header=BB1115_1433 Depth=1
	s_or_b32 exec_lo, exec_lo, s3
	v_cmp_ge_u32_e64 s2, v30, v53
	s_mov_b32 s12, exec_lo
                                        ; implicit-def: $vgpr18_vgpr19
	v_cmpx_lt_u32_e64 v30, v53
; %bb.1449:                             ;   in Loop: Header=BB1115_1433 Depth=1
	v_lshlrev_b32_e32 v2, 3, v30
	ds_load_b64 v[18:19], v2
; %bb.1450:                             ;   in Loop: Header=BB1115_1433 Depth=1
	s_or_b32 exec_lo, exec_lo, s12
	s_or_b32 s3, s1, s2
	s_xor_b32 s1, s1, -1
	s_nor_b32 s12, s3, s0
	s_or_b32 s2, s2, s1
	s_and_saveexec_b32 s3, s12
	s_cbranch_execz .LBB1115_1458
; %bb.1451:                             ;   in Loop: Header=BB1115_1433 Depth=1
	s_wait_dscnt 0x0
	v_mad_nc_u64_u32 v[2:3], v22, v0, v[8:9]
	v_mad_nc_u64_u32 v[10:11], v22, v18, v[8:9]
	v_mov_b64_e32 v[12:13], v[6:7]
	s_mov_b32 s12, 0
                                        ; implicit-def: $sgpr13
                                        ; implicit-def: $sgpr14
                                        ; implicit-def: $sgpr17
	s_delay_alu instid0(VALU_DEP_3) | instskip(NEXT) | instid1(VALU_DEP_3)
	v_mad_u32 v3, v23, v0, v3
	v_mad_u32 v11, v23, v18, v11
	s_delay_alu instid0(VALU_DEP_2) | instskip(NEXT) | instid1(VALU_DEP_2)
	v_mad_u32 v3, v22, v1, v3
	v_mad_u32 v11, v22, v19, v11
	s_branch .LBB1115_1453
.LBB1115_1452:                          ;   in Loop: Header=BB1115_1453 Depth=2
	s_or_b32 exec_lo, exec_lo, s17
	s_delay_alu instid0(SALU_CYCLE_1) | instskip(SKIP_4) | instid1(SALU_CYCLE_1)
	s_and_b32 s1, exec_lo, s16
	s_mov_b32 s17, s15
	s_or_b32 s12, s1, s12
	s_and_not1_b32 s1, s13, exec_lo
	s_and_b32 s13, s14, exec_lo
	s_or_b32 s13, s1, s13
	s_and_not1_b32 exec_lo, exec_lo, s12
	s_cbranch_execz .LBB1115_1457
.LBB1115_1453:                          ;   Parent Loop BB1115_1433 Depth=1
                                        ; =>  This Inner Loop Header: Depth=2
	flat_load_u16 v14, v[10:11]
	flat_load_u16 v15, v[2:3]
	s_mov_b32 s16, -1
	s_mov_b32 s18, 0
	s_mov_b32 s15, -1
	s_mov_b32 s19, exec_lo
	s_wait_loadcnt_dscnt 0x0
	v_dual_lshlrev_b32 v14, 16, v14 :: v_dual_lshlrev_b32 v15, 16, v15
	s_delay_alu instid0(VALU_DEP_1)
	v_cmpx_nlt_f32_e32 v14, v15
; %bb.1454:                             ;   in Loop: Header=BB1115_1453 Depth=2
	v_cmp_ngt_f32_e64 s1, v14, v15
	s_and_b32 s15, s1, s17
	s_and_b32 s18, s1, exec_lo
	s_or_not1_b32 s15, s15, exec_lo
; %bb.1455:                             ;   in Loop: Header=BB1115_1453 Depth=2
	s_or_b32 exec_lo, exec_lo, s19
	s_delay_alu instid0(SALU_CYCLE_1) | instskip(SKIP_1) | instid1(SALU_CYCLE_1)
	s_and_not1_b32 s1, s14, exec_lo
	s_and_b32 s14, s15, exec_lo
	s_or_b32 s14, s1, s14
	s_and_saveexec_b32 s17, s18
	s_cbranch_execz .LBB1115_1452
; %bb.1456:                             ;   in Loop: Header=BB1115_1453 Depth=2
	v_add_nc_u64_e32 v[12:13], -1, v[12:13]
	v_add_nc_u64_e32 v[2:3], 2, v[2:3]
	v_add_nc_u64_e32 v[10:11], 2, v[10:11]
	s_and_not1_b32 s14, s14, exec_lo
	s_delay_alu instid0(VALU_DEP_3)
	v_cmp_eq_u64_e64 s1, 0, v[12:13]
	s_or_not1_b32 s16, s1, exec_lo
	s_branch .LBB1115_1452
.LBB1115_1457:                          ;   in Loop: Header=BB1115_1433 Depth=1
	s_or_b32 exec_lo, exec_lo, s12
	s_xor_b32 s1, s13, -1
	s_and_not1_b32 s2, s2, exec_lo
	s_and_b32 s1, s1, exec_lo
	s_delay_alu instid0(SALU_CYCLE_1)
	s_or_b32 s2, s2, s1
.LBB1115_1458:                          ;   in Loop: Header=BB1115_1433 Depth=1
	s_or_b32 exec_lo, exec_lo, s3
	v_cndmask_b32_e64 v2, v30, v24, s2
	v_cndmask_b32_e64 v3, v53, v52, s2
	s_mov_b32 s12, -1
	s_mov_b32 s3, -1
	s_mov_b32 s13, exec_lo
	v_add_nc_u32_e32 v10, 1, v2
	s_delay_alu instid0(VALU_DEP_1) | instskip(SKIP_1) | instid1(VALU_DEP_2)
	v_add_min_u32_e64 v2, v3, -1, v10
	v_cndmask_b32_e64 v15, v24, v10, s2
	v_lshlrev_b32_e32 v2, 3, v2
	ds_load_b64 v[2:3], v2
	s_wait_dscnt 0x0
	v_dual_cndmask_b32 v14, v10, v30, s2 :: v_dual_cndmask_b32 v21, v1, v3, s2
	v_dual_cndmask_b32 v20, v3, v19, s2 :: v_dual_cndmask_b32 v24, v2, v18, s2
	v_cndmask_b32_e64 v30, v0, v2, s2
	s_delay_alu instid0(VALU_DEP_3)
	v_cmpx_lt_u32_e64 v14, v53
	s_cbranch_execz .LBB1115_1468
; %bb.1459:                             ;   in Loop: Header=BB1115_1433 Depth=1
	v_cmp_lt_u32_e64 s3, v15, v52
	s_and_b32 s1, s3, s5
	s_delay_alu instid0(SALU_CYCLE_1)
	s_and_saveexec_b32 s14, s1
	s_cbranch_execz .LBB1115_1467
; %bb.1460:                             ;   in Loop: Header=BB1115_1433 Depth=1
	v_mad_nc_u64_u32 v[2:3], v22, v30, v[8:9]
	v_mad_nc_u64_u32 v[10:11], v22, v24, v[8:9]
	v_mov_b64_e32 v[12:13], v[6:7]
	s_mov_b32 s15, 0
                                        ; implicit-def: $sgpr16
                                        ; implicit-def: $sgpr17
                                        ; implicit-def: $sgpr20
	s_delay_alu instid0(VALU_DEP_3) | instskip(NEXT) | instid1(VALU_DEP_3)
	v_mad_u32 v3, v23, v30, v3
	v_mad_u32 v11, v23, v24, v11
	s_delay_alu instid0(VALU_DEP_2) | instskip(NEXT) | instid1(VALU_DEP_2)
	v_mad_u32 v3, v22, v21, v3
	v_mad_u32 v11, v22, v20, v11
	s_branch .LBB1115_1462
.LBB1115_1461:                          ;   in Loop: Header=BB1115_1462 Depth=2
	s_or_b32 exec_lo, exec_lo, s20
	s_delay_alu instid0(SALU_CYCLE_1) | instskip(SKIP_4) | instid1(SALU_CYCLE_1)
	s_and_b32 s1, exec_lo, s19
	s_mov_b32 s20, s18
	s_or_b32 s15, s1, s15
	s_and_not1_b32 s1, s16, exec_lo
	s_and_b32 s16, s17, exec_lo
	s_or_b32 s16, s1, s16
	s_and_not1_b32 exec_lo, exec_lo, s15
	s_cbranch_execz .LBB1115_1466
.LBB1115_1462:                          ;   Parent Loop BB1115_1433 Depth=1
                                        ; =>  This Inner Loop Header: Depth=2
	flat_load_u16 v16, v[10:11]
	flat_load_u16 v17, v[2:3]
	s_mov_b32 s19, -1
	s_mov_b32 s21, 0
	s_mov_b32 s18, -1
	s_mov_b32 s22, exec_lo
	s_wait_loadcnt_dscnt 0x0
	v_dual_lshlrev_b32 v16, 16, v16 :: v_dual_lshlrev_b32 v17, 16, v17
	s_delay_alu instid0(VALU_DEP_1)
	v_cmpx_nlt_f32_e32 v16, v17
; %bb.1463:                             ;   in Loop: Header=BB1115_1462 Depth=2
	v_cmp_ngt_f32_e64 s1, v16, v17
	s_and_b32 s18, s1, s20
	s_and_b32 s21, s1, exec_lo
	s_or_not1_b32 s18, s18, exec_lo
; %bb.1464:                             ;   in Loop: Header=BB1115_1462 Depth=2
	s_or_b32 exec_lo, exec_lo, s22
	s_delay_alu instid0(SALU_CYCLE_1) | instskip(SKIP_1) | instid1(SALU_CYCLE_1)
	s_and_not1_b32 s1, s17, exec_lo
	s_and_b32 s17, s18, exec_lo
	s_or_b32 s17, s1, s17
	s_and_saveexec_b32 s20, s21
	s_cbranch_execz .LBB1115_1461
; %bb.1465:                             ;   in Loop: Header=BB1115_1462 Depth=2
	v_add_nc_u64_e32 v[12:13], -1, v[12:13]
	v_add_nc_u64_e32 v[2:3], 2, v[2:3]
	v_add_nc_u64_e32 v[10:11], 2, v[10:11]
	s_and_not1_b32 s17, s17, exec_lo
	s_delay_alu instid0(VALU_DEP_3)
	v_cmp_eq_u64_e64 s1, 0, v[12:13]
	s_or_not1_b32 s19, s1, exec_lo
	s_branch .LBB1115_1461
.LBB1115_1466:                          ;   in Loop: Header=BB1115_1433 Depth=1
	s_or_b32 exec_lo, exec_lo, s15
	s_xor_b32 s1, s16, -1
	s_and_not1_b32 s3, s3, exec_lo
	s_and_b32 s1, s1, exec_lo
	s_delay_alu instid0(SALU_CYCLE_1)
	s_or_b32 s3, s3, s1
.LBB1115_1467:                          ;   in Loop: Header=BB1115_1433 Depth=1
	s_or_b32 exec_lo, exec_lo, s14
	s_delay_alu instid0(SALU_CYCLE_1)
	s_or_not1_b32 s3, s3, exec_lo
.LBB1115_1468:                          ;   in Loop: Header=BB1115_1433 Depth=1
	s_or_b32 exec_lo, exec_lo, s13
	v_dual_cndmask_b32 v2, v14, v15, s3 :: v_dual_cndmask_b32 v3, v53, v52, s3
	s_mov_b32 s13, exec_lo
	s_delay_alu instid0(VALU_DEP_1) | instskip(NEXT) | instid1(VALU_DEP_1)
	v_add_nc_u32_e32 v10, 1, v2
	v_add_min_u32_e64 v2, v3, -1, v10
	s_delay_alu instid0(VALU_DEP_1)
	v_lshlrev_b32_e32 v2, 3, v2
	ds_load_b64 v[2:3], v2
	v_cndmask_b32_e64 v14, v10, v14, s3
	s_wait_dscnt 0x0
	v_dual_cndmask_b32 v15, v15, v10, s3 :: v_dual_cndmask_b32 v33, v2, v24, s3
	v_dual_cndmask_b32 v32, v3, v20, s3 :: v_dual_cndmask_b32 v34, v21, v3, s3
	v_cndmask_b32_e64 v35, v30, v2, s3
	v_cmpx_lt_u32_e64 v14, v53
	s_cbranch_execz .LBB1115_1478
; %bb.1469:                             ;   in Loop: Header=BB1115_1433 Depth=1
	v_cmp_lt_u32_e64 s12, v15, v52
	s_and_b32 s1, s12, s5
	s_delay_alu instid0(SALU_CYCLE_1)
	s_and_saveexec_b32 s14, s1
	s_cbranch_execz .LBB1115_1477
; %bb.1470:                             ;   in Loop: Header=BB1115_1433 Depth=1
	v_mad_nc_u64_u32 v[2:3], v22, v35, v[8:9]
	v_mad_nc_u64_u32 v[10:11], v22, v33, v[8:9]
	v_mov_b64_e32 v[12:13], v[6:7]
	s_mov_b32 s15, 0
                                        ; implicit-def: $sgpr16
                                        ; implicit-def: $sgpr17
                                        ; implicit-def: $sgpr20
	s_delay_alu instid0(VALU_DEP_3) | instskip(NEXT) | instid1(VALU_DEP_3)
	v_mad_u32 v3, v23, v35, v3
	v_mad_u32 v11, v23, v33, v11
	s_delay_alu instid0(VALU_DEP_2) | instskip(NEXT) | instid1(VALU_DEP_2)
	v_mad_u32 v3, v22, v34, v3
	v_mad_u32 v11, v22, v32, v11
	s_branch .LBB1115_1472
.LBB1115_1471:                          ;   in Loop: Header=BB1115_1472 Depth=2
	s_or_b32 exec_lo, exec_lo, s20
	s_delay_alu instid0(SALU_CYCLE_1) | instskip(SKIP_4) | instid1(SALU_CYCLE_1)
	s_and_b32 s1, exec_lo, s19
	s_mov_b32 s20, s18
	s_or_b32 s15, s1, s15
	s_and_not1_b32 s1, s16, exec_lo
	s_and_b32 s16, s17, exec_lo
	s_or_b32 s16, s1, s16
	s_and_not1_b32 exec_lo, exec_lo, s15
	s_cbranch_execz .LBB1115_1476
.LBB1115_1472:                          ;   Parent Loop BB1115_1433 Depth=1
                                        ; =>  This Inner Loop Header: Depth=2
	flat_load_u16 v16, v[10:11]
	flat_load_u16 v17, v[2:3]
	s_mov_b32 s19, -1
	s_mov_b32 s21, 0
	s_mov_b32 s18, -1
	s_mov_b32 s22, exec_lo
	s_wait_loadcnt_dscnt 0x0
	v_dual_lshlrev_b32 v16, 16, v16 :: v_dual_lshlrev_b32 v17, 16, v17
	s_delay_alu instid0(VALU_DEP_1)
	v_cmpx_nlt_f32_e32 v16, v17
; %bb.1473:                             ;   in Loop: Header=BB1115_1472 Depth=2
	v_cmp_ngt_f32_e64 s1, v16, v17
	s_and_b32 s18, s1, s20
	s_and_b32 s21, s1, exec_lo
	s_or_not1_b32 s18, s18, exec_lo
; %bb.1474:                             ;   in Loop: Header=BB1115_1472 Depth=2
	s_or_b32 exec_lo, exec_lo, s22
	s_delay_alu instid0(SALU_CYCLE_1) | instskip(SKIP_1) | instid1(SALU_CYCLE_1)
	s_and_not1_b32 s1, s17, exec_lo
	s_and_b32 s17, s18, exec_lo
	s_or_b32 s17, s1, s17
	s_and_saveexec_b32 s20, s21
	s_cbranch_execz .LBB1115_1471
; %bb.1475:                             ;   in Loop: Header=BB1115_1472 Depth=2
	v_add_nc_u64_e32 v[12:13], -1, v[12:13]
	v_add_nc_u64_e32 v[2:3], 2, v[2:3]
	v_add_nc_u64_e32 v[10:11], 2, v[10:11]
	s_and_not1_b32 s17, s17, exec_lo
	s_delay_alu instid0(VALU_DEP_3)
	v_cmp_eq_u64_e64 s1, 0, v[12:13]
	s_or_not1_b32 s19, s1, exec_lo
	s_branch .LBB1115_1471
.LBB1115_1476:                          ;   in Loop: Header=BB1115_1433 Depth=1
	s_or_b32 exec_lo, exec_lo, s15
	s_xor_b32 s1, s16, -1
	s_and_not1_b32 s12, s12, exec_lo
	s_and_b32 s1, s1, exec_lo
	s_delay_alu instid0(SALU_CYCLE_1)
	s_or_b32 s12, s12, s1
.LBB1115_1477:                          ;   in Loop: Header=BB1115_1433 Depth=1
	s_or_b32 exec_lo, exec_lo, s14
	s_delay_alu instid0(SALU_CYCLE_1)
	s_or_not1_b32 s12, s12, exec_lo
.LBB1115_1478:                          ;   in Loop: Header=BB1115_1433 Depth=1
	s_or_b32 exec_lo, exec_lo, s13
	v_dual_cndmask_b32 v2, v14, v15, s12 :: v_dual_cndmask_b32 v3, v53, v52, s12
	s_mov_b32 s14, -1
	s_mov_b32 s13, -1
	s_mov_b32 s15, exec_lo
	s_delay_alu instid0(VALU_DEP_1) | instskip(NEXT) | instid1(VALU_DEP_1)
	v_add_nc_u32_e32 v10, 1, v2
	v_add_min_u32_e64 v2, v3, -1, v10
	s_delay_alu instid0(VALU_DEP_1)
	v_lshlrev_b32_e32 v2, 3, v2
	ds_load_b64 v[2:3], v2
	v_cndmask_b32_e64 v14, v10, v14, s12
	s_wait_dscnt 0x0
	v_dual_cndmask_b32 v15, v15, v10, s12 :: v_dual_cndmask_b32 v36, v2, v33, s12
	v_dual_cndmask_b32 v16, v3, v32, s12 :: v_dual_cndmask_b32 v17, v34, v3, s12
	v_cndmask_b32_e64 v37, v35, v2, s12
	v_cmpx_lt_u32_e64 v14, v53
	s_cbranch_execz .LBB1115_1488
; %bb.1479:                             ;   in Loop: Header=BB1115_1433 Depth=1
	v_cmp_lt_u32_e64 s13, v15, v52
	s_and_b32 s1, s13, s5
	s_delay_alu instid0(SALU_CYCLE_1)
	s_and_saveexec_b32 s16, s1
	s_cbranch_execz .LBB1115_1487
; %bb.1480:                             ;   in Loop: Header=BB1115_1433 Depth=1
	v_mad_nc_u64_u32 v[2:3], v22, v37, v[8:9]
	v_mad_nc_u64_u32 v[10:11], v22, v36, v[8:9]
	v_mov_b64_e32 v[12:13], v[6:7]
	s_mov_b32 s17, 0
                                        ; implicit-def: $sgpr18
                                        ; implicit-def: $sgpr19
                                        ; implicit-def: $sgpr22
	s_delay_alu instid0(VALU_DEP_3) | instskip(NEXT) | instid1(VALU_DEP_3)
	v_mad_u32 v3, v23, v37, v3
	v_mad_u32 v11, v23, v36, v11
	s_delay_alu instid0(VALU_DEP_2) | instskip(NEXT) | instid1(VALU_DEP_2)
	v_mad_u32 v3, v22, v17, v3
	v_mad_u32 v11, v22, v16, v11
	s_branch .LBB1115_1482
.LBB1115_1481:                          ;   in Loop: Header=BB1115_1482 Depth=2
	s_or_b32 exec_lo, exec_lo, s22
	s_delay_alu instid0(SALU_CYCLE_1) | instskip(SKIP_4) | instid1(SALU_CYCLE_1)
	s_and_b32 s1, exec_lo, s21
	s_mov_b32 s22, s20
	s_or_b32 s17, s1, s17
	s_and_not1_b32 s1, s18, exec_lo
	s_and_b32 s18, s19, exec_lo
	s_or_b32 s18, s1, s18
	s_and_not1_b32 exec_lo, exec_lo, s17
	s_cbranch_execz .LBB1115_1486
.LBB1115_1482:                          ;   Parent Loop BB1115_1433 Depth=1
                                        ; =>  This Inner Loop Header: Depth=2
	flat_load_u16 v85, v[10:11]
	flat_load_u16 v86, v[2:3]
	s_mov_b32 s21, -1
	s_mov_b32 s23, 0
	s_mov_b32 s20, -1
	s_mov_b32 s24, exec_lo
	s_wait_loadcnt_dscnt 0x0
	v_dual_lshlrev_b32 v85, 16, v85 :: v_dual_lshlrev_b32 v86, 16, v86
	s_delay_alu instid0(VALU_DEP_1)
	v_cmpx_nlt_f32_e32 v85, v86
; %bb.1483:                             ;   in Loop: Header=BB1115_1482 Depth=2
	v_cmp_ngt_f32_e64 s1, v85, v86
	s_and_b32 s20, s1, s22
	s_and_b32 s23, s1, exec_lo
	s_or_not1_b32 s20, s20, exec_lo
; %bb.1484:                             ;   in Loop: Header=BB1115_1482 Depth=2
	s_or_b32 exec_lo, exec_lo, s24
	s_delay_alu instid0(SALU_CYCLE_1) | instskip(SKIP_1) | instid1(SALU_CYCLE_1)
	s_and_not1_b32 s1, s19, exec_lo
	s_and_b32 s19, s20, exec_lo
	s_or_b32 s19, s1, s19
	s_and_saveexec_b32 s22, s23
	s_cbranch_execz .LBB1115_1481
; %bb.1485:                             ;   in Loop: Header=BB1115_1482 Depth=2
	v_add_nc_u64_e32 v[12:13], -1, v[12:13]
	v_add_nc_u64_e32 v[2:3], 2, v[2:3]
	v_add_nc_u64_e32 v[10:11], 2, v[10:11]
	s_and_not1_b32 s19, s19, exec_lo
	s_delay_alu instid0(VALU_DEP_3)
	v_cmp_eq_u64_e64 s1, 0, v[12:13]
	s_or_not1_b32 s21, s1, exec_lo
	s_branch .LBB1115_1481
.LBB1115_1486:                          ;   in Loop: Header=BB1115_1433 Depth=1
	s_or_b32 exec_lo, exec_lo, s17
	s_xor_b32 s1, s18, -1
	s_and_not1_b32 s13, s13, exec_lo
	s_and_b32 s1, s1, exec_lo
	s_delay_alu instid0(SALU_CYCLE_1)
	s_or_b32 s13, s13, s1
.LBB1115_1487:                          ;   in Loop: Header=BB1115_1433 Depth=1
	s_or_b32 exec_lo, exec_lo, s16
	s_delay_alu instid0(SALU_CYCLE_1)
	s_or_not1_b32 s13, s13, exec_lo
.LBB1115_1488:                          ;   in Loop: Header=BB1115_1433 Depth=1
	s_or_b32 exec_lo, exec_lo, s15
	v_dual_cndmask_b32 v2, v14, v15, s13 :: v_dual_cndmask_b32 v3, v53, v52, s13
	s_mov_b32 s15, exec_lo
	s_delay_alu instid0(VALU_DEP_1) | instskip(NEXT) | instid1(VALU_DEP_1)
	v_add_nc_u32_e32 v10, 1, v2
	v_add_min_u32_e64 v2, v3, -1, v10
	s_delay_alu instid0(VALU_DEP_1)
	v_lshlrev_b32_e32 v2, 3, v2
	ds_load_b64 v[2:3], v2
	v_cndmask_b32_e64 v14, v10, v14, s13
	s_wait_dscnt 0x0
	v_dual_cndmask_b32 v15, v15, v10, s13 :: v_dual_cndmask_b32 v86, v2, v36, s13
	v_dual_cndmask_b32 v85, v3, v16, s13 :: v_dual_cndmask_b32 v87, v17, v3, s13
	v_cndmask_b32_e64 v96, v37, v2, s13
	v_cmpx_lt_u32_e64 v14, v53
	s_cbranch_execz .LBB1115_1498
; %bb.1489:                             ;   in Loop: Header=BB1115_1433 Depth=1
	v_cmp_lt_u32_e64 s14, v15, v52
	s_and_b32 s1, s14, s5
	s_delay_alu instid0(SALU_CYCLE_1)
	s_and_saveexec_b32 s16, s1
	s_cbranch_execz .LBB1115_1497
; %bb.1490:                             ;   in Loop: Header=BB1115_1433 Depth=1
	v_mad_nc_u64_u32 v[2:3], v22, v96, v[8:9]
	v_mad_nc_u64_u32 v[10:11], v22, v86, v[8:9]
	v_mov_b64_e32 v[12:13], v[6:7]
	s_mov_b32 s17, 0
                                        ; implicit-def: $sgpr18
                                        ; implicit-def: $sgpr19
                                        ; implicit-def: $sgpr22
	s_delay_alu instid0(VALU_DEP_3) | instskip(NEXT) | instid1(VALU_DEP_3)
	v_mad_u32 v3, v23, v96, v3
	v_mad_u32 v11, v23, v86, v11
	s_delay_alu instid0(VALU_DEP_2) | instskip(NEXT) | instid1(VALU_DEP_2)
	v_mad_u32 v3, v22, v87, v3
	v_mad_u32 v11, v22, v85, v11
	s_branch .LBB1115_1492
.LBB1115_1491:                          ;   in Loop: Header=BB1115_1492 Depth=2
	s_or_b32 exec_lo, exec_lo, s22
	s_delay_alu instid0(SALU_CYCLE_1) | instskip(SKIP_4) | instid1(SALU_CYCLE_1)
	s_and_b32 s1, exec_lo, s21
	s_mov_b32 s22, s20
	s_or_b32 s17, s1, s17
	s_and_not1_b32 s1, s18, exec_lo
	s_and_b32 s18, s19, exec_lo
	s_or_b32 s18, s1, s18
	s_and_not1_b32 exec_lo, exec_lo, s17
	s_cbranch_execz .LBB1115_1496
.LBB1115_1492:                          ;   Parent Loop BB1115_1433 Depth=1
                                        ; =>  This Inner Loop Header: Depth=2
	flat_load_u16 v97, v[10:11]
	flat_load_u16 v98, v[2:3]
	s_mov_b32 s21, -1
	s_mov_b32 s23, 0
	s_mov_b32 s20, -1
	s_mov_b32 s24, exec_lo
	s_wait_loadcnt_dscnt 0x0
	v_dual_lshlrev_b32 v97, 16, v97 :: v_dual_lshlrev_b32 v98, 16, v98
	s_delay_alu instid0(VALU_DEP_1)
	v_cmpx_nlt_f32_e32 v97, v98
; %bb.1493:                             ;   in Loop: Header=BB1115_1492 Depth=2
	v_cmp_ngt_f32_e64 s1, v97, v98
	s_and_b32 s20, s1, s22
	s_and_b32 s23, s1, exec_lo
	s_or_not1_b32 s20, s20, exec_lo
; %bb.1494:                             ;   in Loop: Header=BB1115_1492 Depth=2
	s_or_b32 exec_lo, exec_lo, s24
	s_delay_alu instid0(SALU_CYCLE_1) | instskip(SKIP_1) | instid1(SALU_CYCLE_1)
	s_and_not1_b32 s1, s19, exec_lo
	s_and_b32 s19, s20, exec_lo
	s_or_b32 s19, s1, s19
	s_and_saveexec_b32 s22, s23
	s_cbranch_execz .LBB1115_1491
; %bb.1495:                             ;   in Loop: Header=BB1115_1492 Depth=2
	v_add_nc_u64_e32 v[12:13], -1, v[12:13]
	v_add_nc_u64_e32 v[2:3], 2, v[2:3]
	v_add_nc_u64_e32 v[10:11], 2, v[10:11]
	s_and_not1_b32 s19, s19, exec_lo
	s_delay_alu instid0(VALU_DEP_3)
	v_cmp_eq_u64_e64 s1, 0, v[12:13]
	s_or_not1_b32 s21, s1, exec_lo
	s_branch .LBB1115_1491
.LBB1115_1496:                          ;   in Loop: Header=BB1115_1433 Depth=1
	s_or_b32 exec_lo, exec_lo, s17
	s_xor_b32 s1, s18, -1
	s_and_not1_b32 s14, s14, exec_lo
	s_and_b32 s1, s1, exec_lo
	s_delay_alu instid0(SALU_CYCLE_1)
	s_or_b32 s14, s14, s1
.LBB1115_1497:                          ;   in Loop: Header=BB1115_1433 Depth=1
	s_or_b32 exec_lo, exec_lo, s16
	s_delay_alu instid0(SALU_CYCLE_1)
	s_or_not1_b32 s14, s14, exec_lo
.LBB1115_1498:                          ;   in Loop: Header=BB1115_1433 Depth=1
	s_or_b32 exec_lo, exec_lo, s15
	v_dual_cndmask_b32 v2, v14, v15, s14 :: v_dual_cndmask_b32 v3, v53, v52, s14
	s_mov_b32 s15, -1
	s_mov_b32 s16, -1
	s_mov_b32 s17, exec_lo
	s_delay_alu instid0(VALU_DEP_1) | instskip(NEXT) | instid1(VALU_DEP_1)
	v_add_nc_u32_e32 v10, 1, v2
	v_add_min_u32_e64 v2, v3, -1, v10
	s_delay_alu instid0(VALU_DEP_1)
	v_lshlrev_b32_e32 v2, 3, v2
	v_cndmask_b32_e64 v15, v15, v10, s14
	ds_load_b64 v[2:3], v2
	s_wait_dscnt 0x0
	v_dual_cndmask_b32 v14, v10, v14, s14 :: v_dual_cndmask_b32 v97, v3, v85, s14
	v_dual_cndmask_b32 v98, v2, v86, s14 :: v_dual_cndmask_b32 v99, v87, v3, s14
	v_cndmask_b32_e64 v100, v96, v2, s14
	s_delay_alu instid0(VALU_DEP_3)
	v_cmpx_lt_u32_e64 v14, v53
	s_cbranch_execz .LBB1115_1508
; %bb.1499:                             ;   in Loop: Header=BB1115_1433 Depth=1
	v_cmp_lt_u32_e64 s16, v15, v52
	s_and_b32 s1, s16, s5
	s_delay_alu instid0(SALU_CYCLE_1)
	s_and_saveexec_b32 s18, s1
	s_cbranch_execz .LBB1115_1507
; %bb.1500:                             ;   in Loop: Header=BB1115_1433 Depth=1
	v_mad_nc_u64_u32 v[2:3], v22, v100, v[8:9]
	v_mad_nc_u64_u32 v[10:11], v22, v98, v[8:9]
	v_mov_b64_e32 v[12:13], v[6:7]
	s_mov_b32 s19, 0
                                        ; implicit-def: $sgpr20
                                        ; implicit-def: $sgpr21
                                        ; implicit-def: $sgpr24
	s_delay_alu instid0(VALU_DEP_3) | instskip(NEXT) | instid1(VALU_DEP_3)
	v_mad_u32 v3, v23, v100, v3
	v_mad_u32 v11, v23, v98, v11
	s_delay_alu instid0(VALU_DEP_2) | instskip(NEXT) | instid1(VALU_DEP_2)
	v_mad_u32 v3, v22, v99, v3
	v_mad_u32 v11, v22, v97, v11
	s_branch .LBB1115_1502
.LBB1115_1501:                          ;   in Loop: Header=BB1115_1502 Depth=2
	s_or_b32 exec_lo, exec_lo, s24
	s_delay_alu instid0(SALU_CYCLE_1) | instskip(SKIP_4) | instid1(SALU_CYCLE_1)
	s_and_b32 s1, exec_lo, s23
	s_mov_b32 s24, s22
	s_or_b32 s19, s1, s19
	s_and_not1_b32 s1, s20, exec_lo
	s_and_b32 s20, s21, exec_lo
	s_or_b32 s20, s1, s20
	s_and_not1_b32 exec_lo, exec_lo, s19
	s_cbranch_execz .LBB1115_1506
.LBB1115_1502:                          ;   Parent Loop BB1115_1433 Depth=1
                                        ; =>  This Inner Loop Header: Depth=2
	flat_load_u16 v101, v[10:11]
	flat_load_u16 v102, v[2:3]
	s_mov_b32 s23, -1
	s_mov_b32 s25, 0
	s_mov_b32 s22, -1
	s_mov_b32 s26, exec_lo
	s_wait_loadcnt_dscnt 0x0
	v_dual_lshlrev_b32 v101, 16, v101 :: v_dual_lshlrev_b32 v102, 16, v102
	s_delay_alu instid0(VALU_DEP_1)
	v_cmpx_nlt_f32_e32 v101, v102
; %bb.1503:                             ;   in Loop: Header=BB1115_1502 Depth=2
	v_cmp_ngt_f32_e64 s1, v101, v102
	s_and_b32 s22, s1, s24
	s_and_b32 s25, s1, exec_lo
	s_or_not1_b32 s22, s22, exec_lo
; %bb.1504:                             ;   in Loop: Header=BB1115_1502 Depth=2
	s_or_b32 exec_lo, exec_lo, s26
	s_delay_alu instid0(SALU_CYCLE_1) | instskip(SKIP_1) | instid1(SALU_CYCLE_1)
	s_and_not1_b32 s1, s21, exec_lo
	s_and_b32 s21, s22, exec_lo
	s_or_b32 s21, s1, s21
	s_and_saveexec_b32 s24, s25
	s_cbranch_execz .LBB1115_1501
; %bb.1505:                             ;   in Loop: Header=BB1115_1502 Depth=2
	v_add_nc_u64_e32 v[12:13], -1, v[12:13]
	v_add_nc_u64_e32 v[2:3], 2, v[2:3]
	v_add_nc_u64_e32 v[10:11], 2, v[10:11]
	s_and_not1_b32 s21, s21, exec_lo
	s_delay_alu instid0(VALU_DEP_3)
	v_cmp_eq_u64_e64 s1, 0, v[12:13]
	s_or_not1_b32 s23, s1, exec_lo
	s_branch .LBB1115_1501
.LBB1115_1506:                          ;   in Loop: Header=BB1115_1433 Depth=1
	s_or_b32 exec_lo, exec_lo, s19
	s_xor_b32 s1, s20, -1
	s_and_not1_b32 s16, s16, exec_lo
	s_and_b32 s1, s1, exec_lo
	s_delay_alu instid0(SALU_CYCLE_1)
	s_or_b32 s16, s16, s1
.LBB1115_1507:                          ;   in Loop: Header=BB1115_1433 Depth=1
	s_or_b32 exec_lo, exec_lo, s18
	s_delay_alu instid0(SALU_CYCLE_1)
	s_or_not1_b32 s16, s16, exec_lo
.LBB1115_1508:                          ;   in Loop: Header=BB1115_1433 Depth=1
	s_or_b32 exec_lo, exec_lo, s17
	v_dual_cndmask_b32 v2, v14, v15, s16 :: v_dual_cndmask_b32 v3, v53, v52, s16
	s_mov_b32 s17, exec_lo
	s_delay_alu instid0(VALU_DEP_1) | instskip(NEXT) | instid1(VALU_DEP_1)
	v_add_nc_u32_e32 v10, 1, v2
	v_add_min_u32_e64 v2, v3, -1, v10
	s_delay_alu instid0(VALU_DEP_1)
	v_lshlrev_b32_e32 v2, 3, v2
	ds_load_b64 v[2:3], v2
	v_cndmask_b32_e64 v113, v10, v14, s16
	v_cndmask_b32_e64 v14, v15, v10, s16
	s_wait_dscnt 0x0
	v_dual_cndmask_b32 v101, v3, v97, s16 :: v_dual_cndmask_b32 v102, v2, v98, s16
	v_dual_cndmask_b32 v103, v99, v3, s16 :: v_dual_cndmask_b32 v112, v100, v2, s16
	v_cmpx_lt_u32_e64 v113, v53
	s_cbranch_execz .LBB1115_1518
; %bb.1509:                             ;   in Loop: Header=BB1115_1433 Depth=1
	v_cmp_lt_u32_e64 s15, v14, v52
	s_and_b32 s1, s15, s5
	s_delay_alu instid0(SALU_CYCLE_1)
	s_and_saveexec_b32 s18, s1
	s_cbranch_execz .LBB1115_1517
; %bb.1510:                             ;   in Loop: Header=BB1115_1433 Depth=1
	v_mad_nc_u64_u32 v[2:3], v22, v112, v[8:9]
	v_mad_nc_u64_u32 v[10:11], v22, v102, v[8:9]
	v_mov_b64_e32 v[12:13], v[6:7]
	s_mov_b32 s19, 0
                                        ; implicit-def: $sgpr20
                                        ; implicit-def: $sgpr21
                                        ; implicit-def: $sgpr24
	s_delay_alu instid0(VALU_DEP_3) | instskip(NEXT) | instid1(VALU_DEP_3)
	v_mad_u32 v3, v23, v112, v3
	v_mad_u32 v11, v23, v102, v11
	s_delay_alu instid0(VALU_DEP_2) | instskip(NEXT) | instid1(VALU_DEP_2)
	v_mad_u32 v3, v22, v103, v3
	v_mad_u32 v11, v22, v101, v11
	s_branch .LBB1115_1512
.LBB1115_1511:                          ;   in Loop: Header=BB1115_1512 Depth=2
	s_or_b32 exec_lo, exec_lo, s24
	s_delay_alu instid0(SALU_CYCLE_1) | instskip(SKIP_4) | instid1(SALU_CYCLE_1)
	s_and_b32 s1, exec_lo, s23
	s_mov_b32 s24, s22
	s_or_b32 s19, s1, s19
	s_and_not1_b32 s1, s20, exec_lo
	s_and_b32 s20, s21, exec_lo
	s_or_b32 s20, s1, s20
	s_and_not1_b32 exec_lo, exec_lo, s19
	s_cbranch_execz .LBB1115_1516
.LBB1115_1512:                          ;   Parent Loop BB1115_1433 Depth=1
                                        ; =>  This Inner Loop Header: Depth=2
	flat_load_u16 v15, v[10:11]
	flat_load_u16 v114, v[2:3]
	s_mov_b32 s23, -1
	s_mov_b32 s25, 0
	s_mov_b32 s22, -1
	s_mov_b32 s26, exec_lo
	s_wait_loadcnt_dscnt 0x0
	v_dual_lshlrev_b32 v15, 16, v15 :: v_dual_lshlrev_b32 v114, 16, v114
	s_delay_alu instid0(VALU_DEP_1)
	v_cmpx_nlt_f32_e32 v15, v114
; %bb.1513:                             ;   in Loop: Header=BB1115_1512 Depth=2
	v_cmp_ngt_f32_e64 s1, v15, v114
	s_and_b32 s22, s1, s24
	s_and_b32 s25, s1, exec_lo
	s_or_not1_b32 s22, s22, exec_lo
; %bb.1514:                             ;   in Loop: Header=BB1115_1512 Depth=2
	s_or_b32 exec_lo, exec_lo, s26
	s_delay_alu instid0(SALU_CYCLE_1) | instskip(SKIP_1) | instid1(SALU_CYCLE_1)
	s_and_not1_b32 s1, s21, exec_lo
	s_and_b32 s21, s22, exec_lo
	s_or_b32 s21, s1, s21
	s_and_saveexec_b32 s24, s25
	s_cbranch_execz .LBB1115_1511
; %bb.1515:                             ;   in Loop: Header=BB1115_1512 Depth=2
	v_add_nc_u64_e32 v[12:13], -1, v[12:13]
	v_add_nc_u64_e32 v[2:3], 2, v[2:3]
	v_add_nc_u64_e32 v[10:11], 2, v[10:11]
	s_and_not1_b32 s21, s21, exec_lo
	s_delay_alu instid0(VALU_DEP_3)
	v_cmp_eq_u64_e64 s1, 0, v[12:13]
	s_or_not1_b32 s23, s1, exec_lo
	s_branch .LBB1115_1511
.LBB1115_1516:                          ;   in Loop: Header=BB1115_1433 Depth=1
	s_or_b32 exec_lo, exec_lo, s19
	s_xor_b32 s1, s20, -1
	s_and_not1_b32 s15, s15, exec_lo
	s_and_b32 s1, s1, exec_lo
	s_delay_alu instid0(SALU_CYCLE_1)
	s_or_b32 s15, s15, s1
.LBB1115_1517:                          ;   in Loop: Header=BB1115_1433 Depth=1
	s_or_b32 exec_lo, exec_lo, s18
	s_delay_alu instid0(SALU_CYCLE_1)
	s_or_not1_b32 s15, s15, exec_lo
.LBB1115_1518:                          ;   in Loop: Header=BB1115_1433 Depth=1
	s_or_b32 exec_lo, exec_lo, s17
	v_cndmask_b32_e64 v2, v113, v14, s15
	v_cndmask_b32_e64 v3, v53, v52, s15
	s_mov_b32 s17, exec_lo
	s_delay_alu instid0(VALU_DEP_2) | instskip(NEXT) | instid1(VALU_DEP_1)
	v_add_nc_u32_e32 v12, 1, v2
	v_add_min_u32_e64 v2, v3, -1, v12
	s_delay_alu instid0(VALU_DEP_1)
	v_dual_cndmask_b32 v13, v12, v113, s15 :: v_dual_lshlrev_b32 v2, 3, v2
	ds_load_b64 v[10:11], v2
	s_wait_dscnt 0x0
	v_dual_cndmask_b32 v3, v103, v11, s15 :: v_dual_cndmask_b32 v2, v112, v10, s15
	v_cmpx_lt_u32_e64 v13, v53
	s_cbranch_execz .LBB1115_1528
; %bb.1519:                             ;   in Loop: Header=BB1115_1433 Depth=1
	v_dual_cndmask_b32 v12, v14, v12, s15 :: v_dual_cndmask_b32 v53, v11, v101, s15
	s_delay_alu instid0(VALU_DEP_1) | instskip(NEXT) | instid1(VALU_DEP_1)
	v_cmp_ge_u32_e64 s1, v12, v52
	v_dual_cndmask_b32 v113, v10, v102, s15 :: v_dual_cndmask_b32 v11, v3, v53, s1
	s_delay_alu instid0(VALU_DEP_1) | instskip(SKIP_1) | instid1(SALU_CYCLE_1)
	v_cndmask_b32_e64 v10, v2, v113, s1
	s_nor_b32 s1, s1, s0
	s_and_saveexec_b32 s18, s1
	s_cbranch_execz .LBB1115_1527
; %bb.1520:                             ;   in Loop: Header=BB1115_1433 Depth=1
	v_mad_nc_u64_u32 v[10:11], v22, v2, v[8:9]
	v_mad_nc_u64_u32 v[12:13], v22, v113, v[8:9]
	v_mov_b64_e32 v[14:15], v[6:7]
	s_mov_b32 s19, 0
                                        ; implicit-def: $sgpr20
                                        ; implicit-def: $sgpr21
                                        ; implicit-def: $sgpr24
	s_delay_alu instid0(VALU_DEP_3) | instskip(NEXT) | instid1(VALU_DEP_3)
	v_mad_u32 v11, v23, v2, v11
	v_mad_u32 v13, v23, v113, v13
	s_delay_alu instid0(VALU_DEP_2) | instskip(NEXT) | instid1(VALU_DEP_2)
	v_mad_u32 v11, v22, v3, v11
	v_mad_u32 v13, v22, v53, v13
	s_branch .LBB1115_1522
.LBB1115_1521:                          ;   in Loop: Header=BB1115_1522 Depth=2
	s_or_b32 exec_lo, exec_lo, s24
	s_delay_alu instid0(SALU_CYCLE_1) | instskip(SKIP_4) | instid1(SALU_CYCLE_1)
	s_and_b32 s1, exec_lo, s23
	s_mov_b32 s24, s22
	s_or_b32 s19, s1, s19
	s_and_not1_b32 s1, s20, exec_lo
	s_and_b32 s20, s21, exec_lo
	s_or_b32 s20, s1, s20
	s_and_not1_b32 exec_lo, exec_lo, s19
	s_cbranch_execz .LBB1115_1526
.LBB1115_1522:                          ;   Parent Loop BB1115_1433 Depth=1
                                        ; =>  This Inner Loop Header: Depth=2
	flat_load_u16 v52, v[12:13]
	flat_load_u16 v114, v[10:11]
	s_mov_b32 s23, -1
	s_mov_b32 s25, 0
	s_mov_b32 s22, -1
	s_mov_b32 s26, exec_lo
	s_wait_loadcnt_dscnt 0x0
	v_dual_lshlrev_b32 v52, 16, v52 :: v_dual_lshlrev_b32 v114, 16, v114
	s_delay_alu instid0(VALU_DEP_1)
	v_cmpx_nlt_f32_e32 v52, v114
; %bb.1523:                             ;   in Loop: Header=BB1115_1522 Depth=2
	v_cmp_ngt_f32_e64 s1, v52, v114
	s_and_b32 s22, s1, s24
	s_and_b32 s25, s1, exec_lo
	s_or_not1_b32 s22, s22, exec_lo
; %bb.1524:                             ;   in Loop: Header=BB1115_1522 Depth=2
	s_or_b32 exec_lo, exec_lo, s26
	s_delay_alu instid0(SALU_CYCLE_1) | instskip(SKIP_1) | instid1(SALU_CYCLE_1)
	s_and_not1_b32 s1, s21, exec_lo
	s_and_b32 s21, s22, exec_lo
	s_or_b32 s21, s1, s21
	s_and_saveexec_b32 s24, s25
	s_cbranch_execz .LBB1115_1521
; %bb.1525:                             ;   in Loop: Header=BB1115_1522 Depth=2
	v_add_nc_u64_e32 v[14:15], -1, v[14:15]
	v_add_nc_u64_e32 v[10:11], 2, v[10:11]
	v_add_nc_u64_e32 v[12:13], 2, v[12:13]
	s_and_not1_b32 s21, s21, exec_lo
	s_delay_alu instid0(VALU_DEP_3)
	v_cmp_eq_u64_e64 s1, 0, v[14:15]
	s_or_not1_b32 s23, s1, exec_lo
	s_branch .LBB1115_1521
.LBB1115_1526:                          ;   in Loop: Header=BB1115_1433 Depth=1
	s_or_b32 exec_lo, exec_lo, s19
	v_cndmask_b32_e64 v11, v3, v53, s20
	v_cndmask_b32_e64 v10, v2, v113, s20
.LBB1115_1527:                          ;   in Loop: Header=BB1115_1433 Depth=1
	s_or_b32 exec_lo, exec_lo, s18
	s_delay_alu instid0(VALU_DEP_1)
	v_mov_b64_e32 v[2:3], v[10:11]
.LBB1115_1528:                          ;   in Loop: Header=BB1115_1433 Depth=1
	s_or_b32 exec_lo, exec_lo, s17
	v_dual_cndmask_b32 v13, v97, v99, s16 :: v_dual_cndmask_b32 v12, v98, v100, s16
	v_dual_cndmask_b32 v11, v85, v87, s14 :: v_dual_cndmask_b32 v10, v86, v96, s14
	;; [unrolled: 1-line block ×7, first 2 shown]
.LBB1115_1529:                          ;   in Loop: Header=BB1115_1433 Depth=1
	s_or_b32 exec_lo, exec_lo, s11
	s_cmp_lt_u32 s6, 0x400
	s_barrier_signal -1
	s_barrier_wait -1
	s_cbranch_scc0 .LBB1115_1531
; %bb.1530:                             ;   in Loop: Header=BB1115_1433 Depth=1
	s_mov_b32 s6, s7
	s_branch .LBB1115_1433
.LBB1115_1531:
	s_barrier_signal -1
	s_barrier_wait -1
	ds_store_b64 v54, v[18:19]
	ds_store_b64 v70, v[20:21]
	;; [unrolled: 1-line block ×8, first 2 shown]
	s_wait_dscnt 0x0
	s_barrier_signal -1
	s_barrier_wait -1
	ds_load_b64 v[0:1], v29
	ds_load_b64 v[2:3], v55
	;; [unrolled: 1-line block ×8, first 2 shown]
	v_mov_b32_e32 v29, 0
	s_mov_b32 s12, exec_lo
                                        ; implicit-def: $vgpr30
                                        ; implicit-def: $vgpr31
                                        ; implicit-def: $vgpr37
                                        ; implicit-def: $vgpr39
                                        ; implicit-def: $vgpr38
                                        ; implicit-def: $vgpr36
                                        ; implicit-def: $vgpr35
                                        ; implicit-def: $vgpr34
                                        ; implicit-def: $vgpr33
                                        ; implicit-def: $vgpr32
	s_delay_alu instid0(VALU_DEP_1)
	v_add_nc_u64_e32 v[18:19], v[4:5], v[28:29]
                                        ; implicit-def: $vgpr28
	s_wait_dscnt 0x7
	flat_store_b64 v[18:19], v[0:1]
	s_wait_dscnt 0x7
	flat_store_b64 v[18:19], v[2:3] offset:2048
	s_wait_dscnt 0x7
	flat_store_b64 v[18:19], v[6:7] offset:4096
	;; [unrolled: 2-line block ×6, first 2 shown]
                                        ; implicit-def: $vgpr0
                                        ; implicit-def: $vgpr6_vgpr7
                                        ; implicit-def: $vgpr2_vgpr3
                                        ; implicit-def: $vgpr8_vgpr9
                                        ; implicit-def: $vgpr1
	s_wait_xcnt 0x0
	s_and_not1_saveexec_b32 s13, s4
	s_cbranch_execnz .LBB1115_10
.LBB1115_1532:
	s_or_b32 exec_lo, exec_lo, s13
	s_and_saveexec_b32 s0, s12
	s_cbranch_execz .LBB1115_1422
.LBB1115_1533:
	s_wait_dscnt 0x1
	v_lshl_add_u64 v[0:1], v[26:27], 3, v[4:5]
	s_wait_dscnt 0x0
	flat_store_b64 v[0:1], v[10:11] offset:14336
	s_wait_xcnt 0x0
	s_or_b32 exec_lo, exec_lo, s0
	s_wait_dscnt 0x0
	s_set_pc_i64 s[30:31]
.Lfunc_end1115:
	.size	_ZN7rocprim17ROCPRIM_400000_NS6detail15block_sort_implIlNS0_10empty_typeELj256ELj8ELNS0_4arch9wavefront6targetE0EvE4sortIPlS9_PS3_SA_ZN2at6native12_GLOBAL__N_124unique_dim_cuda_templateIN3c108BFloat16EEESt5tupleIJNSB_6TensorESI_SI_EERKSI_lbbbEUlllE_EEvjbT_T0_T1_T2_T3_RNS7_12storage_typeE, .Lfunc_end1115-_ZN7rocprim17ROCPRIM_400000_NS6detail15block_sort_implIlNS0_10empty_typeELj256ELj8ELNS0_4arch9wavefront6targetE0EvE4sortIPlS9_PS3_SA_ZN2at6native12_GLOBAL__N_124unique_dim_cuda_templateIN3c108BFloat16EEESt5tupleIJNSB_6TensorESI_SI_EERKSI_lbbbEUlllE_EEvjbT_T0_T1_T2_T3_RNS7_12storage_typeE
                                        ; -- End function
	.set .L_ZN7rocprim17ROCPRIM_400000_NS6detail15block_sort_implIlNS0_10empty_typeELj256ELj8ELNS0_4arch9wavefront6targetE0EvE4sortIPlS9_PS3_SA_ZN2at6native12_GLOBAL__N_124unique_dim_cuda_templateIN3c108BFloat16EEESt5tupleIJNSB_6TensorESI_SI_EERKSI_lbbbEUlllE_EEvjbT_T0_T1_T2_T3_RNS7_12storage_typeE.num_vgpr, 120
	.set .L_ZN7rocprim17ROCPRIM_400000_NS6detail15block_sort_implIlNS0_10empty_typeELj256ELj8ELNS0_4arch9wavefront6targetE0EvE4sortIPlS9_PS3_SA_ZN2at6native12_GLOBAL__N_124unique_dim_cuda_templateIN3c108BFloat16EEESt5tupleIJNSB_6TensorESI_SI_EERKSI_lbbbEUlllE_EEvjbT_T0_T1_T2_T3_RNS7_12storage_typeE.num_agpr, 0
	.set .L_ZN7rocprim17ROCPRIM_400000_NS6detail15block_sort_implIlNS0_10empty_typeELj256ELj8ELNS0_4arch9wavefront6targetE0EvE4sortIPlS9_PS3_SA_ZN2at6native12_GLOBAL__N_124unique_dim_cuda_templateIN3c108BFloat16EEESt5tupleIJNSB_6TensorESI_SI_EERKSI_lbbbEUlllE_EEvjbT_T0_T1_T2_T3_RNS7_12storage_typeE.numbered_sgpr, 44
	.set .L_ZN7rocprim17ROCPRIM_400000_NS6detail15block_sort_implIlNS0_10empty_typeELj256ELj8ELNS0_4arch9wavefront6targetE0EvE4sortIPlS9_PS3_SA_ZN2at6native12_GLOBAL__N_124unique_dim_cuda_templateIN3c108BFloat16EEESt5tupleIJNSB_6TensorESI_SI_EERKSI_lbbbEUlllE_EEvjbT_T0_T1_T2_T3_RNS7_12storage_typeE.num_named_barrier, 0
	.set .L_ZN7rocprim17ROCPRIM_400000_NS6detail15block_sort_implIlNS0_10empty_typeELj256ELj8ELNS0_4arch9wavefront6targetE0EvE4sortIPlS9_PS3_SA_ZN2at6native12_GLOBAL__N_124unique_dim_cuda_templateIN3c108BFloat16EEESt5tupleIJNSB_6TensorESI_SI_EERKSI_lbbbEUlllE_EEvjbT_T0_T1_T2_T3_RNS7_12storage_typeE.private_seg_size, 0
	.set .L_ZN7rocprim17ROCPRIM_400000_NS6detail15block_sort_implIlNS0_10empty_typeELj256ELj8ELNS0_4arch9wavefront6targetE0EvE4sortIPlS9_PS3_SA_ZN2at6native12_GLOBAL__N_124unique_dim_cuda_templateIN3c108BFloat16EEESt5tupleIJNSB_6TensorESI_SI_EERKSI_lbbbEUlllE_EEvjbT_T0_T1_T2_T3_RNS7_12storage_typeE.uses_vcc, 1
	.set .L_ZN7rocprim17ROCPRIM_400000_NS6detail15block_sort_implIlNS0_10empty_typeELj256ELj8ELNS0_4arch9wavefront6targetE0EvE4sortIPlS9_PS3_SA_ZN2at6native12_GLOBAL__N_124unique_dim_cuda_templateIN3c108BFloat16EEESt5tupleIJNSB_6TensorESI_SI_EERKSI_lbbbEUlllE_EEvjbT_T0_T1_T2_T3_RNS7_12storage_typeE.uses_flat_scratch, 1
	.set .L_ZN7rocprim17ROCPRIM_400000_NS6detail15block_sort_implIlNS0_10empty_typeELj256ELj8ELNS0_4arch9wavefront6targetE0EvE4sortIPlS9_PS3_SA_ZN2at6native12_GLOBAL__N_124unique_dim_cuda_templateIN3c108BFloat16EEESt5tupleIJNSB_6TensorESI_SI_EERKSI_lbbbEUlllE_EEvjbT_T0_T1_T2_T3_RNS7_12storage_typeE.has_dyn_sized_stack, 0
	.set .L_ZN7rocprim17ROCPRIM_400000_NS6detail15block_sort_implIlNS0_10empty_typeELj256ELj8ELNS0_4arch9wavefront6targetE0EvE4sortIPlS9_PS3_SA_ZN2at6native12_GLOBAL__N_124unique_dim_cuda_templateIN3c108BFloat16EEESt5tupleIJNSB_6TensorESI_SI_EERKSI_lbbbEUlllE_EEvjbT_T0_T1_T2_T3_RNS7_12storage_typeE.has_recursion, 0
	.set .L_ZN7rocprim17ROCPRIM_400000_NS6detail15block_sort_implIlNS0_10empty_typeELj256ELj8ELNS0_4arch9wavefront6targetE0EvE4sortIPlS9_PS3_SA_ZN2at6native12_GLOBAL__N_124unique_dim_cuda_templateIN3c108BFloat16EEESt5tupleIJNSB_6TensorESI_SI_EERKSI_lbbbEUlllE_EEvjbT_T0_T1_T2_T3_RNS7_12storage_typeE.has_indirect_call, 0
	.section	.AMDGPU.csdata,"",@progbits
; Function info:
; codeLenInByte = 60404
; TotalNumSgprs: 46
; NumVgprs: 120
; ScratchSize: 0
; MemoryBound: 0
	.section	.text._ZN7rocprim17ROCPRIM_400000_NS6detail17trampoline_kernelINS0_14default_configENS1_37merge_sort_block_sort_config_selectorIlNS0_10empty_typeEEEZNS1_21merge_sort_block_sortIS3_PlS8_PS5_S9_ZN2at6native12_GLOBAL__N_124unique_dim_cuda_templateIN3c108BFloat16EEESt5tupleIJNSA_6TensorESH_SH_EERKSH_lbbbEUlllE_EE10hipError_tT0_T1_T2_T3_mRjT4_P12ihipStream_tbNS1_7vsmem_tEEUlT_E_NS1_11comp_targetILNS1_3genE0ELNS1_11target_archE4294967295ELNS1_3gpuE0ELNS1_3repE0EEENS1_30default_config_static_selectorELNS0_4arch9wavefront6targetE0EEEvSO_,"axG",@progbits,_ZN7rocprim17ROCPRIM_400000_NS6detail17trampoline_kernelINS0_14default_configENS1_37merge_sort_block_sort_config_selectorIlNS0_10empty_typeEEEZNS1_21merge_sort_block_sortIS3_PlS8_PS5_S9_ZN2at6native12_GLOBAL__N_124unique_dim_cuda_templateIN3c108BFloat16EEESt5tupleIJNSA_6TensorESH_SH_EERKSH_lbbbEUlllE_EE10hipError_tT0_T1_T2_T3_mRjT4_P12ihipStream_tbNS1_7vsmem_tEEUlT_E_NS1_11comp_targetILNS1_3genE0ELNS1_11target_archE4294967295ELNS1_3gpuE0ELNS1_3repE0EEENS1_30default_config_static_selectorELNS0_4arch9wavefront6targetE0EEEvSO_,comdat
	.globl	_ZN7rocprim17ROCPRIM_400000_NS6detail17trampoline_kernelINS0_14default_configENS1_37merge_sort_block_sort_config_selectorIlNS0_10empty_typeEEEZNS1_21merge_sort_block_sortIS3_PlS8_PS5_S9_ZN2at6native12_GLOBAL__N_124unique_dim_cuda_templateIN3c108BFloat16EEESt5tupleIJNSA_6TensorESH_SH_EERKSH_lbbbEUlllE_EE10hipError_tT0_T1_T2_T3_mRjT4_P12ihipStream_tbNS1_7vsmem_tEEUlT_E_NS1_11comp_targetILNS1_3genE0ELNS1_11target_archE4294967295ELNS1_3gpuE0ELNS1_3repE0EEENS1_30default_config_static_selectorELNS0_4arch9wavefront6targetE0EEEvSO_ ; -- Begin function _ZN7rocprim17ROCPRIM_400000_NS6detail17trampoline_kernelINS0_14default_configENS1_37merge_sort_block_sort_config_selectorIlNS0_10empty_typeEEEZNS1_21merge_sort_block_sortIS3_PlS8_PS5_S9_ZN2at6native12_GLOBAL__N_124unique_dim_cuda_templateIN3c108BFloat16EEESt5tupleIJNSA_6TensorESH_SH_EERKSH_lbbbEUlllE_EE10hipError_tT0_T1_T2_T3_mRjT4_P12ihipStream_tbNS1_7vsmem_tEEUlT_E_NS1_11comp_targetILNS1_3genE0ELNS1_11target_archE4294967295ELNS1_3gpuE0ELNS1_3repE0EEENS1_30default_config_static_selectorELNS0_4arch9wavefront6targetE0EEEvSO_
	.p2align	8
	.type	_ZN7rocprim17ROCPRIM_400000_NS6detail17trampoline_kernelINS0_14default_configENS1_37merge_sort_block_sort_config_selectorIlNS0_10empty_typeEEEZNS1_21merge_sort_block_sortIS3_PlS8_PS5_S9_ZN2at6native12_GLOBAL__N_124unique_dim_cuda_templateIN3c108BFloat16EEESt5tupleIJNSA_6TensorESH_SH_EERKSH_lbbbEUlllE_EE10hipError_tT0_T1_T2_T3_mRjT4_P12ihipStream_tbNS1_7vsmem_tEEUlT_E_NS1_11comp_targetILNS1_3genE0ELNS1_11target_archE4294967295ELNS1_3gpuE0ELNS1_3repE0EEENS1_30default_config_static_selectorELNS0_4arch9wavefront6targetE0EEEvSO_,@function
_ZN7rocprim17ROCPRIM_400000_NS6detail17trampoline_kernelINS0_14default_configENS1_37merge_sort_block_sort_config_selectorIlNS0_10empty_typeEEEZNS1_21merge_sort_block_sortIS3_PlS8_PS5_S9_ZN2at6native12_GLOBAL__N_124unique_dim_cuda_templateIN3c108BFloat16EEESt5tupleIJNSA_6TensorESH_SH_EERKSH_lbbbEUlllE_EE10hipError_tT0_T1_T2_T3_mRjT4_P12ihipStream_tbNS1_7vsmem_tEEUlT_E_NS1_11comp_targetILNS1_3genE0ELNS1_11target_archE4294967295ELNS1_3gpuE0ELNS1_3repE0EEENS1_30default_config_static_selectorELNS0_4arch9wavefront6targetE0EEEvSO_: ; @_ZN7rocprim17ROCPRIM_400000_NS6detail17trampoline_kernelINS0_14default_configENS1_37merge_sort_block_sort_config_selectorIlNS0_10empty_typeEEEZNS1_21merge_sort_block_sortIS3_PlS8_PS5_S9_ZN2at6native12_GLOBAL__N_124unique_dim_cuda_templateIN3c108BFloat16EEESt5tupleIJNSA_6TensorESH_SH_EERKSH_lbbbEUlllE_EE10hipError_tT0_T1_T2_T3_mRjT4_P12ihipStream_tbNS1_7vsmem_tEEUlT_E_NS1_11comp_targetILNS1_3genE0ELNS1_11target_archE4294967295ELNS1_3gpuE0ELNS1_3repE0EEENS1_30default_config_static_selectorELNS0_4arch9wavefront6targetE0EEEvSO_
; %bb.0:
	s_bfe_u32 s4, ttmp6, 0x40010
	s_and_b32 s6, ttmp7, 0xffff
	s_add_co_i32 s7, s4, 1
	s_clause 0x1
	s_load_b32 s8, s[2:3], 0x0
	s_load_b64 s[4:5], s[2:3], 0x48
	s_bfe_u32 s10, ttmp6, 0x4000c
	s_mul_i32 s7, s6, s7
	s_bfe_u32 s9, ttmp6, 0x40004
	s_add_co_i32 s10, s10, 1
	s_bfe_u32 s11, ttmp6, 0x40014
	s_add_co_i32 s9, s9, s7
	s_and_b32 s7, ttmp6, 15
	s_mul_i32 s10, ttmp9, s10
	s_lshr_b32 s12, ttmp7, 16
	s_add_co_i32 s11, s11, 1
	s_add_co_i32 s7, s7, s10
	s_mul_i32 s10, s12, s11
	s_bfe_u32 s11, ttmp6, 0x40008
	s_getreg_b32 s13, hwreg(HW_REG_IB_STS2, 6, 4)
	s_add_co_i32 s11, s11, s10
	s_cmp_eq_u32 s13, 0
	s_mov_b32 s32, 0
	s_cselect_b32 s10, s12, s11
	s_cselect_b32 s6, s6, s9
	s_wait_kmcnt 0x0
	s_mul_i32 s5, s5, s10
	s_cselect_b32 s7, ttmp9, s7
	s_add_co_i32 s5, s5, s6
	s_mov_b32 s11, 0
	s_mul_i32 s4, s5, s4
	s_delay_alu instid0(SALU_CYCLE_1) | instskip(NEXT) | instid1(SALU_CYCLE_1)
	s_add_co_i32 s10, s4, s7
	s_cmp_ge_u32 s10, s8
	s_cbranch_scc1 .LBB1116_2
; %bb.1:
	s_clause 0x2
	s_load_b64 s[18:19], s[2:3], 0x8
	s_load_b128 s[12:15], s[2:3], 0x18
	s_load_b128 s[4:7], s[2:3], 0x38
	s_mov_b64 s[16:17], src_shared_base
	s_lshl_b32 s16, s10, 11
	s_add_nc_u64 s[8:9], s[2:3], 0x48
	v_dual_mov_b32 v31, v0 :: v_dual_mov_b32 v10, 0
	v_mov_b32_e32 v11, s17
	s_wait_kmcnt 0x0
	s_lshr_b64 s[2:3], s[18:19], 11
	s_sub_co_i32 s16, s18, s16
	s_cmp_eq_u64 s[2:3], s[10:11]
	v_dual_mov_b32 v6, s4 :: v_dual_mov_b32 v7, s5
	s_cselect_b32 s18, -1, 0
	s_lshl_b64 s[10:11], s[10:11], 14
	v_cndmask_b32_e64 v1, 0, 1, s18
	s_add_nc_u64 s[12:13], s[12:13], s[10:11]
	s_add_nc_u64 s[10:11], s[14:15], s[10:11]
	v_dual_mov_b32 v8, s6 :: v_dual_mov_b32 v9, s7
	v_dual_mov_b32 v0, s16 :: v_dual_mov_b32 v2, s12
	;; [unrolled: 1-line block ×3, first 2 shown]
	v_mov_b32_e32 v5, s11
	s_get_pc_i64 s[2:3]
	s_add_nc_u64 s[2:3], s[2:3], _ZN7rocprim17ROCPRIM_400000_NS6detail15block_sort_implIlNS0_10empty_typeELj256ELj8ELNS0_4arch9wavefront6targetE0EvE4sortIPlS9_PS3_SA_ZN2at6native12_GLOBAL__N_124unique_dim_cuda_templateIN3c108BFloat16EEESt5tupleIJNSB_6TensorESI_SI_EERKSI_lbbbEUlllE_EEvjbT_T0_T1_T2_T3_RNS7_12storage_typeE@rel64+4
	s_mov_b64 s[6:7], s[0:1]
	s_swap_pc_i64 s[30:31], s[2:3]
.LBB1116_2:
	s_endpgm
	.section	.rodata,"a",@progbits
	.p2align	6, 0x0
	.amdhsa_kernel _ZN7rocprim17ROCPRIM_400000_NS6detail17trampoline_kernelINS0_14default_configENS1_37merge_sort_block_sort_config_selectorIlNS0_10empty_typeEEEZNS1_21merge_sort_block_sortIS3_PlS8_PS5_S9_ZN2at6native12_GLOBAL__N_124unique_dim_cuda_templateIN3c108BFloat16EEESt5tupleIJNSA_6TensorESH_SH_EERKSH_lbbbEUlllE_EE10hipError_tT0_T1_T2_T3_mRjT4_P12ihipStream_tbNS1_7vsmem_tEEUlT_E_NS1_11comp_targetILNS1_3genE0ELNS1_11target_archE4294967295ELNS1_3gpuE0ELNS1_3repE0EEENS1_30default_config_static_selectorELNS0_4arch9wavefront6targetE0EEEvSO_
		.amdhsa_group_segment_fixed_size 16896
		.amdhsa_private_segment_fixed_size 0
		.amdhsa_kernarg_size 328
		.amdhsa_user_sgpr_count 4
		.amdhsa_user_sgpr_dispatch_ptr 0
		.amdhsa_user_sgpr_queue_ptr 1
		.amdhsa_user_sgpr_kernarg_segment_ptr 1
		.amdhsa_user_sgpr_dispatch_id 0
		.amdhsa_user_sgpr_kernarg_preload_length 0
		.amdhsa_user_sgpr_kernarg_preload_offset 0
		.amdhsa_user_sgpr_private_segment_size 0
		.amdhsa_wavefront_size32 1
		.amdhsa_uses_dynamic_stack 0
		.amdhsa_enable_private_segment 0
		.amdhsa_system_sgpr_workgroup_id_x 1
		.amdhsa_system_sgpr_workgroup_id_y 1
		.amdhsa_system_sgpr_workgroup_id_z 1
		.amdhsa_system_sgpr_workgroup_info 0
		.amdhsa_system_vgpr_workitem_id 2
		.amdhsa_next_free_vgpr 120
		.amdhsa_next_free_sgpr 44
		.amdhsa_named_barrier_count 0
		.amdhsa_reserve_vcc 1
		.amdhsa_float_round_mode_32 0
		.amdhsa_float_round_mode_16_64 0
		.amdhsa_float_denorm_mode_32 3
		.amdhsa_float_denorm_mode_16_64 3
		.amdhsa_fp16_overflow 0
		.amdhsa_memory_ordered 1
		.amdhsa_forward_progress 1
		.amdhsa_inst_pref_size 3
		.amdhsa_round_robin_scheduling 0
		.amdhsa_exception_fp_ieee_invalid_op 0
		.amdhsa_exception_fp_denorm_src 0
		.amdhsa_exception_fp_ieee_div_zero 0
		.amdhsa_exception_fp_ieee_overflow 0
		.amdhsa_exception_fp_ieee_underflow 0
		.amdhsa_exception_fp_ieee_inexact 0
		.amdhsa_exception_int_div_zero 0
	.end_amdhsa_kernel
	.section	.text._ZN7rocprim17ROCPRIM_400000_NS6detail17trampoline_kernelINS0_14default_configENS1_37merge_sort_block_sort_config_selectorIlNS0_10empty_typeEEEZNS1_21merge_sort_block_sortIS3_PlS8_PS5_S9_ZN2at6native12_GLOBAL__N_124unique_dim_cuda_templateIN3c108BFloat16EEESt5tupleIJNSA_6TensorESH_SH_EERKSH_lbbbEUlllE_EE10hipError_tT0_T1_T2_T3_mRjT4_P12ihipStream_tbNS1_7vsmem_tEEUlT_E_NS1_11comp_targetILNS1_3genE0ELNS1_11target_archE4294967295ELNS1_3gpuE0ELNS1_3repE0EEENS1_30default_config_static_selectorELNS0_4arch9wavefront6targetE0EEEvSO_,"axG",@progbits,_ZN7rocprim17ROCPRIM_400000_NS6detail17trampoline_kernelINS0_14default_configENS1_37merge_sort_block_sort_config_selectorIlNS0_10empty_typeEEEZNS1_21merge_sort_block_sortIS3_PlS8_PS5_S9_ZN2at6native12_GLOBAL__N_124unique_dim_cuda_templateIN3c108BFloat16EEESt5tupleIJNSA_6TensorESH_SH_EERKSH_lbbbEUlllE_EE10hipError_tT0_T1_T2_T3_mRjT4_P12ihipStream_tbNS1_7vsmem_tEEUlT_E_NS1_11comp_targetILNS1_3genE0ELNS1_11target_archE4294967295ELNS1_3gpuE0ELNS1_3repE0EEENS1_30default_config_static_selectorELNS0_4arch9wavefront6targetE0EEEvSO_,comdat
.Lfunc_end1116:
	.size	_ZN7rocprim17ROCPRIM_400000_NS6detail17trampoline_kernelINS0_14default_configENS1_37merge_sort_block_sort_config_selectorIlNS0_10empty_typeEEEZNS1_21merge_sort_block_sortIS3_PlS8_PS5_S9_ZN2at6native12_GLOBAL__N_124unique_dim_cuda_templateIN3c108BFloat16EEESt5tupleIJNSA_6TensorESH_SH_EERKSH_lbbbEUlllE_EE10hipError_tT0_T1_T2_T3_mRjT4_P12ihipStream_tbNS1_7vsmem_tEEUlT_E_NS1_11comp_targetILNS1_3genE0ELNS1_11target_archE4294967295ELNS1_3gpuE0ELNS1_3repE0EEENS1_30default_config_static_selectorELNS0_4arch9wavefront6targetE0EEEvSO_, .Lfunc_end1116-_ZN7rocprim17ROCPRIM_400000_NS6detail17trampoline_kernelINS0_14default_configENS1_37merge_sort_block_sort_config_selectorIlNS0_10empty_typeEEEZNS1_21merge_sort_block_sortIS3_PlS8_PS5_S9_ZN2at6native12_GLOBAL__N_124unique_dim_cuda_templateIN3c108BFloat16EEESt5tupleIJNSA_6TensorESH_SH_EERKSH_lbbbEUlllE_EE10hipError_tT0_T1_T2_T3_mRjT4_P12ihipStream_tbNS1_7vsmem_tEEUlT_E_NS1_11comp_targetILNS1_3genE0ELNS1_11target_archE4294967295ELNS1_3gpuE0ELNS1_3repE0EEENS1_30default_config_static_selectorELNS0_4arch9wavefront6targetE0EEEvSO_
                                        ; -- End function
	.set _ZN7rocprim17ROCPRIM_400000_NS6detail17trampoline_kernelINS0_14default_configENS1_37merge_sort_block_sort_config_selectorIlNS0_10empty_typeEEEZNS1_21merge_sort_block_sortIS3_PlS8_PS5_S9_ZN2at6native12_GLOBAL__N_124unique_dim_cuda_templateIN3c108BFloat16EEESt5tupleIJNSA_6TensorESH_SH_EERKSH_lbbbEUlllE_EE10hipError_tT0_T1_T2_T3_mRjT4_P12ihipStream_tbNS1_7vsmem_tEEUlT_E_NS1_11comp_targetILNS1_3genE0ELNS1_11target_archE4294967295ELNS1_3gpuE0ELNS1_3repE0EEENS1_30default_config_static_selectorELNS0_4arch9wavefront6targetE0EEEvSO_.num_vgpr, max(32, .L_ZN7rocprim17ROCPRIM_400000_NS6detail15block_sort_implIlNS0_10empty_typeELj256ELj8ELNS0_4arch9wavefront6targetE0EvE4sortIPlS9_PS3_SA_ZN2at6native12_GLOBAL__N_124unique_dim_cuda_templateIN3c108BFloat16EEESt5tupleIJNSB_6TensorESI_SI_EERKSI_lbbbEUlllE_EEvjbT_T0_T1_T2_T3_RNS7_12storage_typeE.num_vgpr)
	.set _ZN7rocprim17ROCPRIM_400000_NS6detail17trampoline_kernelINS0_14default_configENS1_37merge_sort_block_sort_config_selectorIlNS0_10empty_typeEEEZNS1_21merge_sort_block_sortIS3_PlS8_PS5_S9_ZN2at6native12_GLOBAL__N_124unique_dim_cuda_templateIN3c108BFloat16EEESt5tupleIJNSA_6TensorESH_SH_EERKSH_lbbbEUlllE_EE10hipError_tT0_T1_T2_T3_mRjT4_P12ihipStream_tbNS1_7vsmem_tEEUlT_E_NS1_11comp_targetILNS1_3genE0ELNS1_11target_archE4294967295ELNS1_3gpuE0ELNS1_3repE0EEENS1_30default_config_static_selectorELNS0_4arch9wavefront6targetE0EEEvSO_.num_agpr, max(0, .L_ZN7rocprim17ROCPRIM_400000_NS6detail15block_sort_implIlNS0_10empty_typeELj256ELj8ELNS0_4arch9wavefront6targetE0EvE4sortIPlS9_PS3_SA_ZN2at6native12_GLOBAL__N_124unique_dim_cuda_templateIN3c108BFloat16EEESt5tupleIJNSB_6TensorESI_SI_EERKSI_lbbbEUlllE_EEvjbT_T0_T1_T2_T3_RNS7_12storage_typeE.num_agpr)
	.set _ZN7rocprim17ROCPRIM_400000_NS6detail17trampoline_kernelINS0_14default_configENS1_37merge_sort_block_sort_config_selectorIlNS0_10empty_typeEEEZNS1_21merge_sort_block_sortIS3_PlS8_PS5_S9_ZN2at6native12_GLOBAL__N_124unique_dim_cuda_templateIN3c108BFloat16EEESt5tupleIJNSA_6TensorESH_SH_EERKSH_lbbbEUlllE_EE10hipError_tT0_T1_T2_T3_mRjT4_P12ihipStream_tbNS1_7vsmem_tEEUlT_E_NS1_11comp_targetILNS1_3genE0ELNS1_11target_archE4294967295ELNS1_3gpuE0ELNS1_3repE0EEENS1_30default_config_static_selectorELNS0_4arch9wavefront6targetE0EEEvSO_.numbered_sgpr, max(33, .L_ZN7rocprim17ROCPRIM_400000_NS6detail15block_sort_implIlNS0_10empty_typeELj256ELj8ELNS0_4arch9wavefront6targetE0EvE4sortIPlS9_PS3_SA_ZN2at6native12_GLOBAL__N_124unique_dim_cuda_templateIN3c108BFloat16EEESt5tupleIJNSB_6TensorESI_SI_EERKSI_lbbbEUlllE_EEvjbT_T0_T1_T2_T3_RNS7_12storage_typeE.numbered_sgpr)
	.set _ZN7rocprim17ROCPRIM_400000_NS6detail17trampoline_kernelINS0_14default_configENS1_37merge_sort_block_sort_config_selectorIlNS0_10empty_typeEEEZNS1_21merge_sort_block_sortIS3_PlS8_PS5_S9_ZN2at6native12_GLOBAL__N_124unique_dim_cuda_templateIN3c108BFloat16EEESt5tupleIJNSA_6TensorESH_SH_EERKSH_lbbbEUlllE_EE10hipError_tT0_T1_T2_T3_mRjT4_P12ihipStream_tbNS1_7vsmem_tEEUlT_E_NS1_11comp_targetILNS1_3genE0ELNS1_11target_archE4294967295ELNS1_3gpuE0ELNS1_3repE0EEENS1_30default_config_static_selectorELNS0_4arch9wavefront6targetE0EEEvSO_.num_named_barrier, max(0, .L_ZN7rocprim17ROCPRIM_400000_NS6detail15block_sort_implIlNS0_10empty_typeELj256ELj8ELNS0_4arch9wavefront6targetE0EvE4sortIPlS9_PS3_SA_ZN2at6native12_GLOBAL__N_124unique_dim_cuda_templateIN3c108BFloat16EEESt5tupleIJNSB_6TensorESI_SI_EERKSI_lbbbEUlllE_EEvjbT_T0_T1_T2_T3_RNS7_12storage_typeE.num_named_barrier)
	.set _ZN7rocprim17ROCPRIM_400000_NS6detail17trampoline_kernelINS0_14default_configENS1_37merge_sort_block_sort_config_selectorIlNS0_10empty_typeEEEZNS1_21merge_sort_block_sortIS3_PlS8_PS5_S9_ZN2at6native12_GLOBAL__N_124unique_dim_cuda_templateIN3c108BFloat16EEESt5tupleIJNSA_6TensorESH_SH_EERKSH_lbbbEUlllE_EE10hipError_tT0_T1_T2_T3_mRjT4_P12ihipStream_tbNS1_7vsmem_tEEUlT_E_NS1_11comp_targetILNS1_3genE0ELNS1_11target_archE4294967295ELNS1_3gpuE0ELNS1_3repE0EEENS1_30default_config_static_selectorELNS0_4arch9wavefront6targetE0EEEvSO_.private_seg_size, 0+max(.L_ZN7rocprim17ROCPRIM_400000_NS6detail15block_sort_implIlNS0_10empty_typeELj256ELj8ELNS0_4arch9wavefront6targetE0EvE4sortIPlS9_PS3_SA_ZN2at6native12_GLOBAL__N_124unique_dim_cuda_templateIN3c108BFloat16EEESt5tupleIJNSB_6TensorESI_SI_EERKSI_lbbbEUlllE_EEvjbT_T0_T1_T2_T3_RNS7_12storage_typeE.private_seg_size)
	.set _ZN7rocprim17ROCPRIM_400000_NS6detail17trampoline_kernelINS0_14default_configENS1_37merge_sort_block_sort_config_selectorIlNS0_10empty_typeEEEZNS1_21merge_sort_block_sortIS3_PlS8_PS5_S9_ZN2at6native12_GLOBAL__N_124unique_dim_cuda_templateIN3c108BFloat16EEESt5tupleIJNSA_6TensorESH_SH_EERKSH_lbbbEUlllE_EE10hipError_tT0_T1_T2_T3_mRjT4_P12ihipStream_tbNS1_7vsmem_tEEUlT_E_NS1_11comp_targetILNS1_3genE0ELNS1_11target_archE4294967295ELNS1_3gpuE0ELNS1_3repE0EEENS1_30default_config_static_selectorELNS0_4arch9wavefront6targetE0EEEvSO_.uses_vcc, or(1, .L_ZN7rocprim17ROCPRIM_400000_NS6detail15block_sort_implIlNS0_10empty_typeELj256ELj8ELNS0_4arch9wavefront6targetE0EvE4sortIPlS9_PS3_SA_ZN2at6native12_GLOBAL__N_124unique_dim_cuda_templateIN3c108BFloat16EEESt5tupleIJNSB_6TensorESI_SI_EERKSI_lbbbEUlllE_EEvjbT_T0_T1_T2_T3_RNS7_12storage_typeE.uses_vcc)
	.set _ZN7rocprim17ROCPRIM_400000_NS6detail17trampoline_kernelINS0_14default_configENS1_37merge_sort_block_sort_config_selectorIlNS0_10empty_typeEEEZNS1_21merge_sort_block_sortIS3_PlS8_PS5_S9_ZN2at6native12_GLOBAL__N_124unique_dim_cuda_templateIN3c108BFloat16EEESt5tupleIJNSA_6TensorESH_SH_EERKSH_lbbbEUlllE_EE10hipError_tT0_T1_T2_T3_mRjT4_P12ihipStream_tbNS1_7vsmem_tEEUlT_E_NS1_11comp_targetILNS1_3genE0ELNS1_11target_archE4294967295ELNS1_3gpuE0ELNS1_3repE0EEENS1_30default_config_static_selectorELNS0_4arch9wavefront6targetE0EEEvSO_.uses_flat_scratch, or(0, .L_ZN7rocprim17ROCPRIM_400000_NS6detail15block_sort_implIlNS0_10empty_typeELj256ELj8ELNS0_4arch9wavefront6targetE0EvE4sortIPlS9_PS3_SA_ZN2at6native12_GLOBAL__N_124unique_dim_cuda_templateIN3c108BFloat16EEESt5tupleIJNSB_6TensorESI_SI_EERKSI_lbbbEUlllE_EEvjbT_T0_T1_T2_T3_RNS7_12storage_typeE.uses_flat_scratch)
	.set _ZN7rocprim17ROCPRIM_400000_NS6detail17trampoline_kernelINS0_14default_configENS1_37merge_sort_block_sort_config_selectorIlNS0_10empty_typeEEEZNS1_21merge_sort_block_sortIS3_PlS8_PS5_S9_ZN2at6native12_GLOBAL__N_124unique_dim_cuda_templateIN3c108BFloat16EEESt5tupleIJNSA_6TensorESH_SH_EERKSH_lbbbEUlllE_EE10hipError_tT0_T1_T2_T3_mRjT4_P12ihipStream_tbNS1_7vsmem_tEEUlT_E_NS1_11comp_targetILNS1_3genE0ELNS1_11target_archE4294967295ELNS1_3gpuE0ELNS1_3repE0EEENS1_30default_config_static_selectorELNS0_4arch9wavefront6targetE0EEEvSO_.has_dyn_sized_stack, or(0, .L_ZN7rocprim17ROCPRIM_400000_NS6detail15block_sort_implIlNS0_10empty_typeELj256ELj8ELNS0_4arch9wavefront6targetE0EvE4sortIPlS9_PS3_SA_ZN2at6native12_GLOBAL__N_124unique_dim_cuda_templateIN3c108BFloat16EEESt5tupleIJNSB_6TensorESI_SI_EERKSI_lbbbEUlllE_EEvjbT_T0_T1_T2_T3_RNS7_12storage_typeE.has_dyn_sized_stack)
	.set _ZN7rocprim17ROCPRIM_400000_NS6detail17trampoline_kernelINS0_14default_configENS1_37merge_sort_block_sort_config_selectorIlNS0_10empty_typeEEEZNS1_21merge_sort_block_sortIS3_PlS8_PS5_S9_ZN2at6native12_GLOBAL__N_124unique_dim_cuda_templateIN3c108BFloat16EEESt5tupleIJNSA_6TensorESH_SH_EERKSH_lbbbEUlllE_EE10hipError_tT0_T1_T2_T3_mRjT4_P12ihipStream_tbNS1_7vsmem_tEEUlT_E_NS1_11comp_targetILNS1_3genE0ELNS1_11target_archE4294967295ELNS1_3gpuE0ELNS1_3repE0EEENS1_30default_config_static_selectorELNS0_4arch9wavefront6targetE0EEEvSO_.has_recursion, or(0, .L_ZN7rocprim17ROCPRIM_400000_NS6detail15block_sort_implIlNS0_10empty_typeELj256ELj8ELNS0_4arch9wavefront6targetE0EvE4sortIPlS9_PS3_SA_ZN2at6native12_GLOBAL__N_124unique_dim_cuda_templateIN3c108BFloat16EEESt5tupleIJNSB_6TensorESI_SI_EERKSI_lbbbEUlllE_EEvjbT_T0_T1_T2_T3_RNS7_12storage_typeE.has_recursion)
	.set _ZN7rocprim17ROCPRIM_400000_NS6detail17trampoline_kernelINS0_14default_configENS1_37merge_sort_block_sort_config_selectorIlNS0_10empty_typeEEEZNS1_21merge_sort_block_sortIS3_PlS8_PS5_S9_ZN2at6native12_GLOBAL__N_124unique_dim_cuda_templateIN3c108BFloat16EEESt5tupleIJNSA_6TensorESH_SH_EERKSH_lbbbEUlllE_EE10hipError_tT0_T1_T2_T3_mRjT4_P12ihipStream_tbNS1_7vsmem_tEEUlT_E_NS1_11comp_targetILNS1_3genE0ELNS1_11target_archE4294967295ELNS1_3gpuE0ELNS1_3repE0EEENS1_30default_config_static_selectorELNS0_4arch9wavefront6targetE0EEEvSO_.has_indirect_call, or(0, .L_ZN7rocprim17ROCPRIM_400000_NS6detail15block_sort_implIlNS0_10empty_typeELj256ELj8ELNS0_4arch9wavefront6targetE0EvE4sortIPlS9_PS3_SA_ZN2at6native12_GLOBAL__N_124unique_dim_cuda_templateIN3c108BFloat16EEESt5tupleIJNSB_6TensorESI_SI_EERKSI_lbbbEUlllE_EEvjbT_T0_T1_T2_T3_RNS7_12storage_typeE.has_indirect_call)
	.section	.AMDGPU.csdata,"",@progbits
; Kernel info:
; codeLenInByte = 336
; TotalNumSgprs: 46
; NumVgprs: 120
; ScratchSize: 0
; MemoryBound: 0
; FloatMode: 240
; IeeeMode: 1
; LDSByteSize: 16896 bytes/workgroup (compile time only)
; SGPRBlocks: 0
; VGPRBlocks: 7
; NumSGPRsForWavesPerEU: 46
; NumVGPRsForWavesPerEU: 120
; NamedBarCnt: 0
; Occupancy: 8
; WaveLimiterHint : 1
; COMPUTE_PGM_RSRC2:SCRATCH_EN: 0
; COMPUTE_PGM_RSRC2:USER_SGPR: 4
; COMPUTE_PGM_RSRC2:TRAP_HANDLER: 0
; COMPUTE_PGM_RSRC2:TGID_X_EN: 1
; COMPUTE_PGM_RSRC2:TGID_Y_EN: 1
; COMPUTE_PGM_RSRC2:TGID_Z_EN: 1
; COMPUTE_PGM_RSRC2:TIDIG_COMP_CNT: 2
	.section	.text._ZN7rocprim17ROCPRIM_400000_NS6detail17trampoline_kernelINS0_14default_configENS1_37merge_sort_block_sort_config_selectorIlNS0_10empty_typeEEEZNS1_21merge_sort_block_sortIS3_PlS8_PS5_S9_ZN2at6native12_GLOBAL__N_124unique_dim_cuda_templateIN3c108BFloat16EEESt5tupleIJNSA_6TensorESH_SH_EERKSH_lbbbEUlllE_EE10hipError_tT0_T1_T2_T3_mRjT4_P12ihipStream_tbNS1_7vsmem_tEEUlT_E_NS1_11comp_targetILNS1_3genE5ELNS1_11target_archE942ELNS1_3gpuE9ELNS1_3repE0EEENS1_30default_config_static_selectorELNS0_4arch9wavefront6targetE0EEEvSO_,"axG",@progbits,_ZN7rocprim17ROCPRIM_400000_NS6detail17trampoline_kernelINS0_14default_configENS1_37merge_sort_block_sort_config_selectorIlNS0_10empty_typeEEEZNS1_21merge_sort_block_sortIS3_PlS8_PS5_S9_ZN2at6native12_GLOBAL__N_124unique_dim_cuda_templateIN3c108BFloat16EEESt5tupleIJNSA_6TensorESH_SH_EERKSH_lbbbEUlllE_EE10hipError_tT0_T1_T2_T3_mRjT4_P12ihipStream_tbNS1_7vsmem_tEEUlT_E_NS1_11comp_targetILNS1_3genE5ELNS1_11target_archE942ELNS1_3gpuE9ELNS1_3repE0EEENS1_30default_config_static_selectorELNS0_4arch9wavefront6targetE0EEEvSO_,comdat
	.globl	_ZN7rocprim17ROCPRIM_400000_NS6detail17trampoline_kernelINS0_14default_configENS1_37merge_sort_block_sort_config_selectorIlNS0_10empty_typeEEEZNS1_21merge_sort_block_sortIS3_PlS8_PS5_S9_ZN2at6native12_GLOBAL__N_124unique_dim_cuda_templateIN3c108BFloat16EEESt5tupleIJNSA_6TensorESH_SH_EERKSH_lbbbEUlllE_EE10hipError_tT0_T1_T2_T3_mRjT4_P12ihipStream_tbNS1_7vsmem_tEEUlT_E_NS1_11comp_targetILNS1_3genE5ELNS1_11target_archE942ELNS1_3gpuE9ELNS1_3repE0EEENS1_30default_config_static_selectorELNS0_4arch9wavefront6targetE0EEEvSO_ ; -- Begin function _ZN7rocprim17ROCPRIM_400000_NS6detail17trampoline_kernelINS0_14default_configENS1_37merge_sort_block_sort_config_selectorIlNS0_10empty_typeEEEZNS1_21merge_sort_block_sortIS3_PlS8_PS5_S9_ZN2at6native12_GLOBAL__N_124unique_dim_cuda_templateIN3c108BFloat16EEESt5tupleIJNSA_6TensorESH_SH_EERKSH_lbbbEUlllE_EE10hipError_tT0_T1_T2_T3_mRjT4_P12ihipStream_tbNS1_7vsmem_tEEUlT_E_NS1_11comp_targetILNS1_3genE5ELNS1_11target_archE942ELNS1_3gpuE9ELNS1_3repE0EEENS1_30default_config_static_selectorELNS0_4arch9wavefront6targetE0EEEvSO_
	.p2align	8
	.type	_ZN7rocprim17ROCPRIM_400000_NS6detail17trampoline_kernelINS0_14default_configENS1_37merge_sort_block_sort_config_selectorIlNS0_10empty_typeEEEZNS1_21merge_sort_block_sortIS3_PlS8_PS5_S9_ZN2at6native12_GLOBAL__N_124unique_dim_cuda_templateIN3c108BFloat16EEESt5tupleIJNSA_6TensorESH_SH_EERKSH_lbbbEUlllE_EE10hipError_tT0_T1_T2_T3_mRjT4_P12ihipStream_tbNS1_7vsmem_tEEUlT_E_NS1_11comp_targetILNS1_3genE5ELNS1_11target_archE942ELNS1_3gpuE9ELNS1_3repE0EEENS1_30default_config_static_selectorELNS0_4arch9wavefront6targetE0EEEvSO_,@function
_ZN7rocprim17ROCPRIM_400000_NS6detail17trampoline_kernelINS0_14default_configENS1_37merge_sort_block_sort_config_selectorIlNS0_10empty_typeEEEZNS1_21merge_sort_block_sortIS3_PlS8_PS5_S9_ZN2at6native12_GLOBAL__N_124unique_dim_cuda_templateIN3c108BFloat16EEESt5tupleIJNSA_6TensorESH_SH_EERKSH_lbbbEUlllE_EE10hipError_tT0_T1_T2_T3_mRjT4_P12ihipStream_tbNS1_7vsmem_tEEUlT_E_NS1_11comp_targetILNS1_3genE5ELNS1_11target_archE942ELNS1_3gpuE9ELNS1_3repE0EEENS1_30default_config_static_selectorELNS0_4arch9wavefront6targetE0EEEvSO_: ; @_ZN7rocprim17ROCPRIM_400000_NS6detail17trampoline_kernelINS0_14default_configENS1_37merge_sort_block_sort_config_selectorIlNS0_10empty_typeEEEZNS1_21merge_sort_block_sortIS3_PlS8_PS5_S9_ZN2at6native12_GLOBAL__N_124unique_dim_cuda_templateIN3c108BFloat16EEESt5tupleIJNSA_6TensorESH_SH_EERKSH_lbbbEUlllE_EE10hipError_tT0_T1_T2_T3_mRjT4_P12ihipStream_tbNS1_7vsmem_tEEUlT_E_NS1_11comp_targetILNS1_3genE5ELNS1_11target_archE942ELNS1_3gpuE9ELNS1_3repE0EEENS1_30default_config_static_selectorELNS0_4arch9wavefront6targetE0EEEvSO_
; %bb.0:
	.section	.rodata,"a",@progbits
	.p2align	6, 0x0
	.amdhsa_kernel _ZN7rocprim17ROCPRIM_400000_NS6detail17trampoline_kernelINS0_14default_configENS1_37merge_sort_block_sort_config_selectorIlNS0_10empty_typeEEEZNS1_21merge_sort_block_sortIS3_PlS8_PS5_S9_ZN2at6native12_GLOBAL__N_124unique_dim_cuda_templateIN3c108BFloat16EEESt5tupleIJNSA_6TensorESH_SH_EERKSH_lbbbEUlllE_EE10hipError_tT0_T1_T2_T3_mRjT4_P12ihipStream_tbNS1_7vsmem_tEEUlT_E_NS1_11comp_targetILNS1_3genE5ELNS1_11target_archE942ELNS1_3gpuE9ELNS1_3repE0EEENS1_30default_config_static_selectorELNS0_4arch9wavefront6targetE0EEEvSO_
		.amdhsa_group_segment_fixed_size 0
		.amdhsa_private_segment_fixed_size 0
		.amdhsa_kernarg_size 72
		.amdhsa_user_sgpr_count 2
		.amdhsa_user_sgpr_dispatch_ptr 0
		.amdhsa_user_sgpr_queue_ptr 0
		.amdhsa_user_sgpr_kernarg_segment_ptr 1
		.amdhsa_user_sgpr_dispatch_id 0
		.amdhsa_user_sgpr_kernarg_preload_length 0
		.amdhsa_user_sgpr_kernarg_preload_offset 0
		.amdhsa_user_sgpr_private_segment_size 0
		.amdhsa_wavefront_size32 1
		.amdhsa_uses_dynamic_stack 0
		.amdhsa_enable_private_segment 0
		.amdhsa_system_sgpr_workgroup_id_x 1
		.amdhsa_system_sgpr_workgroup_id_y 0
		.amdhsa_system_sgpr_workgroup_id_z 0
		.amdhsa_system_sgpr_workgroup_info 0
		.amdhsa_system_vgpr_workitem_id 0
		.amdhsa_next_free_vgpr 1
		.amdhsa_next_free_sgpr 1
		.amdhsa_named_barrier_count 0
		.amdhsa_reserve_vcc 0
		.amdhsa_float_round_mode_32 0
		.amdhsa_float_round_mode_16_64 0
		.amdhsa_float_denorm_mode_32 3
		.amdhsa_float_denorm_mode_16_64 3
		.amdhsa_fp16_overflow 0
		.amdhsa_memory_ordered 1
		.amdhsa_forward_progress 1
		.amdhsa_inst_pref_size 0
		.amdhsa_round_robin_scheduling 0
		.amdhsa_exception_fp_ieee_invalid_op 0
		.amdhsa_exception_fp_denorm_src 0
		.amdhsa_exception_fp_ieee_div_zero 0
		.amdhsa_exception_fp_ieee_overflow 0
		.amdhsa_exception_fp_ieee_underflow 0
		.amdhsa_exception_fp_ieee_inexact 0
		.amdhsa_exception_int_div_zero 0
	.end_amdhsa_kernel
	.section	.text._ZN7rocprim17ROCPRIM_400000_NS6detail17trampoline_kernelINS0_14default_configENS1_37merge_sort_block_sort_config_selectorIlNS0_10empty_typeEEEZNS1_21merge_sort_block_sortIS3_PlS8_PS5_S9_ZN2at6native12_GLOBAL__N_124unique_dim_cuda_templateIN3c108BFloat16EEESt5tupleIJNSA_6TensorESH_SH_EERKSH_lbbbEUlllE_EE10hipError_tT0_T1_T2_T3_mRjT4_P12ihipStream_tbNS1_7vsmem_tEEUlT_E_NS1_11comp_targetILNS1_3genE5ELNS1_11target_archE942ELNS1_3gpuE9ELNS1_3repE0EEENS1_30default_config_static_selectorELNS0_4arch9wavefront6targetE0EEEvSO_,"axG",@progbits,_ZN7rocprim17ROCPRIM_400000_NS6detail17trampoline_kernelINS0_14default_configENS1_37merge_sort_block_sort_config_selectorIlNS0_10empty_typeEEEZNS1_21merge_sort_block_sortIS3_PlS8_PS5_S9_ZN2at6native12_GLOBAL__N_124unique_dim_cuda_templateIN3c108BFloat16EEESt5tupleIJNSA_6TensorESH_SH_EERKSH_lbbbEUlllE_EE10hipError_tT0_T1_T2_T3_mRjT4_P12ihipStream_tbNS1_7vsmem_tEEUlT_E_NS1_11comp_targetILNS1_3genE5ELNS1_11target_archE942ELNS1_3gpuE9ELNS1_3repE0EEENS1_30default_config_static_selectorELNS0_4arch9wavefront6targetE0EEEvSO_,comdat
.Lfunc_end1117:
	.size	_ZN7rocprim17ROCPRIM_400000_NS6detail17trampoline_kernelINS0_14default_configENS1_37merge_sort_block_sort_config_selectorIlNS0_10empty_typeEEEZNS1_21merge_sort_block_sortIS3_PlS8_PS5_S9_ZN2at6native12_GLOBAL__N_124unique_dim_cuda_templateIN3c108BFloat16EEESt5tupleIJNSA_6TensorESH_SH_EERKSH_lbbbEUlllE_EE10hipError_tT0_T1_T2_T3_mRjT4_P12ihipStream_tbNS1_7vsmem_tEEUlT_E_NS1_11comp_targetILNS1_3genE5ELNS1_11target_archE942ELNS1_3gpuE9ELNS1_3repE0EEENS1_30default_config_static_selectorELNS0_4arch9wavefront6targetE0EEEvSO_, .Lfunc_end1117-_ZN7rocprim17ROCPRIM_400000_NS6detail17trampoline_kernelINS0_14default_configENS1_37merge_sort_block_sort_config_selectorIlNS0_10empty_typeEEEZNS1_21merge_sort_block_sortIS3_PlS8_PS5_S9_ZN2at6native12_GLOBAL__N_124unique_dim_cuda_templateIN3c108BFloat16EEESt5tupleIJNSA_6TensorESH_SH_EERKSH_lbbbEUlllE_EE10hipError_tT0_T1_T2_T3_mRjT4_P12ihipStream_tbNS1_7vsmem_tEEUlT_E_NS1_11comp_targetILNS1_3genE5ELNS1_11target_archE942ELNS1_3gpuE9ELNS1_3repE0EEENS1_30default_config_static_selectorELNS0_4arch9wavefront6targetE0EEEvSO_
                                        ; -- End function
	.set _ZN7rocprim17ROCPRIM_400000_NS6detail17trampoline_kernelINS0_14default_configENS1_37merge_sort_block_sort_config_selectorIlNS0_10empty_typeEEEZNS1_21merge_sort_block_sortIS3_PlS8_PS5_S9_ZN2at6native12_GLOBAL__N_124unique_dim_cuda_templateIN3c108BFloat16EEESt5tupleIJNSA_6TensorESH_SH_EERKSH_lbbbEUlllE_EE10hipError_tT0_T1_T2_T3_mRjT4_P12ihipStream_tbNS1_7vsmem_tEEUlT_E_NS1_11comp_targetILNS1_3genE5ELNS1_11target_archE942ELNS1_3gpuE9ELNS1_3repE0EEENS1_30default_config_static_selectorELNS0_4arch9wavefront6targetE0EEEvSO_.num_vgpr, 0
	.set _ZN7rocprim17ROCPRIM_400000_NS6detail17trampoline_kernelINS0_14default_configENS1_37merge_sort_block_sort_config_selectorIlNS0_10empty_typeEEEZNS1_21merge_sort_block_sortIS3_PlS8_PS5_S9_ZN2at6native12_GLOBAL__N_124unique_dim_cuda_templateIN3c108BFloat16EEESt5tupleIJNSA_6TensorESH_SH_EERKSH_lbbbEUlllE_EE10hipError_tT0_T1_T2_T3_mRjT4_P12ihipStream_tbNS1_7vsmem_tEEUlT_E_NS1_11comp_targetILNS1_3genE5ELNS1_11target_archE942ELNS1_3gpuE9ELNS1_3repE0EEENS1_30default_config_static_selectorELNS0_4arch9wavefront6targetE0EEEvSO_.num_agpr, 0
	.set _ZN7rocprim17ROCPRIM_400000_NS6detail17trampoline_kernelINS0_14default_configENS1_37merge_sort_block_sort_config_selectorIlNS0_10empty_typeEEEZNS1_21merge_sort_block_sortIS3_PlS8_PS5_S9_ZN2at6native12_GLOBAL__N_124unique_dim_cuda_templateIN3c108BFloat16EEESt5tupleIJNSA_6TensorESH_SH_EERKSH_lbbbEUlllE_EE10hipError_tT0_T1_T2_T3_mRjT4_P12ihipStream_tbNS1_7vsmem_tEEUlT_E_NS1_11comp_targetILNS1_3genE5ELNS1_11target_archE942ELNS1_3gpuE9ELNS1_3repE0EEENS1_30default_config_static_selectorELNS0_4arch9wavefront6targetE0EEEvSO_.numbered_sgpr, 0
	.set _ZN7rocprim17ROCPRIM_400000_NS6detail17trampoline_kernelINS0_14default_configENS1_37merge_sort_block_sort_config_selectorIlNS0_10empty_typeEEEZNS1_21merge_sort_block_sortIS3_PlS8_PS5_S9_ZN2at6native12_GLOBAL__N_124unique_dim_cuda_templateIN3c108BFloat16EEESt5tupleIJNSA_6TensorESH_SH_EERKSH_lbbbEUlllE_EE10hipError_tT0_T1_T2_T3_mRjT4_P12ihipStream_tbNS1_7vsmem_tEEUlT_E_NS1_11comp_targetILNS1_3genE5ELNS1_11target_archE942ELNS1_3gpuE9ELNS1_3repE0EEENS1_30default_config_static_selectorELNS0_4arch9wavefront6targetE0EEEvSO_.num_named_barrier, 0
	.set _ZN7rocprim17ROCPRIM_400000_NS6detail17trampoline_kernelINS0_14default_configENS1_37merge_sort_block_sort_config_selectorIlNS0_10empty_typeEEEZNS1_21merge_sort_block_sortIS3_PlS8_PS5_S9_ZN2at6native12_GLOBAL__N_124unique_dim_cuda_templateIN3c108BFloat16EEESt5tupleIJNSA_6TensorESH_SH_EERKSH_lbbbEUlllE_EE10hipError_tT0_T1_T2_T3_mRjT4_P12ihipStream_tbNS1_7vsmem_tEEUlT_E_NS1_11comp_targetILNS1_3genE5ELNS1_11target_archE942ELNS1_3gpuE9ELNS1_3repE0EEENS1_30default_config_static_selectorELNS0_4arch9wavefront6targetE0EEEvSO_.private_seg_size, 0
	.set _ZN7rocprim17ROCPRIM_400000_NS6detail17trampoline_kernelINS0_14default_configENS1_37merge_sort_block_sort_config_selectorIlNS0_10empty_typeEEEZNS1_21merge_sort_block_sortIS3_PlS8_PS5_S9_ZN2at6native12_GLOBAL__N_124unique_dim_cuda_templateIN3c108BFloat16EEESt5tupleIJNSA_6TensorESH_SH_EERKSH_lbbbEUlllE_EE10hipError_tT0_T1_T2_T3_mRjT4_P12ihipStream_tbNS1_7vsmem_tEEUlT_E_NS1_11comp_targetILNS1_3genE5ELNS1_11target_archE942ELNS1_3gpuE9ELNS1_3repE0EEENS1_30default_config_static_selectorELNS0_4arch9wavefront6targetE0EEEvSO_.uses_vcc, 0
	.set _ZN7rocprim17ROCPRIM_400000_NS6detail17trampoline_kernelINS0_14default_configENS1_37merge_sort_block_sort_config_selectorIlNS0_10empty_typeEEEZNS1_21merge_sort_block_sortIS3_PlS8_PS5_S9_ZN2at6native12_GLOBAL__N_124unique_dim_cuda_templateIN3c108BFloat16EEESt5tupleIJNSA_6TensorESH_SH_EERKSH_lbbbEUlllE_EE10hipError_tT0_T1_T2_T3_mRjT4_P12ihipStream_tbNS1_7vsmem_tEEUlT_E_NS1_11comp_targetILNS1_3genE5ELNS1_11target_archE942ELNS1_3gpuE9ELNS1_3repE0EEENS1_30default_config_static_selectorELNS0_4arch9wavefront6targetE0EEEvSO_.uses_flat_scratch, 0
	.set _ZN7rocprim17ROCPRIM_400000_NS6detail17trampoline_kernelINS0_14default_configENS1_37merge_sort_block_sort_config_selectorIlNS0_10empty_typeEEEZNS1_21merge_sort_block_sortIS3_PlS8_PS5_S9_ZN2at6native12_GLOBAL__N_124unique_dim_cuda_templateIN3c108BFloat16EEESt5tupleIJNSA_6TensorESH_SH_EERKSH_lbbbEUlllE_EE10hipError_tT0_T1_T2_T3_mRjT4_P12ihipStream_tbNS1_7vsmem_tEEUlT_E_NS1_11comp_targetILNS1_3genE5ELNS1_11target_archE942ELNS1_3gpuE9ELNS1_3repE0EEENS1_30default_config_static_selectorELNS0_4arch9wavefront6targetE0EEEvSO_.has_dyn_sized_stack, 0
	.set _ZN7rocprim17ROCPRIM_400000_NS6detail17trampoline_kernelINS0_14default_configENS1_37merge_sort_block_sort_config_selectorIlNS0_10empty_typeEEEZNS1_21merge_sort_block_sortIS3_PlS8_PS5_S9_ZN2at6native12_GLOBAL__N_124unique_dim_cuda_templateIN3c108BFloat16EEESt5tupleIJNSA_6TensorESH_SH_EERKSH_lbbbEUlllE_EE10hipError_tT0_T1_T2_T3_mRjT4_P12ihipStream_tbNS1_7vsmem_tEEUlT_E_NS1_11comp_targetILNS1_3genE5ELNS1_11target_archE942ELNS1_3gpuE9ELNS1_3repE0EEENS1_30default_config_static_selectorELNS0_4arch9wavefront6targetE0EEEvSO_.has_recursion, 0
	.set _ZN7rocprim17ROCPRIM_400000_NS6detail17trampoline_kernelINS0_14default_configENS1_37merge_sort_block_sort_config_selectorIlNS0_10empty_typeEEEZNS1_21merge_sort_block_sortIS3_PlS8_PS5_S9_ZN2at6native12_GLOBAL__N_124unique_dim_cuda_templateIN3c108BFloat16EEESt5tupleIJNSA_6TensorESH_SH_EERKSH_lbbbEUlllE_EE10hipError_tT0_T1_T2_T3_mRjT4_P12ihipStream_tbNS1_7vsmem_tEEUlT_E_NS1_11comp_targetILNS1_3genE5ELNS1_11target_archE942ELNS1_3gpuE9ELNS1_3repE0EEENS1_30default_config_static_selectorELNS0_4arch9wavefront6targetE0EEEvSO_.has_indirect_call, 0
	.section	.AMDGPU.csdata,"",@progbits
; Kernel info:
; codeLenInByte = 0
; TotalNumSgprs: 0
; NumVgprs: 0
; ScratchSize: 0
; MemoryBound: 0
; FloatMode: 240
; IeeeMode: 1
; LDSByteSize: 0 bytes/workgroup (compile time only)
; SGPRBlocks: 0
; VGPRBlocks: 0
; NumSGPRsForWavesPerEU: 1
; NumVGPRsForWavesPerEU: 1
; NamedBarCnt: 0
; Occupancy: 16
; WaveLimiterHint : 0
; COMPUTE_PGM_RSRC2:SCRATCH_EN: 0
; COMPUTE_PGM_RSRC2:USER_SGPR: 2
; COMPUTE_PGM_RSRC2:TRAP_HANDLER: 0
; COMPUTE_PGM_RSRC2:TGID_X_EN: 1
; COMPUTE_PGM_RSRC2:TGID_Y_EN: 0
; COMPUTE_PGM_RSRC2:TGID_Z_EN: 0
; COMPUTE_PGM_RSRC2:TIDIG_COMP_CNT: 0
	.section	.text._ZN7rocprim17ROCPRIM_400000_NS6detail17trampoline_kernelINS0_14default_configENS1_37merge_sort_block_sort_config_selectorIlNS0_10empty_typeEEEZNS1_21merge_sort_block_sortIS3_PlS8_PS5_S9_ZN2at6native12_GLOBAL__N_124unique_dim_cuda_templateIN3c108BFloat16EEESt5tupleIJNSA_6TensorESH_SH_EERKSH_lbbbEUlllE_EE10hipError_tT0_T1_T2_T3_mRjT4_P12ihipStream_tbNS1_7vsmem_tEEUlT_E_NS1_11comp_targetILNS1_3genE4ELNS1_11target_archE910ELNS1_3gpuE8ELNS1_3repE0EEENS1_30default_config_static_selectorELNS0_4arch9wavefront6targetE0EEEvSO_,"axG",@progbits,_ZN7rocprim17ROCPRIM_400000_NS6detail17trampoline_kernelINS0_14default_configENS1_37merge_sort_block_sort_config_selectorIlNS0_10empty_typeEEEZNS1_21merge_sort_block_sortIS3_PlS8_PS5_S9_ZN2at6native12_GLOBAL__N_124unique_dim_cuda_templateIN3c108BFloat16EEESt5tupleIJNSA_6TensorESH_SH_EERKSH_lbbbEUlllE_EE10hipError_tT0_T1_T2_T3_mRjT4_P12ihipStream_tbNS1_7vsmem_tEEUlT_E_NS1_11comp_targetILNS1_3genE4ELNS1_11target_archE910ELNS1_3gpuE8ELNS1_3repE0EEENS1_30default_config_static_selectorELNS0_4arch9wavefront6targetE0EEEvSO_,comdat
	.globl	_ZN7rocprim17ROCPRIM_400000_NS6detail17trampoline_kernelINS0_14default_configENS1_37merge_sort_block_sort_config_selectorIlNS0_10empty_typeEEEZNS1_21merge_sort_block_sortIS3_PlS8_PS5_S9_ZN2at6native12_GLOBAL__N_124unique_dim_cuda_templateIN3c108BFloat16EEESt5tupleIJNSA_6TensorESH_SH_EERKSH_lbbbEUlllE_EE10hipError_tT0_T1_T2_T3_mRjT4_P12ihipStream_tbNS1_7vsmem_tEEUlT_E_NS1_11comp_targetILNS1_3genE4ELNS1_11target_archE910ELNS1_3gpuE8ELNS1_3repE0EEENS1_30default_config_static_selectorELNS0_4arch9wavefront6targetE0EEEvSO_ ; -- Begin function _ZN7rocprim17ROCPRIM_400000_NS6detail17trampoline_kernelINS0_14default_configENS1_37merge_sort_block_sort_config_selectorIlNS0_10empty_typeEEEZNS1_21merge_sort_block_sortIS3_PlS8_PS5_S9_ZN2at6native12_GLOBAL__N_124unique_dim_cuda_templateIN3c108BFloat16EEESt5tupleIJNSA_6TensorESH_SH_EERKSH_lbbbEUlllE_EE10hipError_tT0_T1_T2_T3_mRjT4_P12ihipStream_tbNS1_7vsmem_tEEUlT_E_NS1_11comp_targetILNS1_3genE4ELNS1_11target_archE910ELNS1_3gpuE8ELNS1_3repE0EEENS1_30default_config_static_selectorELNS0_4arch9wavefront6targetE0EEEvSO_
	.p2align	8
	.type	_ZN7rocprim17ROCPRIM_400000_NS6detail17trampoline_kernelINS0_14default_configENS1_37merge_sort_block_sort_config_selectorIlNS0_10empty_typeEEEZNS1_21merge_sort_block_sortIS3_PlS8_PS5_S9_ZN2at6native12_GLOBAL__N_124unique_dim_cuda_templateIN3c108BFloat16EEESt5tupleIJNSA_6TensorESH_SH_EERKSH_lbbbEUlllE_EE10hipError_tT0_T1_T2_T3_mRjT4_P12ihipStream_tbNS1_7vsmem_tEEUlT_E_NS1_11comp_targetILNS1_3genE4ELNS1_11target_archE910ELNS1_3gpuE8ELNS1_3repE0EEENS1_30default_config_static_selectorELNS0_4arch9wavefront6targetE0EEEvSO_,@function
_ZN7rocprim17ROCPRIM_400000_NS6detail17trampoline_kernelINS0_14default_configENS1_37merge_sort_block_sort_config_selectorIlNS0_10empty_typeEEEZNS1_21merge_sort_block_sortIS3_PlS8_PS5_S9_ZN2at6native12_GLOBAL__N_124unique_dim_cuda_templateIN3c108BFloat16EEESt5tupleIJNSA_6TensorESH_SH_EERKSH_lbbbEUlllE_EE10hipError_tT0_T1_T2_T3_mRjT4_P12ihipStream_tbNS1_7vsmem_tEEUlT_E_NS1_11comp_targetILNS1_3genE4ELNS1_11target_archE910ELNS1_3gpuE8ELNS1_3repE0EEENS1_30default_config_static_selectorELNS0_4arch9wavefront6targetE0EEEvSO_: ; @_ZN7rocprim17ROCPRIM_400000_NS6detail17trampoline_kernelINS0_14default_configENS1_37merge_sort_block_sort_config_selectorIlNS0_10empty_typeEEEZNS1_21merge_sort_block_sortIS3_PlS8_PS5_S9_ZN2at6native12_GLOBAL__N_124unique_dim_cuda_templateIN3c108BFloat16EEESt5tupleIJNSA_6TensorESH_SH_EERKSH_lbbbEUlllE_EE10hipError_tT0_T1_T2_T3_mRjT4_P12ihipStream_tbNS1_7vsmem_tEEUlT_E_NS1_11comp_targetILNS1_3genE4ELNS1_11target_archE910ELNS1_3gpuE8ELNS1_3repE0EEENS1_30default_config_static_selectorELNS0_4arch9wavefront6targetE0EEEvSO_
; %bb.0:
	.section	.rodata,"a",@progbits
	.p2align	6, 0x0
	.amdhsa_kernel _ZN7rocprim17ROCPRIM_400000_NS6detail17trampoline_kernelINS0_14default_configENS1_37merge_sort_block_sort_config_selectorIlNS0_10empty_typeEEEZNS1_21merge_sort_block_sortIS3_PlS8_PS5_S9_ZN2at6native12_GLOBAL__N_124unique_dim_cuda_templateIN3c108BFloat16EEESt5tupleIJNSA_6TensorESH_SH_EERKSH_lbbbEUlllE_EE10hipError_tT0_T1_T2_T3_mRjT4_P12ihipStream_tbNS1_7vsmem_tEEUlT_E_NS1_11comp_targetILNS1_3genE4ELNS1_11target_archE910ELNS1_3gpuE8ELNS1_3repE0EEENS1_30default_config_static_selectorELNS0_4arch9wavefront6targetE0EEEvSO_
		.amdhsa_group_segment_fixed_size 0
		.amdhsa_private_segment_fixed_size 0
		.amdhsa_kernarg_size 72
		.amdhsa_user_sgpr_count 2
		.amdhsa_user_sgpr_dispatch_ptr 0
		.amdhsa_user_sgpr_queue_ptr 0
		.amdhsa_user_sgpr_kernarg_segment_ptr 1
		.amdhsa_user_sgpr_dispatch_id 0
		.amdhsa_user_sgpr_kernarg_preload_length 0
		.amdhsa_user_sgpr_kernarg_preload_offset 0
		.amdhsa_user_sgpr_private_segment_size 0
		.amdhsa_wavefront_size32 1
		.amdhsa_uses_dynamic_stack 0
		.amdhsa_enable_private_segment 0
		.amdhsa_system_sgpr_workgroup_id_x 1
		.amdhsa_system_sgpr_workgroup_id_y 0
		.amdhsa_system_sgpr_workgroup_id_z 0
		.amdhsa_system_sgpr_workgroup_info 0
		.amdhsa_system_vgpr_workitem_id 0
		.amdhsa_next_free_vgpr 1
		.amdhsa_next_free_sgpr 1
		.amdhsa_named_barrier_count 0
		.amdhsa_reserve_vcc 0
		.amdhsa_float_round_mode_32 0
		.amdhsa_float_round_mode_16_64 0
		.amdhsa_float_denorm_mode_32 3
		.amdhsa_float_denorm_mode_16_64 3
		.amdhsa_fp16_overflow 0
		.amdhsa_memory_ordered 1
		.amdhsa_forward_progress 1
		.amdhsa_inst_pref_size 0
		.amdhsa_round_robin_scheduling 0
		.amdhsa_exception_fp_ieee_invalid_op 0
		.amdhsa_exception_fp_denorm_src 0
		.amdhsa_exception_fp_ieee_div_zero 0
		.amdhsa_exception_fp_ieee_overflow 0
		.amdhsa_exception_fp_ieee_underflow 0
		.amdhsa_exception_fp_ieee_inexact 0
		.amdhsa_exception_int_div_zero 0
	.end_amdhsa_kernel
	.section	.text._ZN7rocprim17ROCPRIM_400000_NS6detail17trampoline_kernelINS0_14default_configENS1_37merge_sort_block_sort_config_selectorIlNS0_10empty_typeEEEZNS1_21merge_sort_block_sortIS3_PlS8_PS5_S9_ZN2at6native12_GLOBAL__N_124unique_dim_cuda_templateIN3c108BFloat16EEESt5tupleIJNSA_6TensorESH_SH_EERKSH_lbbbEUlllE_EE10hipError_tT0_T1_T2_T3_mRjT4_P12ihipStream_tbNS1_7vsmem_tEEUlT_E_NS1_11comp_targetILNS1_3genE4ELNS1_11target_archE910ELNS1_3gpuE8ELNS1_3repE0EEENS1_30default_config_static_selectorELNS0_4arch9wavefront6targetE0EEEvSO_,"axG",@progbits,_ZN7rocprim17ROCPRIM_400000_NS6detail17trampoline_kernelINS0_14default_configENS1_37merge_sort_block_sort_config_selectorIlNS0_10empty_typeEEEZNS1_21merge_sort_block_sortIS3_PlS8_PS5_S9_ZN2at6native12_GLOBAL__N_124unique_dim_cuda_templateIN3c108BFloat16EEESt5tupleIJNSA_6TensorESH_SH_EERKSH_lbbbEUlllE_EE10hipError_tT0_T1_T2_T3_mRjT4_P12ihipStream_tbNS1_7vsmem_tEEUlT_E_NS1_11comp_targetILNS1_3genE4ELNS1_11target_archE910ELNS1_3gpuE8ELNS1_3repE0EEENS1_30default_config_static_selectorELNS0_4arch9wavefront6targetE0EEEvSO_,comdat
.Lfunc_end1118:
	.size	_ZN7rocprim17ROCPRIM_400000_NS6detail17trampoline_kernelINS0_14default_configENS1_37merge_sort_block_sort_config_selectorIlNS0_10empty_typeEEEZNS1_21merge_sort_block_sortIS3_PlS8_PS5_S9_ZN2at6native12_GLOBAL__N_124unique_dim_cuda_templateIN3c108BFloat16EEESt5tupleIJNSA_6TensorESH_SH_EERKSH_lbbbEUlllE_EE10hipError_tT0_T1_T2_T3_mRjT4_P12ihipStream_tbNS1_7vsmem_tEEUlT_E_NS1_11comp_targetILNS1_3genE4ELNS1_11target_archE910ELNS1_3gpuE8ELNS1_3repE0EEENS1_30default_config_static_selectorELNS0_4arch9wavefront6targetE0EEEvSO_, .Lfunc_end1118-_ZN7rocprim17ROCPRIM_400000_NS6detail17trampoline_kernelINS0_14default_configENS1_37merge_sort_block_sort_config_selectorIlNS0_10empty_typeEEEZNS1_21merge_sort_block_sortIS3_PlS8_PS5_S9_ZN2at6native12_GLOBAL__N_124unique_dim_cuda_templateIN3c108BFloat16EEESt5tupleIJNSA_6TensorESH_SH_EERKSH_lbbbEUlllE_EE10hipError_tT0_T1_T2_T3_mRjT4_P12ihipStream_tbNS1_7vsmem_tEEUlT_E_NS1_11comp_targetILNS1_3genE4ELNS1_11target_archE910ELNS1_3gpuE8ELNS1_3repE0EEENS1_30default_config_static_selectorELNS0_4arch9wavefront6targetE0EEEvSO_
                                        ; -- End function
	.set _ZN7rocprim17ROCPRIM_400000_NS6detail17trampoline_kernelINS0_14default_configENS1_37merge_sort_block_sort_config_selectorIlNS0_10empty_typeEEEZNS1_21merge_sort_block_sortIS3_PlS8_PS5_S9_ZN2at6native12_GLOBAL__N_124unique_dim_cuda_templateIN3c108BFloat16EEESt5tupleIJNSA_6TensorESH_SH_EERKSH_lbbbEUlllE_EE10hipError_tT0_T1_T2_T3_mRjT4_P12ihipStream_tbNS1_7vsmem_tEEUlT_E_NS1_11comp_targetILNS1_3genE4ELNS1_11target_archE910ELNS1_3gpuE8ELNS1_3repE0EEENS1_30default_config_static_selectorELNS0_4arch9wavefront6targetE0EEEvSO_.num_vgpr, 0
	.set _ZN7rocprim17ROCPRIM_400000_NS6detail17trampoline_kernelINS0_14default_configENS1_37merge_sort_block_sort_config_selectorIlNS0_10empty_typeEEEZNS1_21merge_sort_block_sortIS3_PlS8_PS5_S9_ZN2at6native12_GLOBAL__N_124unique_dim_cuda_templateIN3c108BFloat16EEESt5tupleIJNSA_6TensorESH_SH_EERKSH_lbbbEUlllE_EE10hipError_tT0_T1_T2_T3_mRjT4_P12ihipStream_tbNS1_7vsmem_tEEUlT_E_NS1_11comp_targetILNS1_3genE4ELNS1_11target_archE910ELNS1_3gpuE8ELNS1_3repE0EEENS1_30default_config_static_selectorELNS0_4arch9wavefront6targetE0EEEvSO_.num_agpr, 0
	.set _ZN7rocprim17ROCPRIM_400000_NS6detail17trampoline_kernelINS0_14default_configENS1_37merge_sort_block_sort_config_selectorIlNS0_10empty_typeEEEZNS1_21merge_sort_block_sortIS3_PlS8_PS5_S9_ZN2at6native12_GLOBAL__N_124unique_dim_cuda_templateIN3c108BFloat16EEESt5tupleIJNSA_6TensorESH_SH_EERKSH_lbbbEUlllE_EE10hipError_tT0_T1_T2_T3_mRjT4_P12ihipStream_tbNS1_7vsmem_tEEUlT_E_NS1_11comp_targetILNS1_3genE4ELNS1_11target_archE910ELNS1_3gpuE8ELNS1_3repE0EEENS1_30default_config_static_selectorELNS0_4arch9wavefront6targetE0EEEvSO_.numbered_sgpr, 0
	.set _ZN7rocprim17ROCPRIM_400000_NS6detail17trampoline_kernelINS0_14default_configENS1_37merge_sort_block_sort_config_selectorIlNS0_10empty_typeEEEZNS1_21merge_sort_block_sortIS3_PlS8_PS5_S9_ZN2at6native12_GLOBAL__N_124unique_dim_cuda_templateIN3c108BFloat16EEESt5tupleIJNSA_6TensorESH_SH_EERKSH_lbbbEUlllE_EE10hipError_tT0_T1_T2_T3_mRjT4_P12ihipStream_tbNS1_7vsmem_tEEUlT_E_NS1_11comp_targetILNS1_3genE4ELNS1_11target_archE910ELNS1_3gpuE8ELNS1_3repE0EEENS1_30default_config_static_selectorELNS0_4arch9wavefront6targetE0EEEvSO_.num_named_barrier, 0
	.set _ZN7rocprim17ROCPRIM_400000_NS6detail17trampoline_kernelINS0_14default_configENS1_37merge_sort_block_sort_config_selectorIlNS0_10empty_typeEEEZNS1_21merge_sort_block_sortIS3_PlS8_PS5_S9_ZN2at6native12_GLOBAL__N_124unique_dim_cuda_templateIN3c108BFloat16EEESt5tupleIJNSA_6TensorESH_SH_EERKSH_lbbbEUlllE_EE10hipError_tT0_T1_T2_T3_mRjT4_P12ihipStream_tbNS1_7vsmem_tEEUlT_E_NS1_11comp_targetILNS1_3genE4ELNS1_11target_archE910ELNS1_3gpuE8ELNS1_3repE0EEENS1_30default_config_static_selectorELNS0_4arch9wavefront6targetE0EEEvSO_.private_seg_size, 0
	.set _ZN7rocprim17ROCPRIM_400000_NS6detail17trampoline_kernelINS0_14default_configENS1_37merge_sort_block_sort_config_selectorIlNS0_10empty_typeEEEZNS1_21merge_sort_block_sortIS3_PlS8_PS5_S9_ZN2at6native12_GLOBAL__N_124unique_dim_cuda_templateIN3c108BFloat16EEESt5tupleIJNSA_6TensorESH_SH_EERKSH_lbbbEUlllE_EE10hipError_tT0_T1_T2_T3_mRjT4_P12ihipStream_tbNS1_7vsmem_tEEUlT_E_NS1_11comp_targetILNS1_3genE4ELNS1_11target_archE910ELNS1_3gpuE8ELNS1_3repE0EEENS1_30default_config_static_selectorELNS0_4arch9wavefront6targetE0EEEvSO_.uses_vcc, 0
	.set _ZN7rocprim17ROCPRIM_400000_NS6detail17trampoline_kernelINS0_14default_configENS1_37merge_sort_block_sort_config_selectorIlNS0_10empty_typeEEEZNS1_21merge_sort_block_sortIS3_PlS8_PS5_S9_ZN2at6native12_GLOBAL__N_124unique_dim_cuda_templateIN3c108BFloat16EEESt5tupleIJNSA_6TensorESH_SH_EERKSH_lbbbEUlllE_EE10hipError_tT0_T1_T2_T3_mRjT4_P12ihipStream_tbNS1_7vsmem_tEEUlT_E_NS1_11comp_targetILNS1_3genE4ELNS1_11target_archE910ELNS1_3gpuE8ELNS1_3repE0EEENS1_30default_config_static_selectorELNS0_4arch9wavefront6targetE0EEEvSO_.uses_flat_scratch, 0
	.set _ZN7rocprim17ROCPRIM_400000_NS6detail17trampoline_kernelINS0_14default_configENS1_37merge_sort_block_sort_config_selectorIlNS0_10empty_typeEEEZNS1_21merge_sort_block_sortIS3_PlS8_PS5_S9_ZN2at6native12_GLOBAL__N_124unique_dim_cuda_templateIN3c108BFloat16EEESt5tupleIJNSA_6TensorESH_SH_EERKSH_lbbbEUlllE_EE10hipError_tT0_T1_T2_T3_mRjT4_P12ihipStream_tbNS1_7vsmem_tEEUlT_E_NS1_11comp_targetILNS1_3genE4ELNS1_11target_archE910ELNS1_3gpuE8ELNS1_3repE0EEENS1_30default_config_static_selectorELNS0_4arch9wavefront6targetE0EEEvSO_.has_dyn_sized_stack, 0
	.set _ZN7rocprim17ROCPRIM_400000_NS6detail17trampoline_kernelINS0_14default_configENS1_37merge_sort_block_sort_config_selectorIlNS0_10empty_typeEEEZNS1_21merge_sort_block_sortIS3_PlS8_PS5_S9_ZN2at6native12_GLOBAL__N_124unique_dim_cuda_templateIN3c108BFloat16EEESt5tupleIJNSA_6TensorESH_SH_EERKSH_lbbbEUlllE_EE10hipError_tT0_T1_T2_T3_mRjT4_P12ihipStream_tbNS1_7vsmem_tEEUlT_E_NS1_11comp_targetILNS1_3genE4ELNS1_11target_archE910ELNS1_3gpuE8ELNS1_3repE0EEENS1_30default_config_static_selectorELNS0_4arch9wavefront6targetE0EEEvSO_.has_recursion, 0
	.set _ZN7rocprim17ROCPRIM_400000_NS6detail17trampoline_kernelINS0_14default_configENS1_37merge_sort_block_sort_config_selectorIlNS0_10empty_typeEEEZNS1_21merge_sort_block_sortIS3_PlS8_PS5_S9_ZN2at6native12_GLOBAL__N_124unique_dim_cuda_templateIN3c108BFloat16EEESt5tupleIJNSA_6TensorESH_SH_EERKSH_lbbbEUlllE_EE10hipError_tT0_T1_T2_T3_mRjT4_P12ihipStream_tbNS1_7vsmem_tEEUlT_E_NS1_11comp_targetILNS1_3genE4ELNS1_11target_archE910ELNS1_3gpuE8ELNS1_3repE0EEENS1_30default_config_static_selectorELNS0_4arch9wavefront6targetE0EEEvSO_.has_indirect_call, 0
	.section	.AMDGPU.csdata,"",@progbits
; Kernel info:
; codeLenInByte = 0
; TotalNumSgprs: 0
; NumVgprs: 0
; ScratchSize: 0
; MemoryBound: 0
; FloatMode: 240
; IeeeMode: 1
; LDSByteSize: 0 bytes/workgroup (compile time only)
; SGPRBlocks: 0
; VGPRBlocks: 0
; NumSGPRsForWavesPerEU: 1
; NumVGPRsForWavesPerEU: 1
; NamedBarCnt: 0
; Occupancy: 16
; WaveLimiterHint : 0
; COMPUTE_PGM_RSRC2:SCRATCH_EN: 0
; COMPUTE_PGM_RSRC2:USER_SGPR: 2
; COMPUTE_PGM_RSRC2:TRAP_HANDLER: 0
; COMPUTE_PGM_RSRC2:TGID_X_EN: 1
; COMPUTE_PGM_RSRC2:TGID_Y_EN: 0
; COMPUTE_PGM_RSRC2:TGID_Z_EN: 0
; COMPUTE_PGM_RSRC2:TIDIG_COMP_CNT: 0
	.section	.text._ZN7rocprim17ROCPRIM_400000_NS6detail17trampoline_kernelINS0_14default_configENS1_37merge_sort_block_sort_config_selectorIlNS0_10empty_typeEEEZNS1_21merge_sort_block_sortIS3_PlS8_PS5_S9_ZN2at6native12_GLOBAL__N_124unique_dim_cuda_templateIN3c108BFloat16EEESt5tupleIJNSA_6TensorESH_SH_EERKSH_lbbbEUlllE_EE10hipError_tT0_T1_T2_T3_mRjT4_P12ihipStream_tbNS1_7vsmem_tEEUlT_E_NS1_11comp_targetILNS1_3genE3ELNS1_11target_archE908ELNS1_3gpuE7ELNS1_3repE0EEENS1_30default_config_static_selectorELNS0_4arch9wavefront6targetE0EEEvSO_,"axG",@progbits,_ZN7rocprim17ROCPRIM_400000_NS6detail17trampoline_kernelINS0_14default_configENS1_37merge_sort_block_sort_config_selectorIlNS0_10empty_typeEEEZNS1_21merge_sort_block_sortIS3_PlS8_PS5_S9_ZN2at6native12_GLOBAL__N_124unique_dim_cuda_templateIN3c108BFloat16EEESt5tupleIJNSA_6TensorESH_SH_EERKSH_lbbbEUlllE_EE10hipError_tT0_T1_T2_T3_mRjT4_P12ihipStream_tbNS1_7vsmem_tEEUlT_E_NS1_11comp_targetILNS1_3genE3ELNS1_11target_archE908ELNS1_3gpuE7ELNS1_3repE0EEENS1_30default_config_static_selectorELNS0_4arch9wavefront6targetE0EEEvSO_,comdat
	.globl	_ZN7rocprim17ROCPRIM_400000_NS6detail17trampoline_kernelINS0_14default_configENS1_37merge_sort_block_sort_config_selectorIlNS0_10empty_typeEEEZNS1_21merge_sort_block_sortIS3_PlS8_PS5_S9_ZN2at6native12_GLOBAL__N_124unique_dim_cuda_templateIN3c108BFloat16EEESt5tupleIJNSA_6TensorESH_SH_EERKSH_lbbbEUlllE_EE10hipError_tT0_T1_T2_T3_mRjT4_P12ihipStream_tbNS1_7vsmem_tEEUlT_E_NS1_11comp_targetILNS1_3genE3ELNS1_11target_archE908ELNS1_3gpuE7ELNS1_3repE0EEENS1_30default_config_static_selectorELNS0_4arch9wavefront6targetE0EEEvSO_ ; -- Begin function _ZN7rocprim17ROCPRIM_400000_NS6detail17trampoline_kernelINS0_14default_configENS1_37merge_sort_block_sort_config_selectorIlNS0_10empty_typeEEEZNS1_21merge_sort_block_sortIS3_PlS8_PS5_S9_ZN2at6native12_GLOBAL__N_124unique_dim_cuda_templateIN3c108BFloat16EEESt5tupleIJNSA_6TensorESH_SH_EERKSH_lbbbEUlllE_EE10hipError_tT0_T1_T2_T3_mRjT4_P12ihipStream_tbNS1_7vsmem_tEEUlT_E_NS1_11comp_targetILNS1_3genE3ELNS1_11target_archE908ELNS1_3gpuE7ELNS1_3repE0EEENS1_30default_config_static_selectorELNS0_4arch9wavefront6targetE0EEEvSO_
	.p2align	8
	.type	_ZN7rocprim17ROCPRIM_400000_NS6detail17trampoline_kernelINS0_14default_configENS1_37merge_sort_block_sort_config_selectorIlNS0_10empty_typeEEEZNS1_21merge_sort_block_sortIS3_PlS8_PS5_S9_ZN2at6native12_GLOBAL__N_124unique_dim_cuda_templateIN3c108BFloat16EEESt5tupleIJNSA_6TensorESH_SH_EERKSH_lbbbEUlllE_EE10hipError_tT0_T1_T2_T3_mRjT4_P12ihipStream_tbNS1_7vsmem_tEEUlT_E_NS1_11comp_targetILNS1_3genE3ELNS1_11target_archE908ELNS1_3gpuE7ELNS1_3repE0EEENS1_30default_config_static_selectorELNS0_4arch9wavefront6targetE0EEEvSO_,@function
_ZN7rocprim17ROCPRIM_400000_NS6detail17trampoline_kernelINS0_14default_configENS1_37merge_sort_block_sort_config_selectorIlNS0_10empty_typeEEEZNS1_21merge_sort_block_sortIS3_PlS8_PS5_S9_ZN2at6native12_GLOBAL__N_124unique_dim_cuda_templateIN3c108BFloat16EEESt5tupleIJNSA_6TensorESH_SH_EERKSH_lbbbEUlllE_EE10hipError_tT0_T1_T2_T3_mRjT4_P12ihipStream_tbNS1_7vsmem_tEEUlT_E_NS1_11comp_targetILNS1_3genE3ELNS1_11target_archE908ELNS1_3gpuE7ELNS1_3repE0EEENS1_30default_config_static_selectorELNS0_4arch9wavefront6targetE0EEEvSO_: ; @_ZN7rocprim17ROCPRIM_400000_NS6detail17trampoline_kernelINS0_14default_configENS1_37merge_sort_block_sort_config_selectorIlNS0_10empty_typeEEEZNS1_21merge_sort_block_sortIS3_PlS8_PS5_S9_ZN2at6native12_GLOBAL__N_124unique_dim_cuda_templateIN3c108BFloat16EEESt5tupleIJNSA_6TensorESH_SH_EERKSH_lbbbEUlllE_EE10hipError_tT0_T1_T2_T3_mRjT4_P12ihipStream_tbNS1_7vsmem_tEEUlT_E_NS1_11comp_targetILNS1_3genE3ELNS1_11target_archE908ELNS1_3gpuE7ELNS1_3repE0EEENS1_30default_config_static_selectorELNS0_4arch9wavefront6targetE0EEEvSO_
; %bb.0:
	.section	.rodata,"a",@progbits
	.p2align	6, 0x0
	.amdhsa_kernel _ZN7rocprim17ROCPRIM_400000_NS6detail17trampoline_kernelINS0_14default_configENS1_37merge_sort_block_sort_config_selectorIlNS0_10empty_typeEEEZNS1_21merge_sort_block_sortIS3_PlS8_PS5_S9_ZN2at6native12_GLOBAL__N_124unique_dim_cuda_templateIN3c108BFloat16EEESt5tupleIJNSA_6TensorESH_SH_EERKSH_lbbbEUlllE_EE10hipError_tT0_T1_T2_T3_mRjT4_P12ihipStream_tbNS1_7vsmem_tEEUlT_E_NS1_11comp_targetILNS1_3genE3ELNS1_11target_archE908ELNS1_3gpuE7ELNS1_3repE0EEENS1_30default_config_static_selectorELNS0_4arch9wavefront6targetE0EEEvSO_
		.amdhsa_group_segment_fixed_size 0
		.amdhsa_private_segment_fixed_size 0
		.amdhsa_kernarg_size 72
		.amdhsa_user_sgpr_count 2
		.amdhsa_user_sgpr_dispatch_ptr 0
		.amdhsa_user_sgpr_queue_ptr 0
		.amdhsa_user_sgpr_kernarg_segment_ptr 1
		.amdhsa_user_sgpr_dispatch_id 0
		.amdhsa_user_sgpr_kernarg_preload_length 0
		.amdhsa_user_sgpr_kernarg_preload_offset 0
		.amdhsa_user_sgpr_private_segment_size 0
		.amdhsa_wavefront_size32 1
		.amdhsa_uses_dynamic_stack 0
		.amdhsa_enable_private_segment 0
		.amdhsa_system_sgpr_workgroup_id_x 1
		.amdhsa_system_sgpr_workgroup_id_y 0
		.amdhsa_system_sgpr_workgroup_id_z 0
		.amdhsa_system_sgpr_workgroup_info 0
		.amdhsa_system_vgpr_workitem_id 0
		.amdhsa_next_free_vgpr 1
		.amdhsa_next_free_sgpr 1
		.amdhsa_named_barrier_count 0
		.amdhsa_reserve_vcc 0
		.amdhsa_float_round_mode_32 0
		.amdhsa_float_round_mode_16_64 0
		.amdhsa_float_denorm_mode_32 3
		.amdhsa_float_denorm_mode_16_64 3
		.amdhsa_fp16_overflow 0
		.amdhsa_memory_ordered 1
		.amdhsa_forward_progress 1
		.amdhsa_inst_pref_size 0
		.amdhsa_round_robin_scheduling 0
		.amdhsa_exception_fp_ieee_invalid_op 0
		.amdhsa_exception_fp_denorm_src 0
		.amdhsa_exception_fp_ieee_div_zero 0
		.amdhsa_exception_fp_ieee_overflow 0
		.amdhsa_exception_fp_ieee_underflow 0
		.amdhsa_exception_fp_ieee_inexact 0
		.amdhsa_exception_int_div_zero 0
	.end_amdhsa_kernel
	.section	.text._ZN7rocprim17ROCPRIM_400000_NS6detail17trampoline_kernelINS0_14default_configENS1_37merge_sort_block_sort_config_selectorIlNS0_10empty_typeEEEZNS1_21merge_sort_block_sortIS3_PlS8_PS5_S9_ZN2at6native12_GLOBAL__N_124unique_dim_cuda_templateIN3c108BFloat16EEESt5tupleIJNSA_6TensorESH_SH_EERKSH_lbbbEUlllE_EE10hipError_tT0_T1_T2_T3_mRjT4_P12ihipStream_tbNS1_7vsmem_tEEUlT_E_NS1_11comp_targetILNS1_3genE3ELNS1_11target_archE908ELNS1_3gpuE7ELNS1_3repE0EEENS1_30default_config_static_selectorELNS0_4arch9wavefront6targetE0EEEvSO_,"axG",@progbits,_ZN7rocprim17ROCPRIM_400000_NS6detail17trampoline_kernelINS0_14default_configENS1_37merge_sort_block_sort_config_selectorIlNS0_10empty_typeEEEZNS1_21merge_sort_block_sortIS3_PlS8_PS5_S9_ZN2at6native12_GLOBAL__N_124unique_dim_cuda_templateIN3c108BFloat16EEESt5tupleIJNSA_6TensorESH_SH_EERKSH_lbbbEUlllE_EE10hipError_tT0_T1_T2_T3_mRjT4_P12ihipStream_tbNS1_7vsmem_tEEUlT_E_NS1_11comp_targetILNS1_3genE3ELNS1_11target_archE908ELNS1_3gpuE7ELNS1_3repE0EEENS1_30default_config_static_selectorELNS0_4arch9wavefront6targetE0EEEvSO_,comdat
.Lfunc_end1119:
	.size	_ZN7rocprim17ROCPRIM_400000_NS6detail17trampoline_kernelINS0_14default_configENS1_37merge_sort_block_sort_config_selectorIlNS0_10empty_typeEEEZNS1_21merge_sort_block_sortIS3_PlS8_PS5_S9_ZN2at6native12_GLOBAL__N_124unique_dim_cuda_templateIN3c108BFloat16EEESt5tupleIJNSA_6TensorESH_SH_EERKSH_lbbbEUlllE_EE10hipError_tT0_T1_T2_T3_mRjT4_P12ihipStream_tbNS1_7vsmem_tEEUlT_E_NS1_11comp_targetILNS1_3genE3ELNS1_11target_archE908ELNS1_3gpuE7ELNS1_3repE0EEENS1_30default_config_static_selectorELNS0_4arch9wavefront6targetE0EEEvSO_, .Lfunc_end1119-_ZN7rocprim17ROCPRIM_400000_NS6detail17trampoline_kernelINS0_14default_configENS1_37merge_sort_block_sort_config_selectorIlNS0_10empty_typeEEEZNS1_21merge_sort_block_sortIS3_PlS8_PS5_S9_ZN2at6native12_GLOBAL__N_124unique_dim_cuda_templateIN3c108BFloat16EEESt5tupleIJNSA_6TensorESH_SH_EERKSH_lbbbEUlllE_EE10hipError_tT0_T1_T2_T3_mRjT4_P12ihipStream_tbNS1_7vsmem_tEEUlT_E_NS1_11comp_targetILNS1_3genE3ELNS1_11target_archE908ELNS1_3gpuE7ELNS1_3repE0EEENS1_30default_config_static_selectorELNS0_4arch9wavefront6targetE0EEEvSO_
                                        ; -- End function
	.set _ZN7rocprim17ROCPRIM_400000_NS6detail17trampoline_kernelINS0_14default_configENS1_37merge_sort_block_sort_config_selectorIlNS0_10empty_typeEEEZNS1_21merge_sort_block_sortIS3_PlS8_PS5_S9_ZN2at6native12_GLOBAL__N_124unique_dim_cuda_templateIN3c108BFloat16EEESt5tupleIJNSA_6TensorESH_SH_EERKSH_lbbbEUlllE_EE10hipError_tT0_T1_T2_T3_mRjT4_P12ihipStream_tbNS1_7vsmem_tEEUlT_E_NS1_11comp_targetILNS1_3genE3ELNS1_11target_archE908ELNS1_3gpuE7ELNS1_3repE0EEENS1_30default_config_static_selectorELNS0_4arch9wavefront6targetE0EEEvSO_.num_vgpr, 0
	.set _ZN7rocprim17ROCPRIM_400000_NS6detail17trampoline_kernelINS0_14default_configENS1_37merge_sort_block_sort_config_selectorIlNS0_10empty_typeEEEZNS1_21merge_sort_block_sortIS3_PlS8_PS5_S9_ZN2at6native12_GLOBAL__N_124unique_dim_cuda_templateIN3c108BFloat16EEESt5tupleIJNSA_6TensorESH_SH_EERKSH_lbbbEUlllE_EE10hipError_tT0_T1_T2_T3_mRjT4_P12ihipStream_tbNS1_7vsmem_tEEUlT_E_NS1_11comp_targetILNS1_3genE3ELNS1_11target_archE908ELNS1_3gpuE7ELNS1_3repE0EEENS1_30default_config_static_selectorELNS0_4arch9wavefront6targetE0EEEvSO_.num_agpr, 0
	.set _ZN7rocprim17ROCPRIM_400000_NS6detail17trampoline_kernelINS0_14default_configENS1_37merge_sort_block_sort_config_selectorIlNS0_10empty_typeEEEZNS1_21merge_sort_block_sortIS3_PlS8_PS5_S9_ZN2at6native12_GLOBAL__N_124unique_dim_cuda_templateIN3c108BFloat16EEESt5tupleIJNSA_6TensorESH_SH_EERKSH_lbbbEUlllE_EE10hipError_tT0_T1_T2_T3_mRjT4_P12ihipStream_tbNS1_7vsmem_tEEUlT_E_NS1_11comp_targetILNS1_3genE3ELNS1_11target_archE908ELNS1_3gpuE7ELNS1_3repE0EEENS1_30default_config_static_selectorELNS0_4arch9wavefront6targetE0EEEvSO_.numbered_sgpr, 0
	.set _ZN7rocprim17ROCPRIM_400000_NS6detail17trampoline_kernelINS0_14default_configENS1_37merge_sort_block_sort_config_selectorIlNS0_10empty_typeEEEZNS1_21merge_sort_block_sortIS3_PlS8_PS5_S9_ZN2at6native12_GLOBAL__N_124unique_dim_cuda_templateIN3c108BFloat16EEESt5tupleIJNSA_6TensorESH_SH_EERKSH_lbbbEUlllE_EE10hipError_tT0_T1_T2_T3_mRjT4_P12ihipStream_tbNS1_7vsmem_tEEUlT_E_NS1_11comp_targetILNS1_3genE3ELNS1_11target_archE908ELNS1_3gpuE7ELNS1_3repE0EEENS1_30default_config_static_selectorELNS0_4arch9wavefront6targetE0EEEvSO_.num_named_barrier, 0
	.set _ZN7rocprim17ROCPRIM_400000_NS6detail17trampoline_kernelINS0_14default_configENS1_37merge_sort_block_sort_config_selectorIlNS0_10empty_typeEEEZNS1_21merge_sort_block_sortIS3_PlS8_PS5_S9_ZN2at6native12_GLOBAL__N_124unique_dim_cuda_templateIN3c108BFloat16EEESt5tupleIJNSA_6TensorESH_SH_EERKSH_lbbbEUlllE_EE10hipError_tT0_T1_T2_T3_mRjT4_P12ihipStream_tbNS1_7vsmem_tEEUlT_E_NS1_11comp_targetILNS1_3genE3ELNS1_11target_archE908ELNS1_3gpuE7ELNS1_3repE0EEENS1_30default_config_static_selectorELNS0_4arch9wavefront6targetE0EEEvSO_.private_seg_size, 0
	.set _ZN7rocprim17ROCPRIM_400000_NS6detail17trampoline_kernelINS0_14default_configENS1_37merge_sort_block_sort_config_selectorIlNS0_10empty_typeEEEZNS1_21merge_sort_block_sortIS3_PlS8_PS5_S9_ZN2at6native12_GLOBAL__N_124unique_dim_cuda_templateIN3c108BFloat16EEESt5tupleIJNSA_6TensorESH_SH_EERKSH_lbbbEUlllE_EE10hipError_tT0_T1_T2_T3_mRjT4_P12ihipStream_tbNS1_7vsmem_tEEUlT_E_NS1_11comp_targetILNS1_3genE3ELNS1_11target_archE908ELNS1_3gpuE7ELNS1_3repE0EEENS1_30default_config_static_selectorELNS0_4arch9wavefront6targetE0EEEvSO_.uses_vcc, 0
	.set _ZN7rocprim17ROCPRIM_400000_NS6detail17trampoline_kernelINS0_14default_configENS1_37merge_sort_block_sort_config_selectorIlNS0_10empty_typeEEEZNS1_21merge_sort_block_sortIS3_PlS8_PS5_S9_ZN2at6native12_GLOBAL__N_124unique_dim_cuda_templateIN3c108BFloat16EEESt5tupleIJNSA_6TensorESH_SH_EERKSH_lbbbEUlllE_EE10hipError_tT0_T1_T2_T3_mRjT4_P12ihipStream_tbNS1_7vsmem_tEEUlT_E_NS1_11comp_targetILNS1_3genE3ELNS1_11target_archE908ELNS1_3gpuE7ELNS1_3repE0EEENS1_30default_config_static_selectorELNS0_4arch9wavefront6targetE0EEEvSO_.uses_flat_scratch, 0
	.set _ZN7rocprim17ROCPRIM_400000_NS6detail17trampoline_kernelINS0_14default_configENS1_37merge_sort_block_sort_config_selectorIlNS0_10empty_typeEEEZNS1_21merge_sort_block_sortIS3_PlS8_PS5_S9_ZN2at6native12_GLOBAL__N_124unique_dim_cuda_templateIN3c108BFloat16EEESt5tupleIJNSA_6TensorESH_SH_EERKSH_lbbbEUlllE_EE10hipError_tT0_T1_T2_T3_mRjT4_P12ihipStream_tbNS1_7vsmem_tEEUlT_E_NS1_11comp_targetILNS1_3genE3ELNS1_11target_archE908ELNS1_3gpuE7ELNS1_3repE0EEENS1_30default_config_static_selectorELNS0_4arch9wavefront6targetE0EEEvSO_.has_dyn_sized_stack, 0
	.set _ZN7rocprim17ROCPRIM_400000_NS6detail17trampoline_kernelINS0_14default_configENS1_37merge_sort_block_sort_config_selectorIlNS0_10empty_typeEEEZNS1_21merge_sort_block_sortIS3_PlS8_PS5_S9_ZN2at6native12_GLOBAL__N_124unique_dim_cuda_templateIN3c108BFloat16EEESt5tupleIJNSA_6TensorESH_SH_EERKSH_lbbbEUlllE_EE10hipError_tT0_T1_T2_T3_mRjT4_P12ihipStream_tbNS1_7vsmem_tEEUlT_E_NS1_11comp_targetILNS1_3genE3ELNS1_11target_archE908ELNS1_3gpuE7ELNS1_3repE0EEENS1_30default_config_static_selectorELNS0_4arch9wavefront6targetE0EEEvSO_.has_recursion, 0
	.set _ZN7rocprim17ROCPRIM_400000_NS6detail17trampoline_kernelINS0_14default_configENS1_37merge_sort_block_sort_config_selectorIlNS0_10empty_typeEEEZNS1_21merge_sort_block_sortIS3_PlS8_PS5_S9_ZN2at6native12_GLOBAL__N_124unique_dim_cuda_templateIN3c108BFloat16EEESt5tupleIJNSA_6TensorESH_SH_EERKSH_lbbbEUlllE_EE10hipError_tT0_T1_T2_T3_mRjT4_P12ihipStream_tbNS1_7vsmem_tEEUlT_E_NS1_11comp_targetILNS1_3genE3ELNS1_11target_archE908ELNS1_3gpuE7ELNS1_3repE0EEENS1_30default_config_static_selectorELNS0_4arch9wavefront6targetE0EEEvSO_.has_indirect_call, 0
	.section	.AMDGPU.csdata,"",@progbits
; Kernel info:
; codeLenInByte = 0
; TotalNumSgprs: 0
; NumVgprs: 0
; ScratchSize: 0
; MemoryBound: 0
; FloatMode: 240
; IeeeMode: 1
; LDSByteSize: 0 bytes/workgroup (compile time only)
; SGPRBlocks: 0
; VGPRBlocks: 0
; NumSGPRsForWavesPerEU: 1
; NumVGPRsForWavesPerEU: 1
; NamedBarCnt: 0
; Occupancy: 16
; WaveLimiterHint : 0
; COMPUTE_PGM_RSRC2:SCRATCH_EN: 0
; COMPUTE_PGM_RSRC2:USER_SGPR: 2
; COMPUTE_PGM_RSRC2:TRAP_HANDLER: 0
; COMPUTE_PGM_RSRC2:TGID_X_EN: 1
; COMPUTE_PGM_RSRC2:TGID_Y_EN: 0
; COMPUTE_PGM_RSRC2:TGID_Z_EN: 0
; COMPUTE_PGM_RSRC2:TIDIG_COMP_CNT: 0
	.section	.text._ZN7rocprim17ROCPRIM_400000_NS6detail17trampoline_kernelINS0_14default_configENS1_37merge_sort_block_sort_config_selectorIlNS0_10empty_typeEEEZNS1_21merge_sort_block_sortIS3_PlS8_PS5_S9_ZN2at6native12_GLOBAL__N_124unique_dim_cuda_templateIN3c108BFloat16EEESt5tupleIJNSA_6TensorESH_SH_EERKSH_lbbbEUlllE_EE10hipError_tT0_T1_T2_T3_mRjT4_P12ihipStream_tbNS1_7vsmem_tEEUlT_E_NS1_11comp_targetILNS1_3genE2ELNS1_11target_archE906ELNS1_3gpuE6ELNS1_3repE0EEENS1_30default_config_static_selectorELNS0_4arch9wavefront6targetE0EEEvSO_,"axG",@progbits,_ZN7rocprim17ROCPRIM_400000_NS6detail17trampoline_kernelINS0_14default_configENS1_37merge_sort_block_sort_config_selectorIlNS0_10empty_typeEEEZNS1_21merge_sort_block_sortIS3_PlS8_PS5_S9_ZN2at6native12_GLOBAL__N_124unique_dim_cuda_templateIN3c108BFloat16EEESt5tupleIJNSA_6TensorESH_SH_EERKSH_lbbbEUlllE_EE10hipError_tT0_T1_T2_T3_mRjT4_P12ihipStream_tbNS1_7vsmem_tEEUlT_E_NS1_11comp_targetILNS1_3genE2ELNS1_11target_archE906ELNS1_3gpuE6ELNS1_3repE0EEENS1_30default_config_static_selectorELNS0_4arch9wavefront6targetE0EEEvSO_,comdat
	.globl	_ZN7rocprim17ROCPRIM_400000_NS6detail17trampoline_kernelINS0_14default_configENS1_37merge_sort_block_sort_config_selectorIlNS0_10empty_typeEEEZNS1_21merge_sort_block_sortIS3_PlS8_PS5_S9_ZN2at6native12_GLOBAL__N_124unique_dim_cuda_templateIN3c108BFloat16EEESt5tupleIJNSA_6TensorESH_SH_EERKSH_lbbbEUlllE_EE10hipError_tT0_T1_T2_T3_mRjT4_P12ihipStream_tbNS1_7vsmem_tEEUlT_E_NS1_11comp_targetILNS1_3genE2ELNS1_11target_archE906ELNS1_3gpuE6ELNS1_3repE0EEENS1_30default_config_static_selectorELNS0_4arch9wavefront6targetE0EEEvSO_ ; -- Begin function _ZN7rocprim17ROCPRIM_400000_NS6detail17trampoline_kernelINS0_14default_configENS1_37merge_sort_block_sort_config_selectorIlNS0_10empty_typeEEEZNS1_21merge_sort_block_sortIS3_PlS8_PS5_S9_ZN2at6native12_GLOBAL__N_124unique_dim_cuda_templateIN3c108BFloat16EEESt5tupleIJNSA_6TensorESH_SH_EERKSH_lbbbEUlllE_EE10hipError_tT0_T1_T2_T3_mRjT4_P12ihipStream_tbNS1_7vsmem_tEEUlT_E_NS1_11comp_targetILNS1_3genE2ELNS1_11target_archE906ELNS1_3gpuE6ELNS1_3repE0EEENS1_30default_config_static_selectorELNS0_4arch9wavefront6targetE0EEEvSO_
	.p2align	8
	.type	_ZN7rocprim17ROCPRIM_400000_NS6detail17trampoline_kernelINS0_14default_configENS1_37merge_sort_block_sort_config_selectorIlNS0_10empty_typeEEEZNS1_21merge_sort_block_sortIS3_PlS8_PS5_S9_ZN2at6native12_GLOBAL__N_124unique_dim_cuda_templateIN3c108BFloat16EEESt5tupleIJNSA_6TensorESH_SH_EERKSH_lbbbEUlllE_EE10hipError_tT0_T1_T2_T3_mRjT4_P12ihipStream_tbNS1_7vsmem_tEEUlT_E_NS1_11comp_targetILNS1_3genE2ELNS1_11target_archE906ELNS1_3gpuE6ELNS1_3repE0EEENS1_30default_config_static_selectorELNS0_4arch9wavefront6targetE0EEEvSO_,@function
_ZN7rocprim17ROCPRIM_400000_NS6detail17trampoline_kernelINS0_14default_configENS1_37merge_sort_block_sort_config_selectorIlNS0_10empty_typeEEEZNS1_21merge_sort_block_sortIS3_PlS8_PS5_S9_ZN2at6native12_GLOBAL__N_124unique_dim_cuda_templateIN3c108BFloat16EEESt5tupleIJNSA_6TensorESH_SH_EERKSH_lbbbEUlllE_EE10hipError_tT0_T1_T2_T3_mRjT4_P12ihipStream_tbNS1_7vsmem_tEEUlT_E_NS1_11comp_targetILNS1_3genE2ELNS1_11target_archE906ELNS1_3gpuE6ELNS1_3repE0EEENS1_30default_config_static_selectorELNS0_4arch9wavefront6targetE0EEEvSO_: ; @_ZN7rocprim17ROCPRIM_400000_NS6detail17trampoline_kernelINS0_14default_configENS1_37merge_sort_block_sort_config_selectorIlNS0_10empty_typeEEEZNS1_21merge_sort_block_sortIS3_PlS8_PS5_S9_ZN2at6native12_GLOBAL__N_124unique_dim_cuda_templateIN3c108BFloat16EEESt5tupleIJNSA_6TensorESH_SH_EERKSH_lbbbEUlllE_EE10hipError_tT0_T1_T2_T3_mRjT4_P12ihipStream_tbNS1_7vsmem_tEEUlT_E_NS1_11comp_targetILNS1_3genE2ELNS1_11target_archE906ELNS1_3gpuE6ELNS1_3repE0EEENS1_30default_config_static_selectorELNS0_4arch9wavefront6targetE0EEEvSO_
; %bb.0:
	.section	.rodata,"a",@progbits
	.p2align	6, 0x0
	.amdhsa_kernel _ZN7rocprim17ROCPRIM_400000_NS6detail17trampoline_kernelINS0_14default_configENS1_37merge_sort_block_sort_config_selectorIlNS0_10empty_typeEEEZNS1_21merge_sort_block_sortIS3_PlS8_PS5_S9_ZN2at6native12_GLOBAL__N_124unique_dim_cuda_templateIN3c108BFloat16EEESt5tupleIJNSA_6TensorESH_SH_EERKSH_lbbbEUlllE_EE10hipError_tT0_T1_T2_T3_mRjT4_P12ihipStream_tbNS1_7vsmem_tEEUlT_E_NS1_11comp_targetILNS1_3genE2ELNS1_11target_archE906ELNS1_3gpuE6ELNS1_3repE0EEENS1_30default_config_static_selectorELNS0_4arch9wavefront6targetE0EEEvSO_
		.amdhsa_group_segment_fixed_size 0
		.amdhsa_private_segment_fixed_size 0
		.amdhsa_kernarg_size 72
		.amdhsa_user_sgpr_count 2
		.amdhsa_user_sgpr_dispatch_ptr 0
		.amdhsa_user_sgpr_queue_ptr 0
		.amdhsa_user_sgpr_kernarg_segment_ptr 1
		.amdhsa_user_sgpr_dispatch_id 0
		.amdhsa_user_sgpr_kernarg_preload_length 0
		.amdhsa_user_sgpr_kernarg_preload_offset 0
		.amdhsa_user_sgpr_private_segment_size 0
		.amdhsa_wavefront_size32 1
		.amdhsa_uses_dynamic_stack 0
		.amdhsa_enable_private_segment 0
		.amdhsa_system_sgpr_workgroup_id_x 1
		.amdhsa_system_sgpr_workgroup_id_y 0
		.amdhsa_system_sgpr_workgroup_id_z 0
		.amdhsa_system_sgpr_workgroup_info 0
		.amdhsa_system_vgpr_workitem_id 0
		.amdhsa_next_free_vgpr 1
		.amdhsa_next_free_sgpr 1
		.amdhsa_named_barrier_count 0
		.amdhsa_reserve_vcc 0
		.amdhsa_float_round_mode_32 0
		.amdhsa_float_round_mode_16_64 0
		.amdhsa_float_denorm_mode_32 3
		.amdhsa_float_denorm_mode_16_64 3
		.amdhsa_fp16_overflow 0
		.amdhsa_memory_ordered 1
		.amdhsa_forward_progress 1
		.amdhsa_inst_pref_size 0
		.amdhsa_round_robin_scheduling 0
		.amdhsa_exception_fp_ieee_invalid_op 0
		.amdhsa_exception_fp_denorm_src 0
		.amdhsa_exception_fp_ieee_div_zero 0
		.amdhsa_exception_fp_ieee_overflow 0
		.amdhsa_exception_fp_ieee_underflow 0
		.amdhsa_exception_fp_ieee_inexact 0
		.amdhsa_exception_int_div_zero 0
	.end_amdhsa_kernel
	.section	.text._ZN7rocprim17ROCPRIM_400000_NS6detail17trampoline_kernelINS0_14default_configENS1_37merge_sort_block_sort_config_selectorIlNS0_10empty_typeEEEZNS1_21merge_sort_block_sortIS3_PlS8_PS5_S9_ZN2at6native12_GLOBAL__N_124unique_dim_cuda_templateIN3c108BFloat16EEESt5tupleIJNSA_6TensorESH_SH_EERKSH_lbbbEUlllE_EE10hipError_tT0_T1_T2_T3_mRjT4_P12ihipStream_tbNS1_7vsmem_tEEUlT_E_NS1_11comp_targetILNS1_3genE2ELNS1_11target_archE906ELNS1_3gpuE6ELNS1_3repE0EEENS1_30default_config_static_selectorELNS0_4arch9wavefront6targetE0EEEvSO_,"axG",@progbits,_ZN7rocprim17ROCPRIM_400000_NS6detail17trampoline_kernelINS0_14default_configENS1_37merge_sort_block_sort_config_selectorIlNS0_10empty_typeEEEZNS1_21merge_sort_block_sortIS3_PlS8_PS5_S9_ZN2at6native12_GLOBAL__N_124unique_dim_cuda_templateIN3c108BFloat16EEESt5tupleIJNSA_6TensorESH_SH_EERKSH_lbbbEUlllE_EE10hipError_tT0_T1_T2_T3_mRjT4_P12ihipStream_tbNS1_7vsmem_tEEUlT_E_NS1_11comp_targetILNS1_3genE2ELNS1_11target_archE906ELNS1_3gpuE6ELNS1_3repE0EEENS1_30default_config_static_selectorELNS0_4arch9wavefront6targetE0EEEvSO_,comdat
.Lfunc_end1120:
	.size	_ZN7rocprim17ROCPRIM_400000_NS6detail17trampoline_kernelINS0_14default_configENS1_37merge_sort_block_sort_config_selectorIlNS0_10empty_typeEEEZNS1_21merge_sort_block_sortIS3_PlS8_PS5_S9_ZN2at6native12_GLOBAL__N_124unique_dim_cuda_templateIN3c108BFloat16EEESt5tupleIJNSA_6TensorESH_SH_EERKSH_lbbbEUlllE_EE10hipError_tT0_T1_T2_T3_mRjT4_P12ihipStream_tbNS1_7vsmem_tEEUlT_E_NS1_11comp_targetILNS1_3genE2ELNS1_11target_archE906ELNS1_3gpuE6ELNS1_3repE0EEENS1_30default_config_static_selectorELNS0_4arch9wavefront6targetE0EEEvSO_, .Lfunc_end1120-_ZN7rocprim17ROCPRIM_400000_NS6detail17trampoline_kernelINS0_14default_configENS1_37merge_sort_block_sort_config_selectorIlNS0_10empty_typeEEEZNS1_21merge_sort_block_sortIS3_PlS8_PS5_S9_ZN2at6native12_GLOBAL__N_124unique_dim_cuda_templateIN3c108BFloat16EEESt5tupleIJNSA_6TensorESH_SH_EERKSH_lbbbEUlllE_EE10hipError_tT0_T1_T2_T3_mRjT4_P12ihipStream_tbNS1_7vsmem_tEEUlT_E_NS1_11comp_targetILNS1_3genE2ELNS1_11target_archE906ELNS1_3gpuE6ELNS1_3repE0EEENS1_30default_config_static_selectorELNS0_4arch9wavefront6targetE0EEEvSO_
                                        ; -- End function
	.set _ZN7rocprim17ROCPRIM_400000_NS6detail17trampoline_kernelINS0_14default_configENS1_37merge_sort_block_sort_config_selectorIlNS0_10empty_typeEEEZNS1_21merge_sort_block_sortIS3_PlS8_PS5_S9_ZN2at6native12_GLOBAL__N_124unique_dim_cuda_templateIN3c108BFloat16EEESt5tupleIJNSA_6TensorESH_SH_EERKSH_lbbbEUlllE_EE10hipError_tT0_T1_T2_T3_mRjT4_P12ihipStream_tbNS1_7vsmem_tEEUlT_E_NS1_11comp_targetILNS1_3genE2ELNS1_11target_archE906ELNS1_3gpuE6ELNS1_3repE0EEENS1_30default_config_static_selectorELNS0_4arch9wavefront6targetE0EEEvSO_.num_vgpr, 0
	.set _ZN7rocprim17ROCPRIM_400000_NS6detail17trampoline_kernelINS0_14default_configENS1_37merge_sort_block_sort_config_selectorIlNS0_10empty_typeEEEZNS1_21merge_sort_block_sortIS3_PlS8_PS5_S9_ZN2at6native12_GLOBAL__N_124unique_dim_cuda_templateIN3c108BFloat16EEESt5tupleIJNSA_6TensorESH_SH_EERKSH_lbbbEUlllE_EE10hipError_tT0_T1_T2_T3_mRjT4_P12ihipStream_tbNS1_7vsmem_tEEUlT_E_NS1_11comp_targetILNS1_3genE2ELNS1_11target_archE906ELNS1_3gpuE6ELNS1_3repE0EEENS1_30default_config_static_selectorELNS0_4arch9wavefront6targetE0EEEvSO_.num_agpr, 0
	.set _ZN7rocprim17ROCPRIM_400000_NS6detail17trampoline_kernelINS0_14default_configENS1_37merge_sort_block_sort_config_selectorIlNS0_10empty_typeEEEZNS1_21merge_sort_block_sortIS3_PlS8_PS5_S9_ZN2at6native12_GLOBAL__N_124unique_dim_cuda_templateIN3c108BFloat16EEESt5tupleIJNSA_6TensorESH_SH_EERKSH_lbbbEUlllE_EE10hipError_tT0_T1_T2_T3_mRjT4_P12ihipStream_tbNS1_7vsmem_tEEUlT_E_NS1_11comp_targetILNS1_3genE2ELNS1_11target_archE906ELNS1_3gpuE6ELNS1_3repE0EEENS1_30default_config_static_selectorELNS0_4arch9wavefront6targetE0EEEvSO_.numbered_sgpr, 0
	.set _ZN7rocprim17ROCPRIM_400000_NS6detail17trampoline_kernelINS0_14default_configENS1_37merge_sort_block_sort_config_selectorIlNS0_10empty_typeEEEZNS1_21merge_sort_block_sortIS3_PlS8_PS5_S9_ZN2at6native12_GLOBAL__N_124unique_dim_cuda_templateIN3c108BFloat16EEESt5tupleIJNSA_6TensorESH_SH_EERKSH_lbbbEUlllE_EE10hipError_tT0_T1_T2_T3_mRjT4_P12ihipStream_tbNS1_7vsmem_tEEUlT_E_NS1_11comp_targetILNS1_3genE2ELNS1_11target_archE906ELNS1_3gpuE6ELNS1_3repE0EEENS1_30default_config_static_selectorELNS0_4arch9wavefront6targetE0EEEvSO_.num_named_barrier, 0
	.set _ZN7rocprim17ROCPRIM_400000_NS6detail17trampoline_kernelINS0_14default_configENS1_37merge_sort_block_sort_config_selectorIlNS0_10empty_typeEEEZNS1_21merge_sort_block_sortIS3_PlS8_PS5_S9_ZN2at6native12_GLOBAL__N_124unique_dim_cuda_templateIN3c108BFloat16EEESt5tupleIJNSA_6TensorESH_SH_EERKSH_lbbbEUlllE_EE10hipError_tT0_T1_T2_T3_mRjT4_P12ihipStream_tbNS1_7vsmem_tEEUlT_E_NS1_11comp_targetILNS1_3genE2ELNS1_11target_archE906ELNS1_3gpuE6ELNS1_3repE0EEENS1_30default_config_static_selectorELNS0_4arch9wavefront6targetE0EEEvSO_.private_seg_size, 0
	.set _ZN7rocprim17ROCPRIM_400000_NS6detail17trampoline_kernelINS0_14default_configENS1_37merge_sort_block_sort_config_selectorIlNS0_10empty_typeEEEZNS1_21merge_sort_block_sortIS3_PlS8_PS5_S9_ZN2at6native12_GLOBAL__N_124unique_dim_cuda_templateIN3c108BFloat16EEESt5tupleIJNSA_6TensorESH_SH_EERKSH_lbbbEUlllE_EE10hipError_tT0_T1_T2_T3_mRjT4_P12ihipStream_tbNS1_7vsmem_tEEUlT_E_NS1_11comp_targetILNS1_3genE2ELNS1_11target_archE906ELNS1_3gpuE6ELNS1_3repE0EEENS1_30default_config_static_selectorELNS0_4arch9wavefront6targetE0EEEvSO_.uses_vcc, 0
	.set _ZN7rocprim17ROCPRIM_400000_NS6detail17trampoline_kernelINS0_14default_configENS1_37merge_sort_block_sort_config_selectorIlNS0_10empty_typeEEEZNS1_21merge_sort_block_sortIS3_PlS8_PS5_S9_ZN2at6native12_GLOBAL__N_124unique_dim_cuda_templateIN3c108BFloat16EEESt5tupleIJNSA_6TensorESH_SH_EERKSH_lbbbEUlllE_EE10hipError_tT0_T1_T2_T3_mRjT4_P12ihipStream_tbNS1_7vsmem_tEEUlT_E_NS1_11comp_targetILNS1_3genE2ELNS1_11target_archE906ELNS1_3gpuE6ELNS1_3repE0EEENS1_30default_config_static_selectorELNS0_4arch9wavefront6targetE0EEEvSO_.uses_flat_scratch, 0
	.set _ZN7rocprim17ROCPRIM_400000_NS6detail17trampoline_kernelINS0_14default_configENS1_37merge_sort_block_sort_config_selectorIlNS0_10empty_typeEEEZNS1_21merge_sort_block_sortIS3_PlS8_PS5_S9_ZN2at6native12_GLOBAL__N_124unique_dim_cuda_templateIN3c108BFloat16EEESt5tupleIJNSA_6TensorESH_SH_EERKSH_lbbbEUlllE_EE10hipError_tT0_T1_T2_T3_mRjT4_P12ihipStream_tbNS1_7vsmem_tEEUlT_E_NS1_11comp_targetILNS1_3genE2ELNS1_11target_archE906ELNS1_3gpuE6ELNS1_3repE0EEENS1_30default_config_static_selectorELNS0_4arch9wavefront6targetE0EEEvSO_.has_dyn_sized_stack, 0
	.set _ZN7rocprim17ROCPRIM_400000_NS6detail17trampoline_kernelINS0_14default_configENS1_37merge_sort_block_sort_config_selectorIlNS0_10empty_typeEEEZNS1_21merge_sort_block_sortIS3_PlS8_PS5_S9_ZN2at6native12_GLOBAL__N_124unique_dim_cuda_templateIN3c108BFloat16EEESt5tupleIJNSA_6TensorESH_SH_EERKSH_lbbbEUlllE_EE10hipError_tT0_T1_T2_T3_mRjT4_P12ihipStream_tbNS1_7vsmem_tEEUlT_E_NS1_11comp_targetILNS1_3genE2ELNS1_11target_archE906ELNS1_3gpuE6ELNS1_3repE0EEENS1_30default_config_static_selectorELNS0_4arch9wavefront6targetE0EEEvSO_.has_recursion, 0
	.set _ZN7rocprim17ROCPRIM_400000_NS6detail17trampoline_kernelINS0_14default_configENS1_37merge_sort_block_sort_config_selectorIlNS0_10empty_typeEEEZNS1_21merge_sort_block_sortIS3_PlS8_PS5_S9_ZN2at6native12_GLOBAL__N_124unique_dim_cuda_templateIN3c108BFloat16EEESt5tupleIJNSA_6TensorESH_SH_EERKSH_lbbbEUlllE_EE10hipError_tT0_T1_T2_T3_mRjT4_P12ihipStream_tbNS1_7vsmem_tEEUlT_E_NS1_11comp_targetILNS1_3genE2ELNS1_11target_archE906ELNS1_3gpuE6ELNS1_3repE0EEENS1_30default_config_static_selectorELNS0_4arch9wavefront6targetE0EEEvSO_.has_indirect_call, 0
	.section	.AMDGPU.csdata,"",@progbits
; Kernel info:
; codeLenInByte = 0
; TotalNumSgprs: 0
; NumVgprs: 0
; ScratchSize: 0
; MemoryBound: 0
; FloatMode: 240
; IeeeMode: 1
; LDSByteSize: 0 bytes/workgroup (compile time only)
; SGPRBlocks: 0
; VGPRBlocks: 0
; NumSGPRsForWavesPerEU: 1
; NumVGPRsForWavesPerEU: 1
; NamedBarCnt: 0
; Occupancy: 16
; WaveLimiterHint : 0
; COMPUTE_PGM_RSRC2:SCRATCH_EN: 0
; COMPUTE_PGM_RSRC2:USER_SGPR: 2
; COMPUTE_PGM_RSRC2:TRAP_HANDLER: 0
; COMPUTE_PGM_RSRC2:TGID_X_EN: 1
; COMPUTE_PGM_RSRC2:TGID_Y_EN: 0
; COMPUTE_PGM_RSRC2:TGID_Z_EN: 0
; COMPUTE_PGM_RSRC2:TIDIG_COMP_CNT: 0
	.section	.text._ZN7rocprim17ROCPRIM_400000_NS6detail17trampoline_kernelINS0_14default_configENS1_37merge_sort_block_sort_config_selectorIlNS0_10empty_typeEEEZNS1_21merge_sort_block_sortIS3_PlS8_PS5_S9_ZN2at6native12_GLOBAL__N_124unique_dim_cuda_templateIN3c108BFloat16EEESt5tupleIJNSA_6TensorESH_SH_EERKSH_lbbbEUlllE_EE10hipError_tT0_T1_T2_T3_mRjT4_P12ihipStream_tbNS1_7vsmem_tEEUlT_E_NS1_11comp_targetILNS1_3genE10ELNS1_11target_archE1201ELNS1_3gpuE5ELNS1_3repE0EEENS1_30default_config_static_selectorELNS0_4arch9wavefront6targetE0EEEvSO_,"axG",@progbits,_ZN7rocprim17ROCPRIM_400000_NS6detail17trampoline_kernelINS0_14default_configENS1_37merge_sort_block_sort_config_selectorIlNS0_10empty_typeEEEZNS1_21merge_sort_block_sortIS3_PlS8_PS5_S9_ZN2at6native12_GLOBAL__N_124unique_dim_cuda_templateIN3c108BFloat16EEESt5tupleIJNSA_6TensorESH_SH_EERKSH_lbbbEUlllE_EE10hipError_tT0_T1_T2_T3_mRjT4_P12ihipStream_tbNS1_7vsmem_tEEUlT_E_NS1_11comp_targetILNS1_3genE10ELNS1_11target_archE1201ELNS1_3gpuE5ELNS1_3repE0EEENS1_30default_config_static_selectorELNS0_4arch9wavefront6targetE0EEEvSO_,comdat
	.globl	_ZN7rocprim17ROCPRIM_400000_NS6detail17trampoline_kernelINS0_14default_configENS1_37merge_sort_block_sort_config_selectorIlNS0_10empty_typeEEEZNS1_21merge_sort_block_sortIS3_PlS8_PS5_S9_ZN2at6native12_GLOBAL__N_124unique_dim_cuda_templateIN3c108BFloat16EEESt5tupleIJNSA_6TensorESH_SH_EERKSH_lbbbEUlllE_EE10hipError_tT0_T1_T2_T3_mRjT4_P12ihipStream_tbNS1_7vsmem_tEEUlT_E_NS1_11comp_targetILNS1_3genE10ELNS1_11target_archE1201ELNS1_3gpuE5ELNS1_3repE0EEENS1_30default_config_static_selectorELNS0_4arch9wavefront6targetE0EEEvSO_ ; -- Begin function _ZN7rocprim17ROCPRIM_400000_NS6detail17trampoline_kernelINS0_14default_configENS1_37merge_sort_block_sort_config_selectorIlNS0_10empty_typeEEEZNS1_21merge_sort_block_sortIS3_PlS8_PS5_S9_ZN2at6native12_GLOBAL__N_124unique_dim_cuda_templateIN3c108BFloat16EEESt5tupleIJNSA_6TensorESH_SH_EERKSH_lbbbEUlllE_EE10hipError_tT0_T1_T2_T3_mRjT4_P12ihipStream_tbNS1_7vsmem_tEEUlT_E_NS1_11comp_targetILNS1_3genE10ELNS1_11target_archE1201ELNS1_3gpuE5ELNS1_3repE0EEENS1_30default_config_static_selectorELNS0_4arch9wavefront6targetE0EEEvSO_
	.p2align	8
	.type	_ZN7rocprim17ROCPRIM_400000_NS6detail17trampoline_kernelINS0_14default_configENS1_37merge_sort_block_sort_config_selectorIlNS0_10empty_typeEEEZNS1_21merge_sort_block_sortIS3_PlS8_PS5_S9_ZN2at6native12_GLOBAL__N_124unique_dim_cuda_templateIN3c108BFloat16EEESt5tupleIJNSA_6TensorESH_SH_EERKSH_lbbbEUlllE_EE10hipError_tT0_T1_T2_T3_mRjT4_P12ihipStream_tbNS1_7vsmem_tEEUlT_E_NS1_11comp_targetILNS1_3genE10ELNS1_11target_archE1201ELNS1_3gpuE5ELNS1_3repE0EEENS1_30default_config_static_selectorELNS0_4arch9wavefront6targetE0EEEvSO_,@function
_ZN7rocprim17ROCPRIM_400000_NS6detail17trampoline_kernelINS0_14default_configENS1_37merge_sort_block_sort_config_selectorIlNS0_10empty_typeEEEZNS1_21merge_sort_block_sortIS3_PlS8_PS5_S9_ZN2at6native12_GLOBAL__N_124unique_dim_cuda_templateIN3c108BFloat16EEESt5tupleIJNSA_6TensorESH_SH_EERKSH_lbbbEUlllE_EE10hipError_tT0_T1_T2_T3_mRjT4_P12ihipStream_tbNS1_7vsmem_tEEUlT_E_NS1_11comp_targetILNS1_3genE10ELNS1_11target_archE1201ELNS1_3gpuE5ELNS1_3repE0EEENS1_30default_config_static_selectorELNS0_4arch9wavefront6targetE0EEEvSO_: ; @_ZN7rocprim17ROCPRIM_400000_NS6detail17trampoline_kernelINS0_14default_configENS1_37merge_sort_block_sort_config_selectorIlNS0_10empty_typeEEEZNS1_21merge_sort_block_sortIS3_PlS8_PS5_S9_ZN2at6native12_GLOBAL__N_124unique_dim_cuda_templateIN3c108BFloat16EEESt5tupleIJNSA_6TensorESH_SH_EERKSH_lbbbEUlllE_EE10hipError_tT0_T1_T2_T3_mRjT4_P12ihipStream_tbNS1_7vsmem_tEEUlT_E_NS1_11comp_targetILNS1_3genE10ELNS1_11target_archE1201ELNS1_3gpuE5ELNS1_3repE0EEENS1_30default_config_static_selectorELNS0_4arch9wavefront6targetE0EEEvSO_
; %bb.0:
	.section	.rodata,"a",@progbits
	.p2align	6, 0x0
	.amdhsa_kernel _ZN7rocprim17ROCPRIM_400000_NS6detail17trampoline_kernelINS0_14default_configENS1_37merge_sort_block_sort_config_selectorIlNS0_10empty_typeEEEZNS1_21merge_sort_block_sortIS3_PlS8_PS5_S9_ZN2at6native12_GLOBAL__N_124unique_dim_cuda_templateIN3c108BFloat16EEESt5tupleIJNSA_6TensorESH_SH_EERKSH_lbbbEUlllE_EE10hipError_tT0_T1_T2_T3_mRjT4_P12ihipStream_tbNS1_7vsmem_tEEUlT_E_NS1_11comp_targetILNS1_3genE10ELNS1_11target_archE1201ELNS1_3gpuE5ELNS1_3repE0EEENS1_30default_config_static_selectorELNS0_4arch9wavefront6targetE0EEEvSO_
		.amdhsa_group_segment_fixed_size 0
		.amdhsa_private_segment_fixed_size 0
		.amdhsa_kernarg_size 72
		.amdhsa_user_sgpr_count 2
		.amdhsa_user_sgpr_dispatch_ptr 0
		.amdhsa_user_sgpr_queue_ptr 0
		.amdhsa_user_sgpr_kernarg_segment_ptr 1
		.amdhsa_user_sgpr_dispatch_id 0
		.amdhsa_user_sgpr_kernarg_preload_length 0
		.amdhsa_user_sgpr_kernarg_preload_offset 0
		.amdhsa_user_sgpr_private_segment_size 0
		.amdhsa_wavefront_size32 1
		.amdhsa_uses_dynamic_stack 0
		.amdhsa_enable_private_segment 0
		.amdhsa_system_sgpr_workgroup_id_x 1
		.amdhsa_system_sgpr_workgroup_id_y 0
		.amdhsa_system_sgpr_workgroup_id_z 0
		.amdhsa_system_sgpr_workgroup_info 0
		.amdhsa_system_vgpr_workitem_id 0
		.amdhsa_next_free_vgpr 1
		.amdhsa_next_free_sgpr 1
		.amdhsa_named_barrier_count 0
		.amdhsa_reserve_vcc 0
		.amdhsa_float_round_mode_32 0
		.amdhsa_float_round_mode_16_64 0
		.amdhsa_float_denorm_mode_32 3
		.amdhsa_float_denorm_mode_16_64 3
		.amdhsa_fp16_overflow 0
		.amdhsa_memory_ordered 1
		.amdhsa_forward_progress 1
		.amdhsa_inst_pref_size 0
		.amdhsa_round_robin_scheduling 0
		.amdhsa_exception_fp_ieee_invalid_op 0
		.amdhsa_exception_fp_denorm_src 0
		.amdhsa_exception_fp_ieee_div_zero 0
		.amdhsa_exception_fp_ieee_overflow 0
		.amdhsa_exception_fp_ieee_underflow 0
		.amdhsa_exception_fp_ieee_inexact 0
		.amdhsa_exception_int_div_zero 0
	.end_amdhsa_kernel
	.section	.text._ZN7rocprim17ROCPRIM_400000_NS6detail17trampoline_kernelINS0_14default_configENS1_37merge_sort_block_sort_config_selectorIlNS0_10empty_typeEEEZNS1_21merge_sort_block_sortIS3_PlS8_PS5_S9_ZN2at6native12_GLOBAL__N_124unique_dim_cuda_templateIN3c108BFloat16EEESt5tupleIJNSA_6TensorESH_SH_EERKSH_lbbbEUlllE_EE10hipError_tT0_T1_T2_T3_mRjT4_P12ihipStream_tbNS1_7vsmem_tEEUlT_E_NS1_11comp_targetILNS1_3genE10ELNS1_11target_archE1201ELNS1_3gpuE5ELNS1_3repE0EEENS1_30default_config_static_selectorELNS0_4arch9wavefront6targetE0EEEvSO_,"axG",@progbits,_ZN7rocprim17ROCPRIM_400000_NS6detail17trampoline_kernelINS0_14default_configENS1_37merge_sort_block_sort_config_selectorIlNS0_10empty_typeEEEZNS1_21merge_sort_block_sortIS3_PlS8_PS5_S9_ZN2at6native12_GLOBAL__N_124unique_dim_cuda_templateIN3c108BFloat16EEESt5tupleIJNSA_6TensorESH_SH_EERKSH_lbbbEUlllE_EE10hipError_tT0_T1_T2_T3_mRjT4_P12ihipStream_tbNS1_7vsmem_tEEUlT_E_NS1_11comp_targetILNS1_3genE10ELNS1_11target_archE1201ELNS1_3gpuE5ELNS1_3repE0EEENS1_30default_config_static_selectorELNS0_4arch9wavefront6targetE0EEEvSO_,comdat
.Lfunc_end1121:
	.size	_ZN7rocprim17ROCPRIM_400000_NS6detail17trampoline_kernelINS0_14default_configENS1_37merge_sort_block_sort_config_selectorIlNS0_10empty_typeEEEZNS1_21merge_sort_block_sortIS3_PlS8_PS5_S9_ZN2at6native12_GLOBAL__N_124unique_dim_cuda_templateIN3c108BFloat16EEESt5tupleIJNSA_6TensorESH_SH_EERKSH_lbbbEUlllE_EE10hipError_tT0_T1_T2_T3_mRjT4_P12ihipStream_tbNS1_7vsmem_tEEUlT_E_NS1_11comp_targetILNS1_3genE10ELNS1_11target_archE1201ELNS1_3gpuE5ELNS1_3repE0EEENS1_30default_config_static_selectorELNS0_4arch9wavefront6targetE0EEEvSO_, .Lfunc_end1121-_ZN7rocprim17ROCPRIM_400000_NS6detail17trampoline_kernelINS0_14default_configENS1_37merge_sort_block_sort_config_selectorIlNS0_10empty_typeEEEZNS1_21merge_sort_block_sortIS3_PlS8_PS5_S9_ZN2at6native12_GLOBAL__N_124unique_dim_cuda_templateIN3c108BFloat16EEESt5tupleIJNSA_6TensorESH_SH_EERKSH_lbbbEUlllE_EE10hipError_tT0_T1_T2_T3_mRjT4_P12ihipStream_tbNS1_7vsmem_tEEUlT_E_NS1_11comp_targetILNS1_3genE10ELNS1_11target_archE1201ELNS1_3gpuE5ELNS1_3repE0EEENS1_30default_config_static_selectorELNS0_4arch9wavefront6targetE0EEEvSO_
                                        ; -- End function
	.set _ZN7rocprim17ROCPRIM_400000_NS6detail17trampoline_kernelINS0_14default_configENS1_37merge_sort_block_sort_config_selectorIlNS0_10empty_typeEEEZNS1_21merge_sort_block_sortIS3_PlS8_PS5_S9_ZN2at6native12_GLOBAL__N_124unique_dim_cuda_templateIN3c108BFloat16EEESt5tupleIJNSA_6TensorESH_SH_EERKSH_lbbbEUlllE_EE10hipError_tT0_T1_T2_T3_mRjT4_P12ihipStream_tbNS1_7vsmem_tEEUlT_E_NS1_11comp_targetILNS1_3genE10ELNS1_11target_archE1201ELNS1_3gpuE5ELNS1_3repE0EEENS1_30default_config_static_selectorELNS0_4arch9wavefront6targetE0EEEvSO_.num_vgpr, 0
	.set _ZN7rocprim17ROCPRIM_400000_NS6detail17trampoline_kernelINS0_14default_configENS1_37merge_sort_block_sort_config_selectorIlNS0_10empty_typeEEEZNS1_21merge_sort_block_sortIS3_PlS8_PS5_S9_ZN2at6native12_GLOBAL__N_124unique_dim_cuda_templateIN3c108BFloat16EEESt5tupleIJNSA_6TensorESH_SH_EERKSH_lbbbEUlllE_EE10hipError_tT0_T1_T2_T3_mRjT4_P12ihipStream_tbNS1_7vsmem_tEEUlT_E_NS1_11comp_targetILNS1_3genE10ELNS1_11target_archE1201ELNS1_3gpuE5ELNS1_3repE0EEENS1_30default_config_static_selectorELNS0_4arch9wavefront6targetE0EEEvSO_.num_agpr, 0
	.set _ZN7rocprim17ROCPRIM_400000_NS6detail17trampoline_kernelINS0_14default_configENS1_37merge_sort_block_sort_config_selectorIlNS0_10empty_typeEEEZNS1_21merge_sort_block_sortIS3_PlS8_PS5_S9_ZN2at6native12_GLOBAL__N_124unique_dim_cuda_templateIN3c108BFloat16EEESt5tupleIJNSA_6TensorESH_SH_EERKSH_lbbbEUlllE_EE10hipError_tT0_T1_T2_T3_mRjT4_P12ihipStream_tbNS1_7vsmem_tEEUlT_E_NS1_11comp_targetILNS1_3genE10ELNS1_11target_archE1201ELNS1_3gpuE5ELNS1_3repE0EEENS1_30default_config_static_selectorELNS0_4arch9wavefront6targetE0EEEvSO_.numbered_sgpr, 0
	.set _ZN7rocprim17ROCPRIM_400000_NS6detail17trampoline_kernelINS0_14default_configENS1_37merge_sort_block_sort_config_selectorIlNS0_10empty_typeEEEZNS1_21merge_sort_block_sortIS3_PlS8_PS5_S9_ZN2at6native12_GLOBAL__N_124unique_dim_cuda_templateIN3c108BFloat16EEESt5tupleIJNSA_6TensorESH_SH_EERKSH_lbbbEUlllE_EE10hipError_tT0_T1_T2_T3_mRjT4_P12ihipStream_tbNS1_7vsmem_tEEUlT_E_NS1_11comp_targetILNS1_3genE10ELNS1_11target_archE1201ELNS1_3gpuE5ELNS1_3repE0EEENS1_30default_config_static_selectorELNS0_4arch9wavefront6targetE0EEEvSO_.num_named_barrier, 0
	.set _ZN7rocprim17ROCPRIM_400000_NS6detail17trampoline_kernelINS0_14default_configENS1_37merge_sort_block_sort_config_selectorIlNS0_10empty_typeEEEZNS1_21merge_sort_block_sortIS3_PlS8_PS5_S9_ZN2at6native12_GLOBAL__N_124unique_dim_cuda_templateIN3c108BFloat16EEESt5tupleIJNSA_6TensorESH_SH_EERKSH_lbbbEUlllE_EE10hipError_tT0_T1_T2_T3_mRjT4_P12ihipStream_tbNS1_7vsmem_tEEUlT_E_NS1_11comp_targetILNS1_3genE10ELNS1_11target_archE1201ELNS1_3gpuE5ELNS1_3repE0EEENS1_30default_config_static_selectorELNS0_4arch9wavefront6targetE0EEEvSO_.private_seg_size, 0
	.set _ZN7rocprim17ROCPRIM_400000_NS6detail17trampoline_kernelINS0_14default_configENS1_37merge_sort_block_sort_config_selectorIlNS0_10empty_typeEEEZNS1_21merge_sort_block_sortIS3_PlS8_PS5_S9_ZN2at6native12_GLOBAL__N_124unique_dim_cuda_templateIN3c108BFloat16EEESt5tupleIJNSA_6TensorESH_SH_EERKSH_lbbbEUlllE_EE10hipError_tT0_T1_T2_T3_mRjT4_P12ihipStream_tbNS1_7vsmem_tEEUlT_E_NS1_11comp_targetILNS1_3genE10ELNS1_11target_archE1201ELNS1_3gpuE5ELNS1_3repE0EEENS1_30default_config_static_selectorELNS0_4arch9wavefront6targetE0EEEvSO_.uses_vcc, 0
	.set _ZN7rocprim17ROCPRIM_400000_NS6detail17trampoline_kernelINS0_14default_configENS1_37merge_sort_block_sort_config_selectorIlNS0_10empty_typeEEEZNS1_21merge_sort_block_sortIS3_PlS8_PS5_S9_ZN2at6native12_GLOBAL__N_124unique_dim_cuda_templateIN3c108BFloat16EEESt5tupleIJNSA_6TensorESH_SH_EERKSH_lbbbEUlllE_EE10hipError_tT0_T1_T2_T3_mRjT4_P12ihipStream_tbNS1_7vsmem_tEEUlT_E_NS1_11comp_targetILNS1_3genE10ELNS1_11target_archE1201ELNS1_3gpuE5ELNS1_3repE0EEENS1_30default_config_static_selectorELNS0_4arch9wavefront6targetE0EEEvSO_.uses_flat_scratch, 0
	.set _ZN7rocprim17ROCPRIM_400000_NS6detail17trampoline_kernelINS0_14default_configENS1_37merge_sort_block_sort_config_selectorIlNS0_10empty_typeEEEZNS1_21merge_sort_block_sortIS3_PlS8_PS5_S9_ZN2at6native12_GLOBAL__N_124unique_dim_cuda_templateIN3c108BFloat16EEESt5tupleIJNSA_6TensorESH_SH_EERKSH_lbbbEUlllE_EE10hipError_tT0_T1_T2_T3_mRjT4_P12ihipStream_tbNS1_7vsmem_tEEUlT_E_NS1_11comp_targetILNS1_3genE10ELNS1_11target_archE1201ELNS1_3gpuE5ELNS1_3repE0EEENS1_30default_config_static_selectorELNS0_4arch9wavefront6targetE0EEEvSO_.has_dyn_sized_stack, 0
	.set _ZN7rocprim17ROCPRIM_400000_NS6detail17trampoline_kernelINS0_14default_configENS1_37merge_sort_block_sort_config_selectorIlNS0_10empty_typeEEEZNS1_21merge_sort_block_sortIS3_PlS8_PS5_S9_ZN2at6native12_GLOBAL__N_124unique_dim_cuda_templateIN3c108BFloat16EEESt5tupleIJNSA_6TensorESH_SH_EERKSH_lbbbEUlllE_EE10hipError_tT0_T1_T2_T3_mRjT4_P12ihipStream_tbNS1_7vsmem_tEEUlT_E_NS1_11comp_targetILNS1_3genE10ELNS1_11target_archE1201ELNS1_3gpuE5ELNS1_3repE0EEENS1_30default_config_static_selectorELNS0_4arch9wavefront6targetE0EEEvSO_.has_recursion, 0
	.set _ZN7rocprim17ROCPRIM_400000_NS6detail17trampoline_kernelINS0_14default_configENS1_37merge_sort_block_sort_config_selectorIlNS0_10empty_typeEEEZNS1_21merge_sort_block_sortIS3_PlS8_PS5_S9_ZN2at6native12_GLOBAL__N_124unique_dim_cuda_templateIN3c108BFloat16EEESt5tupleIJNSA_6TensorESH_SH_EERKSH_lbbbEUlllE_EE10hipError_tT0_T1_T2_T3_mRjT4_P12ihipStream_tbNS1_7vsmem_tEEUlT_E_NS1_11comp_targetILNS1_3genE10ELNS1_11target_archE1201ELNS1_3gpuE5ELNS1_3repE0EEENS1_30default_config_static_selectorELNS0_4arch9wavefront6targetE0EEEvSO_.has_indirect_call, 0
	.section	.AMDGPU.csdata,"",@progbits
; Kernel info:
; codeLenInByte = 0
; TotalNumSgprs: 0
; NumVgprs: 0
; ScratchSize: 0
; MemoryBound: 0
; FloatMode: 240
; IeeeMode: 1
; LDSByteSize: 0 bytes/workgroup (compile time only)
; SGPRBlocks: 0
; VGPRBlocks: 0
; NumSGPRsForWavesPerEU: 1
; NumVGPRsForWavesPerEU: 1
; NamedBarCnt: 0
; Occupancy: 16
; WaveLimiterHint : 0
; COMPUTE_PGM_RSRC2:SCRATCH_EN: 0
; COMPUTE_PGM_RSRC2:USER_SGPR: 2
; COMPUTE_PGM_RSRC2:TRAP_HANDLER: 0
; COMPUTE_PGM_RSRC2:TGID_X_EN: 1
; COMPUTE_PGM_RSRC2:TGID_Y_EN: 0
; COMPUTE_PGM_RSRC2:TGID_Z_EN: 0
; COMPUTE_PGM_RSRC2:TIDIG_COMP_CNT: 0
	.section	.text._ZN7rocprim17ROCPRIM_400000_NS6detail17trampoline_kernelINS0_14default_configENS1_37merge_sort_block_sort_config_selectorIlNS0_10empty_typeEEEZNS1_21merge_sort_block_sortIS3_PlS8_PS5_S9_ZN2at6native12_GLOBAL__N_124unique_dim_cuda_templateIN3c108BFloat16EEESt5tupleIJNSA_6TensorESH_SH_EERKSH_lbbbEUlllE_EE10hipError_tT0_T1_T2_T3_mRjT4_P12ihipStream_tbNS1_7vsmem_tEEUlT_E_NS1_11comp_targetILNS1_3genE10ELNS1_11target_archE1200ELNS1_3gpuE4ELNS1_3repE0EEENS1_30default_config_static_selectorELNS0_4arch9wavefront6targetE0EEEvSO_,"axG",@progbits,_ZN7rocprim17ROCPRIM_400000_NS6detail17trampoline_kernelINS0_14default_configENS1_37merge_sort_block_sort_config_selectorIlNS0_10empty_typeEEEZNS1_21merge_sort_block_sortIS3_PlS8_PS5_S9_ZN2at6native12_GLOBAL__N_124unique_dim_cuda_templateIN3c108BFloat16EEESt5tupleIJNSA_6TensorESH_SH_EERKSH_lbbbEUlllE_EE10hipError_tT0_T1_T2_T3_mRjT4_P12ihipStream_tbNS1_7vsmem_tEEUlT_E_NS1_11comp_targetILNS1_3genE10ELNS1_11target_archE1200ELNS1_3gpuE4ELNS1_3repE0EEENS1_30default_config_static_selectorELNS0_4arch9wavefront6targetE0EEEvSO_,comdat
	.globl	_ZN7rocprim17ROCPRIM_400000_NS6detail17trampoline_kernelINS0_14default_configENS1_37merge_sort_block_sort_config_selectorIlNS0_10empty_typeEEEZNS1_21merge_sort_block_sortIS3_PlS8_PS5_S9_ZN2at6native12_GLOBAL__N_124unique_dim_cuda_templateIN3c108BFloat16EEESt5tupleIJNSA_6TensorESH_SH_EERKSH_lbbbEUlllE_EE10hipError_tT0_T1_T2_T3_mRjT4_P12ihipStream_tbNS1_7vsmem_tEEUlT_E_NS1_11comp_targetILNS1_3genE10ELNS1_11target_archE1200ELNS1_3gpuE4ELNS1_3repE0EEENS1_30default_config_static_selectorELNS0_4arch9wavefront6targetE0EEEvSO_ ; -- Begin function _ZN7rocprim17ROCPRIM_400000_NS6detail17trampoline_kernelINS0_14default_configENS1_37merge_sort_block_sort_config_selectorIlNS0_10empty_typeEEEZNS1_21merge_sort_block_sortIS3_PlS8_PS5_S9_ZN2at6native12_GLOBAL__N_124unique_dim_cuda_templateIN3c108BFloat16EEESt5tupleIJNSA_6TensorESH_SH_EERKSH_lbbbEUlllE_EE10hipError_tT0_T1_T2_T3_mRjT4_P12ihipStream_tbNS1_7vsmem_tEEUlT_E_NS1_11comp_targetILNS1_3genE10ELNS1_11target_archE1200ELNS1_3gpuE4ELNS1_3repE0EEENS1_30default_config_static_selectorELNS0_4arch9wavefront6targetE0EEEvSO_
	.p2align	8
	.type	_ZN7rocprim17ROCPRIM_400000_NS6detail17trampoline_kernelINS0_14default_configENS1_37merge_sort_block_sort_config_selectorIlNS0_10empty_typeEEEZNS1_21merge_sort_block_sortIS3_PlS8_PS5_S9_ZN2at6native12_GLOBAL__N_124unique_dim_cuda_templateIN3c108BFloat16EEESt5tupleIJNSA_6TensorESH_SH_EERKSH_lbbbEUlllE_EE10hipError_tT0_T1_T2_T3_mRjT4_P12ihipStream_tbNS1_7vsmem_tEEUlT_E_NS1_11comp_targetILNS1_3genE10ELNS1_11target_archE1200ELNS1_3gpuE4ELNS1_3repE0EEENS1_30default_config_static_selectorELNS0_4arch9wavefront6targetE0EEEvSO_,@function
_ZN7rocprim17ROCPRIM_400000_NS6detail17trampoline_kernelINS0_14default_configENS1_37merge_sort_block_sort_config_selectorIlNS0_10empty_typeEEEZNS1_21merge_sort_block_sortIS3_PlS8_PS5_S9_ZN2at6native12_GLOBAL__N_124unique_dim_cuda_templateIN3c108BFloat16EEESt5tupleIJNSA_6TensorESH_SH_EERKSH_lbbbEUlllE_EE10hipError_tT0_T1_T2_T3_mRjT4_P12ihipStream_tbNS1_7vsmem_tEEUlT_E_NS1_11comp_targetILNS1_3genE10ELNS1_11target_archE1200ELNS1_3gpuE4ELNS1_3repE0EEENS1_30default_config_static_selectorELNS0_4arch9wavefront6targetE0EEEvSO_: ; @_ZN7rocprim17ROCPRIM_400000_NS6detail17trampoline_kernelINS0_14default_configENS1_37merge_sort_block_sort_config_selectorIlNS0_10empty_typeEEEZNS1_21merge_sort_block_sortIS3_PlS8_PS5_S9_ZN2at6native12_GLOBAL__N_124unique_dim_cuda_templateIN3c108BFloat16EEESt5tupleIJNSA_6TensorESH_SH_EERKSH_lbbbEUlllE_EE10hipError_tT0_T1_T2_T3_mRjT4_P12ihipStream_tbNS1_7vsmem_tEEUlT_E_NS1_11comp_targetILNS1_3genE10ELNS1_11target_archE1200ELNS1_3gpuE4ELNS1_3repE0EEENS1_30default_config_static_selectorELNS0_4arch9wavefront6targetE0EEEvSO_
; %bb.0:
	.section	.rodata,"a",@progbits
	.p2align	6, 0x0
	.amdhsa_kernel _ZN7rocprim17ROCPRIM_400000_NS6detail17trampoline_kernelINS0_14default_configENS1_37merge_sort_block_sort_config_selectorIlNS0_10empty_typeEEEZNS1_21merge_sort_block_sortIS3_PlS8_PS5_S9_ZN2at6native12_GLOBAL__N_124unique_dim_cuda_templateIN3c108BFloat16EEESt5tupleIJNSA_6TensorESH_SH_EERKSH_lbbbEUlllE_EE10hipError_tT0_T1_T2_T3_mRjT4_P12ihipStream_tbNS1_7vsmem_tEEUlT_E_NS1_11comp_targetILNS1_3genE10ELNS1_11target_archE1200ELNS1_3gpuE4ELNS1_3repE0EEENS1_30default_config_static_selectorELNS0_4arch9wavefront6targetE0EEEvSO_
		.amdhsa_group_segment_fixed_size 0
		.amdhsa_private_segment_fixed_size 0
		.amdhsa_kernarg_size 72
		.amdhsa_user_sgpr_count 2
		.amdhsa_user_sgpr_dispatch_ptr 0
		.amdhsa_user_sgpr_queue_ptr 0
		.amdhsa_user_sgpr_kernarg_segment_ptr 1
		.amdhsa_user_sgpr_dispatch_id 0
		.amdhsa_user_sgpr_kernarg_preload_length 0
		.amdhsa_user_sgpr_kernarg_preload_offset 0
		.amdhsa_user_sgpr_private_segment_size 0
		.amdhsa_wavefront_size32 1
		.amdhsa_uses_dynamic_stack 0
		.amdhsa_enable_private_segment 0
		.amdhsa_system_sgpr_workgroup_id_x 1
		.amdhsa_system_sgpr_workgroup_id_y 0
		.amdhsa_system_sgpr_workgroup_id_z 0
		.amdhsa_system_sgpr_workgroup_info 0
		.amdhsa_system_vgpr_workitem_id 0
		.amdhsa_next_free_vgpr 1
		.amdhsa_next_free_sgpr 1
		.amdhsa_named_barrier_count 0
		.amdhsa_reserve_vcc 0
		.amdhsa_float_round_mode_32 0
		.amdhsa_float_round_mode_16_64 0
		.amdhsa_float_denorm_mode_32 3
		.amdhsa_float_denorm_mode_16_64 3
		.amdhsa_fp16_overflow 0
		.amdhsa_memory_ordered 1
		.amdhsa_forward_progress 1
		.amdhsa_inst_pref_size 0
		.amdhsa_round_robin_scheduling 0
		.amdhsa_exception_fp_ieee_invalid_op 0
		.amdhsa_exception_fp_denorm_src 0
		.amdhsa_exception_fp_ieee_div_zero 0
		.amdhsa_exception_fp_ieee_overflow 0
		.amdhsa_exception_fp_ieee_underflow 0
		.amdhsa_exception_fp_ieee_inexact 0
		.amdhsa_exception_int_div_zero 0
	.end_amdhsa_kernel
	.section	.text._ZN7rocprim17ROCPRIM_400000_NS6detail17trampoline_kernelINS0_14default_configENS1_37merge_sort_block_sort_config_selectorIlNS0_10empty_typeEEEZNS1_21merge_sort_block_sortIS3_PlS8_PS5_S9_ZN2at6native12_GLOBAL__N_124unique_dim_cuda_templateIN3c108BFloat16EEESt5tupleIJNSA_6TensorESH_SH_EERKSH_lbbbEUlllE_EE10hipError_tT0_T1_T2_T3_mRjT4_P12ihipStream_tbNS1_7vsmem_tEEUlT_E_NS1_11comp_targetILNS1_3genE10ELNS1_11target_archE1200ELNS1_3gpuE4ELNS1_3repE0EEENS1_30default_config_static_selectorELNS0_4arch9wavefront6targetE0EEEvSO_,"axG",@progbits,_ZN7rocprim17ROCPRIM_400000_NS6detail17trampoline_kernelINS0_14default_configENS1_37merge_sort_block_sort_config_selectorIlNS0_10empty_typeEEEZNS1_21merge_sort_block_sortIS3_PlS8_PS5_S9_ZN2at6native12_GLOBAL__N_124unique_dim_cuda_templateIN3c108BFloat16EEESt5tupleIJNSA_6TensorESH_SH_EERKSH_lbbbEUlllE_EE10hipError_tT0_T1_T2_T3_mRjT4_P12ihipStream_tbNS1_7vsmem_tEEUlT_E_NS1_11comp_targetILNS1_3genE10ELNS1_11target_archE1200ELNS1_3gpuE4ELNS1_3repE0EEENS1_30default_config_static_selectorELNS0_4arch9wavefront6targetE0EEEvSO_,comdat
.Lfunc_end1122:
	.size	_ZN7rocprim17ROCPRIM_400000_NS6detail17trampoline_kernelINS0_14default_configENS1_37merge_sort_block_sort_config_selectorIlNS0_10empty_typeEEEZNS1_21merge_sort_block_sortIS3_PlS8_PS5_S9_ZN2at6native12_GLOBAL__N_124unique_dim_cuda_templateIN3c108BFloat16EEESt5tupleIJNSA_6TensorESH_SH_EERKSH_lbbbEUlllE_EE10hipError_tT0_T1_T2_T3_mRjT4_P12ihipStream_tbNS1_7vsmem_tEEUlT_E_NS1_11comp_targetILNS1_3genE10ELNS1_11target_archE1200ELNS1_3gpuE4ELNS1_3repE0EEENS1_30default_config_static_selectorELNS0_4arch9wavefront6targetE0EEEvSO_, .Lfunc_end1122-_ZN7rocprim17ROCPRIM_400000_NS6detail17trampoline_kernelINS0_14default_configENS1_37merge_sort_block_sort_config_selectorIlNS0_10empty_typeEEEZNS1_21merge_sort_block_sortIS3_PlS8_PS5_S9_ZN2at6native12_GLOBAL__N_124unique_dim_cuda_templateIN3c108BFloat16EEESt5tupleIJNSA_6TensorESH_SH_EERKSH_lbbbEUlllE_EE10hipError_tT0_T1_T2_T3_mRjT4_P12ihipStream_tbNS1_7vsmem_tEEUlT_E_NS1_11comp_targetILNS1_3genE10ELNS1_11target_archE1200ELNS1_3gpuE4ELNS1_3repE0EEENS1_30default_config_static_selectorELNS0_4arch9wavefront6targetE0EEEvSO_
                                        ; -- End function
	.set _ZN7rocprim17ROCPRIM_400000_NS6detail17trampoline_kernelINS0_14default_configENS1_37merge_sort_block_sort_config_selectorIlNS0_10empty_typeEEEZNS1_21merge_sort_block_sortIS3_PlS8_PS5_S9_ZN2at6native12_GLOBAL__N_124unique_dim_cuda_templateIN3c108BFloat16EEESt5tupleIJNSA_6TensorESH_SH_EERKSH_lbbbEUlllE_EE10hipError_tT0_T1_T2_T3_mRjT4_P12ihipStream_tbNS1_7vsmem_tEEUlT_E_NS1_11comp_targetILNS1_3genE10ELNS1_11target_archE1200ELNS1_3gpuE4ELNS1_3repE0EEENS1_30default_config_static_selectorELNS0_4arch9wavefront6targetE0EEEvSO_.num_vgpr, 0
	.set _ZN7rocprim17ROCPRIM_400000_NS6detail17trampoline_kernelINS0_14default_configENS1_37merge_sort_block_sort_config_selectorIlNS0_10empty_typeEEEZNS1_21merge_sort_block_sortIS3_PlS8_PS5_S9_ZN2at6native12_GLOBAL__N_124unique_dim_cuda_templateIN3c108BFloat16EEESt5tupleIJNSA_6TensorESH_SH_EERKSH_lbbbEUlllE_EE10hipError_tT0_T1_T2_T3_mRjT4_P12ihipStream_tbNS1_7vsmem_tEEUlT_E_NS1_11comp_targetILNS1_3genE10ELNS1_11target_archE1200ELNS1_3gpuE4ELNS1_3repE0EEENS1_30default_config_static_selectorELNS0_4arch9wavefront6targetE0EEEvSO_.num_agpr, 0
	.set _ZN7rocprim17ROCPRIM_400000_NS6detail17trampoline_kernelINS0_14default_configENS1_37merge_sort_block_sort_config_selectorIlNS0_10empty_typeEEEZNS1_21merge_sort_block_sortIS3_PlS8_PS5_S9_ZN2at6native12_GLOBAL__N_124unique_dim_cuda_templateIN3c108BFloat16EEESt5tupleIJNSA_6TensorESH_SH_EERKSH_lbbbEUlllE_EE10hipError_tT0_T1_T2_T3_mRjT4_P12ihipStream_tbNS1_7vsmem_tEEUlT_E_NS1_11comp_targetILNS1_3genE10ELNS1_11target_archE1200ELNS1_3gpuE4ELNS1_3repE0EEENS1_30default_config_static_selectorELNS0_4arch9wavefront6targetE0EEEvSO_.numbered_sgpr, 0
	.set _ZN7rocprim17ROCPRIM_400000_NS6detail17trampoline_kernelINS0_14default_configENS1_37merge_sort_block_sort_config_selectorIlNS0_10empty_typeEEEZNS1_21merge_sort_block_sortIS3_PlS8_PS5_S9_ZN2at6native12_GLOBAL__N_124unique_dim_cuda_templateIN3c108BFloat16EEESt5tupleIJNSA_6TensorESH_SH_EERKSH_lbbbEUlllE_EE10hipError_tT0_T1_T2_T3_mRjT4_P12ihipStream_tbNS1_7vsmem_tEEUlT_E_NS1_11comp_targetILNS1_3genE10ELNS1_11target_archE1200ELNS1_3gpuE4ELNS1_3repE0EEENS1_30default_config_static_selectorELNS0_4arch9wavefront6targetE0EEEvSO_.num_named_barrier, 0
	.set _ZN7rocprim17ROCPRIM_400000_NS6detail17trampoline_kernelINS0_14default_configENS1_37merge_sort_block_sort_config_selectorIlNS0_10empty_typeEEEZNS1_21merge_sort_block_sortIS3_PlS8_PS5_S9_ZN2at6native12_GLOBAL__N_124unique_dim_cuda_templateIN3c108BFloat16EEESt5tupleIJNSA_6TensorESH_SH_EERKSH_lbbbEUlllE_EE10hipError_tT0_T1_T2_T3_mRjT4_P12ihipStream_tbNS1_7vsmem_tEEUlT_E_NS1_11comp_targetILNS1_3genE10ELNS1_11target_archE1200ELNS1_3gpuE4ELNS1_3repE0EEENS1_30default_config_static_selectorELNS0_4arch9wavefront6targetE0EEEvSO_.private_seg_size, 0
	.set _ZN7rocprim17ROCPRIM_400000_NS6detail17trampoline_kernelINS0_14default_configENS1_37merge_sort_block_sort_config_selectorIlNS0_10empty_typeEEEZNS1_21merge_sort_block_sortIS3_PlS8_PS5_S9_ZN2at6native12_GLOBAL__N_124unique_dim_cuda_templateIN3c108BFloat16EEESt5tupleIJNSA_6TensorESH_SH_EERKSH_lbbbEUlllE_EE10hipError_tT0_T1_T2_T3_mRjT4_P12ihipStream_tbNS1_7vsmem_tEEUlT_E_NS1_11comp_targetILNS1_3genE10ELNS1_11target_archE1200ELNS1_3gpuE4ELNS1_3repE0EEENS1_30default_config_static_selectorELNS0_4arch9wavefront6targetE0EEEvSO_.uses_vcc, 0
	.set _ZN7rocprim17ROCPRIM_400000_NS6detail17trampoline_kernelINS0_14default_configENS1_37merge_sort_block_sort_config_selectorIlNS0_10empty_typeEEEZNS1_21merge_sort_block_sortIS3_PlS8_PS5_S9_ZN2at6native12_GLOBAL__N_124unique_dim_cuda_templateIN3c108BFloat16EEESt5tupleIJNSA_6TensorESH_SH_EERKSH_lbbbEUlllE_EE10hipError_tT0_T1_T2_T3_mRjT4_P12ihipStream_tbNS1_7vsmem_tEEUlT_E_NS1_11comp_targetILNS1_3genE10ELNS1_11target_archE1200ELNS1_3gpuE4ELNS1_3repE0EEENS1_30default_config_static_selectorELNS0_4arch9wavefront6targetE0EEEvSO_.uses_flat_scratch, 0
	.set _ZN7rocprim17ROCPRIM_400000_NS6detail17trampoline_kernelINS0_14default_configENS1_37merge_sort_block_sort_config_selectorIlNS0_10empty_typeEEEZNS1_21merge_sort_block_sortIS3_PlS8_PS5_S9_ZN2at6native12_GLOBAL__N_124unique_dim_cuda_templateIN3c108BFloat16EEESt5tupleIJNSA_6TensorESH_SH_EERKSH_lbbbEUlllE_EE10hipError_tT0_T1_T2_T3_mRjT4_P12ihipStream_tbNS1_7vsmem_tEEUlT_E_NS1_11comp_targetILNS1_3genE10ELNS1_11target_archE1200ELNS1_3gpuE4ELNS1_3repE0EEENS1_30default_config_static_selectorELNS0_4arch9wavefront6targetE0EEEvSO_.has_dyn_sized_stack, 0
	.set _ZN7rocprim17ROCPRIM_400000_NS6detail17trampoline_kernelINS0_14default_configENS1_37merge_sort_block_sort_config_selectorIlNS0_10empty_typeEEEZNS1_21merge_sort_block_sortIS3_PlS8_PS5_S9_ZN2at6native12_GLOBAL__N_124unique_dim_cuda_templateIN3c108BFloat16EEESt5tupleIJNSA_6TensorESH_SH_EERKSH_lbbbEUlllE_EE10hipError_tT0_T1_T2_T3_mRjT4_P12ihipStream_tbNS1_7vsmem_tEEUlT_E_NS1_11comp_targetILNS1_3genE10ELNS1_11target_archE1200ELNS1_3gpuE4ELNS1_3repE0EEENS1_30default_config_static_selectorELNS0_4arch9wavefront6targetE0EEEvSO_.has_recursion, 0
	.set _ZN7rocprim17ROCPRIM_400000_NS6detail17trampoline_kernelINS0_14default_configENS1_37merge_sort_block_sort_config_selectorIlNS0_10empty_typeEEEZNS1_21merge_sort_block_sortIS3_PlS8_PS5_S9_ZN2at6native12_GLOBAL__N_124unique_dim_cuda_templateIN3c108BFloat16EEESt5tupleIJNSA_6TensorESH_SH_EERKSH_lbbbEUlllE_EE10hipError_tT0_T1_T2_T3_mRjT4_P12ihipStream_tbNS1_7vsmem_tEEUlT_E_NS1_11comp_targetILNS1_3genE10ELNS1_11target_archE1200ELNS1_3gpuE4ELNS1_3repE0EEENS1_30default_config_static_selectorELNS0_4arch9wavefront6targetE0EEEvSO_.has_indirect_call, 0
	.section	.AMDGPU.csdata,"",@progbits
; Kernel info:
; codeLenInByte = 0
; TotalNumSgprs: 0
; NumVgprs: 0
; ScratchSize: 0
; MemoryBound: 0
; FloatMode: 240
; IeeeMode: 1
; LDSByteSize: 0 bytes/workgroup (compile time only)
; SGPRBlocks: 0
; VGPRBlocks: 0
; NumSGPRsForWavesPerEU: 1
; NumVGPRsForWavesPerEU: 1
; NamedBarCnt: 0
; Occupancy: 16
; WaveLimiterHint : 0
; COMPUTE_PGM_RSRC2:SCRATCH_EN: 0
; COMPUTE_PGM_RSRC2:USER_SGPR: 2
; COMPUTE_PGM_RSRC2:TRAP_HANDLER: 0
; COMPUTE_PGM_RSRC2:TGID_X_EN: 1
; COMPUTE_PGM_RSRC2:TGID_Y_EN: 0
; COMPUTE_PGM_RSRC2:TGID_Z_EN: 0
; COMPUTE_PGM_RSRC2:TIDIG_COMP_CNT: 0
	.section	.text._ZN7rocprim17ROCPRIM_400000_NS6detail17trampoline_kernelINS0_14default_configENS1_37merge_sort_block_sort_config_selectorIlNS0_10empty_typeEEEZNS1_21merge_sort_block_sortIS3_PlS8_PS5_S9_ZN2at6native12_GLOBAL__N_124unique_dim_cuda_templateIN3c108BFloat16EEESt5tupleIJNSA_6TensorESH_SH_EERKSH_lbbbEUlllE_EE10hipError_tT0_T1_T2_T3_mRjT4_P12ihipStream_tbNS1_7vsmem_tEEUlT_E_NS1_11comp_targetILNS1_3genE9ELNS1_11target_archE1100ELNS1_3gpuE3ELNS1_3repE0EEENS1_30default_config_static_selectorELNS0_4arch9wavefront6targetE0EEEvSO_,"axG",@progbits,_ZN7rocprim17ROCPRIM_400000_NS6detail17trampoline_kernelINS0_14default_configENS1_37merge_sort_block_sort_config_selectorIlNS0_10empty_typeEEEZNS1_21merge_sort_block_sortIS3_PlS8_PS5_S9_ZN2at6native12_GLOBAL__N_124unique_dim_cuda_templateIN3c108BFloat16EEESt5tupleIJNSA_6TensorESH_SH_EERKSH_lbbbEUlllE_EE10hipError_tT0_T1_T2_T3_mRjT4_P12ihipStream_tbNS1_7vsmem_tEEUlT_E_NS1_11comp_targetILNS1_3genE9ELNS1_11target_archE1100ELNS1_3gpuE3ELNS1_3repE0EEENS1_30default_config_static_selectorELNS0_4arch9wavefront6targetE0EEEvSO_,comdat
	.globl	_ZN7rocprim17ROCPRIM_400000_NS6detail17trampoline_kernelINS0_14default_configENS1_37merge_sort_block_sort_config_selectorIlNS0_10empty_typeEEEZNS1_21merge_sort_block_sortIS3_PlS8_PS5_S9_ZN2at6native12_GLOBAL__N_124unique_dim_cuda_templateIN3c108BFloat16EEESt5tupleIJNSA_6TensorESH_SH_EERKSH_lbbbEUlllE_EE10hipError_tT0_T1_T2_T3_mRjT4_P12ihipStream_tbNS1_7vsmem_tEEUlT_E_NS1_11comp_targetILNS1_3genE9ELNS1_11target_archE1100ELNS1_3gpuE3ELNS1_3repE0EEENS1_30default_config_static_selectorELNS0_4arch9wavefront6targetE0EEEvSO_ ; -- Begin function _ZN7rocprim17ROCPRIM_400000_NS6detail17trampoline_kernelINS0_14default_configENS1_37merge_sort_block_sort_config_selectorIlNS0_10empty_typeEEEZNS1_21merge_sort_block_sortIS3_PlS8_PS5_S9_ZN2at6native12_GLOBAL__N_124unique_dim_cuda_templateIN3c108BFloat16EEESt5tupleIJNSA_6TensorESH_SH_EERKSH_lbbbEUlllE_EE10hipError_tT0_T1_T2_T3_mRjT4_P12ihipStream_tbNS1_7vsmem_tEEUlT_E_NS1_11comp_targetILNS1_3genE9ELNS1_11target_archE1100ELNS1_3gpuE3ELNS1_3repE0EEENS1_30default_config_static_selectorELNS0_4arch9wavefront6targetE0EEEvSO_
	.p2align	8
	.type	_ZN7rocprim17ROCPRIM_400000_NS6detail17trampoline_kernelINS0_14default_configENS1_37merge_sort_block_sort_config_selectorIlNS0_10empty_typeEEEZNS1_21merge_sort_block_sortIS3_PlS8_PS5_S9_ZN2at6native12_GLOBAL__N_124unique_dim_cuda_templateIN3c108BFloat16EEESt5tupleIJNSA_6TensorESH_SH_EERKSH_lbbbEUlllE_EE10hipError_tT0_T1_T2_T3_mRjT4_P12ihipStream_tbNS1_7vsmem_tEEUlT_E_NS1_11comp_targetILNS1_3genE9ELNS1_11target_archE1100ELNS1_3gpuE3ELNS1_3repE0EEENS1_30default_config_static_selectorELNS0_4arch9wavefront6targetE0EEEvSO_,@function
_ZN7rocprim17ROCPRIM_400000_NS6detail17trampoline_kernelINS0_14default_configENS1_37merge_sort_block_sort_config_selectorIlNS0_10empty_typeEEEZNS1_21merge_sort_block_sortIS3_PlS8_PS5_S9_ZN2at6native12_GLOBAL__N_124unique_dim_cuda_templateIN3c108BFloat16EEESt5tupleIJNSA_6TensorESH_SH_EERKSH_lbbbEUlllE_EE10hipError_tT0_T1_T2_T3_mRjT4_P12ihipStream_tbNS1_7vsmem_tEEUlT_E_NS1_11comp_targetILNS1_3genE9ELNS1_11target_archE1100ELNS1_3gpuE3ELNS1_3repE0EEENS1_30default_config_static_selectorELNS0_4arch9wavefront6targetE0EEEvSO_: ; @_ZN7rocprim17ROCPRIM_400000_NS6detail17trampoline_kernelINS0_14default_configENS1_37merge_sort_block_sort_config_selectorIlNS0_10empty_typeEEEZNS1_21merge_sort_block_sortIS3_PlS8_PS5_S9_ZN2at6native12_GLOBAL__N_124unique_dim_cuda_templateIN3c108BFloat16EEESt5tupleIJNSA_6TensorESH_SH_EERKSH_lbbbEUlllE_EE10hipError_tT0_T1_T2_T3_mRjT4_P12ihipStream_tbNS1_7vsmem_tEEUlT_E_NS1_11comp_targetILNS1_3genE9ELNS1_11target_archE1100ELNS1_3gpuE3ELNS1_3repE0EEENS1_30default_config_static_selectorELNS0_4arch9wavefront6targetE0EEEvSO_
; %bb.0:
	.section	.rodata,"a",@progbits
	.p2align	6, 0x0
	.amdhsa_kernel _ZN7rocprim17ROCPRIM_400000_NS6detail17trampoline_kernelINS0_14default_configENS1_37merge_sort_block_sort_config_selectorIlNS0_10empty_typeEEEZNS1_21merge_sort_block_sortIS3_PlS8_PS5_S9_ZN2at6native12_GLOBAL__N_124unique_dim_cuda_templateIN3c108BFloat16EEESt5tupleIJNSA_6TensorESH_SH_EERKSH_lbbbEUlllE_EE10hipError_tT0_T1_T2_T3_mRjT4_P12ihipStream_tbNS1_7vsmem_tEEUlT_E_NS1_11comp_targetILNS1_3genE9ELNS1_11target_archE1100ELNS1_3gpuE3ELNS1_3repE0EEENS1_30default_config_static_selectorELNS0_4arch9wavefront6targetE0EEEvSO_
		.amdhsa_group_segment_fixed_size 0
		.amdhsa_private_segment_fixed_size 0
		.amdhsa_kernarg_size 72
		.amdhsa_user_sgpr_count 2
		.amdhsa_user_sgpr_dispatch_ptr 0
		.amdhsa_user_sgpr_queue_ptr 0
		.amdhsa_user_sgpr_kernarg_segment_ptr 1
		.amdhsa_user_sgpr_dispatch_id 0
		.amdhsa_user_sgpr_kernarg_preload_length 0
		.amdhsa_user_sgpr_kernarg_preload_offset 0
		.amdhsa_user_sgpr_private_segment_size 0
		.amdhsa_wavefront_size32 1
		.amdhsa_uses_dynamic_stack 0
		.amdhsa_enable_private_segment 0
		.amdhsa_system_sgpr_workgroup_id_x 1
		.amdhsa_system_sgpr_workgroup_id_y 0
		.amdhsa_system_sgpr_workgroup_id_z 0
		.amdhsa_system_sgpr_workgroup_info 0
		.amdhsa_system_vgpr_workitem_id 0
		.amdhsa_next_free_vgpr 1
		.amdhsa_next_free_sgpr 1
		.amdhsa_named_barrier_count 0
		.amdhsa_reserve_vcc 0
		.amdhsa_float_round_mode_32 0
		.amdhsa_float_round_mode_16_64 0
		.amdhsa_float_denorm_mode_32 3
		.amdhsa_float_denorm_mode_16_64 3
		.amdhsa_fp16_overflow 0
		.amdhsa_memory_ordered 1
		.amdhsa_forward_progress 1
		.amdhsa_inst_pref_size 0
		.amdhsa_round_robin_scheduling 0
		.amdhsa_exception_fp_ieee_invalid_op 0
		.amdhsa_exception_fp_denorm_src 0
		.amdhsa_exception_fp_ieee_div_zero 0
		.amdhsa_exception_fp_ieee_overflow 0
		.amdhsa_exception_fp_ieee_underflow 0
		.amdhsa_exception_fp_ieee_inexact 0
		.amdhsa_exception_int_div_zero 0
	.end_amdhsa_kernel
	.section	.text._ZN7rocprim17ROCPRIM_400000_NS6detail17trampoline_kernelINS0_14default_configENS1_37merge_sort_block_sort_config_selectorIlNS0_10empty_typeEEEZNS1_21merge_sort_block_sortIS3_PlS8_PS5_S9_ZN2at6native12_GLOBAL__N_124unique_dim_cuda_templateIN3c108BFloat16EEESt5tupleIJNSA_6TensorESH_SH_EERKSH_lbbbEUlllE_EE10hipError_tT0_T1_T2_T3_mRjT4_P12ihipStream_tbNS1_7vsmem_tEEUlT_E_NS1_11comp_targetILNS1_3genE9ELNS1_11target_archE1100ELNS1_3gpuE3ELNS1_3repE0EEENS1_30default_config_static_selectorELNS0_4arch9wavefront6targetE0EEEvSO_,"axG",@progbits,_ZN7rocprim17ROCPRIM_400000_NS6detail17trampoline_kernelINS0_14default_configENS1_37merge_sort_block_sort_config_selectorIlNS0_10empty_typeEEEZNS1_21merge_sort_block_sortIS3_PlS8_PS5_S9_ZN2at6native12_GLOBAL__N_124unique_dim_cuda_templateIN3c108BFloat16EEESt5tupleIJNSA_6TensorESH_SH_EERKSH_lbbbEUlllE_EE10hipError_tT0_T1_T2_T3_mRjT4_P12ihipStream_tbNS1_7vsmem_tEEUlT_E_NS1_11comp_targetILNS1_3genE9ELNS1_11target_archE1100ELNS1_3gpuE3ELNS1_3repE0EEENS1_30default_config_static_selectorELNS0_4arch9wavefront6targetE0EEEvSO_,comdat
.Lfunc_end1123:
	.size	_ZN7rocprim17ROCPRIM_400000_NS6detail17trampoline_kernelINS0_14default_configENS1_37merge_sort_block_sort_config_selectorIlNS0_10empty_typeEEEZNS1_21merge_sort_block_sortIS3_PlS8_PS5_S9_ZN2at6native12_GLOBAL__N_124unique_dim_cuda_templateIN3c108BFloat16EEESt5tupleIJNSA_6TensorESH_SH_EERKSH_lbbbEUlllE_EE10hipError_tT0_T1_T2_T3_mRjT4_P12ihipStream_tbNS1_7vsmem_tEEUlT_E_NS1_11comp_targetILNS1_3genE9ELNS1_11target_archE1100ELNS1_3gpuE3ELNS1_3repE0EEENS1_30default_config_static_selectorELNS0_4arch9wavefront6targetE0EEEvSO_, .Lfunc_end1123-_ZN7rocprim17ROCPRIM_400000_NS6detail17trampoline_kernelINS0_14default_configENS1_37merge_sort_block_sort_config_selectorIlNS0_10empty_typeEEEZNS1_21merge_sort_block_sortIS3_PlS8_PS5_S9_ZN2at6native12_GLOBAL__N_124unique_dim_cuda_templateIN3c108BFloat16EEESt5tupleIJNSA_6TensorESH_SH_EERKSH_lbbbEUlllE_EE10hipError_tT0_T1_T2_T3_mRjT4_P12ihipStream_tbNS1_7vsmem_tEEUlT_E_NS1_11comp_targetILNS1_3genE9ELNS1_11target_archE1100ELNS1_3gpuE3ELNS1_3repE0EEENS1_30default_config_static_selectorELNS0_4arch9wavefront6targetE0EEEvSO_
                                        ; -- End function
	.set _ZN7rocprim17ROCPRIM_400000_NS6detail17trampoline_kernelINS0_14default_configENS1_37merge_sort_block_sort_config_selectorIlNS0_10empty_typeEEEZNS1_21merge_sort_block_sortIS3_PlS8_PS5_S9_ZN2at6native12_GLOBAL__N_124unique_dim_cuda_templateIN3c108BFloat16EEESt5tupleIJNSA_6TensorESH_SH_EERKSH_lbbbEUlllE_EE10hipError_tT0_T1_T2_T3_mRjT4_P12ihipStream_tbNS1_7vsmem_tEEUlT_E_NS1_11comp_targetILNS1_3genE9ELNS1_11target_archE1100ELNS1_3gpuE3ELNS1_3repE0EEENS1_30default_config_static_selectorELNS0_4arch9wavefront6targetE0EEEvSO_.num_vgpr, 0
	.set _ZN7rocprim17ROCPRIM_400000_NS6detail17trampoline_kernelINS0_14default_configENS1_37merge_sort_block_sort_config_selectorIlNS0_10empty_typeEEEZNS1_21merge_sort_block_sortIS3_PlS8_PS5_S9_ZN2at6native12_GLOBAL__N_124unique_dim_cuda_templateIN3c108BFloat16EEESt5tupleIJNSA_6TensorESH_SH_EERKSH_lbbbEUlllE_EE10hipError_tT0_T1_T2_T3_mRjT4_P12ihipStream_tbNS1_7vsmem_tEEUlT_E_NS1_11comp_targetILNS1_3genE9ELNS1_11target_archE1100ELNS1_3gpuE3ELNS1_3repE0EEENS1_30default_config_static_selectorELNS0_4arch9wavefront6targetE0EEEvSO_.num_agpr, 0
	.set _ZN7rocprim17ROCPRIM_400000_NS6detail17trampoline_kernelINS0_14default_configENS1_37merge_sort_block_sort_config_selectorIlNS0_10empty_typeEEEZNS1_21merge_sort_block_sortIS3_PlS8_PS5_S9_ZN2at6native12_GLOBAL__N_124unique_dim_cuda_templateIN3c108BFloat16EEESt5tupleIJNSA_6TensorESH_SH_EERKSH_lbbbEUlllE_EE10hipError_tT0_T1_T2_T3_mRjT4_P12ihipStream_tbNS1_7vsmem_tEEUlT_E_NS1_11comp_targetILNS1_3genE9ELNS1_11target_archE1100ELNS1_3gpuE3ELNS1_3repE0EEENS1_30default_config_static_selectorELNS0_4arch9wavefront6targetE0EEEvSO_.numbered_sgpr, 0
	.set _ZN7rocprim17ROCPRIM_400000_NS6detail17trampoline_kernelINS0_14default_configENS1_37merge_sort_block_sort_config_selectorIlNS0_10empty_typeEEEZNS1_21merge_sort_block_sortIS3_PlS8_PS5_S9_ZN2at6native12_GLOBAL__N_124unique_dim_cuda_templateIN3c108BFloat16EEESt5tupleIJNSA_6TensorESH_SH_EERKSH_lbbbEUlllE_EE10hipError_tT0_T1_T2_T3_mRjT4_P12ihipStream_tbNS1_7vsmem_tEEUlT_E_NS1_11comp_targetILNS1_3genE9ELNS1_11target_archE1100ELNS1_3gpuE3ELNS1_3repE0EEENS1_30default_config_static_selectorELNS0_4arch9wavefront6targetE0EEEvSO_.num_named_barrier, 0
	.set _ZN7rocprim17ROCPRIM_400000_NS6detail17trampoline_kernelINS0_14default_configENS1_37merge_sort_block_sort_config_selectorIlNS0_10empty_typeEEEZNS1_21merge_sort_block_sortIS3_PlS8_PS5_S9_ZN2at6native12_GLOBAL__N_124unique_dim_cuda_templateIN3c108BFloat16EEESt5tupleIJNSA_6TensorESH_SH_EERKSH_lbbbEUlllE_EE10hipError_tT0_T1_T2_T3_mRjT4_P12ihipStream_tbNS1_7vsmem_tEEUlT_E_NS1_11comp_targetILNS1_3genE9ELNS1_11target_archE1100ELNS1_3gpuE3ELNS1_3repE0EEENS1_30default_config_static_selectorELNS0_4arch9wavefront6targetE0EEEvSO_.private_seg_size, 0
	.set _ZN7rocprim17ROCPRIM_400000_NS6detail17trampoline_kernelINS0_14default_configENS1_37merge_sort_block_sort_config_selectorIlNS0_10empty_typeEEEZNS1_21merge_sort_block_sortIS3_PlS8_PS5_S9_ZN2at6native12_GLOBAL__N_124unique_dim_cuda_templateIN3c108BFloat16EEESt5tupleIJNSA_6TensorESH_SH_EERKSH_lbbbEUlllE_EE10hipError_tT0_T1_T2_T3_mRjT4_P12ihipStream_tbNS1_7vsmem_tEEUlT_E_NS1_11comp_targetILNS1_3genE9ELNS1_11target_archE1100ELNS1_3gpuE3ELNS1_3repE0EEENS1_30default_config_static_selectorELNS0_4arch9wavefront6targetE0EEEvSO_.uses_vcc, 0
	.set _ZN7rocprim17ROCPRIM_400000_NS6detail17trampoline_kernelINS0_14default_configENS1_37merge_sort_block_sort_config_selectorIlNS0_10empty_typeEEEZNS1_21merge_sort_block_sortIS3_PlS8_PS5_S9_ZN2at6native12_GLOBAL__N_124unique_dim_cuda_templateIN3c108BFloat16EEESt5tupleIJNSA_6TensorESH_SH_EERKSH_lbbbEUlllE_EE10hipError_tT0_T1_T2_T3_mRjT4_P12ihipStream_tbNS1_7vsmem_tEEUlT_E_NS1_11comp_targetILNS1_3genE9ELNS1_11target_archE1100ELNS1_3gpuE3ELNS1_3repE0EEENS1_30default_config_static_selectorELNS0_4arch9wavefront6targetE0EEEvSO_.uses_flat_scratch, 0
	.set _ZN7rocprim17ROCPRIM_400000_NS6detail17trampoline_kernelINS0_14default_configENS1_37merge_sort_block_sort_config_selectorIlNS0_10empty_typeEEEZNS1_21merge_sort_block_sortIS3_PlS8_PS5_S9_ZN2at6native12_GLOBAL__N_124unique_dim_cuda_templateIN3c108BFloat16EEESt5tupleIJNSA_6TensorESH_SH_EERKSH_lbbbEUlllE_EE10hipError_tT0_T1_T2_T3_mRjT4_P12ihipStream_tbNS1_7vsmem_tEEUlT_E_NS1_11comp_targetILNS1_3genE9ELNS1_11target_archE1100ELNS1_3gpuE3ELNS1_3repE0EEENS1_30default_config_static_selectorELNS0_4arch9wavefront6targetE0EEEvSO_.has_dyn_sized_stack, 0
	.set _ZN7rocprim17ROCPRIM_400000_NS6detail17trampoline_kernelINS0_14default_configENS1_37merge_sort_block_sort_config_selectorIlNS0_10empty_typeEEEZNS1_21merge_sort_block_sortIS3_PlS8_PS5_S9_ZN2at6native12_GLOBAL__N_124unique_dim_cuda_templateIN3c108BFloat16EEESt5tupleIJNSA_6TensorESH_SH_EERKSH_lbbbEUlllE_EE10hipError_tT0_T1_T2_T3_mRjT4_P12ihipStream_tbNS1_7vsmem_tEEUlT_E_NS1_11comp_targetILNS1_3genE9ELNS1_11target_archE1100ELNS1_3gpuE3ELNS1_3repE0EEENS1_30default_config_static_selectorELNS0_4arch9wavefront6targetE0EEEvSO_.has_recursion, 0
	.set _ZN7rocprim17ROCPRIM_400000_NS6detail17trampoline_kernelINS0_14default_configENS1_37merge_sort_block_sort_config_selectorIlNS0_10empty_typeEEEZNS1_21merge_sort_block_sortIS3_PlS8_PS5_S9_ZN2at6native12_GLOBAL__N_124unique_dim_cuda_templateIN3c108BFloat16EEESt5tupleIJNSA_6TensorESH_SH_EERKSH_lbbbEUlllE_EE10hipError_tT0_T1_T2_T3_mRjT4_P12ihipStream_tbNS1_7vsmem_tEEUlT_E_NS1_11comp_targetILNS1_3genE9ELNS1_11target_archE1100ELNS1_3gpuE3ELNS1_3repE0EEENS1_30default_config_static_selectorELNS0_4arch9wavefront6targetE0EEEvSO_.has_indirect_call, 0
	.section	.AMDGPU.csdata,"",@progbits
; Kernel info:
; codeLenInByte = 0
; TotalNumSgprs: 0
; NumVgprs: 0
; ScratchSize: 0
; MemoryBound: 0
; FloatMode: 240
; IeeeMode: 1
; LDSByteSize: 0 bytes/workgroup (compile time only)
; SGPRBlocks: 0
; VGPRBlocks: 0
; NumSGPRsForWavesPerEU: 1
; NumVGPRsForWavesPerEU: 1
; NamedBarCnt: 0
; Occupancy: 16
; WaveLimiterHint : 0
; COMPUTE_PGM_RSRC2:SCRATCH_EN: 0
; COMPUTE_PGM_RSRC2:USER_SGPR: 2
; COMPUTE_PGM_RSRC2:TRAP_HANDLER: 0
; COMPUTE_PGM_RSRC2:TGID_X_EN: 1
; COMPUTE_PGM_RSRC2:TGID_Y_EN: 0
; COMPUTE_PGM_RSRC2:TGID_Z_EN: 0
; COMPUTE_PGM_RSRC2:TIDIG_COMP_CNT: 0
	.section	.text._ZN7rocprim17ROCPRIM_400000_NS6detail17trampoline_kernelINS0_14default_configENS1_37merge_sort_block_sort_config_selectorIlNS0_10empty_typeEEEZNS1_21merge_sort_block_sortIS3_PlS8_PS5_S9_ZN2at6native12_GLOBAL__N_124unique_dim_cuda_templateIN3c108BFloat16EEESt5tupleIJNSA_6TensorESH_SH_EERKSH_lbbbEUlllE_EE10hipError_tT0_T1_T2_T3_mRjT4_P12ihipStream_tbNS1_7vsmem_tEEUlT_E_NS1_11comp_targetILNS1_3genE8ELNS1_11target_archE1030ELNS1_3gpuE2ELNS1_3repE0EEENS1_30default_config_static_selectorELNS0_4arch9wavefront6targetE0EEEvSO_,"axG",@progbits,_ZN7rocprim17ROCPRIM_400000_NS6detail17trampoline_kernelINS0_14default_configENS1_37merge_sort_block_sort_config_selectorIlNS0_10empty_typeEEEZNS1_21merge_sort_block_sortIS3_PlS8_PS5_S9_ZN2at6native12_GLOBAL__N_124unique_dim_cuda_templateIN3c108BFloat16EEESt5tupleIJNSA_6TensorESH_SH_EERKSH_lbbbEUlllE_EE10hipError_tT0_T1_T2_T3_mRjT4_P12ihipStream_tbNS1_7vsmem_tEEUlT_E_NS1_11comp_targetILNS1_3genE8ELNS1_11target_archE1030ELNS1_3gpuE2ELNS1_3repE0EEENS1_30default_config_static_selectorELNS0_4arch9wavefront6targetE0EEEvSO_,comdat
	.globl	_ZN7rocprim17ROCPRIM_400000_NS6detail17trampoline_kernelINS0_14default_configENS1_37merge_sort_block_sort_config_selectorIlNS0_10empty_typeEEEZNS1_21merge_sort_block_sortIS3_PlS8_PS5_S9_ZN2at6native12_GLOBAL__N_124unique_dim_cuda_templateIN3c108BFloat16EEESt5tupleIJNSA_6TensorESH_SH_EERKSH_lbbbEUlllE_EE10hipError_tT0_T1_T2_T3_mRjT4_P12ihipStream_tbNS1_7vsmem_tEEUlT_E_NS1_11comp_targetILNS1_3genE8ELNS1_11target_archE1030ELNS1_3gpuE2ELNS1_3repE0EEENS1_30default_config_static_selectorELNS0_4arch9wavefront6targetE0EEEvSO_ ; -- Begin function _ZN7rocprim17ROCPRIM_400000_NS6detail17trampoline_kernelINS0_14default_configENS1_37merge_sort_block_sort_config_selectorIlNS0_10empty_typeEEEZNS1_21merge_sort_block_sortIS3_PlS8_PS5_S9_ZN2at6native12_GLOBAL__N_124unique_dim_cuda_templateIN3c108BFloat16EEESt5tupleIJNSA_6TensorESH_SH_EERKSH_lbbbEUlllE_EE10hipError_tT0_T1_T2_T3_mRjT4_P12ihipStream_tbNS1_7vsmem_tEEUlT_E_NS1_11comp_targetILNS1_3genE8ELNS1_11target_archE1030ELNS1_3gpuE2ELNS1_3repE0EEENS1_30default_config_static_selectorELNS0_4arch9wavefront6targetE0EEEvSO_
	.p2align	8
	.type	_ZN7rocprim17ROCPRIM_400000_NS6detail17trampoline_kernelINS0_14default_configENS1_37merge_sort_block_sort_config_selectorIlNS0_10empty_typeEEEZNS1_21merge_sort_block_sortIS3_PlS8_PS5_S9_ZN2at6native12_GLOBAL__N_124unique_dim_cuda_templateIN3c108BFloat16EEESt5tupleIJNSA_6TensorESH_SH_EERKSH_lbbbEUlllE_EE10hipError_tT0_T1_T2_T3_mRjT4_P12ihipStream_tbNS1_7vsmem_tEEUlT_E_NS1_11comp_targetILNS1_3genE8ELNS1_11target_archE1030ELNS1_3gpuE2ELNS1_3repE0EEENS1_30default_config_static_selectorELNS0_4arch9wavefront6targetE0EEEvSO_,@function
_ZN7rocprim17ROCPRIM_400000_NS6detail17trampoline_kernelINS0_14default_configENS1_37merge_sort_block_sort_config_selectorIlNS0_10empty_typeEEEZNS1_21merge_sort_block_sortIS3_PlS8_PS5_S9_ZN2at6native12_GLOBAL__N_124unique_dim_cuda_templateIN3c108BFloat16EEESt5tupleIJNSA_6TensorESH_SH_EERKSH_lbbbEUlllE_EE10hipError_tT0_T1_T2_T3_mRjT4_P12ihipStream_tbNS1_7vsmem_tEEUlT_E_NS1_11comp_targetILNS1_3genE8ELNS1_11target_archE1030ELNS1_3gpuE2ELNS1_3repE0EEENS1_30default_config_static_selectorELNS0_4arch9wavefront6targetE0EEEvSO_: ; @_ZN7rocprim17ROCPRIM_400000_NS6detail17trampoline_kernelINS0_14default_configENS1_37merge_sort_block_sort_config_selectorIlNS0_10empty_typeEEEZNS1_21merge_sort_block_sortIS3_PlS8_PS5_S9_ZN2at6native12_GLOBAL__N_124unique_dim_cuda_templateIN3c108BFloat16EEESt5tupleIJNSA_6TensorESH_SH_EERKSH_lbbbEUlllE_EE10hipError_tT0_T1_T2_T3_mRjT4_P12ihipStream_tbNS1_7vsmem_tEEUlT_E_NS1_11comp_targetILNS1_3genE8ELNS1_11target_archE1030ELNS1_3gpuE2ELNS1_3repE0EEENS1_30default_config_static_selectorELNS0_4arch9wavefront6targetE0EEEvSO_
; %bb.0:
	.section	.rodata,"a",@progbits
	.p2align	6, 0x0
	.amdhsa_kernel _ZN7rocprim17ROCPRIM_400000_NS6detail17trampoline_kernelINS0_14default_configENS1_37merge_sort_block_sort_config_selectorIlNS0_10empty_typeEEEZNS1_21merge_sort_block_sortIS3_PlS8_PS5_S9_ZN2at6native12_GLOBAL__N_124unique_dim_cuda_templateIN3c108BFloat16EEESt5tupleIJNSA_6TensorESH_SH_EERKSH_lbbbEUlllE_EE10hipError_tT0_T1_T2_T3_mRjT4_P12ihipStream_tbNS1_7vsmem_tEEUlT_E_NS1_11comp_targetILNS1_3genE8ELNS1_11target_archE1030ELNS1_3gpuE2ELNS1_3repE0EEENS1_30default_config_static_selectorELNS0_4arch9wavefront6targetE0EEEvSO_
		.amdhsa_group_segment_fixed_size 0
		.amdhsa_private_segment_fixed_size 0
		.amdhsa_kernarg_size 72
		.amdhsa_user_sgpr_count 2
		.amdhsa_user_sgpr_dispatch_ptr 0
		.amdhsa_user_sgpr_queue_ptr 0
		.amdhsa_user_sgpr_kernarg_segment_ptr 1
		.amdhsa_user_sgpr_dispatch_id 0
		.amdhsa_user_sgpr_kernarg_preload_length 0
		.amdhsa_user_sgpr_kernarg_preload_offset 0
		.amdhsa_user_sgpr_private_segment_size 0
		.amdhsa_wavefront_size32 1
		.amdhsa_uses_dynamic_stack 0
		.amdhsa_enable_private_segment 0
		.amdhsa_system_sgpr_workgroup_id_x 1
		.amdhsa_system_sgpr_workgroup_id_y 0
		.amdhsa_system_sgpr_workgroup_id_z 0
		.amdhsa_system_sgpr_workgroup_info 0
		.amdhsa_system_vgpr_workitem_id 0
		.amdhsa_next_free_vgpr 1
		.amdhsa_next_free_sgpr 1
		.amdhsa_named_barrier_count 0
		.amdhsa_reserve_vcc 0
		.amdhsa_float_round_mode_32 0
		.amdhsa_float_round_mode_16_64 0
		.amdhsa_float_denorm_mode_32 3
		.amdhsa_float_denorm_mode_16_64 3
		.amdhsa_fp16_overflow 0
		.amdhsa_memory_ordered 1
		.amdhsa_forward_progress 1
		.amdhsa_inst_pref_size 0
		.amdhsa_round_robin_scheduling 0
		.amdhsa_exception_fp_ieee_invalid_op 0
		.amdhsa_exception_fp_denorm_src 0
		.amdhsa_exception_fp_ieee_div_zero 0
		.amdhsa_exception_fp_ieee_overflow 0
		.amdhsa_exception_fp_ieee_underflow 0
		.amdhsa_exception_fp_ieee_inexact 0
		.amdhsa_exception_int_div_zero 0
	.end_amdhsa_kernel
	.section	.text._ZN7rocprim17ROCPRIM_400000_NS6detail17trampoline_kernelINS0_14default_configENS1_37merge_sort_block_sort_config_selectorIlNS0_10empty_typeEEEZNS1_21merge_sort_block_sortIS3_PlS8_PS5_S9_ZN2at6native12_GLOBAL__N_124unique_dim_cuda_templateIN3c108BFloat16EEESt5tupleIJNSA_6TensorESH_SH_EERKSH_lbbbEUlllE_EE10hipError_tT0_T1_T2_T3_mRjT4_P12ihipStream_tbNS1_7vsmem_tEEUlT_E_NS1_11comp_targetILNS1_3genE8ELNS1_11target_archE1030ELNS1_3gpuE2ELNS1_3repE0EEENS1_30default_config_static_selectorELNS0_4arch9wavefront6targetE0EEEvSO_,"axG",@progbits,_ZN7rocprim17ROCPRIM_400000_NS6detail17trampoline_kernelINS0_14default_configENS1_37merge_sort_block_sort_config_selectorIlNS0_10empty_typeEEEZNS1_21merge_sort_block_sortIS3_PlS8_PS5_S9_ZN2at6native12_GLOBAL__N_124unique_dim_cuda_templateIN3c108BFloat16EEESt5tupleIJNSA_6TensorESH_SH_EERKSH_lbbbEUlllE_EE10hipError_tT0_T1_T2_T3_mRjT4_P12ihipStream_tbNS1_7vsmem_tEEUlT_E_NS1_11comp_targetILNS1_3genE8ELNS1_11target_archE1030ELNS1_3gpuE2ELNS1_3repE0EEENS1_30default_config_static_selectorELNS0_4arch9wavefront6targetE0EEEvSO_,comdat
.Lfunc_end1124:
	.size	_ZN7rocprim17ROCPRIM_400000_NS6detail17trampoline_kernelINS0_14default_configENS1_37merge_sort_block_sort_config_selectorIlNS0_10empty_typeEEEZNS1_21merge_sort_block_sortIS3_PlS8_PS5_S9_ZN2at6native12_GLOBAL__N_124unique_dim_cuda_templateIN3c108BFloat16EEESt5tupleIJNSA_6TensorESH_SH_EERKSH_lbbbEUlllE_EE10hipError_tT0_T1_T2_T3_mRjT4_P12ihipStream_tbNS1_7vsmem_tEEUlT_E_NS1_11comp_targetILNS1_3genE8ELNS1_11target_archE1030ELNS1_3gpuE2ELNS1_3repE0EEENS1_30default_config_static_selectorELNS0_4arch9wavefront6targetE0EEEvSO_, .Lfunc_end1124-_ZN7rocprim17ROCPRIM_400000_NS6detail17trampoline_kernelINS0_14default_configENS1_37merge_sort_block_sort_config_selectorIlNS0_10empty_typeEEEZNS1_21merge_sort_block_sortIS3_PlS8_PS5_S9_ZN2at6native12_GLOBAL__N_124unique_dim_cuda_templateIN3c108BFloat16EEESt5tupleIJNSA_6TensorESH_SH_EERKSH_lbbbEUlllE_EE10hipError_tT0_T1_T2_T3_mRjT4_P12ihipStream_tbNS1_7vsmem_tEEUlT_E_NS1_11comp_targetILNS1_3genE8ELNS1_11target_archE1030ELNS1_3gpuE2ELNS1_3repE0EEENS1_30default_config_static_selectorELNS0_4arch9wavefront6targetE0EEEvSO_
                                        ; -- End function
	.set _ZN7rocprim17ROCPRIM_400000_NS6detail17trampoline_kernelINS0_14default_configENS1_37merge_sort_block_sort_config_selectorIlNS0_10empty_typeEEEZNS1_21merge_sort_block_sortIS3_PlS8_PS5_S9_ZN2at6native12_GLOBAL__N_124unique_dim_cuda_templateIN3c108BFloat16EEESt5tupleIJNSA_6TensorESH_SH_EERKSH_lbbbEUlllE_EE10hipError_tT0_T1_T2_T3_mRjT4_P12ihipStream_tbNS1_7vsmem_tEEUlT_E_NS1_11comp_targetILNS1_3genE8ELNS1_11target_archE1030ELNS1_3gpuE2ELNS1_3repE0EEENS1_30default_config_static_selectorELNS0_4arch9wavefront6targetE0EEEvSO_.num_vgpr, 0
	.set _ZN7rocprim17ROCPRIM_400000_NS6detail17trampoline_kernelINS0_14default_configENS1_37merge_sort_block_sort_config_selectorIlNS0_10empty_typeEEEZNS1_21merge_sort_block_sortIS3_PlS8_PS5_S9_ZN2at6native12_GLOBAL__N_124unique_dim_cuda_templateIN3c108BFloat16EEESt5tupleIJNSA_6TensorESH_SH_EERKSH_lbbbEUlllE_EE10hipError_tT0_T1_T2_T3_mRjT4_P12ihipStream_tbNS1_7vsmem_tEEUlT_E_NS1_11comp_targetILNS1_3genE8ELNS1_11target_archE1030ELNS1_3gpuE2ELNS1_3repE0EEENS1_30default_config_static_selectorELNS0_4arch9wavefront6targetE0EEEvSO_.num_agpr, 0
	.set _ZN7rocprim17ROCPRIM_400000_NS6detail17trampoline_kernelINS0_14default_configENS1_37merge_sort_block_sort_config_selectorIlNS0_10empty_typeEEEZNS1_21merge_sort_block_sortIS3_PlS8_PS5_S9_ZN2at6native12_GLOBAL__N_124unique_dim_cuda_templateIN3c108BFloat16EEESt5tupleIJNSA_6TensorESH_SH_EERKSH_lbbbEUlllE_EE10hipError_tT0_T1_T2_T3_mRjT4_P12ihipStream_tbNS1_7vsmem_tEEUlT_E_NS1_11comp_targetILNS1_3genE8ELNS1_11target_archE1030ELNS1_3gpuE2ELNS1_3repE0EEENS1_30default_config_static_selectorELNS0_4arch9wavefront6targetE0EEEvSO_.numbered_sgpr, 0
	.set _ZN7rocprim17ROCPRIM_400000_NS6detail17trampoline_kernelINS0_14default_configENS1_37merge_sort_block_sort_config_selectorIlNS0_10empty_typeEEEZNS1_21merge_sort_block_sortIS3_PlS8_PS5_S9_ZN2at6native12_GLOBAL__N_124unique_dim_cuda_templateIN3c108BFloat16EEESt5tupleIJNSA_6TensorESH_SH_EERKSH_lbbbEUlllE_EE10hipError_tT0_T1_T2_T3_mRjT4_P12ihipStream_tbNS1_7vsmem_tEEUlT_E_NS1_11comp_targetILNS1_3genE8ELNS1_11target_archE1030ELNS1_3gpuE2ELNS1_3repE0EEENS1_30default_config_static_selectorELNS0_4arch9wavefront6targetE0EEEvSO_.num_named_barrier, 0
	.set _ZN7rocprim17ROCPRIM_400000_NS6detail17trampoline_kernelINS0_14default_configENS1_37merge_sort_block_sort_config_selectorIlNS0_10empty_typeEEEZNS1_21merge_sort_block_sortIS3_PlS8_PS5_S9_ZN2at6native12_GLOBAL__N_124unique_dim_cuda_templateIN3c108BFloat16EEESt5tupleIJNSA_6TensorESH_SH_EERKSH_lbbbEUlllE_EE10hipError_tT0_T1_T2_T3_mRjT4_P12ihipStream_tbNS1_7vsmem_tEEUlT_E_NS1_11comp_targetILNS1_3genE8ELNS1_11target_archE1030ELNS1_3gpuE2ELNS1_3repE0EEENS1_30default_config_static_selectorELNS0_4arch9wavefront6targetE0EEEvSO_.private_seg_size, 0
	.set _ZN7rocprim17ROCPRIM_400000_NS6detail17trampoline_kernelINS0_14default_configENS1_37merge_sort_block_sort_config_selectorIlNS0_10empty_typeEEEZNS1_21merge_sort_block_sortIS3_PlS8_PS5_S9_ZN2at6native12_GLOBAL__N_124unique_dim_cuda_templateIN3c108BFloat16EEESt5tupleIJNSA_6TensorESH_SH_EERKSH_lbbbEUlllE_EE10hipError_tT0_T1_T2_T3_mRjT4_P12ihipStream_tbNS1_7vsmem_tEEUlT_E_NS1_11comp_targetILNS1_3genE8ELNS1_11target_archE1030ELNS1_3gpuE2ELNS1_3repE0EEENS1_30default_config_static_selectorELNS0_4arch9wavefront6targetE0EEEvSO_.uses_vcc, 0
	.set _ZN7rocprim17ROCPRIM_400000_NS6detail17trampoline_kernelINS0_14default_configENS1_37merge_sort_block_sort_config_selectorIlNS0_10empty_typeEEEZNS1_21merge_sort_block_sortIS3_PlS8_PS5_S9_ZN2at6native12_GLOBAL__N_124unique_dim_cuda_templateIN3c108BFloat16EEESt5tupleIJNSA_6TensorESH_SH_EERKSH_lbbbEUlllE_EE10hipError_tT0_T1_T2_T3_mRjT4_P12ihipStream_tbNS1_7vsmem_tEEUlT_E_NS1_11comp_targetILNS1_3genE8ELNS1_11target_archE1030ELNS1_3gpuE2ELNS1_3repE0EEENS1_30default_config_static_selectorELNS0_4arch9wavefront6targetE0EEEvSO_.uses_flat_scratch, 0
	.set _ZN7rocprim17ROCPRIM_400000_NS6detail17trampoline_kernelINS0_14default_configENS1_37merge_sort_block_sort_config_selectorIlNS0_10empty_typeEEEZNS1_21merge_sort_block_sortIS3_PlS8_PS5_S9_ZN2at6native12_GLOBAL__N_124unique_dim_cuda_templateIN3c108BFloat16EEESt5tupleIJNSA_6TensorESH_SH_EERKSH_lbbbEUlllE_EE10hipError_tT0_T1_T2_T3_mRjT4_P12ihipStream_tbNS1_7vsmem_tEEUlT_E_NS1_11comp_targetILNS1_3genE8ELNS1_11target_archE1030ELNS1_3gpuE2ELNS1_3repE0EEENS1_30default_config_static_selectorELNS0_4arch9wavefront6targetE0EEEvSO_.has_dyn_sized_stack, 0
	.set _ZN7rocprim17ROCPRIM_400000_NS6detail17trampoline_kernelINS0_14default_configENS1_37merge_sort_block_sort_config_selectorIlNS0_10empty_typeEEEZNS1_21merge_sort_block_sortIS3_PlS8_PS5_S9_ZN2at6native12_GLOBAL__N_124unique_dim_cuda_templateIN3c108BFloat16EEESt5tupleIJNSA_6TensorESH_SH_EERKSH_lbbbEUlllE_EE10hipError_tT0_T1_T2_T3_mRjT4_P12ihipStream_tbNS1_7vsmem_tEEUlT_E_NS1_11comp_targetILNS1_3genE8ELNS1_11target_archE1030ELNS1_3gpuE2ELNS1_3repE0EEENS1_30default_config_static_selectorELNS0_4arch9wavefront6targetE0EEEvSO_.has_recursion, 0
	.set _ZN7rocprim17ROCPRIM_400000_NS6detail17trampoline_kernelINS0_14default_configENS1_37merge_sort_block_sort_config_selectorIlNS0_10empty_typeEEEZNS1_21merge_sort_block_sortIS3_PlS8_PS5_S9_ZN2at6native12_GLOBAL__N_124unique_dim_cuda_templateIN3c108BFloat16EEESt5tupleIJNSA_6TensorESH_SH_EERKSH_lbbbEUlllE_EE10hipError_tT0_T1_T2_T3_mRjT4_P12ihipStream_tbNS1_7vsmem_tEEUlT_E_NS1_11comp_targetILNS1_3genE8ELNS1_11target_archE1030ELNS1_3gpuE2ELNS1_3repE0EEENS1_30default_config_static_selectorELNS0_4arch9wavefront6targetE0EEEvSO_.has_indirect_call, 0
	.section	.AMDGPU.csdata,"",@progbits
; Kernel info:
; codeLenInByte = 0
; TotalNumSgprs: 0
; NumVgprs: 0
; ScratchSize: 0
; MemoryBound: 0
; FloatMode: 240
; IeeeMode: 1
; LDSByteSize: 0 bytes/workgroup (compile time only)
; SGPRBlocks: 0
; VGPRBlocks: 0
; NumSGPRsForWavesPerEU: 1
; NumVGPRsForWavesPerEU: 1
; NamedBarCnt: 0
; Occupancy: 16
; WaveLimiterHint : 0
; COMPUTE_PGM_RSRC2:SCRATCH_EN: 0
; COMPUTE_PGM_RSRC2:USER_SGPR: 2
; COMPUTE_PGM_RSRC2:TRAP_HANDLER: 0
; COMPUTE_PGM_RSRC2:TGID_X_EN: 1
; COMPUTE_PGM_RSRC2:TGID_Y_EN: 0
; COMPUTE_PGM_RSRC2:TGID_Z_EN: 0
; COMPUTE_PGM_RSRC2:TIDIG_COMP_CNT: 0
	.section	.text._ZN7rocprim17ROCPRIM_400000_NS6detail17trampoline_kernelINS0_14default_configENS1_38merge_sort_block_merge_config_selectorIlNS0_10empty_typeEEEZZNS1_27merge_sort_block_merge_implIS3_PlPS5_mZN2at6native12_GLOBAL__N_124unique_dim_cuda_templateIN3c108BFloat16EEESt5tupleIJNSA_6TensorESH_SH_EERKSH_lbbbEUlllE_EE10hipError_tT0_T1_T2_jT3_P12ihipStream_tbPNSt15iterator_traitsISN_E10value_typeEPNST_ISO_E10value_typeEPSP_NS1_7vsmem_tEENKUlT_SN_SO_SP_E_clIS8_S8_S9_S9_EESM_S12_SN_SO_SP_EUlS12_E_NS1_11comp_targetILNS1_3genE0ELNS1_11target_archE4294967295ELNS1_3gpuE0ELNS1_3repE0EEENS1_48merge_mergepath_partition_config_static_selectorELNS0_4arch9wavefront6targetE0EEEvSO_,"axG",@progbits,_ZN7rocprim17ROCPRIM_400000_NS6detail17trampoline_kernelINS0_14default_configENS1_38merge_sort_block_merge_config_selectorIlNS0_10empty_typeEEEZZNS1_27merge_sort_block_merge_implIS3_PlPS5_mZN2at6native12_GLOBAL__N_124unique_dim_cuda_templateIN3c108BFloat16EEESt5tupleIJNSA_6TensorESH_SH_EERKSH_lbbbEUlllE_EE10hipError_tT0_T1_T2_jT3_P12ihipStream_tbPNSt15iterator_traitsISN_E10value_typeEPNST_ISO_E10value_typeEPSP_NS1_7vsmem_tEENKUlT_SN_SO_SP_E_clIS8_S8_S9_S9_EESM_S12_SN_SO_SP_EUlS12_E_NS1_11comp_targetILNS1_3genE0ELNS1_11target_archE4294967295ELNS1_3gpuE0ELNS1_3repE0EEENS1_48merge_mergepath_partition_config_static_selectorELNS0_4arch9wavefront6targetE0EEEvSO_,comdat
	.globl	_ZN7rocprim17ROCPRIM_400000_NS6detail17trampoline_kernelINS0_14default_configENS1_38merge_sort_block_merge_config_selectorIlNS0_10empty_typeEEEZZNS1_27merge_sort_block_merge_implIS3_PlPS5_mZN2at6native12_GLOBAL__N_124unique_dim_cuda_templateIN3c108BFloat16EEESt5tupleIJNSA_6TensorESH_SH_EERKSH_lbbbEUlllE_EE10hipError_tT0_T1_T2_jT3_P12ihipStream_tbPNSt15iterator_traitsISN_E10value_typeEPNST_ISO_E10value_typeEPSP_NS1_7vsmem_tEENKUlT_SN_SO_SP_E_clIS8_S8_S9_S9_EESM_S12_SN_SO_SP_EUlS12_E_NS1_11comp_targetILNS1_3genE0ELNS1_11target_archE4294967295ELNS1_3gpuE0ELNS1_3repE0EEENS1_48merge_mergepath_partition_config_static_selectorELNS0_4arch9wavefront6targetE0EEEvSO_ ; -- Begin function _ZN7rocprim17ROCPRIM_400000_NS6detail17trampoline_kernelINS0_14default_configENS1_38merge_sort_block_merge_config_selectorIlNS0_10empty_typeEEEZZNS1_27merge_sort_block_merge_implIS3_PlPS5_mZN2at6native12_GLOBAL__N_124unique_dim_cuda_templateIN3c108BFloat16EEESt5tupleIJNSA_6TensorESH_SH_EERKSH_lbbbEUlllE_EE10hipError_tT0_T1_T2_jT3_P12ihipStream_tbPNSt15iterator_traitsISN_E10value_typeEPNST_ISO_E10value_typeEPSP_NS1_7vsmem_tEENKUlT_SN_SO_SP_E_clIS8_S8_S9_S9_EESM_S12_SN_SO_SP_EUlS12_E_NS1_11comp_targetILNS1_3genE0ELNS1_11target_archE4294967295ELNS1_3gpuE0ELNS1_3repE0EEENS1_48merge_mergepath_partition_config_static_selectorELNS0_4arch9wavefront6targetE0EEEvSO_
	.p2align	8
	.type	_ZN7rocprim17ROCPRIM_400000_NS6detail17trampoline_kernelINS0_14default_configENS1_38merge_sort_block_merge_config_selectorIlNS0_10empty_typeEEEZZNS1_27merge_sort_block_merge_implIS3_PlPS5_mZN2at6native12_GLOBAL__N_124unique_dim_cuda_templateIN3c108BFloat16EEESt5tupleIJNSA_6TensorESH_SH_EERKSH_lbbbEUlllE_EE10hipError_tT0_T1_T2_jT3_P12ihipStream_tbPNSt15iterator_traitsISN_E10value_typeEPNST_ISO_E10value_typeEPSP_NS1_7vsmem_tEENKUlT_SN_SO_SP_E_clIS8_S8_S9_S9_EESM_S12_SN_SO_SP_EUlS12_E_NS1_11comp_targetILNS1_3genE0ELNS1_11target_archE4294967295ELNS1_3gpuE0ELNS1_3repE0EEENS1_48merge_mergepath_partition_config_static_selectorELNS0_4arch9wavefront6targetE0EEEvSO_,@function
_ZN7rocprim17ROCPRIM_400000_NS6detail17trampoline_kernelINS0_14default_configENS1_38merge_sort_block_merge_config_selectorIlNS0_10empty_typeEEEZZNS1_27merge_sort_block_merge_implIS3_PlPS5_mZN2at6native12_GLOBAL__N_124unique_dim_cuda_templateIN3c108BFloat16EEESt5tupleIJNSA_6TensorESH_SH_EERKSH_lbbbEUlllE_EE10hipError_tT0_T1_T2_jT3_P12ihipStream_tbPNSt15iterator_traitsISN_E10value_typeEPNST_ISO_E10value_typeEPSP_NS1_7vsmem_tEENKUlT_SN_SO_SP_E_clIS8_S8_S9_S9_EESM_S12_SN_SO_SP_EUlS12_E_NS1_11comp_targetILNS1_3genE0ELNS1_11target_archE4294967295ELNS1_3gpuE0ELNS1_3repE0EEENS1_48merge_mergepath_partition_config_static_selectorELNS0_4arch9wavefront6targetE0EEEvSO_: ; @_ZN7rocprim17ROCPRIM_400000_NS6detail17trampoline_kernelINS0_14default_configENS1_38merge_sort_block_merge_config_selectorIlNS0_10empty_typeEEEZZNS1_27merge_sort_block_merge_implIS3_PlPS5_mZN2at6native12_GLOBAL__N_124unique_dim_cuda_templateIN3c108BFloat16EEESt5tupleIJNSA_6TensorESH_SH_EERKSH_lbbbEUlllE_EE10hipError_tT0_T1_T2_jT3_P12ihipStream_tbPNSt15iterator_traitsISN_E10value_typeEPNST_ISO_E10value_typeEPSP_NS1_7vsmem_tEENKUlT_SN_SO_SP_E_clIS8_S8_S9_S9_EESM_S12_SN_SO_SP_EUlS12_E_NS1_11comp_targetILNS1_3genE0ELNS1_11target_archE4294967295ELNS1_3gpuE0ELNS1_3repE0EEENS1_48merge_mergepath_partition_config_static_selectorELNS0_4arch9wavefront6targetE0EEEvSO_
; %bb.0:
	s_load_b32 s2, s[0:1], 0x0
	s_bfe_u32 s3, ttmp6, 0x4000c
	s_and_b32 s4, ttmp6, 15
	s_add_co_i32 s3, s3, 1
	s_getreg_b32 s5, hwreg(HW_REG_IB_STS2, 6, 4)
	s_mul_i32 s3, ttmp9, s3
	s_delay_alu instid0(SALU_CYCLE_1) | instskip(SKIP_2) | instid1(SALU_CYCLE_1)
	s_add_co_i32 s4, s4, s3
	s_cmp_eq_u32 s5, 0
	s_cselect_b32 s3, ttmp9, s4
	v_lshl_or_b32 v16, s3, 7, v0
	s_wait_kmcnt 0x0
	s_delay_alu instid0(VALU_DEP_1)
	v_cmp_gt_u32_e32 vcc_lo, s2, v16
	s_and_saveexec_b32 s2, vcc_lo
	s_cbranch_execz .LBB1125_14
; %bb.1:
	s_load_b128 s[4:7], s[0:1], 0x8
	s_mov_b32 s12, exec_lo
	s_wait_kmcnt 0x0
	s_lshr_b64 s[2:3], s[4:5], 9
	s_delay_alu instid0(SALU_CYCLE_1) | instskip(NEXT) | instid1(SALU_CYCLE_1)
	s_and_b32 s2, s2, -2
	s_sub_co_i32 s3, 0, s2
	s_delay_alu instid0(SALU_CYCLE_1) | instskip(SKIP_1) | instid1(VALU_DEP_1)
	v_dual_mov_b32 v3, 0 :: v_dual_bitop2_b32 v2, s3, v16 bitop3:0x40
	s_add_co_i32 s2, s2, -1
	v_lshlrev_b64_e32 v[0:1], 10, v[2:3]
	v_and_b32_e32 v2, s2, v16
	s_delay_alu instid0(VALU_DEP_1) | instskip(NEXT) | instid1(VALU_DEP_3)
	v_lshlrev_b64_e32 v[2:3], 10, v[2:3]
	v_add_nc_u64_e32 v[4:5], s[4:5], v[0:1]
	v_min_u64 v[0:1], s[6:7], v[0:1]
	s_delay_alu instid0(VALU_DEP_2) | instskip(NEXT) | instid1(VALU_DEP_1)
	v_min_u64 v[6:7], s[6:7], v[4:5]
	v_add_nc_u64_e32 v[4:5], s[4:5], v[6:7]
	s_delay_alu instid0(VALU_DEP_1) | instskip(SKIP_1) | instid1(VALU_DEP_1)
	v_min_u64 v[4:5], s[6:7], v[4:5]
	s_load_b256 s[4:11], s[0:1], 0x18
	v_sub_nc_u64_e32 v[8:9], v[4:5], v[0:1]
	s_delay_alu instid0(VALU_DEP_1) | instskip(SKIP_2) | instid1(VALU_DEP_2)
	v_min_u64 v[8:9], v[8:9], v[2:3]
	v_sub_nc_u64_e32 v[2:3], v[4:5], v[6:7]
	v_sub_nc_u64_e32 v[4:5], v[6:7], v[0:1]
	v_max_u64 v[10:11], v[8:9], v[2:3]
	s_delay_alu instid0(VALU_DEP_2) | instskip(NEXT) | instid1(VALU_DEP_2)
	v_min_u64 v[4:5], v[8:9], v[4:5]
	v_sub_nc_u64_e32 v[2:3], v[10:11], v[2:3]
	s_delay_alu instid0(VALU_DEP_1)
	v_cmpx_lt_u64_e64 v[2:3], v[4:5]
	s_cbranch_execz .LBB1125_13
; %bb.2:
	s_wait_kmcnt 0x0
	v_lshl_add_u64 v[10:11], v[6:7], 3, s[4:5]
	v_lshl_add_u64 v[6:7], v[0:1], 3, s[4:5]
	v_cmp_gt_i64_e64 s4, s[6:7], 0
	s_lshl_b64 s[0:1], s[6:7], 1
	s_mov_b32 s5, 0
	v_lshl_add_u64 v[8:9], v[8:9], 3, v[10:11]
	s_branch .LBB1125_5
.LBB1125_3:                             ;   in Loop: Header=BB1125_5 Depth=1
	s_or_b32 exec_lo, exec_lo, s14
.LBB1125_4:                             ;   in Loop: Header=BB1125_5 Depth=1
	s_delay_alu instid0(VALU_DEP_1) | instskip(SKIP_1) | instid1(VALU_DEP_2)
	v_add_nc_u64_e32 v[12:13], 1, v[10:11]
	v_dual_cndmask_b32 v5, v5, v11, s13 :: v_dual_cndmask_b32 v4, v4, v10, s13
	v_dual_cndmask_b32 v3, v13, v3, s13 :: v_dual_cndmask_b32 v2, v12, v2, s13
	s_delay_alu instid0(VALU_DEP_1) | instskip(SKIP_1) | instid1(SALU_CYCLE_1)
	v_cmp_ge_u64_e32 vcc_lo, v[2:3], v[4:5]
	s_or_b32 s5, vcc_lo, s5
	s_and_not1_b32 exec_lo, exec_lo, s5
	s_cbranch_execz .LBB1125_12
.LBB1125_5:                             ; =>This Loop Header: Depth=1
                                        ;     Child Loop BB1125_8 Depth 2
	v_add_nc_u64_e32 v[10:11], v[4:5], v[2:3]
	s_and_not1_b32 vcc_lo, exec_lo, s4
	s_mov_b32 s13, 0
	s_delay_alu instid0(VALU_DEP_1)
	v_lshrrev_b64 v[10:11], 1, v[10:11]
	s_cbranch_vccnz .LBB1125_4
; %bb.6:                                ;   in Loop: Header=BB1125_5 Depth=1
	s_delay_alu instid0(VALU_DEP_1) | instskip(NEXT) | instid1(VALU_DEP_2)
	v_not_b32_e32 v13, v11
	v_not_b32_e32 v12, v10
	v_lshl_add_u64 v[14:15], v[10:11], 3, v[6:7]
	s_mov_b32 s14, 0
	s_mov_b64 s[2:3], s[6:7]
                                        ; implicit-def: $sgpr13
                                        ; implicit-def: $sgpr15
                                        ; implicit-def: $sgpr18
	s_delay_alu instid0(VALU_DEP_2)
	v_lshl_add_u64 v[12:13], v[12:13], 3, v[8:9]
	s_clause 0x1
	global_load_b64 v[18:19], v[12:13], off
	global_load_b64 v[20:21], v[14:15], off
	s_wait_loadcnt 0x1
	s_wait_xcnt 0x1
	v_mad_nc_u64_u32 v[12:13], s0, v18, s[8:9]
	s_wait_loadcnt 0x0
	v_mad_nc_u64_u32 v[14:15], s0, v20, s[8:9]
	s_delay_alu instid0(VALU_DEP_2) | instskip(NEXT) | instid1(VALU_DEP_2)
	v_mad_u32 v13, s1, v18, v13
	v_mad_u32 v15, s1, v20, v15
	s_delay_alu instid0(VALU_DEP_2) | instskip(NEXT) | instid1(VALU_DEP_2)
	v_mad_u32 v13, s0, v19, v13
	v_mad_u32 v15, s0, v21, v15
	s_branch .LBB1125_8
.LBB1125_7:                             ;   in Loop: Header=BB1125_8 Depth=2
	s_or_b32 exec_lo, exec_lo, s18
	s_delay_alu instid0(SALU_CYCLE_1) | instskip(SKIP_4) | instid1(SALU_CYCLE_1)
	s_and_b32 s17, exec_lo, s17
	s_mov_b32 s18, s16
	s_or_b32 s14, s17, s14
	s_and_not1_b32 s13, s13, exec_lo
	s_and_b32 s17, s15, exec_lo
	s_or_b32 s13, s13, s17
	s_and_not1_b32 exec_lo, exec_lo, s14
	s_cbranch_execz .LBB1125_3
.LBB1125_8:                             ;   Parent Loop BB1125_5 Depth=1
                                        ; =>  This Inner Loop Header: Depth=2
	global_load_u16 v17, v[12:13], off
	global_load_u16 v18, v[14:15], off
	s_mov_b32 s17, -1
	s_mov_b32 s19, 0
	s_mov_b32 s16, -1
	s_mov_b32 s20, exec_lo
	s_wait_loadcnt 0x0
	v_dual_lshlrev_b32 v17, 16, v17 :: v_dual_lshlrev_b32 v18, 16, v18
	s_delay_alu instid0(VALU_DEP_1)
	v_cmpx_nlt_f32_e32 v17, v18
; %bb.9:                                ;   in Loop: Header=BB1125_8 Depth=2
	v_cmp_ngt_f32_e32 vcc_lo, v17, v18
	s_and_b32 s16, vcc_lo, s18
	s_and_b32 s19, vcc_lo, exec_lo
	s_or_not1_b32 s16, s16, exec_lo
; %bb.10:                               ;   in Loop: Header=BB1125_8 Depth=2
	s_or_b32 exec_lo, exec_lo, s20
	s_delay_alu instid0(SALU_CYCLE_1) | instskip(SKIP_1) | instid1(SALU_CYCLE_1)
	s_and_not1_b32 s15, s15, exec_lo
	s_and_b32 s18, s16, exec_lo
	s_or_b32 s15, s15, s18
	s_and_saveexec_b32 s18, s19
	s_cbranch_execz .LBB1125_7
; %bb.11:                               ;   in Loop: Header=BB1125_8 Depth=2
	s_add_nc_u64 s[2:3], s[2:3], -1
	v_add_nc_u64_e32 v[12:13], 2, v[12:13]
	v_add_nc_u64_e32 v[14:15], 2, v[14:15]
	s_cmp_eq_u64 s[2:3], 0
	s_cselect_b32 s17, -1, 0
	s_and_not1_b32 s15, s15, exec_lo
	s_or_not1_b32 s17, s17, exec_lo
	s_branch .LBB1125_7
.LBB1125_12:
	s_or_b32 exec_lo, exec_lo, s5
.LBB1125_13:
	s_delay_alu instid0(SALU_CYCLE_1)
	s_or_b32 exec_lo, exec_lo, s12
	v_add_nc_u64_e32 v[0:1], v[2:3], v[0:1]
	s_wait_kmcnt 0x0
	global_store_b64 v16, v[0:1], s[10:11] scale_offset
.LBB1125_14:
	s_endpgm
	.section	.rodata,"a",@progbits
	.p2align	6, 0x0
	.amdhsa_kernel _ZN7rocprim17ROCPRIM_400000_NS6detail17trampoline_kernelINS0_14default_configENS1_38merge_sort_block_merge_config_selectorIlNS0_10empty_typeEEEZZNS1_27merge_sort_block_merge_implIS3_PlPS5_mZN2at6native12_GLOBAL__N_124unique_dim_cuda_templateIN3c108BFloat16EEESt5tupleIJNSA_6TensorESH_SH_EERKSH_lbbbEUlllE_EE10hipError_tT0_T1_T2_jT3_P12ihipStream_tbPNSt15iterator_traitsISN_E10value_typeEPNST_ISO_E10value_typeEPSP_NS1_7vsmem_tEENKUlT_SN_SO_SP_E_clIS8_S8_S9_S9_EESM_S12_SN_SO_SP_EUlS12_E_NS1_11comp_targetILNS1_3genE0ELNS1_11target_archE4294967295ELNS1_3gpuE0ELNS1_3repE0EEENS1_48merge_mergepath_partition_config_static_selectorELNS0_4arch9wavefront6targetE0EEEvSO_
		.amdhsa_group_segment_fixed_size 0
		.amdhsa_private_segment_fixed_size 0
		.amdhsa_kernarg_size 56
		.amdhsa_user_sgpr_count 2
		.amdhsa_user_sgpr_dispatch_ptr 0
		.amdhsa_user_sgpr_queue_ptr 0
		.amdhsa_user_sgpr_kernarg_segment_ptr 1
		.amdhsa_user_sgpr_dispatch_id 0
		.amdhsa_user_sgpr_kernarg_preload_length 0
		.amdhsa_user_sgpr_kernarg_preload_offset 0
		.amdhsa_user_sgpr_private_segment_size 0
		.amdhsa_wavefront_size32 1
		.amdhsa_uses_dynamic_stack 0
		.amdhsa_enable_private_segment 0
		.amdhsa_system_sgpr_workgroup_id_x 1
		.amdhsa_system_sgpr_workgroup_id_y 0
		.amdhsa_system_sgpr_workgroup_id_z 0
		.amdhsa_system_sgpr_workgroup_info 0
		.amdhsa_system_vgpr_workitem_id 0
		.amdhsa_next_free_vgpr 22
		.amdhsa_next_free_sgpr 21
		.amdhsa_named_barrier_count 0
		.amdhsa_reserve_vcc 1
		.amdhsa_float_round_mode_32 0
		.amdhsa_float_round_mode_16_64 0
		.amdhsa_float_denorm_mode_32 3
		.amdhsa_float_denorm_mode_16_64 3
		.amdhsa_fp16_overflow 0
		.amdhsa_memory_ordered 1
		.amdhsa_forward_progress 1
		.amdhsa_inst_pref_size 6
		.amdhsa_round_robin_scheduling 0
		.amdhsa_exception_fp_ieee_invalid_op 0
		.amdhsa_exception_fp_denorm_src 0
		.amdhsa_exception_fp_ieee_div_zero 0
		.amdhsa_exception_fp_ieee_overflow 0
		.amdhsa_exception_fp_ieee_underflow 0
		.amdhsa_exception_fp_ieee_inexact 0
		.amdhsa_exception_int_div_zero 0
	.end_amdhsa_kernel
	.section	.text._ZN7rocprim17ROCPRIM_400000_NS6detail17trampoline_kernelINS0_14default_configENS1_38merge_sort_block_merge_config_selectorIlNS0_10empty_typeEEEZZNS1_27merge_sort_block_merge_implIS3_PlPS5_mZN2at6native12_GLOBAL__N_124unique_dim_cuda_templateIN3c108BFloat16EEESt5tupleIJNSA_6TensorESH_SH_EERKSH_lbbbEUlllE_EE10hipError_tT0_T1_T2_jT3_P12ihipStream_tbPNSt15iterator_traitsISN_E10value_typeEPNST_ISO_E10value_typeEPSP_NS1_7vsmem_tEENKUlT_SN_SO_SP_E_clIS8_S8_S9_S9_EESM_S12_SN_SO_SP_EUlS12_E_NS1_11comp_targetILNS1_3genE0ELNS1_11target_archE4294967295ELNS1_3gpuE0ELNS1_3repE0EEENS1_48merge_mergepath_partition_config_static_selectorELNS0_4arch9wavefront6targetE0EEEvSO_,"axG",@progbits,_ZN7rocprim17ROCPRIM_400000_NS6detail17trampoline_kernelINS0_14default_configENS1_38merge_sort_block_merge_config_selectorIlNS0_10empty_typeEEEZZNS1_27merge_sort_block_merge_implIS3_PlPS5_mZN2at6native12_GLOBAL__N_124unique_dim_cuda_templateIN3c108BFloat16EEESt5tupleIJNSA_6TensorESH_SH_EERKSH_lbbbEUlllE_EE10hipError_tT0_T1_T2_jT3_P12ihipStream_tbPNSt15iterator_traitsISN_E10value_typeEPNST_ISO_E10value_typeEPSP_NS1_7vsmem_tEENKUlT_SN_SO_SP_E_clIS8_S8_S9_S9_EESM_S12_SN_SO_SP_EUlS12_E_NS1_11comp_targetILNS1_3genE0ELNS1_11target_archE4294967295ELNS1_3gpuE0ELNS1_3repE0EEENS1_48merge_mergepath_partition_config_static_selectorELNS0_4arch9wavefront6targetE0EEEvSO_,comdat
.Lfunc_end1125:
	.size	_ZN7rocprim17ROCPRIM_400000_NS6detail17trampoline_kernelINS0_14default_configENS1_38merge_sort_block_merge_config_selectorIlNS0_10empty_typeEEEZZNS1_27merge_sort_block_merge_implIS3_PlPS5_mZN2at6native12_GLOBAL__N_124unique_dim_cuda_templateIN3c108BFloat16EEESt5tupleIJNSA_6TensorESH_SH_EERKSH_lbbbEUlllE_EE10hipError_tT0_T1_T2_jT3_P12ihipStream_tbPNSt15iterator_traitsISN_E10value_typeEPNST_ISO_E10value_typeEPSP_NS1_7vsmem_tEENKUlT_SN_SO_SP_E_clIS8_S8_S9_S9_EESM_S12_SN_SO_SP_EUlS12_E_NS1_11comp_targetILNS1_3genE0ELNS1_11target_archE4294967295ELNS1_3gpuE0ELNS1_3repE0EEENS1_48merge_mergepath_partition_config_static_selectorELNS0_4arch9wavefront6targetE0EEEvSO_, .Lfunc_end1125-_ZN7rocprim17ROCPRIM_400000_NS6detail17trampoline_kernelINS0_14default_configENS1_38merge_sort_block_merge_config_selectorIlNS0_10empty_typeEEEZZNS1_27merge_sort_block_merge_implIS3_PlPS5_mZN2at6native12_GLOBAL__N_124unique_dim_cuda_templateIN3c108BFloat16EEESt5tupleIJNSA_6TensorESH_SH_EERKSH_lbbbEUlllE_EE10hipError_tT0_T1_T2_jT3_P12ihipStream_tbPNSt15iterator_traitsISN_E10value_typeEPNST_ISO_E10value_typeEPSP_NS1_7vsmem_tEENKUlT_SN_SO_SP_E_clIS8_S8_S9_S9_EESM_S12_SN_SO_SP_EUlS12_E_NS1_11comp_targetILNS1_3genE0ELNS1_11target_archE4294967295ELNS1_3gpuE0ELNS1_3repE0EEENS1_48merge_mergepath_partition_config_static_selectorELNS0_4arch9wavefront6targetE0EEEvSO_
                                        ; -- End function
	.set _ZN7rocprim17ROCPRIM_400000_NS6detail17trampoline_kernelINS0_14default_configENS1_38merge_sort_block_merge_config_selectorIlNS0_10empty_typeEEEZZNS1_27merge_sort_block_merge_implIS3_PlPS5_mZN2at6native12_GLOBAL__N_124unique_dim_cuda_templateIN3c108BFloat16EEESt5tupleIJNSA_6TensorESH_SH_EERKSH_lbbbEUlllE_EE10hipError_tT0_T1_T2_jT3_P12ihipStream_tbPNSt15iterator_traitsISN_E10value_typeEPNST_ISO_E10value_typeEPSP_NS1_7vsmem_tEENKUlT_SN_SO_SP_E_clIS8_S8_S9_S9_EESM_S12_SN_SO_SP_EUlS12_E_NS1_11comp_targetILNS1_3genE0ELNS1_11target_archE4294967295ELNS1_3gpuE0ELNS1_3repE0EEENS1_48merge_mergepath_partition_config_static_selectorELNS0_4arch9wavefront6targetE0EEEvSO_.num_vgpr, 22
	.set _ZN7rocprim17ROCPRIM_400000_NS6detail17trampoline_kernelINS0_14default_configENS1_38merge_sort_block_merge_config_selectorIlNS0_10empty_typeEEEZZNS1_27merge_sort_block_merge_implIS3_PlPS5_mZN2at6native12_GLOBAL__N_124unique_dim_cuda_templateIN3c108BFloat16EEESt5tupleIJNSA_6TensorESH_SH_EERKSH_lbbbEUlllE_EE10hipError_tT0_T1_T2_jT3_P12ihipStream_tbPNSt15iterator_traitsISN_E10value_typeEPNST_ISO_E10value_typeEPSP_NS1_7vsmem_tEENKUlT_SN_SO_SP_E_clIS8_S8_S9_S9_EESM_S12_SN_SO_SP_EUlS12_E_NS1_11comp_targetILNS1_3genE0ELNS1_11target_archE4294967295ELNS1_3gpuE0ELNS1_3repE0EEENS1_48merge_mergepath_partition_config_static_selectorELNS0_4arch9wavefront6targetE0EEEvSO_.num_agpr, 0
	.set _ZN7rocprim17ROCPRIM_400000_NS6detail17trampoline_kernelINS0_14default_configENS1_38merge_sort_block_merge_config_selectorIlNS0_10empty_typeEEEZZNS1_27merge_sort_block_merge_implIS3_PlPS5_mZN2at6native12_GLOBAL__N_124unique_dim_cuda_templateIN3c108BFloat16EEESt5tupleIJNSA_6TensorESH_SH_EERKSH_lbbbEUlllE_EE10hipError_tT0_T1_T2_jT3_P12ihipStream_tbPNSt15iterator_traitsISN_E10value_typeEPNST_ISO_E10value_typeEPSP_NS1_7vsmem_tEENKUlT_SN_SO_SP_E_clIS8_S8_S9_S9_EESM_S12_SN_SO_SP_EUlS12_E_NS1_11comp_targetILNS1_3genE0ELNS1_11target_archE4294967295ELNS1_3gpuE0ELNS1_3repE0EEENS1_48merge_mergepath_partition_config_static_selectorELNS0_4arch9wavefront6targetE0EEEvSO_.numbered_sgpr, 21
	.set _ZN7rocprim17ROCPRIM_400000_NS6detail17trampoline_kernelINS0_14default_configENS1_38merge_sort_block_merge_config_selectorIlNS0_10empty_typeEEEZZNS1_27merge_sort_block_merge_implIS3_PlPS5_mZN2at6native12_GLOBAL__N_124unique_dim_cuda_templateIN3c108BFloat16EEESt5tupleIJNSA_6TensorESH_SH_EERKSH_lbbbEUlllE_EE10hipError_tT0_T1_T2_jT3_P12ihipStream_tbPNSt15iterator_traitsISN_E10value_typeEPNST_ISO_E10value_typeEPSP_NS1_7vsmem_tEENKUlT_SN_SO_SP_E_clIS8_S8_S9_S9_EESM_S12_SN_SO_SP_EUlS12_E_NS1_11comp_targetILNS1_3genE0ELNS1_11target_archE4294967295ELNS1_3gpuE0ELNS1_3repE0EEENS1_48merge_mergepath_partition_config_static_selectorELNS0_4arch9wavefront6targetE0EEEvSO_.num_named_barrier, 0
	.set _ZN7rocprim17ROCPRIM_400000_NS6detail17trampoline_kernelINS0_14default_configENS1_38merge_sort_block_merge_config_selectorIlNS0_10empty_typeEEEZZNS1_27merge_sort_block_merge_implIS3_PlPS5_mZN2at6native12_GLOBAL__N_124unique_dim_cuda_templateIN3c108BFloat16EEESt5tupleIJNSA_6TensorESH_SH_EERKSH_lbbbEUlllE_EE10hipError_tT0_T1_T2_jT3_P12ihipStream_tbPNSt15iterator_traitsISN_E10value_typeEPNST_ISO_E10value_typeEPSP_NS1_7vsmem_tEENKUlT_SN_SO_SP_E_clIS8_S8_S9_S9_EESM_S12_SN_SO_SP_EUlS12_E_NS1_11comp_targetILNS1_3genE0ELNS1_11target_archE4294967295ELNS1_3gpuE0ELNS1_3repE0EEENS1_48merge_mergepath_partition_config_static_selectorELNS0_4arch9wavefront6targetE0EEEvSO_.private_seg_size, 0
	.set _ZN7rocprim17ROCPRIM_400000_NS6detail17trampoline_kernelINS0_14default_configENS1_38merge_sort_block_merge_config_selectorIlNS0_10empty_typeEEEZZNS1_27merge_sort_block_merge_implIS3_PlPS5_mZN2at6native12_GLOBAL__N_124unique_dim_cuda_templateIN3c108BFloat16EEESt5tupleIJNSA_6TensorESH_SH_EERKSH_lbbbEUlllE_EE10hipError_tT0_T1_T2_jT3_P12ihipStream_tbPNSt15iterator_traitsISN_E10value_typeEPNST_ISO_E10value_typeEPSP_NS1_7vsmem_tEENKUlT_SN_SO_SP_E_clIS8_S8_S9_S9_EESM_S12_SN_SO_SP_EUlS12_E_NS1_11comp_targetILNS1_3genE0ELNS1_11target_archE4294967295ELNS1_3gpuE0ELNS1_3repE0EEENS1_48merge_mergepath_partition_config_static_selectorELNS0_4arch9wavefront6targetE0EEEvSO_.uses_vcc, 1
	.set _ZN7rocprim17ROCPRIM_400000_NS6detail17trampoline_kernelINS0_14default_configENS1_38merge_sort_block_merge_config_selectorIlNS0_10empty_typeEEEZZNS1_27merge_sort_block_merge_implIS3_PlPS5_mZN2at6native12_GLOBAL__N_124unique_dim_cuda_templateIN3c108BFloat16EEESt5tupleIJNSA_6TensorESH_SH_EERKSH_lbbbEUlllE_EE10hipError_tT0_T1_T2_jT3_P12ihipStream_tbPNSt15iterator_traitsISN_E10value_typeEPNST_ISO_E10value_typeEPSP_NS1_7vsmem_tEENKUlT_SN_SO_SP_E_clIS8_S8_S9_S9_EESM_S12_SN_SO_SP_EUlS12_E_NS1_11comp_targetILNS1_3genE0ELNS1_11target_archE4294967295ELNS1_3gpuE0ELNS1_3repE0EEENS1_48merge_mergepath_partition_config_static_selectorELNS0_4arch9wavefront6targetE0EEEvSO_.uses_flat_scratch, 0
	.set _ZN7rocprim17ROCPRIM_400000_NS6detail17trampoline_kernelINS0_14default_configENS1_38merge_sort_block_merge_config_selectorIlNS0_10empty_typeEEEZZNS1_27merge_sort_block_merge_implIS3_PlPS5_mZN2at6native12_GLOBAL__N_124unique_dim_cuda_templateIN3c108BFloat16EEESt5tupleIJNSA_6TensorESH_SH_EERKSH_lbbbEUlllE_EE10hipError_tT0_T1_T2_jT3_P12ihipStream_tbPNSt15iterator_traitsISN_E10value_typeEPNST_ISO_E10value_typeEPSP_NS1_7vsmem_tEENKUlT_SN_SO_SP_E_clIS8_S8_S9_S9_EESM_S12_SN_SO_SP_EUlS12_E_NS1_11comp_targetILNS1_3genE0ELNS1_11target_archE4294967295ELNS1_3gpuE0ELNS1_3repE0EEENS1_48merge_mergepath_partition_config_static_selectorELNS0_4arch9wavefront6targetE0EEEvSO_.has_dyn_sized_stack, 0
	.set _ZN7rocprim17ROCPRIM_400000_NS6detail17trampoline_kernelINS0_14default_configENS1_38merge_sort_block_merge_config_selectorIlNS0_10empty_typeEEEZZNS1_27merge_sort_block_merge_implIS3_PlPS5_mZN2at6native12_GLOBAL__N_124unique_dim_cuda_templateIN3c108BFloat16EEESt5tupleIJNSA_6TensorESH_SH_EERKSH_lbbbEUlllE_EE10hipError_tT0_T1_T2_jT3_P12ihipStream_tbPNSt15iterator_traitsISN_E10value_typeEPNST_ISO_E10value_typeEPSP_NS1_7vsmem_tEENKUlT_SN_SO_SP_E_clIS8_S8_S9_S9_EESM_S12_SN_SO_SP_EUlS12_E_NS1_11comp_targetILNS1_3genE0ELNS1_11target_archE4294967295ELNS1_3gpuE0ELNS1_3repE0EEENS1_48merge_mergepath_partition_config_static_selectorELNS0_4arch9wavefront6targetE0EEEvSO_.has_recursion, 0
	.set _ZN7rocprim17ROCPRIM_400000_NS6detail17trampoline_kernelINS0_14default_configENS1_38merge_sort_block_merge_config_selectorIlNS0_10empty_typeEEEZZNS1_27merge_sort_block_merge_implIS3_PlPS5_mZN2at6native12_GLOBAL__N_124unique_dim_cuda_templateIN3c108BFloat16EEESt5tupleIJNSA_6TensorESH_SH_EERKSH_lbbbEUlllE_EE10hipError_tT0_T1_T2_jT3_P12ihipStream_tbPNSt15iterator_traitsISN_E10value_typeEPNST_ISO_E10value_typeEPSP_NS1_7vsmem_tEENKUlT_SN_SO_SP_E_clIS8_S8_S9_S9_EESM_S12_SN_SO_SP_EUlS12_E_NS1_11comp_targetILNS1_3genE0ELNS1_11target_archE4294967295ELNS1_3gpuE0ELNS1_3repE0EEENS1_48merge_mergepath_partition_config_static_selectorELNS0_4arch9wavefront6targetE0EEEvSO_.has_indirect_call, 0
	.section	.AMDGPU.csdata,"",@progbits
; Kernel info:
; codeLenInByte = 744
; TotalNumSgprs: 23
; NumVgprs: 22
; ScratchSize: 0
; MemoryBound: 0
; FloatMode: 240
; IeeeMode: 1
; LDSByteSize: 0 bytes/workgroup (compile time only)
; SGPRBlocks: 0
; VGPRBlocks: 1
; NumSGPRsForWavesPerEU: 23
; NumVGPRsForWavesPerEU: 22
; NamedBarCnt: 0
; Occupancy: 16
; WaveLimiterHint : 0
; COMPUTE_PGM_RSRC2:SCRATCH_EN: 0
; COMPUTE_PGM_RSRC2:USER_SGPR: 2
; COMPUTE_PGM_RSRC2:TRAP_HANDLER: 0
; COMPUTE_PGM_RSRC2:TGID_X_EN: 1
; COMPUTE_PGM_RSRC2:TGID_Y_EN: 0
; COMPUTE_PGM_RSRC2:TGID_Z_EN: 0
; COMPUTE_PGM_RSRC2:TIDIG_COMP_CNT: 0
	.section	.text._ZN7rocprim17ROCPRIM_400000_NS6detail17trampoline_kernelINS0_14default_configENS1_38merge_sort_block_merge_config_selectorIlNS0_10empty_typeEEEZZNS1_27merge_sort_block_merge_implIS3_PlPS5_mZN2at6native12_GLOBAL__N_124unique_dim_cuda_templateIN3c108BFloat16EEESt5tupleIJNSA_6TensorESH_SH_EERKSH_lbbbEUlllE_EE10hipError_tT0_T1_T2_jT3_P12ihipStream_tbPNSt15iterator_traitsISN_E10value_typeEPNST_ISO_E10value_typeEPSP_NS1_7vsmem_tEENKUlT_SN_SO_SP_E_clIS8_S8_S9_S9_EESM_S12_SN_SO_SP_EUlS12_E_NS1_11comp_targetILNS1_3genE10ELNS1_11target_archE1201ELNS1_3gpuE5ELNS1_3repE0EEENS1_48merge_mergepath_partition_config_static_selectorELNS0_4arch9wavefront6targetE0EEEvSO_,"axG",@progbits,_ZN7rocprim17ROCPRIM_400000_NS6detail17trampoline_kernelINS0_14default_configENS1_38merge_sort_block_merge_config_selectorIlNS0_10empty_typeEEEZZNS1_27merge_sort_block_merge_implIS3_PlPS5_mZN2at6native12_GLOBAL__N_124unique_dim_cuda_templateIN3c108BFloat16EEESt5tupleIJNSA_6TensorESH_SH_EERKSH_lbbbEUlllE_EE10hipError_tT0_T1_T2_jT3_P12ihipStream_tbPNSt15iterator_traitsISN_E10value_typeEPNST_ISO_E10value_typeEPSP_NS1_7vsmem_tEENKUlT_SN_SO_SP_E_clIS8_S8_S9_S9_EESM_S12_SN_SO_SP_EUlS12_E_NS1_11comp_targetILNS1_3genE10ELNS1_11target_archE1201ELNS1_3gpuE5ELNS1_3repE0EEENS1_48merge_mergepath_partition_config_static_selectorELNS0_4arch9wavefront6targetE0EEEvSO_,comdat
	.globl	_ZN7rocprim17ROCPRIM_400000_NS6detail17trampoline_kernelINS0_14default_configENS1_38merge_sort_block_merge_config_selectorIlNS0_10empty_typeEEEZZNS1_27merge_sort_block_merge_implIS3_PlPS5_mZN2at6native12_GLOBAL__N_124unique_dim_cuda_templateIN3c108BFloat16EEESt5tupleIJNSA_6TensorESH_SH_EERKSH_lbbbEUlllE_EE10hipError_tT0_T1_T2_jT3_P12ihipStream_tbPNSt15iterator_traitsISN_E10value_typeEPNST_ISO_E10value_typeEPSP_NS1_7vsmem_tEENKUlT_SN_SO_SP_E_clIS8_S8_S9_S9_EESM_S12_SN_SO_SP_EUlS12_E_NS1_11comp_targetILNS1_3genE10ELNS1_11target_archE1201ELNS1_3gpuE5ELNS1_3repE0EEENS1_48merge_mergepath_partition_config_static_selectorELNS0_4arch9wavefront6targetE0EEEvSO_ ; -- Begin function _ZN7rocprim17ROCPRIM_400000_NS6detail17trampoline_kernelINS0_14default_configENS1_38merge_sort_block_merge_config_selectorIlNS0_10empty_typeEEEZZNS1_27merge_sort_block_merge_implIS3_PlPS5_mZN2at6native12_GLOBAL__N_124unique_dim_cuda_templateIN3c108BFloat16EEESt5tupleIJNSA_6TensorESH_SH_EERKSH_lbbbEUlllE_EE10hipError_tT0_T1_T2_jT3_P12ihipStream_tbPNSt15iterator_traitsISN_E10value_typeEPNST_ISO_E10value_typeEPSP_NS1_7vsmem_tEENKUlT_SN_SO_SP_E_clIS8_S8_S9_S9_EESM_S12_SN_SO_SP_EUlS12_E_NS1_11comp_targetILNS1_3genE10ELNS1_11target_archE1201ELNS1_3gpuE5ELNS1_3repE0EEENS1_48merge_mergepath_partition_config_static_selectorELNS0_4arch9wavefront6targetE0EEEvSO_
	.p2align	8
	.type	_ZN7rocprim17ROCPRIM_400000_NS6detail17trampoline_kernelINS0_14default_configENS1_38merge_sort_block_merge_config_selectorIlNS0_10empty_typeEEEZZNS1_27merge_sort_block_merge_implIS3_PlPS5_mZN2at6native12_GLOBAL__N_124unique_dim_cuda_templateIN3c108BFloat16EEESt5tupleIJNSA_6TensorESH_SH_EERKSH_lbbbEUlllE_EE10hipError_tT0_T1_T2_jT3_P12ihipStream_tbPNSt15iterator_traitsISN_E10value_typeEPNST_ISO_E10value_typeEPSP_NS1_7vsmem_tEENKUlT_SN_SO_SP_E_clIS8_S8_S9_S9_EESM_S12_SN_SO_SP_EUlS12_E_NS1_11comp_targetILNS1_3genE10ELNS1_11target_archE1201ELNS1_3gpuE5ELNS1_3repE0EEENS1_48merge_mergepath_partition_config_static_selectorELNS0_4arch9wavefront6targetE0EEEvSO_,@function
_ZN7rocprim17ROCPRIM_400000_NS6detail17trampoline_kernelINS0_14default_configENS1_38merge_sort_block_merge_config_selectorIlNS0_10empty_typeEEEZZNS1_27merge_sort_block_merge_implIS3_PlPS5_mZN2at6native12_GLOBAL__N_124unique_dim_cuda_templateIN3c108BFloat16EEESt5tupleIJNSA_6TensorESH_SH_EERKSH_lbbbEUlllE_EE10hipError_tT0_T1_T2_jT3_P12ihipStream_tbPNSt15iterator_traitsISN_E10value_typeEPNST_ISO_E10value_typeEPSP_NS1_7vsmem_tEENKUlT_SN_SO_SP_E_clIS8_S8_S9_S9_EESM_S12_SN_SO_SP_EUlS12_E_NS1_11comp_targetILNS1_3genE10ELNS1_11target_archE1201ELNS1_3gpuE5ELNS1_3repE0EEENS1_48merge_mergepath_partition_config_static_selectorELNS0_4arch9wavefront6targetE0EEEvSO_: ; @_ZN7rocprim17ROCPRIM_400000_NS6detail17trampoline_kernelINS0_14default_configENS1_38merge_sort_block_merge_config_selectorIlNS0_10empty_typeEEEZZNS1_27merge_sort_block_merge_implIS3_PlPS5_mZN2at6native12_GLOBAL__N_124unique_dim_cuda_templateIN3c108BFloat16EEESt5tupleIJNSA_6TensorESH_SH_EERKSH_lbbbEUlllE_EE10hipError_tT0_T1_T2_jT3_P12ihipStream_tbPNSt15iterator_traitsISN_E10value_typeEPNST_ISO_E10value_typeEPSP_NS1_7vsmem_tEENKUlT_SN_SO_SP_E_clIS8_S8_S9_S9_EESM_S12_SN_SO_SP_EUlS12_E_NS1_11comp_targetILNS1_3genE10ELNS1_11target_archE1201ELNS1_3gpuE5ELNS1_3repE0EEENS1_48merge_mergepath_partition_config_static_selectorELNS0_4arch9wavefront6targetE0EEEvSO_
; %bb.0:
	.section	.rodata,"a",@progbits
	.p2align	6, 0x0
	.amdhsa_kernel _ZN7rocprim17ROCPRIM_400000_NS6detail17trampoline_kernelINS0_14default_configENS1_38merge_sort_block_merge_config_selectorIlNS0_10empty_typeEEEZZNS1_27merge_sort_block_merge_implIS3_PlPS5_mZN2at6native12_GLOBAL__N_124unique_dim_cuda_templateIN3c108BFloat16EEESt5tupleIJNSA_6TensorESH_SH_EERKSH_lbbbEUlllE_EE10hipError_tT0_T1_T2_jT3_P12ihipStream_tbPNSt15iterator_traitsISN_E10value_typeEPNST_ISO_E10value_typeEPSP_NS1_7vsmem_tEENKUlT_SN_SO_SP_E_clIS8_S8_S9_S9_EESM_S12_SN_SO_SP_EUlS12_E_NS1_11comp_targetILNS1_3genE10ELNS1_11target_archE1201ELNS1_3gpuE5ELNS1_3repE0EEENS1_48merge_mergepath_partition_config_static_selectorELNS0_4arch9wavefront6targetE0EEEvSO_
		.amdhsa_group_segment_fixed_size 0
		.amdhsa_private_segment_fixed_size 0
		.amdhsa_kernarg_size 56
		.amdhsa_user_sgpr_count 2
		.amdhsa_user_sgpr_dispatch_ptr 0
		.amdhsa_user_sgpr_queue_ptr 0
		.amdhsa_user_sgpr_kernarg_segment_ptr 1
		.amdhsa_user_sgpr_dispatch_id 0
		.amdhsa_user_sgpr_kernarg_preload_length 0
		.amdhsa_user_sgpr_kernarg_preload_offset 0
		.amdhsa_user_sgpr_private_segment_size 0
		.amdhsa_wavefront_size32 1
		.amdhsa_uses_dynamic_stack 0
		.amdhsa_enable_private_segment 0
		.amdhsa_system_sgpr_workgroup_id_x 1
		.amdhsa_system_sgpr_workgroup_id_y 0
		.amdhsa_system_sgpr_workgroup_id_z 0
		.amdhsa_system_sgpr_workgroup_info 0
		.amdhsa_system_vgpr_workitem_id 0
		.amdhsa_next_free_vgpr 1
		.amdhsa_next_free_sgpr 1
		.amdhsa_named_barrier_count 0
		.amdhsa_reserve_vcc 0
		.amdhsa_float_round_mode_32 0
		.amdhsa_float_round_mode_16_64 0
		.amdhsa_float_denorm_mode_32 3
		.amdhsa_float_denorm_mode_16_64 3
		.amdhsa_fp16_overflow 0
		.amdhsa_memory_ordered 1
		.amdhsa_forward_progress 1
		.amdhsa_inst_pref_size 0
		.amdhsa_round_robin_scheduling 0
		.amdhsa_exception_fp_ieee_invalid_op 0
		.amdhsa_exception_fp_denorm_src 0
		.amdhsa_exception_fp_ieee_div_zero 0
		.amdhsa_exception_fp_ieee_overflow 0
		.amdhsa_exception_fp_ieee_underflow 0
		.amdhsa_exception_fp_ieee_inexact 0
		.amdhsa_exception_int_div_zero 0
	.end_amdhsa_kernel
	.section	.text._ZN7rocprim17ROCPRIM_400000_NS6detail17trampoline_kernelINS0_14default_configENS1_38merge_sort_block_merge_config_selectorIlNS0_10empty_typeEEEZZNS1_27merge_sort_block_merge_implIS3_PlPS5_mZN2at6native12_GLOBAL__N_124unique_dim_cuda_templateIN3c108BFloat16EEESt5tupleIJNSA_6TensorESH_SH_EERKSH_lbbbEUlllE_EE10hipError_tT0_T1_T2_jT3_P12ihipStream_tbPNSt15iterator_traitsISN_E10value_typeEPNST_ISO_E10value_typeEPSP_NS1_7vsmem_tEENKUlT_SN_SO_SP_E_clIS8_S8_S9_S9_EESM_S12_SN_SO_SP_EUlS12_E_NS1_11comp_targetILNS1_3genE10ELNS1_11target_archE1201ELNS1_3gpuE5ELNS1_3repE0EEENS1_48merge_mergepath_partition_config_static_selectorELNS0_4arch9wavefront6targetE0EEEvSO_,"axG",@progbits,_ZN7rocprim17ROCPRIM_400000_NS6detail17trampoline_kernelINS0_14default_configENS1_38merge_sort_block_merge_config_selectorIlNS0_10empty_typeEEEZZNS1_27merge_sort_block_merge_implIS3_PlPS5_mZN2at6native12_GLOBAL__N_124unique_dim_cuda_templateIN3c108BFloat16EEESt5tupleIJNSA_6TensorESH_SH_EERKSH_lbbbEUlllE_EE10hipError_tT0_T1_T2_jT3_P12ihipStream_tbPNSt15iterator_traitsISN_E10value_typeEPNST_ISO_E10value_typeEPSP_NS1_7vsmem_tEENKUlT_SN_SO_SP_E_clIS8_S8_S9_S9_EESM_S12_SN_SO_SP_EUlS12_E_NS1_11comp_targetILNS1_3genE10ELNS1_11target_archE1201ELNS1_3gpuE5ELNS1_3repE0EEENS1_48merge_mergepath_partition_config_static_selectorELNS0_4arch9wavefront6targetE0EEEvSO_,comdat
.Lfunc_end1126:
	.size	_ZN7rocprim17ROCPRIM_400000_NS6detail17trampoline_kernelINS0_14default_configENS1_38merge_sort_block_merge_config_selectorIlNS0_10empty_typeEEEZZNS1_27merge_sort_block_merge_implIS3_PlPS5_mZN2at6native12_GLOBAL__N_124unique_dim_cuda_templateIN3c108BFloat16EEESt5tupleIJNSA_6TensorESH_SH_EERKSH_lbbbEUlllE_EE10hipError_tT0_T1_T2_jT3_P12ihipStream_tbPNSt15iterator_traitsISN_E10value_typeEPNST_ISO_E10value_typeEPSP_NS1_7vsmem_tEENKUlT_SN_SO_SP_E_clIS8_S8_S9_S9_EESM_S12_SN_SO_SP_EUlS12_E_NS1_11comp_targetILNS1_3genE10ELNS1_11target_archE1201ELNS1_3gpuE5ELNS1_3repE0EEENS1_48merge_mergepath_partition_config_static_selectorELNS0_4arch9wavefront6targetE0EEEvSO_, .Lfunc_end1126-_ZN7rocprim17ROCPRIM_400000_NS6detail17trampoline_kernelINS0_14default_configENS1_38merge_sort_block_merge_config_selectorIlNS0_10empty_typeEEEZZNS1_27merge_sort_block_merge_implIS3_PlPS5_mZN2at6native12_GLOBAL__N_124unique_dim_cuda_templateIN3c108BFloat16EEESt5tupleIJNSA_6TensorESH_SH_EERKSH_lbbbEUlllE_EE10hipError_tT0_T1_T2_jT3_P12ihipStream_tbPNSt15iterator_traitsISN_E10value_typeEPNST_ISO_E10value_typeEPSP_NS1_7vsmem_tEENKUlT_SN_SO_SP_E_clIS8_S8_S9_S9_EESM_S12_SN_SO_SP_EUlS12_E_NS1_11comp_targetILNS1_3genE10ELNS1_11target_archE1201ELNS1_3gpuE5ELNS1_3repE0EEENS1_48merge_mergepath_partition_config_static_selectorELNS0_4arch9wavefront6targetE0EEEvSO_
                                        ; -- End function
	.set _ZN7rocprim17ROCPRIM_400000_NS6detail17trampoline_kernelINS0_14default_configENS1_38merge_sort_block_merge_config_selectorIlNS0_10empty_typeEEEZZNS1_27merge_sort_block_merge_implIS3_PlPS5_mZN2at6native12_GLOBAL__N_124unique_dim_cuda_templateIN3c108BFloat16EEESt5tupleIJNSA_6TensorESH_SH_EERKSH_lbbbEUlllE_EE10hipError_tT0_T1_T2_jT3_P12ihipStream_tbPNSt15iterator_traitsISN_E10value_typeEPNST_ISO_E10value_typeEPSP_NS1_7vsmem_tEENKUlT_SN_SO_SP_E_clIS8_S8_S9_S9_EESM_S12_SN_SO_SP_EUlS12_E_NS1_11comp_targetILNS1_3genE10ELNS1_11target_archE1201ELNS1_3gpuE5ELNS1_3repE0EEENS1_48merge_mergepath_partition_config_static_selectorELNS0_4arch9wavefront6targetE0EEEvSO_.num_vgpr, 0
	.set _ZN7rocprim17ROCPRIM_400000_NS6detail17trampoline_kernelINS0_14default_configENS1_38merge_sort_block_merge_config_selectorIlNS0_10empty_typeEEEZZNS1_27merge_sort_block_merge_implIS3_PlPS5_mZN2at6native12_GLOBAL__N_124unique_dim_cuda_templateIN3c108BFloat16EEESt5tupleIJNSA_6TensorESH_SH_EERKSH_lbbbEUlllE_EE10hipError_tT0_T1_T2_jT3_P12ihipStream_tbPNSt15iterator_traitsISN_E10value_typeEPNST_ISO_E10value_typeEPSP_NS1_7vsmem_tEENKUlT_SN_SO_SP_E_clIS8_S8_S9_S9_EESM_S12_SN_SO_SP_EUlS12_E_NS1_11comp_targetILNS1_3genE10ELNS1_11target_archE1201ELNS1_3gpuE5ELNS1_3repE0EEENS1_48merge_mergepath_partition_config_static_selectorELNS0_4arch9wavefront6targetE0EEEvSO_.num_agpr, 0
	.set _ZN7rocprim17ROCPRIM_400000_NS6detail17trampoline_kernelINS0_14default_configENS1_38merge_sort_block_merge_config_selectorIlNS0_10empty_typeEEEZZNS1_27merge_sort_block_merge_implIS3_PlPS5_mZN2at6native12_GLOBAL__N_124unique_dim_cuda_templateIN3c108BFloat16EEESt5tupleIJNSA_6TensorESH_SH_EERKSH_lbbbEUlllE_EE10hipError_tT0_T1_T2_jT3_P12ihipStream_tbPNSt15iterator_traitsISN_E10value_typeEPNST_ISO_E10value_typeEPSP_NS1_7vsmem_tEENKUlT_SN_SO_SP_E_clIS8_S8_S9_S9_EESM_S12_SN_SO_SP_EUlS12_E_NS1_11comp_targetILNS1_3genE10ELNS1_11target_archE1201ELNS1_3gpuE5ELNS1_3repE0EEENS1_48merge_mergepath_partition_config_static_selectorELNS0_4arch9wavefront6targetE0EEEvSO_.numbered_sgpr, 0
	.set _ZN7rocprim17ROCPRIM_400000_NS6detail17trampoline_kernelINS0_14default_configENS1_38merge_sort_block_merge_config_selectorIlNS0_10empty_typeEEEZZNS1_27merge_sort_block_merge_implIS3_PlPS5_mZN2at6native12_GLOBAL__N_124unique_dim_cuda_templateIN3c108BFloat16EEESt5tupleIJNSA_6TensorESH_SH_EERKSH_lbbbEUlllE_EE10hipError_tT0_T1_T2_jT3_P12ihipStream_tbPNSt15iterator_traitsISN_E10value_typeEPNST_ISO_E10value_typeEPSP_NS1_7vsmem_tEENKUlT_SN_SO_SP_E_clIS8_S8_S9_S9_EESM_S12_SN_SO_SP_EUlS12_E_NS1_11comp_targetILNS1_3genE10ELNS1_11target_archE1201ELNS1_3gpuE5ELNS1_3repE0EEENS1_48merge_mergepath_partition_config_static_selectorELNS0_4arch9wavefront6targetE0EEEvSO_.num_named_barrier, 0
	.set _ZN7rocprim17ROCPRIM_400000_NS6detail17trampoline_kernelINS0_14default_configENS1_38merge_sort_block_merge_config_selectorIlNS0_10empty_typeEEEZZNS1_27merge_sort_block_merge_implIS3_PlPS5_mZN2at6native12_GLOBAL__N_124unique_dim_cuda_templateIN3c108BFloat16EEESt5tupleIJNSA_6TensorESH_SH_EERKSH_lbbbEUlllE_EE10hipError_tT0_T1_T2_jT3_P12ihipStream_tbPNSt15iterator_traitsISN_E10value_typeEPNST_ISO_E10value_typeEPSP_NS1_7vsmem_tEENKUlT_SN_SO_SP_E_clIS8_S8_S9_S9_EESM_S12_SN_SO_SP_EUlS12_E_NS1_11comp_targetILNS1_3genE10ELNS1_11target_archE1201ELNS1_3gpuE5ELNS1_3repE0EEENS1_48merge_mergepath_partition_config_static_selectorELNS0_4arch9wavefront6targetE0EEEvSO_.private_seg_size, 0
	.set _ZN7rocprim17ROCPRIM_400000_NS6detail17trampoline_kernelINS0_14default_configENS1_38merge_sort_block_merge_config_selectorIlNS0_10empty_typeEEEZZNS1_27merge_sort_block_merge_implIS3_PlPS5_mZN2at6native12_GLOBAL__N_124unique_dim_cuda_templateIN3c108BFloat16EEESt5tupleIJNSA_6TensorESH_SH_EERKSH_lbbbEUlllE_EE10hipError_tT0_T1_T2_jT3_P12ihipStream_tbPNSt15iterator_traitsISN_E10value_typeEPNST_ISO_E10value_typeEPSP_NS1_7vsmem_tEENKUlT_SN_SO_SP_E_clIS8_S8_S9_S9_EESM_S12_SN_SO_SP_EUlS12_E_NS1_11comp_targetILNS1_3genE10ELNS1_11target_archE1201ELNS1_3gpuE5ELNS1_3repE0EEENS1_48merge_mergepath_partition_config_static_selectorELNS0_4arch9wavefront6targetE0EEEvSO_.uses_vcc, 0
	.set _ZN7rocprim17ROCPRIM_400000_NS6detail17trampoline_kernelINS0_14default_configENS1_38merge_sort_block_merge_config_selectorIlNS0_10empty_typeEEEZZNS1_27merge_sort_block_merge_implIS3_PlPS5_mZN2at6native12_GLOBAL__N_124unique_dim_cuda_templateIN3c108BFloat16EEESt5tupleIJNSA_6TensorESH_SH_EERKSH_lbbbEUlllE_EE10hipError_tT0_T1_T2_jT3_P12ihipStream_tbPNSt15iterator_traitsISN_E10value_typeEPNST_ISO_E10value_typeEPSP_NS1_7vsmem_tEENKUlT_SN_SO_SP_E_clIS8_S8_S9_S9_EESM_S12_SN_SO_SP_EUlS12_E_NS1_11comp_targetILNS1_3genE10ELNS1_11target_archE1201ELNS1_3gpuE5ELNS1_3repE0EEENS1_48merge_mergepath_partition_config_static_selectorELNS0_4arch9wavefront6targetE0EEEvSO_.uses_flat_scratch, 0
	.set _ZN7rocprim17ROCPRIM_400000_NS6detail17trampoline_kernelINS0_14default_configENS1_38merge_sort_block_merge_config_selectorIlNS0_10empty_typeEEEZZNS1_27merge_sort_block_merge_implIS3_PlPS5_mZN2at6native12_GLOBAL__N_124unique_dim_cuda_templateIN3c108BFloat16EEESt5tupleIJNSA_6TensorESH_SH_EERKSH_lbbbEUlllE_EE10hipError_tT0_T1_T2_jT3_P12ihipStream_tbPNSt15iterator_traitsISN_E10value_typeEPNST_ISO_E10value_typeEPSP_NS1_7vsmem_tEENKUlT_SN_SO_SP_E_clIS8_S8_S9_S9_EESM_S12_SN_SO_SP_EUlS12_E_NS1_11comp_targetILNS1_3genE10ELNS1_11target_archE1201ELNS1_3gpuE5ELNS1_3repE0EEENS1_48merge_mergepath_partition_config_static_selectorELNS0_4arch9wavefront6targetE0EEEvSO_.has_dyn_sized_stack, 0
	.set _ZN7rocprim17ROCPRIM_400000_NS6detail17trampoline_kernelINS0_14default_configENS1_38merge_sort_block_merge_config_selectorIlNS0_10empty_typeEEEZZNS1_27merge_sort_block_merge_implIS3_PlPS5_mZN2at6native12_GLOBAL__N_124unique_dim_cuda_templateIN3c108BFloat16EEESt5tupleIJNSA_6TensorESH_SH_EERKSH_lbbbEUlllE_EE10hipError_tT0_T1_T2_jT3_P12ihipStream_tbPNSt15iterator_traitsISN_E10value_typeEPNST_ISO_E10value_typeEPSP_NS1_7vsmem_tEENKUlT_SN_SO_SP_E_clIS8_S8_S9_S9_EESM_S12_SN_SO_SP_EUlS12_E_NS1_11comp_targetILNS1_3genE10ELNS1_11target_archE1201ELNS1_3gpuE5ELNS1_3repE0EEENS1_48merge_mergepath_partition_config_static_selectorELNS0_4arch9wavefront6targetE0EEEvSO_.has_recursion, 0
	.set _ZN7rocprim17ROCPRIM_400000_NS6detail17trampoline_kernelINS0_14default_configENS1_38merge_sort_block_merge_config_selectorIlNS0_10empty_typeEEEZZNS1_27merge_sort_block_merge_implIS3_PlPS5_mZN2at6native12_GLOBAL__N_124unique_dim_cuda_templateIN3c108BFloat16EEESt5tupleIJNSA_6TensorESH_SH_EERKSH_lbbbEUlllE_EE10hipError_tT0_T1_T2_jT3_P12ihipStream_tbPNSt15iterator_traitsISN_E10value_typeEPNST_ISO_E10value_typeEPSP_NS1_7vsmem_tEENKUlT_SN_SO_SP_E_clIS8_S8_S9_S9_EESM_S12_SN_SO_SP_EUlS12_E_NS1_11comp_targetILNS1_3genE10ELNS1_11target_archE1201ELNS1_3gpuE5ELNS1_3repE0EEENS1_48merge_mergepath_partition_config_static_selectorELNS0_4arch9wavefront6targetE0EEEvSO_.has_indirect_call, 0
	.section	.AMDGPU.csdata,"",@progbits
; Kernel info:
; codeLenInByte = 0
; TotalNumSgprs: 0
; NumVgprs: 0
; ScratchSize: 0
; MemoryBound: 0
; FloatMode: 240
; IeeeMode: 1
; LDSByteSize: 0 bytes/workgroup (compile time only)
; SGPRBlocks: 0
; VGPRBlocks: 0
; NumSGPRsForWavesPerEU: 1
; NumVGPRsForWavesPerEU: 1
; NamedBarCnt: 0
; Occupancy: 16
; WaveLimiterHint : 0
; COMPUTE_PGM_RSRC2:SCRATCH_EN: 0
; COMPUTE_PGM_RSRC2:USER_SGPR: 2
; COMPUTE_PGM_RSRC2:TRAP_HANDLER: 0
; COMPUTE_PGM_RSRC2:TGID_X_EN: 1
; COMPUTE_PGM_RSRC2:TGID_Y_EN: 0
; COMPUTE_PGM_RSRC2:TGID_Z_EN: 0
; COMPUTE_PGM_RSRC2:TIDIG_COMP_CNT: 0
	.section	.text._ZN7rocprim17ROCPRIM_400000_NS6detail17trampoline_kernelINS0_14default_configENS1_38merge_sort_block_merge_config_selectorIlNS0_10empty_typeEEEZZNS1_27merge_sort_block_merge_implIS3_PlPS5_mZN2at6native12_GLOBAL__N_124unique_dim_cuda_templateIN3c108BFloat16EEESt5tupleIJNSA_6TensorESH_SH_EERKSH_lbbbEUlllE_EE10hipError_tT0_T1_T2_jT3_P12ihipStream_tbPNSt15iterator_traitsISN_E10value_typeEPNST_ISO_E10value_typeEPSP_NS1_7vsmem_tEENKUlT_SN_SO_SP_E_clIS8_S8_S9_S9_EESM_S12_SN_SO_SP_EUlS12_E_NS1_11comp_targetILNS1_3genE5ELNS1_11target_archE942ELNS1_3gpuE9ELNS1_3repE0EEENS1_48merge_mergepath_partition_config_static_selectorELNS0_4arch9wavefront6targetE0EEEvSO_,"axG",@progbits,_ZN7rocprim17ROCPRIM_400000_NS6detail17trampoline_kernelINS0_14default_configENS1_38merge_sort_block_merge_config_selectorIlNS0_10empty_typeEEEZZNS1_27merge_sort_block_merge_implIS3_PlPS5_mZN2at6native12_GLOBAL__N_124unique_dim_cuda_templateIN3c108BFloat16EEESt5tupleIJNSA_6TensorESH_SH_EERKSH_lbbbEUlllE_EE10hipError_tT0_T1_T2_jT3_P12ihipStream_tbPNSt15iterator_traitsISN_E10value_typeEPNST_ISO_E10value_typeEPSP_NS1_7vsmem_tEENKUlT_SN_SO_SP_E_clIS8_S8_S9_S9_EESM_S12_SN_SO_SP_EUlS12_E_NS1_11comp_targetILNS1_3genE5ELNS1_11target_archE942ELNS1_3gpuE9ELNS1_3repE0EEENS1_48merge_mergepath_partition_config_static_selectorELNS0_4arch9wavefront6targetE0EEEvSO_,comdat
	.globl	_ZN7rocprim17ROCPRIM_400000_NS6detail17trampoline_kernelINS0_14default_configENS1_38merge_sort_block_merge_config_selectorIlNS0_10empty_typeEEEZZNS1_27merge_sort_block_merge_implIS3_PlPS5_mZN2at6native12_GLOBAL__N_124unique_dim_cuda_templateIN3c108BFloat16EEESt5tupleIJNSA_6TensorESH_SH_EERKSH_lbbbEUlllE_EE10hipError_tT0_T1_T2_jT3_P12ihipStream_tbPNSt15iterator_traitsISN_E10value_typeEPNST_ISO_E10value_typeEPSP_NS1_7vsmem_tEENKUlT_SN_SO_SP_E_clIS8_S8_S9_S9_EESM_S12_SN_SO_SP_EUlS12_E_NS1_11comp_targetILNS1_3genE5ELNS1_11target_archE942ELNS1_3gpuE9ELNS1_3repE0EEENS1_48merge_mergepath_partition_config_static_selectorELNS0_4arch9wavefront6targetE0EEEvSO_ ; -- Begin function _ZN7rocprim17ROCPRIM_400000_NS6detail17trampoline_kernelINS0_14default_configENS1_38merge_sort_block_merge_config_selectorIlNS0_10empty_typeEEEZZNS1_27merge_sort_block_merge_implIS3_PlPS5_mZN2at6native12_GLOBAL__N_124unique_dim_cuda_templateIN3c108BFloat16EEESt5tupleIJNSA_6TensorESH_SH_EERKSH_lbbbEUlllE_EE10hipError_tT0_T1_T2_jT3_P12ihipStream_tbPNSt15iterator_traitsISN_E10value_typeEPNST_ISO_E10value_typeEPSP_NS1_7vsmem_tEENKUlT_SN_SO_SP_E_clIS8_S8_S9_S9_EESM_S12_SN_SO_SP_EUlS12_E_NS1_11comp_targetILNS1_3genE5ELNS1_11target_archE942ELNS1_3gpuE9ELNS1_3repE0EEENS1_48merge_mergepath_partition_config_static_selectorELNS0_4arch9wavefront6targetE0EEEvSO_
	.p2align	8
	.type	_ZN7rocprim17ROCPRIM_400000_NS6detail17trampoline_kernelINS0_14default_configENS1_38merge_sort_block_merge_config_selectorIlNS0_10empty_typeEEEZZNS1_27merge_sort_block_merge_implIS3_PlPS5_mZN2at6native12_GLOBAL__N_124unique_dim_cuda_templateIN3c108BFloat16EEESt5tupleIJNSA_6TensorESH_SH_EERKSH_lbbbEUlllE_EE10hipError_tT0_T1_T2_jT3_P12ihipStream_tbPNSt15iterator_traitsISN_E10value_typeEPNST_ISO_E10value_typeEPSP_NS1_7vsmem_tEENKUlT_SN_SO_SP_E_clIS8_S8_S9_S9_EESM_S12_SN_SO_SP_EUlS12_E_NS1_11comp_targetILNS1_3genE5ELNS1_11target_archE942ELNS1_3gpuE9ELNS1_3repE0EEENS1_48merge_mergepath_partition_config_static_selectorELNS0_4arch9wavefront6targetE0EEEvSO_,@function
_ZN7rocprim17ROCPRIM_400000_NS6detail17trampoline_kernelINS0_14default_configENS1_38merge_sort_block_merge_config_selectorIlNS0_10empty_typeEEEZZNS1_27merge_sort_block_merge_implIS3_PlPS5_mZN2at6native12_GLOBAL__N_124unique_dim_cuda_templateIN3c108BFloat16EEESt5tupleIJNSA_6TensorESH_SH_EERKSH_lbbbEUlllE_EE10hipError_tT0_T1_T2_jT3_P12ihipStream_tbPNSt15iterator_traitsISN_E10value_typeEPNST_ISO_E10value_typeEPSP_NS1_7vsmem_tEENKUlT_SN_SO_SP_E_clIS8_S8_S9_S9_EESM_S12_SN_SO_SP_EUlS12_E_NS1_11comp_targetILNS1_3genE5ELNS1_11target_archE942ELNS1_3gpuE9ELNS1_3repE0EEENS1_48merge_mergepath_partition_config_static_selectorELNS0_4arch9wavefront6targetE0EEEvSO_: ; @_ZN7rocprim17ROCPRIM_400000_NS6detail17trampoline_kernelINS0_14default_configENS1_38merge_sort_block_merge_config_selectorIlNS0_10empty_typeEEEZZNS1_27merge_sort_block_merge_implIS3_PlPS5_mZN2at6native12_GLOBAL__N_124unique_dim_cuda_templateIN3c108BFloat16EEESt5tupleIJNSA_6TensorESH_SH_EERKSH_lbbbEUlllE_EE10hipError_tT0_T1_T2_jT3_P12ihipStream_tbPNSt15iterator_traitsISN_E10value_typeEPNST_ISO_E10value_typeEPSP_NS1_7vsmem_tEENKUlT_SN_SO_SP_E_clIS8_S8_S9_S9_EESM_S12_SN_SO_SP_EUlS12_E_NS1_11comp_targetILNS1_3genE5ELNS1_11target_archE942ELNS1_3gpuE9ELNS1_3repE0EEENS1_48merge_mergepath_partition_config_static_selectorELNS0_4arch9wavefront6targetE0EEEvSO_
; %bb.0:
	.section	.rodata,"a",@progbits
	.p2align	6, 0x0
	.amdhsa_kernel _ZN7rocprim17ROCPRIM_400000_NS6detail17trampoline_kernelINS0_14default_configENS1_38merge_sort_block_merge_config_selectorIlNS0_10empty_typeEEEZZNS1_27merge_sort_block_merge_implIS3_PlPS5_mZN2at6native12_GLOBAL__N_124unique_dim_cuda_templateIN3c108BFloat16EEESt5tupleIJNSA_6TensorESH_SH_EERKSH_lbbbEUlllE_EE10hipError_tT0_T1_T2_jT3_P12ihipStream_tbPNSt15iterator_traitsISN_E10value_typeEPNST_ISO_E10value_typeEPSP_NS1_7vsmem_tEENKUlT_SN_SO_SP_E_clIS8_S8_S9_S9_EESM_S12_SN_SO_SP_EUlS12_E_NS1_11comp_targetILNS1_3genE5ELNS1_11target_archE942ELNS1_3gpuE9ELNS1_3repE0EEENS1_48merge_mergepath_partition_config_static_selectorELNS0_4arch9wavefront6targetE0EEEvSO_
		.amdhsa_group_segment_fixed_size 0
		.amdhsa_private_segment_fixed_size 0
		.amdhsa_kernarg_size 56
		.amdhsa_user_sgpr_count 2
		.amdhsa_user_sgpr_dispatch_ptr 0
		.amdhsa_user_sgpr_queue_ptr 0
		.amdhsa_user_sgpr_kernarg_segment_ptr 1
		.amdhsa_user_sgpr_dispatch_id 0
		.amdhsa_user_sgpr_kernarg_preload_length 0
		.amdhsa_user_sgpr_kernarg_preload_offset 0
		.amdhsa_user_sgpr_private_segment_size 0
		.amdhsa_wavefront_size32 1
		.amdhsa_uses_dynamic_stack 0
		.amdhsa_enable_private_segment 0
		.amdhsa_system_sgpr_workgroup_id_x 1
		.amdhsa_system_sgpr_workgroup_id_y 0
		.amdhsa_system_sgpr_workgroup_id_z 0
		.amdhsa_system_sgpr_workgroup_info 0
		.amdhsa_system_vgpr_workitem_id 0
		.amdhsa_next_free_vgpr 1
		.amdhsa_next_free_sgpr 1
		.amdhsa_named_barrier_count 0
		.amdhsa_reserve_vcc 0
		.amdhsa_float_round_mode_32 0
		.amdhsa_float_round_mode_16_64 0
		.amdhsa_float_denorm_mode_32 3
		.amdhsa_float_denorm_mode_16_64 3
		.amdhsa_fp16_overflow 0
		.amdhsa_memory_ordered 1
		.amdhsa_forward_progress 1
		.amdhsa_inst_pref_size 0
		.amdhsa_round_robin_scheduling 0
		.amdhsa_exception_fp_ieee_invalid_op 0
		.amdhsa_exception_fp_denorm_src 0
		.amdhsa_exception_fp_ieee_div_zero 0
		.amdhsa_exception_fp_ieee_overflow 0
		.amdhsa_exception_fp_ieee_underflow 0
		.amdhsa_exception_fp_ieee_inexact 0
		.amdhsa_exception_int_div_zero 0
	.end_amdhsa_kernel
	.section	.text._ZN7rocprim17ROCPRIM_400000_NS6detail17trampoline_kernelINS0_14default_configENS1_38merge_sort_block_merge_config_selectorIlNS0_10empty_typeEEEZZNS1_27merge_sort_block_merge_implIS3_PlPS5_mZN2at6native12_GLOBAL__N_124unique_dim_cuda_templateIN3c108BFloat16EEESt5tupleIJNSA_6TensorESH_SH_EERKSH_lbbbEUlllE_EE10hipError_tT0_T1_T2_jT3_P12ihipStream_tbPNSt15iterator_traitsISN_E10value_typeEPNST_ISO_E10value_typeEPSP_NS1_7vsmem_tEENKUlT_SN_SO_SP_E_clIS8_S8_S9_S9_EESM_S12_SN_SO_SP_EUlS12_E_NS1_11comp_targetILNS1_3genE5ELNS1_11target_archE942ELNS1_3gpuE9ELNS1_3repE0EEENS1_48merge_mergepath_partition_config_static_selectorELNS0_4arch9wavefront6targetE0EEEvSO_,"axG",@progbits,_ZN7rocprim17ROCPRIM_400000_NS6detail17trampoline_kernelINS0_14default_configENS1_38merge_sort_block_merge_config_selectorIlNS0_10empty_typeEEEZZNS1_27merge_sort_block_merge_implIS3_PlPS5_mZN2at6native12_GLOBAL__N_124unique_dim_cuda_templateIN3c108BFloat16EEESt5tupleIJNSA_6TensorESH_SH_EERKSH_lbbbEUlllE_EE10hipError_tT0_T1_T2_jT3_P12ihipStream_tbPNSt15iterator_traitsISN_E10value_typeEPNST_ISO_E10value_typeEPSP_NS1_7vsmem_tEENKUlT_SN_SO_SP_E_clIS8_S8_S9_S9_EESM_S12_SN_SO_SP_EUlS12_E_NS1_11comp_targetILNS1_3genE5ELNS1_11target_archE942ELNS1_3gpuE9ELNS1_3repE0EEENS1_48merge_mergepath_partition_config_static_selectorELNS0_4arch9wavefront6targetE0EEEvSO_,comdat
.Lfunc_end1127:
	.size	_ZN7rocprim17ROCPRIM_400000_NS6detail17trampoline_kernelINS0_14default_configENS1_38merge_sort_block_merge_config_selectorIlNS0_10empty_typeEEEZZNS1_27merge_sort_block_merge_implIS3_PlPS5_mZN2at6native12_GLOBAL__N_124unique_dim_cuda_templateIN3c108BFloat16EEESt5tupleIJNSA_6TensorESH_SH_EERKSH_lbbbEUlllE_EE10hipError_tT0_T1_T2_jT3_P12ihipStream_tbPNSt15iterator_traitsISN_E10value_typeEPNST_ISO_E10value_typeEPSP_NS1_7vsmem_tEENKUlT_SN_SO_SP_E_clIS8_S8_S9_S9_EESM_S12_SN_SO_SP_EUlS12_E_NS1_11comp_targetILNS1_3genE5ELNS1_11target_archE942ELNS1_3gpuE9ELNS1_3repE0EEENS1_48merge_mergepath_partition_config_static_selectorELNS0_4arch9wavefront6targetE0EEEvSO_, .Lfunc_end1127-_ZN7rocprim17ROCPRIM_400000_NS6detail17trampoline_kernelINS0_14default_configENS1_38merge_sort_block_merge_config_selectorIlNS0_10empty_typeEEEZZNS1_27merge_sort_block_merge_implIS3_PlPS5_mZN2at6native12_GLOBAL__N_124unique_dim_cuda_templateIN3c108BFloat16EEESt5tupleIJNSA_6TensorESH_SH_EERKSH_lbbbEUlllE_EE10hipError_tT0_T1_T2_jT3_P12ihipStream_tbPNSt15iterator_traitsISN_E10value_typeEPNST_ISO_E10value_typeEPSP_NS1_7vsmem_tEENKUlT_SN_SO_SP_E_clIS8_S8_S9_S9_EESM_S12_SN_SO_SP_EUlS12_E_NS1_11comp_targetILNS1_3genE5ELNS1_11target_archE942ELNS1_3gpuE9ELNS1_3repE0EEENS1_48merge_mergepath_partition_config_static_selectorELNS0_4arch9wavefront6targetE0EEEvSO_
                                        ; -- End function
	.set _ZN7rocprim17ROCPRIM_400000_NS6detail17trampoline_kernelINS0_14default_configENS1_38merge_sort_block_merge_config_selectorIlNS0_10empty_typeEEEZZNS1_27merge_sort_block_merge_implIS3_PlPS5_mZN2at6native12_GLOBAL__N_124unique_dim_cuda_templateIN3c108BFloat16EEESt5tupleIJNSA_6TensorESH_SH_EERKSH_lbbbEUlllE_EE10hipError_tT0_T1_T2_jT3_P12ihipStream_tbPNSt15iterator_traitsISN_E10value_typeEPNST_ISO_E10value_typeEPSP_NS1_7vsmem_tEENKUlT_SN_SO_SP_E_clIS8_S8_S9_S9_EESM_S12_SN_SO_SP_EUlS12_E_NS1_11comp_targetILNS1_3genE5ELNS1_11target_archE942ELNS1_3gpuE9ELNS1_3repE0EEENS1_48merge_mergepath_partition_config_static_selectorELNS0_4arch9wavefront6targetE0EEEvSO_.num_vgpr, 0
	.set _ZN7rocprim17ROCPRIM_400000_NS6detail17trampoline_kernelINS0_14default_configENS1_38merge_sort_block_merge_config_selectorIlNS0_10empty_typeEEEZZNS1_27merge_sort_block_merge_implIS3_PlPS5_mZN2at6native12_GLOBAL__N_124unique_dim_cuda_templateIN3c108BFloat16EEESt5tupleIJNSA_6TensorESH_SH_EERKSH_lbbbEUlllE_EE10hipError_tT0_T1_T2_jT3_P12ihipStream_tbPNSt15iterator_traitsISN_E10value_typeEPNST_ISO_E10value_typeEPSP_NS1_7vsmem_tEENKUlT_SN_SO_SP_E_clIS8_S8_S9_S9_EESM_S12_SN_SO_SP_EUlS12_E_NS1_11comp_targetILNS1_3genE5ELNS1_11target_archE942ELNS1_3gpuE9ELNS1_3repE0EEENS1_48merge_mergepath_partition_config_static_selectorELNS0_4arch9wavefront6targetE0EEEvSO_.num_agpr, 0
	.set _ZN7rocprim17ROCPRIM_400000_NS6detail17trampoline_kernelINS0_14default_configENS1_38merge_sort_block_merge_config_selectorIlNS0_10empty_typeEEEZZNS1_27merge_sort_block_merge_implIS3_PlPS5_mZN2at6native12_GLOBAL__N_124unique_dim_cuda_templateIN3c108BFloat16EEESt5tupleIJNSA_6TensorESH_SH_EERKSH_lbbbEUlllE_EE10hipError_tT0_T1_T2_jT3_P12ihipStream_tbPNSt15iterator_traitsISN_E10value_typeEPNST_ISO_E10value_typeEPSP_NS1_7vsmem_tEENKUlT_SN_SO_SP_E_clIS8_S8_S9_S9_EESM_S12_SN_SO_SP_EUlS12_E_NS1_11comp_targetILNS1_3genE5ELNS1_11target_archE942ELNS1_3gpuE9ELNS1_3repE0EEENS1_48merge_mergepath_partition_config_static_selectorELNS0_4arch9wavefront6targetE0EEEvSO_.numbered_sgpr, 0
	.set _ZN7rocprim17ROCPRIM_400000_NS6detail17trampoline_kernelINS0_14default_configENS1_38merge_sort_block_merge_config_selectorIlNS0_10empty_typeEEEZZNS1_27merge_sort_block_merge_implIS3_PlPS5_mZN2at6native12_GLOBAL__N_124unique_dim_cuda_templateIN3c108BFloat16EEESt5tupleIJNSA_6TensorESH_SH_EERKSH_lbbbEUlllE_EE10hipError_tT0_T1_T2_jT3_P12ihipStream_tbPNSt15iterator_traitsISN_E10value_typeEPNST_ISO_E10value_typeEPSP_NS1_7vsmem_tEENKUlT_SN_SO_SP_E_clIS8_S8_S9_S9_EESM_S12_SN_SO_SP_EUlS12_E_NS1_11comp_targetILNS1_3genE5ELNS1_11target_archE942ELNS1_3gpuE9ELNS1_3repE0EEENS1_48merge_mergepath_partition_config_static_selectorELNS0_4arch9wavefront6targetE0EEEvSO_.num_named_barrier, 0
	.set _ZN7rocprim17ROCPRIM_400000_NS6detail17trampoline_kernelINS0_14default_configENS1_38merge_sort_block_merge_config_selectorIlNS0_10empty_typeEEEZZNS1_27merge_sort_block_merge_implIS3_PlPS5_mZN2at6native12_GLOBAL__N_124unique_dim_cuda_templateIN3c108BFloat16EEESt5tupleIJNSA_6TensorESH_SH_EERKSH_lbbbEUlllE_EE10hipError_tT0_T1_T2_jT3_P12ihipStream_tbPNSt15iterator_traitsISN_E10value_typeEPNST_ISO_E10value_typeEPSP_NS1_7vsmem_tEENKUlT_SN_SO_SP_E_clIS8_S8_S9_S9_EESM_S12_SN_SO_SP_EUlS12_E_NS1_11comp_targetILNS1_3genE5ELNS1_11target_archE942ELNS1_3gpuE9ELNS1_3repE0EEENS1_48merge_mergepath_partition_config_static_selectorELNS0_4arch9wavefront6targetE0EEEvSO_.private_seg_size, 0
	.set _ZN7rocprim17ROCPRIM_400000_NS6detail17trampoline_kernelINS0_14default_configENS1_38merge_sort_block_merge_config_selectorIlNS0_10empty_typeEEEZZNS1_27merge_sort_block_merge_implIS3_PlPS5_mZN2at6native12_GLOBAL__N_124unique_dim_cuda_templateIN3c108BFloat16EEESt5tupleIJNSA_6TensorESH_SH_EERKSH_lbbbEUlllE_EE10hipError_tT0_T1_T2_jT3_P12ihipStream_tbPNSt15iterator_traitsISN_E10value_typeEPNST_ISO_E10value_typeEPSP_NS1_7vsmem_tEENKUlT_SN_SO_SP_E_clIS8_S8_S9_S9_EESM_S12_SN_SO_SP_EUlS12_E_NS1_11comp_targetILNS1_3genE5ELNS1_11target_archE942ELNS1_3gpuE9ELNS1_3repE0EEENS1_48merge_mergepath_partition_config_static_selectorELNS0_4arch9wavefront6targetE0EEEvSO_.uses_vcc, 0
	.set _ZN7rocprim17ROCPRIM_400000_NS6detail17trampoline_kernelINS0_14default_configENS1_38merge_sort_block_merge_config_selectorIlNS0_10empty_typeEEEZZNS1_27merge_sort_block_merge_implIS3_PlPS5_mZN2at6native12_GLOBAL__N_124unique_dim_cuda_templateIN3c108BFloat16EEESt5tupleIJNSA_6TensorESH_SH_EERKSH_lbbbEUlllE_EE10hipError_tT0_T1_T2_jT3_P12ihipStream_tbPNSt15iterator_traitsISN_E10value_typeEPNST_ISO_E10value_typeEPSP_NS1_7vsmem_tEENKUlT_SN_SO_SP_E_clIS8_S8_S9_S9_EESM_S12_SN_SO_SP_EUlS12_E_NS1_11comp_targetILNS1_3genE5ELNS1_11target_archE942ELNS1_3gpuE9ELNS1_3repE0EEENS1_48merge_mergepath_partition_config_static_selectorELNS0_4arch9wavefront6targetE0EEEvSO_.uses_flat_scratch, 0
	.set _ZN7rocprim17ROCPRIM_400000_NS6detail17trampoline_kernelINS0_14default_configENS1_38merge_sort_block_merge_config_selectorIlNS0_10empty_typeEEEZZNS1_27merge_sort_block_merge_implIS3_PlPS5_mZN2at6native12_GLOBAL__N_124unique_dim_cuda_templateIN3c108BFloat16EEESt5tupleIJNSA_6TensorESH_SH_EERKSH_lbbbEUlllE_EE10hipError_tT0_T1_T2_jT3_P12ihipStream_tbPNSt15iterator_traitsISN_E10value_typeEPNST_ISO_E10value_typeEPSP_NS1_7vsmem_tEENKUlT_SN_SO_SP_E_clIS8_S8_S9_S9_EESM_S12_SN_SO_SP_EUlS12_E_NS1_11comp_targetILNS1_3genE5ELNS1_11target_archE942ELNS1_3gpuE9ELNS1_3repE0EEENS1_48merge_mergepath_partition_config_static_selectorELNS0_4arch9wavefront6targetE0EEEvSO_.has_dyn_sized_stack, 0
	.set _ZN7rocprim17ROCPRIM_400000_NS6detail17trampoline_kernelINS0_14default_configENS1_38merge_sort_block_merge_config_selectorIlNS0_10empty_typeEEEZZNS1_27merge_sort_block_merge_implIS3_PlPS5_mZN2at6native12_GLOBAL__N_124unique_dim_cuda_templateIN3c108BFloat16EEESt5tupleIJNSA_6TensorESH_SH_EERKSH_lbbbEUlllE_EE10hipError_tT0_T1_T2_jT3_P12ihipStream_tbPNSt15iterator_traitsISN_E10value_typeEPNST_ISO_E10value_typeEPSP_NS1_7vsmem_tEENKUlT_SN_SO_SP_E_clIS8_S8_S9_S9_EESM_S12_SN_SO_SP_EUlS12_E_NS1_11comp_targetILNS1_3genE5ELNS1_11target_archE942ELNS1_3gpuE9ELNS1_3repE0EEENS1_48merge_mergepath_partition_config_static_selectorELNS0_4arch9wavefront6targetE0EEEvSO_.has_recursion, 0
	.set _ZN7rocprim17ROCPRIM_400000_NS6detail17trampoline_kernelINS0_14default_configENS1_38merge_sort_block_merge_config_selectorIlNS0_10empty_typeEEEZZNS1_27merge_sort_block_merge_implIS3_PlPS5_mZN2at6native12_GLOBAL__N_124unique_dim_cuda_templateIN3c108BFloat16EEESt5tupleIJNSA_6TensorESH_SH_EERKSH_lbbbEUlllE_EE10hipError_tT0_T1_T2_jT3_P12ihipStream_tbPNSt15iterator_traitsISN_E10value_typeEPNST_ISO_E10value_typeEPSP_NS1_7vsmem_tEENKUlT_SN_SO_SP_E_clIS8_S8_S9_S9_EESM_S12_SN_SO_SP_EUlS12_E_NS1_11comp_targetILNS1_3genE5ELNS1_11target_archE942ELNS1_3gpuE9ELNS1_3repE0EEENS1_48merge_mergepath_partition_config_static_selectorELNS0_4arch9wavefront6targetE0EEEvSO_.has_indirect_call, 0
	.section	.AMDGPU.csdata,"",@progbits
; Kernel info:
; codeLenInByte = 0
; TotalNumSgprs: 0
; NumVgprs: 0
; ScratchSize: 0
; MemoryBound: 0
; FloatMode: 240
; IeeeMode: 1
; LDSByteSize: 0 bytes/workgroup (compile time only)
; SGPRBlocks: 0
; VGPRBlocks: 0
; NumSGPRsForWavesPerEU: 1
; NumVGPRsForWavesPerEU: 1
; NamedBarCnt: 0
; Occupancy: 16
; WaveLimiterHint : 0
; COMPUTE_PGM_RSRC2:SCRATCH_EN: 0
; COMPUTE_PGM_RSRC2:USER_SGPR: 2
; COMPUTE_PGM_RSRC2:TRAP_HANDLER: 0
; COMPUTE_PGM_RSRC2:TGID_X_EN: 1
; COMPUTE_PGM_RSRC2:TGID_Y_EN: 0
; COMPUTE_PGM_RSRC2:TGID_Z_EN: 0
; COMPUTE_PGM_RSRC2:TIDIG_COMP_CNT: 0
	.section	.text._ZN7rocprim17ROCPRIM_400000_NS6detail17trampoline_kernelINS0_14default_configENS1_38merge_sort_block_merge_config_selectorIlNS0_10empty_typeEEEZZNS1_27merge_sort_block_merge_implIS3_PlPS5_mZN2at6native12_GLOBAL__N_124unique_dim_cuda_templateIN3c108BFloat16EEESt5tupleIJNSA_6TensorESH_SH_EERKSH_lbbbEUlllE_EE10hipError_tT0_T1_T2_jT3_P12ihipStream_tbPNSt15iterator_traitsISN_E10value_typeEPNST_ISO_E10value_typeEPSP_NS1_7vsmem_tEENKUlT_SN_SO_SP_E_clIS8_S8_S9_S9_EESM_S12_SN_SO_SP_EUlS12_E_NS1_11comp_targetILNS1_3genE4ELNS1_11target_archE910ELNS1_3gpuE8ELNS1_3repE0EEENS1_48merge_mergepath_partition_config_static_selectorELNS0_4arch9wavefront6targetE0EEEvSO_,"axG",@progbits,_ZN7rocprim17ROCPRIM_400000_NS6detail17trampoline_kernelINS0_14default_configENS1_38merge_sort_block_merge_config_selectorIlNS0_10empty_typeEEEZZNS1_27merge_sort_block_merge_implIS3_PlPS5_mZN2at6native12_GLOBAL__N_124unique_dim_cuda_templateIN3c108BFloat16EEESt5tupleIJNSA_6TensorESH_SH_EERKSH_lbbbEUlllE_EE10hipError_tT0_T1_T2_jT3_P12ihipStream_tbPNSt15iterator_traitsISN_E10value_typeEPNST_ISO_E10value_typeEPSP_NS1_7vsmem_tEENKUlT_SN_SO_SP_E_clIS8_S8_S9_S9_EESM_S12_SN_SO_SP_EUlS12_E_NS1_11comp_targetILNS1_3genE4ELNS1_11target_archE910ELNS1_3gpuE8ELNS1_3repE0EEENS1_48merge_mergepath_partition_config_static_selectorELNS0_4arch9wavefront6targetE0EEEvSO_,comdat
	.globl	_ZN7rocprim17ROCPRIM_400000_NS6detail17trampoline_kernelINS0_14default_configENS1_38merge_sort_block_merge_config_selectorIlNS0_10empty_typeEEEZZNS1_27merge_sort_block_merge_implIS3_PlPS5_mZN2at6native12_GLOBAL__N_124unique_dim_cuda_templateIN3c108BFloat16EEESt5tupleIJNSA_6TensorESH_SH_EERKSH_lbbbEUlllE_EE10hipError_tT0_T1_T2_jT3_P12ihipStream_tbPNSt15iterator_traitsISN_E10value_typeEPNST_ISO_E10value_typeEPSP_NS1_7vsmem_tEENKUlT_SN_SO_SP_E_clIS8_S8_S9_S9_EESM_S12_SN_SO_SP_EUlS12_E_NS1_11comp_targetILNS1_3genE4ELNS1_11target_archE910ELNS1_3gpuE8ELNS1_3repE0EEENS1_48merge_mergepath_partition_config_static_selectorELNS0_4arch9wavefront6targetE0EEEvSO_ ; -- Begin function _ZN7rocprim17ROCPRIM_400000_NS6detail17trampoline_kernelINS0_14default_configENS1_38merge_sort_block_merge_config_selectorIlNS0_10empty_typeEEEZZNS1_27merge_sort_block_merge_implIS3_PlPS5_mZN2at6native12_GLOBAL__N_124unique_dim_cuda_templateIN3c108BFloat16EEESt5tupleIJNSA_6TensorESH_SH_EERKSH_lbbbEUlllE_EE10hipError_tT0_T1_T2_jT3_P12ihipStream_tbPNSt15iterator_traitsISN_E10value_typeEPNST_ISO_E10value_typeEPSP_NS1_7vsmem_tEENKUlT_SN_SO_SP_E_clIS8_S8_S9_S9_EESM_S12_SN_SO_SP_EUlS12_E_NS1_11comp_targetILNS1_3genE4ELNS1_11target_archE910ELNS1_3gpuE8ELNS1_3repE0EEENS1_48merge_mergepath_partition_config_static_selectorELNS0_4arch9wavefront6targetE0EEEvSO_
	.p2align	8
	.type	_ZN7rocprim17ROCPRIM_400000_NS6detail17trampoline_kernelINS0_14default_configENS1_38merge_sort_block_merge_config_selectorIlNS0_10empty_typeEEEZZNS1_27merge_sort_block_merge_implIS3_PlPS5_mZN2at6native12_GLOBAL__N_124unique_dim_cuda_templateIN3c108BFloat16EEESt5tupleIJNSA_6TensorESH_SH_EERKSH_lbbbEUlllE_EE10hipError_tT0_T1_T2_jT3_P12ihipStream_tbPNSt15iterator_traitsISN_E10value_typeEPNST_ISO_E10value_typeEPSP_NS1_7vsmem_tEENKUlT_SN_SO_SP_E_clIS8_S8_S9_S9_EESM_S12_SN_SO_SP_EUlS12_E_NS1_11comp_targetILNS1_3genE4ELNS1_11target_archE910ELNS1_3gpuE8ELNS1_3repE0EEENS1_48merge_mergepath_partition_config_static_selectorELNS0_4arch9wavefront6targetE0EEEvSO_,@function
_ZN7rocprim17ROCPRIM_400000_NS6detail17trampoline_kernelINS0_14default_configENS1_38merge_sort_block_merge_config_selectorIlNS0_10empty_typeEEEZZNS1_27merge_sort_block_merge_implIS3_PlPS5_mZN2at6native12_GLOBAL__N_124unique_dim_cuda_templateIN3c108BFloat16EEESt5tupleIJNSA_6TensorESH_SH_EERKSH_lbbbEUlllE_EE10hipError_tT0_T1_T2_jT3_P12ihipStream_tbPNSt15iterator_traitsISN_E10value_typeEPNST_ISO_E10value_typeEPSP_NS1_7vsmem_tEENKUlT_SN_SO_SP_E_clIS8_S8_S9_S9_EESM_S12_SN_SO_SP_EUlS12_E_NS1_11comp_targetILNS1_3genE4ELNS1_11target_archE910ELNS1_3gpuE8ELNS1_3repE0EEENS1_48merge_mergepath_partition_config_static_selectorELNS0_4arch9wavefront6targetE0EEEvSO_: ; @_ZN7rocprim17ROCPRIM_400000_NS6detail17trampoline_kernelINS0_14default_configENS1_38merge_sort_block_merge_config_selectorIlNS0_10empty_typeEEEZZNS1_27merge_sort_block_merge_implIS3_PlPS5_mZN2at6native12_GLOBAL__N_124unique_dim_cuda_templateIN3c108BFloat16EEESt5tupleIJNSA_6TensorESH_SH_EERKSH_lbbbEUlllE_EE10hipError_tT0_T1_T2_jT3_P12ihipStream_tbPNSt15iterator_traitsISN_E10value_typeEPNST_ISO_E10value_typeEPSP_NS1_7vsmem_tEENKUlT_SN_SO_SP_E_clIS8_S8_S9_S9_EESM_S12_SN_SO_SP_EUlS12_E_NS1_11comp_targetILNS1_3genE4ELNS1_11target_archE910ELNS1_3gpuE8ELNS1_3repE0EEENS1_48merge_mergepath_partition_config_static_selectorELNS0_4arch9wavefront6targetE0EEEvSO_
; %bb.0:
	.section	.rodata,"a",@progbits
	.p2align	6, 0x0
	.amdhsa_kernel _ZN7rocprim17ROCPRIM_400000_NS6detail17trampoline_kernelINS0_14default_configENS1_38merge_sort_block_merge_config_selectorIlNS0_10empty_typeEEEZZNS1_27merge_sort_block_merge_implIS3_PlPS5_mZN2at6native12_GLOBAL__N_124unique_dim_cuda_templateIN3c108BFloat16EEESt5tupleIJNSA_6TensorESH_SH_EERKSH_lbbbEUlllE_EE10hipError_tT0_T1_T2_jT3_P12ihipStream_tbPNSt15iterator_traitsISN_E10value_typeEPNST_ISO_E10value_typeEPSP_NS1_7vsmem_tEENKUlT_SN_SO_SP_E_clIS8_S8_S9_S9_EESM_S12_SN_SO_SP_EUlS12_E_NS1_11comp_targetILNS1_3genE4ELNS1_11target_archE910ELNS1_3gpuE8ELNS1_3repE0EEENS1_48merge_mergepath_partition_config_static_selectorELNS0_4arch9wavefront6targetE0EEEvSO_
		.amdhsa_group_segment_fixed_size 0
		.amdhsa_private_segment_fixed_size 0
		.amdhsa_kernarg_size 56
		.amdhsa_user_sgpr_count 2
		.amdhsa_user_sgpr_dispatch_ptr 0
		.amdhsa_user_sgpr_queue_ptr 0
		.amdhsa_user_sgpr_kernarg_segment_ptr 1
		.amdhsa_user_sgpr_dispatch_id 0
		.amdhsa_user_sgpr_kernarg_preload_length 0
		.amdhsa_user_sgpr_kernarg_preload_offset 0
		.amdhsa_user_sgpr_private_segment_size 0
		.amdhsa_wavefront_size32 1
		.amdhsa_uses_dynamic_stack 0
		.amdhsa_enable_private_segment 0
		.amdhsa_system_sgpr_workgroup_id_x 1
		.amdhsa_system_sgpr_workgroup_id_y 0
		.amdhsa_system_sgpr_workgroup_id_z 0
		.amdhsa_system_sgpr_workgroup_info 0
		.amdhsa_system_vgpr_workitem_id 0
		.amdhsa_next_free_vgpr 1
		.amdhsa_next_free_sgpr 1
		.amdhsa_named_barrier_count 0
		.amdhsa_reserve_vcc 0
		.amdhsa_float_round_mode_32 0
		.amdhsa_float_round_mode_16_64 0
		.amdhsa_float_denorm_mode_32 3
		.amdhsa_float_denorm_mode_16_64 3
		.amdhsa_fp16_overflow 0
		.amdhsa_memory_ordered 1
		.amdhsa_forward_progress 1
		.amdhsa_inst_pref_size 0
		.amdhsa_round_robin_scheduling 0
		.amdhsa_exception_fp_ieee_invalid_op 0
		.amdhsa_exception_fp_denorm_src 0
		.amdhsa_exception_fp_ieee_div_zero 0
		.amdhsa_exception_fp_ieee_overflow 0
		.amdhsa_exception_fp_ieee_underflow 0
		.amdhsa_exception_fp_ieee_inexact 0
		.amdhsa_exception_int_div_zero 0
	.end_amdhsa_kernel
	.section	.text._ZN7rocprim17ROCPRIM_400000_NS6detail17trampoline_kernelINS0_14default_configENS1_38merge_sort_block_merge_config_selectorIlNS0_10empty_typeEEEZZNS1_27merge_sort_block_merge_implIS3_PlPS5_mZN2at6native12_GLOBAL__N_124unique_dim_cuda_templateIN3c108BFloat16EEESt5tupleIJNSA_6TensorESH_SH_EERKSH_lbbbEUlllE_EE10hipError_tT0_T1_T2_jT3_P12ihipStream_tbPNSt15iterator_traitsISN_E10value_typeEPNST_ISO_E10value_typeEPSP_NS1_7vsmem_tEENKUlT_SN_SO_SP_E_clIS8_S8_S9_S9_EESM_S12_SN_SO_SP_EUlS12_E_NS1_11comp_targetILNS1_3genE4ELNS1_11target_archE910ELNS1_3gpuE8ELNS1_3repE0EEENS1_48merge_mergepath_partition_config_static_selectorELNS0_4arch9wavefront6targetE0EEEvSO_,"axG",@progbits,_ZN7rocprim17ROCPRIM_400000_NS6detail17trampoline_kernelINS0_14default_configENS1_38merge_sort_block_merge_config_selectorIlNS0_10empty_typeEEEZZNS1_27merge_sort_block_merge_implIS3_PlPS5_mZN2at6native12_GLOBAL__N_124unique_dim_cuda_templateIN3c108BFloat16EEESt5tupleIJNSA_6TensorESH_SH_EERKSH_lbbbEUlllE_EE10hipError_tT0_T1_T2_jT3_P12ihipStream_tbPNSt15iterator_traitsISN_E10value_typeEPNST_ISO_E10value_typeEPSP_NS1_7vsmem_tEENKUlT_SN_SO_SP_E_clIS8_S8_S9_S9_EESM_S12_SN_SO_SP_EUlS12_E_NS1_11comp_targetILNS1_3genE4ELNS1_11target_archE910ELNS1_3gpuE8ELNS1_3repE0EEENS1_48merge_mergepath_partition_config_static_selectorELNS0_4arch9wavefront6targetE0EEEvSO_,comdat
.Lfunc_end1128:
	.size	_ZN7rocprim17ROCPRIM_400000_NS6detail17trampoline_kernelINS0_14default_configENS1_38merge_sort_block_merge_config_selectorIlNS0_10empty_typeEEEZZNS1_27merge_sort_block_merge_implIS3_PlPS5_mZN2at6native12_GLOBAL__N_124unique_dim_cuda_templateIN3c108BFloat16EEESt5tupleIJNSA_6TensorESH_SH_EERKSH_lbbbEUlllE_EE10hipError_tT0_T1_T2_jT3_P12ihipStream_tbPNSt15iterator_traitsISN_E10value_typeEPNST_ISO_E10value_typeEPSP_NS1_7vsmem_tEENKUlT_SN_SO_SP_E_clIS8_S8_S9_S9_EESM_S12_SN_SO_SP_EUlS12_E_NS1_11comp_targetILNS1_3genE4ELNS1_11target_archE910ELNS1_3gpuE8ELNS1_3repE0EEENS1_48merge_mergepath_partition_config_static_selectorELNS0_4arch9wavefront6targetE0EEEvSO_, .Lfunc_end1128-_ZN7rocprim17ROCPRIM_400000_NS6detail17trampoline_kernelINS0_14default_configENS1_38merge_sort_block_merge_config_selectorIlNS0_10empty_typeEEEZZNS1_27merge_sort_block_merge_implIS3_PlPS5_mZN2at6native12_GLOBAL__N_124unique_dim_cuda_templateIN3c108BFloat16EEESt5tupleIJNSA_6TensorESH_SH_EERKSH_lbbbEUlllE_EE10hipError_tT0_T1_T2_jT3_P12ihipStream_tbPNSt15iterator_traitsISN_E10value_typeEPNST_ISO_E10value_typeEPSP_NS1_7vsmem_tEENKUlT_SN_SO_SP_E_clIS8_S8_S9_S9_EESM_S12_SN_SO_SP_EUlS12_E_NS1_11comp_targetILNS1_3genE4ELNS1_11target_archE910ELNS1_3gpuE8ELNS1_3repE0EEENS1_48merge_mergepath_partition_config_static_selectorELNS0_4arch9wavefront6targetE0EEEvSO_
                                        ; -- End function
	.set _ZN7rocprim17ROCPRIM_400000_NS6detail17trampoline_kernelINS0_14default_configENS1_38merge_sort_block_merge_config_selectorIlNS0_10empty_typeEEEZZNS1_27merge_sort_block_merge_implIS3_PlPS5_mZN2at6native12_GLOBAL__N_124unique_dim_cuda_templateIN3c108BFloat16EEESt5tupleIJNSA_6TensorESH_SH_EERKSH_lbbbEUlllE_EE10hipError_tT0_T1_T2_jT3_P12ihipStream_tbPNSt15iterator_traitsISN_E10value_typeEPNST_ISO_E10value_typeEPSP_NS1_7vsmem_tEENKUlT_SN_SO_SP_E_clIS8_S8_S9_S9_EESM_S12_SN_SO_SP_EUlS12_E_NS1_11comp_targetILNS1_3genE4ELNS1_11target_archE910ELNS1_3gpuE8ELNS1_3repE0EEENS1_48merge_mergepath_partition_config_static_selectorELNS0_4arch9wavefront6targetE0EEEvSO_.num_vgpr, 0
	.set _ZN7rocprim17ROCPRIM_400000_NS6detail17trampoline_kernelINS0_14default_configENS1_38merge_sort_block_merge_config_selectorIlNS0_10empty_typeEEEZZNS1_27merge_sort_block_merge_implIS3_PlPS5_mZN2at6native12_GLOBAL__N_124unique_dim_cuda_templateIN3c108BFloat16EEESt5tupleIJNSA_6TensorESH_SH_EERKSH_lbbbEUlllE_EE10hipError_tT0_T1_T2_jT3_P12ihipStream_tbPNSt15iterator_traitsISN_E10value_typeEPNST_ISO_E10value_typeEPSP_NS1_7vsmem_tEENKUlT_SN_SO_SP_E_clIS8_S8_S9_S9_EESM_S12_SN_SO_SP_EUlS12_E_NS1_11comp_targetILNS1_3genE4ELNS1_11target_archE910ELNS1_3gpuE8ELNS1_3repE0EEENS1_48merge_mergepath_partition_config_static_selectorELNS0_4arch9wavefront6targetE0EEEvSO_.num_agpr, 0
	.set _ZN7rocprim17ROCPRIM_400000_NS6detail17trampoline_kernelINS0_14default_configENS1_38merge_sort_block_merge_config_selectorIlNS0_10empty_typeEEEZZNS1_27merge_sort_block_merge_implIS3_PlPS5_mZN2at6native12_GLOBAL__N_124unique_dim_cuda_templateIN3c108BFloat16EEESt5tupleIJNSA_6TensorESH_SH_EERKSH_lbbbEUlllE_EE10hipError_tT0_T1_T2_jT3_P12ihipStream_tbPNSt15iterator_traitsISN_E10value_typeEPNST_ISO_E10value_typeEPSP_NS1_7vsmem_tEENKUlT_SN_SO_SP_E_clIS8_S8_S9_S9_EESM_S12_SN_SO_SP_EUlS12_E_NS1_11comp_targetILNS1_3genE4ELNS1_11target_archE910ELNS1_3gpuE8ELNS1_3repE0EEENS1_48merge_mergepath_partition_config_static_selectorELNS0_4arch9wavefront6targetE0EEEvSO_.numbered_sgpr, 0
	.set _ZN7rocprim17ROCPRIM_400000_NS6detail17trampoline_kernelINS0_14default_configENS1_38merge_sort_block_merge_config_selectorIlNS0_10empty_typeEEEZZNS1_27merge_sort_block_merge_implIS3_PlPS5_mZN2at6native12_GLOBAL__N_124unique_dim_cuda_templateIN3c108BFloat16EEESt5tupleIJNSA_6TensorESH_SH_EERKSH_lbbbEUlllE_EE10hipError_tT0_T1_T2_jT3_P12ihipStream_tbPNSt15iterator_traitsISN_E10value_typeEPNST_ISO_E10value_typeEPSP_NS1_7vsmem_tEENKUlT_SN_SO_SP_E_clIS8_S8_S9_S9_EESM_S12_SN_SO_SP_EUlS12_E_NS1_11comp_targetILNS1_3genE4ELNS1_11target_archE910ELNS1_3gpuE8ELNS1_3repE0EEENS1_48merge_mergepath_partition_config_static_selectorELNS0_4arch9wavefront6targetE0EEEvSO_.num_named_barrier, 0
	.set _ZN7rocprim17ROCPRIM_400000_NS6detail17trampoline_kernelINS0_14default_configENS1_38merge_sort_block_merge_config_selectorIlNS0_10empty_typeEEEZZNS1_27merge_sort_block_merge_implIS3_PlPS5_mZN2at6native12_GLOBAL__N_124unique_dim_cuda_templateIN3c108BFloat16EEESt5tupleIJNSA_6TensorESH_SH_EERKSH_lbbbEUlllE_EE10hipError_tT0_T1_T2_jT3_P12ihipStream_tbPNSt15iterator_traitsISN_E10value_typeEPNST_ISO_E10value_typeEPSP_NS1_7vsmem_tEENKUlT_SN_SO_SP_E_clIS8_S8_S9_S9_EESM_S12_SN_SO_SP_EUlS12_E_NS1_11comp_targetILNS1_3genE4ELNS1_11target_archE910ELNS1_3gpuE8ELNS1_3repE0EEENS1_48merge_mergepath_partition_config_static_selectorELNS0_4arch9wavefront6targetE0EEEvSO_.private_seg_size, 0
	.set _ZN7rocprim17ROCPRIM_400000_NS6detail17trampoline_kernelINS0_14default_configENS1_38merge_sort_block_merge_config_selectorIlNS0_10empty_typeEEEZZNS1_27merge_sort_block_merge_implIS3_PlPS5_mZN2at6native12_GLOBAL__N_124unique_dim_cuda_templateIN3c108BFloat16EEESt5tupleIJNSA_6TensorESH_SH_EERKSH_lbbbEUlllE_EE10hipError_tT0_T1_T2_jT3_P12ihipStream_tbPNSt15iterator_traitsISN_E10value_typeEPNST_ISO_E10value_typeEPSP_NS1_7vsmem_tEENKUlT_SN_SO_SP_E_clIS8_S8_S9_S9_EESM_S12_SN_SO_SP_EUlS12_E_NS1_11comp_targetILNS1_3genE4ELNS1_11target_archE910ELNS1_3gpuE8ELNS1_3repE0EEENS1_48merge_mergepath_partition_config_static_selectorELNS0_4arch9wavefront6targetE0EEEvSO_.uses_vcc, 0
	.set _ZN7rocprim17ROCPRIM_400000_NS6detail17trampoline_kernelINS0_14default_configENS1_38merge_sort_block_merge_config_selectorIlNS0_10empty_typeEEEZZNS1_27merge_sort_block_merge_implIS3_PlPS5_mZN2at6native12_GLOBAL__N_124unique_dim_cuda_templateIN3c108BFloat16EEESt5tupleIJNSA_6TensorESH_SH_EERKSH_lbbbEUlllE_EE10hipError_tT0_T1_T2_jT3_P12ihipStream_tbPNSt15iterator_traitsISN_E10value_typeEPNST_ISO_E10value_typeEPSP_NS1_7vsmem_tEENKUlT_SN_SO_SP_E_clIS8_S8_S9_S9_EESM_S12_SN_SO_SP_EUlS12_E_NS1_11comp_targetILNS1_3genE4ELNS1_11target_archE910ELNS1_3gpuE8ELNS1_3repE0EEENS1_48merge_mergepath_partition_config_static_selectorELNS0_4arch9wavefront6targetE0EEEvSO_.uses_flat_scratch, 0
	.set _ZN7rocprim17ROCPRIM_400000_NS6detail17trampoline_kernelINS0_14default_configENS1_38merge_sort_block_merge_config_selectorIlNS0_10empty_typeEEEZZNS1_27merge_sort_block_merge_implIS3_PlPS5_mZN2at6native12_GLOBAL__N_124unique_dim_cuda_templateIN3c108BFloat16EEESt5tupleIJNSA_6TensorESH_SH_EERKSH_lbbbEUlllE_EE10hipError_tT0_T1_T2_jT3_P12ihipStream_tbPNSt15iterator_traitsISN_E10value_typeEPNST_ISO_E10value_typeEPSP_NS1_7vsmem_tEENKUlT_SN_SO_SP_E_clIS8_S8_S9_S9_EESM_S12_SN_SO_SP_EUlS12_E_NS1_11comp_targetILNS1_3genE4ELNS1_11target_archE910ELNS1_3gpuE8ELNS1_3repE0EEENS1_48merge_mergepath_partition_config_static_selectorELNS0_4arch9wavefront6targetE0EEEvSO_.has_dyn_sized_stack, 0
	.set _ZN7rocprim17ROCPRIM_400000_NS6detail17trampoline_kernelINS0_14default_configENS1_38merge_sort_block_merge_config_selectorIlNS0_10empty_typeEEEZZNS1_27merge_sort_block_merge_implIS3_PlPS5_mZN2at6native12_GLOBAL__N_124unique_dim_cuda_templateIN3c108BFloat16EEESt5tupleIJNSA_6TensorESH_SH_EERKSH_lbbbEUlllE_EE10hipError_tT0_T1_T2_jT3_P12ihipStream_tbPNSt15iterator_traitsISN_E10value_typeEPNST_ISO_E10value_typeEPSP_NS1_7vsmem_tEENKUlT_SN_SO_SP_E_clIS8_S8_S9_S9_EESM_S12_SN_SO_SP_EUlS12_E_NS1_11comp_targetILNS1_3genE4ELNS1_11target_archE910ELNS1_3gpuE8ELNS1_3repE0EEENS1_48merge_mergepath_partition_config_static_selectorELNS0_4arch9wavefront6targetE0EEEvSO_.has_recursion, 0
	.set _ZN7rocprim17ROCPRIM_400000_NS6detail17trampoline_kernelINS0_14default_configENS1_38merge_sort_block_merge_config_selectorIlNS0_10empty_typeEEEZZNS1_27merge_sort_block_merge_implIS3_PlPS5_mZN2at6native12_GLOBAL__N_124unique_dim_cuda_templateIN3c108BFloat16EEESt5tupleIJNSA_6TensorESH_SH_EERKSH_lbbbEUlllE_EE10hipError_tT0_T1_T2_jT3_P12ihipStream_tbPNSt15iterator_traitsISN_E10value_typeEPNST_ISO_E10value_typeEPSP_NS1_7vsmem_tEENKUlT_SN_SO_SP_E_clIS8_S8_S9_S9_EESM_S12_SN_SO_SP_EUlS12_E_NS1_11comp_targetILNS1_3genE4ELNS1_11target_archE910ELNS1_3gpuE8ELNS1_3repE0EEENS1_48merge_mergepath_partition_config_static_selectorELNS0_4arch9wavefront6targetE0EEEvSO_.has_indirect_call, 0
	.section	.AMDGPU.csdata,"",@progbits
; Kernel info:
; codeLenInByte = 0
; TotalNumSgprs: 0
; NumVgprs: 0
; ScratchSize: 0
; MemoryBound: 0
; FloatMode: 240
; IeeeMode: 1
; LDSByteSize: 0 bytes/workgroup (compile time only)
; SGPRBlocks: 0
; VGPRBlocks: 0
; NumSGPRsForWavesPerEU: 1
; NumVGPRsForWavesPerEU: 1
; NamedBarCnt: 0
; Occupancy: 16
; WaveLimiterHint : 0
; COMPUTE_PGM_RSRC2:SCRATCH_EN: 0
; COMPUTE_PGM_RSRC2:USER_SGPR: 2
; COMPUTE_PGM_RSRC2:TRAP_HANDLER: 0
; COMPUTE_PGM_RSRC2:TGID_X_EN: 1
; COMPUTE_PGM_RSRC2:TGID_Y_EN: 0
; COMPUTE_PGM_RSRC2:TGID_Z_EN: 0
; COMPUTE_PGM_RSRC2:TIDIG_COMP_CNT: 0
	.section	.text._ZN7rocprim17ROCPRIM_400000_NS6detail17trampoline_kernelINS0_14default_configENS1_38merge_sort_block_merge_config_selectorIlNS0_10empty_typeEEEZZNS1_27merge_sort_block_merge_implIS3_PlPS5_mZN2at6native12_GLOBAL__N_124unique_dim_cuda_templateIN3c108BFloat16EEESt5tupleIJNSA_6TensorESH_SH_EERKSH_lbbbEUlllE_EE10hipError_tT0_T1_T2_jT3_P12ihipStream_tbPNSt15iterator_traitsISN_E10value_typeEPNST_ISO_E10value_typeEPSP_NS1_7vsmem_tEENKUlT_SN_SO_SP_E_clIS8_S8_S9_S9_EESM_S12_SN_SO_SP_EUlS12_E_NS1_11comp_targetILNS1_3genE3ELNS1_11target_archE908ELNS1_3gpuE7ELNS1_3repE0EEENS1_48merge_mergepath_partition_config_static_selectorELNS0_4arch9wavefront6targetE0EEEvSO_,"axG",@progbits,_ZN7rocprim17ROCPRIM_400000_NS6detail17trampoline_kernelINS0_14default_configENS1_38merge_sort_block_merge_config_selectorIlNS0_10empty_typeEEEZZNS1_27merge_sort_block_merge_implIS3_PlPS5_mZN2at6native12_GLOBAL__N_124unique_dim_cuda_templateIN3c108BFloat16EEESt5tupleIJNSA_6TensorESH_SH_EERKSH_lbbbEUlllE_EE10hipError_tT0_T1_T2_jT3_P12ihipStream_tbPNSt15iterator_traitsISN_E10value_typeEPNST_ISO_E10value_typeEPSP_NS1_7vsmem_tEENKUlT_SN_SO_SP_E_clIS8_S8_S9_S9_EESM_S12_SN_SO_SP_EUlS12_E_NS1_11comp_targetILNS1_3genE3ELNS1_11target_archE908ELNS1_3gpuE7ELNS1_3repE0EEENS1_48merge_mergepath_partition_config_static_selectorELNS0_4arch9wavefront6targetE0EEEvSO_,comdat
	.globl	_ZN7rocprim17ROCPRIM_400000_NS6detail17trampoline_kernelINS0_14default_configENS1_38merge_sort_block_merge_config_selectorIlNS0_10empty_typeEEEZZNS1_27merge_sort_block_merge_implIS3_PlPS5_mZN2at6native12_GLOBAL__N_124unique_dim_cuda_templateIN3c108BFloat16EEESt5tupleIJNSA_6TensorESH_SH_EERKSH_lbbbEUlllE_EE10hipError_tT0_T1_T2_jT3_P12ihipStream_tbPNSt15iterator_traitsISN_E10value_typeEPNST_ISO_E10value_typeEPSP_NS1_7vsmem_tEENKUlT_SN_SO_SP_E_clIS8_S8_S9_S9_EESM_S12_SN_SO_SP_EUlS12_E_NS1_11comp_targetILNS1_3genE3ELNS1_11target_archE908ELNS1_3gpuE7ELNS1_3repE0EEENS1_48merge_mergepath_partition_config_static_selectorELNS0_4arch9wavefront6targetE0EEEvSO_ ; -- Begin function _ZN7rocprim17ROCPRIM_400000_NS6detail17trampoline_kernelINS0_14default_configENS1_38merge_sort_block_merge_config_selectorIlNS0_10empty_typeEEEZZNS1_27merge_sort_block_merge_implIS3_PlPS5_mZN2at6native12_GLOBAL__N_124unique_dim_cuda_templateIN3c108BFloat16EEESt5tupleIJNSA_6TensorESH_SH_EERKSH_lbbbEUlllE_EE10hipError_tT0_T1_T2_jT3_P12ihipStream_tbPNSt15iterator_traitsISN_E10value_typeEPNST_ISO_E10value_typeEPSP_NS1_7vsmem_tEENKUlT_SN_SO_SP_E_clIS8_S8_S9_S9_EESM_S12_SN_SO_SP_EUlS12_E_NS1_11comp_targetILNS1_3genE3ELNS1_11target_archE908ELNS1_3gpuE7ELNS1_3repE0EEENS1_48merge_mergepath_partition_config_static_selectorELNS0_4arch9wavefront6targetE0EEEvSO_
	.p2align	8
	.type	_ZN7rocprim17ROCPRIM_400000_NS6detail17trampoline_kernelINS0_14default_configENS1_38merge_sort_block_merge_config_selectorIlNS0_10empty_typeEEEZZNS1_27merge_sort_block_merge_implIS3_PlPS5_mZN2at6native12_GLOBAL__N_124unique_dim_cuda_templateIN3c108BFloat16EEESt5tupleIJNSA_6TensorESH_SH_EERKSH_lbbbEUlllE_EE10hipError_tT0_T1_T2_jT3_P12ihipStream_tbPNSt15iterator_traitsISN_E10value_typeEPNST_ISO_E10value_typeEPSP_NS1_7vsmem_tEENKUlT_SN_SO_SP_E_clIS8_S8_S9_S9_EESM_S12_SN_SO_SP_EUlS12_E_NS1_11comp_targetILNS1_3genE3ELNS1_11target_archE908ELNS1_3gpuE7ELNS1_3repE0EEENS1_48merge_mergepath_partition_config_static_selectorELNS0_4arch9wavefront6targetE0EEEvSO_,@function
_ZN7rocprim17ROCPRIM_400000_NS6detail17trampoline_kernelINS0_14default_configENS1_38merge_sort_block_merge_config_selectorIlNS0_10empty_typeEEEZZNS1_27merge_sort_block_merge_implIS3_PlPS5_mZN2at6native12_GLOBAL__N_124unique_dim_cuda_templateIN3c108BFloat16EEESt5tupleIJNSA_6TensorESH_SH_EERKSH_lbbbEUlllE_EE10hipError_tT0_T1_T2_jT3_P12ihipStream_tbPNSt15iterator_traitsISN_E10value_typeEPNST_ISO_E10value_typeEPSP_NS1_7vsmem_tEENKUlT_SN_SO_SP_E_clIS8_S8_S9_S9_EESM_S12_SN_SO_SP_EUlS12_E_NS1_11comp_targetILNS1_3genE3ELNS1_11target_archE908ELNS1_3gpuE7ELNS1_3repE0EEENS1_48merge_mergepath_partition_config_static_selectorELNS0_4arch9wavefront6targetE0EEEvSO_: ; @_ZN7rocprim17ROCPRIM_400000_NS6detail17trampoline_kernelINS0_14default_configENS1_38merge_sort_block_merge_config_selectorIlNS0_10empty_typeEEEZZNS1_27merge_sort_block_merge_implIS3_PlPS5_mZN2at6native12_GLOBAL__N_124unique_dim_cuda_templateIN3c108BFloat16EEESt5tupleIJNSA_6TensorESH_SH_EERKSH_lbbbEUlllE_EE10hipError_tT0_T1_T2_jT3_P12ihipStream_tbPNSt15iterator_traitsISN_E10value_typeEPNST_ISO_E10value_typeEPSP_NS1_7vsmem_tEENKUlT_SN_SO_SP_E_clIS8_S8_S9_S9_EESM_S12_SN_SO_SP_EUlS12_E_NS1_11comp_targetILNS1_3genE3ELNS1_11target_archE908ELNS1_3gpuE7ELNS1_3repE0EEENS1_48merge_mergepath_partition_config_static_selectorELNS0_4arch9wavefront6targetE0EEEvSO_
; %bb.0:
	.section	.rodata,"a",@progbits
	.p2align	6, 0x0
	.amdhsa_kernel _ZN7rocprim17ROCPRIM_400000_NS6detail17trampoline_kernelINS0_14default_configENS1_38merge_sort_block_merge_config_selectorIlNS0_10empty_typeEEEZZNS1_27merge_sort_block_merge_implIS3_PlPS5_mZN2at6native12_GLOBAL__N_124unique_dim_cuda_templateIN3c108BFloat16EEESt5tupleIJNSA_6TensorESH_SH_EERKSH_lbbbEUlllE_EE10hipError_tT0_T1_T2_jT3_P12ihipStream_tbPNSt15iterator_traitsISN_E10value_typeEPNST_ISO_E10value_typeEPSP_NS1_7vsmem_tEENKUlT_SN_SO_SP_E_clIS8_S8_S9_S9_EESM_S12_SN_SO_SP_EUlS12_E_NS1_11comp_targetILNS1_3genE3ELNS1_11target_archE908ELNS1_3gpuE7ELNS1_3repE0EEENS1_48merge_mergepath_partition_config_static_selectorELNS0_4arch9wavefront6targetE0EEEvSO_
		.amdhsa_group_segment_fixed_size 0
		.amdhsa_private_segment_fixed_size 0
		.amdhsa_kernarg_size 56
		.amdhsa_user_sgpr_count 2
		.amdhsa_user_sgpr_dispatch_ptr 0
		.amdhsa_user_sgpr_queue_ptr 0
		.amdhsa_user_sgpr_kernarg_segment_ptr 1
		.amdhsa_user_sgpr_dispatch_id 0
		.amdhsa_user_sgpr_kernarg_preload_length 0
		.amdhsa_user_sgpr_kernarg_preload_offset 0
		.amdhsa_user_sgpr_private_segment_size 0
		.amdhsa_wavefront_size32 1
		.amdhsa_uses_dynamic_stack 0
		.amdhsa_enable_private_segment 0
		.amdhsa_system_sgpr_workgroup_id_x 1
		.amdhsa_system_sgpr_workgroup_id_y 0
		.amdhsa_system_sgpr_workgroup_id_z 0
		.amdhsa_system_sgpr_workgroup_info 0
		.amdhsa_system_vgpr_workitem_id 0
		.amdhsa_next_free_vgpr 1
		.amdhsa_next_free_sgpr 1
		.amdhsa_named_barrier_count 0
		.amdhsa_reserve_vcc 0
		.amdhsa_float_round_mode_32 0
		.amdhsa_float_round_mode_16_64 0
		.amdhsa_float_denorm_mode_32 3
		.amdhsa_float_denorm_mode_16_64 3
		.amdhsa_fp16_overflow 0
		.amdhsa_memory_ordered 1
		.amdhsa_forward_progress 1
		.amdhsa_inst_pref_size 0
		.amdhsa_round_robin_scheduling 0
		.amdhsa_exception_fp_ieee_invalid_op 0
		.amdhsa_exception_fp_denorm_src 0
		.amdhsa_exception_fp_ieee_div_zero 0
		.amdhsa_exception_fp_ieee_overflow 0
		.amdhsa_exception_fp_ieee_underflow 0
		.amdhsa_exception_fp_ieee_inexact 0
		.amdhsa_exception_int_div_zero 0
	.end_amdhsa_kernel
	.section	.text._ZN7rocprim17ROCPRIM_400000_NS6detail17trampoline_kernelINS0_14default_configENS1_38merge_sort_block_merge_config_selectorIlNS0_10empty_typeEEEZZNS1_27merge_sort_block_merge_implIS3_PlPS5_mZN2at6native12_GLOBAL__N_124unique_dim_cuda_templateIN3c108BFloat16EEESt5tupleIJNSA_6TensorESH_SH_EERKSH_lbbbEUlllE_EE10hipError_tT0_T1_T2_jT3_P12ihipStream_tbPNSt15iterator_traitsISN_E10value_typeEPNST_ISO_E10value_typeEPSP_NS1_7vsmem_tEENKUlT_SN_SO_SP_E_clIS8_S8_S9_S9_EESM_S12_SN_SO_SP_EUlS12_E_NS1_11comp_targetILNS1_3genE3ELNS1_11target_archE908ELNS1_3gpuE7ELNS1_3repE0EEENS1_48merge_mergepath_partition_config_static_selectorELNS0_4arch9wavefront6targetE0EEEvSO_,"axG",@progbits,_ZN7rocprim17ROCPRIM_400000_NS6detail17trampoline_kernelINS0_14default_configENS1_38merge_sort_block_merge_config_selectorIlNS0_10empty_typeEEEZZNS1_27merge_sort_block_merge_implIS3_PlPS5_mZN2at6native12_GLOBAL__N_124unique_dim_cuda_templateIN3c108BFloat16EEESt5tupleIJNSA_6TensorESH_SH_EERKSH_lbbbEUlllE_EE10hipError_tT0_T1_T2_jT3_P12ihipStream_tbPNSt15iterator_traitsISN_E10value_typeEPNST_ISO_E10value_typeEPSP_NS1_7vsmem_tEENKUlT_SN_SO_SP_E_clIS8_S8_S9_S9_EESM_S12_SN_SO_SP_EUlS12_E_NS1_11comp_targetILNS1_3genE3ELNS1_11target_archE908ELNS1_3gpuE7ELNS1_3repE0EEENS1_48merge_mergepath_partition_config_static_selectorELNS0_4arch9wavefront6targetE0EEEvSO_,comdat
.Lfunc_end1129:
	.size	_ZN7rocprim17ROCPRIM_400000_NS6detail17trampoline_kernelINS0_14default_configENS1_38merge_sort_block_merge_config_selectorIlNS0_10empty_typeEEEZZNS1_27merge_sort_block_merge_implIS3_PlPS5_mZN2at6native12_GLOBAL__N_124unique_dim_cuda_templateIN3c108BFloat16EEESt5tupleIJNSA_6TensorESH_SH_EERKSH_lbbbEUlllE_EE10hipError_tT0_T1_T2_jT3_P12ihipStream_tbPNSt15iterator_traitsISN_E10value_typeEPNST_ISO_E10value_typeEPSP_NS1_7vsmem_tEENKUlT_SN_SO_SP_E_clIS8_S8_S9_S9_EESM_S12_SN_SO_SP_EUlS12_E_NS1_11comp_targetILNS1_3genE3ELNS1_11target_archE908ELNS1_3gpuE7ELNS1_3repE0EEENS1_48merge_mergepath_partition_config_static_selectorELNS0_4arch9wavefront6targetE0EEEvSO_, .Lfunc_end1129-_ZN7rocprim17ROCPRIM_400000_NS6detail17trampoline_kernelINS0_14default_configENS1_38merge_sort_block_merge_config_selectorIlNS0_10empty_typeEEEZZNS1_27merge_sort_block_merge_implIS3_PlPS5_mZN2at6native12_GLOBAL__N_124unique_dim_cuda_templateIN3c108BFloat16EEESt5tupleIJNSA_6TensorESH_SH_EERKSH_lbbbEUlllE_EE10hipError_tT0_T1_T2_jT3_P12ihipStream_tbPNSt15iterator_traitsISN_E10value_typeEPNST_ISO_E10value_typeEPSP_NS1_7vsmem_tEENKUlT_SN_SO_SP_E_clIS8_S8_S9_S9_EESM_S12_SN_SO_SP_EUlS12_E_NS1_11comp_targetILNS1_3genE3ELNS1_11target_archE908ELNS1_3gpuE7ELNS1_3repE0EEENS1_48merge_mergepath_partition_config_static_selectorELNS0_4arch9wavefront6targetE0EEEvSO_
                                        ; -- End function
	.set _ZN7rocprim17ROCPRIM_400000_NS6detail17trampoline_kernelINS0_14default_configENS1_38merge_sort_block_merge_config_selectorIlNS0_10empty_typeEEEZZNS1_27merge_sort_block_merge_implIS3_PlPS5_mZN2at6native12_GLOBAL__N_124unique_dim_cuda_templateIN3c108BFloat16EEESt5tupleIJNSA_6TensorESH_SH_EERKSH_lbbbEUlllE_EE10hipError_tT0_T1_T2_jT3_P12ihipStream_tbPNSt15iterator_traitsISN_E10value_typeEPNST_ISO_E10value_typeEPSP_NS1_7vsmem_tEENKUlT_SN_SO_SP_E_clIS8_S8_S9_S9_EESM_S12_SN_SO_SP_EUlS12_E_NS1_11comp_targetILNS1_3genE3ELNS1_11target_archE908ELNS1_3gpuE7ELNS1_3repE0EEENS1_48merge_mergepath_partition_config_static_selectorELNS0_4arch9wavefront6targetE0EEEvSO_.num_vgpr, 0
	.set _ZN7rocprim17ROCPRIM_400000_NS6detail17trampoline_kernelINS0_14default_configENS1_38merge_sort_block_merge_config_selectorIlNS0_10empty_typeEEEZZNS1_27merge_sort_block_merge_implIS3_PlPS5_mZN2at6native12_GLOBAL__N_124unique_dim_cuda_templateIN3c108BFloat16EEESt5tupleIJNSA_6TensorESH_SH_EERKSH_lbbbEUlllE_EE10hipError_tT0_T1_T2_jT3_P12ihipStream_tbPNSt15iterator_traitsISN_E10value_typeEPNST_ISO_E10value_typeEPSP_NS1_7vsmem_tEENKUlT_SN_SO_SP_E_clIS8_S8_S9_S9_EESM_S12_SN_SO_SP_EUlS12_E_NS1_11comp_targetILNS1_3genE3ELNS1_11target_archE908ELNS1_3gpuE7ELNS1_3repE0EEENS1_48merge_mergepath_partition_config_static_selectorELNS0_4arch9wavefront6targetE0EEEvSO_.num_agpr, 0
	.set _ZN7rocprim17ROCPRIM_400000_NS6detail17trampoline_kernelINS0_14default_configENS1_38merge_sort_block_merge_config_selectorIlNS0_10empty_typeEEEZZNS1_27merge_sort_block_merge_implIS3_PlPS5_mZN2at6native12_GLOBAL__N_124unique_dim_cuda_templateIN3c108BFloat16EEESt5tupleIJNSA_6TensorESH_SH_EERKSH_lbbbEUlllE_EE10hipError_tT0_T1_T2_jT3_P12ihipStream_tbPNSt15iterator_traitsISN_E10value_typeEPNST_ISO_E10value_typeEPSP_NS1_7vsmem_tEENKUlT_SN_SO_SP_E_clIS8_S8_S9_S9_EESM_S12_SN_SO_SP_EUlS12_E_NS1_11comp_targetILNS1_3genE3ELNS1_11target_archE908ELNS1_3gpuE7ELNS1_3repE0EEENS1_48merge_mergepath_partition_config_static_selectorELNS0_4arch9wavefront6targetE0EEEvSO_.numbered_sgpr, 0
	.set _ZN7rocprim17ROCPRIM_400000_NS6detail17trampoline_kernelINS0_14default_configENS1_38merge_sort_block_merge_config_selectorIlNS0_10empty_typeEEEZZNS1_27merge_sort_block_merge_implIS3_PlPS5_mZN2at6native12_GLOBAL__N_124unique_dim_cuda_templateIN3c108BFloat16EEESt5tupleIJNSA_6TensorESH_SH_EERKSH_lbbbEUlllE_EE10hipError_tT0_T1_T2_jT3_P12ihipStream_tbPNSt15iterator_traitsISN_E10value_typeEPNST_ISO_E10value_typeEPSP_NS1_7vsmem_tEENKUlT_SN_SO_SP_E_clIS8_S8_S9_S9_EESM_S12_SN_SO_SP_EUlS12_E_NS1_11comp_targetILNS1_3genE3ELNS1_11target_archE908ELNS1_3gpuE7ELNS1_3repE0EEENS1_48merge_mergepath_partition_config_static_selectorELNS0_4arch9wavefront6targetE0EEEvSO_.num_named_barrier, 0
	.set _ZN7rocprim17ROCPRIM_400000_NS6detail17trampoline_kernelINS0_14default_configENS1_38merge_sort_block_merge_config_selectorIlNS0_10empty_typeEEEZZNS1_27merge_sort_block_merge_implIS3_PlPS5_mZN2at6native12_GLOBAL__N_124unique_dim_cuda_templateIN3c108BFloat16EEESt5tupleIJNSA_6TensorESH_SH_EERKSH_lbbbEUlllE_EE10hipError_tT0_T1_T2_jT3_P12ihipStream_tbPNSt15iterator_traitsISN_E10value_typeEPNST_ISO_E10value_typeEPSP_NS1_7vsmem_tEENKUlT_SN_SO_SP_E_clIS8_S8_S9_S9_EESM_S12_SN_SO_SP_EUlS12_E_NS1_11comp_targetILNS1_3genE3ELNS1_11target_archE908ELNS1_3gpuE7ELNS1_3repE0EEENS1_48merge_mergepath_partition_config_static_selectorELNS0_4arch9wavefront6targetE0EEEvSO_.private_seg_size, 0
	.set _ZN7rocprim17ROCPRIM_400000_NS6detail17trampoline_kernelINS0_14default_configENS1_38merge_sort_block_merge_config_selectorIlNS0_10empty_typeEEEZZNS1_27merge_sort_block_merge_implIS3_PlPS5_mZN2at6native12_GLOBAL__N_124unique_dim_cuda_templateIN3c108BFloat16EEESt5tupleIJNSA_6TensorESH_SH_EERKSH_lbbbEUlllE_EE10hipError_tT0_T1_T2_jT3_P12ihipStream_tbPNSt15iterator_traitsISN_E10value_typeEPNST_ISO_E10value_typeEPSP_NS1_7vsmem_tEENKUlT_SN_SO_SP_E_clIS8_S8_S9_S9_EESM_S12_SN_SO_SP_EUlS12_E_NS1_11comp_targetILNS1_3genE3ELNS1_11target_archE908ELNS1_3gpuE7ELNS1_3repE0EEENS1_48merge_mergepath_partition_config_static_selectorELNS0_4arch9wavefront6targetE0EEEvSO_.uses_vcc, 0
	.set _ZN7rocprim17ROCPRIM_400000_NS6detail17trampoline_kernelINS0_14default_configENS1_38merge_sort_block_merge_config_selectorIlNS0_10empty_typeEEEZZNS1_27merge_sort_block_merge_implIS3_PlPS5_mZN2at6native12_GLOBAL__N_124unique_dim_cuda_templateIN3c108BFloat16EEESt5tupleIJNSA_6TensorESH_SH_EERKSH_lbbbEUlllE_EE10hipError_tT0_T1_T2_jT3_P12ihipStream_tbPNSt15iterator_traitsISN_E10value_typeEPNST_ISO_E10value_typeEPSP_NS1_7vsmem_tEENKUlT_SN_SO_SP_E_clIS8_S8_S9_S9_EESM_S12_SN_SO_SP_EUlS12_E_NS1_11comp_targetILNS1_3genE3ELNS1_11target_archE908ELNS1_3gpuE7ELNS1_3repE0EEENS1_48merge_mergepath_partition_config_static_selectorELNS0_4arch9wavefront6targetE0EEEvSO_.uses_flat_scratch, 0
	.set _ZN7rocprim17ROCPRIM_400000_NS6detail17trampoline_kernelINS0_14default_configENS1_38merge_sort_block_merge_config_selectorIlNS0_10empty_typeEEEZZNS1_27merge_sort_block_merge_implIS3_PlPS5_mZN2at6native12_GLOBAL__N_124unique_dim_cuda_templateIN3c108BFloat16EEESt5tupleIJNSA_6TensorESH_SH_EERKSH_lbbbEUlllE_EE10hipError_tT0_T1_T2_jT3_P12ihipStream_tbPNSt15iterator_traitsISN_E10value_typeEPNST_ISO_E10value_typeEPSP_NS1_7vsmem_tEENKUlT_SN_SO_SP_E_clIS8_S8_S9_S9_EESM_S12_SN_SO_SP_EUlS12_E_NS1_11comp_targetILNS1_3genE3ELNS1_11target_archE908ELNS1_3gpuE7ELNS1_3repE0EEENS1_48merge_mergepath_partition_config_static_selectorELNS0_4arch9wavefront6targetE0EEEvSO_.has_dyn_sized_stack, 0
	.set _ZN7rocprim17ROCPRIM_400000_NS6detail17trampoline_kernelINS0_14default_configENS1_38merge_sort_block_merge_config_selectorIlNS0_10empty_typeEEEZZNS1_27merge_sort_block_merge_implIS3_PlPS5_mZN2at6native12_GLOBAL__N_124unique_dim_cuda_templateIN3c108BFloat16EEESt5tupleIJNSA_6TensorESH_SH_EERKSH_lbbbEUlllE_EE10hipError_tT0_T1_T2_jT3_P12ihipStream_tbPNSt15iterator_traitsISN_E10value_typeEPNST_ISO_E10value_typeEPSP_NS1_7vsmem_tEENKUlT_SN_SO_SP_E_clIS8_S8_S9_S9_EESM_S12_SN_SO_SP_EUlS12_E_NS1_11comp_targetILNS1_3genE3ELNS1_11target_archE908ELNS1_3gpuE7ELNS1_3repE0EEENS1_48merge_mergepath_partition_config_static_selectorELNS0_4arch9wavefront6targetE0EEEvSO_.has_recursion, 0
	.set _ZN7rocprim17ROCPRIM_400000_NS6detail17trampoline_kernelINS0_14default_configENS1_38merge_sort_block_merge_config_selectorIlNS0_10empty_typeEEEZZNS1_27merge_sort_block_merge_implIS3_PlPS5_mZN2at6native12_GLOBAL__N_124unique_dim_cuda_templateIN3c108BFloat16EEESt5tupleIJNSA_6TensorESH_SH_EERKSH_lbbbEUlllE_EE10hipError_tT0_T1_T2_jT3_P12ihipStream_tbPNSt15iterator_traitsISN_E10value_typeEPNST_ISO_E10value_typeEPSP_NS1_7vsmem_tEENKUlT_SN_SO_SP_E_clIS8_S8_S9_S9_EESM_S12_SN_SO_SP_EUlS12_E_NS1_11comp_targetILNS1_3genE3ELNS1_11target_archE908ELNS1_3gpuE7ELNS1_3repE0EEENS1_48merge_mergepath_partition_config_static_selectorELNS0_4arch9wavefront6targetE0EEEvSO_.has_indirect_call, 0
	.section	.AMDGPU.csdata,"",@progbits
; Kernel info:
; codeLenInByte = 0
; TotalNumSgprs: 0
; NumVgprs: 0
; ScratchSize: 0
; MemoryBound: 0
; FloatMode: 240
; IeeeMode: 1
; LDSByteSize: 0 bytes/workgroup (compile time only)
; SGPRBlocks: 0
; VGPRBlocks: 0
; NumSGPRsForWavesPerEU: 1
; NumVGPRsForWavesPerEU: 1
; NamedBarCnt: 0
; Occupancy: 16
; WaveLimiterHint : 0
; COMPUTE_PGM_RSRC2:SCRATCH_EN: 0
; COMPUTE_PGM_RSRC2:USER_SGPR: 2
; COMPUTE_PGM_RSRC2:TRAP_HANDLER: 0
; COMPUTE_PGM_RSRC2:TGID_X_EN: 1
; COMPUTE_PGM_RSRC2:TGID_Y_EN: 0
; COMPUTE_PGM_RSRC2:TGID_Z_EN: 0
; COMPUTE_PGM_RSRC2:TIDIG_COMP_CNT: 0
	.section	.text._ZN7rocprim17ROCPRIM_400000_NS6detail17trampoline_kernelINS0_14default_configENS1_38merge_sort_block_merge_config_selectorIlNS0_10empty_typeEEEZZNS1_27merge_sort_block_merge_implIS3_PlPS5_mZN2at6native12_GLOBAL__N_124unique_dim_cuda_templateIN3c108BFloat16EEESt5tupleIJNSA_6TensorESH_SH_EERKSH_lbbbEUlllE_EE10hipError_tT0_T1_T2_jT3_P12ihipStream_tbPNSt15iterator_traitsISN_E10value_typeEPNST_ISO_E10value_typeEPSP_NS1_7vsmem_tEENKUlT_SN_SO_SP_E_clIS8_S8_S9_S9_EESM_S12_SN_SO_SP_EUlS12_E_NS1_11comp_targetILNS1_3genE2ELNS1_11target_archE906ELNS1_3gpuE6ELNS1_3repE0EEENS1_48merge_mergepath_partition_config_static_selectorELNS0_4arch9wavefront6targetE0EEEvSO_,"axG",@progbits,_ZN7rocprim17ROCPRIM_400000_NS6detail17trampoline_kernelINS0_14default_configENS1_38merge_sort_block_merge_config_selectorIlNS0_10empty_typeEEEZZNS1_27merge_sort_block_merge_implIS3_PlPS5_mZN2at6native12_GLOBAL__N_124unique_dim_cuda_templateIN3c108BFloat16EEESt5tupleIJNSA_6TensorESH_SH_EERKSH_lbbbEUlllE_EE10hipError_tT0_T1_T2_jT3_P12ihipStream_tbPNSt15iterator_traitsISN_E10value_typeEPNST_ISO_E10value_typeEPSP_NS1_7vsmem_tEENKUlT_SN_SO_SP_E_clIS8_S8_S9_S9_EESM_S12_SN_SO_SP_EUlS12_E_NS1_11comp_targetILNS1_3genE2ELNS1_11target_archE906ELNS1_3gpuE6ELNS1_3repE0EEENS1_48merge_mergepath_partition_config_static_selectorELNS0_4arch9wavefront6targetE0EEEvSO_,comdat
	.globl	_ZN7rocprim17ROCPRIM_400000_NS6detail17trampoline_kernelINS0_14default_configENS1_38merge_sort_block_merge_config_selectorIlNS0_10empty_typeEEEZZNS1_27merge_sort_block_merge_implIS3_PlPS5_mZN2at6native12_GLOBAL__N_124unique_dim_cuda_templateIN3c108BFloat16EEESt5tupleIJNSA_6TensorESH_SH_EERKSH_lbbbEUlllE_EE10hipError_tT0_T1_T2_jT3_P12ihipStream_tbPNSt15iterator_traitsISN_E10value_typeEPNST_ISO_E10value_typeEPSP_NS1_7vsmem_tEENKUlT_SN_SO_SP_E_clIS8_S8_S9_S9_EESM_S12_SN_SO_SP_EUlS12_E_NS1_11comp_targetILNS1_3genE2ELNS1_11target_archE906ELNS1_3gpuE6ELNS1_3repE0EEENS1_48merge_mergepath_partition_config_static_selectorELNS0_4arch9wavefront6targetE0EEEvSO_ ; -- Begin function _ZN7rocprim17ROCPRIM_400000_NS6detail17trampoline_kernelINS0_14default_configENS1_38merge_sort_block_merge_config_selectorIlNS0_10empty_typeEEEZZNS1_27merge_sort_block_merge_implIS3_PlPS5_mZN2at6native12_GLOBAL__N_124unique_dim_cuda_templateIN3c108BFloat16EEESt5tupleIJNSA_6TensorESH_SH_EERKSH_lbbbEUlllE_EE10hipError_tT0_T1_T2_jT3_P12ihipStream_tbPNSt15iterator_traitsISN_E10value_typeEPNST_ISO_E10value_typeEPSP_NS1_7vsmem_tEENKUlT_SN_SO_SP_E_clIS8_S8_S9_S9_EESM_S12_SN_SO_SP_EUlS12_E_NS1_11comp_targetILNS1_3genE2ELNS1_11target_archE906ELNS1_3gpuE6ELNS1_3repE0EEENS1_48merge_mergepath_partition_config_static_selectorELNS0_4arch9wavefront6targetE0EEEvSO_
	.p2align	8
	.type	_ZN7rocprim17ROCPRIM_400000_NS6detail17trampoline_kernelINS0_14default_configENS1_38merge_sort_block_merge_config_selectorIlNS0_10empty_typeEEEZZNS1_27merge_sort_block_merge_implIS3_PlPS5_mZN2at6native12_GLOBAL__N_124unique_dim_cuda_templateIN3c108BFloat16EEESt5tupleIJNSA_6TensorESH_SH_EERKSH_lbbbEUlllE_EE10hipError_tT0_T1_T2_jT3_P12ihipStream_tbPNSt15iterator_traitsISN_E10value_typeEPNST_ISO_E10value_typeEPSP_NS1_7vsmem_tEENKUlT_SN_SO_SP_E_clIS8_S8_S9_S9_EESM_S12_SN_SO_SP_EUlS12_E_NS1_11comp_targetILNS1_3genE2ELNS1_11target_archE906ELNS1_3gpuE6ELNS1_3repE0EEENS1_48merge_mergepath_partition_config_static_selectorELNS0_4arch9wavefront6targetE0EEEvSO_,@function
_ZN7rocprim17ROCPRIM_400000_NS6detail17trampoline_kernelINS0_14default_configENS1_38merge_sort_block_merge_config_selectorIlNS0_10empty_typeEEEZZNS1_27merge_sort_block_merge_implIS3_PlPS5_mZN2at6native12_GLOBAL__N_124unique_dim_cuda_templateIN3c108BFloat16EEESt5tupleIJNSA_6TensorESH_SH_EERKSH_lbbbEUlllE_EE10hipError_tT0_T1_T2_jT3_P12ihipStream_tbPNSt15iterator_traitsISN_E10value_typeEPNST_ISO_E10value_typeEPSP_NS1_7vsmem_tEENKUlT_SN_SO_SP_E_clIS8_S8_S9_S9_EESM_S12_SN_SO_SP_EUlS12_E_NS1_11comp_targetILNS1_3genE2ELNS1_11target_archE906ELNS1_3gpuE6ELNS1_3repE0EEENS1_48merge_mergepath_partition_config_static_selectorELNS0_4arch9wavefront6targetE0EEEvSO_: ; @_ZN7rocprim17ROCPRIM_400000_NS6detail17trampoline_kernelINS0_14default_configENS1_38merge_sort_block_merge_config_selectorIlNS0_10empty_typeEEEZZNS1_27merge_sort_block_merge_implIS3_PlPS5_mZN2at6native12_GLOBAL__N_124unique_dim_cuda_templateIN3c108BFloat16EEESt5tupleIJNSA_6TensorESH_SH_EERKSH_lbbbEUlllE_EE10hipError_tT0_T1_T2_jT3_P12ihipStream_tbPNSt15iterator_traitsISN_E10value_typeEPNST_ISO_E10value_typeEPSP_NS1_7vsmem_tEENKUlT_SN_SO_SP_E_clIS8_S8_S9_S9_EESM_S12_SN_SO_SP_EUlS12_E_NS1_11comp_targetILNS1_3genE2ELNS1_11target_archE906ELNS1_3gpuE6ELNS1_3repE0EEENS1_48merge_mergepath_partition_config_static_selectorELNS0_4arch9wavefront6targetE0EEEvSO_
; %bb.0:
	.section	.rodata,"a",@progbits
	.p2align	6, 0x0
	.amdhsa_kernel _ZN7rocprim17ROCPRIM_400000_NS6detail17trampoline_kernelINS0_14default_configENS1_38merge_sort_block_merge_config_selectorIlNS0_10empty_typeEEEZZNS1_27merge_sort_block_merge_implIS3_PlPS5_mZN2at6native12_GLOBAL__N_124unique_dim_cuda_templateIN3c108BFloat16EEESt5tupleIJNSA_6TensorESH_SH_EERKSH_lbbbEUlllE_EE10hipError_tT0_T1_T2_jT3_P12ihipStream_tbPNSt15iterator_traitsISN_E10value_typeEPNST_ISO_E10value_typeEPSP_NS1_7vsmem_tEENKUlT_SN_SO_SP_E_clIS8_S8_S9_S9_EESM_S12_SN_SO_SP_EUlS12_E_NS1_11comp_targetILNS1_3genE2ELNS1_11target_archE906ELNS1_3gpuE6ELNS1_3repE0EEENS1_48merge_mergepath_partition_config_static_selectorELNS0_4arch9wavefront6targetE0EEEvSO_
		.amdhsa_group_segment_fixed_size 0
		.amdhsa_private_segment_fixed_size 0
		.amdhsa_kernarg_size 56
		.amdhsa_user_sgpr_count 2
		.amdhsa_user_sgpr_dispatch_ptr 0
		.amdhsa_user_sgpr_queue_ptr 0
		.amdhsa_user_sgpr_kernarg_segment_ptr 1
		.amdhsa_user_sgpr_dispatch_id 0
		.amdhsa_user_sgpr_kernarg_preload_length 0
		.amdhsa_user_sgpr_kernarg_preload_offset 0
		.amdhsa_user_sgpr_private_segment_size 0
		.amdhsa_wavefront_size32 1
		.amdhsa_uses_dynamic_stack 0
		.amdhsa_enable_private_segment 0
		.amdhsa_system_sgpr_workgroup_id_x 1
		.amdhsa_system_sgpr_workgroup_id_y 0
		.amdhsa_system_sgpr_workgroup_id_z 0
		.amdhsa_system_sgpr_workgroup_info 0
		.amdhsa_system_vgpr_workitem_id 0
		.amdhsa_next_free_vgpr 1
		.amdhsa_next_free_sgpr 1
		.amdhsa_named_barrier_count 0
		.amdhsa_reserve_vcc 0
		.amdhsa_float_round_mode_32 0
		.amdhsa_float_round_mode_16_64 0
		.amdhsa_float_denorm_mode_32 3
		.amdhsa_float_denorm_mode_16_64 3
		.amdhsa_fp16_overflow 0
		.amdhsa_memory_ordered 1
		.amdhsa_forward_progress 1
		.amdhsa_inst_pref_size 0
		.amdhsa_round_robin_scheduling 0
		.amdhsa_exception_fp_ieee_invalid_op 0
		.amdhsa_exception_fp_denorm_src 0
		.amdhsa_exception_fp_ieee_div_zero 0
		.amdhsa_exception_fp_ieee_overflow 0
		.amdhsa_exception_fp_ieee_underflow 0
		.amdhsa_exception_fp_ieee_inexact 0
		.amdhsa_exception_int_div_zero 0
	.end_amdhsa_kernel
	.section	.text._ZN7rocprim17ROCPRIM_400000_NS6detail17trampoline_kernelINS0_14default_configENS1_38merge_sort_block_merge_config_selectorIlNS0_10empty_typeEEEZZNS1_27merge_sort_block_merge_implIS3_PlPS5_mZN2at6native12_GLOBAL__N_124unique_dim_cuda_templateIN3c108BFloat16EEESt5tupleIJNSA_6TensorESH_SH_EERKSH_lbbbEUlllE_EE10hipError_tT0_T1_T2_jT3_P12ihipStream_tbPNSt15iterator_traitsISN_E10value_typeEPNST_ISO_E10value_typeEPSP_NS1_7vsmem_tEENKUlT_SN_SO_SP_E_clIS8_S8_S9_S9_EESM_S12_SN_SO_SP_EUlS12_E_NS1_11comp_targetILNS1_3genE2ELNS1_11target_archE906ELNS1_3gpuE6ELNS1_3repE0EEENS1_48merge_mergepath_partition_config_static_selectorELNS0_4arch9wavefront6targetE0EEEvSO_,"axG",@progbits,_ZN7rocprim17ROCPRIM_400000_NS6detail17trampoline_kernelINS0_14default_configENS1_38merge_sort_block_merge_config_selectorIlNS0_10empty_typeEEEZZNS1_27merge_sort_block_merge_implIS3_PlPS5_mZN2at6native12_GLOBAL__N_124unique_dim_cuda_templateIN3c108BFloat16EEESt5tupleIJNSA_6TensorESH_SH_EERKSH_lbbbEUlllE_EE10hipError_tT0_T1_T2_jT3_P12ihipStream_tbPNSt15iterator_traitsISN_E10value_typeEPNST_ISO_E10value_typeEPSP_NS1_7vsmem_tEENKUlT_SN_SO_SP_E_clIS8_S8_S9_S9_EESM_S12_SN_SO_SP_EUlS12_E_NS1_11comp_targetILNS1_3genE2ELNS1_11target_archE906ELNS1_3gpuE6ELNS1_3repE0EEENS1_48merge_mergepath_partition_config_static_selectorELNS0_4arch9wavefront6targetE0EEEvSO_,comdat
.Lfunc_end1130:
	.size	_ZN7rocprim17ROCPRIM_400000_NS6detail17trampoline_kernelINS0_14default_configENS1_38merge_sort_block_merge_config_selectorIlNS0_10empty_typeEEEZZNS1_27merge_sort_block_merge_implIS3_PlPS5_mZN2at6native12_GLOBAL__N_124unique_dim_cuda_templateIN3c108BFloat16EEESt5tupleIJNSA_6TensorESH_SH_EERKSH_lbbbEUlllE_EE10hipError_tT0_T1_T2_jT3_P12ihipStream_tbPNSt15iterator_traitsISN_E10value_typeEPNST_ISO_E10value_typeEPSP_NS1_7vsmem_tEENKUlT_SN_SO_SP_E_clIS8_S8_S9_S9_EESM_S12_SN_SO_SP_EUlS12_E_NS1_11comp_targetILNS1_3genE2ELNS1_11target_archE906ELNS1_3gpuE6ELNS1_3repE0EEENS1_48merge_mergepath_partition_config_static_selectorELNS0_4arch9wavefront6targetE0EEEvSO_, .Lfunc_end1130-_ZN7rocprim17ROCPRIM_400000_NS6detail17trampoline_kernelINS0_14default_configENS1_38merge_sort_block_merge_config_selectorIlNS0_10empty_typeEEEZZNS1_27merge_sort_block_merge_implIS3_PlPS5_mZN2at6native12_GLOBAL__N_124unique_dim_cuda_templateIN3c108BFloat16EEESt5tupleIJNSA_6TensorESH_SH_EERKSH_lbbbEUlllE_EE10hipError_tT0_T1_T2_jT3_P12ihipStream_tbPNSt15iterator_traitsISN_E10value_typeEPNST_ISO_E10value_typeEPSP_NS1_7vsmem_tEENKUlT_SN_SO_SP_E_clIS8_S8_S9_S9_EESM_S12_SN_SO_SP_EUlS12_E_NS1_11comp_targetILNS1_3genE2ELNS1_11target_archE906ELNS1_3gpuE6ELNS1_3repE0EEENS1_48merge_mergepath_partition_config_static_selectorELNS0_4arch9wavefront6targetE0EEEvSO_
                                        ; -- End function
	.set _ZN7rocprim17ROCPRIM_400000_NS6detail17trampoline_kernelINS0_14default_configENS1_38merge_sort_block_merge_config_selectorIlNS0_10empty_typeEEEZZNS1_27merge_sort_block_merge_implIS3_PlPS5_mZN2at6native12_GLOBAL__N_124unique_dim_cuda_templateIN3c108BFloat16EEESt5tupleIJNSA_6TensorESH_SH_EERKSH_lbbbEUlllE_EE10hipError_tT0_T1_T2_jT3_P12ihipStream_tbPNSt15iterator_traitsISN_E10value_typeEPNST_ISO_E10value_typeEPSP_NS1_7vsmem_tEENKUlT_SN_SO_SP_E_clIS8_S8_S9_S9_EESM_S12_SN_SO_SP_EUlS12_E_NS1_11comp_targetILNS1_3genE2ELNS1_11target_archE906ELNS1_3gpuE6ELNS1_3repE0EEENS1_48merge_mergepath_partition_config_static_selectorELNS0_4arch9wavefront6targetE0EEEvSO_.num_vgpr, 0
	.set _ZN7rocprim17ROCPRIM_400000_NS6detail17trampoline_kernelINS0_14default_configENS1_38merge_sort_block_merge_config_selectorIlNS0_10empty_typeEEEZZNS1_27merge_sort_block_merge_implIS3_PlPS5_mZN2at6native12_GLOBAL__N_124unique_dim_cuda_templateIN3c108BFloat16EEESt5tupleIJNSA_6TensorESH_SH_EERKSH_lbbbEUlllE_EE10hipError_tT0_T1_T2_jT3_P12ihipStream_tbPNSt15iterator_traitsISN_E10value_typeEPNST_ISO_E10value_typeEPSP_NS1_7vsmem_tEENKUlT_SN_SO_SP_E_clIS8_S8_S9_S9_EESM_S12_SN_SO_SP_EUlS12_E_NS1_11comp_targetILNS1_3genE2ELNS1_11target_archE906ELNS1_3gpuE6ELNS1_3repE0EEENS1_48merge_mergepath_partition_config_static_selectorELNS0_4arch9wavefront6targetE0EEEvSO_.num_agpr, 0
	.set _ZN7rocprim17ROCPRIM_400000_NS6detail17trampoline_kernelINS0_14default_configENS1_38merge_sort_block_merge_config_selectorIlNS0_10empty_typeEEEZZNS1_27merge_sort_block_merge_implIS3_PlPS5_mZN2at6native12_GLOBAL__N_124unique_dim_cuda_templateIN3c108BFloat16EEESt5tupleIJNSA_6TensorESH_SH_EERKSH_lbbbEUlllE_EE10hipError_tT0_T1_T2_jT3_P12ihipStream_tbPNSt15iterator_traitsISN_E10value_typeEPNST_ISO_E10value_typeEPSP_NS1_7vsmem_tEENKUlT_SN_SO_SP_E_clIS8_S8_S9_S9_EESM_S12_SN_SO_SP_EUlS12_E_NS1_11comp_targetILNS1_3genE2ELNS1_11target_archE906ELNS1_3gpuE6ELNS1_3repE0EEENS1_48merge_mergepath_partition_config_static_selectorELNS0_4arch9wavefront6targetE0EEEvSO_.numbered_sgpr, 0
	.set _ZN7rocprim17ROCPRIM_400000_NS6detail17trampoline_kernelINS0_14default_configENS1_38merge_sort_block_merge_config_selectorIlNS0_10empty_typeEEEZZNS1_27merge_sort_block_merge_implIS3_PlPS5_mZN2at6native12_GLOBAL__N_124unique_dim_cuda_templateIN3c108BFloat16EEESt5tupleIJNSA_6TensorESH_SH_EERKSH_lbbbEUlllE_EE10hipError_tT0_T1_T2_jT3_P12ihipStream_tbPNSt15iterator_traitsISN_E10value_typeEPNST_ISO_E10value_typeEPSP_NS1_7vsmem_tEENKUlT_SN_SO_SP_E_clIS8_S8_S9_S9_EESM_S12_SN_SO_SP_EUlS12_E_NS1_11comp_targetILNS1_3genE2ELNS1_11target_archE906ELNS1_3gpuE6ELNS1_3repE0EEENS1_48merge_mergepath_partition_config_static_selectorELNS0_4arch9wavefront6targetE0EEEvSO_.num_named_barrier, 0
	.set _ZN7rocprim17ROCPRIM_400000_NS6detail17trampoline_kernelINS0_14default_configENS1_38merge_sort_block_merge_config_selectorIlNS0_10empty_typeEEEZZNS1_27merge_sort_block_merge_implIS3_PlPS5_mZN2at6native12_GLOBAL__N_124unique_dim_cuda_templateIN3c108BFloat16EEESt5tupleIJNSA_6TensorESH_SH_EERKSH_lbbbEUlllE_EE10hipError_tT0_T1_T2_jT3_P12ihipStream_tbPNSt15iterator_traitsISN_E10value_typeEPNST_ISO_E10value_typeEPSP_NS1_7vsmem_tEENKUlT_SN_SO_SP_E_clIS8_S8_S9_S9_EESM_S12_SN_SO_SP_EUlS12_E_NS1_11comp_targetILNS1_3genE2ELNS1_11target_archE906ELNS1_3gpuE6ELNS1_3repE0EEENS1_48merge_mergepath_partition_config_static_selectorELNS0_4arch9wavefront6targetE0EEEvSO_.private_seg_size, 0
	.set _ZN7rocprim17ROCPRIM_400000_NS6detail17trampoline_kernelINS0_14default_configENS1_38merge_sort_block_merge_config_selectorIlNS0_10empty_typeEEEZZNS1_27merge_sort_block_merge_implIS3_PlPS5_mZN2at6native12_GLOBAL__N_124unique_dim_cuda_templateIN3c108BFloat16EEESt5tupleIJNSA_6TensorESH_SH_EERKSH_lbbbEUlllE_EE10hipError_tT0_T1_T2_jT3_P12ihipStream_tbPNSt15iterator_traitsISN_E10value_typeEPNST_ISO_E10value_typeEPSP_NS1_7vsmem_tEENKUlT_SN_SO_SP_E_clIS8_S8_S9_S9_EESM_S12_SN_SO_SP_EUlS12_E_NS1_11comp_targetILNS1_3genE2ELNS1_11target_archE906ELNS1_3gpuE6ELNS1_3repE0EEENS1_48merge_mergepath_partition_config_static_selectorELNS0_4arch9wavefront6targetE0EEEvSO_.uses_vcc, 0
	.set _ZN7rocprim17ROCPRIM_400000_NS6detail17trampoline_kernelINS0_14default_configENS1_38merge_sort_block_merge_config_selectorIlNS0_10empty_typeEEEZZNS1_27merge_sort_block_merge_implIS3_PlPS5_mZN2at6native12_GLOBAL__N_124unique_dim_cuda_templateIN3c108BFloat16EEESt5tupleIJNSA_6TensorESH_SH_EERKSH_lbbbEUlllE_EE10hipError_tT0_T1_T2_jT3_P12ihipStream_tbPNSt15iterator_traitsISN_E10value_typeEPNST_ISO_E10value_typeEPSP_NS1_7vsmem_tEENKUlT_SN_SO_SP_E_clIS8_S8_S9_S9_EESM_S12_SN_SO_SP_EUlS12_E_NS1_11comp_targetILNS1_3genE2ELNS1_11target_archE906ELNS1_3gpuE6ELNS1_3repE0EEENS1_48merge_mergepath_partition_config_static_selectorELNS0_4arch9wavefront6targetE0EEEvSO_.uses_flat_scratch, 0
	.set _ZN7rocprim17ROCPRIM_400000_NS6detail17trampoline_kernelINS0_14default_configENS1_38merge_sort_block_merge_config_selectorIlNS0_10empty_typeEEEZZNS1_27merge_sort_block_merge_implIS3_PlPS5_mZN2at6native12_GLOBAL__N_124unique_dim_cuda_templateIN3c108BFloat16EEESt5tupleIJNSA_6TensorESH_SH_EERKSH_lbbbEUlllE_EE10hipError_tT0_T1_T2_jT3_P12ihipStream_tbPNSt15iterator_traitsISN_E10value_typeEPNST_ISO_E10value_typeEPSP_NS1_7vsmem_tEENKUlT_SN_SO_SP_E_clIS8_S8_S9_S9_EESM_S12_SN_SO_SP_EUlS12_E_NS1_11comp_targetILNS1_3genE2ELNS1_11target_archE906ELNS1_3gpuE6ELNS1_3repE0EEENS1_48merge_mergepath_partition_config_static_selectorELNS0_4arch9wavefront6targetE0EEEvSO_.has_dyn_sized_stack, 0
	.set _ZN7rocprim17ROCPRIM_400000_NS6detail17trampoline_kernelINS0_14default_configENS1_38merge_sort_block_merge_config_selectorIlNS0_10empty_typeEEEZZNS1_27merge_sort_block_merge_implIS3_PlPS5_mZN2at6native12_GLOBAL__N_124unique_dim_cuda_templateIN3c108BFloat16EEESt5tupleIJNSA_6TensorESH_SH_EERKSH_lbbbEUlllE_EE10hipError_tT0_T1_T2_jT3_P12ihipStream_tbPNSt15iterator_traitsISN_E10value_typeEPNST_ISO_E10value_typeEPSP_NS1_7vsmem_tEENKUlT_SN_SO_SP_E_clIS8_S8_S9_S9_EESM_S12_SN_SO_SP_EUlS12_E_NS1_11comp_targetILNS1_3genE2ELNS1_11target_archE906ELNS1_3gpuE6ELNS1_3repE0EEENS1_48merge_mergepath_partition_config_static_selectorELNS0_4arch9wavefront6targetE0EEEvSO_.has_recursion, 0
	.set _ZN7rocprim17ROCPRIM_400000_NS6detail17trampoline_kernelINS0_14default_configENS1_38merge_sort_block_merge_config_selectorIlNS0_10empty_typeEEEZZNS1_27merge_sort_block_merge_implIS3_PlPS5_mZN2at6native12_GLOBAL__N_124unique_dim_cuda_templateIN3c108BFloat16EEESt5tupleIJNSA_6TensorESH_SH_EERKSH_lbbbEUlllE_EE10hipError_tT0_T1_T2_jT3_P12ihipStream_tbPNSt15iterator_traitsISN_E10value_typeEPNST_ISO_E10value_typeEPSP_NS1_7vsmem_tEENKUlT_SN_SO_SP_E_clIS8_S8_S9_S9_EESM_S12_SN_SO_SP_EUlS12_E_NS1_11comp_targetILNS1_3genE2ELNS1_11target_archE906ELNS1_3gpuE6ELNS1_3repE0EEENS1_48merge_mergepath_partition_config_static_selectorELNS0_4arch9wavefront6targetE0EEEvSO_.has_indirect_call, 0
	.section	.AMDGPU.csdata,"",@progbits
; Kernel info:
; codeLenInByte = 0
; TotalNumSgprs: 0
; NumVgprs: 0
; ScratchSize: 0
; MemoryBound: 0
; FloatMode: 240
; IeeeMode: 1
; LDSByteSize: 0 bytes/workgroup (compile time only)
; SGPRBlocks: 0
; VGPRBlocks: 0
; NumSGPRsForWavesPerEU: 1
; NumVGPRsForWavesPerEU: 1
; NamedBarCnt: 0
; Occupancy: 16
; WaveLimiterHint : 0
; COMPUTE_PGM_RSRC2:SCRATCH_EN: 0
; COMPUTE_PGM_RSRC2:USER_SGPR: 2
; COMPUTE_PGM_RSRC2:TRAP_HANDLER: 0
; COMPUTE_PGM_RSRC2:TGID_X_EN: 1
; COMPUTE_PGM_RSRC2:TGID_Y_EN: 0
; COMPUTE_PGM_RSRC2:TGID_Z_EN: 0
; COMPUTE_PGM_RSRC2:TIDIG_COMP_CNT: 0
	.section	.text._ZN7rocprim17ROCPRIM_400000_NS6detail17trampoline_kernelINS0_14default_configENS1_38merge_sort_block_merge_config_selectorIlNS0_10empty_typeEEEZZNS1_27merge_sort_block_merge_implIS3_PlPS5_mZN2at6native12_GLOBAL__N_124unique_dim_cuda_templateIN3c108BFloat16EEESt5tupleIJNSA_6TensorESH_SH_EERKSH_lbbbEUlllE_EE10hipError_tT0_T1_T2_jT3_P12ihipStream_tbPNSt15iterator_traitsISN_E10value_typeEPNST_ISO_E10value_typeEPSP_NS1_7vsmem_tEENKUlT_SN_SO_SP_E_clIS8_S8_S9_S9_EESM_S12_SN_SO_SP_EUlS12_E_NS1_11comp_targetILNS1_3genE9ELNS1_11target_archE1100ELNS1_3gpuE3ELNS1_3repE0EEENS1_48merge_mergepath_partition_config_static_selectorELNS0_4arch9wavefront6targetE0EEEvSO_,"axG",@progbits,_ZN7rocprim17ROCPRIM_400000_NS6detail17trampoline_kernelINS0_14default_configENS1_38merge_sort_block_merge_config_selectorIlNS0_10empty_typeEEEZZNS1_27merge_sort_block_merge_implIS3_PlPS5_mZN2at6native12_GLOBAL__N_124unique_dim_cuda_templateIN3c108BFloat16EEESt5tupleIJNSA_6TensorESH_SH_EERKSH_lbbbEUlllE_EE10hipError_tT0_T1_T2_jT3_P12ihipStream_tbPNSt15iterator_traitsISN_E10value_typeEPNST_ISO_E10value_typeEPSP_NS1_7vsmem_tEENKUlT_SN_SO_SP_E_clIS8_S8_S9_S9_EESM_S12_SN_SO_SP_EUlS12_E_NS1_11comp_targetILNS1_3genE9ELNS1_11target_archE1100ELNS1_3gpuE3ELNS1_3repE0EEENS1_48merge_mergepath_partition_config_static_selectorELNS0_4arch9wavefront6targetE0EEEvSO_,comdat
	.globl	_ZN7rocprim17ROCPRIM_400000_NS6detail17trampoline_kernelINS0_14default_configENS1_38merge_sort_block_merge_config_selectorIlNS0_10empty_typeEEEZZNS1_27merge_sort_block_merge_implIS3_PlPS5_mZN2at6native12_GLOBAL__N_124unique_dim_cuda_templateIN3c108BFloat16EEESt5tupleIJNSA_6TensorESH_SH_EERKSH_lbbbEUlllE_EE10hipError_tT0_T1_T2_jT3_P12ihipStream_tbPNSt15iterator_traitsISN_E10value_typeEPNST_ISO_E10value_typeEPSP_NS1_7vsmem_tEENKUlT_SN_SO_SP_E_clIS8_S8_S9_S9_EESM_S12_SN_SO_SP_EUlS12_E_NS1_11comp_targetILNS1_3genE9ELNS1_11target_archE1100ELNS1_3gpuE3ELNS1_3repE0EEENS1_48merge_mergepath_partition_config_static_selectorELNS0_4arch9wavefront6targetE0EEEvSO_ ; -- Begin function _ZN7rocprim17ROCPRIM_400000_NS6detail17trampoline_kernelINS0_14default_configENS1_38merge_sort_block_merge_config_selectorIlNS0_10empty_typeEEEZZNS1_27merge_sort_block_merge_implIS3_PlPS5_mZN2at6native12_GLOBAL__N_124unique_dim_cuda_templateIN3c108BFloat16EEESt5tupleIJNSA_6TensorESH_SH_EERKSH_lbbbEUlllE_EE10hipError_tT0_T1_T2_jT3_P12ihipStream_tbPNSt15iterator_traitsISN_E10value_typeEPNST_ISO_E10value_typeEPSP_NS1_7vsmem_tEENKUlT_SN_SO_SP_E_clIS8_S8_S9_S9_EESM_S12_SN_SO_SP_EUlS12_E_NS1_11comp_targetILNS1_3genE9ELNS1_11target_archE1100ELNS1_3gpuE3ELNS1_3repE0EEENS1_48merge_mergepath_partition_config_static_selectorELNS0_4arch9wavefront6targetE0EEEvSO_
	.p2align	8
	.type	_ZN7rocprim17ROCPRIM_400000_NS6detail17trampoline_kernelINS0_14default_configENS1_38merge_sort_block_merge_config_selectorIlNS0_10empty_typeEEEZZNS1_27merge_sort_block_merge_implIS3_PlPS5_mZN2at6native12_GLOBAL__N_124unique_dim_cuda_templateIN3c108BFloat16EEESt5tupleIJNSA_6TensorESH_SH_EERKSH_lbbbEUlllE_EE10hipError_tT0_T1_T2_jT3_P12ihipStream_tbPNSt15iterator_traitsISN_E10value_typeEPNST_ISO_E10value_typeEPSP_NS1_7vsmem_tEENKUlT_SN_SO_SP_E_clIS8_S8_S9_S9_EESM_S12_SN_SO_SP_EUlS12_E_NS1_11comp_targetILNS1_3genE9ELNS1_11target_archE1100ELNS1_3gpuE3ELNS1_3repE0EEENS1_48merge_mergepath_partition_config_static_selectorELNS0_4arch9wavefront6targetE0EEEvSO_,@function
_ZN7rocprim17ROCPRIM_400000_NS6detail17trampoline_kernelINS0_14default_configENS1_38merge_sort_block_merge_config_selectorIlNS0_10empty_typeEEEZZNS1_27merge_sort_block_merge_implIS3_PlPS5_mZN2at6native12_GLOBAL__N_124unique_dim_cuda_templateIN3c108BFloat16EEESt5tupleIJNSA_6TensorESH_SH_EERKSH_lbbbEUlllE_EE10hipError_tT0_T1_T2_jT3_P12ihipStream_tbPNSt15iterator_traitsISN_E10value_typeEPNST_ISO_E10value_typeEPSP_NS1_7vsmem_tEENKUlT_SN_SO_SP_E_clIS8_S8_S9_S9_EESM_S12_SN_SO_SP_EUlS12_E_NS1_11comp_targetILNS1_3genE9ELNS1_11target_archE1100ELNS1_3gpuE3ELNS1_3repE0EEENS1_48merge_mergepath_partition_config_static_selectorELNS0_4arch9wavefront6targetE0EEEvSO_: ; @_ZN7rocprim17ROCPRIM_400000_NS6detail17trampoline_kernelINS0_14default_configENS1_38merge_sort_block_merge_config_selectorIlNS0_10empty_typeEEEZZNS1_27merge_sort_block_merge_implIS3_PlPS5_mZN2at6native12_GLOBAL__N_124unique_dim_cuda_templateIN3c108BFloat16EEESt5tupleIJNSA_6TensorESH_SH_EERKSH_lbbbEUlllE_EE10hipError_tT0_T1_T2_jT3_P12ihipStream_tbPNSt15iterator_traitsISN_E10value_typeEPNST_ISO_E10value_typeEPSP_NS1_7vsmem_tEENKUlT_SN_SO_SP_E_clIS8_S8_S9_S9_EESM_S12_SN_SO_SP_EUlS12_E_NS1_11comp_targetILNS1_3genE9ELNS1_11target_archE1100ELNS1_3gpuE3ELNS1_3repE0EEENS1_48merge_mergepath_partition_config_static_selectorELNS0_4arch9wavefront6targetE0EEEvSO_
; %bb.0:
	.section	.rodata,"a",@progbits
	.p2align	6, 0x0
	.amdhsa_kernel _ZN7rocprim17ROCPRIM_400000_NS6detail17trampoline_kernelINS0_14default_configENS1_38merge_sort_block_merge_config_selectorIlNS0_10empty_typeEEEZZNS1_27merge_sort_block_merge_implIS3_PlPS5_mZN2at6native12_GLOBAL__N_124unique_dim_cuda_templateIN3c108BFloat16EEESt5tupleIJNSA_6TensorESH_SH_EERKSH_lbbbEUlllE_EE10hipError_tT0_T1_T2_jT3_P12ihipStream_tbPNSt15iterator_traitsISN_E10value_typeEPNST_ISO_E10value_typeEPSP_NS1_7vsmem_tEENKUlT_SN_SO_SP_E_clIS8_S8_S9_S9_EESM_S12_SN_SO_SP_EUlS12_E_NS1_11comp_targetILNS1_3genE9ELNS1_11target_archE1100ELNS1_3gpuE3ELNS1_3repE0EEENS1_48merge_mergepath_partition_config_static_selectorELNS0_4arch9wavefront6targetE0EEEvSO_
		.amdhsa_group_segment_fixed_size 0
		.amdhsa_private_segment_fixed_size 0
		.amdhsa_kernarg_size 56
		.amdhsa_user_sgpr_count 2
		.amdhsa_user_sgpr_dispatch_ptr 0
		.amdhsa_user_sgpr_queue_ptr 0
		.amdhsa_user_sgpr_kernarg_segment_ptr 1
		.amdhsa_user_sgpr_dispatch_id 0
		.amdhsa_user_sgpr_kernarg_preload_length 0
		.amdhsa_user_sgpr_kernarg_preload_offset 0
		.amdhsa_user_sgpr_private_segment_size 0
		.amdhsa_wavefront_size32 1
		.amdhsa_uses_dynamic_stack 0
		.amdhsa_enable_private_segment 0
		.amdhsa_system_sgpr_workgroup_id_x 1
		.amdhsa_system_sgpr_workgroup_id_y 0
		.amdhsa_system_sgpr_workgroup_id_z 0
		.amdhsa_system_sgpr_workgroup_info 0
		.amdhsa_system_vgpr_workitem_id 0
		.amdhsa_next_free_vgpr 1
		.amdhsa_next_free_sgpr 1
		.amdhsa_named_barrier_count 0
		.amdhsa_reserve_vcc 0
		.amdhsa_float_round_mode_32 0
		.amdhsa_float_round_mode_16_64 0
		.amdhsa_float_denorm_mode_32 3
		.amdhsa_float_denorm_mode_16_64 3
		.amdhsa_fp16_overflow 0
		.amdhsa_memory_ordered 1
		.amdhsa_forward_progress 1
		.amdhsa_inst_pref_size 0
		.amdhsa_round_robin_scheduling 0
		.amdhsa_exception_fp_ieee_invalid_op 0
		.amdhsa_exception_fp_denorm_src 0
		.amdhsa_exception_fp_ieee_div_zero 0
		.amdhsa_exception_fp_ieee_overflow 0
		.amdhsa_exception_fp_ieee_underflow 0
		.amdhsa_exception_fp_ieee_inexact 0
		.amdhsa_exception_int_div_zero 0
	.end_amdhsa_kernel
	.section	.text._ZN7rocprim17ROCPRIM_400000_NS6detail17trampoline_kernelINS0_14default_configENS1_38merge_sort_block_merge_config_selectorIlNS0_10empty_typeEEEZZNS1_27merge_sort_block_merge_implIS3_PlPS5_mZN2at6native12_GLOBAL__N_124unique_dim_cuda_templateIN3c108BFloat16EEESt5tupleIJNSA_6TensorESH_SH_EERKSH_lbbbEUlllE_EE10hipError_tT0_T1_T2_jT3_P12ihipStream_tbPNSt15iterator_traitsISN_E10value_typeEPNST_ISO_E10value_typeEPSP_NS1_7vsmem_tEENKUlT_SN_SO_SP_E_clIS8_S8_S9_S9_EESM_S12_SN_SO_SP_EUlS12_E_NS1_11comp_targetILNS1_3genE9ELNS1_11target_archE1100ELNS1_3gpuE3ELNS1_3repE0EEENS1_48merge_mergepath_partition_config_static_selectorELNS0_4arch9wavefront6targetE0EEEvSO_,"axG",@progbits,_ZN7rocprim17ROCPRIM_400000_NS6detail17trampoline_kernelINS0_14default_configENS1_38merge_sort_block_merge_config_selectorIlNS0_10empty_typeEEEZZNS1_27merge_sort_block_merge_implIS3_PlPS5_mZN2at6native12_GLOBAL__N_124unique_dim_cuda_templateIN3c108BFloat16EEESt5tupleIJNSA_6TensorESH_SH_EERKSH_lbbbEUlllE_EE10hipError_tT0_T1_T2_jT3_P12ihipStream_tbPNSt15iterator_traitsISN_E10value_typeEPNST_ISO_E10value_typeEPSP_NS1_7vsmem_tEENKUlT_SN_SO_SP_E_clIS8_S8_S9_S9_EESM_S12_SN_SO_SP_EUlS12_E_NS1_11comp_targetILNS1_3genE9ELNS1_11target_archE1100ELNS1_3gpuE3ELNS1_3repE0EEENS1_48merge_mergepath_partition_config_static_selectorELNS0_4arch9wavefront6targetE0EEEvSO_,comdat
.Lfunc_end1131:
	.size	_ZN7rocprim17ROCPRIM_400000_NS6detail17trampoline_kernelINS0_14default_configENS1_38merge_sort_block_merge_config_selectorIlNS0_10empty_typeEEEZZNS1_27merge_sort_block_merge_implIS3_PlPS5_mZN2at6native12_GLOBAL__N_124unique_dim_cuda_templateIN3c108BFloat16EEESt5tupleIJNSA_6TensorESH_SH_EERKSH_lbbbEUlllE_EE10hipError_tT0_T1_T2_jT3_P12ihipStream_tbPNSt15iterator_traitsISN_E10value_typeEPNST_ISO_E10value_typeEPSP_NS1_7vsmem_tEENKUlT_SN_SO_SP_E_clIS8_S8_S9_S9_EESM_S12_SN_SO_SP_EUlS12_E_NS1_11comp_targetILNS1_3genE9ELNS1_11target_archE1100ELNS1_3gpuE3ELNS1_3repE0EEENS1_48merge_mergepath_partition_config_static_selectorELNS0_4arch9wavefront6targetE0EEEvSO_, .Lfunc_end1131-_ZN7rocprim17ROCPRIM_400000_NS6detail17trampoline_kernelINS0_14default_configENS1_38merge_sort_block_merge_config_selectorIlNS0_10empty_typeEEEZZNS1_27merge_sort_block_merge_implIS3_PlPS5_mZN2at6native12_GLOBAL__N_124unique_dim_cuda_templateIN3c108BFloat16EEESt5tupleIJNSA_6TensorESH_SH_EERKSH_lbbbEUlllE_EE10hipError_tT0_T1_T2_jT3_P12ihipStream_tbPNSt15iterator_traitsISN_E10value_typeEPNST_ISO_E10value_typeEPSP_NS1_7vsmem_tEENKUlT_SN_SO_SP_E_clIS8_S8_S9_S9_EESM_S12_SN_SO_SP_EUlS12_E_NS1_11comp_targetILNS1_3genE9ELNS1_11target_archE1100ELNS1_3gpuE3ELNS1_3repE0EEENS1_48merge_mergepath_partition_config_static_selectorELNS0_4arch9wavefront6targetE0EEEvSO_
                                        ; -- End function
	.set _ZN7rocprim17ROCPRIM_400000_NS6detail17trampoline_kernelINS0_14default_configENS1_38merge_sort_block_merge_config_selectorIlNS0_10empty_typeEEEZZNS1_27merge_sort_block_merge_implIS3_PlPS5_mZN2at6native12_GLOBAL__N_124unique_dim_cuda_templateIN3c108BFloat16EEESt5tupleIJNSA_6TensorESH_SH_EERKSH_lbbbEUlllE_EE10hipError_tT0_T1_T2_jT3_P12ihipStream_tbPNSt15iterator_traitsISN_E10value_typeEPNST_ISO_E10value_typeEPSP_NS1_7vsmem_tEENKUlT_SN_SO_SP_E_clIS8_S8_S9_S9_EESM_S12_SN_SO_SP_EUlS12_E_NS1_11comp_targetILNS1_3genE9ELNS1_11target_archE1100ELNS1_3gpuE3ELNS1_3repE0EEENS1_48merge_mergepath_partition_config_static_selectorELNS0_4arch9wavefront6targetE0EEEvSO_.num_vgpr, 0
	.set _ZN7rocprim17ROCPRIM_400000_NS6detail17trampoline_kernelINS0_14default_configENS1_38merge_sort_block_merge_config_selectorIlNS0_10empty_typeEEEZZNS1_27merge_sort_block_merge_implIS3_PlPS5_mZN2at6native12_GLOBAL__N_124unique_dim_cuda_templateIN3c108BFloat16EEESt5tupleIJNSA_6TensorESH_SH_EERKSH_lbbbEUlllE_EE10hipError_tT0_T1_T2_jT3_P12ihipStream_tbPNSt15iterator_traitsISN_E10value_typeEPNST_ISO_E10value_typeEPSP_NS1_7vsmem_tEENKUlT_SN_SO_SP_E_clIS8_S8_S9_S9_EESM_S12_SN_SO_SP_EUlS12_E_NS1_11comp_targetILNS1_3genE9ELNS1_11target_archE1100ELNS1_3gpuE3ELNS1_3repE0EEENS1_48merge_mergepath_partition_config_static_selectorELNS0_4arch9wavefront6targetE0EEEvSO_.num_agpr, 0
	.set _ZN7rocprim17ROCPRIM_400000_NS6detail17trampoline_kernelINS0_14default_configENS1_38merge_sort_block_merge_config_selectorIlNS0_10empty_typeEEEZZNS1_27merge_sort_block_merge_implIS3_PlPS5_mZN2at6native12_GLOBAL__N_124unique_dim_cuda_templateIN3c108BFloat16EEESt5tupleIJNSA_6TensorESH_SH_EERKSH_lbbbEUlllE_EE10hipError_tT0_T1_T2_jT3_P12ihipStream_tbPNSt15iterator_traitsISN_E10value_typeEPNST_ISO_E10value_typeEPSP_NS1_7vsmem_tEENKUlT_SN_SO_SP_E_clIS8_S8_S9_S9_EESM_S12_SN_SO_SP_EUlS12_E_NS1_11comp_targetILNS1_3genE9ELNS1_11target_archE1100ELNS1_3gpuE3ELNS1_3repE0EEENS1_48merge_mergepath_partition_config_static_selectorELNS0_4arch9wavefront6targetE0EEEvSO_.numbered_sgpr, 0
	.set _ZN7rocprim17ROCPRIM_400000_NS6detail17trampoline_kernelINS0_14default_configENS1_38merge_sort_block_merge_config_selectorIlNS0_10empty_typeEEEZZNS1_27merge_sort_block_merge_implIS3_PlPS5_mZN2at6native12_GLOBAL__N_124unique_dim_cuda_templateIN3c108BFloat16EEESt5tupleIJNSA_6TensorESH_SH_EERKSH_lbbbEUlllE_EE10hipError_tT0_T1_T2_jT3_P12ihipStream_tbPNSt15iterator_traitsISN_E10value_typeEPNST_ISO_E10value_typeEPSP_NS1_7vsmem_tEENKUlT_SN_SO_SP_E_clIS8_S8_S9_S9_EESM_S12_SN_SO_SP_EUlS12_E_NS1_11comp_targetILNS1_3genE9ELNS1_11target_archE1100ELNS1_3gpuE3ELNS1_3repE0EEENS1_48merge_mergepath_partition_config_static_selectorELNS0_4arch9wavefront6targetE0EEEvSO_.num_named_barrier, 0
	.set _ZN7rocprim17ROCPRIM_400000_NS6detail17trampoline_kernelINS0_14default_configENS1_38merge_sort_block_merge_config_selectorIlNS0_10empty_typeEEEZZNS1_27merge_sort_block_merge_implIS3_PlPS5_mZN2at6native12_GLOBAL__N_124unique_dim_cuda_templateIN3c108BFloat16EEESt5tupleIJNSA_6TensorESH_SH_EERKSH_lbbbEUlllE_EE10hipError_tT0_T1_T2_jT3_P12ihipStream_tbPNSt15iterator_traitsISN_E10value_typeEPNST_ISO_E10value_typeEPSP_NS1_7vsmem_tEENKUlT_SN_SO_SP_E_clIS8_S8_S9_S9_EESM_S12_SN_SO_SP_EUlS12_E_NS1_11comp_targetILNS1_3genE9ELNS1_11target_archE1100ELNS1_3gpuE3ELNS1_3repE0EEENS1_48merge_mergepath_partition_config_static_selectorELNS0_4arch9wavefront6targetE0EEEvSO_.private_seg_size, 0
	.set _ZN7rocprim17ROCPRIM_400000_NS6detail17trampoline_kernelINS0_14default_configENS1_38merge_sort_block_merge_config_selectorIlNS0_10empty_typeEEEZZNS1_27merge_sort_block_merge_implIS3_PlPS5_mZN2at6native12_GLOBAL__N_124unique_dim_cuda_templateIN3c108BFloat16EEESt5tupleIJNSA_6TensorESH_SH_EERKSH_lbbbEUlllE_EE10hipError_tT0_T1_T2_jT3_P12ihipStream_tbPNSt15iterator_traitsISN_E10value_typeEPNST_ISO_E10value_typeEPSP_NS1_7vsmem_tEENKUlT_SN_SO_SP_E_clIS8_S8_S9_S9_EESM_S12_SN_SO_SP_EUlS12_E_NS1_11comp_targetILNS1_3genE9ELNS1_11target_archE1100ELNS1_3gpuE3ELNS1_3repE0EEENS1_48merge_mergepath_partition_config_static_selectorELNS0_4arch9wavefront6targetE0EEEvSO_.uses_vcc, 0
	.set _ZN7rocprim17ROCPRIM_400000_NS6detail17trampoline_kernelINS0_14default_configENS1_38merge_sort_block_merge_config_selectorIlNS0_10empty_typeEEEZZNS1_27merge_sort_block_merge_implIS3_PlPS5_mZN2at6native12_GLOBAL__N_124unique_dim_cuda_templateIN3c108BFloat16EEESt5tupleIJNSA_6TensorESH_SH_EERKSH_lbbbEUlllE_EE10hipError_tT0_T1_T2_jT3_P12ihipStream_tbPNSt15iterator_traitsISN_E10value_typeEPNST_ISO_E10value_typeEPSP_NS1_7vsmem_tEENKUlT_SN_SO_SP_E_clIS8_S8_S9_S9_EESM_S12_SN_SO_SP_EUlS12_E_NS1_11comp_targetILNS1_3genE9ELNS1_11target_archE1100ELNS1_3gpuE3ELNS1_3repE0EEENS1_48merge_mergepath_partition_config_static_selectorELNS0_4arch9wavefront6targetE0EEEvSO_.uses_flat_scratch, 0
	.set _ZN7rocprim17ROCPRIM_400000_NS6detail17trampoline_kernelINS0_14default_configENS1_38merge_sort_block_merge_config_selectorIlNS0_10empty_typeEEEZZNS1_27merge_sort_block_merge_implIS3_PlPS5_mZN2at6native12_GLOBAL__N_124unique_dim_cuda_templateIN3c108BFloat16EEESt5tupleIJNSA_6TensorESH_SH_EERKSH_lbbbEUlllE_EE10hipError_tT0_T1_T2_jT3_P12ihipStream_tbPNSt15iterator_traitsISN_E10value_typeEPNST_ISO_E10value_typeEPSP_NS1_7vsmem_tEENKUlT_SN_SO_SP_E_clIS8_S8_S9_S9_EESM_S12_SN_SO_SP_EUlS12_E_NS1_11comp_targetILNS1_3genE9ELNS1_11target_archE1100ELNS1_3gpuE3ELNS1_3repE0EEENS1_48merge_mergepath_partition_config_static_selectorELNS0_4arch9wavefront6targetE0EEEvSO_.has_dyn_sized_stack, 0
	.set _ZN7rocprim17ROCPRIM_400000_NS6detail17trampoline_kernelINS0_14default_configENS1_38merge_sort_block_merge_config_selectorIlNS0_10empty_typeEEEZZNS1_27merge_sort_block_merge_implIS3_PlPS5_mZN2at6native12_GLOBAL__N_124unique_dim_cuda_templateIN3c108BFloat16EEESt5tupleIJNSA_6TensorESH_SH_EERKSH_lbbbEUlllE_EE10hipError_tT0_T1_T2_jT3_P12ihipStream_tbPNSt15iterator_traitsISN_E10value_typeEPNST_ISO_E10value_typeEPSP_NS1_7vsmem_tEENKUlT_SN_SO_SP_E_clIS8_S8_S9_S9_EESM_S12_SN_SO_SP_EUlS12_E_NS1_11comp_targetILNS1_3genE9ELNS1_11target_archE1100ELNS1_3gpuE3ELNS1_3repE0EEENS1_48merge_mergepath_partition_config_static_selectorELNS0_4arch9wavefront6targetE0EEEvSO_.has_recursion, 0
	.set _ZN7rocprim17ROCPRIM_400000_NS6detail17trampoline_kernelINS0_14default_configENS1_38merge_sort_block_merge_config_selectorIlNS0_10empty_typeEEEZZNS1_27merge_sort_block_merge_implIS3_PlPS5_mZN2at6native12_GLOBAL__N_124unique_dim_cuda_templateIN3c108BFloat16EEESt5tupleIJNSA_6TensorESH_SH_EERKSH_lbbbEUlllE_EE10hipError_tT0_T1_T2_jT3_P12ihipStream_tbPNSt15iterator_traitsISN_E10value_typeEPNST_ISO_E10value_typeEPSP_NS1_7vsmem_tEENKUlT_SN_SO_SP_E_clIS8_S8_S9_S9_EESM_S12_SN_SO_SP_EUlS12_E_NS1_11comp_targetILNS1_3genE9ELNS1_11target_archE1100ELNS1_3gpuE3ELNS1_3repE0EEENS1_48merge_mergepath_partition_config_static_selectorELNS0_4arch9wavefront6targetE0EEEvSO_.has_indirect_call, 0
	.section	.AMDGPU.csdata,"",@progbits
; Kernel info:
; codeLenInByte = 0
; TotalNumSgprs: 0
; NumVgprs: 0
; ScratchSize: 0
; MemoryBound: 0
; FloatMode: 240
; IeeeMode: 1
; LDSByteSize: 0 bytes/workgroup (compile time only)
; SGPRBlocks: 0
; VGPRBlocks: 0
; NumSGPRsForWavesPerEU: 1
; NumVGPRsForWavesPerEU: 1
; NamedBarCnt: 0
; Occupancy: 16
; WaveLimiterHint : 0
; COMPUTE_PGM_RSRC2:SCRATCH_EN: 0
; COMPUTE_PGM_RSRC2:USER_SGPR: 2
; COMPUTE_PGM_RSRC2:TRAP_HANDLER: 0
; COMPUTE_PGM_RSRC2:TGID_X_EN: 1
; COMPUTE_PGM_RSRC2:TGID_Y_EN: 0
; COMPUTE_PGM_RSRC2:TGID_Z_EN: 0
; COMPUTE_PGM_RSRC2:TIDIG_COMP_CNT: 0
	.section	.text._ZN7rocprim17ROCPRIM_400000_NS6detail17trampoline_kernelINS0_14default_configENS1_38merge_sort_block_merge_config_selectorIlNS0_10empty_typeEEEZZNS1_27merge_sort_block_merge_implIS3_PlPS5_mZN2at6native12_GLOBAL__N_124unique_dim_cuda_templateIN3c108BFloat16EEESt5tupleIJNSA_6TensorESH_SH_EERKSH_lbbbEUlllE_EE10hipError_tT0_T1_T2_jT3_P12ihipStream_tbPNSt15iterator_traitsISN_E10value_typeEPNST_ISO_E10value_typeEPSP_NS1_7vsmem_tEENKUlT_SN_SO_SP_E_clIS8_S8_S9_S9_EESM_S12_SN_SO_SP_EUlS12_E_NS1_11comp_targetILNS1_3genE8ELNS1_11target_archE1030ELNS1_3gpuE2ELNS1_3repE0EEENS1_48merge_mergepath_partition_config_static_selectorELNS0_4arch9wavefront6targetE0EEEvSO_,"axG",@progbits,_ZN7rocprim17ROCPRIM_400000_NS6detail17trampoline_kernelINS0_14default_configENS1_38merge_sort_block_merge_config_selectorIlNS0_10empty_typeEEEZZNS1_27merge_sort_block_merge_implIS3_PlPS5_mZN2at6native12_GLOBAL__N_124unique_dim_cuda_templateIN3c108BFloat16EEESt5tupleIJNSA_6TensorESH_SH_EERKSH_lbbbEUlllE_EE10hipError_tT0_T1_T2_jT3_P12ihipStream_tbPNSt15iterator_traitsISN_E10value_typeEPNST_ISO_E10value_typeEPSP_NS1_7vsmem_tEENKUlT_SN_SO_SP_E_clIS8_S8_S9_S9_EESM_S12_SN_SO_SP_EUlS12_E_NS1_11comp_targetILNS1_3genE8ELNS1_11target_archE1030ELNS1_3gpuE2ELNS1_3repE0EEENS1_48merge_mergepath_partition_config_static_selectorELNS0_4arch9wavefront6targetE0EEEvSO_,comdat
	.globl	_ZN7rocprim17ROCPRIM_400000_NS6detail17trampoline_kernelINS0_14default_configENS1_38merge_sort_block_merge_config_selectorIlNS0_10empty_typeEEEZZNS1_27merge_sort_block_merge_implIS3_PlPS5_mZN2at6native12_GLOBAL__N_124unique_dim_cuda_templateIN3c108BFloat16EEESt5tupleIJNSA_6TensorESH_SH_EERKSH_lbbbEUlllE_EE10hipError_tT0_T1_T2_jT3_P12ihipStream_tbPNSt15iterator_traitsISN_E10value_typeEPNST_ISO_E10value_typeEPSP_NS1_7vsmem_tEENKUlT_SN_SO_SP_E_clIS8_S8_S9_S9_EESM_S12_SN_SO_SP_EUlS12_E_NS1_11comp_targetILNS1_3genE8ELNS1_11target_archE1030ELNS1_3gpuE2ELNS1_3repE0EEENS1_48merge_mergepath_partition_config_static_selectorELNS0_4arch9wavefront6targetE0EEEvSO_ ; -- Begin function _ZN7rocprim17ROCPRIM_400000_NS6detail17trampoline_kernelINS0_14default_configENS1_38merge_sort_block_merge_config_selectorIlNS0_10empty_typeEEEZZNS1_27merge_sort_block_merge_implIS3_PlPS5_mZN2at6native12_GLOBAL__N_124unique_dim_cuda_templateIN3c108BFloat16EEESt5tupleIJNSA_6TensorESH_SH_EERKSH_lbbbEUlllE_EE10hipError_tT0_T1_T2_jT3_P12ihipStream_tbPNSt15iterator_traitsISN_E10value_typeEPNST_ISO_E10value_typeEPSP_NS1_7vsmem_tEENKUlT_SN_SO_SP_E_clIS8_S8_S9_S9_EESM_S12_SN_SO_SP_EUlS12_E_NS1_11comp_targetILNS1_3genE8ELNS1_11target_archE1030ELNS1_3gpuE2ELNS1_3repE0EEENS1_48merge_mergepath_partition_config_static_selectorELNS0_4arch9wavefront6targetE0EEEvSO_
	.p2align	8
	.type	_ZN7rocprim17ROCPRIM_400000_NS6detail17trampoline_kernelINS0_14default_configENS1_38merge_sort_block_merge_config_selectorIlNS0_10empty_typeEEEZZNS1_27merge_sort_block_merge_implIS3_PlPS5_mZN2at6native12_GLOBAL__N_124unique_dim_cuda_templateIN3c108BFloat16EEESt5tupleIJNSA_6TensorESH_SH_EERKSH_lbbbEUlllE_EE10hipError_tT0_T1_T2_jT3_P12ihipStream_tbPNSt15iterator_traitsISN_E10value_typeEPNST_ISO_E10value_typeEPSP_NS1_7vsmem_tEENKUlT_SN_SO_SP_E_clIS8_S8_S9_S9_EESM_S12_SN_SO_SP_EUlS12_E_NS1_11comp_targetILNS1_3genE8ELNS1_11target_archE1030ELNS1_3gpuE2ELNS1_3repE0EEENS1_48merge_mergepath_partition_config_static_selectorELNS0_4arch9wavefront6targetE0EEEvSO_,@function
_ZN7rocprim17ROCPRIM_400000_NS6detail17trampoline_kernelINS0_14default_configENS1_38merge_sort_block_merge_config_selectorIlNS0_10empty_typeEEEZZNS1_27merge_sort_block_merge_implIS3_PlPS5_mZN2at6native12_GLOBAL__N_124unique_dim_cuda_templateIN3c108BFloat16EEESt5tupleIJNSA_6TensorESH_SH_EERKSH_lbbbEUlllE_EE10hipError_tT0_T1_T2_jT3_P12ihipStream_tbPNSt15iterator_traitsISN_E10value_typeEPNST_ISO_E10value_typeEPSP_NS1_7vsmem_tEENKUlT_SN_SO_SP_E_clIS8_S8_S9_S9_EESM_S12_SN_SO_SP_EUlS12_E_NS1_11comp_targetILNS1_3genE8ELNS1_11target_archE1030ELNS1_3gpuE2ELNS1_3repE0EEENS1_48merge_mergepath_partition_config_static_selectorELNS0_4arch9wavefront6targetE0EEEvSO_: ; @_ZN7rocprim17ROCPRIM_400000_NS6detail17trampoline_kernelINS0_14default_configENS1_38merge_sort_block_merge_config_selectorIlNS0_10empty_typeEEEZZNS1_27merge_sort_block_merge_implIS3_PlPS5_mZN2at6native12_GLOBAL__N_124unique_dim_cuda_templateIN3c108BFloat16EEESt5tupleIJNSA_6TensorESH_SH_EERKSH_lbbbEUlllE_EE10hipError_tT0_T1_T2_jT3_P12ihipStream_tbPNSt15iterator_traitsISN_E10value_typeEPNST_ISO_E10value_typeEPSP_NS1_7vsmem_tEENKUlT_SN_SO_SP_E_clIS8_S8_S9_S9_EESM_S12_SN_SO_SP_EUlS12_E_NS1_11comp_targetILNS1_3genE8ELNS1_11target_archE1030ELNS1_3gpuE2ELNS1_3repE0EEENS1_48merge_mergepath_partition_config_static_selectorELNS0_4arch9wavefront6targetE0EEEvSO_
; %bb.0:
	.section	.rodata,"a",@progbits
	.p2align	6, 0x0
	.amdhsa_kernel _ZN7rocprim17ROCPRIM_400000_NS6detail17trampoline_kernelINS0_14default_configENS1_38merge_sort_block_merge_config_selectorIlNS0_10empty_typeEEEZZNS1_27merge_sort_block_merge_implIS3_PlPS5_mZN2at6native12_GLOBAL__N_124unique_dim_cuda_templateIN3c108BFloat16EEESt5tupleIJNSA_6TensorESH_SH_EERKSH_lbbbEUlllE_EE10hipError_tT0_T1_T2_jT3_P12ihipStream_tbPNSt15iterator_traitsISN_E10value_typeEPNST_ISO_E10value_typeEPSP_NS1_7vsmem_tEENKUlT_SN_SO_SP_E_clIS8_S8_S9_S9_EESM_S12_SN_SO_SP_EUlS12_E_NS1_11comp_targetILNS1_3genE8ELNS1_11target_archE1030ELNS1_3gpuE2ELNS1_3repE0EEENS1_48merge_mergepath_partition_config_static_selectorELNS0_4arch9wavefront6targetE0EEEvSO_
		.amdhsa_group_segment_fixed_size 0
		.amdhsa_private_segment_fixed_size 0
		.amdhsa_kernarg_size 56
		.amdhsa_user_sgpr_count 2
		.amdhsa_user_sgpr_dispatch_ptr 0
		.amdhsa_user_sgpr_queue_ptr 0
		.amdhsa_user_sgpr_kernarg_segment_ptr 1
		.amdhsa_user_sgpr_dispatch_id 0
		.amdhsa_user_sgpr_kernarg_preload_length 0
		.amdhsa_user_sgpr_kernarg_preload_offset 0
		.amdhsa_user_sgpr_private_segment_size 0
		.amdhsa_wavefront_size32 1
		.amdhsa_uses_dynamic_stack 0
		.amdhsa_enable_private_segment 0
		.amdhsa_system_sgpr_workgroup_id_x 1
		.amdhsa_system_sgpr_workgroup_id_y 0
		.amdhsa_system_sgpr_workgroup_id_z 0
		.amdhsa_system_sgpr_workgroup_info 0
		.amdhsa_system_vgpr_workitem_id 0
		.amdhsa_next_free_vgpr 1
		.amdhsa_next_free_sgpr 1
		.amdhsa_named_barrier_count 0
		.amdhsa_reserve_vcc 0
		.amdhsa_float_round_mode_32 0
		.amdhsa_float_round_mode_16_64 0
		.amdhsa_float_denorm_mode_32 3
		.amdhsa_float_denorm_mode_16_64 3
		.amdhsa_fp16_overflow 0
		.amdhsa_memory_ordered 1
		.amdhsa_forward_progress 1
		.amdhsa_inst_pref_size 0
		.amdhsa_round_robin_scheduling 0
		.amdhsa_exception_fp_ieee_invalid_op 0
		.amdhsa_exception_fp_denorm_src 0
		.amdhsa_exception_fp_ieee_div_zero 0
		.amdhsa_exception_fp_ieee_overflow 0
		.amdhsa_exception_fp_ieee_underflow 0
		.amdhsa_exception_fp_ieee_inexact 0
		.amdhsa_exception_int_div_zero 0
	.end_amdhsa_kernel
	.section	.text._ZN7rocprim17ROCPRIM_400000_NS6detail17trampoline_kernelINS0_14default_configENS1_38merge_sort_block_merge_config_selectorIlNS0_10empty_typeEEEZZNS1_27merge_sort_block_merge_implIS3_PlPS5_mZN2at6native12_GLOBAL__N_124unique_dim_cuda_templateIN3c108BFloat16EEESt5tupleIJNSA_6TensorESH_SH_EERKSH_lbbbEUlllE_EE10hipError_tT0_T1_T2_jT3_P12ihipStream_tbPNSt15iterator_traitsISN_E10value_typeEPNST_ISO_E10value_typeEPSP_NS1_7vsmem_tEENKUlT_SN_SO_SP_E_clIS8_S8_S9_S9_EESM_S12_SN_SO_SP_EUlS12_E_NS1_11comp_targetILNS1_3genE8ELNS1_11target_archE1030ELNS1_3gpuE2ELNS1_3repE0EEENS1_48merge_mergepath_partition_config_static_selectorELNS0_4arch9wavefront6targetE0EEEvSO_,"axG",@progbits,_ZN7rocprim17ROCPRIM_400000_NS6detail17trampoline_kernelINS0_14default_configENS1_38merge_sort_block_merge_config_selectorIlNS0_10empty_typeEEEZZNS1_27merge_sort_block_merge_implIS3_PlPS5_mZN2at6native12_GLOBAL__N_124unique_dim_cuda_templateIN3c108BFloat16EEESt5tupleIJNSA_6TensorESH_SH_EERKSH_lbbbEUlllE_EE10hipError_tT0_T1_T2_jT3_P12ihipStream_tbPNSt15iterator_traitsISN_E10value_typeEPNST_ISO_E10value_typeEPSP_NS1_7vsmem_tEENKUlT_SN_SO_SP_E_clIS8_S8_S9_S9_EESM_S12_SN_SO_SP_EUlS12_E_NS1_11comp_targetILNS1_3genE8ELNS1_11target_archE1030ELNS1_3gpuE2ELNS1_3repE0EEENS1_48merge_mergepath_partition_config_static_selectorELNS0_4arch9wavefront6targetE0EEEvSO_,comdat
.Lfunc_end1132:
	.size	_ZN7rocprim17ROCPRIM_400000_NS6detail17trampoline_kernelINS0_14default_configENS1_38merge_sort_block_merge_config_selectorIlNS0_10empty_typeEEEZZNS1_27merge_sort_block_merge_implIS3_PlPS5_mZN2at6native12_GLOBAL__N_124unique_dim_cuda_templateIN3c108BFloat16EEESt5tupleIJNSA_6TensorESH_SH_EERKSH_lbbbEUlllE_EE10hipError_tT0_T1_T2_jT3_P12ihipStream_tbPNSt15iterator_traitsISN_E10value_typeEPNST_ISO_E10value_typeEPSP_NS1_7vsmem_tEENKUlT_SN_SO_SP_E_clIS8_S8_S9_S9_EESM_S12_SN_SO_SP_EUlS12_E_NS1_11comp_targetILNS1_3genE8ELNS1_11target_archE1030ELNS1_3gpuE2ELNS1_3repE0EEENS1_48merge_mergepath_partition_config_static_selectorELNS0_4arch9wavefront6targetE0EEEvSO_, .Lfunc_end1132-_ZN7rocprim17ROCPRIM_400000_NS6detail17trampoline_kernelINS0_14default_configENS1_38merge_sort_block_merge_config_selectorIlNS0_10empty_typeEEEZZNS1_27merge_sort_block_merge_implIS3_PlPS5_mZN2at6native12_GLOBAL__N_124unique_dim_cuda_templateIN3c108BFloat16EEESt5tupleIJNSA_6TensorESH_SH_EERKSH_lbbbEUlllE_EE10hipError_tT0_T1_T2_jT3_P12ihipStream_tbPNSt15iterator_traitsISN_E10value_typeEPNST_ISO_E10value_typeEPSP_NS1_7vsmem_tEENKUlT_SN_SO_SP_E_clIS8_S8_S9_S9_EESM_S12_SN_SO_SP_EUlS12_E_NS1_11comp_targetILNS1_3genE8ELNS1_11target_archE1030ELNS1_3gpuE2ELNS1_3repE0EEENS1_48merge_mergepath_partition_config_static_selectorELNS0_4arch9wavefront6targetE0EEEvSO_
                                        ; -- End function
	.set _ZN7rocprim17ROCPRIM_400000_NS6detail17trampoline_kernelINS0_14default_configENS1_38merge_sort_block_merge_config_selectorIlNS0_10empty_typeEEEZZNS1_27merge_sort_block_merge_implIS3_PlPS5_mZN2at6native12_GLOBAL__N_124unique_dim_cuda_templateIN3c108BFloat16EEESt5tupleIJNSA_6TensorESH_SH_EERKSH_lbbbEUlllE_EE10hipError_tT0_T1_T2_jT3_P12ihipStream_tbPNSt15iterator_traitsISN_E10value_typeEPNST_ISO_E10value_typeEPSP_NS1_7vsmem_tEENKUlT_SN_SO_SP_E_clIS8_S8_S9_S9_EESM_S12_SN_SO_SP_EUlS12_E_NS1_11comp_targetILNS1_3genE8ELNS1_11target_archE1030ELNS1_3gpuE2ELNS1_3repE0EEENS1_48merge_mergepath_partition_config_static_selectorELNS0_4arch9wavefront6targetE0EEEvSO_.num_vgpr, 0
	.set _ZN7rocprim17ROCPRIM_400000_NS6detail17trampoline_kernelINS0_14default_configENS1_38merge_sort_block_merge_config_selectorIlNS0_10empty_typeEEEZZNS1_27merge_sort_block_merge_implIS3_PlPS5_mZN2at6native12_GLOBAL__N_124unique_dim_cuda_templateIN3c108BFloat16EEESt5tupleIJNSA_6TensorESH_SH_EERKSH_lbbbEUlllE_EE10hipError_tT0_T1_T2_jT3_P12ihipStream_tbPNSt15iterator_traitsISN_E10value_typeEPNST_ISO_E10value_typeEPSP_NS1_7vsmem_tEENKUlT_SN_SO_SP_E_clIS8_S8_S9_S9_EESM_S12_SN_SO_SP_EUlS12_E_NS1_11comp_targetILNS1_3genE8ELNS1_11target_archE1030ELNS1_3gpuE2ELNS1_3repE0EEENS1_48merge_mergepath_partition_config_static_selectorELNS0_4arch9wavefront6targetE0EEEvSO_.num_agpr, 0
	.set _ZN7rocprim17ROCPRIM_400000_NS6detail17trampoline_kernelINS0_14default_configENS1_38merge_sort_block_merge_config_selectorIlNS0_10empty_typeEEEZZNS1_27merge_sort_block_merge_implIS3_PlPS5_mZN2at6native12_GLOBAL__N_124unique_dim_cuda_templateIN3c108BFloat16EEESt5tupleIJNSA_6TensorESH_SH_EERKSH_lbbbEUlllE_EE10hipError_tT0_T1_T2_jT3_P12ihipStream_tbPNSt15iterator_traitsISN_E10value_typeEPNST_ISO_E10value_typeEPSP_NS1_7vsmem_tEENKUlT_SN_SO_SP_E_clIS8_S8_S9_S9_EESM_S12_SN_SO_SP_EUlS12_E_NS1_11comp_targetILNS1_3genE8ELNS1_11target_archE1030ELNS1_3gpuE2ELNS1_3repE0EEENS1_48merge_mergepath_partition_config_static_selectorELNS0_4arch9wavefront6targetE0EEEvSO_.numbered_sgpr, 0
	.set _ZN7rocprim17ROCPRIM_400000_NS6detail17trampoline_kernelINS0_14default_configENS1_38merge_sort_block_merge_config_selectorIlNS0_10empty_typeEEEZZNS1_27merge_sort_block_merge_implIS3_PlPS5_mZN2at6native12_GLOBAL__N_124unique_dim_cuda_templateIN3c108BFloat16EEESt5tupleIJNSA_6TensorESH_SH_EERKSH_lbbbEUlllE_EE10hipError_tT0_T1_T2_jT3_P12ihipStream_tbPNSt15iterator_traitsISN_E10value_typeEPNST_ISO_E10value_typeEPSP_NS1_7vsmem_tEENKUlT_SN_SO_SP_E_clIS8_S8_S9_S9_EESM_S12_SN_SO_SP_EUlS12_E_NS1_11comp_targetILNS1_3genE8ELNS1_11target_archE1030ELNS1_3gpuE2ELNS1_3repE0EEENS1_48merge_mergepath_partition_config_static_selectorELNS0_4arch9wavefront6targetE0EEEvSO_.num_named_barrier, 0
	.set _ZN7rocprim17ROCPRIM_400000_NS6detail17trampoline_kernelINS0_14default_configENS1_38merge_sort_block_merge_config_selectorIlNS0_10empty_typeEEEZZNS1_27merge_sort_block_merge_implIS3_PlPS5_mZN2at6native12_GLOBAL__N_124unique_dim_cuda_templateIN3c108BFloat16EEESt5tupleIJNSA_6TensorESH_SH_EERKSH_lbbbEUlllE_EE10hipError_tT0_T1_T2_jT3_P12ihipStream_tbPNSt15iterator_traitsISN_E10value_typeEPNST_ISO_E10value_typeEPSP_NS1_7vsmem_tEENKUlT_SN_SO_SP_E_clIS8_S8_S9_S9_EESM_S12_SN_SO_SP_EUlS12_E_NS1_11comp_targetILNS1_3genE8ELNS1_11target_archE1030ELNS1_3gpuE2ELNS1_3repE0EEENS1_48merge_mergepath_partition_config_static_selectorELNS0_4arch9wavefront6targetE0EEEvSO_.private_seg_size, 0
	.set _ZN7rocprim17ROCPRIM_400000_NS6detail17trampoline_kernelINS0_14default_configENS1_38merge_sort_block_merge_config_selectorIlNS0_10empty_typeEEEZZNS1_27merge_sort_block_merge_implIS3_PlPS5_mZN2at6native12_GLOBAL__N_124unique_dim_cuda_templateIN3c108BFloat16EEESt5tupleIJNSA_6TensorESH_SH_EERKSH_lbbbEUlllE_EE10hipError_tT0_T1_T2_jT3_P12ihipStream_tbPNSt15iterator_traitsISN_E10value_typeEPNST_ISO_E10value_typeEPSP_NS1_7vsmem_tEENKUlT_SN_SO_SP_E_clIS8_S8_S9_S9_EESM_S12_SN_SO_SP_EUlS12_E_NS1_11comp_targetILNS1_3genE8ELNS1_11target_archE1030ELNS1_3gpuE2ELNS1_3repE0EEENS1_48merge_mergepath_partition_config_static_selectorELNS0_4arch9wavefront6targetE0EEEvSO_.uses_vcc, 0
	.set _ZN7rocprim17ROCPRIM_400000_NS6detail17trampoline_kernelINS0_14default_configENS1_38merge_sort_block_merge_config_selectorIlNS0_10empty_typeEEEZZNS1_27merge_sort_block_merge_implIS3_PlPS5_mZN2at6native12_GLOBAL__N_124unique_dim_cuda_templateIN3c108BFloat16EEESt5tupleIJNSA_6TensorESH_SH_EERKSH_lbbbEUlllE_EE10hipError_tT0_T1_T2_jT3_P12ihipStream_tbPNSt15iterator_traitsISN_E10value_typeEPNST_ISO_E10value_typeEPSP_NS1_7vsmem_tEENKUlT_SN_SO_SP_E_clIS8_S8_S9_S9_EESM_S12_SN_SO_SP_EUlS12_E_NS1_11comp_targetILNS1_3genE8ELNS1_11target_archE1030ELNS1_3gpuE2ELNS1_3repE0EEENS1_48merge_mergepath_partition_config_static_selectorELNS0_4arch9wavefront6targetE0EEEvSO_.uses_flat_scratch, 0
	.set _ZN7rocprim17ROCPRIM_400000_NS6detail17trampoline_kernelINS0_14default_configENS1_38merge_sort_block_merge_config_selectorIlNS0_10empty_typeEEEZZNS1_27merge_sort_block_merge_implIS3_PlPS5_mZN2at6native12_GLOBAL__N_124unique_dim_cuda_templateIN3c108BFloat16EEESt5tupleIJNSA_6TensorESH_SH_EERKSH_lbbbEUlllE_EE10hipError_tT0_T1_T2_jT3_P12ihipStream_tbPNSt15iterator_traitsISN_E10value_typeEPNST_ISO_E10value_typeEPSP_NS1_7vsmem_tEENKUlT_SN_SO_SP_E_clIS8_S8_S9_S9_EESM_S12_SN_SO_SP_EUlS12_E_NS1_11comp_targetILNS1_3genE8ELNS1_11target_archE1030ELNS1_3gpuE2ELNS1_3repE0EEENS1_48merge_mergepath_partition_config_static_selectorELNS0_4arch9wavefront6targetE0EEEvSO_.has_dyn_sized_stack, 0
	.set _ZN7rocprim17ROCPRIM_400000_NS6detail17trampoline_kernelINS0_14default_configENS1_38merge_sort_block_merge_config_selectorIlNS0_10empty_typeEEEZZNS1_27merge_sort_block_merge_implIS3_PlPS5_mZN2at6native12_GLOBAL__N_124unique_dim_cuda_templateIN3c108BFloat16EEESt5tupleIJNSA_6TensorESH_SH_EERKSH_lbbbEUlllE_EE10hipError_tT0_T1_T2_jT3_P12ihipStream_tbPNSt15iterator_traitsISN_E10value_typeEPNST_ISO_E10value_typeEPSP_NS1_7vsmem_tEENKUlT_SN_SO_SP_E_clIS8_S8_S9_S9_EESM_S12_SN_SO_SP_EUlS12_E_NS1_11comp_targetILNS1_3genE8ELNS1_11target_archE1030ELNS1_3gpuE2ELNS1_3repE0EEENS1_48merge_mergepath_partition_config_static_selectorELNS0_4arch9wavefront6targetE0EEEvSO_.has_recursion, 0
	.set _ZN7rocprim17ROCPRIM_400000_NS6detail17trampoline_kernelINS0_14default_configENS1_38merge_sort_block_merge_config_selectorIlNS0_10empty_typeEEEZZNS1_27merge_sort_block_merge_implIS3_PlPS5_mZN2at6native12_GLOBAL__N_124unique_dim_cuda_templateIN3c108BFloat16EEESt5tupleIJNSA_6TensorESH_SH_EERKSH_lbbbEUlllE_EE10hipError_tT0_T1_T2_jT3_P12ihipStream_tbPNSt15iterator_traitsISN_E10value_typeEPNST_ISO_E10value_typeEPSP_NS1_7vsmem_tEENKUlT_SN_SO_SP_E_clIS8_S8_S9_S9_EESM_S12_SN_SO_SP_EUlS12_E_NS1_11comp_targetILNS1_3genE8ELNS1_11target_archE1030ELNS1_3gpuE2ELNS1_3repE0EEENS1_48merge_mergepath_partition_config_static_selectorELNS0_4arch9wavefront6targetE0EEEvSO_.has_indirect_call, 0
	.section	.AMDGPU.csdata,"",@progbits
; Kernel info:
; codeLenInByte = 0
; TotalNumSgprs: 0
; NumVgprs: 0
; ScratchSize: 0
; MemoryBound: 0
; FloatMode: 240
; IeeeMode: 1
; LDSByteSize: 0 bytes/workgroup (compile time only)
; SGPRBlocks: 0
; VGPRBlocks: 0
; NumSGPRsForWavesPerEU: 1
; NumVGPRsForWavesPerEU: 1
; NamedBarCnt: 0
; Occupancy: 16
; WaveLimiterHint : 0
; COMPUTE_PGM_RSRC2:SCRATCH_EN: 0
; COMPUTE_PGM_RSRC2:USER_SGPR: 2
; COMPUTE_PGM_RSRC2:TRAP_HANDLER: 0
; COMPUTE_PGM_RSRC2:TGID_X_EN: 1
; COMPUTE_PGM_RSRC2:TGID_Y_EN: 0
; COMPUTE_PGM_RSRC2:TGID_Z_EN: 0
; COMPUTE_PGM_RSRC2:TIDIG_COMP_CNT: 0
	.section	.text._ZN7rocprim17ROCPRIM_400000_NS6detail17trampoline_kernelINS0_14default_configENS1_38merge_sort_block_merge_config_selectorIlNS0_10empty_typeEEEZZNS1_27merge_sort_block_merge_implIS3_PlPS5_mZN2at6native12_GLOBAL__N_124unique_dim_cuda_templateIN3c108BFloat16EEESt5tupleIJNSA_6TensorESH_SH_EERKSH_lbbbEUlllE_EE10hipError_tT0_T1_T2_jT3_P12ihipStream_tbPNSt15iterator_traitsISN_E10value_typeEPNST_ISO_E10value_typeEPSP_NS1_7vsmem_tEENKUlT_SN_SO_SP_E_clIS8_S8_S9_S9_EESM_S12_SN_SO_SP_EUlS12_E0_NS1_11comp_targetILNS1_3genE0ELNS1_11target_archE4294967295ELNS1_3gpuE0ELNS1_3repE0EEENS1_38merge_mergepath_config_static_selectorELNS0_4arch9wavefront6targetE0EEEvSO_,"axG",@progbits,_ZN7rocprim17ROCPRIM_400000_NS6detail17trampoline_kernelINS0_14default_configENS1_38merge_sort_block_merge_config_selectorIlNS0_10empty_typeEEEZZNS1_27merge_sort_block_merge_implIS3_PlPS5_mZN2at6native12_GLOBAL__N_124unique_dim_cuda_templateIN3c108BFloat16EEESt5tupleIJNSA_6TensorESH_SH_EERKSH_lbbbEUlllE_EE10hipError_tT0_T1_T2_jT3_P12ihipStream_tbPNSt15iterator_traitsISN_E10value_typeEPNST_ISO_E10value_typeEPSP_NS1_7vsmem_tEENKUlT_SN_SO_SP_E_clIS8_S8_S9_S9_EESM_S12_SN_SO_SP_EUlS12_E0_NS1_11comp_targetILNS1_3genE0ELNS1_11target_archE4294967295ELNS1_3gpuE0ELNS1_3repE0EEENS1_38merge_mergepath_config_static_selectorELNS0_4arch9wavefront6targetE0EEEvSO_,comdat
	.globl	_ZN7rocprim17ROCPRIM_400000_NS6detail17trampoline_kernelINS0_14default_configENS1_38merge_sort_block_merge_config_selectorIlNS0_10empty_typeEEEZZNS1_27merge_sort_block_merge_implIS3_PlPS5_mZN2at6native12_GLOBAL__N_124unique_dim_cuda_templateIN3c108BFloat16EEESt5tupleIJNSA_6TensorESH_SH_EERKSH_lbbbEUlllE_EE10hipError_tT0_T1_T2_jT3_P12ihipStream_tbPNSt15iterator_traitsISN_E10value_typeEPNST_ISO_E10value_typeEPSP_NS1_7vsmem_tEENKUlT_SN_SO_SP_E_clIS8_S8_S9_S9_EESM_S12_SN_SO_SP_EUlS12_E0_NS1_11comp_targetILNS1_3genE0ELNS1_11target_archE4294967295ELNS1_3gpuE0ELNS1_3repE0EEENS1_38merge_mergepath_config_static_selectorELNS0_4arch9wavefront6targetE0EEEvSO_ ; -- Begin function _ZN7rocprim17ROCPRIM_400000_NS6detail17trampoline_kernelINS0_14default_configENS1_38merge_sort_block_merge_config_selectorIlNS0_10empty_typeEEEZZNS1_27merge_sort_block_merge_implIS3_PlPS5_mZN2at6native12_GLOBAL__N_124unique_dim_cuda_templateIN3c108BFloat16EEESt5tupleIJNSA_6TensorESH_SH_EERKSH_lbbbEUlllE_EE10hipError_tT0_T1_T2_jT3_P12ihipStream_tbPNSt15iterator_traitsISN_E10value_typeEPNST_ISO_E10value_typeEPSP_NS1_7vsmem_tEENKUlT_SN_SO_SP_E_clIS8_S8_S9_S9_EESM_S12_SN_SO_SP_EUlS12_E0_NS1_11comp_targetILNS1_3genE0ELNS1_11target_archE4294967295ELNS1_3gpuE0ELNS1_3repE0EEENS1_38merge_mergepath_config_static_selectorELNS0_4arch9wavefront6targetE0EEEvSO_
	.p2align	8
	.type	_ZN7rocprim17ROCPRIM_400000_NS6detail17trampoline_kernelINS0_14default_configENS1_38merge_sort_block_merge_config_selectorIlNS0_10empty_typeEEEZZNS1_27merge_sort_block_merge_implIS3_PlPS5_mZN2at6native12_GLOBAL__N_124unique_dim_cuda_templateIN3c108BFloat16EEESt5tupleIJNSA_6TensorESH_SH_EERKSH_lbbbEUlllE_EE10hipError_tT0_T1_T2_jT3_P12ihipStream_tbPNSt15iterator_traitsISN_E10value_typeEPNST_ISO_E10value_typeEPSP_NS1_7vsmem_tEENKUlT_SN_SO_SP_E_clIS8_S8_S9_S9_EESM_S12_SN_SO_SP_EUlS12_E0_NS1_11comp_targetILNS1_3genE0ELNS1_11target_archE4294967295ELNS1_3gpuE0ELNS1_3repE0EEENS1_38merge_mergepath_config_static_selectorELNS0_4arch9wavefront6targetE0EEEvSO_,@function
_ZN7rocprim17ROCPRIM_400000_NS6detail17trampoline_kernelINS0_14default_configENS1_38merge_sort_block_merge_config_selectorIlNS0_10empty_typeEEEZZNS1_27merge_sort_block_merge_implIS3_PlPS5_mZN2at6native12_GLOBAL__N_124unique_dim_cuda_templateIN3c108BFloat16EEESt5tupleIJNSA_6TensorESH_SH_EERKSH_lbbbEUlllE_EE10hipError_tT0_T1_T2_jT3_P12ihipStream_tbPNSt15iterator_traitsISN_E10value_typeEPNST_ISO_E10value_typeEPSP_NS1_7vsmem_tEENKUlT_SN_SO_SP_E_clIS8_S8_S9_S9_EESM_S12_SN_SO_SP_EUlS12_E0_NS1_11comp_targetILNS1_3genE0ELNS1_11target_archE4294967295ELNS1_3gpuE0ELNS1_3repE0EEENS1_38merge_mergepath_config_static_selectorELNS0_4arch9wavefront6targetE0EEEvSO_: ; @_ZN7rocprim17ROCPRIM_400000_NS6detail17trampoline_kernelINS0_14default_configENS1_38merge_sort_block_merge_config_selectorIlNS0_10empty_typeEEEZZNS1_27merge_sort_block_merge_implIS3_PlPS5_mZN2at6native12_GLOBAL__N_124unique_dim_cuda_templateIN3c108BFloat16EEESt5tupleIJNSA_6TensorESH_SH_EERKSH_lbbbEUlllE_EE10hipError_tT0_T1_T2_jT3_P12ihipStream_tbPNSt15iterator_traitsISN_E10value_typeEPNST_ISO_E10value_typeEPSP_NS1_7vsmem_tEENKUlT_SN_SO_SP_E_clIS8_S8_S9_S9_EESM_S12_SN_SO_SP_EUlS12_E0_NS1_11comp_targetILNS1_3genE0ELNS1_11target_archE4294967295ELNS1_3gpuE0ELNS1_3repE0EEENS1_38merge_mergepath_config_static_selectorELNS0_4arch9wavefront6targetE0EEEvSO_
; %bb.0:
	s_bfe_u32 s2, ttmp6, 0x40010
	s_and_b32 s4, ttmp7, 0xffff
	s_add_co_i32 s5, s2, 1
	s_clause 0x1
	s_load_b32 s6, s[0:1], 0x38
	s_load_b64 s[2:3], s[0:1], 0x58
	s_bfe_u32 s8, ttmp6, 0x4000c
	s_mul_i32 s5, s4, s5
	s_bfe_u32 s7, ttmp6, 0x40004
	s_add_co_i32 s8, s8, 1
	s_bfe_u32 s9, ttmp6, 0x40014
	s_add_co_i32 s7, s7, s5
	s_and_b32 s5, ttmp6, 15
	s_mul_i32 s8, ttmp9, s8
	s_lshr_b32 s10, ttmp7, 16
	s_add_co_i32 s9, s9, 1
	s_add_co_i32 s5, s5, s8
	s_mul_i32 s8, s10, s9
	s_bfe_u32 s9, ttmp6, 0x40008
	s_getreg_b32 s11, hwreg(HW_REG_IB_STS2, 6, 4)
	s_add_co_i32 s9, s9, s8
	s_cmp_eq_u32 s11, 0
	s_mov_b32 s19, 0
	s_cselect_b32 s8, s10, s9
	s_cselect_b32 s4, s4, s7
	s_wait_kmcnt 0x0
	s_mul_i32 s8, s3, s8
	s_cselect_b32 s3, ttmp9, s5
	s_add_co_i32 s4, s8, s4
	s_delay_alu instid0(SALU_CYCLE_1) | instskip(NEXT) | instid1(SALU_CYCLE_1)
	s_mul_i32 s4, s4, s2
	s_add_co_i32 s18, s4, s3
	s_delay_alu instid0(SALU_CYCLE_1)
	s_cmp_ge_u32 s18, s6
	s_cbranch_scc1 .LBB1133_134
; %bb.1:
	s_clause 0x1
	s_load_b64 s[4:5], s[0:1], 0x50
	s_load_b128 s[8:11], s[0:1], 0x28
	s_lshl_b64 s[6:7], s[18:19], 3
	s_mov_b32 s23, s19
	s_add_nc_u64 s[20:21], s[0:1], 0x58
	s_wait_kmcnt 0x0
	s_add_nc_u64 s[16:17], s[4:5], s[6:7]
	s_load_b128 s[12:15], s[16:17], 0x0
	s_load_b128 s[4:7], s[0:1], 0x8
	s_wait_xcnt 0x0
	s_lshr_b64 s[16:17], s[10:11], 9
	s_delay_alu instid0(SALU_CYCLE_1) | instskip(NEXT) | instid1(SALU_CYCLE_1)
	s_and_b32 s16, s16, -2
	s_sub_co_i32 s30, 0, s16
	s_lshl_b64 s[16:17], s[18:19], 10
	s_and_b32 s22, s18, s30
	s_or_b32 s30, s18, s30
	s_lshl_b64 s[24:25], s[22:23], 10
	s_lshl_b64 s[22:23], s[22:23], 11
	s_sub_nc_u64 s[28:29], s[16:17], s[24:25]
	s_add_nc_u64 s[26:27], s[22:23], s[10:11]
	s_cmp_lg_u32 s30, -1
	s_add_nc_u64 s[22:23], s[26:27], s[28:29]
	s_mov_b32 s28, -1
	s_cbranch_scc0 .LBB1133_3
; %bb.2:
	s_wait_kmcnt 0x0
	s_sub_nc_u64 s[10:11], s[22:23], s[14:15]
	v_mov_b64_e32 v[2:3], s[14:15]
	s_add_nc_u64 s[10:11], s[10:11], 0x400
	s_branch .LBB1133_4
.LBB1133_3:
	s_wait_kmcnt 0x0
	s_sub_nc_u64 s[14:15], s[26:27], s[24:25]
	s_delay_alu instid0(SALU_CYCLE_1)
	v_min_u64 v[2:3], s[8:9], s[14:15]
	s_add_nc_u64 s[10:11], s[14:15], s[10:11]
.LBB1133_4:
	v_mov_b32_e32 v21, 0
	v_min_u64 v[4:5], s[8:9], s[10:11]
	s_sub_nc_u64 s[10:11], s[22:23], s[12:13]
	v_lshlrev_b32_e32 v20, 3, v0
	v_min_u64 v[6:7], s[8:9], s[10:11]
	global_load_b32 v1, v21, s[20:21] offset:14
	s_lshr_b64 s[10:11], s[8:9], 10
	s_delay_alu instid0(SALU_CYCLE_1)
	s_cmp_lg_u64 s[10:11], s[18:19]
	s_cselect_b32 s9, -1, 0
	s_lshl_b64 s[14:15], s[12:13], 3
	s_cmp_lt_u32 s3, s2
	s_mov_b32 s3, 0
	s_cselect_b32 s2, 12, 18
	s_cmp_eq_u64 s[10:11], s[18:19]
	s_add_nc_u64 s[2:3], s[20:21], s[2:3]
	s_add_nc_u64 s[10:11], s[4:5], s[14:15]
	s_load_u16 s2, s[2:3], 0x0
	v_lshlrev_b64_e32 v[8:9], 3, v[6:7]
	v_sub_nc_u32_e32 v24, v4, v6
	s_delay_alu instid0(VALU_DEP_2) | instskip(SKIP_3) | instid1(VALU_DEP_1)
	v_add_nc_u64_e32 v[22:23], s[4:5], v[8:9]
	s_wait_loadcnt 0x0
	v_lshrrev_b32_e32 v3, 16, v1
	v_and_b32_e32 v1, 0xffff, v1
	v_mul_lo_u32 v1, v1, v3
	s_wait_kmcnt 0x0
	s_delay_alu instid0(VALU_DEP_1)
	v_mul_lo_u32 v25, v1, s2
	v_subrev_nc_u32_e32 v1, s12, v2
	s_cbranch_scc1 .LBB1133_6
; %bb.5:
	s_delay_alu instid0(VALU_DEP_1) | instskip(SKIP_3) | instid1(VALU_DEP_3)
	v_sub_co_u32 v4, vcc_lo, v0, v1
	v_dual_mov_b32 v5, v21 :: v_dual_mov_b32 v7, v21
	v_add_nc_u64_e32 v[2:3], s[10:11], v[20:21]
	v_dual_mov_b32 v17, v21 :: v_dual_mov_b32 v19, v21
	v_lshl_add_u64 v[4:5], v[4:5], 3, v[22:23]
	v_add_nc_u32_e32 v6, v25, v0
	s_delay_alu instid0(VALU_DEP_2) | instskip(NEXT) | instid1(VALU_DEP_2)
	v_dual_add_nc_u32 v36, v1, v24 :: v_dual_cndmask_b32 v2, v4, v2, vcc_lo
	v_lshl_add_u64 v[8:9], v[6:7], 3, s[10:11]
	v_sub_co_u32 v10, s2, v6, v1
	v_dual_mov_b32 v11, v21 :: v_dual_add_nc_u32 v6, v6, v25
	v_cndmask_b32_e32 v3, v5, v3, vcc_lo
	s_delay_alu instid0(VALU_DEP_2) | instskip(NEXT) | instid1(VALU_DEP_3)
	v_lshl_add_u64 v[4:5], v[10:11], 3, v[22:23]
	v_lshl_add_u64 v[10:11], v[6:7], 3, s[10:11]
	v_sub_co_u32 v12, vcc_lo, v6, v1
	s_delay_alu instid0(VALU_DEP_3) | instskip(SKIP_3) | instid1(VALU_DEP_4)
	v_dual_mov_b32 v13, v21 :: v_dual_cndmask_b32 v4, v4, v8, s2
	v_add_nc_u32_e32 v6, v6, v25
	v_cndmask_b32_e64 v5, v5, v9, s2
	v_mov_b32_e32 v15, v21
	v_lshl_add_u64 v[8:9], v[12:13], 3, v[22:23]
	global_load_b64 v[2:3], v[2:3], off
	v_lshl_add_u64 v[12:13], v[6:7], 3, s[10:11]
	v_sub_co_u32 v14, s2, v6, v1
	v_dual_cndmask_b32 v9, v9, v11 :: v_dual_add_nc_u32 v6, v6, v25
	v_cndmask_b32_e32 v8, v8, v10, vcc_lo
	s_delay_alu instid0(VALU_DEP_3) | instskip(SKIP_4) | instid1(VALU_DEP_3)
	v_lshl_add_u64 v[10:11], v[14:15], 3, v[22:23]
	global_load_b64 v[4:5], v[4:5], off
	v_add_nc_u32_e32 v18, v6, v25
	v_sub_co_u32 v16, vcc_lo, v6, v1
	v_dual_cndmask_b32 v27, v11, v13, s2 :: v_dual_cndmask_b32 v26, v10, v12, s2
	v_dual_mov_b32 v13, v21 :: v_dual_add_nc_u32 v12, v18, v25
	v_lshl_add_u64 v[14:15], v[6:7], 3, s[10:11]
	global_load_b64 v[6:7], v[8:9], off
	s_wait_xcnt 0x0
	v_lshl_add_u64 v[8:9], v[16:17], 3, v[22:23]
	v_lshl_add_u64 v[10:11], v[18:19], 3, s[10:11]
	v_sub_co_u32 v16, s2, v18, v1
	s_delay_alu instid0(VALU_DEP_3) | instskip(SKIP_2) | instid1(VALU_DEP_3)
	v_dual_cndmask_b32 v33, v9, v15 :: v_dual_add_nc_u32 v18, v12, v25
	v_lshl_add_u64 v[28:29], v[12:13], 3, s[10:11]
	v_sub_co_u32 v12, s3, v12, v1
	v_lshl_add_u64 v[30:31], v[18:19], 3, s[10:11]
	v_sub_co_u32 v18, s4, v18, v1
	v_lshl_add_u64 v[16:17], v[16:17], 3, v[22:23]
	s_delay_alu instid0(VALU_DEP_4) | instskip(SKIP_1) | instid1(VALU_DEP_4)
	v_lshl_add_u64 v[12:13], v[12:13], 3, v[22:23]
	v_cndmask_b32_e32 v32, v8, v14, vcc_lo
	v_lshl_add_u64 v[8:9], v[18:19], 3, v[22:23]
	s_delay_alu instid0(VALU_DEP_4) | instskip(NEXT) | instid1(VALU_DEP_4)
	v_dual_cndmask_b32 v19, v17, v11, s2 :: v_dual_cndmask_b32 v18, v16, v10, s2
	v_dual_cndmask_b32 v29, v13, v29, s3 :: v_dual_cndmask_b32 v28, v12, v28, s3
	s_delay_alu instid0(VALU_DEP_3)
	v_dual_cndmask_b32 v31, v9, v31, s4 :: v_dual_cndmask_b32 v30, v8, v30, s4
	global_load_b64 v[8:9], v[26:27], off
	global_load_b64 v[10:11], v[32:33], off
	global_load_b64 v[12:13], v[18:19], off
	global_load_b64 v[14:15], v[28:29], off
	global_load_b64 v[16:17], v[30:31], off
	s_cbranch_execz .LBB1133_7
	s_branch .LBB1133_24
.LBB1133_6:
                                        ; implicit-def: $vgpr2_vgpr3_vgpr4_vgpr5_vgpr6_vgpr7_vgpr8_vgpr9_vgpr10_vgpr11_vgpr12_vgpr13_vgpr14_vgpr15_vgpr16_vgpr17
                                        ; implicit-def: $vgpr36
	s_and_not1_b32 vcc_lo, exec_lo, s28
	s_cbranch_vccnz .LBB1133_24
.LBB1133_7:
	s_wait_loadcnt 0x7
	v_dual_add_nc_u32 v36, v1, v24 :: v_dual_mov_b32 v2, 0
	s_mov_b32 s2, exec_lo
	s_wait_loadcnt 0x6
	s_delay_alu instid0(VALU_DEP_1)
	v_dual_mov_b32 v3, v2 :: v_dual_mov_b32 v4, v2
	s_wait_loadcnt 0x5
	v_dual_mov_b32 v5, v2 :: v_dual_mov_b32 v6, v2
	s_wait_loadcnt 0x4
	;; [unrolled: 2-line block ×6, first 2 shown]
	v_dual_mov_b32 v15, v2 :: v_dual_mov_b32 v16, v2
	v_mov_b32_e32 v17, v2
	v_cmpx_lt_u32_e64 v0, v36
	s_cbranch_execz .LBB1133_9
; %bb.8:
	v_dual_mov_b32 v21, v2 :: v_dual_mov_b32 v5, v2
	v_sub_co_u32 v4, vcc_lo, v0, v1
	v_dual_mov_b32 v18, v2 :: v_dual_mov_b32 v19, v2
	s_delay_alu instid0(VALU_DEP_3) | instskip(NEXT) | instid1(VALU_DEP_3)
	v_add_nc_u64_e32 v[6:7], s[10:11], v[20:21]
	v_lshl_add_u64 v[4:5], v[4:5], 3, v[22:23]
	v_dual_mov_b32 v8, v2 :: v_dual_mov_b32 v9, v2
	v_dual_mov_b32 v10, v2 :: v_dual_mov_b32 v11, v2
	;; [unrolled: 1-line block ×3, first 2 shown]
	s_delay_alu instid0(VALU_DEP_4)
	v_dual_cndmask_b32 v5, v5, v7 :: v_dual_cndmask_b32 v4, v4, v6
	v_dual_mov_b32 v6, v2 :: v_dual_mov_b32 v7, v2
	v_dual_mov_b32 v14, v2 :: v_dual_mov_b32 v15, v2
	global_load_b64 v[4:5], v[4:5], off
	v_dual_mov_b32 v16, v2 :: v_dual_mov_b32 v17, v2
	s_wait_loadcnt 0x0
	v_mov_b64_e32 v[2:3], v[4:5]
	v_mov_b64_e32 v[4:5], v[6:7]
	;; [unrolled: 1-line block ×8, first 2 shown]
.LBB1133_9:
	s_or_b32 exec_lo, exec_lo, s2
	v_add_nc_u32_e32 v18, v25, v0
	s_mov_b32 s2, exec_lo
	s_delay_alu instid0(VALU_DEP_1)
	v_cmpx_lt_u32_e64 v18, v36
	s_cbranch_execz .LBB1133_11
; %bb.10:
	v_sub_co_u32 v26, vcc_lo, v18, v1
	v_mov_b32_e32 v19, 0
	s_delay_alu instid0(VALU_DEP_1) | instskip(SKIP_1) | instid1(VALU_DEP_1)
	v_lshl_add_u64 v[4:5], v[18:19], 3, s[10:11]
	v_mov_b32_e32 v27, v19
	v_lshl_add_u64 v[26:27], v[26:27], 3, v[22:23]
	s_delay_alu instid0(VALU_DEP_1)
	v_dual_cndmask_b32 v5, v27, v5 :: v_dual_cndmask_b32 v4, v26, v4
	global_load_b64 v[4:5], v[4:5], off
.LBB1133_11:
	s_wait_xcnt 0x0
	s_or_b32 exec_lo, exec_lo, s2
	v_add_nc_u32_e32 v18, v18, v25
	s_mov_b32 s2, exec_lo
	s_delay_alu instid0(VALU_DEP_1)
	v_cmpx_lt_u32_e64 v18, v36
	s_cbranch_execz .LBB1133_13
; %bb.12:
	v_sub_co_u32 v26, vcc_lo, v18, v1
	v_mov_b32_e32 v19, 0
	s_delay_alu instid0(VALU_DEP_1) | instskip(SKIP_1) | instid1(VALU_DEP_1)
	v_lshl_add_u64 v[6:7], v[18:19], 3, s[10:11]
	v_mov_b32_e32 v27, v19
	v_lshl_add_u64 v[26:27], v[26:27], 3, v[22:23]
	s_delay_alu instid0(VALU_DEP_1)
	v_dual_cndmask_b32 v7, v27, v7 :: v_dual_cndmask_b32 v6, v26, v6
	global_load_b64 v[6:7], v[6:7], off
.LBB1133_13:
	s_wait_xcnt 0x0
	;; [unrolled: 18-line block ×6, first 2 shown]
	s_or_b32 exec_lo, exec_lo, s2
	v_add_nc_u32_e32 v18, v18, v25
	s_mov_b32 s2, exec_lo
	s_delay_alu instid0(VALU_DEP_1)
	v_cmpx_lt_u32_e64 v18, v36
	s_cbranch_execz .LBB1133_23
; %bb.22:
	v_mov_b32_e32 v19, 0
	s_delay_alu instid0(VALU_DEP_1) | instskip(SKIP_1) | instid1(VALU_DEP_1)
	v_lshl_add_u64 v[16:17], v[18:19], 3, s[10:11]
	v_sub_co_u32 v18, vcc_lo, v18, v1
	v_lshl_add_u64 v[18:19], v[18:19], 3, v[22:23]
	s_delay_alu instid0(VALU_DEP_1)
	v_dual_cndmask_b32 v17, v19, v17 :: v_dual_cndmask_b32 v16, v18, v16
	global_load_b64 v[16:17], v[16:17], off
.LBB1133_23:
	s_wait_xcnt 0x0
	s_or_b32 exec_lo, exec_lo, s2
.LBB1133_24:
	s_load_b128 s[12:15], s[0:1], 0x40
	v_min_u32_e32 v25, v36, v20
	s_mov_b32 s4, exec_lo
	s_wait_loadcnt 0x0
	ds_store_2addr_stride64_b64 v20, v[2:3], v[4:5] offset1:2
	ds_store_2addr_stride64_b64 v20, v[6:7], v[8:9] offset0:4 offset1:6
	ds_store_2addr_stride64_b64 v20, v[10:11], v[12:13] offset0:8 offset1:10
	;; [unrolled: 1-line block ×3, first 2 shown]
	s_wait_dscnt 0x0
	s_barrier_signal -1
	v_sub_nc_u32_e64 v21, v25, v24 clamp
	v_min_u32_e32 v24, v25, v1
	s_barrier_wait -1
	s_delay_alu instid0(VALU_DEP_1)
	v_cmpx_lt_u32_e64 v21, v24
	s_cbranch_execz .LBB1133_36
; %bb.25:
	v_lshlrev_b32_e32 v18, 3, v25
	s_wait_kmcnt 0x0
	v_cmp_gt_i64_e64 s5, s[12:13], 0
	s_lshl_b64 s[0:1], s[12:13], 1
	s_mov_b32 s10, 0
	v_lshl_add_u32 v26, v1, 3, v18
	s_branch .LBB1133_28
.LBB1133_26:                            ;   in Loop: Header=BB1133_28 Depth=1
	s_or_b32 exec_lo, exec_lo, s18
.LBB1133_27:                            ;   in Loop: Header=BB1133_28 Depth=1
	s_delay_alu instid0(VALU_DEP_1) | instskip(NEXT) | instid1(VALU_DEP_1)
	v_dual_add_nc_u32 v18, 1, v27 :: v_dual_cndmask_b32 v24, v24, v27, s11
	v_cndmask_b32_e64 v21, v18, v21, s11
	s_delay_alu instid0(VALU_DEP_1) | instskip(SKIP_1) | instid1(SALU_CYCLE_1)
	v_cmp_ge_u32_e32 vcc_lo, v21, v24
	s_or_b32 s10, vcc_lo, s10
	s_and_not1_b32 exec_lo, exec_lo, s10
	s_cbranch_execz .LBB1133_35
.LBB1133_28:                            ; =>This Loop Header: Depth=1
                                        ;     Child Loop BB1133_31 Depth 2
	v_add_nc_u32_e32 v18, v24, v21
	s_and_not1_b32 vcc_lo, exec_lo, s5
	s_mov_b32 s11, 0
	s_delay_alu instid0(VALU_DEP_1)
	v_lshrrev_b32_e32 v27, 1, v18
	s_cbranch_vccnz .LBB1133_27
; %bb.29:                               ;   in Loop: Header=BB1133_28 Depth=1
	s_delay_alu instid0(VALU_DEP_1) | instskip(SKIP_3) | instid1(VALU_DEP_2)
	v_not_b32_e32 v18, v27
	v_lshlrev_b32_e32 v19, 3, v27
	s_mov_b32 s18, 0
	s_mov_b64 s[2:3], s[12:13]
                                        ; implicit-def: $sgpr11
                                        ; implicit-def: $sgpr19
                                        ; implicit-def: $sgpr22
	v_lshl_add_u32 v18, v18, 3, v26
	ds_load_b64 v[28:29], v18
	ds_load_b64 v[30:31], v19
	s_wait_dscnt 0x1
	v_mad_nc_u64_u32 v[18:19], s0, v28, s[14:15]
	s_wait_dscnt 0x0
	v_mad_nc_u64_u32 v[22:23], s0, v30, s[14:15]
	s_delay_alu instid0(VALU_DEP_2) | instskip(NEXT) | instid1(VALU_DEP_2)
	v_mad_u32 v19, s1, v28, v19
	v_mad_u32 v23, s1, v30, v23
	s_delay_alu instid0(VALU_DEP_2) | instskip(NEXT) | instid1(VALU_DEP_2)
	v_mad_u32 v19, s0, v29, v19
	v_mad_u32 v23, s0, v31, v23
	s_branch .LBB1133_31
.LBB1133_30:                            ;   in Loop: Header=BB1133_31 Depth=2
	s_or_b32 exec_lo, exec_lo, s22
	s_delay_alu instid0(SALU_CYCLE_1) | instskip(SKIP_4) | instid1(SALU_CYCLE_1)
	s_and_b32 s21, exec_lo, s21
	s_mov_b32 s22, s20
	s_or_b32 s18, s21, s18
	s_and_not1_b32 s11, s11, exec_lo
	s_and_b32 s21, s19, exec_lo
	s_or_b32 s11, s11, s21
	s_and_not1_b32 exec_lo, exec_lo, s18
	s_cbranch_execz .LBB1133_26
.LBB1133_31:                            ;   Parent Loop BB1133_28 Depth=1
                                        ; =>  This Inner Loop Header: Depth=2
	global_load_u16 v28, v[18:19], off
	global_load_u16 v29, v[22:23], off
	s_mov_b32 s21, -1
	s_mov_b32 s23, 0
	s_mov_b32 s20, -1
	s_mov_b32 s24, exec_lo
	s_wait_loadcnt 0x0
	v_dual_lshlrev_b32 v28, 16, v28 :: v_dual_lshlrev_b32 v29, 16, v29
	s_delay_alu instid0(VALU_DEP_1)
	v_cmpx_nlt_f32_e32 v28, v29
; %bb.32:                               ;   in Loop: Header=BB1133_31 Depth=2
	v_cmp_ngt_f32_e32 vcc_lo, v28, v29
	s_and_b32 s20, vcc_lo, s22
	s_and_b32 s23, vcc_lo, exec_lo
	s_or_not1_b32 s20, s20, exec_lo
; %bb.33:                               ;   in Loop: Header=BB1133_31 Depth=2
	s_or_b32 exec_lo, exec_lo, s24
	s_delay_alu instid0(SALU_CYCLE_1) | instskip(SKIP_1) | instid1(SALU_CYCLE_1)
	s_and_not1_b32 s19, s19, exec_lo
	s_and_b32 s22, s20, exec_lo
	s_or_b32 s19, s19, s22
	s_and_saveexec_b32 s22, s23
	s_cbranch_execz .LBB1133_30
; %bb.34:                               ;   in Loop: Header=BB1133_31 Depth=2
	s_add_nc_u64 s[2:3], s[2:3], -1
	v_add_nc_u64_e32 v[18:19], 2, v[18:19]
	v_add_nc_u64_e32 v[22:23], 2, v[22:23]
	s_cmp_eq_u64 s[2:3], 0
	s_cselect_b32 s21, -1, 0
	s_and_not1_b32 s19, s19, exec_lo
	s_or_not1_b32 s21, s21, exec_lo
	s_branch .LBB1133_30
.LBB1133_35:
	s_or_b32 exec_lo, exec_lo, s10
.LBB1133_36:
	s_delay_alu instid0(SALU_CYCLE_1) | instskip(SKIP_2) | instid1(VALU_DEP_2)
	s_or_b32 exec_lo, exec_lo, s4
	v_sub_nc_u32_e32 v18, v25, v21
	v_cmp_le_u32_e32 vcc_lo, v21, v1
	v_add_nc_u32_e32 v18, v18, v1
	s_wait_xcnt 0x0
	s_delay_alu instid0(VALU_DEP_1) | instskip(SKIP_1) | instid1(SALU_CYCLE_1)
	v_cmp_le_u32_e64 s0, v18, v36
	s_or_b32 s0, vcc_lo, s0
	s_and_saveexec_b32 s2, s0
	s_cbranch_execz .LBB1133_120
; %bb.37:
	s_mov_b32 s1, exec_lo
	v_cmp_ge_u32_e32 vcc_lo, v21, v1
                                        ; implicit-def: $vgpr2_vgpr3
	v_cmpx_lt_u32_e64 v21, v1
; %bb.38:
	v_lshlrev_b32_e32 v2, 3, v21
	ds_load_b64 v[2:3], v2
; %bb.39:
	s_or_b32 exec_lo, exec_lo, s1
	v_cmp_ge_u32_e64 s0, v18, v36
	s_mov_b32 s3, exec_lo
                                        ; implicit-def: $vgpr16_vgpr17
	v_cmpx_lt_u32_e64 v18, v36
; %bb.40:
	v_lshlrev_b32_e32 v4, 3, v18
	ds_load_b64 v[16:17], v4
; %bb.41:
	s_or_b32 exec_lo, exec_lo, s3
	s_wait_kmcnt 0x0
	v_cmp_lt_i64_e64 s4, s[12:13], 1
	s_or_b32 s1, vcc_lo, s0
	s_xor_b32 s3, vcc_lo, -1
	s_delay_alu instid0(SALU_CYCLE_1) | instskip(SKIP_1) | instid1(SALU_CYCLE_1)
	s_or_b32 s3, s0, s3
	s_nor_b32 s1, s1, s4
	s_and_saveexec_b32 s5, s1
	s_cbranch_execz .LBB1133_49
; %bb.42:
	s_wait_dscnt 0x0
	v_mul_u64_e32 v[4:5], s[12:13], v[16:17]
	v_mul_u64_e32 v[6:7], s[12:13], v[2:3]
	s_mov_b32 s10, 0
	s_mov_b64 s[0:1], s[12:13]
                                        ; implicit-def: $sgpr11
                                        ; implicit-def: $sgpr18
                                        ; implicit-def: $sgpr21
	s_delay_alu instid0(VALU_DEP_2) | instskip(NEXT) | instid1(VALU_DEP_2)
	v_lshl_add_u64 v[4:5], v[4:5], 1, s[14:15]
	v_lshl_add_u64 v[6:7], v[6:7], 1, s[14:15]
	s_branch .LBB1133_44
.LBB1133_43:                            ;   in Loop: Header=BB1133_44 Depth=1
	s_or_b32 exec_lo, exec_lo, s21
	s_delay_alu instid0(SALU_CYCLE_1) | instskip(SKIP_4) | instid1(SALU_CYCLE_1)
	s_and_b32 s20, exec_lo, s20
	s_mov_b32 s21, s19
	s_or_b32 s10, s20, s10
	s_and_not1_b32 s11, s11, exec_lo
	s_and_b32 s20, s18, exec_lo
	s_or_b32 s11, s11, s20
	s_and_not1_b32 exec_lo, exec_lo, s10
	s_cbranch_execz .LBB1133_48
.LBB1133_44:                            ; =>This Inner Loop Header: Depth=1
	global_load_u16 v8, v[4:5], off
	global_load_u16 v9, v[6:7], off
	s_mov_b32 s20, -1
	s_mov_b32 s22, 0
	s_mov_b32 s19, -1
	s_mov_b32 s23, exec_lo
	s_wait_loadcnt 0x0
	v_dual_lshlrev_b32 v8, 16, v8 :: v_dual_lshlrev_b32 v9, 16, v9
	s_delay_alu instid0(VALU_DEP_1)
	v_cmpx_nlt_f32_e32 v8, v9
; %bb.45:                               ;   in Loop: Header=BB1133_44 Depth=1
	v_cmp_ngt_f32_e32 vcc_lo, v8, v9
	s_and_b32 s19, vcc_lo, s21
	s_and_b32 s22, vcc_lo, exec_lo
	s_or_not1_b32 s19, s19, exec_lo
; %bb.46:                               ;   in Loop: Header=BB1133_44 Depth=1
	s_or_b32 exec_lo, exec_lo, s23
	s_delay_alu instid0(SALU_CYCLE_1) | instskip(SKIP_1) | instid1(SALU_CYCLE_1)
	s_and_not1_b32 s18, s18, exec_lo
	s_and_b32 s21, s19, exec_lo
	s_or_b32 s18, s18, s21
	s_and_saveexec_b32 s21, s22
	s_cbranch_execz .LBB1133_43
; %bb.47:                               ;   in Loop: Header=BB1133_44 Depth=1
	s_add_nc_u64 s[0:1], s[0:1], -1
	v_add_nc_u64_e32 v[4:5], 2, v[4:5]
	v_add_nc_u64_e32 v[6:7], 2, v[6:7]
	s_cmp_eq_u64 s[0:1], 0
	s_cselect_b32 s20, -1, 0
	s_and_not1_b32 s18, s18, exec_lo
	s_or_not1_b32 s20, s20, exec_lo
	s_branch .LBB1133_43
.LBB1133_48:
	s_or_b32 exec_lo, exec_lo, s10
	s_xor_b32 s0, s11, -1
	s_and_not1_b32 s1, s3, exec_lo
	s_and_b32 s0, s0, exec_lo
	s_delay_alu instid0(SALU_CYCLE_1)
	s_or_b32 s3, s1, s0
.LBB1133_49:
	s_or_b32 exec_lo, exec_lo, s5
	v_cndmask_b32_e64 v4, v18, v21, s3
	v_cndmask_b32_e64 v5, v36, v1, s3
	s_mov_b32 s10, -1
	s_mov_b32 s5, -1
	s_mov_b32 s11, exec_lo
	v_add_nc_u32_e32 v4, 1, v4
	s_delay_alu instid0(VALU_DEP_1) | instskip(NEXT) | instid1(VALU_DEP_1)
	v_add_min_u32_e64 v5, v5, -1, v4
	v_dual_cndmask_b32 v10, v4, v18, s3 :: v_dual_lshlrev_b32 v5, 3, v5
	ds_load_b64 v[6:7], v5
	s_wait_dscnt 0x0
	v_dual_cndmask_b32 v11, v21, v4, s3 :: v_dual_cndmask_b32 v5, v7, v17, s3
	v_dual_cndmask_b32 v4, v6, v16, s3 :: v_dual_cndmask_b32 v19, v3, v7, s3
	v_cndmask_b32_e64 v18, v2, v6, s3
	v_cmpx_lt_u32_e64 v10, v36
	s_cbranch_execz .LBB1133_59
; %bb.50:
	v_cmp_lt_u32_e64 s5, v11, v1
	s_xor_b32 s0, s4, -1
	s_delay_alu instid0(SALU_CYCLE_1) | instskip(NEXT) | instid1(SALU_CYCLE_1)
	s_and_b32 s0, s5, s0
	s_and_saveexec_b32 s18, s0
	s_cbranch_execz .LBB1133_58
; %bb.51:
	v_mul_u64_e32 v[6:7], s[12:13], v[4:5]
	v_mul_u64_e32 v[8:9], s[12:13], v[18:19]
	s_mov_b32 s19, 0
	s_mov_b64 s[0:1], s[12:13]
                                        ; implicit-def: $sgpr20
                                        ; implicit-def: $sgpr21
                                        ; implicit-def: $sgpr24
	s_delay_alu instid0(VALU_DEP_2) | instskip(NEXT) | instid1(VALU_DEP_2)
	v_lshl_add_u64 v[6:7], v[6:7], 1, s[14:15]
	v_lshl_add_u64 v[8:9], v[8:9], 1, s[14:15]
	s_branch .LBB1133_53
.LBB1133_52:                            ;   in Loop: Header=BB1133_53 Depth=1
	s_or_b32 exec_lo, exec_lo, s24
	s_delay_alu instid0(SALU_CYCLE_1) | instskip(SKIP_4) | instid1(SALU_CYCLE_1)
	s_and_b32 s23, exec_lo, s23
	s_mov_b32 s24, s22
	s_or_b32 s19, s23, s19
	s_and_not1_b32 s20, s20, exec_lo
	s_and_b32 s23, s21, exec_lo
	s_or_b32 s20, s20, s23
	s_and_not1_b32 exec_lo, exec_lo, s19
	s_cbranch_execz .LBB1133_57
.LBB1133_53:                            ; =>This Inner Loop Header: Depth=1
	global_load_u16 v12, v[6:7], off
	global_load_u16 v13, v[8:9], off
	s_mov_b32 s23, -1
	s_mov_b32 s25, 0
	s_mov_b32 s22, -1
	s_mov_b32 s26, exec_lo
	s_wait_loadcnt 0x0
	v_dual_lshlrev_b32 v12, 16, v12 :: v_dual_lshlrev_b32 v13, 16, v13
	s_delay_alu instid0(VALU_DEP_1)
	v_cmpx_nlt_f32_e32 v12, v13
; %bb.54:                               ;   in Loop: Header=BB1133_53 Depth=1
	v_cmp_ngt_f32_e32 vcc_lo, v12, v13
	s_and_b32 s22, vcc_lo, s24
	s_and_b32 s25, vcc_lo, exec_lo
	s_or_not1_b32 s22, s22, exec_lo
; %bb.55:                               ;   in Loop: Header=BB1133_53 Depth=1
	s_or_b32 exec_lo, exec_lo, s26
	s_delay_alu instid0(SALU_CYCLE_1) | instskip(SKIP_1) | instid1(SALU_CYCLE_1)
	s_and_not1_b32 s21, s21, exec_lo
	s_and_b32 s24, s22, exec_lo
	s_or_b32 s21, s21, s24
	s_and_saveexec_b32 s24, s25
	s_cbranch_execz .LBB1133_52
; %bb.56:                               ;   in Loop: Header=BB1133_53 Depth=1
	s_add_nc_u64 s[0:1], s[0:1], -1
	v_add_nc_u64_e32 v[6:7], 2, v[6:7]
	v_add_nc_u64_e32 v[8:9], 2, v[8:9]
	s_cmp_eq_u64 s[0:1], 0
	s_cselect_b32 s23, -1, 0
	s_and_not1_b32 s21, s21, exec_lo
	s_or_not1_b32 s23, s23, exec_lo
	s_branch .LBB1133_52
.LBB1133_57:
	s_or_b32 exec_lo, exec_lo, s19
	s_xor_b32 s0, s20, -1
	s_and_not1_b32 s1, s5, exec_lo
	s_and_b32 s0, s0, exec_lo
	s_delay_alu instid0(SALU_CYCLE_1)
	s_or_b32 s5, s1, s0
.LBB1133_58:
	s_or_b32 exec_lo, exec_lo, s18
	s_delay_alu instid0(SALU_CYCLE_1)
	s_or_not1_b32 s5, s5, exec_lo
.LBB1133_59:
	s_or_b32 exec_lo, exec_lo, s11
	v_dual_cndmask_b32 v6, v10, v11, s5 :: v_dual_cndmask_b32 v7, v36, v1, s5
	s_mov_b32 s11, exec_lo
	s_delay_alu instid0(VALU_DEP_1) | instskip(NEXT) | instid1(VALU_DEP_1)
	v_add_nc_u32_e32 v6, 1, v6
	v_add_min_u32_e64 v7, v7, -1, v6
	s_delay_alu instid0(VALU_DEP_1)
	v_lshlrev_b32_e32 v7, 3, v7
	ds_load_b64 v[8:9], v7
	v_cndmask_b32_e64 v12, v6, v10, s5
	s_wait_dscnt 0x0
	v_dual_cndmask_b32 v13, v11, v6, s5 :: v_dual_cndmask_b32 v6, v8, v4, s5
	v_cndmask_b32_e64 v7, v9, v5, s5
	v_dual_cndmask_b32 v23, v19, v9, s5 :: v_dual_cndmask_b32 v22, v18, v8, s5
	v_cmpx_lt_u32_e64 v12, v36
	s_cbranch_execz .LBB1133_69
; %bb.60:
	v_cmp_lt_u32_e64 s10, v13, v1
	s_xor_b32 s0, s4, -1
	s_delay_alu instid0(SALU_CYCLE_1) | instskip(NEXT) | instid1(SALU_CYCLE_1)
	s_and_b32 s0, s10, s0
	s_and_saveexec_b32 s18, s0
	s_cbranch_execz .LBB1133_68
; %bb.61:
	v_mul_u64_e32 v[8:9], s[12:13], v[6:7]
	v_mul_u64_e32 v[10:11], s[12:13], v[22:23]
	s_mov_b32 s19, 0
	s_mov_b64 s[0:1], s[12:13]
                                        ; implicit-def: $sgpr20
                                        ; implicit-def: $sgpr21
                                        ; implicit-def: $sgpr24
	s_delay_alu instid0(VALU_DEP_2) | instskip(NEXT) | instid1(VALU_DEP_2)
	v_lshl_add_u64 v[8:9], v[8:9], 1, s[14:15]
	v_lshl_add_u64 v[10:11], v[10:11], 1, s[14:15]
	s_branch .LBB1133_63
.LBB1133_62:                            ;   in Loop: Header=BB1133_63 Depth=1
	s_or_b32 exec_lo, exec_lo, s24
	s_delay_alu instid0(SALU_CYCLE_1) | instskip(SKIP_4) | instid1(SALU_CYCLE_1)
	s_and_b32 s23, exec_lo, s23
	s_mov_b32 s24, s22
	s_or_b32 s19, s23, s19
	s_and_not1_b32 s20, s20, exec_lo
	s_and_b32 s23, s21, exec_lo
	s_or_b32 s20, s20, s23
	s_and_not1_b32 exec_lo, exec_lo, s19
	s_cbranch_execz .LBB1133_67
.LBB1133_63:                            ; =>This Inner Loop Header: Depth=1
	global_load_u16 v14, v[8:9], off
	global_load_u16 v15, v[10:11], off
	s_mov_b32 s23, -1
	s_mov_b32 s25, 0
	s_mov_b32 s22, -1
	s_mov_b32 s26, exec_lo
	s_wait_loadcnt 0x0
	v_dual_lshlrev_b32 v14, 16, v14 :: v_dual_lshlrev_b32 v15, 16, v15
	s_delay_alu instid0(VALU_DEP_1)
	v_cmpx_nlt_f32_e32 v14, v15
; %bb.64:                               ;   in Loop: Header=BB1133_63 Depth=1
	v_cmp_ngt_f32_e32 vcc_lo, v14, v15
	s_and_b32 s22, vcc_lo, s24
	s_and_b32 s25, vcc_lo, exec_lo
	s_or_not1_b32 s22, s22, exec_lo
; %bb.65:                               ;   in Loop: Header=BB1133_63 Depth=1
	s_or_b32 exec_lo, exec_lo, s26
	s_delay_alu instid0(SALU_CYCLE_1) | instskip(SKIP_1) | instid1(SALU_CYCLE_1)
	s_and_not1_b32 s21, s21, exec_lo
	s_and_b32 s24, s22, exec_lo
	s_or_b32 s21, s21, s24
	s_and_saveexec_b32 s24, s25
	s_cbranch_execz .LBB1133_62
; %bb.66:                               ;   in Loop: Header=BB1133_63 Depth=1
	s_add_nc_u64 s[0:1], s[0:1], -1
	v_add_nc_u64_e32 v[8:9], 2, v[8:9]
	v_add_nc_u64_e32 v[10:11], 2, v[10:11]
	s_cmp_eq_u64 s[0:1], 0
	s_cselect_b32 s23, -1, 0
	s_and_not1_b32 s21, s21, exec_lo
	s_or_not1_b32 s23, s23, exec_lo
	s_branch .LBB1133_62
.LBB1133_67:
	s_or_b32 exec_lo, exec_lo, s19
	s_xor_b32 s0, s20, -1
	s_and_not1_b32 s1, s10, exec_lo
	s_and_b32 s0, s0, exec_lo
	s_delay_alu instid0(SALU_CYCLE_1)
	s_or_b32 s10, s1, s0
.LBB1133_68:
	s_or_b32 exec_lo, exec_lo, s18
	s_delay_alu instid0(SALU_CYCLE_1)
	s_or_not1_b32 s10, s10, exec_lo
.LBB1133_69:
	s_or_b32 exec_lo, exec_lo, s11
	v_cndmask_b32_e64 v8, v12, v13, s10
	v_cndmask_b32_e64 v9, v36, v1, s10
	s_mov_b32 s18, -1
	s_mov_b32 s11, -1
	s_mov_b32 s19, exec_lo
	v_add_nc_u32_e32 v8, 1, v8
	s_delay_alu instid0(VALU_DEP_1) | instskip(NEXT) | instid1(VALU_DEP_1)
	v_add_min_u32_e64 v9, v9, -1, v8
	v_dual_cndmask_b32 v14, v8, v12, s10 :: v_dual_lshlrev_b32 v9, 3, v9
	ds_load_b64 v[10:11], v9
	s_wait_dscnt 0x0
	v_dual_cndmask_b32 v15, v13, v8, s10 :: v_dual_cndmask_b32 v8, v10, v6, s10
	v_cndmask_b32_e64 v9, v11, v7, s10
	v_dual_cndmask_b32 v25, v23, v11, s10 :: v_dual_cndmask_b32 v24, v22, v10, s10
	v_cmpx_lt_u32_e64 v14, v36
	s_cbranch_execz .LBB1133_79
; %bb.70:
	v_cmp_lt_u32_e64 s11, v15, v1
	s_xor_b32 s0, s4, -1
	s_delay_alu instid0(SALU_CYCLE_1) | instskip(NEXT) | instid1(SALU_CYCLE_1)
	s_and_b32 s0, s11, s0
	s_and_saveexec_b32 s20, s0
	s_cbranch_execz .LBB1133_78
; %bb.71:
	v_mul_u64_e32 v[10:11], s[12:13], v[8:9]
	v_mul_u64_e32 v[12:13], s[12:13], v[24:25]
	s_mov_b32 s21, 0
	s_mov_b64 s[0:1], s[12:13]
                                        ; implicit-def: $sgpr22
                                        ; implicit-def: $sgpr23
                                        ; implicit-def: $sgpr26
	s_delay_alu instid0(VALU_DEP_2) | instskip(NEXT) | instid1(VALU_DEP_2)
	v_lshl_add_u64 v[10:11], v[10:11], 1, s[14:15]
	v_lshl_add_u64 v[12:13], v[12:13], 1, s[14:15]
	s_branch .LBB1133_73
.LBB1133_72:                            ;   in Loop: Header=BB1133_73 Depth=1
	s_or_b32 exec_lo, exec_lo, s26
	s_delay_alu instid0(SALU_CYCLE_1) | instskip(SKIP_4) | instid1(SALU_CYCLE_1)
	s_and_b32 s25, exec_lo, s25
	s_mov_b32 s26, s24
	s_or_b32 s21, s25, s21
	s_and_not1_b32 s22, s22, exec_lo
	s_and_b32 s25, s23, exec_lo
	s_or_b32 s22, s22, s25
	s_and_not1_b32 exec_lo, exec_lo, s21
	s_cbranch_execz .LBB1133_77
.LBB1133_73:                            ; =>This Inner Loop Header: Depth=1
	global_load_u16 v21, v[10:11], off
	global_load_u16 v26, v[12:13], off
	s_mov_b32 s25, -1
	s_mov_b32 s27, 0
	s_mov_b32 s24, -1
	s_mov_b32 s28, exec_lo
	s_wait_loadcnt 0x0
	v_dual_lshlrev_b32 v21, 16, v21 :: v_dual_lshlrev_b32 v26, 16, v26
	s_delay_alu instid0(VALU_DEP_1)
	v_cmpx_nlt_f32_e32 v21, v26
; %bb.74:                               ;   in Loop: Header=BB1133_73 Depth=1
	v_cmp_ngt_f32_e32 vcc_lo, v21, v26
	s_and_b32 s24, vcc_lo, s26
	s_and_b32 s27, vcc_lo, exec_lo
	s_or_not1_b32 s24, s24, exec_lo
; %bb.75:                               ;   in Loop: Header=BB1133_73 Depth=1
	s_or_b32 exec_lo, exec_lo, s28
	s_delay_alu instid0(SALU_CYCLE_1) | instskip(SKIP_1) | instid1(SALU_CYCLE_1)
	s_and_not1_b32 s23, s23, exec_lo
	s_and_b32 s26, s24, exec_lo
	s_or_b32 s23, s23, s26
	s_and_saveexec_b32 s26, s27
	s_cbranch_execz .LBB1133_72
; %bb.76:                               ;   in Loop: Header=BB1133_73 Depth=1
	s_add_nc_u64 s[0:1], s[0:1], -1
	v_add_nc_u64_e32 v[10:11], 2, v[10:11]
	v_add_nc_u64_e32 v[12:13], 2, v[12:13]
	s_cmp_eq_u64 s[0:1], 0
	s_cselect_b32 s25, -1, 0
	s_and_not1_b32 s23, s23, exec_lo
	s_or_not1_b32 s25, s25, exec_lo
	s_branch .LBB1133_72
.LBB1133_77:
	s_or_b32 exec_lo, exec_lo, s21
	s_xor_b32 s0, s22, -1
	s_and_not1_b32 s1, s11, exec_lo
	s_and_b32 s0, s0, exec_lo
	s_delay_alu instid0(SALU_CYCLE_1)
	s_or_b32 s11, s1, s0
.LBB1133_78:
	s_or_b32 exec_lo, exec_lo, s20
	s_delay_alu instid0(SALU_CYCLE_1)
	s_or_not1_b32 s11, s11, exec_lo
.LBB1133_79:
	s_or_b32 exec_lo, exec_lo, s19
	v_dual_cndmask_b32 v10, v14, v15, s11 :: v_dual_cndmask_b32 v11, v36, v1, s11
	s_mov_b32 s19, exec_lo
	s_delay_alu instid0(VALU_DEP_1) | instskip(NEXT) | instid1(VALU_DEP_1)
	v_add_nc_u32_e32 v10, 1, v10
	v_add_min_u32_e64 v11, v11, -1, v10
	s_delay_alu instid0(VALU_DEP_1)
	v_lshlrev_b32_e32 v11, 3, v11
	ds_load_b64 v[12:13], v11
	v_cndmask_b32_e64 v21, v10, v14, s11
	s_wait_dscnt 0x0
	v_dual_cndmask_b32 v28, v15, v10, s11 :: v_dual_cndmask_b32 v10, v12, v8, s11
	v_cndmask_b32_e64 v11, v13, v9, s11
	v_dual_cndmask_b32 v27, v25, v13, s11 :: v_dual_cndmask_b32 v26, v24, v12, s11
	v_cmpx_lt_u32_e64 v21, v36
	s_cbranch_execz .LBB1133_89
; %bb.80:
	v_cmp_lt_u32_e64 s18, v28, v1
	s_xor_b32 s0, s4, -1
	s_delay_alu instid0(SALU_CYCLE_1) | instskip(NEXT) | instid1(SALU_CYCLE_1)
	s_and_b32 s0, s18, s0
	s_and_saveexec_b32 s20, s0
	s_cbranch_execz .LBB1133_88
; %bb.81:
	v_mul_u64_e32 v[12:13], s[12:13], v[10:11]
	v_mul_u64_e32 v[14:15], s[12:13], v[26:27]
	s_mov_b32 s21, 0
	s_mov_b64 s[0:1], s[12:13]
                                        ; implicit-def: $sgpr22
                                        ; implicit-def: $sgpr23
                                        ; implicit-def: $sgpr26
	s_delay_alu instid0(VALU_DEP_2) | instskip(NEXT) | instid1(VALU_DEP_2)
	v_lshl_add_u64 v[12:13], v[12:13], 1, s[14:15]
	v_lshl_add_u64 v[14:15], v[14:15], 1, s[14:15]
	s_branch .LBB1133_83
.LBB1133_82:                            ;   in Loop: Header=BB1133_83 Depth=1
	s_or_b32 exec_lo, exec_lo, s26
	s_delay_alu instid0(SALU_CYCLE_1) | instskip(SKIP_4) | instid1(SALU_CYCLE_1)
	s_and_b32 s25, exec_lo, s25
	s_mov_b32 s26, s24
	s_or_b32 s21, s25, s21
	s_and_not1_b32 s22, s22, exec_lo
	s_and_b32 s25, s23, exec_lo
	s_or_b32 s22, s22, s25
	s_and_not1_b32 exec_lo, exec_lo, s21
	s_cbranch_execz .LBB1133_87
.LBB1133_83:                            ; =>This Inner Loop Header: Depth=1
	global_load_u16 v29, v[12:13], off
	global_load_u16 v30, v[14:15], off
	s_mov_b32 s25, -1
	s_mov_b32 s27, 0
	s_mov_b32 s24, -1
	s_mov_b32 s28, exec_lo
	s_wait_loadcnt 0x0
	v_dual_lshlrev_b32 v29, 16, v29 :: v_dual_lshlrev_b32 v30, 16, v30
	s_delay_alu instid0(VALU_DEP_1)
	v_cmpx_nlt_f32_e32 v29, v30
; %bb.84:                               ;   in Loop: Header=BB1133_83 Depth=1
	v_cmp_ngt_f32_e32 vcc_lo, v29, v30
	s_and_b32 s24, vcc_lo, s26
	s_and_b32 s27, vcc_lo, exec_lo
	s_or_not1_b32 s24, s24, exec_lo
; %bb.85:                               ;   in Loop: Header=BB1133_83 Depth=1
	s_or_b32 exec_lo, exec_lo, s28
	s_delay_alu instid0(SALU_CYCLE_1) | instskip(SKIP_1) | instid1(SALU_CYCLE_1)
	s_and_not1_b32 s23, s23, exec_lo
	s_and_b32 s26, s24, exec_lo
	s_or_b32 s23, s23, s26
	s_and_saveexec_b32 s26, s27
	s_cbranch_execz .LBB1133_82
; %bb.86:                               ;   in Loop: Header=BB1133_83 Depth=1
	s_add_nc_u64 s[0:1], s[0:1], -1
	v_add_nc_u64_e32 v[12:13], 2, v[12:13]
	v_add_nc_u64_e32 v[14:15], 2, v[14:15]
	s_cmp_eq_u64 s[0:1], 0
	s_cselect_b32 s25, -1, 0
	s_and_not1_b32 s23, s23, exec_lo
	s_or_not1_b32 s25, s25, exec_lo
	s_branch .LBB1133_82
.LBB1133_87:
	s_or_b32 exec_lo, exec_lo, s21
	s_xor_b32 s0, s22, -1
	s_and_not1_b32 s1, s18, exec_lo
	s_and_b32 s0, s0, exec_lo
	s_delay_alu instid0(SALU_CYCLE_1)
	s_or_b32 s18, s1, s0
.LBB1133_88:
	s_or_b32 exec_lo, exec_lo, s20
	s_delay_alu instid0(SALU_CYCLE_1)
	s_or_not1_b32 s18, s18, exec_lo
.LBB1133_89:
	s_or_b32 exec_lo, exec_lo, s19
	v_dual_cndmask_b32 v12, v21, v28, s18 :: v_dual_cndmask_b32 v13, v36, v1, s18
	s_mov_b32 s20, -1
	s_mov_b32 s19, -1
	s_mov_b32 s21, exec_lo
	s_delay_alu instid0(VALU_DEP_1) | instskip(NEXT) | instid1(VALU_DEP_1)
	v_add_nc_u32_e32 v12, 1, v12
	v_add_min_u32_e64 v13, v13, -1, v12
	s_delay_alu instid0(VALU_DEP_1)
	v_lshlrev_b32_e32 v13, 3, v13
	ds_load_b64 v[14:15], v13
	v_cndmask_b32_e64 v21, v12, v21, s18
	s_wait_dscnt 0x0
	v_dual_cndmask_b32 v32, v28, v12, s18 :: v_dual_cndmask_b32 v12, v14, v10, s18
	v_cndmask_b32_e64 v13, v15, v11, s18
	v_dual_cndmask_b32 v29, v27, v15, s18 :: v_dual_cndmask_b32 v28, v26, v14, s18
	v_cmpx_lt_u32_e64 v21, v36
	s_cbranch_execz .LBB1133_99
; %bb.90:
	v_cmp_lt_u32_e64 s19, v32, v1
	s_xor_b32 s0, s4, -1
	s_delay_alu instid0(SALU_CYCLE_1) | instskip(NEXT) | instid1(SALU_CYCLE_1)
	s_and_b32 s0, s19, s0
	s_and_saveexec_b32 s22, s0
	s_cbranch_execz .LBB1133_98
; %bb.91:
	v_mul_u64_e32 v[14:15], s[12:13], v[12:13]
	v_mul_u64_e32 v[30:31], s[12:13], v[28:29]
	s_mov_b32 s23, 0
	s_mov_b64 s[0:1], s[12:13]
                                        ; implicit-def: $sgpr24
                                        ; implicit-def: $sgpr25
                                        ; implicit-def: $sgpr28
	s_delay_alu instid0(VALU_DEP_2) | instskip(NEXT) | instid1(VALU_DEP_2)
	v_lshl_add_u64 v[14:15], v[14:15], 1, s[14:15]
	v_lshl_add_u64 v[30:31], v[30:31], 1, s[14:15]
	s_branch .LBB1133_93
.LBB1133_92:                            ;   in Loop: Header=BB1133_93 Depth=1
	s_or_b32 exec_lo, exec_lo, s28
	s_delay_alu instid0(SALU_CYCLE_1) | instskip(SKIP_4) | instid1(SALU_CYCLE_1)
	s_and_b32 s27, exec_lo, s27
	s_mov_b32 s28, s26
	s_or_b32 s23, s27, s23
	s_and_not1_b32 s24, s24, exec_lo
	s_and_b32 s27, s25, exec_lo
	s_or_b32 s24, s24, s27
	s_and_not1_b32 exec_lo, exec_lo, s23
	s_cbranch_execz .LBB1133_97
.LBB1133_93:                            ; =>This Inner Loop Header: Depth=1
	global_load_u16 v33, v[14:15], off
	global_load_u16 v34, v[30:31], off
	s_mov_b32 s27, -1
	s_mov_b32 s29, 0
	s_mov_b32 s26, -1
	s_mov_b32 s30, exec_lo
	s_wait_loadcnt 0x0
	v_dual_lshlrev_b32 v33, 16, v33 :: v_dual_lshlrev_b32 v34, 16, v34
	s_delay_alu instid0(VALU_DEP_1)
	v_cmpx_nlt_f32_e32 v33, v34
; %bb.94:                               ;   in Loop: Header=BB1133_93 Depth=1
	v_cmp_ngt_f32_e32 vcc_lo, v33, v34
	s_and_b32 s26, vcc_lo, s28
	s_and_b32 s29, vcc_lo, exec_lo
	s_or_not1_b32 s26, s26, exec_lo
; %bb.95:                               ;   in Loop: Header=BB1133_93 Depth=1
	s_or_b32 exec_lo, exec_lo, s30
	s_delay_alu instid0(SALU_CYCLE_1) | instskip(SKIP_1) | instid1(SALU_CYCLE_1)
	s_and_not1_b32 s25, s25, exec_lo
	s_and_b32 s28, s26, exec_lo
	s_or_b32 s25, s25, s28
	s_and_saveexec_b32 s28, s29
	s_cbranch_execz .LBB1133_92
; %bb.96:                               ;   in Loop: Header=BB1133_93 Depth=1
	s_add_nc_u64 s[0:1], s[0:1], -1
	v_add_nc_u64_e32 v[14:15], 2, v[14:15]
	v_add_nc_u64_e32 v[30:31], 2, v[30:31]
	s_cmp_eq_u64 s[0:1], 0
	s_cselect_b32 s27, -1, 0
	s_and_not1_b32 s25, s25, exec_lo
	s_or_not1_b32 s27, s27, exec_lo
	s_branch .LBB1133_92
.LBB1133_97:
	s_or_b32 exec_lo, exec_lo, s23
	s_xor_b32 s0, s24, -1
	s_and_not1_b32 s1, s19, exec_lo
	s_and_b32 s0, s0, exec_lo
	s_delay_alu instid0(SALU_CYCLE_1)
	s_or_b32 s19, s1, s0
.LBB1133_98:
	s_or_b32 exec_lo, exec_lo, s22
	s_delay_alu instid0(SALU_CYCLE_1)
	s_or_not1_b32 s19, s19, exec_lo
.LBB1133_99:
	s_or_b32 exec_lo, exec_lo, s21
	v_dual_cndmask_b32 v14, v21, v32, s19 :: v_dual_cndmask_b32 v15, v36, v1, s19
	s_mov_b32 s21, exec_lo
	s_delay_alu instid0(VALU_DEP_1) | instskip(NEXT) | instid1(VALU_DEP_1)
	v_add_nc_u32_e32 v14, 1, v14
	v_add_min_u32_e64 v15, v15, -1, v14
	s_delay_alu instid0(VALU_DEP_1)
	v_dual_lshlrev_b32 v15, 3, v15 :: v_dual_cndmask_b32 v37, v14, v21, s19
	v_cndmask_b32_e64 v21, v32, v14, s19
	ds_load_b64 v[30:31], v15
	s_wait_dscnt 0x0
	v_dual_cndmask_b32 v15, v31, v13, s19 :: v_dual_cndmask_b32 v14, v30, v12, s19
	v_dual_cndmask_b32 v31, v29, v31, s19 :: v_dual_cndmask_b32 v30, v28, v30, s19
	v_cmpx_lt_u32_e64 v37, v36
	s_cbranch_execz .LBB1133_109
; %bb.100:
	v_cmp_lt_u32_e64 s20, v21, v1
	s_xor_b32 s0, s4, -1
	s_delay_alu instid0(SALU_CYCLE_1) | instskip(NEXT) | instid1(SALU_CYCLE_1)
	s_and_b32 s0, s20, s0
	s_and_saveexec_b32 s22, s0
	s_cbranch_execz .LBB1133_108
; %bb.101:
	v_mul_u64_e32 v[32:33], s[12:13], v[14:15]
	v_mul_u64_e32 v[34:35], s[12:13], v[30:31]
	s_mov_b32 s23, 0
	s_mov_b64 s[0:1], s[12:13]
                                        ; implicit-def: $sgpr24
                                        ; implicit-def: $sgpr25
                                        ; implicit-def: $sgpr28
	s_delay_alu instid0(VALU_DEP_2) | instskip(NEXT) | instid1(VALU_DEP_2)
	v_lshl_add_u64 v[32:33], v[32:33], 1, s[14:15]
	v_lshl_add_u64 v[34:35], v[34:35], 1, s[14:15]
	s_branch .LBB1133_103
.LBB1133_102:                           ;   in Loop: Header=BB1133_103 Depth=1
	s_or_b32 exec_lo, exec_lo, s28
	s_delay_alu instid0(SALU_CYCLE_1) | instskip(SKIP_4) | instid1(SALU_CYCLE_1)
	s_and_b32 s27, exec_lo, s27
	s_mov_b32 s28, s26
	s_or_b32 s23, s27, s23
	s_and_not1_b32 s24, s24, exec_lo
	s_and_b32 s27, s25, exec_lo
	s_or_b32 s24, s24, s27
	s_and_not1_b32 exec_lo, exec_lo, s23
	s_cbranch_execz .LBB1133_107
.LBB1133_103:                           ; =>This Inner Loop Header: Depth=1
	global_load_u16 v38, v[32:33], off
	global_load_u16 v39, v[34:35], off
	s_mov_b32 s27, -1
	s_mov_b32 s29, 0
	s_mov_b32 s26, -1
	s_mov_b32 s30, exec_lo
	s_wait_loadcnt 0x0
	v_dual_lshlrev_b32 v38, 16, v38 :: v_dual_lshlrev_b32 v39, 16, v39
	s_delay_alu instid0(VALU_DEP_1)
	v_cmpx_nlt_f32_e32 v38, v39
; %bb.104:                              ;   in Loop: Header=BB1133_103 Depth=1
	v_cmp_ngt_f32_e32 vcc_lo, v38, v39
	s_and_b32 s26, vcc_lo, s28
	s_and_b32 s29, vcc_lo, exec_lo
	s_or_not1_b32 s26, s26, exec_lo
; %bb.105:                              ;   in Loop: Header=BB1133_103 Depth=1
	s_or_b32 exec_lo, exec_lo, s30
	s_delay_alu instid0(SALU_CYCLE_1) | instskip(SKIP_1) | instid1(SALU_CYCLE_1)
	s_and_not1_b32 s25, s25, exec_lo
	s_and_b32 s28, s26, exec_lo
	s_or_b32 s25, s25, s28
	s_and_saveexec_b32 s28, s29
	s_cbranch_execz .LBB1133_102
; %bb.106:                              ;   in Loop: Header=BB1133_103 Depth=1
	s_add_nc_u64 s[0:1], s[0:1], -1
	v_add_nc_u64_e32 v[32:33], 2, v[32:33]
	v_add_nc_u64_e32 v[34:35], 2, v[34:35]
	s_cmp_eq_u64 s[0:1], 0
	s_cselect_b32 s27, -1, 0
	s_and_not1_b32 s25, s25, exec_lo
	s_or_not1_b32 s27, s27, exec_lo
	s_branch .LBB1133_102
.LBB1133_107:
	s_or_b32 exec_lo, exec_lo, s23
	s_xor_b32 s0, s24, -1
	s_and_not1_b32 s1, s20, exec_lo
	s_and_b32 s0, s0, exec_lo
	s_delay_alu instid0(SALU_CYCLE_1)
	s_or_b32 s20, s1, s0
.LBB1133_108:
	s_or_b32 exec_lo, exec_lo, s22
	s_delay_alu instid0(SALU_CYCLE_1)
	s_or_not1_b32 s20, s20, exec_lo
.LBB1133_109:
	s_or_b32 exec_lo, exec_lo, s21
	v_cndmask_b32_e64 v32, v37, v21, s20
	v_cndmask_b32_e64 v33, v36, v1, s20
	s_mov_b32 s1, -1
	s_mov_b32 s0, exec_lo
	s_delay_alu instid0(VALU_DEP_2) | instskip(NEXT) | instid1(VALU_DEP_1)
	v_add_nc_u32_e32 v38, 1, v32
	v_add_min_u32_e64 v32, v33, -1, v38
	s_delay_alu instid0(VALU_DEP_1)
	v_dual_cndmask_b32 v37, v38, v37, s20 :: v_dual_lshlrev_b32 v32, 3, v32
	ds_load_b64 v[34:35], v32
	s_wait_dscnt 0x0
	v_dual_cndmask_b32 v33, v35, v15, s20 :: v_dual_cndmask_b32 v32, v34, v14, s20
	v_dual_cndmask_b32 v35, v31, v35, s20 :: v_dual_cndmask_b32 v34, v30, v34, s20
	v_cmpx_lt_u32_e64 v37, v36
	s_cbranch_execz .LBB1133_119
; %bb.110:
	v_cndmask_b32_e64 v21, v21, v38, s20
	s_xor_b32 s4, s4, -1
	s_delay_alu instid0(VALU_DEP_1) | instskip(SKIP_1) | instid1(SALU_CYCLE_1)
	v_cmp_lt_u32_e64 s1, v21, v1
	s_and_b32 s21, s1, s4
	s_and_saveexec_b32 s4, s21
	s_cbranch_execz .LBB1133_118
; %bb.111:
	v_mul_u64_e32 v[36:37], s[12:13], v[32:33]
	v_mul_u64_e32 v[38:39], s[12:13], v[34:35]
                                        ; implicit-def: $sgpr21
                                        ; implicit-def: $sgpr24
	s_delay_alu instid0(VALU_DEP_2) | instskip(NEXT) | instid1(VALU_DEP_2)
	v_lshl_add_u64 v[36:37], v[36:37], 1, s[14:15]
	v_lshl_add_u64 v[38:39], v[38:39], 1, s[14:15]
	s_mov_b32 s14, 0
                                        ; implicit-def: $sgpr15
	s_branch .LBB1133_113
.LBB1133_112:                           ;   in Loop: Header=BB1133_113 Depth=1
	s_or_b32 exec_lo, exec_lo, s24
	s_delay_alu instid0(SALU_CYCLE_1) | instskip(SKIP_4) | instid1(SALU_CYCLE_1)
	s_and_b32 s23, exec_lo, s23
	s_mov_b32 s24, s22
	s_or_b32 s14, s23, s14
	s_and_not1_b32 s15, s15, exec_lo
	s_and_b32 s23, s21, exec_lo
	s_or_b32 s15, s15, s23
	s_and_not1_b32 exec_lo, exec_lo, s14
	s_cbranch_execz .LBB1133_117
.LBB1133_113:                           ; =>This Inner Loop Header: Depth=1
	global_load_u16 v1, v[36:37], off
	global_load_u16 v21, v[38:39], off
	s_mov_b32 s23, -1
	s_mov_b32 s25, 0
	s_mov_b32 s22, -1
	s_mov_b32 s26, exec_lo
	s_wait_loadcnt 0x1
	v_lshlrev_b32_e32 v1, 16, v1
	s_wait_loadcnt 0x0
	v_lshlrev_b32_e32 v21, 16, v21
	s_delay_alu instid0(VALU_DEP_1)
	v_cmpx_nlt_f32_e32 v1, v21
; %bb.114:                              ;   in Loop: Header=BB1133_113 Depth=1
	v_cmp_ngt_f32_e32 vcc_lo, v1, v21
	s_and_b32 s22, vcc_lo, s24
	s_and_b32 s25, vcc_lo, exec_lo
	s_or_not1_b32 s22, s22, exec_lo
; %bb.115:                              ;   in Loop: Header=BB1133_113 Depth=1
	s_or_b32 exec_lo, exec_lo, s26
	s_delay_alu instid0(SALU_CYCLE_1) | instskip(SKIP_1) | instid1(SALU_CYCLE_1)
	s_and_not1_b32 s21, s21, exec_lo
	s_and_b32 s24, s22, exec_lo
	s_or_b32 s21, s21, s24
	s_and_saveexec_b32 s24, s25
	s_cbranch_execz .LBB1133_112
; %bb.116:                              ;   in Loop: Header=BB1133_113 Depth=1
	s_add_nc_u64 s[12:13], s[12:13], -1
	v_add_nc_u64_e32 v[36:37], 2, v[36:37]
	v_add_nc_u64_e32 v[38:39], 2, v[38:39]
	s_cmp_eq_u64 s[12:13], 0
	s_cselect_b32 s23, -1, 0
	s_and_not1_b32 s21, s21, exec_lo
	s_or_not1_b32 s23, s23, exec_lo
	s_branch .LBB1133_112
.LBB1133_117:
	s_or_b32 exec_lo, exec_lo, s14
	s_xor_b32 s12, s15, -1
	s_and_not1_b32 s1, s1, exec_lo
	s_and_b32 s12, s12, exec_lo
	s_delay_alu instid0(SALU_CYCLE_1)
	s_or_b32 s1, s1, s12
.LBB1133_118:
	s_or_b32 exec_lo, exec_lo, s4
	s_delay_alu instid0(SALU_CYCLE_1)
	s_or_not1_b32 s1, s1, exec_lo
.LBB1133_119:
	s_or_b32 exec_lo, exec_lo, s0
	v_dual_cndmask_b32 v15, v15, v31, s20 :: v_dual_cndmask_b32 v14, v14, v30, s20
	v_dual_cndmask_b32 v13, v13, v29, s19 :: v_dual_cndmask_b32 v12, v12, v28, s19
	;; [unrolled: 1-line block ×8, first 2 shown]
.LBB1133_120:
	s_or_b32 exec_lo, exec_lo, s2
	v_or_b32_e32 v25, 0x80, v0
	v_lshrrev_b32_e32 v1, 2, v0
	v_or_b32_e32 v22, 0x100, v0
	v_lshlrev_b32_e32 v18, 3, v20
	s_delay_alu instid0(VALU_DEP_4) | instskip(SKIP_1) | instid1(VALU_DEP_3)
	v_lshrrev_b32_e32 v19, 2, v25
	s_barrier_signal -1
	v_lshrrev_b32_e32 v21, 2, v22
	s_delay_alu instid0(VALU_DEP_3)
	v_lshl_add_u32 v18, v1, 3, v18
	s_barrier_wait -1
	s_barrier_signal -1
	s_barrier_wait -1
	ds_store_2addr_b64 v18, v[2:3], v[4:5] offset1:1
	ds_store_2addr_b64 v18, v[6:7], v[8:9] offset0:2 offset1:3
	v_and_b32_e32 v2, 56, v19
	v_and_b32_e32 v1, 24, v1
	v_or_b32_e32 v24, 0x180, v0
	v_and_b32_e32 v3, 0x58, v21
	v_or_b32_e32 v23, 0x200, v0
	s_delay_alu instid0(VALU_DEP_4) | instskip(NEXT) | instid1(VALU_DEP_4)
	v_dual_add_nc_u32 v6, v2, v20 :: v_dual_add_nc_u32 v26, v1, v20
	v_lshrrev_b32_e32 v1, 2, v24
	ds_store_2addr_b64 v18, v[10:11], v[12:13] offset0:4 offset1:5
	ds_store_2addr_b64 v18, v[14:15], v[16:17] offset0:6 offset1:7
	v_or_b32_e32 v19, 0x280, v0
	v_add_nc_u32_e32 v7, v3, v20
	v_or_b32_e32 v18, 0x300, v0
	v_lshrrev_b32_e32 v3, 2, v23
	v_and_b32_e32 v2, 0x78, v1
	v_or_b32_e32 v1, 0x380, v0
	s_delay_alu instid0(VALU_DEP_4) | instskip(NEXT) | instid1(VALU_DEP_4)
	v_dual_lshrrev_b32 v4, 2, v19 :: v_dual_lshrrev_b32 v5, 2, v18
	v_and_b32_e32 v3, 0x98, v3
	s_delay_alu instid0(VALU_DEP_3)
	v_dual_add_nc_u32 v8, v2, v20 :: v_dual_lshrrev_b32 v2, 2, v1
	v_mov_b32_e32 v21, 0
	s_lshl_b64 s[0:1], s[16:17], 3
	v_and_b32_e32 v4, 0xb8, v4
	v_and_b32_e32 v5, 0xd8, v5
	;; [unrolled: 1-line block ×3, first 2 shown]
	s_add_nc_u64 s[0:1], s[6:7], s[0:1]
	s_delay_alu instid0(VALU_DEP_3) | instskip(SKIP_1) | instid1(VALU_DEP_3)
	v_dual_add_nc_u32 v9, v3, v20 :: v_dual_add_nc_u32 v27, v4, v20
	v_add_nc_u64_e32 v[2:3], s[0:1], v[20:21]
	v_dual_add_nc_u32 v28, v5, v20 :: v_dual_add_nc_u32 v20, v10, v20
	s_and_b32 vcc_lo, exec_lo, s9
	s_wait_dscnt 0x0
	s_cbranch_vccz .LBB1133_122
; %bb.121:
	s_barrier_signal -1
	s_barrier_wait -1
	ds_load_b64 v[10:11], v26
	ds_load_b64 v[12:13], v6 offset:1024
	ds_load_b64 v[14:15], v7 offset:2048
	;; [unrolled: 1-line block ×7, first 2 shown]
	s_mov_b32 s0, -1
	s_wait_dscnt 0x7
	global_store_b64 v[2:3], v[10:11], off
	s_wait_dscnt 0x6
	global_store_b64 v[2:3], v[12:13], off offset:1024
	s_wait_dscnt 0x5
	global_store_b64 v[2:3], v[14:15], off offset:2048
	;; [unrolled: 2-line block ×6, first 2 shown]
	s_cbranch_execz .LBB1133_123
	s_branch .LBB1133_132
.LBB1133_122:
	s_mov_b32 s0, 0
                                        ; implicit-def: $vgpr4_vgpr5
.LBB1133_123:
	s_barrier_signal -1
	s_barrier_wait -1
	s_wait_storecnt_dscnt 0x0
	s_wait_xcnt 0x3
	ds_load_b64 v[16:17], v6 offset:1024
	ds_load_b64 v[14:15], v7 offset:2048
	ds_load_b64 v[12:13], v8 offset:3072
	ds_load_b64 v[10:11], v9 offset:4096
	ds_load_b64 v[8:9], v27 offset:5120
	ds_load_b64 v[6:7], v28 offset:6144
	ds_load_b64 v[4:5], v20 offset:7168
	s_sub_co_i32 s0, s8, s16
	s_mov_b32 s1, exec_lo
	s_wait_xcnt 0x0
	v_cmpx_gt_u32_e64 s0, v0
	s_cbranch_execnz .LBB1133_135
; %bb.124:
	s_or_b32 exec_lo, exec_lo, s1
	s_delay_alu instid0(SALU_CYCLE_1)
	s_mov_b32 s1, exec_lo
	v_cmpx_gt_u32_e64 s0, v25
	s_cbranch_execnz .LBB1133_136
.LBB1133_125:
	s_or_b32 exec_lo, exec_lo, s1
	s_delay_alu instid0(SALU_CYCLE_1)
	s_mov_b32 s1, exec_lo
	v_cmpx_gt_u32_e64 s0, v22
	s_cbranch_execnz .LBB1133_137
.LBB1133_126:
	s_or_b32 exec_lo, exec_lo, s1
	s_delay_alu instid0(SALU_CYCLE_1)
	s_mov_b32 s1, exec_lo
	v_cmpx_gt_u32_e64 s0, v24
	s_cbranch_execnz .LBB1133_138
.LBB1133_127:
	s_or_b32 exec_lo, exec_lo, s1
	s_delay_alu instid0(SALU_CYCLE_1)
	s_mov_b32 s1, exec_lo
	v_cmpx_gt_u32_e64 s0, v23
	s_cbranch_execnz .LBB1133_139
.LBB1133_128:
	s_or_b32 exec_lo, exec_lo, s1
	s_delay_alu instid0(SALU_CYCLE_1)
	s_mov_b32 s1, exec_lo
	v_cmpx_gt_u32_e64 s0, v19
	s_cbranch_execnz .LBB1133_140
.LBB1133_129:
	s_or_b32 exec_lo, exec_lo, s1
	s_delay_alu instid0(SALU_CYCLE_1)
	s_mov_b32 s1, exec_lo
	v_cmpx_gt_u32_e64 s0, v18
	s_cbranch_execz .LBB1133_131
.LBB1133_130:
	s_wait_dscnt 0x1
	global_store_b64 v[2:3], v[6:7], off offset:6144
.LBB1133_131:
	s_wait_xcnt 0x0
	s_or_b32 exec_lo, exec_lo, s1
	v_cmp_gt_u32_e64 s0, s0, v1
.LBB1133_132:
	s_wait_xcnt 0x0
	s_delay_alu instid0(VALU_DEP_1)
	s_and_saveexec_b32 s1, s0
	s_cbranch_execz .LBB1133_134
; %bb.133:
	s_wait_dscnt 0x0
	global_store_b64 v[2:3], v[4:5], off offset:7168
.LBB1133_134:
	s_endpgm
.LBB1133_135:
	ds_load_b64 v[20:21], v26
	s_wait_dscnt 0x0
	global_store_b64 v[2:3], v[20:21], off
	s_wait_xcnt 0x0
	s_or_b32 exec_lo, exec_lo, s1
	s_delay_alu instid0(SALU_CYCLE_1)
	s_mov_b32 s1, exec_lo
	v_cmpx_gt_u32_e64 s0, v25
	s_cbranch_execz .LBB1133_125
.LBB1133_136:
	s_wait_dscnt 0x6
	global_store_b64 v[2:3], v[16:17], off offset:1024
	s_wait_xcnt 0x0
	s_or_b32 exec_lo, exec_lo, s1
	s_delay_alu instid0(SALU_CYCLE_1)
	s_mov_b32 s1, exec_lo
	v_cmpx_gt_u32_e64 s0, v22
	s_cbranch_execz .LBB1133_126
.LBB1133_137:
	s_wait_dscnt 0x5
	global_store_b64 v[2:3], v[14:15], off offset:2048
	s_wait_xcnt 0x0
	s_or_b32 exec_lo, exec_lo, s1
	s_delay_alu instid0(SALU_CYCLE_1)
	s_mov_b32 s1, exec_lo
	v_cmpx_gt_u32_e64 s0, v24
	s_cbranch_execz .LBB1133_127
.LBB1133_138:
	s_wait_dscnt 0x4
	global_store_b64 v[2:3], v[12:13], off offset:3072
	s_wait_xcnt 0x0
	s_or_b32 exec_lo, exec_lo, s1
	s_delay_alu instid0(SALU_CYCLE_1)
	s_mov_b32 s1, exec_lo
	v_cmpx_gt_u32_e64 s0, v23
	s_cbranch_execz .LBB1133_128
.LBB1133_139:
	s_wait_dscnt 0x3
	global_store_b64 v[2:3], v[10:11], off offset:4096
	s_wait_xcnt 0x0
	s_or_b32 exec_lo, exec_lo, s1
	s_delay_alu instid0(SALU_CYCLE_1)
	s_mov_b32 s1, exec_lo
	v_cmpx_gt_u32_e64 s0, v19
	s_cbranch_execz .LBB1133_129
.LBB1133_140:
	s_wait_dscnt 0x2
	global_store_b64 v[2:3], v[8:9], off offset:5120
	s_wait_xcnt 0x0
	s_or_b32 exec_lo, exec_lo, s1
	s_delay_alu instid0(SALU_CYCLE_1)
	s_mov_b32 s1, exec_lo
	v_cmpx_gt_u32_e64 s0, v18
	s_cbranch_execnz .LBB1133_130
	s_branch .LBB1133_131
	.section	.rodata,"a",@progbits
	.p2align	6, 0x0
	.amdhsa_kernel _ZN7rocprim17ROCPRIM_400000_NS6detail17trampoline_kernelINS0_14default_configENS1_38merge_sort_block_merge_config_selectorIlNS0_10empty_typeEEEZZNS1_27merge_sort_block_merge_implIS3_PlPS5_mZN2at6native12_GLOBAL__N_124unique_dim_cuda_templateIN3c108BFloat16EEESt5tupleIJNSA_6TensorESH_SH_EERKSH_lbbbEUlllE_EE10hipError_tT0_T1_T2_jT3_P12ihipStream_tbPNSt15iterator_traitsISN_E10value_typeEPNST_ISO_E10value_typeEPSP_NS1_7vsmem_tEENKUlT_SN_SO_SP_E_clIS8_S8_S9_S9_EESM_S12_SN_SO_SP_EUlS12_E0_NS1_11comp_targetILNS1_3genE0ELNS1_11target_archE4294967295ELNS1_3gpuE0ELNS1_3repE0EEENS1_38merge_mergepath_config_static_selectorELNS0_4arch9wavefront6targetE0EEEvSO_
		.amdhsa_group_segment_fixed_size 8448
		.amdhsa_private_segment_fixed_size 0
		.amdhsa_kernarg_size 344
		.amdhsa_user_sgpr_count 2
		.amdhsa_user_sgpr_dispatch_ptr 0
		.amdhsa_user_sgpr_queue_ptr 0
		.amdhsa_user_sgpr_kernarg_segment_ptr 1
		.amdhsa_user_sgpr_dispatch_id 0
		.amdhsa_user_sgpr_kernarg_preload_length 0
		.amdhsa_user_sgpr_kernarg_preload_offset 0
		.amdhsa_user_sgpr_private_segment_size 0
		.amdhsa_wavefront_size32 1
		.amdhsa_uses_dynamic_stack 0
		.amdhsa_enable_private_segment 0
		.amdhsa_system_sgpr_workgroup_id_x 1
		.amdhsa_system_sgpr_workgroup_id_y 1
		.amdhsa_system_sgpr_workgroup_id_z 1
		.amdhsa_system_sgpr_workgroup_info 0
		.amdhsa_system_vgpr_workitem_id 0
		.amdhsa_next_free_vgpr 40
		.amdhsa_next_free_sgpr 31
		.amdhsa_named_barrier_count 0
		.amdhsa_reserve_vcc 1
		.amdhsa_float_round_mode_32 0
		.amdhsa_float_round_mode_16_64 0
		.amdhsa_float_denorm_mode_32 3
		.amdhsa_float_denorm_mode_16_64 3
		.amdhsa_fp16_overflow 0
		.amdhsa_memory_ordered 1
		.amdhsa_forward_progress 1
		.amdhsa_inst_pref_size 54
		.amdhsa_round_robin_scheduling 0
		.amdhsa_exception_fp_ieee_invalid_op 0
		.amdhsa_exception_fp_denorm_src 0
		.amdhsa_exception_fp_ieee_div_zero 0
		.amdhsa_exception_fp_ieee_overflow 0
		.amdhsa_exception_fp_ieee_underflow 0
		.amdhsa_exception_fp_ieee_inexact 0
		.amdhsa_exception_int_div_zero 0
	.end_amdhsa_kernel
	.section	.text._ZN7rocprim17ROCPRIM_400000_NS6detail17trampoline_kernelINS0_14default_configENS1_38merge_sort_block_merge_config_selectorIlNS0_10empty_typeEEEZZNS1_27merge_sort_block_merge_implIS3_PlPS5_mZN2at6native12_GLOBAL__N_124unique_dim_cuda_templateIN3c108BFloat16EEESt5tupleIJNSA_6TensorESH_SH_EERKSH_lbbbEUlllE_EE10hipError_tT0_T1_T2_jT3_P12ihipStream_tbPNSt15iterator_traitsISN_E10value_typeEPNST_ISO_E10value_typeEPSP_NS1_7vsmem_tEENKUlT_SN_SO_SP_E_clIS8_S8_S9_S9_EESM_S12_SN_SO_SP_EUlS12_E0_NS1_11comp_targetILNS1_3genE0ELNS1_11target_archE4294967295ELNS1_3gpuE0ELNS1_3repE0EEENS1_38merge_mergepath_config_static_selectorELNS0_4arch9wavefront6targetE0EEEvSO_,"axG",@progbits,_ZN7rocprim17ROCPRIM_400000_NS6detail17trampoline_kernelINS0_14default_configENS1_38merge_sort_block_merge_config_selectorIlNS0_10empty_typeEEEZZNS1_27merge_sort_block_merge_implIS3_PlPS5_mZN2at6native12_GLOBAL__N_124unique_dim_cuda_templateIN3c108BFloat16EEESt5tupleIJNSA_6TensorESH_SH_EERKSH_lbbbEUlllE_EE10hipError_tT0_T1_T2_jT3_P12ihipStream_tbPNSt15iterator_traitsISN_E10value_typeEPNST_ISO_E10value_typeEPSP_NS1_7vsmem_tEENKUlT_SN_SO_SP_E_clIS8_S8_S9_S9_EESM_S12_SN_SO_SP_EUlS12_E0_NS1_11comp_targetILNS1_3genE0ELNS1_11target_archE4294967295ELNS1_3gpuE0ELNS1_3repE0EEENS1_38merge_mergepath_config_static_selectorELNS0_4arch9wavefront6targetE0EEEvSO_,comdat
.Lfunc_end1133:
	.size	_ZN7rocprim17ROCPRIM_400000_NS6detail17trampoline_kernelINS0_14default_configENS1_38merge_sort_block_merge_config_selectorIlNS0_10empty_typeEEEZZNS1_27merge_sort_block_merge_implIS3_PlPS5_mZN2at6native12_GLOBAL__N_124unique_dim_cuda_templateIN3c108BFloat16EEESt5tupleIJNSA_6TensorESH_SH_EERKSH_lbbbEUlllE_EE10hipError_tT0_T1_T2_jT3_P12ihipStream_tbPNSt15iterator_traitsISN_E10value_typeEPNST_ISO_E10value_typeEPSP_NS1_7vsmem_tEENKUlT_SN_SO_SP_E_clIS8_S8_S9_S9_EESM_S12_SN_SO_SP_EUlS12_E0_NS1_11comp_targetILNS1_3genE0ELNS1_11target_archE4294967295ELNS1_3gpuE0ELNS1_3repE0EEENS1_38merge_mergepath_config_static_selectorELNS0_4arch9wavefront6targetE0EEEvSO_, .Lfunc_end1133-_ZN7rocprim17ROCPRIM_400000_NS6detail17trampoline_kernelINS0_14default_configENS1_38merge_sort_block_merge_config_selectorIlNS0_10empty_typeEEEZZNS1_27merge_sort_block_merge_implIS3_PlPS5_mZN2at6native12_GLOBAL__N_124unique_dim_cuda_templateIN3c108BFloat16EEESt5tupleIJNSA_6TensorESH_SH_EERKSH_lbbbEUlllE_EE10hipError_tT0_T1_T2_jT3_P12ihipStream_tbPNSt15iterator_traitsISN_E10value_typeEPNST_ISO_E10value_typeEPSP_NS1_7vsmem_tEENKUlT_SN_SO_SP_E_clIS8_S8_S9_S9_EESM_S12_SN_SO_SP_EUlS12_E0_NS1_11comp_targetILNS1_3genE0ELNS1_11target_archE4294967295ELNS1_3gpuE0ELNS1_3repE0EEENS1_38merge_mergepath_config_static_selectorELNS0_4arch9wavefront6targetE0EEEvSO_
                                        ; -- End function
	.set _ZN7rocprim17ROCPRIM_400000_NS6detail17trampoline_kernelINS0_14default_configENS1_38merge_sort_block_merge_config_selectorIlNS0_10empty_typeEEEZZNS1_27merge_sort_block_merge_implIS3_PlPS5_mZN2at6native12_GLOBAL__N_124unique_dim_cuda_templateIN3c108BFloat16EEESt5tupleIJNSA_6TensorESH_SH_EERKSH_lbbbEUlllE_EE10hipError_tT0_T1_T2_jT3_P12ihipStream_tbPNSt15iterator_traitsISN_E10value_typeEPNST_ISO_E10value_typeEPSP_NS1_7vsmem_tEENKUlT_SN_SO_SP_E_clIS8_S8_S9_S9_EESM_S12_SN_SO_SP_EUlS12_E0_NS1_11comp_targetILNS1_3genE0ELNS1_11target_archE4294967295ELNS1_3gpuE0ELNS1_3repE0EEENS1_38merge_mergepath_config_static_selectorELNS0_4arch9wavefront6targetE0EEEvSO_.num_vgpr, 40
	.set _ZN7rocprim17ROCPRIM_400000_NS6detail17trampoline_kernelINS0_14default_configENS1_38merge_sort_block_merge_config_selectorIlNS0_10empty_typeEEEZZNS1_27merge_sort_block_merge_implIS3_PlPS5_mZN2at6native12_GLOBAL__N_124unique_dim_cuda_templateIN3c108BFloat16EEESt5tupleIJNSA_6TensorESH_SH_EERKSH_lbbbEUlllE_EE10hipError_tT0_T1_T2_jT3_P12ihipStream_tbPNSt15iterator_traitsISN_E10value_typeEPNST_ISO_E10value_typeEPSP_NS1_7vsmem_tEENKUlT_SN_SO_SP_E_clIS8_S8_S9_S9_EESM_S12_SN_SO_SP_EUlS12_E0_NS1_11comp_targetILNS1_3genE0ELNS1_11target_archE4294967295ELNS1_3gpuE0ELNS1_3repE0EEENS1_38merge_mergepath_config_static_selectorELNS0_4arch9wavefront6targetE0EEEvSO_.num_agpr, 0
	.set _ZN7rocprim17ROCPRIM_400000_NS6detail17trampoline_kernelINS0_14default_configENS1_38merge_sort_block_merge_config_selectorIlNS0_10empty_typeEEEZZNS1_27merge_sort_block_merge_implIS3_PlPS5_mZN2at6native12_GLOBAL__N_124unique_dim_cuda_templateIN3c108BFloat16EEESt5tupleIJNSA_6TensorESH_SH_EERKSH_lbbbEUlllE_EE10hipError_tT0_T1_T2_jT3_P12ihipStream_tbPNSt15iterator_traitsISN_E10value_typeEPNST_ISO_E10value_typeEPSP_NS1_7vsmem_tEENKUlT_SN_SO_SP_E_clIS8_S8_S9_S9_EESM_S12_SN_SO_SP_EUlS12_E0_NS1_11comp_targetILNS1_3genE0ELNS1_11target_archE4294967295ELNS1_3gpuE0ELNS1_3repE0EEENS1_38merge_mergepath_config_static_selectorELNS0_4arch9wavefront6targetE0EEEvSO_.numbered_sgpr, 31
	.set _ZN7rocprim17ROCPRIM_400000_NS6detail17trampoline_kernelINS0_14default_configENS1_38merge_sort_block_merge_config_selectorIlNS0_10empty_typeEEEZZNS1_27merge_sort_block_merge_implIS3_PlPS5_mZN2at6native12_GLOBAL__N_124unique_dim_cuda_templateIN3c108BFloat16EEESt5tupleIJNSA_6TensorESH_SH_EERKSH_lbbbEUlllE_EE10hipError_tT0_T1_T2_jT3_P12ihipStream_tbPNSt15iterator_traitsISN_E10value_typeEPNST_ISO_E10value_typeEPSP_NS1_7vsmem_tEENKUlT_SN_SO_SP_E_clIS8_S8_S9_S9_EESM_S12_SN_SO_SP_EUlS12_E0_NS1_11comp_targetILNS1_3genE0ELNS1_11target_archE4294967295ELNS1_3gpuE0ELNS1_3repE0EEENS1_38merge_mergepath_config_static_selectorELNS0_4arch9wavefront6targetE0EEEvSO_.num_named_barrier, 0
	.set _ZN7rocprim17ROCPRIM_400000_NS6detail17trampoline_kernelINS0_14default_configENS1_38merge_sort_block_merge_config_selectorIlNS0_10empty_typeEEEZZNS1_27merge_sort_block_merge_implIS3_PlPS5_mZN2at6native12_GLOBAL__N_124unique_dim_cuda_templateIN3c108BFloat16EEESt5tupleIJNSA_6TensorESH_SH_EERKSH_lbbbEUlllE_EE10hipError_tT0_T1_T2_jT3_P12ihipStream_tbPNSt15iterator_traitsISN_E10value_typeEPNST_ISO_E10value_typeEPSP_NS1_7vsmem_tEENKUlT_SN_SO_SP_E_clIS8_S8_S9_S9_EESM_S12_SN_SO_SP_EUlS12_E0_NS1_11comp_targetILNS1_3genE0ELNS1_11target_archE4294967295ELNS1_3gpuE0ELNS1_3repE0EEENS1_38merge_mergepath_config_static_selectorELNS0_4arch9wavefront6targetE0EEEvSO_.private_seg_size, 0
	.set _ZN7rocprim17ROCPRIM_400000_NS6detail17trampoline_kernelINS0_14default_configENS1_38merge_sort_block_merge_config_selectorIlNS0_10empty_typeEEEZZNS1_27merge_sort_block_merge_implIS3_PlPS5_mZN2at6native12_GLOBAL__N_124unique_dim_cuda_templateIN3c108BFloat16EEESt5tupleIJNSA_6TensorESH_SH_EERKSH_lbbbEUlllE_EE10hipError_tT0_T1_T2_jT3_P12ihipStream_tbPNSt15iterator_traitsISN_E10value_typeEPNST_ISO_E10value_typeEPSP_NS1_7vsmem_tEENKUlT_SN_SO_SP_E_clIS8_S8_S9_S9_EESM_S12_SN_SO_SP_EUlS12_E0_NS1_11comp_targetILNS1_3genE0ELNS1_11target_archE4294967295ELNS1_3gpuE0ELNS1_3repE0EEENS1_38merge_mergepath_config_static_selectorELNS0_4arch9wavefront6targetE0EEEvSO_.uses_vcc, 1
	.set _ZN7rocprim17ROCPRIM_400000_NS6detail17trampoline_kernelINS0_14default_configENS1_38merge_sort_block_merge_config_selectorIlNS0_10empty_typeEEEZZNS1_27merge_sort_block_merge_implIS3_PlPS5_mZN2at6native12_GLOBAL__N_124unique_dim_cuda_templateIN3c108BFloat16EEESt5tupleIJNSA_6TensorESH_SH_EERKSH_lbbbEUlllE_EE10hipError_tT0_T1_T2_jT3_P12ihipStream_tbPNSt15iterator_traitsISN_E10value_typeEPNST_ISO_E10value_typeEPSP_NS1_7vsmem_tEENKUlT_SN_SO_SP_E_clIS8_S8_S9_S9_EESM_S12_SN_SO_SP_EUlS12_E0_NS1_11comp_targetILNS1_3genE0ELNS1_11target_archE4294967295ELNS1_3gpuE0ELNS1_3repE0EEENS1_38merge_mergepath_config_static_selectorELNS0_4arch9wavefront6targetE0EEEvSO_.uses_flat_scratch, 0
	.set _ZN7rocprim17ROCPRIM_400000_NS6detail17trampoline_kernelINS0_14default_configENS1_38merge_sort_block_merge_config_selectorIlNS0_10empty_typeEEEZZNS1_27merge_sort_block_merge_implIS3_PlPS5_mZN2at6native12_GLOBAL__N_124unique_dim_cuda_templateIN3c108BFloat16EEESt5tupleIJNSA_6TensorESH_SH_EERKSH_lbbbEUlllE_EE10hipError_tT0_T1_T2_jT3_P12ihipStream_tbPNSt15iterator_traitsISN_E10value_typeEPNST_ISO_E10value_typeEPSP_NS1_7vsmem_tEENKUlT_SN_SO_SP_E_clIS8_S8_S9_S9_EESM_S12_SN_SO_SP_EUlS12_E0_NS1_11comp_targetILNS1_3genE0ELNS1_11target_archE4294967295ELNS1_3gpuE0ELNS1_3repE0EEENS1_38merge_mergepath_config_static_selectorELNS0_4arch9wavefront6targetE0EEEvSO_.has_dyn_sized_stack, 0
	.set _ZN7rocprim17ROCPRIM_400000_NS6detail17trampoline_kernelINS0_14default_configENS1_38merge_sort_block_merge_config_selectorIlNS0_10empty_typeEEEZZNS1_27merge_sort_block_merge_implIS3_PlPS5_mZN2at6native12_GLOBAL__N_124unique_dim_cuda_templateIN3c108BFloat16EEESt5tupleIJNSA_6TensorESH_SH_EERKSH_lbbbEUlllE_EE10hipError_tT0_T1_T2_jT3_P12ihipStream_tbPNSt15iterator_traitsISN_E10value_typeEPNST_ISO_E10value_typeEPSP_NS1_7vsmem_tEENKUlT_SN_SO_SP_E_clIS8_S8_S9_S9_EESM_S12_SN_SO_SP_EUlS12_E0_NS1_11comp_targetILNS1_3genE0ELNS1_11target_archE4294967295ELNS1_3gpuE0ELNS1_3repE0EEENS1_38merge_mergepath_config_static_selectorELNS0_4arch9wavefront6targetE0EEEvSO_.has_recursion, 0
	.set _ZN7rocprim17ROCPRIM_400000_NS6detail17trampoline_kernelINS0_14default_configENS1_38merge_sort_block_merge_config_selectorIlNS0_10empty_typeEEEZZNS1_27merge_sort_block_merge_implIS3_PlPS5_mZN2at6native12_GLOBAL__N_124unique_dim_cuda_templateIN3c108BFloat16EEESt5tupleIJNSA_6TensorESH_SH_EERKSH_lbbbEUlllE_EE10hipError_tT0_T1_T2_jT3_P12ihipStream_tbPNSt15iterator_traitsISN_E10value_typeEPNST_ISO_E10value_typeEPSP_NS1_7vsmem_tEENKUlT_SN_SO_SP_E_clIS8_S8_S9_S9_EESM_S12_SN_SO_SP_EUlS12_E0_NS1_11comp_targetILNS1_3genE0ELNS1_11target_archE4294967295ELNS1_3gpuE0ELNS1_3repE0EEENS1_38merge_mergepath_config_static_selectorELNS0_4arch9wavefront6targetE0EEEvSO_.has_indirect_call, 0
	.section	.AMDGPU.csdata,"",@progbits
; Kernel info:
; codeLenInByte = 6792
; TotalNumSgprs: 33
; NumVgprs: 40
; ScratchSize: 0
; MemoryBound: 0
; FloatMode: 240
; IeeeMode: 1
; LDSByteSize: 8448 bytes/workgroup (compile time only)
; SGPRBlocks: 0
; VGPRBlocks: 2
; NumSGPRsForWavesPerEU: 33
; NumVGPRsForWavesPerEU: 40
; NamedBarCnt: 0
; Occupancy: 16
; WaveLimiterHint : 1
; COMPUTE_PGM_RSRC2:SCRATCH_EN: 0
; COMPUTE_PGM_RSRC2:USER_SGPR: 2
; COMPUTE_PGM_RSRC2:TRAP_HANDLER: 0
; COMPUTE_PGM_RSRC2:TGID_X_EN: 1
; COMPUTE_PGM_RSRC2:TGID_Y_EN: 1
; COMPUTE_PGM_RSRC2:TGID_Z_EN: 1
; COMPUTE_PGM_RSRC2:TIDIG_COMP_CNT: 0
	.section	.text._ZN7rocprim17ROCPRIM_400000_NS6detail17trampoline_kernelINS0_14default_configENS1_38merge_sort_block_merge_config_selectorIlNS0_10empty_typeEEEZZNS1_27merge_sort_block_merge_implIS3_PlPS5_mZN2at6native12_GLOBAL__N_124unique_dim_cuda_templateIN3c108BFloat16EEESt5tupleIJNSA_6TensorESH_SH_EERKSH_lbbbEUlllE_EE10hipError_tT0_T1_T2_jT3_P12ihipStream_tbPNSt15iterator_traitsISN_E10value_typeEPNST_ISO_E10value_typeEPSP_NS1_7vsmem_tEENKUlT_SN_SO_SP_E_clIS8_S8_S9_S9_EESM_S12_SN_SO_SP_EUlS12_E0_NS1_11comp_targetILNS1_3genE10ELNS1_11target_archE1201ELNS1_3gpuE5ELNS1_3repE0EEENS1_38merge_mergepath_config_static_selectorELNS0_4arch9wavefront6targetE0EEEvSO_,"axG",@progbits,_ZN7rocprim17ROCPRIM_400000_NS6detail17trampoline_kernelINS0_14default_configENS1_38merge_sort_block_merge_config_selectorIlNS0_10empty_typeEEEZZNS1_27merge_sort_block_merge_implIS3_PlPS5_mZN2at6native12_GLOBAL__N_124unique_dim_cuda_templateIN3c108BFloat16EEESt5tupleIJNSA_6TensorESH_SH_EERKSH_lbbbEUlllE_EE10hipError_tT0_T1_T2_jT3_P12ihipStream_tbPNSt15iterator_traitsISN_E10value_typeEPNST_ISO_E10value_typeEPSP_NS1_7vsmem_tEENKUlT_SN_SO_SP_E_clIS8_S8_S9_S9_EESM_S12_SN_SO_SP_EUlS12_E0_NS1_11comp_targetILNS1_3genE10ELNS1_11target_archE1201ELNS1_3gpuE5ELNS1_3repE0EEENS1_38merge_mergepath_config_static_selectorELNS0_4arch9wavefront6targetE0EEEvSO_,comdat
	.globl	_ZN7rocprim17ROCPRIM_400000_NS6detail17trampoline_kernelINS0_14default_configENS1_38merge_sort_block_merge_config_selectorIlNS0_10empty_typeEEEZZNS1_27merge_sort_block_merge_implIS3_PlPS5_mZN2at6native12_GLOBAL__N_124unique_dim_cuda_templateIN3c108BFloat16EEESt5tupleIJNSA_6TensorESH_SH_EERKSH_lbbbEUlllE_EE10hipError_tT0_T1_T2_jT3_P12ihipStream_tbPNSt15iterator_traitsISN_E10value_typeEPNST_ISO_E10value_typeEPSP_NS1_7vsmem_tEENKUlT_SN_SO_SP_E_clIS8_S8_S9_S9_EESM_S12_SN_SO_SP_EUlS12_E0_NS1_11comp_targetILNS1_3genE10ELNS1_11target_archE1201ELNS1_3gpuE5ELNS1_3repE0EEENS1_38merge_mergepath_config_static_selectorELNS0_4arch9wavefront6targetE0EEEvSO_ ; -- Begin function _ZN7rocprim17ROCPRIM_400000_NS6detail17trampoline_kernelINS0_14default_configENS1_38merge_sort_block_merge_config_selectorIlNS0_10empty_typeEEEZZNS1_27merge_sort_block_merge_implIS3_PlPS5_mZN2at6native12_GLOBAL__N_124unique_dim_cuda_templateIN3c108BFloat16EEESt5tupleIJNSA_6TensorESH_SH_EERKSH_lbbbEUlllE_EE10hipError_tT0_T1_T2_jT3_P12ihipStream_tbPNSt15iterator_traitsISN_E10value_typeEPNST_ISO_E10value_typeEPSP_NS1_7vsmem_tEENKUlT_SN_SO_SP_E_clIS8_S8_S9_S9_EESM_S12_SN_SO_SP_EUlS12_E0_NS1_11comp_targetILNS1_3genE10ELNS1_11target_archE1201ELNS1_3gpuE5ELNS1_3repE0EEENS1_38merge_mergepath_config_static_selectorELNS0_4arch9wavefront6targetE0EEEvSO_
	.p2align	8
	.type	_ZN7rocprim17ROCPRIM_400000_NS6detail17trampoline_kernelINS0_14default_configENS1_38merge_sort_block_merge_config_selectorIlNS0_10empty_typeEEEZZNS1_27merge_sort_block_merge_implIS3_PlPS5_mZN2at6native12_GLOBAL__N_124unique_dim_cuda_templateIN3c108BFloat16EEESt5tupleIJNSA_6TensorESH_SH_EERKSH_lbbbEUlllE_EE10hipError_tT0_T1_T2_jT3_P12ihipStream_tbPNSt15iterator_traitsISN_E10value_typeEPNST_ISO_E10value_typeEPSP_NS1_7vsmem_tEENKUlT_SN_SO_SP_E_clIS8_S8_S9_S9_EESM_S12_SN_SO_SP_EUlS12_E0_NS1_11comp_targetILNS1_3genE10ELNS1_11target_archE1201ELNS1_3gpuE5ELNS1_3repE0EEENS1_38merge_mergepath_config_static_selectorELNS0_4arch9wavefront6targetE0EEEvSO_,@function
_ZN7rocprim17ROCPRIM_400000_NS6detail17trampoline_kernelINS0_14default_configENS1_38merge_sort_block_merge_config_selectorIlNS0_10empty_typeEEEZZNS1_27merge_sort_block_merge_implIS3_PlPS5_mZN2at6native12_GLOBAL__N_124unique_dim_cuda_templateIN3c108BFloat16EEESt5tupleIJNSA_6TensorESH_SH_EERKSH_lbbbEUlllE_EE10hipError_tT0_T1_T2_jT3_P12ihipStream_tbPNSt15iterator_traitsISN_E10value_typeEPNST_ISO_E10value_typeEPSP_NS1_7vsmem_tEENKUlT_SN_SO_SP_E_clIS8_S8_S9_S9_EESM_S12_SN_SO_SP_EUlS12_E0_NS1_11comp_targetILNS1_3genE10ELNS1_11target_archE1201ELNS1_3gpuE5ELNS1_3repE0EEENS1_38merge_mergepath_config_static_selectorELNS0_4arch9wavefront6targetE0EEEvSO_: ; @_ZN7rocprim17ROCPRIM_400000_NS6detail17trampoline_kernelINS0_14default_configENS1_38merge_sort_block_merge_config_selectorIlNS0_10empty_typeEEEZZNS1_27merge_sort_block_merge_implIS3_PlPS5_mZN2at6native12_GLOBAL__N_124unique_dim_cuda_templateIN3c108BFloat16EEESt5tupleIJNSA_6TensorESH_SH_EERKSH_lbbbEUlllE_EE10hipError_tT0_T1_T2_jT3_P12ihipStream_tbPNSt15iterator_traitsISN_E10value_typeEPNST_ISO_E10value_typeEPSP_NS1_7vsmem_tEENKUlT_SN_SO_SP_E_clIS8_S8_S9_S9_EESM_S12_SN_SO_SP_EUlS12_E0_NS1_11comp_targetILNS1_3genE10ELNS1_11target_archE1201ELNS1_3gpuE5ELNS1_3repE0EEENS1_38merge_mergepath_config_static_selectorELNS0_4arch9wavefront6targetE0EEEvSO_
; %bb.0:
	.section	.rodata,"a",@progbits
	.p2align	6, 0x0
	.amdhsa_kernel _ZN7rocprim17ROCPRIM_400000_NS6detail17trampoline_kernelINS0_14default_configENS1_38merge_sort_block_merge_config_selectorIlNS0_10empty_typeEEEZZNS1_27merge_sort_block_merge_implIS3_PlPS5_mZN2at6native12_GLOBAL__N_124unique_dim_cuda_templateIN3c108BFloat16EEESt5tupleIJNSA_6TensorESH_SH_EERKSH_lbbbEUlllE_EE10hipError_tT0_T1_T2_jT3_P12ihipStream_tbPNSt15iterator_traitsISN_E10value_typeEPNST_ISO_E10value_typeEPSP_NS1_7vsmem_tEENKUlT_SN_SO_SP_E_clIS8_S8_S9_S9_EESM_S12_SN_SO_SP_EUlS12_E0_NS1_11comp_targetILNS1_3genE10ELNS1_11target_archE1201ELNS1_3gpuE5ELNS1_3repE0EEENS1_38merge_mergepath_config_static_selectorELNS0_4arch9wavefront6targetE0EEEvSO_
		.amdhsa_group_segment_fixed_size 0
		.amdhsa_private_segment_fixed_size 0
		.amdhsa_kernarg_size 88
		.amdhsa_user_sgpr_count 2
		.amdhsa_user_sgpr_dispatch_ptr 0
		.amdhsa_user_sgpr_queue_ptr 0
		.amdhsa_user_sgpr_kernarg_segment_ptr 1
		.amdhsa_user_sgpr_dispatch_id 0
		.amdhsa_user_sgpr_kernarg_preload_length 0
		.amdhsa_user_sgpr_kernarg_preload_offset 0
		.amdhsa_user_sgpr_private_segment_size 0
		.amdhsa_wavefront_size32 1
		.amdhsa_uses_dynamic_stack 0
		.amdhsa_enable_private_segment 0
		.amdhsa_system_sgpr_workgroup_id_x 1
		.amdhsa_system_sgpr_workgroup_id_y 0
		.amdhsa_system_sgpr_workgroup_id_z 0
		.amdhsa_system_sgpr_workgroup_info 0
		.amdhsa_system_vgpr_workitem_id 0
		.amdhsa_next_free_vgpr 1
		.amdhsa_next_free_sgpr 1
		.amdhsa_named_barrier_count 0
		.amdhsa_reserve_vcc 0
		.amdhsa_float_round_mode_32 0
		.amdhsa_float_round_mode_16_64 0
		.amdhsa_float_denorm_mode_32 3
		.amdhsa_float_denorm_mode_16_64 3
		.amdhsa_fp16_overflow 0
		.amdhsa_memory_ordered 1
		.amdhsa_forward_progress 1
		.amdhsa_inst_pref_size 0
		.amdhsa_round_robin_scheduling 0
		.amdhsa_exception_fp_ieee_invalid_op 0
		.amdhsa_exception_fp_denorm_src 0
		.amdhsa_exception_fp_ieee_div_zero 0
		.amdhsa_exception_fp_ieee_overflow 0
		.amdhsa_exception_fp_ieee_underflow 0
		.amdhsa_exception_fp_ieee_inexact 0
		.amdhsa_exception_int_div_zero 0
	.end_amdhsa_kernel
	.section	.text._ZN7rocprim17ROCPRIM_400000_NS6detail17trampoline_kernelINS0_14default_configENS1_38merge_sort_block_merge_config_selectorIlNS0_10empty_typeEEEZZNS1_27merge_sort_block_merge_implIS3_PlPS5_mZN2at6native12_GLOBAL__N_124unique_dim_cuda_templateIN3c108BFloat16EEESt5tupleIJNSA_6TensorESH_SH_EERKSH_lbbbEUlllE_EE10hipError_tT0_T1_T2_jT3_P12ihipStream_tbPNSt15iterator_traitsISN_E10value_typeEPNST_ISO_E10value_typeEPSP_NS1_7vsmem_tEENKUlT_SN_SO_SP_E_clIS8_S8_S9_S9_EESM_S12_SN_SO_SP_EUlS12_E0_NS1_11comp_targetILNS1_3genE10ELNS1_11target_archE1201ELNS1_3gpuE5ELNS1_3repE0EEENS1_38merge_mergepath_config_static_selectorELNS0_4arch9wavefront6targetE0EEEvSO_,"axG",@progbits,_ZN7rocprim17ROCPRIM_400000_NS6detail17trampoline_kernelINS0_14default_configENS1_38merge_sort_block_merge_config_selectorIlNS0_10empty_typeEEEZZNS1_27merge_sort_block_merge_implIS3_PlPS5_mZN2at6native12_GLOBAL__N_124unique_dim_cuda_templateIN3c108BFloat16EEESt5tupleIJNSA_6TensorESH_SH_EERKSH_lbbbEUlllE_EE10hipError_tT0_T1_T2_jT3_P12ihipStream_tbPNSt15iterator_traitsISN_E10value_typeEPNST_ISO_E10value_typeEPSP_NS1_7vsmem_tEENKUlT_SN_SO_SP_E_clIS8_S8_S9_S9_EESM_S12_SN_SO_SP_EUlS12_E0_NS1_11comp_targetILNS1_3genE10ELNS1_11target_archE1201ELNS1_3gpuE5ELNS1_3repE0EEENS1_38merge_mergepath_config_static_selectorELNS0_4arch9wavefront6targetE0EEEvSO_,comdat
.Lfunc_end1134:
	.size	_ZN7rocprim17ROCPRIM_400000_NS6detail17trampoline_kernelINS0_14default_configENS1_38merge_sort_block_merge_config_selectorIlNS0_10empty_typeEEEZZNS1_27merge_sort_block_merge_implIS3_PlPS5_mZN2at6native12_GLOBAL__N_124unique_dim_cuda_templateIN3c108BFloat16EEESt5tupleIJNSA_6TensorESH_SH_EERKSH_lbbbEUlllE_EE10hipError_tT0_T1_T2_jT3_P12ihipStream_tbPNSt15iterator_traitsISN_E10value_typeEPNST_ISO_E10value_typeEPSP_NS1_7vsmem_tEENKUlT_SN_SO_SP_E_clIS8_S8_S9_S9_EESM_S12_SN_SO_SP_EUlS12_E0_NS1_11comp_targetILNS1_3genE10ELNS1_11target_archE1201ELNS1_3gpuE5ELNS1_3repE0EEENS1_38merge_mergepath_config_static_selectorELNS0_4arch9wavefront6targetE0EEEvSO_, .Lfunc_end1134-_ZN7rocprim17ROCPRIM_400000_NS6detail17trampoline_kernelINS0_14default_configENS1_38merge_sort_block_merge_config_selectorIlNS0_10empty_typeEEEZZNS1_27merge_sort_block_merge_implIS3_PlPS5_mZN2at6native12_GLOBAL__N_124unique_dim_cuda_templateIN3c108BFloat16EEESt5tupleIJNSA_6TensorESH_SH_EERKSH_lbbbEUlllE_EE10hipError_tT0_T1_T2_jT3_P12ihipStream_tbPNSt15iterator_traitsISN_E10value_typeEPNST_ISO_E10value_typeEPSP_NS1_7vsmem_tEENKUlT_SN_SO_SP_E_clIS8_S8_S9_S9_EESM_S12_SN_SO_SP_EUlS12_E0_NS1_11comp_targetILNS1_3genE10ELNS1_11target_archE1201ELNS1_3gpuE5ELNS1_3repE0EEENS1_38merge_mergepath_config_static_selectorELNS0_4arch9wavefront6targetE0EEEvSO_
                                        ; -- End function
	.set _ZN7rocprim17ROCPRIM_400000_NS6detail17trampoline_kernelINS0_14default_configENS1_38merge_sort_block_merge_config_selectorIlNS0_10empty_typeEEEZZNS1_27merge_sort_block_merge_implIS3_PlPS5_mZN2at6native12_GLOBAL__N_124unique_dim_cuda_templateIN3c108BFloat16EEESt5tupleIJNSA_6TensorESH_SH_EERKSH_lbbbEUlllE_EE10hipError_tT0_T1_T2_jT3_P12ihipStream_tbPNSt15iterator_traitsISN_E10value_typeEPNST_ISO_E10value_typeEPSP_NS1_7vsmem_tEENKUlT_SN_SO_SP_E_clIS8_S8_S9_S9_EESM_S12_SN_SO_SP_EUlS12_E0_NS1_11comp_targetILNS1_3genE10ELNS1_11target_archE1201ELNS1_3gpuE5ELNS1_3repE0EEENS1_38merge_mergepath_config_static_selectorELNS0_4arch9wavefront6targetE0EEEvSO_.num_vgpr, 0
	.set _ZN7rocprim17ROCPRIM_400000_NS6detail17trampoline_kernelINS0_14default_configENS1_38merge_sort_block_merge_config_selectorIlNS0_10empty_typeEEEZZNS1_27merge_sort_block_merge_implIS3_PlPS5_mZN2at6native12_GLOBAL__N_124unique_dim_cuda_templateIN3c108BFloat16EEESt5tupleIJNSA_6TensorESH_SH_EERKSH_lbbbEUlllE_EE10hipError_tT0_T1_T2_jT3_P12ihipStream_tbPNSt15iterator_traitsISN_E10value_typeEPNST_ISO_E10value_typeEPSP_NS1_7vsmem_tEENKUlT_SN_SO_SP_E_clIS8_S8_S9_S9_EESM_S12_SN_SO_SP_EUlS12_E0_NS1_11comp_targetILNS1_3genE10ELNS1_11target_archE1201ELNS1_3gpuE5ELNS1_3repE0EEENS1_38merge_mergepath_config_static_selectorELNS0_4arch9wavefront6targetE0EEEvSO_.num_agpr, 0
	.set _ZN7rocprim17ROCPRIM_400000_NS6detail17trampoline_kernelINS0_14default_configENS1_38merge_sort_block_merge_config_selectorIlNS0_10empty_typeEEEZZNS1_27merge_sort_block_merge_implIS3_PlPS5_mZN2at6native12_GLOBAL__N_124unique_dim_cuda_templateIN3c108BFloat16EEESt5tupleIJNSA_6TensorESH_SH_EERKSH_lbbbEUlllE_EE10hipError_tT0_T1_T2_jT3_P12ihipStream_tbPNSt15iterator_traitsISN_E10value_typeEPNST_ISO_E10value_typeEPSP_NS1_7vsmem_tEENKUlT_SN_SO_SP_E_clIS8_S8_S9_S9_EESM_S12_SN_SO_SP_EUlS12_E0_NS1_11comp_targetILNS1_3genE10ELNS1_11target_archE1201ELNS1_3gpuE5ELNS1_3repE0EEENS1_38merge_mergepath_config_static_selectorELNS0_4arch9wavefront6targetE0EEEvSO_.numbered_sgpr, 0
	.set _ZN7rocprim17ROCPRIM_400000_NS6detail17trampoline_kernelINS0_14default_configENS1_38merge_sort_block_merge_config_selectorIlNS0_10empty_typeEEEZZNS1_27merge_sort_block_merge_implIS3_PlPS5_mZN2at6native12_GLOBAL__N_124unique_dim_cuda_templateIN3c108BFloat16EEESt5tupleIJNSA_6TensorESH_SH_EERKSH_lbbbEUlllE_EE10hipError_tT0_T1_T2_jT3_P12ihipStream_tbPNSt15iterator_traitsISN_E10value_typeEPNST_ISO_E10value_typeEPSP_NS1_7vsmem_tEENKUlT_SN_SO_SP_E_clIS8_S8_S9_S9_EESM_S12_SN_SO_SP_EUlS12_E0_NS1_11comp_targetILNS1_3genE10ELNS1_11target_archE1201ELNS1_3gpuE5ELNS1_3repE0EEENS1_38merge_mergepath_config_static_selectorELNS0_4arch9wavefront6targetE0EEEvSO_.num_named_barrier, 0
	.set _ZN7rocprim17ROCPRIM_400000_NS6detail17trampoline_kernelINS0_14default_configENS1_38merge_sort_block_merge_config_selectorIlNS0_10empty_typeEEEZZNS1_27merge_sort_block_merge_implIS3_PlPS5_mZN2at6native12_GLOBAL__N_124unique_dim_cuda_templateIN3c108BFloat16EEESt5tupleIJNSA_6TensorESH_SH_EERKSH_lbbbEUlllE_EE10hipError_tT0_T1_T2_jT3_P12ihipStream_tbPNSt15iterator_traitsISN_E10value_typeEPNST_ISO_E10value_typeEPSP_NS1_7vsmem_tEENKUlT_SN_SO_SP_E_clIS8_S8_S9_S9_EESM_S12_SN_SO_SP_EUlS12_E0_NS1_11comp_targetILNS1_3genE10ELNS1_11target_archE1201ELNS1_3gpuE5ELNS1_3repE0EEENS1_38merge_mergepath_config_static_selectorELNS0_4arch9wavefront6targetE0EEEvSO_.private_seg_size, 0
	.set _ZN7rocprim17ROCPRIM_400000_NS6detail17trampoline_kernelINS0_14default_configENS1_38merge_sort_block_merge_config_selectorIlNS0_10empty_typeEEEZZNS1_27merge_sort_block_merge_implIS3_PlPS5_mZN2at6native12_GLOBAL__N_124unique_dim_cuda_templateIN3c108BFloat16EEESt5tupleIJNSA_6TensorESH_SH_EERKSH_lbbbEUlllE_EE10hipError_tT0_T1_T2_jT3_P12ihipStream_tbPNSt15iterator_traitsISN_E10value_typeEPNST_ISO_E10value_typeEPSP_NS1_7vsmem_tEENKUlT_SN_SO_SP_E_clIS8_S8_S9_S9_EESM_S12_SN_SO_SP_EUlS12_E0_NS1_11comp_targetILNS1_3genE10ELNS1_11target_archE1201ELNS1_3gpuE5ELNS1_3repE0EEENS1_38merge_mergepath_config_static_selectorELNS0_4arch9wavefront6targetE0EEEvSO_.uses_vcc, 0
	.set _ZN7rocprim17ROCPRIM_400000_NS6detail17trampoline_kernelINS0_14default_configENS1_38merge_sort_block_merge_config_selectorIlNS0_10empty_typeEEEZZNS1_27merge_sort_block_merge_implIS3_PlPS5_mZN2at6native12_GLOBAL__N_124unique_dim_cuda_templateIN3c108BFloat16EEESt5tupleIJNSA_6TensorESH_SH_EERKSH_lbbbEUlllE_EE10hipError_tT0_T1_T2_jT3_P12ihipStream_tbPNSt15iterator_traitsISN_E10value_typeEPNST_ISO_E10value_typeEPSP_NS1_7vsmem_tEENKUlT_SN_SO_SP_E_clIS8_S8_S9_S9_EESM_S12_SN_SO_SP_EUlS12_E0_NS1_11comp_targetILNS1_3genE10ELNS1_11target_archE1201ELNS1_3gpuE5ELNS1_3repE0EEENS1_38merge_mergepath_config_static_selectorELNS0_4arch9wavefront6targetE0EEEvSO_.uses_flat_scratch, 0
	.set _ZN7rocprim17ROCPRIM_400000_NS6detail17trampoline_kernelINS0_14default_configENS1_38merge_sort_block_merge_config_selectorIlNS0_10empty_typeEEEZZNS1_27merge_sort_block_merge_implIS3_PlPS5_mZN2at6native12_GLOBAL__N_124unique_dim_cuda_templateIN3c108BFloat16EEESt5tupleIJNSA_6TensorESH_SH_EERKSH_lbbbEUlllE_EE10hipError_tT0_T1_T2_jT3_P12ihipStream_tbPNSt15iterator_traitsISN_E10value_typeEPNST_ISO_E10value_typeEPSP_NS1_7vsmem_tEENKUlT_SN_SO_SP_E_clIS8_S8_S9_S9_EESM_S12_SN_SO_SP_EUlS12_E0_NS1_11comp_targetILNS1_3genE10ELNS1_11target_archE1201ELNS1_3gpuE5ELNS1_3repE0EEENS1_38merge_mergepath_config_static_selectorELNS0_4arch9wavefront6targetE0EEEvSO_.has_dyn_sized_stack, 0
	.set _ZN7rocprim17ROCPRIM_400000_NS6detail17trampoline_kernelINS0_14default_configENS1_38merge_sort_block_merge_config_selectorIlNS0_10empty_typeEEEZZNS1_27merge_sort_block_merge_implIS3_PlPS5_mZN2at6native12_GLOBAL__N_124unique_dim_cuda_templateIN3c108BFloat16EEESt5tupleIJNSA_6TensorESH_SH_EERKSH_lbbbEUlllE_EE10hipError_tT0_T1_T2_jT3_P12ihipStream_tbPNSt15iterator_traitsISN_E10value_typeEPNST_ISO_E10value_typeEPSP_NS1_7vsmem_tEENKUlT_SN_SO_SP_E_clIS8_S8_S9_S9_EESM_S12_SN_SO_SP_EUlS12_E0_NS1_11comp_targetILNS1_3genE10ELNS1_11target_archE1201ELNS1_3gpuE5ELNS1_3repE0EEENS1_38merge_mergepath_config_static_selectorELNS0_4arch9wavefront6targetE0EEEvSO_.has_recursion, 0
	.set _ZN7rocprim17ROCPRIM_400000_NS6detail17trampoline_kernelINS0_14default_configENS1_38merge_sort_block_merge_config_selectorIlNS0_10empty_typeEEEZZNS1_27merge_sort_block_merge_implIS3_PlPS5_mZN2at6native12_GLOBAL__N_124unique_dim_cuda_templateIN3c108BFloat16EEESt5tupleIJNSA_6TensorESH_SH_EERKSH_lbbbEUlllE_EE10hipError_tT0_T1_T2_jT3_P12ihipStream_tbPNSt15iterator_traitsISN_E10value_typeEPNST_ISO_E10value_typeEPSP_NS1_7vsmem_tEENKUlT_SN_SO_SP_E_clIS8_S8_S9_S9_EESM_S12_SN_SO_SP_EUlS12_E0_NS1_11comp_targetILNS1_3genE10ELNS1_11target_archE1201ELNS1_3gpuE5ELNS1_3repE0EEENS1_38merge_mergepath_config_static_selectorELNS0_4arch9wavefront6targetE0EEEvSO_.has_indirect_call, 0
	.section	.AMDGPU.csdata,"",@progbits
; Kernel info:
; codeLenInByte = 0
; TotalNumSgprs: 0
; NumVgprs: 0
; ScratchSize: 0
; MemoryBound: 0
; FloatMode: 240
; IeeeMode: 1
; LDSByteSize: 0 bytes/workgroup (compile time only)
; SGPRBlocks: 0
; VGPRBlocks: 0
; NumSGPRsForWavesPerEU: 1
; NumVGPRsForWavesPerEU: 1
; NamedBarCnt: 0
; Occupancy: 16
; WaveLimiterHint : 0
; COMPUTE_PGM_RSRC2:SCRATCH_EN: 0
; COMPUTE_PGM_RSRC2:USER_SGPR: 2
; COMPUTE_PGM_RSRC2:TRAP_HANDLER: 0
; COMPUTE_PGM_RSRC2:TGID_X_EN: 1
; COMPUTE_PGM_RSRC2:TGID_Y_EN: 0
; COMPUTE_PGM_RSRC2:TGID_Z_EN: 0
; COMPUTE_PGM_RSRC2:TIDIG_COMP_CNT: 0
	.section	.text._ZN7rocprim17ROCPRIM_400000_NS6detail17trampoline_kernelINS0_14default_configENS1_38merge_sort_block_merge_config_selectorIlNS0_10empty_typeEEEZZNS1_27merge_sort_block_merge_implIS3_PlPS5_mZN2at6native12_GLOBAL__N_124unique_dim_cuda_templateIN3c108BFloat16EEESt5tupleIJNSA_6TensorESH_SH_EERKSH_lbbbEUlllE_EE10hipError_tT0_T1_T2_jT3_P12ihipStream_tbPNSt15iterator_traitsISN_E10value_typeEPNST_ISO_E10value_typeEPSP_NS1_7vsmem_tEENKUlT_SN_SO_SP_E_clIS8_S8_S9_S9_EESM_S12_SN_SO_SP_EUlS12_E0_NS1_11comp_targetILNS1_3genE5ELNS1_11target_archE942ELNS1_3gpuE9ELNS1_3repE0EEENS1_38merge_mergepath_config_static_selectorELNS0_4arch9wavefront6targetE0EEEvSO_,"axG",@progbits,_ZN7rocprim17ROCPRIM_400000_NS6detail17trampoline_kernelINS0_14default_configENS1_38merge_sort_block_merge_config_selectorIlNS0_10empty_typeEEEZZNS1_27merge_sort_block_merge_implIS3_PlPS5_mZN2at6native12_GLOBAL__N_124unique_dim_cuda_templateIN3c108BFloat16EEESt5tupleIJNSA_6TensorESH_SH_EERKSH_lbbbEUlllE_EE10hipError_tT0_T1_T2_jT3_P12ihipStream_tbPNSt15iterator_traitsISN_E10value_typeEPNST_ISO_E10value_typeEPSP_NS1_7vsmem_tEENKUlT_SN_SO_SP_E_clIS8_S8_S9_S9_EESM_S12_SN_SO_SP_EUlS12_E0_NS1_11comp_targetILNS1_3genE5ELNS1_11target_archE942ELNS1_3gpuE9ELNS1_3repE0EEENS1_38merge_mergepath_config_static_selectorELNS0_4arch9wavefront6targetE0EEEvSO_,comdat
	.globl	_ZN7rocprim17ROCPRIM_400000_NS6detail17trampoline_kernelINS0_14default_configENS1_38merge_sort_block_merge_config_selectorIlNS0_10empty_typeEEEZZNS1_27merge_sort_block_merge_implIS3_PlPS5_mZN2at6native12_GLOBAL__N_124unique_dim_cuda_templateIN3c108BFloat16EEESt5tupleIJNSA_6TensorESH_SH_EERKSH_lbbbEUlllE_EE10hipError_tT0_T1_T2_jT3_P12ihipStream_tbPNSt15iterator_traitsISN_E10value_typeEPNST_ISO_E10value_typeEPSP_NS1_7vsmem_tEENKUlT_SN_SO_SP_E_clIS8_S8_S9_S9_EESM_S12_SN_SO_SP_EUlS12_E0_NS1_11comp_targetILNS1_3genE5ELNS1_11target_archE942ELNS1_3gpuE9ELNS1_3repE0EEENS1_38merge_mergepath_config_static_selectorELNS0_4arch9wavefront6targetE0EEEvSO_ ; -- Begin function _ZN7rocprim17ROCPRIM_400000_NS6detail17trampoline_kernelINS0_14default_configENS1_38merge_sort_block_merge_config_selectorIlNS0_10empty_typeEEEZZNS1_27merge_sort_block_merge_implIS3_PlPS5_mZN2at6native12_GLOBAL__N_124unique_dim_cuda_templateIN3c108BFloat16EEESt5tupleIJNSA_6TensorESH_SH_EERKSH_lbbbEUlllE_EE10hipError_tT0_T1_T2_jT3_P12ihipStream_tbPNSt15iterator_traitsISN_E10value_typeEPNST_ISO_E10value_typeEPSP_NS1_7vsmem_tEENKUlT_SN_SO_SP_E_clIS8_S8_S9_S9_EESM_S12_SN_SO_SP_EUlS12_E0_NS1_11comp_targetILNS1_3genE5ELNS1_11target_archE942ELNS1_3gpuE9ELNS1_3repE0EEENS1_38merge_mergepath_config_static_selectorELNS0_4arch9wavefront6targetE0EEEvSO_
	.p2align	8
	.type	_ZN7rocprim17ROCPRIM_400000_NS6detail17trampoline_kernelINS0_14default_configENS1_38merge_sort_block_merge_config_selectorIlNS0_10empty_typeEEEZZNS1_27merge_sort_block_merge_implIS3_PlPS5_mZN2at6native12_GLOBAL__N_124unique_dim_cuda_templateIN3c108BFloat16EEESt5tupleIJNSA_6TensorESH_SH_EERKSH_lbbbEUlllE_EE10hipError_tT0_T1_T2_jT3_P12ihipStream_tbPNSt15iterator_traitsISN_E10value_typeEPNST_ISO_E10value_typeEPSP_NS1_7vsmem_tEENKUlT_SN_SO_SP_E_clIS8_S8_S9_S9_EESM_S12_SN_SO_SP_EUlS12_E0_NS1_11comp_targetILNS1_3genE5ELNS1_11target_archE942ELNS1_3gpuE9ELNS1_3repE0EEENS1_38merge_mergepath_config_static_selectorELNS0_4arch9wavefront6targetE0EEEvSO_,@function
_ZN7rocprim17ROCPRIM_400000_NS6detail17trampoline_kernelINS0_14default_configENS1_38merge_sort_block_merge_config_selectorIlNS0_10empty_typeEEEZZNS1_27merge_sort_block_merge_implIS3_PlPS5_mZN2at6native12_GLOBAL__N_124unique_dim_cuda_templateIN3c108BFloat16EEESt5tupleIJNSA_6TensorESH_SH_EERKSH_lbbbEUlllE_EE10hipError_tT0_T1_T2_jT3_P12ihipStream_tbPNSt15iterator_traitsISN_E10value_typeEPNST_ISO_E10value_typeEPSP_NS1_7vsmem_tEENKUlT_SN_SO_SP_E_clIS8_S8_S9_S9_EESM_S12_SN_SO_SP_EUlS12_E0_NS1_11comp_targetILNS1_3genE5ELNS1_11target_archE942ELNS1_3gpuE9ELNS1_3repE0EEENS1_38merge_mergepath_config_static_selectorELNS0_4arch9wavefront6targetE0EEEvSO_: ; @_ZN7rocprim17ROCPRIM_400000_NS6detail17trampoline_kernelINS0_14default_configENS1_38merge_sort_block_merge_config_selectorIlNS0_10empty_typeEEEZZNS1_27merge_sort_block_merge_implIS3_PlPS5_mZN2at6native12_GLOBAL__N_124unique_dim_cuda_templateIN3c108BFloat16EEESt5tupleIJNSA_6TensorESH_SH_EERKSH_lbbbEUlllE_EE10hipError_tT0_T1_T2_jT3_P12ihipStream_tbPNSt15iterator_traitsISN_E10value_typeEPNST_ISO_E10value_typeEPSP_NS1_7vsmem_tEENKUlT_SN_SO_SP_E_clIS8_S8_S9_S9_EESM_S12_SN_SO_SP_EUlS12_E0_NS1_11comp_targetILNS1_3genE5ELNS1_11target_archE942ELNS1_3gpuE9ELNS1_3repE0EEENS1_38merge_mergepath_config_static_selectorELNS0_4arch9wavefront6targetE0EEEvSO_
; %bb.0:
	.section	.rodata,"a",@progbits
	.p2align	6, 0x0
	.amdhsa_kernel _ZN7rocprim17ROCPRIM_400000_NS6detail17trampoline_kernelINS0_14default_configENS1_38merge_sort_block_merge_config_selectorIlNS0_10empty_typeEEEZZNS1_27merge_sort_block_merge_implIS3_PlPS5_mZN2at6native12_GLOBAL__N_124unique_dim_cuda_templateIN3c108BFloat16EEESt5tupleIJNSA_6TensorESH_SH_EERKSH_lbbbEUlllE_EE10hipError_tT0_T1_T2_jT3_P12ihipStream_tbPNSt15iterator_traitsISN_E10value_typeEPNST_ISO_E10value_typeEPSP_NS1_7vsmem_tEENKUlT_SN_SO_SP_E_clIS8_S8_S9_S9_EESM_S12_SN_SO_SP_EUlS12_E0_NS1_11comp_targetILNS1_3genE5ELNS1_11target_archE942ELNS1_3gpuE9ELNS1_3repE0EEENS1_38merge_mergepath_config_static_selectorELNS0_4arch9wavefront6targetE0EEEvSO_
		.amdhsa_group_segment_fixed_size 0
		.amdhsa_private_segment_fixed_size 0
		.amdhsa_kernarg_size 88
		.amdhsa_user_sgpr_count 2
		.amdhsa_user_sgpr_dispatch_ptr 0
		.amdhsa_user_sgpr_queue_ptr 0
		.amdhsa_user_sgpr_kernarg_segment_ptr 1
		.amdhsa_user_sgpr_dispatch_id 0
		.amdhsa_user_sgpr_kernarg_preload_length 0
		.amdhsa_user_sgpr_kernarg_preload_offset 0
		.amdhsa_user_sgpr_private_segment_size 0
		.amdhsa_wavefront_size32 1
		.amdhsa_uses_dynamic_stack 0
		.amdhsa_enable_private_segment 0
		.amdhsa_system_sgpr_workgroup_id_x 1
		.amdhsa_system_sgpr_workgroup_id_y 0
		.amdhsa_system_sgpr_workgroup_id_z 0
		.amdhsa_system_sgpr_workgroup_info 0
		.amdhsa_system_vgpr_workitem_id 0
		.amdhsa_next_free_vgpr 1
		.amdhsa_next_free_sgpr 1
		.amdhsa_named_barrier_count 0
		.amdhsa_reserve_vcc 0
		.amdhsa_float_round_mode_32 0
		.amdhsa_float_round_mode_16_64 0
		.amdhsa_float_denorm_mode_32 3
		.amdhsa_float_denorm_mode_16_64 3
		.amdhsa_fp16_overflow 0
		.amdhsa_memory_ordered 1
		.amdhsa_forward_progress 1
		.amdhsa_inst_pref_size 0
		.amdhsa_round_robin_scheduling 0
		.amdhsa_exception_fp_ieee_invalid_op 0
		.amdhsa_exception_fp_denorm_src 0
		.amdhsa_exception_fp_ieee_div_zero 0
		.amdhsa_exception_fp_ieee_overflow 0
		.amdhsa_exception_fp_ieee_underflow 0
		.amdhsa_exception_fp_ieee_inexact 0
		.amdhsa_exception_int_div_zero 0
	.end_amdhsa_kernel
	.section	.text._ZN7rocprim17ROCPRIM_400000_NS6detail17trampoline_kernelINS0_14default_configENS1_38merge_sort_block_merge_config_selectorIlNS0_10empty_typeEEEZZNS1_27merge_sort_block_merge_implIS3_PlPS5_mZN2at6native12_GLOBAL__N_124unique_dim_cuda_templateIN3c108BFloat16EEESt5tupleIJNSA_6TensorESH_SH_EERKSH_lbbbEUlllE_EE10hipError_tT0_T1_T2_jT3_P12ihipStream_tbPNSt15iterator_traitsISN_E10value_typeEPNST_ISO_E10value_typeEPSP_NS1_7vsmem_tEENKUlT_SN_SO_SP_E_clIS8_S8_S9_S9_EESM_S12_SN_SO_SP_EUlS12_E0_NS1_11comp_targetILNS1_3genE5ELNS1_11target_archE942ELNS1_3gpuE9ELNS1_3repE0EEENS1_38merge_mergepath_config_static_selectorELNS0_4arch9wavefront6targetE0EEEvSO_,"axG",@progbits,_ZN7rocprim17ROCPRIM_400000_NS6detail17trampoline_kernelINS0_14default_configENS1_38merge_sort_block_merge_config_selectorIlNS0_10empty_typeEEEZZNS1_27merge_sort_block_merge_implIS3_PlPS5_mZN2at6native12_GLOBAL__N_124unique_dim_cuda_templateIN3c108BFloat16EEESt5tupleIJNSA_6TensorESH_SH_EERKSH_lbbbEUlllE_EE10hipError_tT0_T1_T2_jT3_P12ihipStream_tbPNSt15iterator_traitsISN_E10value_typeEPNST_ISO_E10value_typeEPSP_NS1_7vsmem_tEENKUlT_SN_SO_SP_E_clIS8_S8_S9_S9_EESM_S12_SN_SO_SP_EUlS12_E0_NS1_11comp_targetILNS1_3genE5ELNS1_11target_archE942ELNS1_3gpuE9ELNS1_3repE0EEENS1_38merge_mergepath_config_static_selectorELNS0_4arch9wavefront6targetE0EEEvSO_,comdat
.Lfunc_end1135:
	.size	_ZN7rocprim17ROCPRIM_400000_NS6detail17trampoline_kernelINS0_14default_configENS1_38merge_sort_block_merge_config_selectorIlNS0_10empty_typeEEEZZNS1_27merge_sort_block_merge_implIS3_PlPS5_mZN2at6native12_GLOBAL__N_124unique_dim_cuda_templateIN3c108BFloat16EEESt5tupleIJNSA_6TensorESH_SH_EERKSH_lbbbEUlllE_EE10hipError_tT0_T1_T2_jT3_P12ihipStream_tbPNSt15iterator_traitsISN_E10value_typeEPNST_ISO_E10value_typeEPSP_NS1_7vsmem_tEENKUlT_SN_SO_SP_E_clIS8_S8_S9_S9_EESM_S12_SN_SO_SP_EUlS12_E0_NS1_11comp_targetILNS1_3genE5ELNS1_11target_archE942ELNS1_3gpuE9ELNS1_3repE0EEENS1_38merge_mergepath_config_static_selectorELNS0_4arch9wavefront6targetE0EEEvSO_, .Lfunc_end1135-_ZN7rocprim17ROCPRIM_400000_NS6detail17trampoline_kernelINS0_14default_configENS1_38merge_sort_block_merge_config_selectorIlNS0_10empty_typeEEEZZNS1_27merge_sort_block_merge_implIS3_PlPS5_mZN2at6native12_GLOBAL__N_124unique_dim_cuda_templateIN3c108BFloat16EEESt5tupleIJNSA_6TensorESH_SH_EERKSH_lbbbEUlllE_EE10hipError_tT0_T1_T2_jT3_P12ihipStream_tbPNSt15iterator_traitsISN_E10value_typeEPNST_ISO_E10value_typeEPSP_NS1_7vsmem_tEENKUlT_SN_SO_SP_E_clIS8_S8_S9_S9_EESM_S12_SN_SO_SP_EUlS12_E0_NS1_11comp_targetILNS1_3genE5ELNS1_11target_archE942ELNS1_3gpuE9ELNS1_3repE0EEENS1_38merge_mergepath_config_static_selectorELNS0_4arch9wavefront6targetE0EEEvSO_
                                        ; -- End function
	.set _ZN7rocprim17ROCPRIM_400000_NS6detail17trampoline_kernelINS0_14default_configENS1_38merge_sort_block_merge_config_selectorIlNS0_10empty_typeEEEZZNS1_27merge_sort_block_merge_implIS3_PlPS5_mZN2at6native12_GLOBAL__N_124unique_dim_cuda_templateIN3c108BFloat16EEESt5tupleIJNSA_6TensorESH_SH_EERKSH_lbbbEUlllE_EE10hipError_tT0_T1_T2_jT3_P12ihipStream_tbPNSt15iterator_traitsISN_E10value_typeEPNST_ISO_E10value_typeEPSP_NS1_7vsmem_tEENKUlT_SN_SO_SP_E_clIS8_S8_S9_S9_EESM_S12_SN_SO_SP_EUlS12_E0_NS1_11comp_targetILNS1_3genE5ELNS1_11target_archE942ELNS1_3gpuE9ELNS1_3repE0EEENS1_38merge_mergepath_config_static_selectorELNS0_4arch9wavefront6targetE0EEEvSO_.num_vgpr, 0
	.set _ZN7rocprim17ROCPRIM_400000_NS6detail17trampoline_kernelINS0_14default_configENS1_38merge_sort_block_merge_config_selectorIlNS0_10empty_typeEEEZZNS1_27merge_sort_block_merge_implIS3_PlPS5_mZN2at6native12_GLOBAL__N_124unique_dim_cuda_templateIN3c108BFloat16EEESt5tupleIJNSA_6TensorESH_SH_EERKSH_lbbbEUlllE_EE10hipError_tT0_T1_T2_jT3_P12ihipStream_tbPNSt15iterator_traitsISN_E10value_typeEPNST_ISO_E10value_typeEPSP_NS1_7vsmem_tEENKUlT_SN_SO_SP_E_clIS8_S8_S9_S9_EESM_S12_SN_SO_SP_EUlS12_E0_NS1_11comp_targetILNS1_3genE5ELNS1_11target_archE942ELNS1_3gpuE9ELNS1_3repE0EEENS1_38merge_mergepath_config_static_selectorELNS0_4arch9wavefront6targetE0EEEvSO_.num_agpr, 0
	.set _ZN7rocprim17ROCPRIM_400000_NS6detail17trampoline_kernelINS0_14default_configENS1_38merge_sort_block_merge_config_selectorIlNS0_10empty_typeEEEZZNS1_27merge_sort_block_merge_implIS3_PlPS5_mZN2at6native12_GLOBAL__N_124unique_dim_cuda_templateIN3c108BFloat16EEESt5tupleIJNSA_6TensorESH_SH_EERKSH_lbbbEUlllE_EE10hipError_tT0_T1_T2_jT3_P12ihipStream_tbPNSt15iterator_traitsISN_E10value_typeEPNST_ISO_E10value_typeEPSP_NS1_7vsmem_tEENKUlT_SN_SO_SP_E_clIS8_S8_S9_S9_EESM_S12_SN_SO_SP_EUlS12_E0_NS1_11comp_targetILNS1_3genE5ELNS1_11target_archE942ELNS1_3gpuE9ELNS1_3repE0EEENS1_38merge_mergepath_config_static_selectorELNS0_4arch9wavefront6targetE0EEEvSO_.numbered_sgpr, 0
	.set _ZN7rocprim17ROCPRIM_400000_NS6detail17trampoline_kernelINS0_14default_configENS1_38merge_sort_block_merge_config_selectorIlNS0_10empty_typeEEEZZNS1_27merge_sort_block_merge_implIS3_PlPS5_mZN2at6native12_GLOBAL__N_124unique_dim_cuda_templateIN3c108BFloat16EEESt5tupleIJNSA_6TensorESH_SH_EERKSH_lbbbEUlllE_EE10hipError_tT0_T1_T2_jT3_P12ihipStream_tbPNSt15iterator_traitsISN_E10value_typeEPNST_ISO_E10value_typeEPSP_NS1_7vsmem_tEENKUlT_SN_SO_SP_E_clIS8_S8_S9_S9_EESM_S12_SN_SO_SP_EUlS12_E0_NS1_11comp_targetILNS1_3genE5ELNS1_11target_archE942ELNS1_3gpuE9ELNS1_3repE0EEENS1_38merge_mergepath_config_static_selectorELNS0_4arch9wavefront6targetE0EEEvSO_.num_named_barrier, 0
	.set _ZN7rocprim17ROCPRIM_400000_NS6detail17trampoline_kernelINS0_14default_configENS1_38merge_sort_block_merge_config_selectorIlNS0_10empty_typeEEEZZNS1_27merge_sort_block_merge_implIS3_PlPS5_mZN2at6native12_GLOBAL__N_124unique_dim_cuda_templateIN3c108BFloat16EEESt5tupleIJNSA_6TensorESH_SH_EERKSH_lbbbEUlllE_EE10hipError_tT0_T1_T2_jT3_P12ihipStream_tbPNSt15iterator_traitsISN_E10value_typeEPNST_ISO_E10value_typeEPSP_NS1_7vsmem_tEENKUlT_SN_SO_SP_E_clIS8_S8_S9_S9_EESM_S12_SN_SO_SP_EUlS12_E0_NS1_11comp_targetILNS1_3genE5ELNS1_11target_archE942ELNS1_3gpuE9ELNS1_3repE0EEENS1_38merge_mergepath_config_static_selectorELNS0_4arch9wavefront6targetE0EEEvSO_.private_seg_size, 0
	.set _ZN7rocprim17ROCPRIM_400000_NS6detail17trampoline_kernelINS0_14default_configENS1_38merge_sort_block_merge_config_selectorIlNS0_10empty_typeEEEZZNS1_27merge_sort_block_merge_implIS3_PlPS5_mZN2at6native12_GLOBAL__N_124unique_dim_cuda_templateIN3c108BFloat16EEESt5tupleIJNSA_6TensorESH_SH_EERKSH_lbbbEUlllE_EE10hipError_tT0_T1_T2_jT3_P12ihipStream_tbPNSt15iterator_traitsISN_E10value_typeEPNST_ISO_E10value_typeEPSP_NS1_7vsmem_tEENKUlT_SN_SO_SP_E_clIS8_S8_S9_S9_EESM_S12_SN_SO_SP_EUlS12_E0_NS1_11comp_targetILNS1_3genE5ELNS1_11target_archE942ELNS1_3gpuE9ELNS1_3repE0EEENS1_38merge_mergepath_config_static_selectorELNS0_4arch9wavefront6targetE0EEEvSO_.uses_vcc, 0
	.set _ZN7rocprim17ROCPRIM_400000_NS6detail17trampoline_kernelINS0_14default_configENS1_38merge_sort_block_merge_config_selectorIlNS0_10empty_typeEEEZZNS1_27merge_sort_block_merge_implIS3_PlPS5_mZN2at6native12_GLOBAL__N_124unique_dim_cuda_templateIN3c108BFloat16EEESt5tupleIJNSA_6TensorESH_SH_EERKSH_lbbbEUlllE_EE10hipError_tT0_T1_T2_jT3_P12ihipStream_tbPNSt15iterator_traitsISN_E10value_typeEPNST_ISO_E10value_typeEPSP_NS1_7vsmem_tEENKUlT_SN_SO_SP_E_clIS8_S8_S9_S9_EESM_S12_SN_SO_SP_EUlS12_E0_NS1_11comp_targetILNS1_3genE5ELNS1_11target_archE942ELNS1_3gpuE9ELNS1_3repE0EEENS1_38merge_mergepath_config_static_selectorELNS0_4arch9wavefront6targetE0EEEvSO_.uses_flat_scratch, 0
	.set _ZN7rocprim17ROCPRIM_400000_NS6detail17trampoline_kernelINS0_14default_configENS1_38merge_sort_block_merge_config_selectorIlNS0_10empty_typeEEEZZNS1_27merge_sort_block_merge_implIS3_PlPS5_mZN2at6native12_GLOBAL__N_124unique_dim_cuda_templateIN3c108BFloat16EEESt5tupleIJNSA_6TensorESH_SH_EERKSH_lbbbEUlllE_EE10hipError_tT0_T1_T2_jT3_P12ihipStream_tbPNSt15iterator_traitsISN_E10value_typeEPNST_ISO_E10value_typeEPSP_NS1_7vsmem_tEENKUlT_SN_SO_SP_E_clIS8_S8_S9_S9_EESM_S12_SN_SO_SP_EUlS12_E0_NS1_11comp_targetILNS1_3genE5ELNS1_11target_archE942ELNS1_3gpuE9ELNS1_3repE0EEENS1_38merge_mergepath_config_static_selectorELNS0_4arch9wavefront6targetE0EEEvSO_.has_dyn_sized_stack, 0
	.set _ZN7rocprim17ROCPRIM_400000_NS6detail17trampoline_kernelINS0_14default_configENS1_38merge_sort_block_merge_config_selectorIlNS0_10empty_typeEEEZZNS1_27merge_sort_block_merge_implIS3_PlPS5_mZN2at6native12_GLOBAL__N_124unique_dim_cuda_templateIN3c108BFloat16EEESt5tupleIJNSA_6TensorESH_SH_EERKSH_lbbbEUlllE_EE10hipError_tT0_T1_T2_jT3_P12ihipStream_tbPNSt15iterator_traitsISN_E10value_typeEPNST_ISO_E10value_typeEPSP_NS1_7vsmem_tEENKUlT_SN_SO_SP_E_clIS8_S8_S9_S9_EESM_S12_SN_SO_SP_EUlS12_E0_NS1_11comp_targetILNS1_3genE5ELNS1_11target_archE942ELNS1_3gpuE9ELNS1_3repE0EEENS1_38merge_mergepath_config_static_selectorELNS0_4arch9wavefront6targetE0EEEvSO_.has_recursion, 0
	.set _ZN7rocprim17ROCPRIM_400000_NS6detail17trampoline_kernelINS0_14default_configENS1_38merge_sort_block_merge_config_selectorIlNS0_10empty_typeEEEZZNS1_27merge_sort_block_merge_implIS3_PlPS5_mZN2at6native12_GLOBAL__N_124unique_dim_cuda_templateIN3c108BFloat16EEESt5tupleIJNSA_6TensorESH_SH_EERKSH_lbbbEUlllE_EE10hipError_tT0_T1_T2_jT3_P12ihipStream_tbPNSt15iterator_traitsISN_E10value_typeEPNST_ISO_E10value_typeEPSP_NS1_7vsmem_tEENKUlT_SN_SO_SP_E_clIS8_S8_S9_S9_EESM_S12_SN_SO_SP_EUlS12_E0_NS1_11comp_targetILNS1_3genE5ELNS1_11target_archE942ELNS1_3gpuE9ELNS1_3repE0EEENS1_38merge_mergepath_config_static_selectorELNS0_4arch9wavefront6targetE0EEEvSO_.has_indirect_call, 0
	.section	.AMDGPU.csdata,"",@progbits
; Kernel info:
; codeLenInByte = 0
; TotalNumSgprs: 0
; NumVgprs: 0
; ScratchSize: 0
; MemoryBound: 0
; FloatMode: 240
; IeeeMode: 1
; LDSByteSize: 0 bytes/workgroup (compile time only)
; SGPRBlocks: 0
; VGPRBlocks: 0
; NumSGPRsForWavesPerEU: 1
; NumVGPRsForWavesPerEU: 1
; NamedBarCnt: 0
; Occupancy: 16
; WaveLimiterHint : 0
; COMPUTE_PGM_RSRC2:SCRATCH_EN: 0
; COMPUTE_PGM_RSRC2:USER_SGPR: 2
; COMPUTE_PGM_RSRC2:TRAP_HANDLER: 0
; COMPUTE_PGM_RSRC2:TGID_X_EN: 1
; COMPUTE_PGM_RSRC2:TGID_Y_EN: 0
; COMPUTE_PGM_RSRC2:TGID_Z_EN: 0
; COMPUTE_PGM_RSRC2:TIDIG_COMP_CNT: 0
	.section	.text._ZN7rocprim17ROCPRIM_400000_NS6detail17trampoline_kernelINS0_14default_configENS1_38merge_sort_block_merge_config_selectorIlNS0_10empty_typeEEEZZNS1_27merge_sort_block_merge_implIS3_PlPS5_mZN2at6native12_GLOBAL__N_124unique_dim_cuda_templateIN3c108BFloat16EEESt5tupleIJNSA_6TensorESH_SH_EERKSH_lbbbEUlllE_EE10hipError_tT0_T1_T2_jT3_P12ihipStream_tbPNSt15iterator_traitsISN_E10value_typeEPNST_ISO_E10value_typeEPSP_NS1_7vsmem_tEENKUlT_SN_SO_SP_E_clIS8_S8_S9_S9_EESM_S12_SN_SO_SP_EUlS12_E0_NS1_11comp_targetILNS1_3genE4ELNS1_11target_archE910ELNS1_3gpuE8ELNS1_3repE0EEENS1_38merge_mergepath_config_static_selectorELNS0_4arch9wavefront6targetE0EEEvSO_,"axG",@progbits,_ZN7rocprim17ROCPRIM_400000_NS6detail17trampoline_kernelINS0_14default_configENS1_38merge_sort_block_merge_config_selectorIlNS0_10empty_typeEEEZZNS1_27merge_sort_block_merge_implIS3_PlPS5_mZN2at6native12_GLOBAL__N_124unique_dim_cuda_templateIN3c108BFloat16EEESt5tupleIJNSA_6TensorESH_SH_EERKSH_lbbbEUlllE_EE10hipError_tT0_T1_T2_jT3_P12ihipStream_tbPNSt15iterator_traitsISN_E10value_typeEPNST_ISO_E10value_typeEPSP_NS1_7vsmem_tEENKUlT_SN_SO_SP_E_clIS8_S8_S9_S9_EESM_S12_SN_SO_SP_EUlS12_E0_NS1_11comp_targetILNS1_3genE4ELNS1_11target_archE910ELNS1_3gpuE8ELNS1_3repE0EEENS1_38merge_mergepath_config_static_selectorELNS0_4arch9wavefront6targetE0EEEvSO_,comdat
	.globl	_ZN7rocprim17ROCPRIM_400000_NS6detail17trampoline_kernelINS0_14default_configENS1_38merge_sort_block_merge_config_selectorIlNS0_10empty_typeEEEZZNS1_27merge_sort_block_merge_implIS3_PlPS5_mZN2at6native12_GLOBAL__N_124unique_dim_cuda_templateIN3c108BFloat16EEESt5tupleIJNSA_6TensorESH_SH_EERKSH_lbbbEUlllE_EE10hipError_tT0_T1_T2_jT3_P12ihipStream_tbPNSt15iterator_traitsISN_E10value_typeEPNST_ISO_E10value_typeEPSP_NS1_7vsmem_tEENKUlT_SN_SO_SP_E_clIS8_S8_S9_S9_EESM_S12_SN_SO_SP_EUlS12_E0_NS1_11comp_targetILNS1_3genE4ELNS1_11target_archE910ELNS1_3gpuE8ELNS1_3repE0EEENS1_38merge_mergepath_config_static_selectorELNS0_4arch9wavefront6targetE0EEEvSO_ ; -- Begin function _ZN7rocprim17ROCPRIM_400000_NS6detail17trampoline_kernelINS0_14default_configENS1_38merge_sort_block_merge_config_selectorIlNS0_10empty_typeEEEZZNS1_27merge_sort_block_merge_implIS3_PlPS5_mZN2at6native12_GLOBAL__N_124unique_dim_cuda_templateIN3c108BFloat16EEESt5tupleIJNSA_6TensorESH_SH_EERKSH_lbbbEUlllE_EE10hipError_tT0_T1_T2_jT3_P12ihipStream_tbPNSt15iterator_traitsISN_E10value_typeEPNST_ISO_E10value_typeEPSP_NS1_7vsmem_tEENKUlT_SN_SO_SP_E_clIS8_S8_S9_S9_EESM_S12_SN_SO_SP_EUlS12_E0_NS1_11comp_targetILNS1_3genE4ELNS1_11target_archE910ELNS1_3gpuE8ELNS1_3repE0EEENS1_38merge_mergepath_config_static_selectorELNS0_4arch9wavefront6targetE0EEEvSO_
	.p2align	8
	.type	_ZN7rocprim17ROCPRIM_400000_NS6detail17trampoline_kernelINS0_14default_configENS1_38merge_sort_block_merge_config_selectorIlNS0_10empty_typeEEEZZNS1_27merge_sort_block_merge_implIS3_PlPS5_mZN2at6native12_GLOBAL__N_124unique_dim_cuda_templateIN3c108BFloat16EEESt5tupleIJNSA_6TensorESH_SH_EERKSH_lbbbEUlllE_EE10hipError_tT0_T1_T2_jT3_P12ihipStream_tbPNSt15iterator_traitsISN_E10value_typeEPNST_ISO_E10value_typeEPSP_NS1_7vsmem_tEENKUlT_SN_SO_SP_E_clIS8_S8_S9_S9_EESM_S12_SN_SO_SP_EUlS12_E0_NS1_11comp_targetILNS1_3genE4ELNS1_11target_archE910ELNS1_3gpuE8ELNS1_3repE0EEENS1_38merge_mergepath_config_static_selectorELNS0_4arch9wavefront6targetE0EEEvSO_,@function
_ZN7rocprim17ROCPRIM_400000_NS6detail17trampoline_kernelINS0_14default_configENS1_38merge_sort_block_merge_config_selectorIlNS0_10empty_typeEEEZZNS1_27merge_sort_block_merge_implIS3_PlPS5_mZN2at6native12_GLOBAL__N_124unique_dim_cuda_templateIN3c108BFloat16EEESt5tupleIJNSA_6TensorESH_SH_EERKSH_lbbbEUlllE_EE10hipError_tT0_T1_T2_jT3_P12ihipStream_tbPNSt15iterator_traitsISN_E10value_typeEPNST_ISO_E10value_typeEPSP_NS1_7vsmem_tEENKUlT_SN_SO_SP_E_clIS8_S8_S9_S9_EESM_S12_SN_SO_SP_EUlS12_E0_NS1_11comp_targetILNS1_3genE4ELNS1_11target_archE910ELNS1_3gpuE8ELNS1_3repE0EEENS1_38merge_mergepath_config_static_selectorELNS0_4arch9wavefront6targetE0EEEvSO_: ; @_ZN7rocprim17ROCPRIM_400000_NS6detail17trampoline_kernelINS0_14default_configENS1_38merge_sort_block_merge_config_selectorIlNS0_10empty_typeEEEZZNS1_27merge_sort_block_merge_implIS3_PlPS5_mZN2at6native12_GLOBAL__N_124unique_dim_cuda_templateIN3c108BFloat16EEESt5tupleIJNSA_6TensorESH_SH_EERKSH_lbbbEUlllE_EE10hipError_tT0_T1_T2_jT3_P12ihipStream_tbPNSt15iterator_traitsISN_E10value_typeEPNST_ISO_E10value_typeEPSP_NS1_7vsmem_tEENKUlT_SN_SO_SP_E_clIS8_S8_S9_S9_EESM_S12_SN_SO_SP_EUlS12_E0_NS1_11comp_targetILNS1_3genE4ELNS1_11target_archE910ELNS1_3gpuE8ELNS1_3repE0EEENS1_38merge_mergepath_config_static_selectorELNS0_4arch9wavefront6targetE0EEEvSO_
; %bb.0:
	.section	.rodata,"a",@progbits
	.p2align	6, 0x0
	.amdhsa_kernel _ZN7rocprim17ROCPRIM_400000_NS6detail17trampoline_kernelINS0_14default_configENS1_38merge_sort_block_merge_config_selectorIlNS0_10empty_typeEEEZZNS1_27merge_sort_block_merge_implIS3_PlPS5_mZN2at6native12_GLOBAL__N_124unique_dim_cuda_templateIN3c108BFloat16EEESt5tupleIJNSA_6TensorESH_SH_EERKSH_lbbbEUlllE_EE10hipError_tT0_T1_T2_jT3_P12ihipStream_tbPNSt15iterator_traitsISN_E10value_typeEPNST_ISO_E10value_typeEPSP_NS1_7vsmem_tEENKUlT_SN_SO_SP_E_clIS8_S8_S9_S9_EESM_S12_SN_SO_SP_EUlS12_E0_NS1_11comp_targetILNS1_3genE4ELNS1_11target_archE910ELNS1_3gpuE8ELNS1_3repE0EEENS1_38merge_mergepath_config_static_selectorELNS0_4arch9wavefront6targetE0EEEvSO_
		.amdhsa_group_segment_fixed_size 0
		.amdhsa_private_segment_fixed_size 0
		.amdhsa_kernarg_size 88
		.amdhsa_user_sgpr_count 2
		.amdhsa_user_sgpr_dispatch_ptr 0
		.amdhsa_user_sgpr_queue_ptr 0
		.amdhsa_user_sgpr_kernarg_segment_ptr 1
		.amdhsa_user_sgpr_dispatch_id 0
		.amdhsa_user_sgpr_kernarg_preload_length 0
		.amdhsa_user_sgpr_kernarg_preload_offset 0
		.amdhsa_user_sgpr_private_segment_size 0
		.amdhsa_wavefront_size32 1
		.amdhsa_uses_dynamic_stack 0
		.amdhsa_enable_private_segment 0
		.amdhsa_system_sgpr_workgroup_id_x 1
		.amdhsa_system_sgpr_workgroup_id_y 0
		.amdhsa_system_sgpr_workgroup_id_z 0
		.amdhsa_system_sgpr_workgroup_info 0
		.amdhsa_system_vgpr_workitem_id 0
		.amdhsa_next_free_vgpr 1
		.amdhsa_next_free_sgpr 1
		.amdhsa_named_barrier_count 0
		.amdhsa_reserve_vcc 0
		.amdhsa_float_round_mode_32 0
		.amdhsa_float_round_mode_16_64 0
		.amdhsa_float_denorm_mode_32 3
		.amdhsa_float_denorm_mode_16_64 3
		.amdhsa_fp16_overflow 0
		.amdhsa_memory_ordered 1
		.amdhsa_forward_progress 1
		.amdhsa_inst_pref_size 0
		.amdhsa_round_robin_scheduling 0
		.amdhsa_exception_fp_ieee_invalid_op 0
		.amdhsa_exception_fp_denorm_src 0
		.amdhsa_exception_fp_ieee_div_zero 0
		.amdhsa_exception_fp_ieee_overflow 0
		.amdhsa_exception_fp_ieee_underflow 0
		.amdhsa_exception_fp_ieee_inexact 0
		.amdhsa_exception_int_div_zero 0
	.end_amdhsa_kernel
	.section	.text._ZN7rocprim17ROCPRIM_400000_NS6detail17trampoline_kernelINS0_14default_configENS1_38merge_sort_block_merge_config_selectorIlNS0_10empty_typeEEEZZNS1_27merge_sort_block_merge_implIS3_PlPS5_mZN2at6native12_GLOBAL__N_124unique_dim_cuda_templateIN3c108BFloat16EEESt5tupleIJNSA_6TensorESH_SH_EERKSH_lbbbEUlllE_EE10hipError_tT0_T1_T2_jT3_P12ihipStream_tbPNSt15iterator_traitsISN_E10value_typeEPNST_ISO_E10value_typeEPSP_NS1_7vsmem_tEENKUlT_SN_SO_SP_E_clIS8_S8_S9_S9_EESM_S12_SN_SO_SP_EUlS12_E0_NS1_11comp_targetILNS1_3genE4ELNS1_11target_archE910ELNS1_3gpuE8ELNS1_3repE0EEENS1_38merge_mergepath_config_static_selectorELNS0_4arch9wavefront6targetE0EEEvSO_,"axG",@progbits,_ZN7rocprim17ROCPRIM_400000_NS6detail17trampoline_kernelINS0_14default_configENS1_38merge_sort_block_merge_config_selectorIlNS0_10empty_typeEEEZZNS1_27merge_sort_block_merge_implIS3_PlPS5_mZN2at6native12_GLOBAL__N_124unique_dim_cuda_templateIN3c108BFloat16EEESt5tupleIJNSA_6TensorESH_SH_EERKSH_lbbbEUlllE_EE10hipError_tT0_T1_T2_jT3_P12ihipStream_tbPNSt15iterator_traitsISN_E10value_typeEPNST_ISO_E10value_typeEPSP_NS1_7vsmem_tEENKUlT_SN_SO_SP_E_clIS8_S8_S9_S9_EESM_S12_SN_SO_SP_EUlS12_E0_NS1_11comp_targetILNS1_3genE4ELNS1_11target_archE910ELNS1_3gpuE8ELNS1_3repE0EEENS1_38merge_mergepath_config_static_selectorELNS0_4arch9wavefront6targetE0EEEvSO_,comdat
.Lfunc_end1136:
	.size	_ZN7rocprim17ROCPRIM_400000_NS6detail17trampoline_kernelINS0_14default_configENS1_38merge_sort_block_merge_config_selectorIlNS0_10empty_typeEEEZZNS1_27merge_sort_block_merge_implIS3_PlPS5_mZN2at6native12_GLOBAL__N_124unique_dim_cuda_templateIN3c108BFloat16EEESt5tupleIJNSA_6TensorESH_SH_EERKSH_lbbbEUlllE_EE10hipError_tT0_T1_T2_jT3_P12ihipStream_tbPNSt15iterator_traitsISN_E10value_typeEPNST_ISO_E10value_typeEPSP_NS1_7vsmem_tEENKUlT_SN_SO_SP_E_clIS8_S8_S9_S9_EESM_S12_SN_SO_SP_EUlS12_E0_NS1_11comp_targetILNS1_3genE4ELNS1_11target_archE910ELNS1_3gpuE8ELNS1_3repE0EEENS1_38merge_mergepath_config_static_selectorELNS0_4arch9wavefront6targetE0EEEvSO_, .Lfunc_end1136-_ZN7rocprim17ROCPRIM_400000_NS6detail17trampoline_kernelINS0_14default_configENS1_38merge_sort_block_merge_config_selectorIlNS0_10empty_typeEEEZZNS1_27merge_sort_block_merge_implIS3_PlPS5_mZN2at6native12_GLOBAL__N_124unique_dim_cuda_templateIN3c108BFloat16EEESt5tupleIJNSA_6TensorESH_SH_EERKSH_lbbbEUlllE_EE10hipError_tT0_T1_T2_jT3_P12ihipStream_tbPNSt15iterator_traitsISN_E10value_typeEPNST_ISO_E10value_typeEPSP_NS1_7vsmem_tEENKUlT_SN_SO_SP_E_clIS8_S8_S9_S9_EESM_S12_SN_SO_SP_EUlS12_E0_NS1_11comp_targetILNS1_3genE4ELNS1_11target_archE910ELNS1_3gpuE8ELNS1_3repE0EEENS1_38merge_mergepath_config_static_selectorELNS0_4arch9wavefront6targetE0EEEvSO_
                                        ; -- End function
	.set _ZN7rocprim17ROCPRIM_400000_NS6detail17trampoline_kernelINS0_14default_configENS1_38merge_sort_block_merge_config_selectorIlNS0_10empty_typeEEEZZNS1_27merge_sort_block_merge_implIS3_PlPS5_mZN2at6native12_GLOBAL__N_124unique_dim_cuda_templateIN3c108BFloat16EEESt5tupleIJNSA_6TensorESH_SH_EERKSH_lbbbEUlllE_EE10hipError_tT0_T1_T2_jT3_P12ihipStream_tbPNSt15iterator_traitsISN_E10value_typeEPNST_ISO_E10value_typeEPSP_NS1_7vsmem_tEENKUlT_SN_SO_SP_E_clIS8_S8_S9_S9_EESM_S12_SN_SO_SP_EUlS12_E0_NS1_11comp_targetILNS1_3genE4ELNS1_11target_archE910ELNS1_3gpuE8ELNS1_3repE0EEENS1_38merge_mergepath_config_static_selectorELNS0_4arch9wavefront6targetE0EEEvSO_.num_vgpr, 0
	.set _ZN7rocprim17ROCPRIM_400000_NS6detail17trampoline_kernelINS0_14default_configENS1_38merge_sort_block_merge_config_selectorIlNS0_10empty_typeEEEZZNS1_27merge_sort_block_merge_implIS3_PlPS5_mZN2at6native12_GLOBAL__N_124unique_dim_cuda_templateIN3c108BFloat16EEESt5tupleIJNSA_6TensorESH_SH_EERKSH_lbbbEUlllE_EE10hipError_tT0_T1_T2_jT3_P12ihipStream_tbPNSt15iterator_traitsISN_E10value_typeEPNST_ISO_E10value_typeEPSP_NS1_7vsmem_tEENKUlT_SN_SO_SP_E_clIS8_S8_S9_S9_EESM_S12_SN_SO_SP_EUlS12_E0_NS1_11comp_targetILNS1_3genE4ELNS1_11target_archE910ELNS1_3gpuE8ELNS1_3repE0EEENS1_38merge_mergepath_config_static_selectorELNS0_4arch9wavefront6targetE0EEEvSO_.num_agpr, 0
	.set _ZN7rocprim17ROCPRIM_400000_NS6detail17trampoline_kernelINS0_14default_configENS1_38merge_sort_block_merge_config_selectorIlNS0_10empty_typeEEEZZNS1_27merge_sort_block_merge_implIS3_PlPS5_mZN2at6native12_GLOBAL__N_124unique_dim_cuda_templateIN3c108BFloat16EEESt5tupleIJNSA_6TensorESH_SH_EERKSH_lbbbEUlllE_EE10hipError_tT0_T1_T2_jT3_P12ihipStream_tbPNSt15iterator_traitsISN_E10value_typeEPNST_ISO_E10value_typeEPSP_NS1_7vsmem_tEENKUlT_SN_SO_SP_E_clIS8_S8_S9_S9_EESM_S12_SN_SO_SP_EUlS12_E0_NS1_11comp_targetILNS1_3genE4ELNS1_11target_archE910ELNS1_3gpuE8ELNS1_3repE0EEENS1_38merge_mergepath_config_static_selectorELNS0_4arch9wavefront6targetE0EEEvSO_.numbered_sgpr, 0
	.set _ZN7rocprim17ROCPRIM_400000_NS6detail17trampoline_kernelINS0_14default_configENS1_38merge_sort_block_merge_config_selectorIlNS0_10empty_typeEEEZZNS1_27merge_sort_block_merge_implIS3_PlPS5_mZN2at6native12_GLOBAL__N_124unique_dim_cuda_templateIN3c108BFloat16EEESt5tupleIJNSA_6TensorESH_SH_EERKSH_lbbbEUlllE_EE10hipError_tT0_T1_T2_jT3_P12ihipStream_tbPNSt15iterator_traitsISN_E10value_typeEPNST_ISO_E10value_typeEPSP_NS1_7vsmem_tEENKUlT_SN_SO_SP_E_clIS8_S8_S9_S9_EESM_S12_SN_SO_SP_EUlS12_E0_NS1_11comp_targetILNS1_3genE4ELNS1_11target_archE910ELNS1_3gpuE8ELNS1_3repE0EEENS1_38merge_mergepath_config_static_selectorELNS0_4arch9wavefront6targetE0EEEvSO_.num_named_barrier, 0
	.set _ZN7rocprim17ROCPRIM_400000_NS6detail17trampoline_kernelINS0_14default_configENS1_38merge_sort_block_merge_config_selectorIlNS0_10empty_typeEEEZZNS1_27merge_sort_block_merge_implIS3_PlPS5_mZN2at6native12_GLOBAL__N_124unique_dim_cuda_templateIN3c108BFloat16EEESt5tupleIJNSA_6TensorESH_SH_EERKSH_lbbbEUlllE_EE10hipError_tT0_T1_T2_jT3_P12ihipStream_tbPNSt15iterator_traitsISN_E10value_typeEPNST_ISO_E10value_typeEPSP_NS1_7vsmem_tEENKUlT_SN_SO_SP_E_clIS8_S8_S9_S9_EESM_S12_SN_SO_SP_EUlS12_E0_NS1_11comp_targetILNS1_3genE4ELNS1_11target_archE910ELNS1_3gpuE8ELNS1_3repE0EEENS1_38merge_mergepath_config_static_selectorELNS0_4arch9wavefront6targetE0EEEvSO_.private_seg_size, 0
	.set _ZN7rocprim17ROCPRIM_400000_NS6detail17trampoline_kernelINS0_14default_configENS1_38merge_sort_block_merge_config_selectorIlNS0_10empty_typeEEEZZNS1_27merge_sort_block_merge_implIS3_PlPS5_mZN2at6native12_GLOBAL__N_124unique_dim_cuda_templateIN3c108BFloat16EEESt5tupleIJNSA_6TensorESH_SH_EERKSH_lbbbEUlllE_EE10hipError_tT0_T1_T2_jT3_P12ihipStream_tbPNSt15iterator_traitsISN_E10value_typeEPNST_ISO_E10value_typeEPSP_NS1_7vsmem_tEENKUlT_SN_SO_SP_E_clIS8_S8_S9_S9_EESM_S12_SN_SO_SP_EUlS12_E0_NS1_11comp_targetILNS1_3genE4ELNS1_11target_archE910ELNS1_3gpuE8ELNS1_3repE0EEENS1_38merge_mergepath_config_static_selectorELNS0_4arch9wavefront6targetE0EEEvSO_.uses_vcc, 0
	.set _ZN7rocprim17ROCPRIM_400000_NS6detail17trampoline_kernelINS0_14default_configENS1_38merge_sort_block_merge_config_selectorIlNS0_10empty_typeEEEZZNS1_27merge_sort_block_merge_implIS3_PlPS5_mZN2at6native12_GLOBAL__N_124unique_dim_cuda_templateIN3c108BFloat16EEESt5tupleIJNSA_6TensorESH_SH_EERKSH_lbbbEUlllE_EE10hipError_tT0_T1_T2_jT3_P12ihipStream_tbPNSt15iterator_traitsISN_E10value_typeEPNST_ISO_E10value_typeEPSP_NS1_7vsmem_tEENKUlT_SN_SO_SP_E_clIS8_S8_S9_S9_EESM_S12_SN_SO_SP_EUlS12_E0_NS1_11comp_targetILNS1_3genE4ELNS1_11target_archE910ELNS1_3gpuE8ELNS1_3repE0EEENS1_38merge_mergepath_config_static_selectorELNS0_4arch9wavefront6targetE0EEEvSO_.uses_flat_scratch, 0
	.set _ZN7rocprim17ROCPRIM_400000_NS6detail17trampoline_kernelINS0_14default_configENS1_38merge_sort_block_merge_config_selectorIlNS0_10empty_typeEEEZZNS1_27merge_sort_block_merge_implIS3_PlPS5_mZN2at6native12_GLOBAL__N_124unique_dim_cuda_templateIN3c108BFloat16EEESt5tupleIJNSA_6TensorESH_SH_EERKSH_lbbbEUlllE_EE10hipError_tT0_T1_T2_jT3_P12ihipStream_tbPNSt15iterator_traitsISN_E10value_typeEPNST_ISO_E10value_typeEPSP_NS1_7vsmem_tEENKUlT_SN_SO_SP_E_clIS8_S8_S9_S9_EESM_S12_SN_SO_SP_EUlS12_E0_NS1_11comp_targetILNS1_3genE4ELNS1_11target_archE910ELNS1_3gpuE8ELNS1_3repE0EEENS1_38merge_mergepath_config_static_selectorELNS0_4arch9wavefront6targetE0EEEvSO_.has_dyn_sized_stack, 0
	.set _ZN7rocprim17ROCPRIM_400000_NS6detail17trampoline_kernelINS0_14default_configENS1_38merge_sort_block_merge_config_selectorIlNS0_10empty_typeEEEZZNS1_27merge_sort_block_merge_implIS3_PlPS5_mZN2at6native12_GLOBAL__N_124unique_dim_cuda_templateIN3c108BFloat16EEESt5tupleIJNSA_6TensorESH_SH_EERKSH_lbbbEUlllE_EE10hipError_tT0_T1_T2_jT3_P12ihipStream_tbPNSt15iterator_traitsISN_E10value_typeEPNST_ISO_E10value_typeEPSP_NS1_7vsmem_tEENKUlT_SN_SO_SP_E_clIS8_S8_S9_S9_EESM_S12_SN_SO_SP_EUlS12_E0_NS1_11comp_targetILNS1_3genE4ELNS1_11target_archE910ELNS1_3gpuE8ELNS1_3repE0EEENS1_38merge_mergepath_config_static_selectorELNS0_4arch9wavefront6targetE0EEEvSO_.has_recursion, 0
	.set _ZN7rocprim17ROCPRIM_400000_NS6detail17trampoline_kernelINS0_14default_configENS1_38merge_sort_block_merge_config_selectorIlNS0_10empty_typeEEEZZNS1_27merge_sort_block_merge_implIS3_PlPS5_mZN2at6native12_GLOBAL__N_124unique_dim_cuda_templateIN3c108BFloat16EEESt5tupleIJNSA_6TensorESH_SH_EERKSH_lbbbEUlllE_EE10hipError_tT0_T1_T2_jT3_P12ihipStream_tbPNSt15iterator_traitsISN_E10value_typeEPNST_ISO_E10value_typeEPSP_NS1_7vsmem_tEENKUlT_SN_SO_SP_E_clIS8_S8_S9_S9_EESM_S12_SN_SO_SP_EUlS12_E0_NS1_11comp_targetILNS1_3genE4ELNS1_11target_archE910ELNS1_3gpuE8ELNS1_3repE0EEENS1_38merge_mergepath_config_static_selectorELNS0_4arch9wavefront6targetE0EEEvSO_.has_indirect_call, 0
	.section	.AMDGPU.csdata,"",@progbits
; Kernel info:
; codeLenInByte = 0
; TotalNumSgprs: 0
; NumVgprs: 0
; ScratchSize: 0
; MemoryBound: 0
; FloatMode: 240
; IeeeMode: 1
; LDSByteSize: 0 bytes/workgroup (compile time only)
; SGPRBlocks: 0
; VGPRBlocks: 0
; NumSGPRsForWavesPerEU: 1
; NumVGPRsForWavesPerEU: 1
; NamedBarCnt: 0
; Occupancy: 16
; WaveLimiterHint : 0
; COMPUTE_PGM_RSRC2:SCRATCH_EN: 0
; COMPUTE_PGM_RSRC2:USER_SGPR: 2
; COMPUTE_PGM_RSRC2:TRAP_HANDLER: 0
; COMPUTE_PGM_RSRC2:TGID_X_EN: 1
; COMPUTE_PGM_RSRC2:TGID_Y_EN: 0
; COMPUTE_PGM_RSRC2:TGID_Z_EN: 0
; COMPUTE_PGM_RSRC2:TIDIG_COMP_CNT: 0
	.section	.text._ZN7rocprim17ROCPRIM_400000_NS6detail17trampoline_kernelINS0_14default_configENS1_38merge_sort_block_merge_config_selectorIlNS0_10empty_typeEEEZZNS1_27merge_sort_block_merge_implIS3_PlPS5_mZN2at6native12_GLOBAL__N_124unique_dim_cuda_templateIN3c108BFloat16EEESt5tupleIJNSA_6TensorESH_SH_EERKSH_lbbbEUlllE_EE10hipError_tT0_T1_T2_jT3_P12ihipStream_tbPNSt15iterator_traitsISN_E10value_typeEPNST_ISO_E10value_typeEPSP_NS1_7vsmem_tEENKUlT_SN_SO_SP_E_clIS8_S8_S9_S9_EESM_S12_SN_SO_SP_EUlS12_E0_NS1_11comp_targetILNS1_3genE3ELNS1_11target_archE908ELNS1_3gpuE7ELNS1_3repE0EEENS1_38merge_mergepath_config_static_selectorELNS0_4arch9wavefront6targetE0EEEvSO_,"axG",@progbits,_ZN7rocprim17ROCPRIM_400000_NS6detail17trampoline_kernelINS0_14default_configENS1_38merge_sort_block_merge_config_selectorIlNS0_10empty_typeEEEZZNS1_27merge_sort_block_merge_implIS3_PlPS5_mZN2at6native12_GLOBAL__N_124unique_dim_cuda_templateIN3c108BFloat16EEESt5tupleIJNSA_6TensorESH_SH_EERKSH_lbbbEUlllE_EE10hipError_tT0_T1_T2_jT3_P12ihipStream_tbPNSt15iterator_traitsISN_E10value_typeEPNST_ISO_E10value_typeEPSP_NS1_7vsmem_tEENKUlT_SN_SO_SP_E_clIS8_S8_S9_S9_EESM_S12_SN_SO_SP_EUlS12_E0_NS1_11comp_targetILNS1_3genE3ELNS1_11target_archE908ELNS1_3gpuE7ELNS1_3repE0EEENS1_38merge_mergepath_config_static_selectorELNS0_4arch9wavefront6targetE0EEEvSO_,comdat
	.globl	_ZN7rocprim17ROCPRIM_400000_NS6detail17trampoline_kernelINS0_14default_configENS1_38merge_sort_block_merge_config_selectorIlNS0_10empty_typeEEEZZNS1_27merge_sort_block_merge_implIS3_PlPS5_mZN2at6native12_GLOBAL__N_124unique_dim_cuda_templateIN3c108BFloat16EEESt5tupleIJNSA_6TensorESH_SH_EERKSH_lbbbEUlllE_EE10hipError_tT0_T1_T2_jT3_P12ihipStream_tbPNSt15iterator_traitsISN_E10value_typeEPNST_ISO_E10value_typeEPSP_NS1_7vsmem_tEENKUlT_SN_SO_SP_E_clIS8_S8_S9_S9_EESM_S12_SN_SO_SP_EUlS12_E0_NS1_11comp_targetILNS1_3genE3ELNS1_11target_archE908ELNS1_3gpuE7ELNS1_3repE0EEENS1_38merge_mergepath_config_static_selectorELNS0_4arch9wavefront6targetE0EEEvSO_ ; -- Begin function _ZN7rocprim17ROCPRIM_400000_NS6detail17trampoline_kernelINS0_14default_configENS1_38merge_sort_block_merge_config_selectorIlNS0_10empty_typeEEEZZNS1_27merge_sort_block_merge_implIS3_PlPS5_mZN2at6native12_GLOBAL__N_124unique_dim_cuda_templateIN3c108BFloat16EEESt5tupleIJNSA_6TensorESH_SH_EERKSH_lbbbEUlllE_EE10hipError_tT0_T1_T2_jT3_P12ihipStream_tbPNSt15iterator_traitsISN_E10value_typeEPNST_ISO_E10value_typeEPSP_NS1_7vsmem_tEENKUlT_SN_SO_SP_E_clIS8_S8_S9_S9_EESM_S12_SN_SO_SP_EUlS12_E0_NS1_11comp_targetILNS1_3genE3ELNS1_11target_archE908ELNS1_3gpuE7ELNS1_3repE0EEENS1_38merge_mergepath_config_static_selectorELNS0_4arch9wavefront6targetE0EEEvSO_
	.p2align	8
	.type	_ZN7rocprim17ROCPRIM_400000_NS6detail17trampoline_kernelINS0_14default_configENS1_38merge_sort_block_merge_config_selectorIlNS0_10empty_typeEEEZZNS1_27merge_sort_block_merge_implIS3_PlPS5_mZN2at6native12_GLOBAL__N_124unique_dim_cuda_templateIN3c108BFloat16EEESt5tupleIJNSA_6TensorESH_SH_EERKSH_lbbbEUlllE_EE10hipError_tT0_T1_T2_jT3_P12ihipStream_tbPNSt15iterator_traitsISN_E10value_typeEPNST_ISO_E10value_typeEPSP_NS1_7vsmem_tEENKUlT_SN_SO_SP_E_clIS8_S8_S9_S9_EESM_S12_SN_SO_SP_EUlS12_E0_NS1_11comp_targetILNS1_3genE3ELNS1_11target_archE908ELNS1_3gpuE7ELNS1_3repE0EEENS1_38merge_mergepath_config_static_selectorELNS0_4arch9wavefront6targetE0EEEvSO_,@function
_ZN7rocprim17ROCPRIM_400000_NS6detail17trampoline_kernelINS0_14default_configENS1_38merge_sort_block_merge_config_selectorIlNS0_10empty_typeEEEZZNS1_27merge_sort_block_merge_implIS3_PlPS5_mZN2at6native12_GLOBAL__N_124unique_dim_cuda_templateIN3c108BFloat16EEESt5tupleIJNSA_6TensorESH_SH_EERKSH_lbbbEUlllE_EE10hipError_tT0_T1_T2_jT3_P12ihipStream_tbPNSt15iterator_traitsISN_E10value_typeEPNST_ISO_E10value_typeEPSP_NS1_7vsmem_tEENKUlT_SN_SO_SP_E_clIS8_S8_S9_S9_EESM_S12_SN_SO_SP_EUlS12_E0_NS1_11comp_targetILNS1_3genE3ELNS1_11target_archE908ELNS1_3gpuE7ELNS1_3repE0EEENS1_38merge_mergepath_config_static_selectorELNS0_4arch9wavefront6targetE0EEEvSO_: ; @_ZN7rocprim17ROCPRIM_400000_NS6detail17trampoline_kernelINS0_14default_configENS1_38merge_sort_block_merge_config_selectorIlNS0_10empty_typeEEEZZNS1_27merge_sort_block_merge_implIS3_PlPS5_mZN2at6native12_GLOBAL__N_124unique_dim_cuda_templateIN3c108BFloat16EEESt5tupleIJNSA_6TensorESH_SH_EERKSH_lbbbEUlllE_EE10hipError_tT0_T1_T2_jT3_P12ihipStream_tbPNSt15iterator_traitsISN_E10value_typeEPNST_ISO_E10value_typeEPSP_NS1_7vsmem_tEENKUlT_SN_SO_SP_E_clIS8_S8_S9_S9_EESM_S12_SN_SO_SP_EUlS12_E0_NS1_11comp_targetILNS1_3genE3ELNS1_11target_archE908ELNS1_3gpuE7ELNS1_3repE0EEENS1_38merge_mergepath_config_static_selectorELNS0_4arch9wavefront6targetE0EEEvSO_
; %bb.0:
	.section	.rodata,"a",@progbits
	.p2align	6, 0x0
	.amdhsa_kernel _ZN7rocprim17ROCPRIM_400000_NS6detail17trampoline_kernelINS0_14default_configENS1_38merge_sort_block_merge_config_selectorIlNS0_10empty_typeEEEZZNS1_27merge_sort_block_merge_implIS3_PlPS5_mZN2at6native12_GLOBAL__N_124unique_dim_cuda_templateIN3c108BFloat16EEESt5tupleIJNSA_6TensorESH_SH_EERKSH_lbbbEUlllE_EE10hipError_tT0_T1_T2_jT3_P12ihipStream_tbPNSt15iterator_traitsISN_E10value_typeEPNST_ISO_E10value_typeEPSP_NS1_7vsmem_tEENKUlT_SN_SO_SP_E_clIS8_S8_S9_S9_EESM_S12_SN_SO_SP_EUlS12_E0_NS1_11comp_targetILNS1_3genE3ELNS1_11target_archE908ELNS1_3gpuE7ELNS1_3repE0EEENS1_38merge_mergepath_config_static_selectorELNS0_4arch9wavefront6targetE0EEEvSO_
		.amdhsa_group_segment_fixed_size 0
		.amdhsa_private_segment_fixed_size 0
		.amdhsa_kernarg_size 88
		.amdhsa_user_sgpr_count 2
		.amdhsa_user_sgpr_dispatch_ptr 0
		.amdhsa_user_sgpr_queue_ptr 0
		.amdhsa_user_sgpr_kernarg_segment_ptr 1
		.amdhsa_user_sgpr_dispatch_id 0
		.amdhsa_user_sgpr_kernarg_preload_length 0
		.amdhsa_user_sgpr_kernarg_preload_offset 0
		.amdhsa_user_sgpr_private_segment_size 0
		.amdhsa_wavefront_size32 1
		.amdhsa_uses_dynamic_stack 0
		.amdhsa_enable_private_segment 0
		.amdhsa_system_sgpr_workgroup_id_x 1
		.amdhsa_system_sgpr_workgroup_id_y 0
		.amdhsa_system_sgpr_workgroup_id_z 0
		.amdhsa_system_sgpr_workgroup_info 0
		.amdhsa_system_vgpr_workitem_id 0
		.amdhsa_next_free_vgpr 1
		.amdhsa_next_free_sgpr 1
		.amdhsa_named_barrier_count 0
		.amdhsa_reserve_vcc 0
		.amdhsa_float_round_mode_32 0
		.amdhsa_float_round_mode_16_64 0
		.amdhsa_float_denorm_mode_32 3
		.amdhsa_float_denorm_mode_16_64 3
		.amdhsa_fp16_overflow 0
		.amdhsa_memory_ordered 1
		.amdhsa_forward_progress 1
		.amdhsa_inst_pref_size 0
		.amdhsa_round_robin_scheduling 0
		.amdhsa_exception_fp_ieee_invalid_op 0
		.amdhsa_exception_fp_denorm_src 0
		.amdhsa_exception_fp_ieee_div_zero 0
		.amdhsa_exception_fp_ieee_overflow 0
		.amdhsa_exception_fp_ieee_underflow 0
		.amdhsa_exception_fp_ieee_inexact 0
		.amdhsa_exception_int_div_zero 0
	.end_amdhsa_kernel
	.section	.text._ZN7rocprim17ROCPRIM_400000_NS6detail17trampoline_kernelINS0_14default_configENS1_38merge_sort_block_merge_config_selectorIlNS0_10empty_typeEEEZZNS1_27merge_sort_block_merge_implIS3_PlPS5_mZN2at6native12_GLOBAL__N_124unique_dim_cuda_templateIN3c108BFloat16EEESt5tupleIJNSA_6TensorESH_SH_EERKSH_lbbbEUlllE_EE10hipError_tT0_T1_T2_jT3_P12ihipStream_tbPNSt15iterator_traitsISN_E10value_typeEPNST_ISO_E10value_typeEPSP_NS1_7vsmem_tEENKUlT_SN_SO_SP_E_clIS8_S8_S9_S9_EESM_S12_SN_SO_SP_EUlS12_E0_NS1_11comp_targetILNS1_3genE3ELNS1_11target_archE908ELNS1_3gpuE7ELNS1_3repE0EEENS1_38merge_mergepath_config_static_selectorELNS0_4arch9wavefront6targetE0EEEvSO_,"axG",@progbits,_ZN7rocprim17ROCPRIM_400000_NS6detail17trampoline_kernelINS0_14default_configENS1_38merge_sort_block_merge_config_selectorIlNS0_10empty_typeEEEZZNS1_27merge_sort_block_merge_implIS3_PlPS5_mZN2at6native12_GLOBAL__N_124unique_dim_cuda_templateIN3c108BFloat16EEESt5tupleIJNSA_6TensorESH_SH_EERKSH_lbbbEUlllE_EE10hipError_tT0_T1_T2_jT3_P12ihipStream_tbPNSt15iterator_traitsISN_E10value_typeEPNST_ISO_E10value_typeEPSP_NS1_7vsmem_tEENKUlT_SN_SO_SP_E_clIS8_S8_S9_S9_EESM_S12_SN_SO_SP_EUlS12_E0_NS1_11comp_targetILNS1_3genE3ELNS1_11target_archE908ELNS1_3gpuE7ELNS1_3repE0EEENS1_38merge_mergepath_config_static_selectorELNS0_4arch9wavefront6targetE0EEEvSO_,comdat
.Lfunc_end1137:
	.size	_ZN7rocprim17ROCPRIM_400000_NS6detail17trampoline_kernelINS0_14default_configENS1_38merge_sort_block_merge_config_selectorIlNS0_10empty_typeEEEZZNS1_27merge_sort_block_merge_implIS3_PlPS5_mZN2at6native12_GLOBAL__N_124unique_dim_cuda_templateIN3c108BFloat16EEESt5tupleIJNSA_6TensorESH_SH_EERKSH_lbbbEUlllE_EE10hipError_tT0_T1_T2_jT3_P12ihipStream_tbPNSt15iterator_traitsISN_E10value_typeEPNST_ISO_E10value_typeEPSP_NS1_7vsmem_tEENKUlT_SN_SO_SP_E_clIS8_S8_S9_S9_EESM_S12_SN_SO_SP_EUlS12_E0_NS1_11comp_targetILNS1_3genE3ELNS1_11target_archE908ELNS1_3gpuE7ELNS1_3repE0EEENS1_38merge_mergepath_config_static_selectorELNS0_4arch9wavefront6targetE0EEEvSO_, .Lfunc_end1137-_ZN7rocprim17ROCPRIM_400000_NS6detail17trampoline_kernelINS0_14default_configENS1_38merge_sort_block_merge_config_selectorIlNS0_10empty_typeEEEZZNS1_27merge_sort_block_merge_implIS3_PlPS5_mZN2at6native12_GLOBAL__N_124unique_dim_cuda_templateIN3c108BFloat16EEESt5tupleIJNSA_6TensorESH_SH_EERKSH_lbbbEUlllE_EE10hipError_tT0_T1_T2_jT3_P12ihipStream_tbPNSt15iterator_traitsISN_E10value_typeEPNST_ISO_E10value_typeEPSP_NS1_7vsmem_tEENKUlT_SN_SO_SP_E_clIS8_S8_S9_S9_EESM_S12_SN_SO_SP_EUlS12_E0_NS1_11comp_targetILNS1_3genE3ELNS1_11target_archE908ELNS1_3gpuE7ELNS1_3repE0EEENS1_38merge_mergepath_config_static_selectorELNS0_4arch9wavefront6targetE0EEEvSO_
                                        ; -- End function
	.set _ZN7rocprim17ROCPRIM_400000_NS6detail17trampoline_kernelINS0_14default_configENS1_38merge_sort_block_merge_config_selectorIlNS0_10empty_typeEEEZZNS1_27merge_sort_block_merge_implIS3_PlPS5_mZN2at6native12_GLOBAL__N_124unique_dim_cuda_templateIN3c108BFloat16EEESt5tupleIJNSA_6TensorESH_SH_EERKSH_lbbbEUlllE_EE10hipError_tT0_T1_T2_jT3_P12ihipStream_tbPNSt15iterator_traitsISN_E10value_typeEPNST_ISO_E10value_typeEPSP_NS1_7vsmem_tEENKUlT_SN_SO_SP_E_clIS8_S8_S9_S9_EESM_S12_SN_SO_SP_EUlS12_E0_NS1_11comp_targetILNS1_3genE3ELNS1_11target_archE908ELNS1_3gpuE7ELNS1_3repE0EEENS1_38merge_mergepath_config_static_selectorELNS0_4arch9wavefront6targetE0EEEvSO_.num_vgpr, 0
	.set _ZN7rocprim17ROCPRIM_400000_NS6detail17trampoline_kernelINS0_14default_configENS1_38merge_sort_block_merge_config_selectorIlNS0_10empty_typeEEEZZNS1_27merge_sort_block_merge_implIS3_PlPS5_mZN2at6native12_GLOBAL__N_124unique_dim_cuda_templateIN3c108BFloat16EEESt5tupleIJNSA_6TensorESH_SH_EERKSH_lbbbEUlllE_EE10hipError_tT0_T1_T2_jT3_P12ihipStream_tbPNSt15iterator_traitsISN_E10value_typeEPNST_ISO_E10value_typeEPSP_NS1_7vsmem_tEENKUlT_SN_SO_SP_E_clIS8_S8_S9_S9_EESM_S12_SN_SO_SP_EUlS12_E0_NS1_11comp_targetILNS1_3genE3ELNS1_11target_archE908ELNS1_3gpuE7ELNS1_3repE0EEENS1_38merge_mergepath_config_static_selectorELNS0_4arch9wavefront6targetE0EEEvSO_.num_agpr, 0
	.set _ZN7rocprim17ROCPRIM_400000_NS6detail17trampoline_kernelINS0_14default_configENS1_38merge_sort_block_merge_config_selectorIlNS0_10empty_typeEEEZZNS1_27merge_sort_block_merge_implIS3_PlPS5_mZN2at6native12_GLOBAL__N_124unique_dim_cuda_templateIN3c108BFloat16EEESt5tupleIJNSA_6TensorESH_SH_EERKSH_lbbbEUlllE_EE10hipError_tT0_T1_T2_jT3_P12ihipStream_tbPNSt15iterator_traitsISN_E10value_typeEPNST_ISO_E10value_typeEPSP_NS1_7vsmem_tEENKUlT_SN_SO_SP_E_clIS8_S8_S9_S9_EESM_S12_SN_SO_SP_EUlS12_E0_NS1_11comp_targetILNS1_3genE3ELNS1_11target_archE908ELNS1_3gpuE7ELNS1_3repE0EEENS1_38merge_mergepath_config_static_selectorELNS0_4arch9wavefront6targetE0EEEvSO_.numbered_sgpr, 0
	.set _ZN7rocprim17ROCPRIM_400000_NS6detail17trampoline_kernelINS0_14default_configENS1_38merge_sort_block_merge_config_selectorIlNS0_10empty_typeEEEZZNS1_27merge_sort_block_merge_implIS3_PlPS5_mZN2at6native12_GLOBAL__N_124unique_dim_cuda_templateIN3c108BFloat16EEESt5tupleIJNSA_6TensorESH_SH_EERKSH_lbbbEUlllE_EE10hipError_tT0_T1_T2_jT3_P12ihipStream_tbPNSt15iterator_traitsISN_E10value_typeEPNST_ISO_E10value_typeEPSP_NS1_7vsmem_tEENKUlT_SN_SO_SP_E_clIS8_S8_S9_S9_EESM_S12_SN_SO_SP_EUlS12_E0_NS1_11comp_targetILNS1_3genE3ELNS1_11target_archE908ELNS1_3gpuE7ELNS1_3repE0EEENS1_38merge_mergepath_config_static_selectorELNS0_4arch9wavefront6targetE0EEEvSO_.num_named_barrier, 0
	.set _ZN7rocprim17ROCPRIM_400000_NS6detail17trampoline_kernelINS0_14default_configENS1_38merge_sort_block_merge_config_selectorIlNS0_10empty_typeEEEZZNS1_27merge_sort_block_merge_implIS3_PlPS5_mZN2at6native12_GLOBAL__N_124unique_dim_cuda_templateIN3c108BFloat16EEESt5tupleIJNSA_6TensorESH_SH_EERKSH_lbbbEUlllE_EE10hipError_tT0_T1_T2_jT3_P12ihipStream_tbPNSt15iterator_traitsISN_E10value_typeEPNST_ISO_E10value_typeEPSP_NS1_7vsmem_tEENKUlT_SN_SO_SP_E_clIS8_S8_S9_S9_EESM_S12_SN_SO_SP_EUlS12_E0_NS1_11comp_targetILNS1_3genE3ELNS1_11target_archE908ELNS1_3gpuE7ELNS1_3repE0EEENS1_38merge_mergepath_config_static_selectorELNS0_4arch9wavefront6targetE0EEEvSO_.private_seg_size, 0
	.set _ZN7rocprim17ROCPRIM_400000_NS6detail17trampoline_kernelINS0_14default_configENS1_38merge_sort_block_merge_config_selectorIlNS0_10empty_typeEEEZZNS1_27merge_sort_block_merge_implIS3_PlPS5_mZN2at6native12_GLOBAL__N_124unique_dim_cuda_templateIN3c108BFloat16EEESt5tupleIJNSA_6TensorESH_SH_EERKSH_lbbbEUlllE_EE10hipError_tT0_T1_T2_jT3_P12ihipStream_tbPNSt15iterator_traitsISN_E10value_typeEPNST_ISO_E10value_typeEPSP_NS1_7vsmem_tEENKUlT_SN_SO_SP_E_clIS8_S8_S9_S9_EESM_S12_SN_SO_SP_EUlS12_E0_NS1_11comp_targetILNS1_3genE3ELNS1_11target_archE908ELNS1_3gpuE7ELNS1_3repE0EEENS1_38merge_mergepath_config_static_selectorELNS0_4arch9wavefront6targetE0EEEvSO_.uses_vcc, 0
	.set _ZN7rocprim17ROCPRIM_400000_NS6detail17trampoline_kernelINS0_14default_configENS1_38merge_sort_block_merge_config_selectorIlNS0_10empty_typeEEEZZNS1_27merge_sort_block_merge_implIS3_PlPS5_mZN2at6native12_GLOBAL__N_124unique_dim_cuda_templateIN3c108BFloat16EEESt5tupleIJNSA_6TensorESH_SH_EERKSH_lbbbEUlllE_EE10hipError_tT0_T1_T2_jT3_P12ihipStream_tbPNSt15iterator_traitsISN_E10value_typeEPNST_ISO_E10value_typeEPSP_NS1_7vsmem_tEENKUlT_SN_SO_SP_E_clIS8_S8_S9_S9_EESM_S12_SN_SO_SP_EUlS12_E0_NS1_11comp_targetILNS1_3genE3ELNS1_11target_archE908ELNS1_3gpuE7ELNS1_3repE0EEENS1_38merge_mergepath_config_static_selectorELNS0_4arch9wavefront6targetE0EEEvSO_.uses_flat_scratch, 0
	.set _ZN7rocprim17ROCPRIM_400000_NS6detail17trampoline_kernelINS0_14default_configENS1_38merge_sort_block_merge_config_selectorIlNS0_10empty_typeEEEZZNS1_27merge_sort_block_merge_implIS3_PlPS5_mZN2at6native12_GLOBAL__N_124unique_dim_cuda_templateIN3c108BFloat16EEESt5tupleIJNSA_6TensorESH_SH_EERKSH_lbbbEUlllE_EE10hipError_tT0_T1_T2_jT3_P12ihipStream_tbPNSt15iterator_traitsISN_E10value_typeEPNST_ISO_E10value_typeEPSP_NS1_7vsmem_tEENKUlT_SN_SO_SP_E_clIS8_S8_S9_S9_EESM_S12_SN_SO_SP_EUlS12_E0_NS1_11comp_targetILNS1_3genE3ELNS1_11target_archE908ELNS1_3gpuE7ELNS1_3repE0EEENS1_38merge_mergepath_config_static_selectorELNS0_4arch9wavefront6targetE0EEEvSO_.has_dyn_sized_stack, 0
	.set _ZN7rocprim17ROCPRIM_400000_NS6detail17trampoline_kernelINS0_14default_configENS1_38merge_sort_block_merge_config_selectorIlNS0_10empty_typeEEEZZNS1_27merge_sort_block_merge_implIS3_PlPS5_mZN2at6native12_GLOBAL__N_124unique_dim_cuda_templateIN3c108BFloat16EEESt5tupleIJNSA_6TensorESH_SH_EERKSH_lbbbEUlllE_EE10hipError_tT0_T1_T2_jT3_P12ihipStream_tbPNSt15iterator_traitsISN_E10value_typeEPNST_ISO_E10value_typeEPSP_NS1_7vsmem_tEENKUlT_SN_SO_SP_E_clIS8_S8_S9_S9_EESM_S12_SN_SO_SP_EUlS12_E0_NS1_11comp_targetILNS1_3genE3ELNS1_11target_archE908ELNS1_3gpuE7ELNS1_3repE0EEENS1_38merge_mergepath_config_static_selectorELNS0_4arch9wavefront6targetE0EEEvSO_.has_recursion, 0
	.set _ZN7rocprim17ROCPRIM_400000_NS6detail17trampoline_kernelINS0_14default_configENS1_38merge_sort_block_merge_config_selectorIlNS0_10empty_typeEEEZZNS1_27merge_sort_block_merge_implIS3_PlPS5_mZN2at6native12_GLOBAL__N_124unique_dim_cuda_templateIN3c108BFloat16EEESt5tupleIJNSA_6TensorESH_SH_EERKSH_lbbbEUlllE_EE10hipError_tT0_T1_T2_jT3_P12ihipStream_tbPNSt15iterator_traitsISN_E10value_typeEPNST_ISO_E10value_typeEPSP_NS1_7vsmem_tEENKUlT_SN_SO_SP_E_clIS8_S8_S9_S9_EESM_S12_SN_SO_SP_EUlS12_E0_NS1_11comp_targetILNS1_3genE3ELNS1_11target_archE908ELNS1_3gpuE7ELNS1_3repE0EEENS1_38merge_mergepath_config_static_selectorELNS0_4arch9wavefront6targetE0EEEvSO_.has_indirect_call, 0
	.section	.AMDGPU.csdata,"",@progbits
; Kernel info:
; codeLenInByte = 0
; TotalNumSgprs: 0
; NumVgprs: 0
; ScratchSize: 0
; MemoryBound: 0
; FloatMode: 240
; IeeeMode: 1
; LDSByteSize: 0 bytes/workgroup (compile time only)
; SGPRBlocks: 0
; VGPRBlocks: 0
; NumSGPRsForWavesPerEU: 1
; NumVGPRsForWavesPerEU: 1
; NamedBarCnt: 0
; Occupancy: 16
; WaveLimiterHint : 0
; COMPUTE_PGM_RSRC2:SCRATCH_EN: 0
; COMPUTE_PGM_RSRC2:USER_SGPR: 2
; COMPUTE_PGM_RSRC2:TRAP_HANDLER: 0
; COMPUTE_PGM_RSRC2:TGID_X_EN: 1
; COMPUTE_PGM_RSRC2:TGID_Y_EN: 0
; COMPUTE_PGM_RSRC2:TGID_Z_EN: 0
; COMPUTE_PGM_RSRC2:TIDIG_COMP_CNT: 0
	.section	.text._ZN7rocprim17ROCPRIM_400000_NS6detail17trampoline_kernelINS0_14default_configENS1_38merge_sort_block_merge_config_selectorIlNS0_10empty_typeEEEZZNS1_27merge_sort_block_merge_implIS3_PlPS5_mZN2at6native12_GLOBAL__N_124unique_dim_cuda_templateIN3c108BFloat16EEESt5tupleIJNSA_6TensorESH_SH_EERKSH_lbbbEUlllE_EE10hipError_tT0_T1_T2_jT3_P12ihipStream_tbPNSt15iterator_traitsISN_E10value_typeEPNST_ISO_E10value_typeEPSP_NS1_7vsmem_tEENKUlT_SN_SO_SP_E_clIS8_S8_S9_S9_EESM_S12_SN_SO_SP_EUlS12_E0_NS1_11comp_targetILNS1_3genE2ELNS1_11target_archE906ELNS1_3gpuE6ELNS1_3repE0EEENS1_38merge_mergepath_config_static_selectorELNS0_4arch9wavefront6targetE0EEEvSO_,"axG",@progbits,_ZN7rocprim17ROCPRIM_400000_NS6detail17trampoline_kernelINS0_14default_configENS1_38merge_sort_block_merge_config_selectorIlNS0_10empty_typeEEEZZNS1_27merge_sort_block_merge_implIS3_PlPS5_mZN2at6native12_GLOBAL__N_124unique_dim_cuda_templateIN3c108BFloat16EEESt5tupleIJNSA_6TensorESH_SH_EERKSH_lbbbEUlllE_EE10hipError_tT0_T1_T2_jT3_P12ihipStream_tbPNSt15iterator_traitsISN_E10value_typeEPNST_ISO_E10value_typeEPSP_NS1_7vsmem_tEENKUlT_SN_SO_SP_E_clIS8_S8_S9_S9_EESM_S12_SN_SO_SP_EUlS12_E0_NS1_11comp_targetILNS1_3genE2ELNS1_11target_archE906ELNS1_3gpuE6ELNS1_3repE0EEENS1_38merge_mergepath_config_static_selectorELNS0_4arch9wavefront6targetE0EEEvSO_,comdat
	.globl	_ZN7rocprim17ROCPRIM_400000_NS6detail17trampoline_kernelINS0_14default_configENS1_38merge_sort_block_merge_config_selectorIlNS0_10empty_typeEEEZZNS1_27merge_sort_block_merge_implIS3_PlPS5_mZN2at6native12_GLOBAL__N_124unique_dim_cuda_templateIN3c108BFloat16EEESt5tupleIJNSA_6TensorESH_SH_EERKSH_lbbbEUlllE_EE10hipError_tT0_T1_T2_jT3_P12ihipStream_tbPNSt15iterator_traitsISN_E10value_typeEPNST_ISO_E10value_typeEPSP_NS1_7vsmem_tEENKUlT_SN_SO_SP_E_clIS8_S8_S9_S9_EESM_S12_SN_SO_SP_EUlS12_E0_NS1_11comp_targetILNS1_3genE2ELNS1_11target_archE906ELNS1_3gpuE6ELNS1_3repE0EEENS1_38merge_mergepath_config_static_selectorELNS0_4arch9wavefront6targetE0EEEvSO_ ; -- Begin function _ZN7rocprim17ROCPRIM_400000_NS6detail17trampoline_kernelINS0_14default_configENS1_38merge_sort_block_merge_config_selectorIlNS0_10empty_typeEEEZZNS1_27merge_sort_block_merge_implIS3_PlPS5_mZN2at6native12_GLOBAL__N_124unique_dim_cuda_templateIN3c108BFloat16EEESt5tupleIJNSA_6TensorESH_SH_EERKSH_lbbbEUlllE_EE10hipError_tT0_T1_T2_jT3_P12ihipStream_tbPNSt15iterator_traitsISN_E10value_typeEPNST_ISO_E10value_typeEPSP_NS1_7vsmem_tEENKUlT_SN_SO_SP_E_clIS8_S8_S9_S9_EESM_S12_SN_SO_SP_EUlS12_E0_NS1_11comp_targetILNS1_3genE2ELNS1_11target_archE906ELNS1_3gpuE6ELNS1_3repE0EEENS1_38merge_mergepath_config_static_selectorELNS0_4arch9wavefront6targetE0EEEvSO_
	.p2align	8
	.type	_ZN7rocprim17ROCPRIM_400000_NS6detail17trampoline_kernelINS0_14default_configENS1_38merge_sort_block_merge_config_selectorIlNS0_10empty_typeEEEZZNS1_27merge_sort_block_merge_implIS3_PlPS5_mZN2at6native12_GLOBAL__N_124unique_dim_cuda_templateIN3c108BFloat16EEESt5tupleIJNSA_6TensorESH_SH_EERKSH_lbbbEUlllE_EE10hipError_tT0_T1_T2_jT3_P12ihipStream_tbPNSt15iterator_traitsISN_E10value_typeEPNST_ISO_E10value_typeEPSP_NS1_7vsmem_tEENKUlT_SN_SO_SP_E_clIS8_S8_S9_S9_EESM_S12_SN_SO_SP_EUlS12_E0_NS1_11comp_targetILNS1_3genE2ELNS1_11target_archE906ELNS1_3gpuE6ELNS1_3repE0EEENS1_38merge_mergepath_config_static_selectorELNS0_4arch9wavefront6targetE0EEEvSO_,@function
_ZN7rocprim17ROCPRIM_400000_NS6detail17trampoline_kernelINS0_14default_configENS1_38merge_sort_block_merge_config_selectorIlNS0_10empty_typeEEEZZNS1_27merge_sort_block_merge_implIS3_PlPS5_mZN2at6native12_GLOBAL__N_124unique_dim_cuda_templateIN3c108BFloat16EEESt5tupleIJNSA_6TensorESH_SH_EERKSH_lbbbEUlllE_EE10hipError_tT0_T1_T2_jT3_P12ihipStream_tbPNSt15iterator_traitsISN_E10value_typeEPNST_ISO_E10value_typeEPSP_NS1_7vsmem_tEENKUlT_SN_SO_SP_E_clIS8_S8_S9_S9_EESM_S12_SN_SO_SP_EUlS12_E0_NS1_11comp_targetILNS1_3genE2ELNS1_11target_archE906ELNS1_3gpuE6ELNS1_3repE0EEENS1_38merge_mergepath_config_static_selectorELNS0_4arch9wavefront6targetE0EEEvSO_: ; @_ZN7rocprim17ROCPRIM_400000_NS6detail17trampoline_kernelINS0_14default_configENS1_38merge_sort_block_merge_config_selectorIlNS0_10empty_typeEEEZZNS1_27merge_sort_block_merge_implIS3_PlPS5_mZN2at6native12_GLOBAL__N_124unique_dim_cuda_templateIN3c108BFloat16EEESt5tupleIJNSA_6TensorESH_SH_EERKSH_lbbbEUlllE_EE10hipError_tT0_T1_T2_jT3_P12ihipStream_tbPNSt15iterator_traitsISN_E10value_typeEPNST_ISO_E10value_typeEPSP_NS1_7vsmem_tEENKUlT_SN_SO_SP_E_clIS8_S8_S9_S9_EESM_S12_SN_SO_SP_EUlS12_E0_NS1_11comp_targetILNS1_3genE2ELNS1_11target_archE906ELNS1_3gpuE6ELNS1_3repE0EEENS1_38merge_mergepath_config_static_selectorELNS0_4arch9wavefront6targetE0EEEvSO_
; %bb.0:
	.section	.rodata,"a",@progbits
	.p2align	6, 0x0
	.amdhsa_kernel _ZN7rocprim17ROCPRIM_400000_NS6detail17trampoline_kernelINS0_14default_configENS1_38merge_sort_block_merge_config_selectorIlNS0_10empty_typeEEEZZNS1_27merge_sort_block_merge_implIS3_PlPS5_mZN2at6native12_GLOBAL__N_124unique_dim_cuda_templateIN3c108BFloat16EEESt5tupleIJNSA_6TensorESH_SH_EERKSH_lbbbEUlllE_EE10hipError_tT0_T1_T2_jT3_P12ihipStream_tbPNSt15iterator_traitsISN_E10value_typeEPNST_ISO_E10value_typeEPSP_NS1_7vsmem_tEENKUlT_SN_SO_SP_E_clIS8_S8_S9_S9_EESM_S12_SN_SO_SP_EUlS12_E0_NS1_11comp_targetILNS1_3genE2ELNS1_11target_archE906ELNS1_3gpuE6ELNS1_3repE0EEENS1_38merge_mergepath_config_static_selectorELNS0_4arch9wavefront6targetE0EEEvSO_
		.amdhsa_group_segment_fixed_size 0
		.amdhsa_private_segment_fixed_size 0
		.amdhsa_kernarg_size 88
		.amdhsa_user_sgpr_count 2
		.amdhsa_user_sgpr_dispatch_ptr 0
		.amdhsa_user_sgpr_queue_ptr 0
		.amdhsa_user_sgpr_kernarg_segment_ptr 1
		.amdhsa_user_sgpr_dispatch_id 0
		.amdhsa_user_sgpr_kernarg_preload_length 0
		.amdhsa_user_sgpr_kernarg_preload_offset 0
		.amdhsa_user_sgpr_private_segment_size 0
		.amdhsa_wavefront_size32 1
		.amdhsa_uses_dynamic_stack 0
		.amdhsa_enable_private_segment 0
		.amdhsa_system_sgpr_workgroup_id_x 1
		.amdhsa_system_sgpr_workgroup_id_y 0
		.amdhsa_system_sgpr_workgroup_id_z 0
		.amdhsa_system_sgpr_workgroup_info 0
		.amdhsa_system_vgpr_workitem_id 0
		.amdhsa_next_free_vgpr 1
		.amdhsa_next_free_sgpr 1
		.amdhsa_named_barrier_count 0
		.amdhsa_reserve_vcc 0
		.amdhsa_float_round_mode_32 0
		.amdhsa_float_round_mode_16_64 0
		.amdhsa_float_denorm_mode_32 3
		.amdhsa_float_denorm_mode_16_64 3
		.amdhsa_fp16_overflow 0
		.amdhsa_memory_ordered 1
		.amdhsa_forward_progress 1
		.amdhsa_inst_pref_size 0
		.amdhsa_round_robin_scheduling 0
		.amdhsa_exception_fp_ieee_invalid_op 0
		.amdhsa_exception_fp_denorm_src 0
		.amdhsa_exception_fp_ieee_div_zero 0
		.amdhsa_exception_fp_ieee_overflow 0
		.amdhsa_exception_fp_ieee_underflow 0
		.amdhsa_exception_fp_ieee_inexact 0
		.amdhsa_exception_int_div_zero 0
	.end_amdhsa_kernel
	.section	.text._ZN7rocprim17ROCPRIM_400000_NS6detail17trampoline_kernelINS0_14default_configENS1_38merge_sort_block_merge_config_selectorIlNS0_10empty_typeEEEZZNS1_27merge_sort_block_merge_implIS3_PlPS5_mZN2at6native12_GLOBAL__N_124unique_dim_cuda_templateIN3c108BFloat16EEESt5tupleIJNSA_6TensorESH_SH_EERKSH_lbbbEUlllE_EE10hipError_tT0_T1_T2_jT3_P12ihipStream_tbPNSt15iterator_traitsISN_E10value_typeEPNST_ISO_E10value_typeEPSP_NS1_7vsmem_tEENKUlT_SN_SO_SP_E_clIS8_S8_S9_S9_EESM_S12_SN_SO_SP_EUlS12_E0_NS1_11comp_targetILNS1_3genE2ELNS1_11target_archE906ELNS1_3gpuE6ELNS1_3repE0EEENS1_38merge_mergepath_config_static_selectorELNS0_4arch9wavefront6targetE0EEEvSO_,"axG",@progbits,_ZN7rocprim17ROCPRIM_400000_NS6detail17trampoline_kernelINS0_14default_configENS1_38merge_sort_block_merge_config_selectorIlNS0_10empty_typeEEEZZNS1_27merge_sort_block_merge_implIS3_PlPS5_mZN2at6native12_GLOBAL__N_124unique_dim_cuda_templateIN3c108BFloat16EEESt5tupleIJNSA_6TensorESH_SH_EERKSH_lbbbEUlllE_EE10hipError_tT0_T1_T2_jT3_P12ihipStream_tbPNSt15iterator_traitsISN_E10value_typeEPNST_ISO_E10value_typeEPSP_NS1_7vsmem_tEENKUlT_SN_SO_SP_E_clIS8_S8_S9_S9_EESM_S12_SN_SO_SP_EUlS12_E0_NS1_11comp_targetILNS1_3genE2ELNS1_11target_archE906ELNS1_3gpuE6ELNS1_3repE0EEENS1_38merge_mergepath_config_static_selectorELNS0_4arch9wavefront6targetE0EEEvSO_,comdat
.Lfunc_end1138:
	.size	_ZN7rocprim17ROCPRIM_400000_NS6detail17trampoline_kernelINS0_14default_configENS1_38merge_sort_block_merge_config_selectorIlNS0_10empty_typeEEEZZNS1_27merge_sort_block_merge_implIS3_PlPS5_mZN2at6native12_GLOBAL__N_124unique_dim_cuda_templateIN3c108BFloat16EEESt5tupleIJNSA_6TensorESH_SH_EERKSH_lbbbEUlllE_EE10hipError_tT0_T1_T2_jT3_P12ihipStream_tbPNSt15iterator_traitsISN_E10value_typeEPNST_ISO_E10value_typeEPSP_NS1_7vsmem_tEENKUlT_SN_SO_SP_E_clIS8_S8_S9_S9_EESM_S12_SN_SO_SP_EUlS12_E0_NS1_11comp_targetILNS1_3genE2ELNS1_11target_archE906ELNS1_3gpuE6ELNS1_3repE0EEENS1_38merge_mergepath_config_static_selectorELNS0_4arch9wavefront6targetE0EEEvSO_, .Lfunc_end1138-_ZN7rocprim17ROCPRIM_400000_NS6detail17trampoline_kernelINS0_14default_configENS1_38merge_sort_block_merge_config_selectorIlNS0_10empty_typeEEEZZNS1_27merge_sort_block_merge_implIS3_PlPS5_mZN2at6native12_GLOBAL__N_124unique_dim_cuda_templateIN3c108BFloat16EEESt5tupleIJNSA_6TensorESH_SH_EERKSH_lbbbEUlllE_EE10hipError_tT0_T1_T2_jT3_P12ihipStream_tbPNSt15iterator_traitsISN_E10value_typeEPNST_ISO_E10value_typeEPSP_NS1_7vsmem_tEENKUlT_SN_SO_SP_E_clIS8_S8_S9_S9_EESM_S12_SN_SO_SP_EUlS12_E0_NS1_11comp_targetILNS1_3genE2ELNS1_11target_archE906ELNS1_3gpuE6ELNS1_3repE0EEENS1_38merge_mergepath_config_static_selectorELNS0_4arch9wavefront6targetE0EEEvSO_
                                        ; -- End function
	.set _ZN7rocprim17ROCPRIM_400000_NS6detail17trampoline_kernelINS0_14default_configENS1_38merge_sort_block_merge_config_selectorIlNS0_10empty_typeEEEZZNS1_27merge_sort_block_merge_implIS3_PlPS5_mZN2at6native12_GLOBAL__N_124unique_dim_cuda_templateIN3c108BFloat16EEESt5tupleIJNSA_6TensorESH_SH_EERKSH_lbbbEUlllE_EE10hipError_tT0_T1_T2_jT3_P12ihipStream_tbPNSt15iterator_traitsISN_E10value_typeEPNST_ISO_E10value_typeEPSP_NS1_7vsmem_tEENKUlT_SN_SO_SP_E_clIS8_S8_S9_S9_EESM_S12_SN_SO_SP_EUlS12_E0_NS1_11comp_targetILNS1_3genE2ELNS1_11target_archE906ELNS1_3gpuE6ELNS1_3repE0EEENS1_38merge_mergepath_config_static_selectorELNS0_4arch9wavefront6targetE0EEEvSO_.num_vgpr, 0
	.set _ZN7rocprim17ROCPRIM_400000_NS6detail17trampoline_kernelINS0_14default_configENS1_38merge_sort_block_merge_config_selectorIlNS0_10empty_typeEEEZZNS1_27merge_sort_block_merge_implIS3_PlPS5_mZN2at6native12_GLOBAL__N_124unique_dim_cuda_templateIN3c108BFloat16EEESt5tupleIJNSA_6TensorESH_SH_EERKSH_lbbbEUlllE_EE10hipError_tT0_T1_T2_jT3_P12ihipStream_tbPNSt15iterator_traitsISN_E10value_typeEPNST_ISO_E10value_typeEPSP_NS1_7vsmem_tEENKUlT_SN_SO_SP_E_clIS8_S8_S9_S9_EESM_S12_SN_SO_SP_EUlS12_E0_NS1_11comp_targetILNS1_3genE2ELNS1_11target_archE906ELNS1_3gpuE6ELNS1_3repE0EEENS1_38merge_mergepath_config_static_selectorELNS0_4arch9wavefront6targetE0EEEvSO_.num_agpr, 0
	.set _ZN7rocprim17ROCPRIM_400000_NS6detail17trampoline_kernelINS0_14default_configENS1_38merge_sort_block_merge_config_selectorIlNS0_10empty_typeEEEZZNS1_27merge_sort_block_merge_implIS3_PlPS5_mZN2at6native12_GLOBAL__N_124unique_dim_cuda_templateIN3c108BFloat16EEESt5tupleIJNSA_6TensorESH_SH_EERKSH_lbbbEUlllE_EE10hipError_tT0_T1_T2_jT3_P12ihipStream_tbPNSt15iterator_traitsISN_E10value_typeEPNST_ISO_E10value_typeEPSP_NS1_7vsmem_tEENKUlT_SN_SO_SP_E_clIS8_S8_S9_S9_EESM_S12_SN_SO_SP_EUlS12_E0_NS1_11comp_targetILNS1_3genE2ELNS1_11target_archE906ELNS1_3gpuE6ELNS1_3repE0EEENS1_38merge_mergepath_config_static_selectorELNS0_4arch9wavefront6targetE0EEEvSO_.numbered_sgpr, 0
	.set _ZN7rocprim17ROCPRIM_400000_NS6detail17trampoline_kernelINS0_14default_configENS1_38merge_sort_block_merge_config_selectorIlNS0_10empty_typeEEEZZNS1_27merge_sort_block_merge_implIS3_PlPS5_mZN2at6native12_GLOBAL__N_124unique_dim_cuda_templateIN3c108BFloat16EEESt5tupleIJNSA_6TensorESH_SH_EERKSH_lbbbEUlllE_EE10hipError_tT0_T1_T2_jT3_P12ihipStream_tbPNSt15iterator_traitsISN_E10value_typeEPNST_ISO_E10value_typeEPSP_NS1_7vsmem_tEENKUlT_SN_SO_SP_E_clIS8_S8_S9_S9_EESM_S12_SN_SO_SP_EUlS12_E0_NS1_11comp_targetILNS1_3genE2ELNS1_11target_archE906ELNS1_3gpuE6ELNS1_3repE0EEENS1_38merge_mergepath_config_static_selectorELNS0_4arch9wavefront6targetE0EEEvSO_.num_named_barrier, 0
	.set _ZN7rocprim17ROCPRIM_400000_NS6detail17trampoline_kernelINS0_14default_configENS1_38merge_sort_block_merge_config_selectorIlNS0_10empty_typeEEEZZNS1_27merge_sort_block_merge_implIS3_PlPS5_mZN2at6native12_GLOBAL__N_124unique_dim_cuda_templateIN3c108BFloat16EEESt5tupleIJNSA_6TensorESH_SH_EERKSH_lbbbEUlllE_EE10hipError_tT0_T1_T2_jT3_P12ihipStream_tbPNSt15iterator_traitsISN_E10value_typeEPNST_ISO_E10value_typeEPSP_NS1_7vsmem_tEENKUlT_SN_SO_SP_E_clIS8_S8_S9_S9_EESM_S12_SN_SO_SP_EUlS12_E0_NS1_11comp_targetILNS1_3genE2ELNS1_11target_archE906ELNS1_3gpuE6ELNS1_3repE0EEENS1_38merge_mergepath_config_static_selectorELNS0_4arch9wavefront6targetE0EEEvSO_.private_seg_size, 0
	.set _ZN7rocprim17ROCPRIM_400000_NS6detail17trampoline_kernelINS0_14default_configENS1_38merge_sort_block_merge_config_selectorIlNS0_10empty_typeEEEZZNS1_27merge_sort_block_merge_implIS3_PlPS5_mZN2at6native12_GLOBAL__N_124unique_dim_cuda_templateIN3c108BFloat16EEESt5tupleIJNSA_6TensorESH_SH_EERKSH_lbbbEUlllE_EE10hipError_tT0_T1_T2_jT3_P12ihipStream_tbPNSt15iterator_traitsISN_E10value_typeEPNST_ISO_E10value_typeEPSP_NS1_7vsmem_tEENKUlT_SN_SO_SP_E_clIS8_S8_S9_S9_EESM_S12_SN_SO_SP_EUlS12_E0_NS1_11comp_targetILNS1_3genE2ELNS1_11target_archE906ELNS1_3gpuE6ELNS1_3repE0EEENS1_38merge_mergepath_config_static_selectorELNS0_4arch9wavefront6targetE0EEEvSO_.uses_vcc, 0
	.set _ZN7rocprim17ROCPRIM_400000_NS6detail17trampoline_kernelINS0_14default_configENS1_38merge_sort_block_merge_config_selectorIlNS0_10empty_typeEEEZZNS1_27merge_sort_block_merge_implIS3_PlPS5_mZN2at6native12_GLOBAL__N_124unique_dim_cuda_templateIN3c108BFloat16EEESt5tupleIJNSA_6TensorESH_SH_EERKSH_lbbbEUlllE_EE10hipError_tT0_T1_T2_jT3_P12ihipStream_tbPNSt15iterator_traitsISN_E10value_typeEPNST_ISO_E10value_typeEPSP_NS1_7vsmem_tEENKUlT_SN_SO_SP_E_clIS8_S8_S9_S9_EESM_S12_SN_SO_SP_EUlS12_E0_NS1_11comp_targetILNS1_3genE2ELNS1_11target_archE906ELNS1_3gpuE6ELNS1_3repE0EEENS1_38merge_mergepath_config_static_selectorELNS0_4arch9wavefront6targetE0EEEvSO_.uses_flat_scratch, 0
	.set _ZN7rocprim17ROCPRIM_400000_NS6detail17trampoline_kernelINS0_14default_configENS1_38merge_sort_block_merge_config_selectorIlNS0_10empty_typeEEEZZNS1_27merge_sort_block_merge_implIS3_PlPS5_mZN2at6native12_GLOBAL__N_124unique_dim_cuda_templateIN3c108BFloat16EEESt5tupleIJNSA_6TensorESH_SH_EERKSH_lbbbEUlllE_EE10hipError_tT0_T1_T2_jT3_P12ihipStream_tbPNSt15iterator_traitsISN_E10value_typeEPNST_ISO_E10value_typeEPSP_NS1_7vsmem_tEENKUlT_SN_SO_SP_E_clIS8_S8_S9_S9_EESM_S12_SN_SO_SP_EUlS12_E0_NS1_11comp_targetILNS1_3genE2ELNS1_11target_archE906ELNS1_3gpuE6ELNS1_3repE0EEENS1_38merge_mergepath_config_static_selectorELNS0_4arch9wavefront6targetE0EEEvSO_.has_dyn_sized_stack, 0
	.set _ZN7rocprim17ROCPRIM_400000_NS6detail17trampoline_kernelINS0_14default_configENS1_38merge_sort_block_merge_config_selectorIlNS0_10empty_typeEEEZZNS1_27merge_sort_block_merge_implIS3_PlPS5_mZN2at6native12_GLOBAL__N_124unique_dim_cuda_templateIN3c108BFloat16EEESt5tupleIJNSA_6TensorESH_SH_EERKSH_lbbbEUlllE_EE10hipError_tT0_T1_T2_jT3_P12ihipStream_tbPNSt15iterator_traitsISN_E10value_typeEPNST_ISO_E10value_typeEPSP_NS1_7vsmem_tEENKUlT_SN_SO_SP_E_clIS8_S8_S9_S9_EESM_S12_SN_SO_SP_EUlS12_E0_NS1_11comp_targetILNS1_3genE2ELNS1_11target_archE906ELNS1_3gpuE6ELNS1_3repE0EEENS1_38merge_mergepath_config_static_selectorELNS0_4arch9wavefront6targetE0EEEvSO_.has_recursion, 0
	.set _ZN7rocprim17ROCPRIM_400000_NS6detail17trampoline_kernelINS0_14default_configENS1_38merge_sort_block_merge_config_selectorIlNS0_10empty_typeEEEZZNS1_27merge_sort_block_merge_implIS3_PlPS5_mZN2at6native12_GLOBAL__N_124unique_dim_cuda_templateIN3c108BFloat16EEESt5tupleIJNSA_6TensorESH_SH_EERKSH_lbbbEUlllE_EE10hipError_tT0_T1_T2_jT3_P12ihipStream_tbPNSt15iterator_traitsISN_E10value_typeEPNST_ISO_E10value_typeEPSP_NS1_7vsmem_tEENKUlT_SN_SO_SP_E_clIS8_S8_S9_S9_EESM_S12_SN_SO_SP_EUlS12_E0_NS1_11comp_targetILNS1_3genE2ELNS1_11target_archE906ELNS1_3gpuE6ELNS1_3repE0EEENS1_38merge_mergepath_config_static_selectorELNS0_4arch9wavefront6targetE0EEEvSO_.has_indirect_call, 0
	.section	.AMDGPU.csdata,"",@progbits
; Kernel info:
; codeLenInByte = 0
; TotalNumSgprs: 0
; NumVgprs: 0
; ScratchSize: 0
; MemoryBound: 0
; FloatMode: 240
; IeeeMode: 1
; LDSByteSize: 0 bytes/workgroup (compile time only)
; SGPRBlocks: 0
; VGPRBlocks: 0
; NumSGPRsForWavesPerEU: 1
; NumVGPRsForWavesPerEU: 1
; NamedBarCnt: 0
; Occupancy: 16
; WaveLimiterHint : 0
; COMPUTE_PGM_RSRC2:SCRATCH_EN: 0
; COMPUTE_PGM_RSRC2:USER_SGPR: 2
; COMPUTE_PGM_RSRC2:TRAP_HANDLER: 0
; COMPUTE_PGM_RSRC2:TGID_X_EN: 1
; COMPUTE_PGM_RSRC2:TGID_Y_EN: 0
; COMPUTE_PGM_RSRC2:TGID_Z_EN: 0
; COMPUTE_PGM_RSRC2:TIDIG_COMP_CNT: 0
	.section	.text._ZN7rocprim17ROCPRIM_400000_NS6detail17trampoline_kernelINS0_14default_configENS1_38merge_sort_block_merge_config_selectorIlNS0_10empty_typeEEEZZNS1_27merge_sort_block_merge_implIS3_PlPS5_mZN2at6native12_GLOBAL__N_124unique_dim_cuda_templateIN3c108BFloat16EEESt5tupleIJNSA_6TensorESH_SH_EERKSH_lbbbEUlllE_EE10hipError_tT0_T1_T2_jT3_P12ihipStream_tbPNSt15iterator_traitsISN_E10value_typeEPNST_ISO_E10value_typeEPSP_NS1_7vsmem_tEENKUlT_SN_SO_SP_E_clIS8_S8_S9_S9_EESM_S12_SN_SO_SP_EUlS12_E0_NS1_11comp_targetILNS1_3genE9ELNS1_11target_archE1100ELNS1_3gpuE3ELNS1_3repE0EEENS1_38merge_mergepath_config_static_selectorELNS0_4arch9wavefront6targetE0EEEvSO_,"axG",@progbits,_ZN7rocprim17ROCPRIM_400000_NS6detail17trampoline_kernelINS0_14default_configENS1_38merge_sort_block_merge_config_selectorIlNS0_10empty_typeEEEZZNS1_27merge_sort_block_merge_implIS3_PlPS5_mZN2at6native12_GLOBAL__N_124unique_dim_cuda_templateIN3c108BFloat16EEESt5tupleIJNSA_6TensorESH_SH_EERKSH_lbbbEUlllE_EE10hipError_tT0_T1_T2_jT3_P12ihipStream_tbPNSt15iterator_traitsISN_E10value_typeEPNST_ISO_E10value_typeEPSP_NS1_7vsmem_tEENKUlT_SN_SO_SP_E_clIS8_S8_S9_S9_EESM_S12_SN_SO_SP_EUlS12_E0_NS1_11comp_targetILNS1_3genE9ELNS1_11target_archE1100ELNS1_3gpuE3ELNS1_3repE0EEENS1_38merge_mergepath_config_static_selectorELNS0_4arch9wavefront6targetE0EEEvSO_,comdat
	.globl	_ZN7rocprim17ROCPRIM_400000_NS6detail17trampoline_kernelINS0_14default_configENS1_38merge_sort_block_merge_config_selectorIlNS0_10empty_typeEEEZZNS1_27merge_sort_block_merge_implIS3_PlPS5_mZN2at6native12_GLOBAL__N_124unique_dim_cuda_templateIN3c108BFloat16EEESt5tupleIJNSA_6TensorESH_SH_EERKSH_lbbbEUlllE_EE10hipError_tT0_T1_T2_jT3_P12ihipStream_tbPNSt15iterator_traitsISN_E10value_typeEPNST_ISO_E10value_typeEPSP_NS1_7vsmem_tEENKUlT_SN_SO_SP_E_clIS8_S8_S9_S9_EESM_S12_SN_SO_SP_EUlS12_E0_NS1_11comp_targetILNS1_3genE9ELNS1_11target_archE1100ELNS1_3gpuE3ELNS1_3repE0EEENS1_38merge_mergepath_config_static_selectorELNS0_4arch9wavefront6targetE0EEEvSO_ ; -- Begin function _ZN7rocprim17ROCPRIM_400000_NS6detail17trampoline_kernelINS0_14default_configENS1_38merge_sort_block_merge_config_selectorIlNS0_10empty_typeEEEZZNS1_27merge_sort_block_merge_implIS3_PlPS5_mZN2at6native12_GLOBAL__N_124unique_dim_cuda_templateIN3c108BFloat16EEESt5tupleIJNSA_6TensorESH_SH_EERKSH_lbbbEUlllE_EE10hipError_tT0_T1_T2_jT3_P12ihipStream_tbPNSt15iterator_traitsISN_E10value_typeEPNST_ISO_E10value_typeEPSP_NS1_7vsmem_tEENKUlT_SN_SO_SP_E_clIS8_S8_S9_S9_EESM_S12_SN_SO_SP_EUlS12_E0_NS1_11comp_targetILNS1_3genE9ELNS1_11target_archE1100ELNS1_3gpuE3ELNS1_3repE0EEENS1_38merge_mergepath_config_static_selectorELNS0_4arch9wavefront6targetE0EEEvSO_
	.p2align	8
	.type	_ZN7rocprim17ROCPRIM_400000_NS6detail17trampoline_kernelINS0_14default_configENS1_38merge_sort_block_merge_config_selectorIlNS0_10empty_typeEEEZZNS1_27merge_sort_block_merge_implIS3_PlPS5_mZN2at6native12_GLOBAL__N_124unique_dim_cuda_templateIN3c108BFloat16EEESt5tupleIJNSA_6TensorESH_SH_EERKSH_lbbbEUlllE_EE10hipError_tT0_T1_T2_jT3_P12ihipStream_tbPNSt15iterator_traitsISN_E10value_typeEPNST_ISO_E10value_typeEPSP_NS1_7vsmem_tEENKUlT_SN_SO_SP_E_clIS8_S8_S9_S9_EESM_S12_SN_SO_SP_EUlS12_E0_NS1_11comp_targetILNS1_3genE9ELNS1_11target_archE1100ELNS1_3gpuE3ELNS1_3repE0EEENS1_38merge_mergepath_config_static_selectorELNS0_4arch9wavefront6targetE0EEEvSO_,@function
_ZN7rocprim17ROCPRIM_400000_NS6detail17trampoline_kernelINS0_14default_configENS1_38merge_sort_block_merge_config_selectorIlNS0_10empty_typeEEEZZNS1_27merge_sort_block_merge_implIS3_PlPS5_mZN2at6native12_GLOBAL__N_124unique_dim_cuda_templateIN3c108BFloat16EEESt5tupleIJNSA_6TensorESH_SH_EERKSH_lbbbEUlllE_EE10hipError_tT0_T1_T2_jT3_P12ihipStream_tbPNSt15iterator_traitsISN_E10value_typeEPNST_ISO_E10value_typeEPSP_NS1_7vsmem_tEENKUlT_SN_SO_SP_E_clIS8_S8_S9_S9_EESM_S12_SN_SO_SP_EUlS12_E0_NS1_11comp_targetILNS1_3genE9ELNS1_11target_archE1100ELNS1_3gpuE3ELNS1_3repE0EEENS1_38merge_mergepath_config_static_selectorELNS0_4arch9wavefront6targetE0EEEvSO_: ; @_ZN7rocprim17ROCPRIM_400000_NS6detail17trampoline_kernelINS0_14default_configENS1_38merge_sort_block_merge_config_selectorIlNS0_10empty_typeEEEZZNS1_27merge_sort_block_merge_implIS3_PlPS5_mZN2at6native12_GLOBAL__N_124unique_dim_cuda_templateIN3c108BFloat16EEESt5tupleIJNSA_6TensorESH_SH_EERKSH_lbbbEUlllE_EE10hipError_tT0_T1_T2_jT3_P12ihipStream_tbPNSt15iterator_traitsISN_E10value_typeEPNST_ISO_E10value_typeEPSP_NS1_7vsmem_tEENKUlT_SN_SO_SP_E_clIS8_S8_S9_S9_EESM_S12_SN_SO_SP_EUlS12_E0_NS1_11comp_targetILNS1_3genE9ELNS1_11target_archE1100ELNS1_3gpuE3ELNS1_3repE0EEENS1_38merge_mergepath_config_static_selectorELNS0_4arch9wavefront6targetE0EEEvSO_
; %bb.0:
	.section	.rodata,"a",@progbits
	.p2align	6, 0x0
	.amdhsa_kernel _ZN7rocprim17ROCPRIM_400000_NS6detail17trampoline_kernelINS0_14default_configENS1_38merge_sort_block_merge_config_selectorIlNS0_10empty_typeEEEZZNS1_27merge_sort_block_merge_implIS3_PlPS5_mZN2at6native12_GLOBAL__N_124unique_dim_cuda_templateIN3c108BFloat16EEESt5tupleIJNSA_6TensorESH_SH_EERKSH_lbbbEUlllE_EE10hipError_tT0_T1_T2_jT3_P12ihipStream_tbPNSt15iterator_traitsISN_E10value_typeEPNST_ISO_E10value_typeEPSP_NS1_7vsmem_tEENKUlT_SN_SO_SP_E_clIS8_S8_S9_S9_EESM_S12_SN_SO_SP_EUlS12_E0_NS1_11comp_targetILNS1_3genE9ELNS1_11target_archE1100ELNS1_3gpuE3ELNS1_3repE0EEENS1_38merge_mergepath_config_static_selectorELNS0_4arch9wavefront6targetE0EEEvSO_
		.amdhsa_group_segment_fixed_size 0
		.amdhsa_private_segment_fixed_size 0
		.amdhsa_kernarg_size 88
		.amdhsa_user_sgpr_count 2
		.amdhsa_user_sgpr_dispatch_ptr 0
		.amdhsa_user_sgpr_queue_ptr 0
		.amdhsa_user_sgpr_kernarg_segment_ptr 1
		.amdhsa_user_sgpr_dispatch_id 0
		.amdhsa_user_sgpr_kernarg_preload_length 0
		.amdhsa_user_sgpr_kernarg_preload_offset 0
		.amdhsa_user_sgpr_private_segment_size 0
		.amdhsa_wavefront_size32 1
		.amdhsa_uses_dynamic_stack 0
		.amdhsa_enable_private_segment 0
		.amdhsa_system_sgpr_workgroup_id_x 1
		.amdhsa_system_sgpr_workgroup_id_y 0
		.amdhsa_system_sgpr_workgroup_id_z 0
		.amdhsa_system_sgpr_workgroup_info 0
		.amdhsa_system_vgpr_workitem_id 0
		.amdhsa_next_free_vgpr 1
		.amdhsa_next_free_sgpr 1
		.amdhsa_named_barrier_count 0
		.amdhsa_reserve_vcc 0
		.amdhsa_float_round_mode_32 0
		.amdhsa_float_round_mode_16_64 0
		.amdhsa_float_denorm_mode_32 3
		.amdhsa_float_denorm_mode_16_64 3
		.amdhsa_fp16_overflow 0
		.amdhsa_memory_ordered 1
		.amdhsa_forward_progress 1
		.amdhsa_inst_pref_size 0
		.amdhsa_round_robin_scheduling 0
		.amdhsa_exception_fp_ieee_invalid_op 0
		.amdhsa_exception_fp_denorm_src 0
		.amdhsa_exception_fp_ieee_div_zero 0
		.amdhsa_exception_fp_ieee_overflow 0
		.amdhsa_exception_fp_ieee_underflow 0
		.amdhsa_exception_fp_ieee_inexact 0
		.amdhsa_exception_int_div_zero 0
	.end_amdhsa_kernel
	.section	.text._ZN7rocprim17ROCPRIM_400000_NS6detail17trampoline_kernelINS0_14default_configENS1_38merge_sort_block_merge_config_selectorIlNS0_10empty_typeEEEZZNS1_27merge_sort_block_merge_implIS3_PlPS5_mZN2at6native12_GLOBAL__N_124unique_dim_cuda_templateIN3c108BFloat16EEESt5tupleIJNSA_6TensorESH_SH_EERKSH_lbbbEUlllE_EE10hipError_tT0_T1_T2_jT3_P12ihipStream_tbPNSt15iterator_traitsISN_E10value_typeEPNST_ISO_E10value_typeEPSP_NS1_7vsmem_tEENKUlT_SN_SO_SP_E_clIS8_S8_S9_S9_EESM_S12_SN_SO_SP_EUlS12_E0_NS1_11comp_targetILNS1_3genE9ELNS1_11target_archE1100ELNS1_3gpuE3ELNS1_3repE0EEENS1_38merge_mergepath_config_static_selectorELNS0_4arch9wavefront6targetE0EEEvSO_,"axG",@progbits,_ZN7rocprim17ROCPRIM_400000_NS6detail17trampoline_kernelINS0_14default_configENS1_38merge_sort_block_merge_config_selectorIlNS0_10empty_typeEEEZZNS1_27merge_sort_block_merge_implIS3_PlPS5_mZN2at6native12_GLOBAL__N_124unique_dim_cuda_templateIN3c108BFloat16EEESt5tupleIJNSA_6TensorESH_SH_EERKSH_lbbbEUlllE_EE10hipError_tT0_T1_T2_jT3_P12ihipStream_tbPNSt15iterator_traitsISN_E10value_typeEPNST_ISO_E10value_typeEPSP_NS1_7vsmem_tEENKUlT_SN_SO_SP_E_clIS8_S8_S9_S9_EESM_S12_SN_SO_SP_EUlS12_E0_NS1_11comp_targetILNS1_3genE9ELNS1_11target_archE1100ELNS1_3gpuE3ELNS1_3repE0EEENS1_38merge_mergepath_config_static_selectorELNS0_4arch9wavefront6targetE0EEEvSO_,comdat
.Lfunc_end1139:
	.size	_ZN7rocprim17ROCPRIM_400000_NS6detail17trampoline_kernelINS0_14default_configENS1_38merge_sort_block_merge_config_selectorIlNS0_10empty_typeEEEZZNS1_27merge_sort_block_merge_implIS3_PlPS5_mZN2at6native12_GLOBAL__N_124unique_dim_cuda_templateIN3c108BFloat16EEESt5tupleIJNSA_6TensorESH_SH_EERKSH_lbbbEUlllE_EE10hipError_tT0_T1_T2_jT3_P12ihipStream_tbPNSt15iterator_traitsISN_E10value_typeEPNST_ISO_E10value_typeEPSP_NS1_7vsmem_tEENKUlT_SN_SO_SP_E_clIS8_S8_S9_S9_EESM_S12_SN_SO_SP_EUlS12_E0_NS1_11comp_targetILNS1_3genE9ELNS1_11target_archE1100ELNS1_3gpuE3ELNS1_3repE0EEENS1_38merge_mergepath_config_static_selectorELNS0_4arch9wavefront6targetE0EEEvSO_, .Lfunc_end1139-_ZN7rocprim17ROCPRIM_400000_NS6detail17trampoline_kernelINS0_14default_configENS1_38merge_sort_block_merge_config_selectorIlNS0_10empty_typeEEEZZNS1_27merge_sort_block_merge_implIS3_PlPS5_mZN2at6native12_GLOBAL__N_124unique_dim_cuda_templateIN3c108BFloat16EEESt5tupleIJNSA_6TensorESH_SH_EERKSH_lbbbEUlllE_EE10hipError_tT0_T1_T2_jT3_P12ihipStream_tbPNSt15iterator_traitsISN_E10value_typeEPNST_ISO_E10value_typeEPSP_NS1_7vsmem_tEENKUlT_SN_SO_SP_E_clIS8_S8_S9_S9_EESM_S12_SN_SO_SP_EUlS12_E0_NS1_11comp_targetILNS1_3genE9ELNS1_11target_archE1100ELNS1_3gpuE3ELNS1_3repE0EEENS1_38merge_mergepath_config_static_selectorELNS0_4arch9wavefront6targetE0EEEvSO_
                                        ; -- End function
	.set _ZN7rocprim17ROCPRIM_400000_NS6detail17trampoline_kernelINS0_14default_configENS1_38merge_sort_block_merge_config_selectorIlNS0_10empty_typeEEEZZNS1_27merge_sort_block_merge_implIS3_PlPS5_mZN2at6native12_GLOBAL__N_124unique_dim_cuda_templateIN3c108BFloat16EEESt5tupleIJNSA_6TensorESH_SH_EERKSH_lbbbEUlllE_EE10hipError_tT0_T1_T2_jT3_P12ihipStream_tbPNSt15iterator_traitsISN_E10value_typeEPNST_ISO_E10value_typeEPSP_NS1_7vsmem_tEENKUlT_SN_SO_SP_E_clIS8_S8_S9_S9_EESM_S12_SN_SO_SP_EUlS12_E0_NS1_11comp_targetILNS1_3genE9ELNS1_11target_archE1100ELNS1_3gpuE3ELNS1_3repE0EEENS1_38merge_mergepath_config_static_selectorELNS0_4arch9wavefront6targetE0EEEvSO_.num_vgpr, 0
	.set _ZN7rocprim17ROCPRIM_400000_NS6detail17trampoline_kernelINS0_14default_configENS1_38merge_sort_block_merge_config_selectorIlNS0_10empty_typeEEEZZNS1_27merge_sort_block_merge_implIS3_PlPS5_mZN2at6native12_GLOBAL__N_124unique_dim_cuda_templateIN3c108BFloat16EEESt5tupleIJNSA_6TensorESH_SH_EERKSH_lbbbEUlllE_EE10hipError_tT0_T1_T2_jT3_P12ihipStream_tbPNSt15iterator_traitsISN_E10value_typeEPNST_ISO_E10value_typeEPSP_NS1_7vsmem_tEENKUlT_SN_SO_SP_E_clIS8_S8_S9_S9_EESM_S12_SN_SO_SP_EUlS12_E0_NS1_11comp_targetILNS1_3genE9ELNS1_11target_archE1100ELNS1_3gpuE3ELNS1_3repE0EEENS1_38merge_mergepath_config_static_selectorELNS0_4arch9wavefront6targetE0EEEvSO_.num_agpr, 0
	.set _ZN7rocprim17ROCPRIM_400000_NS6detail17trampoline_kernelINS0_14default_configENS1_38merge_sort_block_merge_config_selectorIlNS0_10empty_typeEEEZZNS1_27merge_sort_block_merge_implIS3_PlPS5_mZN2at6native12_GLOBAL__N_124unique_dim_cuda_templateIN3c108BFloat16EEESt5tupleIJNSA_6TensorESH_SH_EERKSH_lbbbEUlllE_EE10hipError_tT0_T1_T2_jT3_P12ihipStream_tbPNSt15iterator_traitsISN_E10value_typeEPNST_ISO_E10value_typeEPSP_NS1_7vsmem_tEENKUlT_SN_SO_SP_E_clIS8_S8_S9_S9_EESM_S12_SN_SO_SP_EUlS12_E0_NS1_11comp_targetILNS1_3genE9ELNS1_11target_archE1100ELNS1_3gpuE3ELNS1_3repE0EEENS1_38merge_mergepath_config_static_selectorELNS0_4arch9wavefront6targetE0EEEvSO_.numbered_sgpr, 0
	.set _ZN7rocprim17ROCPRIM_400000_NS6detail17trampoline_kernelINS0_14default_configENS1_38merge_sort_block_merge_config_selectorIlNS0_10empty_typeEEEZZNS1_27merge_sort_block_merge_implIS3_PlPS5_mZN2at6native12_GLOBAL__N_124unique_dim_cuda_templateIN3c108BFloat16EEESt5tupleIJNSA_6TensorESH_SH_EERKSH_lbbbEUlllE_EE10hipError_tT0_T1_T2_jT3_P12ihipStream_tbPNSt15iterator_traitsISN_E10value_typeEPNST_ISO_E10value_typeEPSP_NS1_7vsmem_tEENKUlT_SN_SO_SP_E_clIS8_S8_S9_S9_EESM_S12_SN_SO_SP_EUlS12_E0_NS1_11comp_targetILNS1_3genE9ELNS1_11target_archE1100ELNS1_3gpuE3ELNS1_3repE0EEENS1_38merge_mergepath_config_static_selectorELNS0_4arch9wavefront6targetE0EEEvSO_.num_named_barrier, 0
	.set _ZN7rocprim17ROCPRIM_400000_NS6detail17trampoline_kernelINS0_14default_configENS1_38merge_sort_block_merge_config_selectorIlNS0_10empty_typeEEEZZNS1_27merge_sort_block_merge_implIS3_PlPS5_mZN2at6native12_GLOBAL__N_124unique_dim_cuda_templateIN3c108BFloat16EEESt5tupleIJNSA_6TensorESH_SH_EERKSH_lbbbEUlllE_EE10hipError_tT0_T1_T2_jT3_P12ihipStream_tbPNSt15iterator_traitsISN_E10value_typeEPNST_ISO_E10value_typeEPSP_NS1_7vsmem_tEENKUlT_SN_SO_SP_E_clIS8_S8_S9_S9_EESM_S12_SN_SO_SP_EUlS12_E0_NS1_11comp_targetILNS1_3genE9ELNS1_11target_archE1100ELNS1_3gpuE3ELNS1_3repE0EEENS1_38merge_mergepath_config_static_selectorELNS0_4arch9wavefront6targetE0EEEvSO_.private_seg_size, 0
	.set _ZN7rocprim17ROCPRIM_400000_NS6detail17trampoline_kernelINS0_14default_configENS1_38merge_sort_block_merge_config_selectorIlNS0_10empty_typeEEEZZNS1_27merge_sort_block_merge_implIS3_PlPS5_mZN2at6native12_GLOBAL__N_124unique_dim_cuda_templateIN3c108BFloat16EEESt5tupleIJNSA_6TensorESH_SH_EERKSH_lbbbEUlllE_EE10hipError_tT0_T1_T2_jT3_P12ihipStream_tbPNSt15iterator_traitsISN_E10value_typeEPNST_ISO_E10value_typeEPSP_NS1_7vsmem_tEENKUlT_SN_SO_SP_E_clIS8_S8_S9_S9_EESM_S12_SN_SO_SP_EUlS12_E0_NS1_11comp_targetILNS1_3genE9ELNS1_11target_archE1100ELNS1_3gpuE3ELNS1_3repE0EEENS1_38merge_mergepath_config_static_selectorELNS0_4arch9wavefront6targetE0EEEvSO_.uses_vcc, 0
	.set _ZN7rocprim17ROCPRIM_400000_NS6detail17trampoline_kernelINS0_14default_configENS1_38merge_sort_block_merge_config_selectorIlNS0_10empty_typeEEEZZNS1_27merge_sort_block_merge_implIS3_PlPS5_mZN2at6native12_GLOBAL__N_124unique_dim_cuda_templateIN3c108BFloat16EEESt5tupleIJNSA_6TensorESH_SH_EERKSH_lbbbEUlllE_EE10hipError_tT0_T1_T2_jT3_P12ihipStream_tbPNSt15iterator_traitsISN_E10value_typeEPNST_ISO_E10value_typeEPSP_NS1_7vsmem_tEENKUlT_SN_SO_SP_E_clIS8_S8_S9_S9_EESM_S12_SN_SO_SP_EUlS12_E0_NS1_11comp_targetILNS1_3genE9ELNS1_11target_archE1100ELNS1_3gpuE3ELNS1_3repE0EEENS1_38merge_mergepath_config_static_selectorELNS0_4arch9wavefront6targetE0EEEvSO_.uses_flat_scratch, 0
	.set _ZN7rocprim17ROCPRIM_400000_NS6detail17trampoline_kernelINS0_14default_configENS1_38merge_sort_block_merge_config_selectorIlNS0_10empty_typeEEEZZNS1_27merge_sort_block_merge_implIS3_PlPS5_mZN2at6native12_GLOBAL__N_124unique_dim_cuda_templateIN3c108BFloat16EEESt5tupleIJNSA_6TensorESH_SH_EERKSH_lbbbEUlllE_EE10hipError_tT0_T1_T2_jT3_P12ihipStream_tbPNSt15iterator_traitsISN_E10value_typeEPNST_ISO_E10value_typeEPSP_NS1_7vsmem_tEENKUlT_SN_SO_SP_E_clIS8_S8_S9_S9_EESM_S12_SN_SO_SP_EUlS12_E0_NS1_11comp_targetILNS1_3genE9ELNS1_11target_archE1100ELNS1_3gpuE3ELNS1_3repE0EEENS1_38merge_mergepath_config_static_selectorELNS0_4arch9wavefront6targetE0EEEvSO_.has_dyn_sized_stack, 0
	.set _ZN7rocprim17ROCPRIM_400000_NS6detail17trampoline_kernelINS0_14default_configENS1_38merge_sort_block_merge_config_selectorIlNS0_10empty_typeEEEZZNS1_27merge_sort_block_merge_implIS3_PlPS5_mZN2at6native12_GLOBAL__N_124unique_dim_cuda_templateIN3c108BFloat16EEESt5tupleIJNSA_6TensorESH_SH_EERKSH_lbbbEUlllE_EE10hipError_tT0_T1_T2_jT3_P12ihipStream_tbPNSt15iterator_traitsISN_E10value_typeEPNST_ISO_E10value_typeEPSP_NS1_7vsmem_tEENKUlT_SN_SO_SP_E_clIS8_S8_S9_S9_EESM_S12_SN_SO_SP_EUlS12_E0_NS1_11comp_targetILNS1_3genE9ELNS1_11target_archE1100ELNS1_3gpuE3ELNS1_3repE0EEENS1_38merge_mergepath_config_static_selectorELNS0_4arch9wavefront6targetE0EEEvSO_.has_recursion, 0
	.set _ZN7rocprim17ROCPRIM_400000_NS6detail17trampoline_kernelINS0_14default_configENS1_38merge_sort_block_merge_config_selectorIlNS0_10empty_typeEEEZZNS1_27merge_sort_block_merge_implIS3_PlPS5_mZN2at6native12_GLOBAL__N_124unique_dim_cuda_templateIN3c108BFloat16EEESt5tupleIJNSA_6TensorESH_SH_EERKSH_lbbbEUlllE_EE10hipError_tT0_T1_T2_jT3_P12ihipStream_tbPNSt15iterator_traitsISN_E10value_typeEPNST_ISO_E10value_typeEPSP_NS1_7vsmem_tEENKUlT_SN_SO_SP_E_clIS8_S8_S9_S9_EESM_S12_SN_SO_SP_EUlS12_E0_NS1_11comp_targetILNS1_3genE9ELNS1_11target_archE1100ELNS1_3gpuE3ELNS1_3repE0EEENS1_38merge_mergepath_config_static_selectorELNS0_4arch9wavefront6targetE0EEEvSO_.has_indirect_call, 0
	.section	.AMDGPU.csdata,"",@progbits
; Kernel info:
; codeLenInByte = 0
; TotalNumSgprs: 0
; NumVgprs: 0
; ScratchSize: 0
; MemoryBound: 0
; FloatMode: 240
; IeeeMode: 1
; LDSByteSize: 0 bytes/workgroup (compile time only)
; SGPRBlocks: 0
; VGPRBlocks: 0
; NumSGPRsForWavesPerEU: 1
; NumVGPRsForWavesPerEU: 1
; NamedBarCnt: 0
; Occupancy: 16
; WaveLimiterHint : 0
; COMPUTE_PGM_RSRC2:SCRATCH_EN: 0
; COMPUTE_PGM_RSRC2:USER_SGPR: 2
; COMPUTE_PGM_RSRC2:TRAP_HANDLER: 0
; COMPUTE_PGM_RSRC2:TGID_X_EN: 1
; COMPUTE_PGM_RSRC2:TGID_Y_EN: 0
; COMPUTE_PGM_RSRC2:TGID_Z_EN: 0
; COMPUTE_PGM_RSRC2:TIDIG_COMP_CNT: 0
	.section	.text._ZN7rocprim17ROCPRIM_400000_NS6detail17trampoline_kernelINS0_14default_configENS1_38merge_sort_block_merge_config_selectorIlNS0_10empty_typeEEEZZNS1_27merge_sort_block_merge_implIS3_PlPS5_mZN2at6native12_GLOBAL__N_124unique_dim_cuda_templateIN3c108BFloat16EEESt5tupleIJNSA_6TensorESH_SH_EERKSH_lbbbEUlllE_EE10hipError_tT0_T1_T2_jT3_P12ihipStream_tbPNSt15iterator_traitsISN_E10value_typeEPNST_ISO_E10value_typeEPSP_NS1_7vsmem_tEENKUlT_SN_SO_SP_E_clIS8_S8_S9_S9_EESM_S12_SN_SO_SP_EUlS12_E0_NS1_11comp_targetILNS1_3genE8ELNS1_11target_archE1030ELNS1_3gpuE2ELNS1_3repE0EEENS1_38merge_mergepath_config_static_selectorELNS0_4arch9wavefront6targetE0EEEvSO_,"axG",@progbits,_ZN7rocprim17ROCPRIM_400000_NS6detail17trampoline_kernelINS0_14default_configENS1_38merge_sort_block_merge_config_selectorIlNS0_10empty_typeEEEZZNS1_27merge_sort_block_merge_implIS3_PlPS5_mZN2at6native12_GLOBAL__N_124unique_dim_cuda_templateIN3c108BFloat16EEESt5tupleIJNSA_6TensorESH_SH_EERKSH_lbbbEUlllE_EE10hipError_tT0_T1_T2_jT3_P12ihipStream_tbPNSt15iterator_traitsISN_E10value_typeEPNST_ISO_E10value_typeEPSP_NS1_7vsmem_tEENKUlT_SN_SO_SP_E_clIS8_S8_S9_S9_EESM_S12_SN_SO_SP_EUlS12_E0_NS1_11comp_targetILNS1_3genE8ELNS1_11target_archE1030ELNS1_3gpuE2ELNS1_3repE0EEENS1_38merge_mergepath_config_static_selectorELNS0_4arch9wavefront6targetE0EEEvSO_,comdat
	.globl	_ZN7rocprim17ROCPRIM_400000_NS6detail17trampoline_kernelINS0_14default_configENS1_38merge_sort_block_merge_config_selectorIlNS0_10empty_typeEEEZZNS1_27merge_sort_block_merge_implIS3_PlPS5_mZN2at6native12_GLOBAL__N_124unique_dim_cuda_templateIN3c108BFloat16EEESt5tupleIJNSA_6TensorESH_SH_EERKSH_lbbbEUlllE_EE10hipError_tT0_T1_T2_jT3_P12ihipStream_tbPNSt15iterator_traitsISN_E10value_typeEPNST_ISO_E10value_typeEPSP_NS1_7vsmem_tEENKUlT_SN_SO_SP_E_clIS8_S8_S9_S9_EESM_S12_SN_SO_SP_EUlS12_E0_NS1_11comp_targetILNS1_3genE8ELNS1_11target_archE1030ELNS1_3gpuE2ELNS1_3repE0EEENS1_38merge_mergepath_config_static_selectorELNS0_4arch9wavefront6targetE0EEEvSO_ ; -- Begin function _ZN7rocprim17ROCPRIM_400000_NS6detail17trampoline_kernelINS0_14default_configENS1_38merge_sort_block_merge_config_selectorIlNS0_10empty_typeEEEZZNS1_27merge_sort_block_merge_implIS3_PlPS5_mZN2at6native12_GLOBAL__N_124unique_dim_cuda_templateIN3c108BFloat16EEESt5tupleIJNSA_6TensorESH_SH_EERKSH_lbbbEUlllE_EE10hipError_tT0_T1_T2_jT3_P12ihipStream_tbPNSt15iterator_traitsISN_E10value_typeEPNST_ISO_E10value_typeEPSP_NS1_7vsmem_tEENKUlT_SN_SO_SP_E_clIS8_S8_S9_S9_EESM_S12_SN_SO_SP_EUlS12_E0_NS1_11comp_targetILNS1_3genE8ELNS1_11target_archE1030ELNS1_3gpuE2ELNS1_3repE0EEENS1_38merge_mergepath_config_static_selectorELNS0_4arch9wavefront6targetE0EEEvSO_
	.p2align	8
	.type	_ZN7rocprim17ROCPRIM_400000_NS6detail17trampoline_kernelINS0_14default_configENS1_38merge_sort_block_merge_config_selectorIlNS0_10empty_typeEEEZZNS1_27merge_sort_block_merge_implIS3_PlPS5_mZN2at6native12_GLOBAL__N_124unique_dim_cuda_templateIN3c108BFloat16EEESt5tupleIJNSA_6TensorESH_SH_EERKSH_lbbbEUlllE_EE10hipError_tT0_T1_T2_jT3_P12ihipStream_tbPNSt15iterator_traitsISN_E10value_typeEPNST_ISO_E10value_typeEPSP_NS1_7vsmem_tEENKUlT_SN_SO_SP_E_clIS8_S8_S9_S9_EESM_S12_SN_SO_SP_EUlS12_E0_NS1_11comp_targetILNS1_3genE8ELNS1_11target_archE1030ELNS1_3gpuE2ELNS1_3repE0EEENS1_38merge_mergepath_config_static_selectorELNS0_4arch9wavefront6targetE0EEEvSO_,@function
_ZN7rocprim17ROCPRIM_400000_NS6detail17trampoline_kernelINS0_14default_configENS1_38merge_sort_block_merge_config_selectorIlNS0_10empty_typeEEEZZNS1_27merge_sort_block_merge_implIS3_PlPS5_mZN2at6native12_GLOBAL__N_124unique_dim_cuda_templateIN3c108BFloat16EEESt5tupleIJNSA_6TensorESH_SH_EERKSH_lbbbEUlllE_EE10hipError_tT0_T1_T2_jT3_P12ihipStream_tbPNSt15iterator_traitsISN_E10value_typeEPNST_ISO_E10value_typeEPSP_NS1_7vsmem_tEENKUlT_SN_SO_SP_E_clIS8_S8_S9_S9_EESM_S12_SN_SO_SP_EUlS12_E0_NS1_11comp_targetILNS1_3genE8ELNS1_11target_archE1030ELNS1_3gpuE2ELNS1_3repE0EEENS1_38merge_mergepath_config_static_selectorELNS0_4arch9wavefront6targetE0EEEvSO_: ; @_ZN7rocprim17ROCPRIM_400000_NS6detail17trampoline_kernelINS0_14default_configENS1_38merge_sort_block_merge_config_selectorIlNS0_10empty_typeEEEZZNS1_27merge_sort_block_merge_implIS3_PlPS5_mZN2at6native12_GLOBAL__N_124unique_dim_cuda_templateIN3c108BFloat16EEESt5tupleIJNSA_6TensorESH_SH_EERKSH_lbbbEUlllE_EE10hipError_tT0_T1_T2_jT3_P12ihipStream_tbPNSt15iterator_traitsISN_E10value_typeEPNST_ISO_E10value_typeEPSP_NS1_7vsmem_tEENKUlT_SN_SO_SP_E_clIS8_S8_S9_S9_EESM_S12_SN_SO_SP_EUlS12_E0_NS1_11comp_targetILNS1_3genE8ELNS1_11target_archE1030ELNS1_3gpuE2ELNS1_3repE0EEENS1_38merge_mergepath_config_static_selectorELNS0_4arch9wavefront6targetE0EEEvSO_
; %bb.0:
	.section	.rodata,"a",@progbits
	.p2align	6, 0x0
	.amdhsa_kernel _ZN7rocprim17ROCPRIM_400000_NS6detail17trampoline_kernelINS0_14default_configENS1_38merge_sort_block_merge_config_selectorIlNS0_10empty_typeEEEZZNS1_27merge_sort_block_merge_implIS3_PlPS5_mZN2at6native12_GLOBAL__N_124unique_dim_cuda_templateIN3c108BFloat16EEESt5tupleIJNSA_6TensorESH_SH_EERKSH_lbbbEUlllE_EE10hipError_tT0_T1_T2_jT3_P12ihipStream_tbPNSt15iterator_traitsISN_E10value_typeEPNST_ISO_E10value_typeEPSP_NS1_7vsmem_tEENKUlT_SN_SO_SP_E_clIS8_S8_S9_S9_EESM_S12_SN_SO_SP_EUlS12_E0_NS1_11comp_targetILNS1_3genE8ELNS1_11target_archE1030ELNS1_3gpuE2ELNS1_3repE0EEENS1_38merge_mergepath_config_static_selectorELNS0_4arch9wavefront6targetE0EEEvSO_
		.amdhsa_group_segment_fixed_size 0
		.amdhsa_private_segment_fixed_size 0
		.amdhsa_kernarg_size 88
		.amdhsa_user_sgpr_count 2
		.amdhsa_user_sgpr_dispatch_ptr 0
		.amdhsa_user_sgpr_queue_ptr 0
		.amdhsa_user_sgpr_kernarg_segment_ptr 1
		.amdhsa_user_sgpr_dispatch_id 0
		.amdhsa_user_sgpr_kernarg_preload_length 0
		.amdhsa_user_sgpr_kernarg_preload_offset 0
		.amdhsa_user_sgpr_private_segment_size 0
		.amdhsa_wavefront_size32 1
		.amdhsa_uses_dynamic_stack 0
		.amdhsa_enable_private_segment 0
		.amdhsa_system_sgpr_workgroup_id_x 1
		.amdhsa_system_sgpr_workgroup_id_y 0
		.amdhsa_system_sgpr_workgroup_id_z 0
		.amdhsa_system_sgpr_workgroup_info 0
		.amdhsa_system_vgpr_workitem_id 0
		.amdhsa_next_free_vgpr 1
		.amdhsa_next_free_sgpr 1
		.amdhsa_named_barrier_count 0
		.amdhsa_reserve_vcc 0
		.amdhsa_float_round_mode_32 0
		.amdhsa_float_round_mode_16_64 0
		.amdhsa_float_denorm_mode_32 3
		.amdhsa_float_denorm_mode_16_64 3
		.amdhsa_fp16_overflow 0
		.amdhsa_memory_ordered 1
		.amdhsa_forward_progress 1
		.amdhsa_inst_pref_size 0
		.amdhsa_round_robin_scheduling 0
		.amdhsa_exception_fp_ieee_invalid_op 0
		.amdhsa_exception_fp_denorm_src 0
		.amdhsa_exception_fp_ieee_div_zero 0
		.amdhsa_exception_fp_ieee_overflow 0
		.amdhsa_exception_fp_ieee_underflow 0
		.amdhsa_exception_fp_ieee_inexact 0
		.amdhsa_exception_int_div_zero 0
	.end_amdhsa_kernel
	.section	.text._ZN7rocprim17ROCPRIM_400000_NS6detail17trampoline_kernelINS0_14default_configENS1_38merge_sort_block_merge_config_selectorIlNS0_10empty_typeEEEZZNS1_27merge_sort_block_merge_implIS3_PlPS5_mZN2at6native12_GLOBAL__N_124unique_dim_cuda_templateIN3c108BFloat16EEESt5tupleIJNSA_6TensorESH_SH_EERKSH_lbbbEUlllE_EE10hipError_tT0_T1_T2_jT3_P12ihipStream_tbPNSt15iterator_traitsISN_E10value_typeEPNST_ISO_E10value_typeEPSP_NS1_7vsmem_tEENKUlT_SN_SO_SP_E_clIS8_S8_S9_S9_EESM_S12_SN_SO_SP_EUlS12_E0_NS1_11comp_targetILNS1_3genE8ELNS1_11target_archE1030ELNS1_3gpuE2ELNS1_3repE0EEENS1_38merge_mergepath_config_static_selectorELNS0_4arch9wavefront6targetE0EEEvSO_,"axG",@progbits,_ZN7rocprim17ROCPRIM_400000_NS6detail17trampoline_kernelINS0_14default_configENS1_38merge_sort_block_merge_config_selectorIlNS0_10empty_typeEEEZZNS1_27merge_sort_block_merge_implIS3_PlPS5_mZN2at6native12_GLOBAL__N_124unique_dim_cuda_templateIN3c108BFloat16EEESt5tupleIJNSA_6TensorESH_SH_EERKSH_lbbbEUlllE_EE10hipError_tT0_T1_T2_jT3_P12ihipStream_tbPNSt15iterator_traitsISN_E10value_typeEPNST_ISO_E10value_typeEPSP_NS1_7vsmem_tEENKUlT_SN_SO_SP_E_clIS8_S8_S9_S9_EESM_S12_SN_SO_SP_EUlS12_E0_NS1_11comp_targetILNS1_3genE8ELNS1_11target_archE1030ELNS1_3gpuE2ELNS1_3repE0EEENS1_38merge_mergepath_config_static_selectorELNS0_4arch9wavefront6targetE0EEEvSO_,comdat
.Lfunc_end1140:
	.size	_ZN7rocprim17ROCPRIM_400000_NS6detail17trampoline_kernelINS0_14default_configENS1_38merge_sort_block_merge_config_selectorIlNS0_10empty_typeEEEZZNS1_27merge_sort_block_merge_implIS3_PlPS5_mZN2at6native12_GLOBAL__N_124unique_dim_cuda_templateIN3c108BFloat16EEESt5tupleIJNSA_6TensorESH_SH_EERKSH_lbbbEUlllE_EE10hipError_tT0_T1_T2_jT3_P12ihipStream_tbPNSt15iterator_traitsISN_E10value_typeEPNST_ISO_E10value_typeEPSP_NS1_7vsmem_tEENKUlT_SN_SO_SP_E_clIS8_S8_S9_S9_EESM_S12_SN_SO_SP_EUlS12_E0_NS1_11comp_targetILNS1_3genE8ELNS1_11target_archE1030ELNS1_3gpuE2ELNS1_3repE0EEENS1_38merge_mergepath_config_static_selectorELNS0_4arch9wavefront6targetE0EEEvSO_, .Lfunc_end1140-_ZN7rocprim17ROCPRIM_400000_NS6detail17trampoline_kernelINS0_14default_configENS1_38merge_sort_block_merge_config_selectorIlNS0_10empty_typeEEEZZNS1_27merge_sort_block_merge_implIS3_PlPS5_mZN2at6native12_GLOBAL__N_124unique_dim_cuda_templateIN3c108BFloat16EEESt5tupleIJNSA_6TensorESH_SH_EERKSH_lbbbEUlllE_EE10hipError_tT0_T1_T2_jT3_P12ihipStream_tbPNSt15iterator_traitsISN_E10value_typeEPNST_ISO_E10value_typeEPSP_NS1_7vsmem_tEENKUlT_SN_SO_SP_E_clIS8_S8_S9_S9_EESM_S12_SN_SO_SP_EUlS12_E0_NS1_11comp_targetILNS1_3genE8ELNS1_11target_archE1030ELNS1_3gpuE2ELNS1_3repE0EEENS1_38merge_mergepath_config_static_selectorELNS0_4arch9wavefront6targetE0EEEvSO_
                                        ; -- End function
	.set _ZN7rocprim17ROCPRIM_400000_NS6detail17trampoline_kernelINS0_14default_configENS1_38merge_sort_block_merge_config_selectorIlNS0_10empty_typeEEEZZNS1_27merge_sort_block_merge_implIS3_PlPS5_mZN2at6native12_GLOBAL__N_124unique_dim_cuda_templateIN3c108BFloat16EEESt5tupleIJNSA_6TensorESH_SH_EERKSH_lbbbEUlllE_EE10hipError_tT0_T1_T2_jT3_P12ihipStream_tbPNSt15iterator_traitsISN_E10value_typeEPNST_ISO_E10value_typeEPSP_NS1_7vsmem_tEENKUlT_SN_SO_SP_E_clIS8_S8_S9_S9_EESM_S12_SN_SO_SP_EUlS12_E0_NS1_11comp_targetILNS1_3genE8ELNS1_11target_archE1030ELNS1_3gpuE2ELNS1_3repE0EEENS1_38merge_mergepath_config_static_selectorELNS0_4arch9wavefront6targetE0EEEvSO_.num_vgpr, 0
	.set _ZN7rocprim17ROCPRIM_400000_NS6detail17trampoline_kernelINS0_14default_configENS1_38merge_sort_block_merge_config_selectorIlNS0_10empty_typeEEEZZNS1_27merge_sort_block_merge_implIS3_PlPS5_mZN2at6native12_GLOBAL__N_124unique_dim_cuda_templateIN3c108BFloat16EEESt5tupleIJNSA_6TensorESH_SH_EERKSH_lbbbEUlllE_EE10hipError_tT0_T1_T2_jT3_P12ihipStream_tbPNSt15iterator_traitsISN_E10value_typeEPNST_ISO_E10value_typeEPSP_NS1_7vsmem_tEENKUlT_SN_SO_SP_E_clIS8_S8_S9_S9_EESM_S12_SN_SO_SP_EUlS12_E0_NS1_11comp_targetILNS1_3genE8ELNS1_11target_archE1030ELNS1_3gpuE2ELNS1_3repE0EEENS1_38merge_mergepath_config_static_selectorELNS0_4arch9wavefront6targetE0EEEvSO_.num_agpr, 0
	.set _ZN7rocprim17ROCPRIM_400000_NS6detail17trampoline_kernelINS0_14default_configENS1_38merge_sort_block_merge_config_selectorIlNS0_10empty_typeEEEZZNS1_27merge_sort_block_merge_implIS3_PlPS5_mZN2at6native12_GLOBAL__N_124unique_dim_cuda_templateIN3c108BFloat16EEESt5tupleIJNSA_6TensorESH_SH_EERKSH_lbbbEUlllE_EE10hipError_tT0_T1_T2_jT3_P12ihipStream_tbPNSt15iterator_traitsISN_E10value_typeEPNST_ISO_E10value_typeEPSP_NS1_7vsmem_tEENKUlT_SN_SO_SP_E_clIS8_S8_S9_S9_EESM_S12_SN_SO_SP_EUlS12_E0_NS1_11comp_targetILNS1_3genE8ELNS1_11target_archE1030ELNS1_3gpuE2ELNS1_3repE0EEENS1_38merge_mergepath_config_static_selectorELNS0_4arch9wavefront6targetE0EEEvSO_.numbered_sgpr, 0
	.set _ZN7rocprim17ROCPRIM_400000_NS6detail17trampoline_kernelINS0_14default_configENS1_38merge_sort_block_merge_config_selectorIlNS0_10empty_typeEEEZZNS1_27merge_sort_block_merge_implIS3_PlPS5_mZN2at6native12_GLOBAL__N_124unique_dim_cuda_templateIN3c108BFloat16EEESt5tupleIJNSA_6TensorESH_SH_EERKSH_lbbbEUlllE_EE10hipError_tT0_T1_T2_jT3_P12ihipStream_tbPNSt15iterator_traitsISN_E10value_typeEPNST_ISO_E10value_typeEPSP_NS1_7vsmem_tEENKUlT_SN_SO_SP_E_clIS8_S8_S9_S9_EESM_S12_SN_SO_SP_EUlS12_E0_NS1_11comp_targetILNS1_3genE8ELNS1_11target_archE1030ELNS1_3gpuE2ELNS1_3repE0EEENS1_38merge_mergepath_config_static_selectorELNS0_4arch9wavefront6targetE0EEEvSO_.num_named_barrier, 0
	.set _ZN7rocprim17ROCPRIM_400000_NS6detail17trampoline_kernelINS0_14default_configENS1_38merge_sort_block_merge_config_selectorIlNS0_10empty_typeEEEZZNS1_27merge_sort_block_merge_implIS3_PlPS5_mZN2at6native12_GLOBAL__N_124unique_dim_cuda_templateIN3c108BFloat16EEESt5tupleIJNSA_6TensorESH_SH_EERKSH_lbbbEUlllE_EE10hipError_tT0_T1_T2_jT3_P12ihipStream_tbPNSt15iterator_traitsISN_E10value_typeEPNST_ISO_E10value_typeEPSP_NS1_7vsmem_tEENKUlT_SN_SO_SP_E_clIS8_S8_S9_S9_EESM_S12_SN_SO_SP_EUlS12_E0_NS1_11comp_targetILNS1_3genE8ELNS1_11target_archE1030ELNS1_3gpuE2ELNS1_3repE0EEENS1_38merge_mergepath_config_static_selectorELNS0_4arch9wavefront6targetE0EEEvSO_.private_seg_size, 0
	.set _ZN7rocprim17ROCPRIM_400000_NS6detail17trampoline_kernelINS0_14default_configENS1_38merge_sort_block_merge_config_selectorIlNS0_10empty_typeEEEZZNS1_27merge_sort_block_merge_implIS3_PlPS5_mZN2at6native12_GLOBAL__N_124unique_dim_cuda_templateIN3c108BFloat16EEESt5tupleIJNSA_6TensorESH_SH_EERKSH_lbbbEUlllE_EE10hipError_tT0_T1_T2_jT3_P12ihipStream_tbPNSt15iterator_traitsISN_E10value_typeEPNST_ISO_E10value_typeEPSP_NS1_7vsmem_tEENKUlT_SN_SO_SP_E_clIS8_S8_S9_S9_EESM_S12_SN_SO_SP_EUlS12_E0_NS1_11comp_targetILNS1_3genE8ELNS1_11target_archE1030ELNS1_3gpuE2ELNS1_3repE0EEENS1_38merge_mergepath_config_static_selectorELNS0_4arch9wavefront6targetE0EEEvSO_.uses_vcc, 0
	.set _ZN7rocprim17ROCPRIM_400000_NS6detail17trampoline_kernelINS0_14default_configENS1_38merge_sort_block_merge_config_selectorIlNS0_10empty_typeEEEZZNS1_27merge_sort_block_merge_implIS3_PlPS5_mZN2at6native12_GLOBAL__N_124unique_dim_cuda_templateIN3c108BFloat16EEESt5tupleIJNSA_6TensorESH_SH_EERKSH_lbbbEUlllE_EE10hipError_tT0_T1_T2_jT3_P12ihipStream_tbPNSt15iterator_traitsISN_E10value_typeEPNST_ISO_E10value_typeEPSP_NS1_7vsmem_tEENKUlT_SN_SO_SP_E_clIS8_S8_S9_S9_EESM_S12_SN_SO_SP_EUlS12_E0_NS1_11comp_targetILNS1_3genE8ELNS1_11target_archE1030ELNS1_3gpuE2ELNS1_3repE0EEENS1_38merge_mergepath_config_static_selectorELNS0_4arch9wavefront6targetE0EEEvSO_.uses_flat_scratch, 0
	.set _ZN7rocprim17ROCPRIM_400000_NS6detail17trampoline_kernelINS0_14default_configENS1_38merge_sort_block_merge_config_selectorIlNS0_10empty_typeEEEZZNS1_27merge_sort_block_merge_implIS3_PlPS5_mZN2at6native12_GLOBAL__N_124unique_dim_cuda_templateIN3c108BFloat16EEESt5tupleIJNSA_6TensorESH_SH_EERKSH_lbbbEUlllE_EE10hipError_tT0_T1_T2_jT3_P12ihipStream_tbPNSt15iterator_traitsISN_E10value_typeEPNST_ISO_E10value_typeEPSP_NS1_7vsmem_tEENKUlT_SN_SO_SP_E_clIS8_S8_S9_S9_EESM_S12_SN_SO_SP_EUlS12_E0_NS1_11comp_targetILNS1_3genE8ELNS1_11target_archE1030ELNS1_3gpuE2ELNS1_3repE0EEENS1_38merge_mergepath_config_static_selectorELNS0_4arch9wavefront6targetE0EEEvSO_.has_dyn_sized_stack, 0
	.set _ZN7rocprim17ROCPRIM_400000_NS6detail17trampoline_kernelINS0_14default_configENS1_38merge_sort_block_merge_config_selectorIlNS0_10empty_typeEEEZZNS1_27merge_sort_block_merge_implIS3_PlPS5_mZN2at6native12_GLOBAL__N_124unique_dim_cuda_templateIN3c108BFloat16EEESt5tupleIJNSA_6TensorESH_SH_EERKSH_lbbbEUlllE_EE10hipError_tT0_T1_T2_jT3_P12ihipStream_tbPNSt15iterator_traitsISN_E10value_typeEPNST_ISO_E10value_typeEPSP_NS1_7vsmem_tEENKUlT_SN_SO_SP_E_clIS8_S8_S9_S9_EESM_S12_SN_SO_SP_EUlS12_E0_NS1_11comp_targetILNS1_3genE8ELNS1_11target_archE1030ELNS1_3gpuE2ELNS1_3repE0EEENS1_38merge_mergepath_config_static_selectorELNS0_4arch9wavefront6targetE0EEEvSO_.has_recursion, 0
	.set _ZN7rocprim17ROCPRIM_400000_NS6detail17trampoline_kernelINS0_14default_configENS1_38merge_sort_block_merge_config_selectorIlNS0_10empty_typeEEEZZNS1_27merge_sort_block_merge_implIS3_PlPS5_mZN2at6native12_GLOBAL__N_124unique_dim_cuda_templateIN3c108BFloat16EEESt5tupleIJNSA_6TensorESH_SH_EERKSH_lbbbEUlllE_EE10hipError_tT0_T1_T2_jT3_P12ihipStream_tbPNSt15iterator_traitsISN_E10value_typeEPNST_ISO_E10value_typeEPSP_NS1_7vsmem_tEENKUlT_SN_SO_SP_E_clIS8_S8_S9_S9_EESM_S12_SN_SO_SP_EUlS12_E0_NS1_11comp_targetILNS1_3genE8ELNS1_11target_archE1030ELNS1_3gpuE2ELNS1_3repE0EEENS1_38merge_mergepath_config_static_selectorELNS0_4arch9wavefront6targetE0EEEvSO_.has_indirect_call, 0
	.section	.AMDGPU.csdata,"",@progbits
; Kernel info:
; codeLenInByte = 0
; TotalNumSgprs: 0
; NumVgprs: 0
; ScratchSize: 0
; MemoryBound: 0
; FloatMode: 240
; IeeeMode: 1
; LDSByteSize: 0 bytes/workgroup (compile time only)
; SGPRBlocks: 0
; VGPRBlocks: 0
; NumSGPRsForWavesPerEU: 1
; NumVGPRsForWavesPerEU: 1
; NamedBarCnt: 0
; Occupancy: 16
; WaveLimiterHint : 0
; COMPUTE_PGM_RSRC2:SCRATCH_EN: 0
; COMPUTE_PGM_RSRC2:USER_SGPR: 2
; COMPUTE_PGM_RSRC2:TRAP_HANDLER: 0
; COMPUTE_PGM_RSRC2:TGID_X_EN: 1
; COMPUTE_PGM_RSRC2:TGID_Y_EN: 0
; COMPUTE_PGM_RSRC2:TGID_Z_EN: 0
; COMPUTE_PGM_RSRC2:TIDIG_COMP_CNT: 0
	.section	.text._ZN7rocprim17ROCPRIM_400000_NS6detail17trampoline_kernelINS0_14default_configENS1_38merge_sort_block_merge_config_selectorIlNS0_10empty_typeEEEZZNS1_27merge_sort_block_merge_implIS3_PlPS5_mZN2at6native12_GLOBAL__N_124unique_dim_cuda_templateIN3c108BFloat16EEESt5tupleIJNSA_6TensorESH_SH_EERKSH_lbbbEUlllE_EE10hipError_tT0_T1_T2_jT3_P12ihipStream_tbPNSt15iterator_traitsISN_E10value_typeEPNST_ISO_E10value_typeEPSP_NS1_7vsmem_tEENKUlT_SN_SO_SP_E_clIS8_S8_S9_S9_EESM_S12_SN_SO_SP_EUlS12_E1_NS1_11comp_targetILNS1_3genE0ELNS1_11target_archE4294967295ELNS1_3gpuE0ELNS1_3repE0EEENS1_36merge_oddeven_config_static_selectorELNS0_4arch9wavefront6targetE0EEEvSO_,"axG",@progbits,_ZN7rocprim17ROCPRIM_400000_NS6detail17trampoline_kernelINS0_14default_configENS1_38merge_sort_block_merge_config_selectorIlNS0_10empty_typeEEEZZNS1_27merge_sort_block_merge_implIS3_PlPS5_mZN2at6native12_GLOBAL__N_124unique_dim_cuda_templateIN3c108BFloat16EEESt5tupleIJNSA_6TensorESH_SH_EERKSH_lbbbEUlllE_EE10hipError_tT0_T1_T2_jT3_P12ihipStream_tbPNSt15iterator_traitsISN_E10value_typeEPNST_ISO_E10value_typeEPSP_NS1_7vsmem_tEENKUlT_SN_SO_SP_E_clIS8_S8_S9_S9_EESM_S12_SN_SO_SP_EUlS12_E1_NS1_11comp_targetILNS1_3genE0ELNS1_11target_archE4294967295ELNS1_3gpuE0ELNS1_3repE0EEENS1_36merge_oddeven_config_static_selectorELNS0_4arch9wavefront6targetE0EEEvSO_,comdat
	.globl	_ZN7rocprim17ROCPRIM_400000_NS6detail17trampoline_kernelINS0_14default_configENS1_38merge_sort_block_merge_config_selectorIlNS0_10empty_typeEEEZZNS1_27merge_sort_block_merge_implIS3_PlPS5_mZN2at6native12_GLOBAL__N_124unique_dim_cuda_templateIN3c108BFloat16EEESt5tupleIJNSA_6TensorESH_SH_EERKSH_lbbbEUlllE_EE10hipError_tT0_T1_T2_jT3_P12ihipStream_tbPNSt15iterator_traitsISN_E10value_typeEPNST_ISO_E10value_typeEPSP_NS1_7vsmem_tEENKUlT_SN_SO_SP_E_clIS8_S8_S9_S9_EESM_S12_SN_SO_SP_EUlS12_E1_NS1_11comp_targetILNS1_3genE0ELNS1_11target_archE4294967295ELNS1_3gpuE0ELNS1_3repE0EEENS1_36merge_oddeven_config_static_selectorELNS0_4arch9wavefront6targetE0EEEvSO_ ; -- Begin function _ZN7rocprim17ROCPRIM_400000_NS6detail17trampoline_kernelINS0_14default_configENS1_38merge_sort_block_merge_config_selectorIlNS0_10empty_typeEEEZZNS1_27merge_sort_block_merge_implIS3_PlPS5_mZN2at6native12_GLOBAL__N_124unique_dim_cuda_templateIN3c108BFloat16EEESt5tupleIJNSA_6TensorESH_SH_EERKSH_lbbbEUlllE_EE10hipError_tT0_T1_T2_jT3_P12ihipStream_tbPNSt15iterator_traitsISN_E10value_typeEPNST_ISO_E10value_typeEPSP_NS1_7vsmem_tEENKUlT_SN_SO_SP_E_clIS8_S8_S9_S9_EESM_S12_SN_SO_SP_EUlS12_E1_NS1_11comp_targetILNS1_3genE0ELNS1_11target_archE4294967295ELNS1_3gpuE0ELNS1_3repE0EEENS1_36merge_oddeven_config_static_selectorELNS0_4arch9wavefront6targetE0EEEvSO_
	.p2align	8
	.type	_ZN7rocprim17ROCPRIM_400000_NS6detail17trampoline_kernelINS0_14default_configENS1_38merge_sort_block_merge_config_selectorIlNS0_10empty_typeEEEZZNS1_27merge_sort_block_merge_implIS3_PlPS5_mZN2at6native12_GLOBAL__N_124unique_dim_cuda_templateIN3c108BFloat16EEESt5tupleIJNSA_6TensorESH_SH_EERKSH_lbbbEUlllE_EE10hipError_tT0_T1_T2_jT3_P12ihipStream_tbPNSt15iterator_traitsISN_E10value_typeEPNST_ISO_E10value_typeEPSP_NS1_7vsmem_tEENKUlT_SN_SO_SP_E_clIS8_S8_S9_S9_EESM_S12_SN_SO_SP_EUlS12_E1_NS1_11comp_targetILNS1_3genE0ELNS1_11target_archE4294967295ELNS1_3gpuE0ELNS1_3repE0EEENS1_36merge_oddeven_config_static_selectorELNS0_4arch9wavefront6targetE0EEEvSO_,@function
_ZN7rocprim17ROCPRIM_400000_NS6detail17trampoline_kernelINS0_14default_configENS1_38merge_sort_block_merge_config_selectorIlNS0_10empty_typeEEEZZNS1_27merge_sort_block_merge_implIS3_PlPS5_mZN2at6native12_GLOBAL__N_124unique_dim_cuda_templateIN3c108BFloat16EEESt5tupleIJNSA_6TensorESH_SH_EERKSH_lbbbEUlllE_EE10hipError_tT0_T1_T2_jT3_P12ihipStream_tbPNSt15iterator_traitsISN_E10value_typeEPNST_ISO_E10value_typeEPSP_NS1_7vsmem_tEENKUlT_SN_SO_SP_E_clIS8_S8_S9_S9_EESM_S12_SN_SO_SP_EUlS12_E1_NS1_11comp_targetILNS1_3genE0ELNS1_11target_archE4294967295ELNS1_3gpuE0ELNS1_3repE0EEENS1_36merge_oddeven_config_static_selectorELNS0_4arch9wavefront6targetE0EEEvSO_: ; @_ZN7rocprim17ROCPRIM_400000_NS6detail17trampoline_kernelINS0_14default_configENS1_38merge_sort_block_merge_config_selectorIlNS0_10empty_typeEEEZZNS1_27merge_sort_block_merge_implIS3_PlPS5_mZN2at6native12_GLOBAL__N_124unique_dim_cuda_templateIN3c108BFloat16EEESt5tupleIJNSA_6TensorESH_SH_EERKSH_lbbbEUlllE_EE10hipError_tT0_T1_T2_jT3_P12ihipStream_tbPNSt15iterator_traitsISN_E10value_typeEPNST_ISO_E10value_typeEPSP_NS1_7vsmem_tEENKUlT_SN_SO_SP_E_clIS8_S8_S9_S9_EESM_S12_SN_SO_SP_EUlS12_E1_NS1_11comp_targetILNS1_3genE0ELNS1_11target_archE4294967295ELNS1_3gpuE0ELNS1_3repE0EEENS1_36merge_oddeven_config_static_selectorELNS0_4arch9wavefront6targetE0EEEvSO_
; %bb.0:
	s_load_b32 s3, s[0:1], 0x20
	s_bfe_u32 s2, ttmp6, 0x4000c
	s_and_b32 s4, ttmp6, 15
	s_add_co_i32 s2, s2, 1
	s_getreg_b32 s5, hwreg(HW_REG_IB_STS2, 6, 4)
	s_mul_i32 s2, ttmp9, s2
	s_mov_b32 s13, 0
	s_add_co_i32 s4, s4, s2
	s_cmp_eq_u32 s5, 0
	s_cselect_b32 s9, ttmp9, s4
	s_wait_kmcnt 0x0
	s_lshr_b32 s2, s3, 8
	s_delay_alu instid0(SALU_CYCLE_1) | instskip(SKIP_4) | instid1(SALU_CYCLE_1)
	s_cmp_lg_u32 s9, s2
	s_cselect_b32 s8, -1, 0
	s_cmp_eq_u32 s9, s2
	s_cselect_b32 s17, -1, 0
	s_lshl_b32 s12, s9, 8
	s_sub_co_i32 s2, s3, s12
	s_delay_alu instid0(SALU_CYCLE_1) | instskip(SKIP_1) | instid1(SALU_CYCLE_1)
	v_cmp_gt_u32_e64 s2, s2, v0
	s_or_b32 s4, s8, s2
	s_and_saveexec_b32 s5, s4
	s_cbranch_execz .LBB1141_62
; %bb.1:
	s_clause 0x1
	s_load_b128 s[4:7], s[0:1], 0x0
	s_load_b32 s18, s[0:1], 0x28
	s_lshl_b64 s[10:11], s[12:13], 3
	s_wait_kmcnt 0x0
	s_add_nc_u64 s[10:11], s[4:5], s[10:11]
	global_load_b64 v[2:3], v0, s[10:11] scale_offset
	s_wait_xcnt 0x0
	s_lshr_b32 s10, s18, 8
	s_delay_alu instid0(SALU_CYCLE_1) | instskip(NEXT) | instid1(SALU_CYCLE_1)
	s_sub_co_i32 s11, 0, s10
	s_and_b32 s9, s9, s11
	s_delay_alu instid0(SALU_CYCLE_1) | instskip(NEXT) | instid1(SALU_CYCLE_1)
	s_and_b32 s10, s9, s10
	s_cmp_lg_u32 s10, 0
	s_cselect_b32 s14, -1, 0
	s_lshl_b32 s19, s9, 8
	s_sub_co_i32 s9, 0, s18
	s_cmp_eq_u32 s10, 0
	s_cselect_b32 s15, s18, s9
	s_delay_alu instid0(SALU_CYCLE_1) | instskip(NEXT) | instid1(SALU_CYCLE_1)
	s_add_co_i32 s15, s15, s19
	s_cmp_lt_u32 s15, s3
	s_cbranch_scc1 .LBB1141_3
; %bb.2:
	v_add_nc_u32_e32 v1, s12, v0
	s_delay_alu instid0(VALU_DEP_1) | instskip(SKIP_1) | instid1(SALU_CYCLE_1)
	v_cmp_gt_u32_e32 vcc_lo, s3, v1
	s_or_b32 s9, vcc_lo, s8
	s_and_b32 s13, s9, exec_lo
	s_cbranch_execz .LBB1141_4
	s_branch .LBB1141_60
.LBB1141_3:
                                        ; implicit-def: $vgpr1
.LBB1141_4:
	s_load_b128 s[8:11], s[0:1], 0x30
	v_add_nc_u32_e32 v0, s12, v0
	s_min_u32 s16, s15, s3
	s_and_b32 vcc_lo, exec_lo, s17
	s_wait_xcnt 0x0
	s_add_co_i32 s0, s19, s16
	s_min_u32 s1, s19, s16
	v_subrev_nc_u32_e32 v0, s0, v0
	s_add_co_i32 s0, s16, s18
	s_delay_alu instid0(SALU_CYCLE_1) | instskip(NEXT) | instid1(VALU_DEP_1)
	s_min_u32 s17, s0, s3
	v_add_nc_u32_e32 v10, s1, v0
	s_wait_kmcnt 0x0
	v_cmp_gt_i64_e64 s12, s[8:9], 0
	s_cbranch_vccz .LBB1141_30
; %bb.5:
                                        ; implicit-def: $vgpr1
	s_and_saveexec_b32 s18, s2
	s_cbranch_execz .LBB1141_33
; %bb.6:
	v_mov_b32_e32 v11, s16
	s_cmp_ge_u32 s15, s17
	s_cbranch_scc1 .LBB1141_32
; %bb.7:
	s_wait_loadcnt 0x0
	v_mul_u64_e32 v[0:1], s[8:9], v[2:3]
	v_dual_mov_b32 v12, s17 :: v_dual_mov_b32 v11, s16
	s_lshl_b64 s[0:1], s[8:9], 1
	s_mov_b32 s19, 0
	s_delay_alu instid0(VALU_DEP_2)
	v_lshl_add_u64 v[0:1], v[0:1], 1, s[10:11]
	s_branch .LBB1141_10
.LBB1141_8:                             ;   in Loop: Header=BB1141_10 Depth=1
	s_or_b32 exec_lo, exec_lo, s21
.LBB1141_9:                             ;   in Loop: Header=BB1141_10 Depth=1
	s_wait_loadcnt 0x0
	v_dual_add_nc_u32 v4, 1, v13 :: v_dual_cndmask_b32 v12, v13, v12, s20
	s_delay_alu instid0(VALU_DEP_1) | instskip(NEXT) | instid1(VALU_DEP_1)
	v_cndmask_b32_e64 v11, v11, v4, s20
	v_cmp_ge_u32_e32 vcc_lo, v11, v12
	s_or_b32 s19, vcc_lo, s19
	s_delay_alu instid0(SALU_CYCLE_1)
	s_and_not1_b32 exec_lo, exec_lo, s19
	s_cbranch_execz .LBB1141_31
.LBB1141_10:                            ; =>This Loop Header: Depth=1
                                        ;     Child Loop BB1141_14 Depth 2
                                        ;     Child Loop BB1141_25 Depth 2
	v_add_nc_u32_e32 v4, v11, v12
	s_and_not1_b32 vcc_lo, exec_lo, s14
	s_mov_b32 s2, -1
                                        ; implicit-def: $sgpr20
	s_delay_alu instid0(VALU_DEP_1)
	v_lshrrev_b32_e32 v13, 1, v4
	global_load_b64 v[4:5], v13, s[4:5] scale_offset
	s_cbranch_vccnz .LBB1141_21
; %bb.11:                               ;   in Loop: Header=BB1141_10 Depth=1
	s_and_not1_b32 vcc_lo, exec_lo, s12
	s_cbranch_vccnz .LBB1141_19
; %bb.12:                               ;   in Loop: Header=BB1141_10 Depth=1
	s_wait_loadcnt 0x0
	v_mad_nc_u64_u32 v[6:7], s0, v4, s[10:11]
	v_mov_b64_e32 v[8:9], v[0:1]
	s_mov_b32 s20, 0
	s_mov_b64 s[2:3], s[8:9]
                                        ; implicit-def: $sgpr21
                                        ; implicit-def: $sgpr22
                                        ; implicit-def: $sgpr25
	s_delay_alu instid0(VALU_DEP_2) | instskip(NEXT) | instid1(VALU_DEP_1)
	v_mad_u32 v7, s1, v4, v7
	v_mad_u32 v7, s0, v5, v7
	s_branch .LBB1141_14
.LBB1141_13:                            ;   in Loop: Header=BB1141_14 Depth=2
	s_or_b32 exec_lo, exec_lo, s25
	s_delay_alu instid0(SALU_CYCLE_1) | instskip(SKIP_4) | instid1(SALU_CYCLE_1)
	s_and_b32 s24, exec_lo, s24
	s_mov_b32 s25, s23
	s_or_b32 s20, s24, s20
	s_and_not1_b32 s21, s21, exec_lo
	s_and_b32 s24, s22, exec_lo
	s_or_b32 s21, s21, s24
	s_and_not1_b32 exec_lo, exec_lo, s20
	s_cbranch_execz .LBB1141_18
.LBB1141_14:                            ;   Parent Loop BB1141_10 Depth=1
                                        ; =>  This Inner Loop Header: Depth=2
	global_load_u16 v14, v[8:9], off
	global_load_u16 v15, v[6:7], off
	s_mov_b32 s24, -1
	s_mov_b32 s26, 0
	s_mov_b32 s23, -1
	s_mov_b32 s27, exec_lo
	s_wait_loadcnt 0x0
	v_dual_lshlrev_b32 v14, 16, v14 :: v_dual_lshlrev_b32 v15, 16, v15
	s_delay_alu instid0(VALU_DEP_1)
	v_cmpx_nlt_f32_e32 v14, v15
; %bb.15:                               ;   in Loop: Header=BB1141_14 Depth=2
	v_cmp_ngt_f32_e32 vcc_lo, v14, v15
	s_and_b32 s23, vcc_lo, s25
	s_and_b32 s26, vcc_lo, exec_lo
	s_or_not1_b32 s23, s23, exec_lo
; %bb.16:                               ;   in Loop: Header=BB1141_14 Depth=2
	s_or_b32 exec_lo, exec_lo, s27
	s_delay_alu instid0(SALU_CYCLE_1) | instskip(SKIP_1) | instid1(SALU_CYCLE_1)
	s_and_not1_b32 s22, s22, exec_lo
	s_and_b32 s25, s23, exec_lo
	s_or_b32 s22, s22, s25
	s_and_saveexec_b32 s25, s26
	s_cbranch_execz .LBB1141_13
; %bb.17:                               ;   in Loop: Header=BB1141_14 Depth=2
	s_add_nc_u64 s[2:3], s[2:3], -1
	v_add_nc_u64_e32 v[8:9], 2, v[8:9]
	s_cmp_eq_u64 s[2:3], 0
	v_add_nc_u64_e32 v[6:7], 2, v[6:7]
	s_cselect_b32 s24, -1, 0
	s_and_not1_b32 s22, s22, exec_lo
	s_or_not1_b32 s24, s24, exec_lo
	s_branch .LBB1141_13
.LBB1141_18:                            ;   in Loop: Header=BB1141_10 Depth=1
	s_or_b32 exec_lo, exec_lo, s20
	s_xor_b32 s20, s21, -1
	s_branch .LBB1141_20
.LBB1141_19:                            ;   in Loop: Header=BB1141_10 Depth=1
	s_mov_b32 s20, -1
.LBB1141_20:                            ;   in Loop: Header=BB1141_10 Depth=1
	s_mov_b32 s2, 0
.LBB1141_21:                            ;   in Loop: Header=BB1141_10 Depth=1
	s_delay_alu instid0(SALU_CYCLE_1)
	s_and_not1_b32 vcc_lo, exec_lo, s2
	s_cbranch_vccnz .LBB1141_9
; %bb.22:                               ;   in Loop: Header=BB1141_10 Depth=1
	s_and_not1_b32 vcc_lo, exec_lo, s12
	s_cbranch_vccnz .LBB1141_29
; %bb.23:                               ;   in Loop: Header=BB1141_10 Depth=1
	s_wait_loadcnt 0x0
	v_mad_nc_u64_u32 v[6:7], s0, v4, s[10:11]
	s_mov_b32 s21, 0
	s_mov_b64 s[2:3], s[8:9]
                                        ; implicit-def: $sgpr20
                                        ; implicit-def: $sgpr22
                                        ; implicit-def: $sgpr25
	s_delay_alu instid0(VALU_DEP_1) | instskip(NEXT) | instid1(VALU_DEP_1)
	v_mad_u32 v4, s1, v4, v7
	v_mad_u32 v7, s0, v5, v4
	v_mov_b64_e32 v[4:5], v[0:1]
	s_branch .LBB1141_25
.LBB1141_24:                            ;   in Loop: Header=BB1141_25 Depth=2
	s_or_b32 exec_lo, exec_lo, s25
	s_delay_alu instid0(SALU_CYCLE_1) | instskip(SKIP_4) | instid1(SALU_CYCLE_1)
	s_and_b32 s24, exec_lo, s24
	s_mov_b32 s25, s23
	s_or_b32 s21, s24, s21
	s_and_not1_b32 s20, s20, exec_lo
	s_and_b32 s24, s22, exec_lo
	s_or_b32 s20, s20, s24
	s_and_not1_b32 exec_lo, exec_lo, s21
	s_cbranch_execz .LBB1141_8
.LBB1141_25:                            ;   Parent Loop BB1141_10 Depth=1
                                        ; =>  This Inner Loop Header: Depth=2
	global_load_u16 v8, v[6:7], off
	global_load_u16 v9, v[4:5], off
	s_mov_b32 s24, -1
	s_mov_b32 s26, 0
	s_mov_b32 s23, -1
	s_mov_b32 s27, exec_lo
	s_wait_loadcnt 0x0
	v_dual_lshlrev_b32 v8, 16, v8 :: v_dual_lshlrev_b32 v9, 16, v9
	s_delay_alu instid0(VALU_DEP_1)
	v_cmpx_nlt_f32_e32 v8, v9
; %bb.26:                               ;   in Loop: Header=BB1141_25 Depth=2
	v_cmp_ngt_f32_e32 vcc_lo, v8, v9
	s_and_b32 s23, vcc_lo, s25
	s_and_b32 s26, vcc_lo, exec_lo
	s_or_not1_b32 s23, s23, exec_lo
; %bb.27:                               ;   in Loop: Header=BB1141_25 Depth=2
	s_or_b32 exec_lo, exec_lo, s27
	s_delay_alu instid0(SALU_CYCLE_1) | instskip(SKIP_1) | instid1(SALU_CYCLE_1)
	s_and_not1_b32 s22, s22, exec_lo
	s_and_b32 s25, s23, exec_lo
	s_or_b32 s22, s22, s25
	s_and_saveexec_b32 s25, s26
	s_cbranch_execz .LBB1141_24
; %bb.28:                               ;   in Loop: Header=BB1141_25 Depth=2
	s_add_nc_u64 s[2:3], s[2:3], -1
	v_add_nc_u64_e32 v[6:7], 2, v[6:7]
	s_cmp_eq_u64 s[2:3], 0
	v_add_nc_u64_e32 v[4:5], 2, v[4:5]
	s_cselect_b32 s24, -1, 0
	s_and_not1_b32 s22, s22, exec_lo
	s_or_not1_b32 s24, s24, exec_lo
	s_branch .LBB1141_24
.LBB1141_29:                            ;   in Loop: Header=BB1141_10 Depth=1
	s_mov_b32 s20, 0
	s_branch .LBB1141_9
.LBB1141_30:
                                        ; implicit-def: $vgpr1
	s_cbranch_execnz .LBB1141_34
	s_branch .LBB1141_60
.LBB1141_31:
	s_or_b32 exec_lo, exec_lo, s19
.LBB1141_32:
	s_delay_alu instid0(VALU_DEP_1)
	v_add_nc_u32_e32 v1, v11, v10
	s_or_b32 s13, s13, exec_lo
.LBB1141_33:
	s_or_b32 exec_lo, exec_lo, s18
	s_branch .LBB1141_60
.LBB1141_34:
	v_mov_b32_e32 v11, s16
	s_cmp_ge_u32 s15, s17
	s_cbranch_scc1 .LBB1141_59
; %bb.35:
	s_wait_loadcnt 0x0
	v_mul_u64_e32 v[0:1], s[8:9], v[2:3]
	v_dual_mov_b32 v12, s17 :: v_dual_mov_b32 v11, s16
	v_cndmask_b32_e64 v13, 0, 1, s12
	s_lshl_b64 s[2:3], s[8:9], 1
	s_mov_b32 s13, 0
	s_delay_alu instid0(VALU_DEP_3)
	v_lshl_add_u64 v[0:1], v[0:1], 1, s[10:11]
	s_branch .LBB1141_38
.LBB1141_36:                            ;   in Loop: Header=BB1141_38 Depth=1
	s_or_b32 exec_lo, exec_lo, s16
.LBB1141_37:                            ;   in Loop: Header=BB1141_38 Depth=1
	s_wait_loadcnt 0x0
	v_dual_add_nc_u32 v4, 1, v14 :: v_dual_cndmask_b32 v12, v14, v12, s15
	s_delay_alu instid0(VALU_DEP_1) | instskip(NEXT) | instid1(VALU_DEP_1)
	v_cndmask_b32_e64 v11, v11, v4, s15
	v_cmp_ge_u32_e32 vcc_lo, v11, v12
	s_or_b32 s13, vcc_lo, s13
	s_delay_alu instid0(SALU_CYCLE_1)
	s_and_not1_b32 exec_lo, exec_lo, s13
	s_cbranch_execz .LBB1141_58
.LBB1141_38:                            ; =>This Loop Header: Depth=1
                                        ;     Child Loop BB1141_42 Depth 2
                                        ;     Child Loop BB1141_53 Depth 2
	v_add_nc_u32_e32 v4, v11, v12
	v_cmp_ne_u32_e64 s0, 1, v13
	s_and_not1_b32 vcc_lo, exec_lo, s14
	s_mov_b32 s1, -1
                                        ; implicit-def: $sgpr15
	v_lshrrev_b32_e32 v14, 1, v4
	global_load_b64 v[4:5], v14, s[4:5] scale_offset
	s_cbranch_vccnz .LBB1141_49
; %bb.39:                               ;   in Loop: Header=BB1141_38 Depth=1
	s_and_b32 vcc_lo, exec_lo, s0
	s_cbranch_vccnz .LBB1141_47
; %bb.40:                               ;   in Loop: Header=BB1141_38 Depth=1
	s_wait_loadcnt 0x0
	v_mad_nc_u64_u32 v[6:7], s2, v4, s[10:11]
	v_mov_b64_e32 v[8:9], v[0:1]
	s_mov_b32 s15, 0
	s_mov_b64 s[0:1], s[8:9]
                                        ; implicit-def: $sgpr16
                                        ; implicit-def: $sgpr17
                                        ; implicit-def: $sgpr20
	s_delay_alu instid0(VALU_DEP_2) | instskip(NEXT) | instid1(VALU_DEP_1)
	v_mad_u32 v7, s3, v4, v7
	v_mad_u32 v7, s2, v5, v7
	s_branch .LBB1141_42
.LBB1141_41:                            ;   in Loop: Header=BB1141_42 Depth=2
	s_or_b32 exec_lo, exec_lo, s20
	s_delay_alu instid0(SALU_CYCLE_1) | instskip(SKIP_4) | instid1(SALU_CYCLE_1)
	s_and_b32 s19, exec_lo, s19
	s_mov_b32 s20, s18
	s_or_b32 s15, s19, s15
	s_and_not1_b32 s16, s16, exec_lo
	s_and_b32 s19, s17, exec_lo
	s_or_b32 s16, s16, s19
	s_and_not1_b32 exec_lo, exec_lo, s15
	s_cbranch_execz .LBB1141_46
.LBB1141_42:                            ;   Parent Loop BB1141_38 Depth=1
                                        ; =>  This Inner Loop Header: Depth=2
	global_load_u16 v15, v[8:9], off
	global_load_u16 v16, v[6:7], off
	s_mov_b32 s19, -1
	s_mov_b32 s21, 0
	s_mov_b32 s18, -1
	s_mov_b32 s22, exec_lo
	s_wait_loadcnt 0x0
	v_dual_lshlrev_b32 v15, 16, v15 :: v_dual_lshlrev_b32 v16, 16, v16
	s_delay_alu instid0(VALU_DEP_1)
	v_cmpx_nlt_f32_e32 v15, v16
; %bb.43:                               ;   in Loop: Header=BB1141_42 Depth=2
	v_cmp_ngt_f32_e32 vcc_lo, v15, v16
	s_and_b32 s18, vcc_lo, s20
	s_and_b32 s21, vcc_lo, exec_lo
	s_or_not1_b32 s18, s18, exec_lo
; %bb.44:                               ;   in Loop: Header=BB1141_42 Depth=2
	s_or_b32 exec_lo, exec_lo, s22
	s_delay_alu instid0(SALU_CYCLE_1) | instskip(SKIP_1) | instid1(SALU_CYCLE_1)
	s_and_not1_b32 s17, s17, exec_lo
	s_and_b32 s20, s18, exec_lo
	s_or_b32 s17, s17, s20
	s_and_saveexec_b32 s20, s21
	s_cbranch_execz .LBB1141_41
; %bb.45:                               ;   in Loop: Header=BB1141_42 Depth=2
	s_add_nc_u64 s[0:1], s[0:1], -1
	v_add_nc_u64_e32 v[8:9], 2, v[8:9]
	s_cmp_eq_u64 s[0:1], 0
	v_add_nc_u64_e32 v[6:7], 2, v[6:7]
	s_cselect_b32 s19, -1, 0
	s_and_not1_b32 s17, s17, exec_lo
	s_or_not1_b32 s19, s19, exec_lo
	s_branch .LBB1141_41
.LBB1141_46:                            ;   in Loop: Header=BB1141_38 Depth=1
	s_or_b32 exec_lo, exec_lo, s15
	s_xor_b32 s15, s16, -1
	s_branch .LBB1141_48
.LBB1141_47:                            ;   in Loop: Header=BB1141_38 Depth=1
	s_mov_b32 s15, -1
.LBB1141_48:                            ;   in Loop: Header=BB1141_38 Depth=1
	s_mov_b32 s1, 0
.LBB1141_49:                            ;   in Loop: Header=BB1141_38 Depth=1
	s_delay_alu instid0(SALU_CYCLE_1)
	s_and_not1_b32 vcc_lo, exec_lo, s1
	s_cbranch_vccnz .LBB1141_37
; %bb.50:                               ;   in Loop: Header=BB1141_38 Depth=1
	s_and_not1_b32 vcc_lo, exec_lo, s12
	s_cbranch_vccnz .LBB1141_57
; %bb.51:                               ;   in Loop: Header=BB1141_38 Depth=1
	s_wait_loadcnt 0x0
	v_mad_nc_u64_u32 v[6:7], s2, v4, s[10:11]
	s_mov_b32 s16, 0
	s_mov_b64 s[0:1], s[8:9]
                                        ; implicit-def: $sgpr15
                                        ; implicit-def: $sgpr17
                                        ; implicit-def: $sgpr20
	s_delay_alu instid0(VALU_DEP_1) | instskip(NEXT) | instid1(VALU_DEP_1)
	v_mad_u32 v4, s3, v4, v7
	v_mad_u32 v7, s2, v5, v4
	v_mov_b64_e32 v[4:5], v[0:1]
	s_branch .LBB1141_53
.LBB1141_52:                            ;   in Loop: Header=BB1141_53 Depth=2
	s_or_b32 exec_lo, exec_lo, s20
	s_delay_alu instid0(SALU_CYCLE_1) | instskip(SKIP_4) | instid1(SALU_CYCLE_1)
	s_and_b32 s19, exec_lo, s19
	s_mov_b32 s20, s18
	s_or_b32 s16, s19, s16
	s_and_not1_b32 s15, s15, exec_lo
	s_and_b32 s19, s17, exec_lo
	s_or_b32 s15, s15, s19
	s_and_not1_b32 exec_lo, exec_lo, s16
	s_cbranch_execz .LBB1141_36
.LBB1141_53:                            ;   Parent Loop BB1141_38 Depth=1
                                        ; =>  This Inner Loop Header: Depth=2
	global_load_u16 v8, v[6:7], off
	global_load_u16 v9, v[4:5], off
	s_mov_b32 s19, -1
	s_mov_b32 s21, 0
	s_mov_b32 s18, -1
	s_mov_b32 s22, exec_lo
	s_wait_loadcnt 0x0
	v_dual_lshlrev_b32 v8, 16, v8 :: v_dual_lshlrev_b32 v9, 16, v9
	s_delay_alu instid0(VALU_DEP_1)
	v_cmpx_nlt_f32_e32 v8, v9
; %bb.54:                               ;   in Loop: Header=BB1141_53 Depth=2
	v_cmp_ngt_f32_e32 vcc_lo, v8, v9
	s_and_b32 s18, vcc_lo, s20
	s_and_b32 s21, vcc_lo, exec_lo
	s_or_not1_b32 s18, s18, exec_lo
; %bb.55:                               ;   in Loop: Header=BB1141_53 Depth=2
	s_or_b32 exec_lo, exec_lo, s22
	s_delay_alu instid0(SALU_CYCLE_1) | instskip(SKIP_1) | instid1(SALU_CYCLE_1)
	s_and_not1_b32 s17, s17, exec_lo
	s_and_b32 s20, s18, exec_lo
	s_or_b32 s17, s17, s20
	s_and_saveexec_b32 s20, s21
	s_cbranch_execz .LBB1141_52
; %bb.56:                               ;   in Loop: Header=BB1141_53 Depth=2
	s_add_nc_u64 s[0:1], s[0:1], -1
	v_add_nc_u64_e32 v[6:7], 2, v[6:7]
	s_cmp_eq_u64 s[0:1], 0
	v_add_nc_u64_e32 v[4:5], 2, v[4:5]
	s_cselect_b32 s19, -1, 0
	s_and_not1_b32 s17, s17, exec_lo
	s_or_not1_b32 s19, s19, exec_lo
	s_branch .LBB1141_52
.LBB1141_57:                            ;   in Loop: Header=BB1141_38 Depth=1
	s_mov_b32 s15, 0
	s_branch .LBB1141_37
.LBB1141_58:
	s_or_b32 exec_lo, exec_lo, s13
.LBB1141_59:
	s_delay_alu instid0(VALU_DEP_1)
	v_add_nc_u32_e32 v1, v11, v10
	s_mov_b32 s13, -1
.LBB1141_60:
	s_delay_alu instid0(SALU_CYCLE_1)
	s_and_b32 exec_lo, exec_lo, s13
	s_cbranch_execz .LBB1141_62
; %bb.61:
	s_wait_loadcnt 0x0
	global_store_b64 v1, v[2:3], s[6:7] scale_offset
.LBB1141_62:
	s_endpgm
	.section	.rodata,"a",@progbits
	.p2align	6, 0x0
	.amdhsa_kernel _ZN7rocprim17ROCPRIM_400000_NS6detail17trampoline_kernelINS0_14default_configENS1_38merge_sort_block_merge_config_selectorIlNS0_10empty_typeEEEZZNS1_27merge_sort_block_merge_implIS3_PlPS5_mZN2at6native12_GLOBAL__N_124unique_dim_cuda_templateIN3c108BFloat16EEESt5tupleIJNSA_6TensorESH_SH_EERKSH_lbbbEUlllE_EE10hipError_tT0_T1_T2_jT3_P12ihipStream_tbPNSt15iterator_traitsISN_E10value_typeEPNST_ISO_E10value_typeEPSP_NS1_7vsmem_tEENKUlT_SN_SO_SP_E_clIS8_S8_S9_S9_EESM_S12_SN_SO_SP_EUlS12_E1_NS1_11comp_targetILNS1_3genE0ELNS1_11target_archE4294967295ELNS1_3gpuE0ELNS1_3repE0EEENS1_36merge_oddeven_config_static_selectorELNS0_4arch9wavefront6targetE0EEEvSO_
		.amdhsa_group_segment_fixed_size 0
		.amdhsa_private_segment_fixed_size 0
		.amdhsa_kernarg_size 64
		.amdhsa_user_sgpr_count 2
		.amdhsa_user_sgpr_dispatch_ptr 0
		.amdhsa_user_sgpr_queue_ptr 0
		.amdhsa_user_sgpr_kernarg_segment_ptr 1
		.amdhsa_user_sgpr_dispatch_id 0
		.amdhsa_user_sgpr_kernarg_preload_length 0
		.amdhsa_user_sgpr_kernarg_preload_offset 0
		.amdhsa_user_sgpr_private_segment_size 0
		.amdhsa_wavefront_size32 1
		.amdhsa_uses_dynamic_stack 0
		.amdhsa_enable_private_segment 0
		.amdhsa_system_sgpr_workgroup_id_x 1
		.amdhsa_system_sgpr_workgroup_id_y 0
		.amdhsa_system_sgpr_workgroup_id_z 0
		.amdhsa_system_sgpr_workgroup_info 0
		.amdhsa_system_vgpr_workitem_id 0
		.amdhsa_next_free_vgpr 17
		.amdhsa_next_free_sgpr 28
		.amdhsa_named_barrier_count 0
		.amdhsa_reserve_vcc 1
		.amdhsa_float_round_mode_32 0
		.amdhsa_float_round_mode_16_64 0
		.amdhsa_float_denorm_mode_32 3
		.amdhsa_float_denorm_mode_16_64 3
		.amdhsa_fp16_overflow 0
		.amdhsa_memory_ordered 1
		.amdhsa_forward_progress 1
		.amdhsa_inst_pref_size 14
		.amdhsa_round_robin_scheduling 0
		.amdhsa_exception_fp_ieee_invalid_op 0
		.amdhsa_exception_fp_denorm_src 0
		.amdhsa_exception_fp_ieee_div_zero 0
		.amdhsa_exception_fp_ieee_overflow 0
		.amdhsa_exception_fp_ieee_underflow 0
		.amdhsa_exception_fp_ieee_inexact 0
		.amdhsa_exception_int_div_zero 0
	.end_amdhsa_kernel
	.section	.text._ZN7rocprim17ROCPRIM_400000_NS6detail17trampoline_kernelINS0_14default_configENS1_38merge_sort_block_merge_config_selectorIlNS0_10empty_typeEEEZZNS1_27merge_sort_block_merge_implIS3_PlPS5_mZN2at6native12_GLOBAL__N_124unique_dim_cuda_templateIN3c108BFloat16EEESt5tupleIJNSA_6TensorESH_SH_EERKSH_lbbbEUlllE_EE10hipError_tT0_T1_T2_jT3_P12ihipStream_tbPNSt15iterator_traitsISN_E10value_typeEPNST_ISO_E10value_typeEPSP_NS1_7vsmem_tEENKUlT_SN_SO_SP_E_clIS8_S8_S9_S9_EESM_S12_SN_SO_SP_EUlS12_E1_NS1_11comp_targetILNS1_3genE0ELNS1_11target_archE4294967295ELNS1_3gpuE0ELNS1_3repE0EEENS1_36merge_oddeven_config_static_selectorELNS0_4arch9wavefront6targetE0EEEvSO_,"axG",@progbits,_ZN7rocprim17ROCPRIM_400000_NS6detail17trampoline_kernelINS0_14default_configENS1_38merge_sort_block_merge_config_selectorIlNS0_10empty_typeEEEZZNS1_27merge_sort_block_merge_implIS3_PlPS5_mZN2at6native12_GLOBAL__N_124unique_dim_cuda_templateIN3c108BFloat16EEESt5tupleIJNSA_6TensorESH_SH_EERKSH_lbbbEUlllE_EE10hipError_tT0_T1_T2_jT3_P12ihipStream_tbPNSt15iterator_traitsISN_E10value_typeEPNST_ISO_E10value_typeEPSP_NS1_7vsmem_tEENKUlT_SN_SO_SP_E_clIS8_S8_S9_S9_EESM_S12_SN_SO_SP_EUlS12_E1_NS1_11comp_targetILNS1_3genE0ELNS1_11target_archE4294967295ELNS1_3gpuE0ELNS1_3repE0EEENS1_36merge_oddeven_config_static_selectorELNS0_4arch9wavefront6targetE0EEEvSO_,comdat
.Lfunc_end1141:
	.size	_ZN7rocprim17ROCPRIM_400000_NS6detail17trampoline_kernelINS0_14default_configENS1_38merge_sort_block_merge_config_selectorIlNS0_10empty_typeEEEZZNS1_27merge_sort_block_merge_implIS3_PlPS5_mZN2at6native12_GLOBAL__N_124unique_dim_cuda_templateIN3c108BFloat16EEESt5tupleIJNSA_6TensorESH_SH_EERKSH_lbbbEUlllE_EE10hipError_tT0_T1_T2_jT3_P12ihipStream_tbPNSt15iterator_traitsISN_E10value_typeEPNST_ISO_E10value_typeEPSP_NS1_7vsmem_tEENKUlT_SN_SO_SP_E_clIS8_S8_S9_S9_EESM_S12_SN_SO_SP_EUlS12_E1_NS1_11comp_targetILNS1_3genE0ELNS1_11target_archE4294967295ELNS1_3gpuE0ELNS1_3repE0EEENS1_36merge_oddeven_config_static_selectorELNS0_4arch9wavefront6targetE0EEEvSO_, .Lfunc_end1141-_ZN7rocprim17ROCPRIM_400000_NS6detail17trampoline_kernelINS0_14default_configENS1_38merge_sort_block_merge_config_selectorIlNS0_10empty_typeEEEZZNS1_27merge_sort_block_merge_implIS3_PlPS5_mZN2at6native12_GLOBAL__N_124unique_dim_cuda_templateIN3c108BFloat16EEESt5tupleIJNSA_6TensorESH_SH_EERKSH_lbbbEUlllE_EE10hipError_tT0_T1_T2_jT3_P12ihipStream_tbPNSt15iterator_traitsISN_E10value_typeEPNST_ISO_E10value_typeEPSP_NS1_7vsmem_tEENKUlT_SN_SO_SP_E_clIS8_S8_S9_S9_EESM_S12_SN_SO_SP_EUlS12_E1_NS1_11comp_targetILNS1_3genE0ELNS1_11target_archE4294967295ELNS1_3gpuE0ELNS1_3repE0EEENS1_36merge_oddeven_config_static_selectorELNS0_4arch9wavefront6targetE0EEEvSO_
                                        ; -- End function
	.set _ZN7rocprim17ROCPRIM_400000_NS6detail17trampoline_kernelINS0_14default_configENS1_38merge_sort_block_merge_config_selectorIlNS0_10empty_typeEEEZZNS1_27merge_sort_block_merge_implIS3_PlPS5_mZN2at6native12_GLOBAL__N_124unique_dim_cuda_templateIN3c108BFloat16EEESt5tupleIJNSA_6TensorESH_SH_EERKSH_lbbbEUlllE_EE10hipError_tT0_T1_T2_jT3_P12ihipStream_tbPNSt15iterator_traitsISN_E10value_typeEPNST_ISO_E10value_typeEPSP_NS1_7vsmem_tEENKUlT_SN_SO_SP_E_clIS8_S8_S9_S9_EESM_S12_SN_SO_SP_EUlS12_E1_NS1_11comp_targetILNS1_3genE0ELNS1_11target_archE4294967295ELNS1_3gpuE0ELNS1_3repE0EEENS1_36merge_oddeven_config_static_selectorELNS0_4arch9wavefront6targetE0EEEvSO_.num_vgpr, 17
	.set _ZN7rocprim17ROCPRIM_400000_NS6detail17trampoline_kernelINS0_14default_configENS1_38merge_sort_block_merge_config_selectorIlNS0_10empty_typeEEEZZNS1_27merge_sort_block_merge_implIS3_PlPS5_mZN2at6native12_GLOBAL__N_124unique_dim_cuda_templateIN3c108BFloat16EEESt5tupleIJNSA_6TensorESH_SH_EERKSH_lbbbEUlllE_EE10hipError_tT0_T1_T2_jT3_P12ihipStream_tbPNSt15iterator_traitsISN_E10value_typeEPNST_ISO_E10value_typeEPSP_NS1_7vsmem_tEENKUlT_SN_SO_SP_E_clIS8_S8_S9_S9_EESM_S12_SN_SO_SP_EUlS12_E1_NS1_11comp_targetILNS1_3genE0ELNS1_11target_archE4294967295ELNS1_3gpuE0ELNS1_3repE0EEENS1_36merge_oddeven_config_static_selectorELNS0_4arch9wavefront6targetE0EEEvSO_.num_agpr, 0
	.set _ZN7rocprim17ROCPRIM_400000_NS6detail17trampoline_kernelINS0_14default_configENS1_38merge_sort_block_merge_config_selectorIlNS0_10empty_typeEEEZZNS1_27merge_sort_block_merge_implIS3_PlPS5_mZN2at6native12_GLOBAL__N_124unique_dim_cuda_templateIN3c108BFloat16EEESt5tupleIJNSA_6TensorESH_SH_EERKSH_lbbbEUlllE_EE10hipError_tT0_T1_T2_jT3_P12ihipStream_tbPNSt15iterator_traitsISN_E10value_typeEPNST_ISO_E10value_typeEPSP_NS1_7vsmem_tEENKUlT_SN_SO_SP_E_clIS8_S8_S9_S9_EESM_S12_SN_SO_SP_EUlS12_E1_NS1_11comp_targetILNS1_3genE0ELNS1_11target_archE4294967295ELNS1_3gpuE0ELNS1_3repE0EEENS1_36merge_oddeven_config_static_selectorELNS0_4arch9wavefront6targetE0EEEvSO_.numbered_sgpr, 28
	.set _ZN7rocprim17ROCPRIM_400000_NS6detail17trampoline_kernelINS0_14default_configENS1_38merge_sort_block_merge_config_selectorIlNS0_10empty_typeEEEZZNS1_27merge_sort_block_merge_implIS3_PlPS5_mZN2at6native12_GLOBAL__N_124unique_dim_cuda_templateIN3c108BFloat16EEESt5tupleIJNSA_6TensorESH_SH_EERKSH_lbbbEUlllE_EE10hipError_tT0_T1_T2_jT3_P12ihipStream_tbPNSt15iterator_traitsISN_E10value_typeEPNST_ISO_E10value_typeEPSP_NS1_7vsmem_tEENKUlT_SN_SO_SP_E_clIS8_S8_S9_S9_EESM_S12_SN_SO_SP_EUlS12_E1_NS1_11comp_targetILNS1_3genE0ELNS1_11target_archE4294967295ELNS1_3gpuE0ELNS1_3repE0EEENS1_36merge_oddeven_config_static_selectorELNS0_4arch9wavefront6targetE0EEEvSO_.num_named_barrier, 0
	.set _ZN7rocprim17ROCPRIM_400000_NS6detail17trampoline_kernelINS0_14default_configENS1_38merge_sort_block_merge_config_selectorIlNS0_10empty_typeEEEZZNS1_27merge_sort_block_merge_implIS3_PlPS5_mZN2at6native12_GLOBAL__N_124unique_dim_cuda_templateIN3c108BFloat16EEESt5tupleIJNSA_6TensorESH_SH_EERKSH_lbbbEUlllE_EE10hipError_tT0_T1_T2_jT3_P12ihipStream_tbPNSt15iterator_traitsISN_E10value_typeEPNST_ISO_E10value_typeEPSP_NS1_7vsmem_tEENKUlT_SN_SO_SP_E_clIS8_S8_S9_S9_EESM_S12_SN_SO_SP_EUlS12_E1_NS1_11comp_targetILNS1_3genE0ELNS1_11target_archE4294967295ELNS1_3gpuE0ELNS1_3repE0EEENS1_36merge_oddeven_config_static_selectorELNS0_4arch9wavefront6targetE0EEEvSO_.private_seg_size, 0
	.set _ZN7rocprim17ROCPRIM_400000_NS6detail17trampoline_kernelINS0_14default_configENS1_38merge_sort_block_merge_config_selectorIlNS0_10empty_typeEEEZZNS1_27merge_sort_block_merge_implIS3_PlPS5_mZN2at6native12_GLOBAL__N_124unique_dim_cuda_templateIN3c108BFloat16EEESt5tupleIJNSA_6TensorESH_SH_EERKSH_lbbbEUlllE_EE10hipError_tT0_T1_T2_jT3_P12ihipStream_tbPNSt15iterator_traitsISN_E10value_typeEPNST_ISO_E10value_typeEPSP_NS1_7vsmem_tEENKUlT_SN_SO_SP_E_clIS8_S8_S9_S9_EESM_S12_SN_SO_SP_EUlS12_E1_NS1_11comp_targetILNS1_3genE0ELNS1_11target_archE4294967295ELNS1_3gpuE0ELNS1_3repE0EEENS1_36merge_oddeven_config_static_selectorELNS0_4arch9wavefront6targetE0EEEvSO_.uses_vcc, 1
	.set _ZN7rocprim17ROCPRIM_400000_NS6detail17trampoline_kernelINS0_14default_configENS1_38merge_sort_block_merge_config_selectorIlNS0_10empty_typeEEEZZNS1_27merge_sort_block_merge_implIS3_PlPS5_mZN2at6native12_GLOBAL__N_124unique_dim_cuda_templateIN3c108BFloat16EEESt5tupleIJNSA_6TensorESH_SH_EERKSH_lbbbEUlllE_EE10hipError_tT0_T1_T2_jT3_P12ihipStream_tbPNSt15iterator_traitsISN_E10value_typeEPNST_ISO_E10value_typeEPSP_NS1_7vsmem_tEENKUlT_SN_SO_SP_E_clIS8_S8_S9_S9_EESM_S12_SN_SO_SP_EUlS12_E1_NS1_11comp_targetILNS1_3genE0ELNS1_11target_archE4294967295ELNS1_3gpuE0ELNS1_3repE0EEENS1_36merge_oddeven_config_static_selectorELNS0_4arch9wavefront6targetE0EEEvSO_.uses_flat_scratch, 0
	.set _ZN7rocprim17ROCPRIM_400000_NS6detail17trampoline_kernelINS0_14default_configENS1_38merge_sort_block_merge_config_selectorIlNS0_10empty_typeEEEZZNS1_27merge_sort_block_merge_implIS3_PlPS5_mZN2at6native12_GLOBAL__N_124unique_dim_cuda_templateIN3c108BFloat16EEESt5tupleIJNSA_6TensorESH_SH_EERKSH_lbbbEUlllE_EE10hipError_tT0_T1_T2_jT3_P12ihipStream_tbPNSt15iterator_traitsISN_E10value_typeEPNST_ISO_E10value_typeEPSP_NS1_7vsmem_tEENKUlT_SN_SO_SP_E_clIS8_S8_S9_S9_EESM_S12_SN_SO_SP_EUlS12_E1_NS1_11comp_targetILNS1_3genE0ELNS1_11target_archE4294967295ELNS1_3gpuE0ELNS1_3repE0EEENS1_36merge_oddeven_config_static_selectorELNS0_4arch9wavefront6targetE0EEEvSO_.has_dyn_sized_stack, 0
	.set _ZN7rocprim17ROCPRIM_400000_NS6detail17trampoline_kernelINS0_14default_configENS1_38merge_sort_block_merge_config_selectorIlNS0_10empty_typeEEEZZNS1_27merge_sort_block_merge_implIS3_PlPS5_mZN2at6native12_GLOBAL__N_124unique_dim_cuda_templateIN3c108BFloat16EEESt5tupleIJNSA_6TensorESH_SH_EERKSH_lbbbEUlllE_EE10hipError_tT0_T1_T2_jT3_P12ihipStream_tbPNSt15iterator_traitsISN_E10value_typeEPNST_ISO_E10value_typeEPSP_NS1_7vsmem_tEENKUlT_SN_SO_SP_E_clIS8_S8_S9_S9_EESM_S12_SN_SO_SP_EUlS12_E1_NS1_11comp_targetILNS1_3genE0ELNS1_11target_archE4294967295ELNS1_3gpuE0ELNS1_3repE0EEENS1_36merge_oddeven_config_static_selectorELNS0_4arch9wavefront6targetE0EEEvSO_.has_recursion, 0
	.set _ZN7rocprim17ROCPRIM_400000_NS6detail17trampoline_kernelINS0_14default_configENS1_38merge_sort_block_merge_config_selectorIlNS0_10empty_typeEEEZZNS1_27merge_sort_block_merge_implIS3_PlPS5_mZN2at6native12_GLOBAL__N_124unique_dim_cuda_templateIN3c108BFloat16EEESt5tupleIJNSA_6TensorESH_SH_EERKSH_lbbbEUlllE_EE10hipError_tT0_T1_T2_jT3_P12ihipStream_tbPNSt15iterator_traitsISN_E10value_typeEPNST_ISO_E10value_typeEPSP_NS1_7vsmem_tEENKUlT_SN_SO_SP_E_clIS8_S8_S9_S9_EESM_S12_SN_SO_SP_EUlS12_E1_NS1_11comp_targetILNS1_3genE0ELNS1_11target_archE4294967295ELNS1_3gpuE0ELNS1_3repE0EEENS1_36merge_oddeven_config_static_selectorELNS0_4arch9wavefront6targetE0EEEvSO_.has_indirect_call, 0
	.section	.AMDGPU.csdata,"",@progbits
; Kernel info:
; codeLenInByte = 1720
; TotalNumSgprs: 30
; NumVgprs: 17
; ScratchSize: 0
; MemoryBound: 0
; FloatMode: 240
; IeeeMode: 1
; LDSByteSize: 0 bytes/workgroup (compile time only)
; SGPRBlocks: 0
; VGPRBlocks: 1
; NumSGPRsForWavesPerEU: 30
; NumVGPRsForWavesPerEU: 17
; NamedBarCnt: 0
; Occupancy: 16
; WaveLimiterHint : 0
; COMPUTE_PGM_RSRC2:SCRATCH_EN: 0
; COMPUTE_PGM_RSRC2:USER_SGPR: 2
; COMPUTE_PGM_RSRC2:TRAP_HANDLER: 0
; COMPUTE_PGM_RSRC2:TGID_X_EN: 1
; COMPUTE_PGM_RSRC2:TGID_Y_EN: 0
; COMPUTE_PGM_RSRC2:TGID_Z_EN: 0
; COMPUTE_PGM_RSRC2:TIDIG_COMP_CNT: 0
	.section	.text._ZN7rocprim17ROCPRIM_400000_NS6detail17trampoline_kernelINS0_14default_configENS1_38merge_sort_block_merge_config_selectorIlNS0_10empty_typeEEEZZNS1_27merge_sort_block_merge_implIS3_PlPS5_mZN2at6native12_GLOBAL__N_124unique_dim_cuda_templateIN3c108BFloat16EEESt5tupleIJNSA_6TensorESH_SH_EERKSH_lbbbEUlllE_EE10hipError_tT0_T1_T2_jT3_P12ihipStream_tbPNSt15iterator_traitsISN_E10value_typeEPNST_ISO_E10value_typeEPSP_NS1_7vsmem_tEENKUlT_SN_SO_SP_E_clIS8_S8_S9_S9_EESM_S12_SN_SO_SP_EUlS12_E1_NS1_11comp_targetILNS1_3genE10ELNS1_11target_archE1201ELNS1_3gpuE5ELNS1_3repE0EEENS1_36merge_oddeven_config_static_selectorELNS0_4arch9wavefront6targetE0EEEvSO_,"axG",@progbits,_ZN7rocprim17ROCPRIM_400000_NS6detail17trampoline_kernelINS0_14default_configENS1_38merge_sort_block_merge_config_selectorIlNS0_10empty_typeEEEZZNS1_27merge_sort_block_merge_implIS3_PlPS5_mZN2at6native12_GLOBAL__N_124unique_dim_cuda_templateIN3c108BFloat16EEESt5tupleIJNSA_6TensorESH_SH_EERKSH_lbbbEUlllE_EE10hipError_tT0_T1_T2_jT3_P12ihipStream_tbPNSt15iterator_traitsISN_E10value_typeEPNST_ISO_E10value_typeEPSP_NS1_7vsmem_tEENKUlT_SN_SO_SP_E_clIS8_S8_S9_S9_EESM_S12_SN_SO_SP_EUlS12_E1_NS1_11comp_targetILNS1_3genE10ELNS1_11target_archE1201ELNS1_3gpuE5ELNS1_3repE0EEENS1_36merge_oddeven_config_static_selectorELNS0_4arch9wavefront6targetE0EEEvSO_,comdat
	.globl	_ZN7rocprim17ROCPRIM_400000_NS6detail17trampoline_kernelINS0_14default_configENS1_38merge_sort_block_merge_config_selectorIlNS0_10empty_typeEEEZZNS1_27merge_sort_block_merge_implIS3_PlPS5_mZN2at6native12_GLOBAL__N_124unique_dim_cuda_templateIN3c108BFloat16EEESt5tupleIJNSA_6TensorESH_SH_EERKSH_lbbbEUlllE_EE10hipError_tT0_T1_T2_jT3_P12ihipStream_tbPNSt15iterator_traitsISN_E10value_typeEPNST_ISO_E10value_typeEPSP_NS1_7vsmem_tEENKUlT_SN_SO_SP_E_clIS8_S8_S9_S9_EESM_S12_SN_SO_SP_EUlS12_E1_NS1_11comp_targetILNS1_3genE10ELNS1_11target_archE1201ELNS1_3gpuE5ELNS1_3repE0EEENS1_36merge_oddeven_config_static_selectorELNS0_4arch9wavefront6targetE0EEEvSO_ ; -- Begin function _ZN7rocprim17ROCPRIM_400000_NS6detail17trampoline_kernelINS0_14default_configENS1_38merge_sort_block_merge_config_selectorIlNS0_10empty_typeEEEZZNS1_27merge_sort_block_merge_implIS3_PlPS5_mZN2at6native12_GLOBAL__N_124unique_dim_cuda_templateIN3c108BFloat16EEESt5tupleIJNSA_6TensorESH_SH_EERKSH_lbbbEUlllE_EE10hipError_tT0_T1_T2_jT3_P12ihipStream_tbPNSt15iterator_traitsISN_E10value_typeEPNST_ISO_E10value_typeEPSP_NS1_7vsmem_tEENKUlT_SN_SO_SP_E_clIS8_S8_S9_S9_EESM_S12_SN_SO_SP_EUlS12_E1_NS1_11comp_targetILNS1_3genE10ELNS1_11target_archE1201ELNS1_3gpuE5ELNS1_3repE0EEENS1_36merge_oddeven_config_static_selectorELNS0_4arch9wavefront6targetE0EEEvSO_
	.p2align	8
	.type	_ZN7rocprim17ROCPRIM_400000_NS6detail17trampoline_kernelINS0_14default_configENS1_38merge_sort_block_merge_config_selectorIlNS0_10empty_typeEEEZZNS1_27merge_sort_block_merge_implIS3_PlPS5_mZN2at6native12_GLOBAL__N_124unique_dim_cuda_templateIN3c108BFloat16EEESt5tupleIJNSA_6TensorESH_SH_EERKSH_lbbbEUlllE_EE10hipError_tT0_T1_T2_jT3_P12ihipStream_tbPNSt15iterator_traitsISN_E10value_typeEPNST_ISO_E10value_typeEPSP_NS1_7vsmem_tEENKUlT_SN_SO_SP_E_clIS8_S8_S9_S9_EESM_S12_SN_SO_SP_EUlS12_E1_NS1_11comp_targetILNS1_3genE10ELNS1_11target_archE1201ELNS1_3gpuE5ELNS1_3repE0EEENS1_36merge_oddeven_config_static_selectorELNS0_4arch9wavefront6targetE0EEEvSO_,@function
_ZN7rocprim17ROCPRIM_400000_NS6detail17trampoline_kernelINS0_14default_configENS1_38merge_sort_block_merge_config_selectorIlNS0_10empty_typeEEEZZNS1_27merge_sort_block_merge_implIS3_PlPS5_mZN2at6native12_GLOBAL__N_124unique_dim_cuda_templateIN3c108BFloat16EEESt5tupleIJNSA_6TensorESH_SH_EERKSH_lbbbEUlllE_EE10hipError_tT0_T1_T2_jT3_P12ihipStream_tbPNSt15iterator_traitsISN_E10value_typeEPNST_ISO_E10value_typeEPSP_NS1_7vsmem_tEENKUlT_SN_SO_SP_E_clIS8_S8_S9_S9_EESM_S12_SN_SO_SP_EUlS12_E1_NS1_11comp_targetILNS1_3genE10ELNS1_11target_archE1201ELNS1_3gpuE5ELNS1_3repE0EEENS1_36merge_oddeven_config_static_selectorELNS0_4arch9wavefront6targetE0EEEvSO_: ; @_ZN7rocprim17ROCPRIM_400000_NS6detail17trampoline_kernelINS0_14default_configENS1_38merge_sort_block_merge_config_selectorIlNS0_10empty_typeEEEZZNS1_27merge_sort_block_merge_implIS3_PlPS5_mZN2at6native12_GLOBAL__N_124unique_dim_cuda_templateIN3c108BFloat16EEESt5tupleIJNSA_6TensorESH_SH_EERKSH_lbbbEUlllE_EE10hipError_tT0_T1_T2_jT3_P12ihipStream_tbPNSt15iterator_traitsISN_E10value_typeEPNST_ISO_E10value_typeEPSP_NS1_7vsmem_tEENKUlT_SN_SO_SP_E_clIS8_S8_S9_S9_EESM_S12_SN_SO_SP_EUlS12_E1_NS1_11comp_targetILNS1_3genE10ELNS1_11target_archE1201ELNS1_3gpuE5ELNS1_3repE0EEENS1_36merge_oddeven_config_static_selectorELNS0_4arch9wavefront6targetE0EEEvSO_
; %bb.0:
	.section	.rodata,"a",@progbits
	.p2align	6, 0x0
	.amdhsa_kernel _ZN7rocprim17ROCPRIM_400000_NS6detail17trampoline_kernelINS0_14default_configENS1_38merge_sort_block_merge_config_selectorIlNS0_10empty_typeEEEZZNS1_27merge_sort_block_merge_implIS3_PlPS5_mZN2at6native12_GLOBAL__N_124unique_dim_cuda_templateIN3c108BFloat16EEESt5tupleIJNSA_6TensorESH_SH_EERKSH_lbbbEUlllE_EE10hipError_tT0_T1_T2_jT3_P12ihipStream_tbPNSt15iterator_traitsISN_E10value_typeEPNST_ISO_E10value_typeEPSP_NS1_7vsmem_tEENKUlT_SN_SO_SP_E_clIS8_S8_S9_S9_EESM_S12_SN_SO_SP_EUlS12_E1_NS1_11comp_targetILNS1_3genE10ELNS1_11target_archE1201ELNS1_3gpuE5ELNS1_3repE0EEENS1_36merge_oddeven_config_static_selectorELNS0_4arch9wavefront6targetE0EEEvSO_
		.amdhsa_group_segment_fixed_size 0
		.amdhsa_private_segment_fixed_size 0
		.amdhsa_kernarg_size 64
		.amdhsa_user_sgpr_count 2
		.amdhsa_user_sgpr_dispatch_ptr 0
		.amdhsa_user_sgpr_queue_ptr 0
		.amdhsa_user_sgpr_kernarg_segment_ptr 1
		.amdhsa_user_sgpr_dispatch_id 0
		.amdhsa_user_sgpr_kernarg_preload_length 0
		.amdhsa_user_sgpr_kernarg_preload_offset 0
		.amdhsa_user_sgpr_private_segment_size 0
		.amdhsa_wavefront_size32 1
		.amdhsa_uses_dynamic_stack 0
		.amdhsa_enable_private_segment 0
		.amdhsa_system_sgpr_workgroup_id_x 1
		.amdhsa_system_sgpr_workgroup_id_y 0
		.amdhsa_system_sgpr_workgroup_id_z 0
		.amdhsa_system_sgpr_workgroup_info 0
		.amdhsa_system_vgpr_workitem_id 0
		.amdhsa_next_free_vgpr 1
		.amdhsa_next_free_sgpr 1
		.amdhsa_named_barrier_count 0
		.amdhsa_reserve_vcc 0
		.amdhsa_float_round_mode_32 0
		.amdhsa_float_round_mode_16_64 0
		.amdhsa_float_denorm_mode_32 3
		.amdhsa_float_denorm_mode_16_64 3
		.amdhsa_fp16_overflow 0
		.amdhsa_memory_ordered 1
		.amdhsa_forward_progress 1
		.amdhsa_inst_pref_size 0
		.amdhsa_round_robin_scheduling 0
		.amdhsa_exception_fp_ieee_invalid_op 0
		.amdhsa_exception_fp_denorm_src 0
		.amdhsa_exception_fp_ieee_div_zero 0
		.amdhsa_exception_fp_ieee_overflow 0
		.amdhsa_exception_fp_ieee_underflow 0
		.amdhsa_exception_fp_ieee_inexact 0
		.amdhsa_exception_int_div_zero 0
	.end_amdhsa_kernel
	.section	.text._ZN7rocprim17ROCPRIM_400000_NS6detail17trampoline_kernelINS0_14default_configENS1_38merge_sort_block_merge_config_selectorIlNS0_10empty_typeEEEZZNS1_27merge_sort_block_merge_implIS3_PlPS5_mZN2at6native12_GLOBAL__N_124unique_dim_cuda_templateIN3c108BFloat16EEESt5tupleIJNSA_6TensorESH_SH_EERKSH_lbbbEUlllE_EE10hipError_tT0_T1_T2_jT3_P12ihipStream_tbPNSt15iterator_traitsISN_E10value_typeEPNST_ISO_E10value_typeEPSP_NS1_7vsmem_tEENKUlT_SN_SO_SP_E_clIS8_S8_S9_S9_EESM_S12_SN_SO_SP_EUlS12_E1_NS1_11comp_targetILNS1_3genE10ELNS1_11target_archE1201ELNS1_3gpuE5ELNS1_3repE0EEENS1_36merge_oddeven_config_static_selectorELNS0_4arch9wavefront6targetE0EEEvSO_,"axG",@progbits,_ZN7rocprim17ROCPRIM_400000_NS6detail17trampoline_kernelINS0_14default_configENS1_38merge_sort_block_merge_config_selectorIlNS0_10empty_typeEEEZZNS1_27merge_sort_block_merge_implIS3_PlPS5_mZN2at6native12_GLOBAL__N_124unique_dim_cuda_templateIN3c108BFloat16EEESt5tupleIJNSA_6TensorESH_SH_EERKSH_lbbbEUlllE_EE10hipError_tT0_T1_T2_jT3_P12ihipStream_tbPNSt15iterator_traitsISN_E10value_typeEPNST_ISO_E10value_typeEPSP_NS1_7vsmem_tEENKUlT_SN_SO_SP_E_clIS8_S8_S9_S9_EESM_S12_SN_SO_SP_EUlS12_E1_NS1_11comp_targetILNS1_3genE10ELNS1_11target_archE1201ELNS1_3gpuE5ELNS1_3repE0EEENS1_36merge_oddeven_config_static_selectorELNS0_4arch9wavefront6targetE0EEEvSO_,comdat
.Lfunc_end1142:
	.size	_ZN7rocprim17ROCPRIM_400000_NS6detail17trampoline_kernelINS0_14default_configENS1_38merge_sort_block_merge_config_selectorIlNS0_10empty_typeEEEZZNS1_27merge_sort_block_merge_implIS3_PlPS5_mZN2at6native12_GLOBAL__N_124unique_dim_cuda_templateIN3c108BFloat16EEESt5tupleIJNSA_6TensorESH_SH_EERKSH_lbbbEUlllE_EE10hipError_tT0_T1_T2_jT3_P12ihipStream_tbPNSt15iterator_traitsISN_E10value_typeEPNST_ISO_E10value_typeEPSP_NS1_7vsmem_tEENKUlT_SN_SO_SP_E_clIS8_S8_S9_S9_EESM_S12_SN_SO_SP_EUlS12_E1_NS1_11comp_targetILNS1_3genE10ELNS1_11target_archE1201ELNS1_3gpuE5ELNS1_3repE0EEENS1_36merge_oddeven_config_static_selectorELNS0_4arch9wavefront6targetE0EEEvSO_, .Lfunc_end1142-_ZN7rocprim17ROCPRIM_400000_NS6detail17trampoline_kernelINS0_14default_configENS1_38merge_sort_block_merge_config_selectorIlNS0_10empty_typeEEEZZNS1_27merge_sort_block_merge_implIS3_PlPS5_mZN2at6native12_GLOBAL__N_124unique_dim_cuda_templateIN3c108BFloat16EEESt5tupleIJNSA_6TensorESH_SH_EERKSH_lbbbEUlllE_EE10hipError_tT0_T1_T2_jT3_P12ihipStream_tbPNSt15iterator_traitsISN_E10value_typeEPNST_ISO_E10value_typeEPSP_NS1_7vsmem_tEENKUlT_SN_SO_SP_E_clIS8_S8_S9_S9_EESM_S12_SN_SO_SP_EUlS12_E1_NS1_11comp_targetILNS1_3genE10ELNS1_11target_archE1201ELNS1_3gpuE5ELNS1_3repE0EEENS1_36merge_oddeven_config_static_selectorELNS0_4arch9wavefront6targetE0EEEvSO_
                                        ; -- End function
	.set _ZN7rocprim17ROCPRIM_400000_NS6detail17trampoline_kernelINS0_14default_configENS1_38merge_sort_block_merge_config_selectorIlNS0_10empty_typeEEEZZNS1_27merge_sort_block_merge_implIS3_PlPS5_mZN2at6native12_GLOBAL__N_124unique_dim_cuda_templateIN3c108BFloat16EEESt5tupleIJNSA_6TensorESH_SH_EERKSH_lbbbEUlllE_EE10hipError_tT0_T1_T2_jT3_P12ihipStream_tbPNSt15iterator_traitsISN_E10value_typeEPNST_ISO_E10value_typeEPSP_NS1_7vsmem_tEENKUlT_SN_SO_SP_E_clIS8_S8_S9_S9_EESM_S12_SN_SO_SP_EUlS12_E1_NS1_11comp_targetILNS1_3genE10ELNS1_11target_archE1201ELNS1_3gpuE5ELNS1_3repE0EEENS1_36merge_oddeven_config_static_selectorELNS0_4arch9wavefront6targetE0EEEvSO_.num_vgpr, 0
	.set _ZN7rocprim17ROCPRIM_400000_NS6detail17trampoline_kernelINS0_14default_configENS1_38merge_sort_block_merge_config_selectorIlNS0_10empty_typeEEEZZNS1_27merge_sort_block_merge_implIS3_PlPS5_mZN2at6native12_GLOBAL__N_124unique_dim_cuda_templateIN3c108BFloat16EEESt5tupleIJNSA_6TensorESH_SH_EERKSH_lbbbEUlllE_EE10hipError_tT0_T1_T2_jT3_P12ihipStream_tbPNSt15iterator_traitsISN_E10value_typeEPNST_ISO_E10value_typeEPSP_NS1_7vsmem_tEENKUlT_SN_SO_SP_E_clIS8_S8_S9_S9_EESM_S12_SN_SO_SP_EUlS12_E1_NS1_11comp_targetILNS1_3genE10ELNS1_11target_archE1201ELNS1_3gpuE5ELNS1_3repE0EEENS1_36merge_oddeven_config_static_selectorELNS0_4arch9wavefront6targetE0EEEvSO_.num_agpr, 0
	.set _ZN7rocprim17ROCPRIM_400000_NS6detail17trampoline_kernelINS0_14default_configENS1_38merge_sort_block_merge_config_selectorIlNS0_10empty_typeEEEZZNS1_27merge_sort_block_merge_implIS3_PlPS5_mZN2at6native12_GLOBAL__N_124unique_dim_cuda_templateIN3c108BFloat16EEESt5tupleIJNSA_6TensorESH_SH_EERKSH_lbbbEUlllE_EE10hipError_tT0_T1_T2_jT3_P12ihipStream_tbPNSt15iterator_traitsISN_E10value_typeEPNST_ISO_E10value_typeEPSP_NS1_7vsmem_tEENKUlT_SN_SO_SP_E_clIS8_S8_S9_S9_EESM_S12_SN_SO_SP_EUlS12_E1_NS1_11comp_targetILNS1_3genE10ELNS1_11target_archE1201ELNS1_3gpuE5ELNS1_3repE0EEENS1_36merge_oddeven_config_static_selectorELNS0_4arch9wavefront6targetE0EEEvSO_.numbered_sgpr, 0
	.set _ZN7rocprim17ROCPRIM_400000_NS6detail17trampoline_kernelINS0_14default_configENS1_38merge_sort_block_merge_config_selectorIlNS0_10empty_typeEEEZZNS1_27merge_sort_block_merge_implIS3_PlPS5_mZN2at6native12_GLOBAL__N_124unique_dim_cuda_templateIN3c108BFloat16EEESt5tupleIJNSA_6TensorESH_SH_EERKSH_lbbbEUlllE_EE10hipError_tT0_T1_T2_jT3_P12ihipStream_tbPNSt15iterator_traitsISN_E10value_typeEPNST_ISO_E10value_typeEPSP_NS1_7vsmem_tEENKUlT_SN_SO_SP_E_clIS8_S8_S9_S9_EESM_S12_SN_SO_SP_EUlS12_E1_NS1_11comp_targetILNS1_3genE10ELNS1_11target_archE1201ELNS1_3gpuE5ELNS1_3repE0EEENS1_36merge_oddeven_config_static_selectorELNS0_4arch9wavefront6targetE0EEEvSO_.num_named_barrier, 0
	.set _ZN7rocprim17ROCPRIM_400000_NS6detail17trampoline_kernelINS0_14default_configENS1_38merge_sort_block_merge_config_selectorIlNS0_10empty_typeEEEZZNS1_27merge_sort_block_merge_implIS3_PlPS5_mZN2at6native12_GLOBAL__N_124unique_dim_cuda_templateIN3c108BFloat16EEESt5tupleIJNSA_6TensorESH_SH_EERKSH_lbbbEUlllE_EE10hipError_tT0_T1_T2_jT3_P12ihipStream_tbPNSt15iterator_traitsISN_E10value_typeEPNST_ISO_E10value_typeEPSP_NS1_7vsmem_tEENKUlT_SN_SO_SP_E_clIS8_S8_S9_S9_EESM_S12_SN_SO_SP_EUlS12_E1_NS1_11comp_targetILNS1_3genE10ELNS1_11target_archE1201ELNS1_3gpuE5ELNS1_3repE0EEENS1_36merge_oddeven_config_static_selectorELNS0_4arch9wavefront6targetE0EEEvSO_.private_seg_size, 0
	.set _ZN7rocprim17ROCPRIM_400000_NS6detail17trampoline_kernelINS0_14default_configENS1_38merge_sort_block_merge_config_selectorIlNS0_10empty_typeEEEZZNS1_27merge_sort_block_merge_implIS3_PlPS5_mZN2at6native12_GLOBAL__N_124unique_dim_cuda_templateIN3c108BFloat16EEESt5tupleIJNSA_6TensorESH_SH_EERKSH_lbbbEUlllE_EE10hipError_tT0_T1_T2_jT3_P12ihipStream_tbPNSt15iterator_traitsISN_E10value_typeEPNST_ISO_E10value_typeEPSP_NS1_7vsmem_tEENKUlT_SN_SO_SP_E_clIS8_S8_S9_S9_EESM_S12_SN_SO_SP_EUlS12_E1_NS1_11comp_targetILNS1_3genE10ELNS1_11target_archE1201ELNS1_3gpuE5ELNS1_3repE0EEENS1_36merge_oddeven_config_static_selectorELNS0_4arch9wavefront6targetE0EEEvSO_.uses_vcc, 0
	.set _ZN7rocprim17ROCPRIM_400000_NS6detail17trampoline_kernelINS0_14default_configENS1_38merge_sort_block_merge_config_selectorIlNS0_10empty_typeEEEZZNS1_27merge_sort_block_merge_implIS3_PlPS5_mZN2at6native12_GLOBAL__N_124unique_dim_cuda_templateIN3c108BFloat16EEESt5tupleIJNSA_6TensorESH_SH_EERKSH_lbbbEUlllE_EE10hipError_tT0_T1_T2_jT3_P12ihipStream_tbPNSt15iterator_traitsISN_E10value_typeEPNST_ISO_E10value_typeEPSP_NS1_7vsmem_tEENKUlT_SN_SO_SP_E_clIS8_S8_S9_S9_EESM_S12_SN_SO_SP_EUlS12_E1_NS1_11comp_targetILNS1_3genE10ELNS1_11target_archE1201ELNS1_3gpuE5ELNS1_3repE0EEENS1_36merge_oddeven_config_static_selectorELNS0_4arch9wavefront6targetE0EEEvSO_.uses_flat_scratch, 0
	.set _ZN7rocprim17ROCPRIM_400000_NS6detail17trampoline_kernelINS0_14default_configENS1_38merge_sort_block_merge_config_selectorIlNS0_10empty_typeEEEZZNS1_27merge_sort_block_merge_implIS3_PlPS5_mZN2at6native12_GLOBAL__N_124unique_dim_cuda_templateIN3c108BFloat16EEESt5tupleIJNSA_6TensorESH_SH_EERKSH_lbbbEUlllE_EE10hipError_tT0_T1_T2_jT3_P12ihipStream_tbPNSt15iterator_traitsISN_E10value_typeEPNST_ISO_E10value_typeEPSP_NS1_7vsmem_tEENKUlT_SN_SO_SP_E_clIS8_S8_S9_S9_EESM_S12_SN_SO_SP_EUlS12_E1_NS1_11comp_targetILNS1_3genE10ELNS1_11target_archE1201ELNS1_3gpuE5ELNS1_3repE0EEENS1_36merge_oddeven_config_static_selectorELNS0_4arch9wavefront6targetE0EEEvSO_.has_dyn_sized_stack, 0
	.set _ZN7rocprim17ROCPRIM_400000_NS6detail17trampoline_kernelINS0_14default_configENS1_38merge_sort_block_merge_config_selectorIlNS0_10empty_typeEEEZZNS1_27merge_sort_block_merge_implIS3_PlPS5_mZN2at6native12_GLOBAL__N_124unique_dim_cuda_templateIN3c108BFloat16EEESt5tupleIJNSA_6TensorESH_SH_EERKSH_lbbbEUlllE_EE10hipError_tT0_T1_T2_jT3_P12ihipStream_tbPNSt15iterator_traitsISN_E10value_typeEPNST_ISO_E10value_typeEPSP_NS1_7vsmem_tEENKUlT_SN_SO_SP_E_clIS8_S8_S9_S9_EESM_S12_SN_SO_SP_EUlS12_E1_NS1_11comp_targetILNS1_3genE10ELNS1_11target_archE1201ELNS1_3gpuE5ELNS1_3repE0EEENS1_36merge_oddeven_config_static_selectorELNS0_4arch9wavefront6targetE0EEEvSO_.has_recursion, 0
	.set _ZN7rocprim17ROCPRIM_400000_NS6detail17trampoline_kernelINS0_14default_configENS1_38merge_sort_block_merge_config_selectorIlNS0_10empty_typeEEEZZNS1_27merge_sort_block_merge_implIS3_PlPS5_mZN2at6native12_GLOBAL__N_124unique_dim_cuda_templateIN3c108BFloat16EEESt5tupleIJNSA_6TensorESH_SH_EERKSH_lbbbEUlllE_EE10hipError_tT0_T1_T2_jT3_P12ihipStream_tbPNSt15iterator_traitsISN_E10value_typeEPNST_ISO_E10value_typeEPSP_NS1_7vsmem_tEENKUlT_SN_SO_SP_E_clIS8_S8_S9_S9_EESM_S12_SN_SO_SP_EUlS12_E1_NS1_11comp_targetILNS1_3genE10ELNS1_11target_archE1201ELNS1_3gpuE5ELNS1_3repE0EEENS1_36merge_oddeven_config_static_selectorELNS0_4arch9wavefront6targetE0EEEvSO_.has_indirect_call, 0
	.section	.AMDGPU.csdata,"",@progbits
; Kernel info:
; codeLenInByte = 0
; TotalNumSgprs: 0
; NumVgprs: 0
; ScratchSize: 0
; MemoryBound: 0
; FloatMode: 240
; IeeeMode: 1
; LDSByteSize: 0 bytes/workgroup (compile time only)
; SGPRBlocks: 0
; VGPRBlocks: 0
; NumSGPRsForWavesPerEU: 1
; NumVGPRsForWavesPerEU: 1
; NamedBarCnt: 0
; Occupancy: 16
; WaveLimiterHint : 0
; COMPUTE_PGM_RSRC2:SCRATCH_EN: 0
; COMPUTE_PGM_RSRC2:USER_SGPR: 2
; COMPUTE_PGM_RSRC2:TRAP_HANDLER: 0
; COMPUTE_PGM_RSRC2:TGID_X_EN: 1
; COMPUTE_PGM_RSRC2:TGID_Y_EN: 0
; COMPUTE_PGM_RSRC2:TGID_Z_EN: 0
; COMPUTE_PGM_RSRC2:TIDIG_COMP_CNT: 0
	.section	.text._ZN7rocprim17ROCPRIM_400000_NS6detail17trampoline_kernelINS0_14default_configENS1_38merge_sort_block_merge_config_selectorIlNS0_10empty_typeEEEZZNS1_27merge_sort_block_merge_implIS3_PlPS5_mZN2at6native12_GLOBAL__N_124unique_dim_cuda_templateIN3c108BFloat16EEESt5tupleIJNSA_6TensorESH_SH_EERKSH_lbbbEUlllE_EE10hipError_tT0_T1_T2_jT3_P12ihipStream_tbPNSt15iterator_traitsISN_E10value_typeEPNST_ISO_E10value_typeEPSP_NS1_7vsmem_tEENKUlT_SN_SO_SP_E_clIS8_S8_S9_S9_EESM_S12_SN_SO_SP_EUlS12_E1_NS1_11comp_targetILNS1_3genE5ELNS1_11target_archE942ELNS1_3gpuE9ELNS1_3repE0EEENS1_36merge_oddeven_config_static_selectorELNS0_4arch9wavefront6targetE0EEEvSO_,"axG",@progbits,_ZN7rocprim17ROCPRIM_400000_NS6detail17trampoline_kernelINS0_14default_configENS1_38merge_sort_block_merge_config_selectorIlNS0_10empty_typeEEEZZNS1_27merge_sort_block_merge_implIS3_PlPS5_mZN2at6native12_GLOBAL__N_124unique_dim_cuda_templateIN3c108BFloat16EEESt5tupleIJNSA_6TensorESH_SH_EERKSH_lbbbEUlllE_EE10hipError_tT0_T1_T2_jT3_P12ihipStream_tbPNSt15iterator_traitsISN_E10value_typeEPNST_ISO_E10value_typeEPSP_NS1_7vsmem_tEENKUlT_SN_SO_SP_E_clIS8_S8_S9_S9_EESM_S12_SN_SO_SP_EUlS12_E1_NS1_11comp_targetILNS1_3genE5ELNS1_11target_archE942ELNS1_3gpuE9ELNS1_3repE0EEENS1_36merge_oddeven_config_static_selectorELNS0_4arch9wavefront6targetE0EEEvSO_,comdat
	.globl	_ZN7rocprim17ROCPRIM_400000_NS6detail17trampoline_kernelINS0_14default_configENS1_38merge_sort_block_merge_config_selectorIlNS0_10empty_typeEEEZZNS1_27merge_sort_block_merge_implIS3_PlPS5_mZN2at6native12_GLOBAL__N_124unique_dim_cuda_templateIN3c108BFloat16EEESt5tupleIJNSA_6TensorESH_SH_EERKSH_lbbbEUlllE_EE10hipError_tT0_T1_T2_jT3_P12ihipStream_tbPNSt15iterator_traitsISN_E10value_typeEPNST_ISO_E10value_typeEPSP_NS1_7vsmem_tEENKUlT_SN_SO_SP_E_clIS8_S8_S9_S9_EESM_S12_SN_SO_SP_EUlS12_E1_NS1_11comp_targetILNS1_3genE5ELNS1_11target_archE942ELNS1_3gpuE9ELNS1_3repE0EEENS1_36merge_oddeven_config_static_selectorELNS0_4arch9wavefront6targetE0EEEvSO_ ; -- Begin function _ZN7rocprim17ROCPRIM_400000_NS6detail17trampoline_kernelINS0_14default_configENS1_38merge_sort_block_merge_config_selectorIlNS0_10empty_typeEEEZZNS1_27merge_sort_block_merge_implIS3_PlPS5_mZN2at6native12_GLOBAL__N_124unique_dim_cuda_templateIN3c108BFloat16EEESt5tupleIJNSA_6TensorESH_SH_EERKSH_lbbbEUlllE_EE10hipError_tT0_T1_T2_jT3_P12ihipStream_tbPNSt15iterator_traitsISN_E10value_typeEPNST_ISO_E10value_typeEPSP_NS1_7vsmem_tEENKUlT_SN_SO_SP_E_clIS8_S8_S9_S9_EESM_S12_SN_SO_SP_EUlS12_E1_NS1_11comp_targetILNS1_3genE5ELNS1_11target_archE942ELNS1_3gpuE9ELNS1_3repE0EEENS1_36merge_oddeven_config_static_selectorELNS0_4arch9wavefront6targetE0EEEvSO_
	.p2align	8
	.type	_ZN7rocprim17ROCPRIM_400000_NS6detail17trampoline_kernelINS0_14default_configENS1_38merge_sort_block_merge_config_selectorIlNS0_10empty_typeEEEZZNS1_27merge_sort_block_merge_implIS3_PlPS5_mZN2at6native12_GLOBAL__N_124unique_dim_cuda_templateIN3c108BFloat16EEESt5tupleIJNSA_6TensorESH_SH_EERKSH_lbbbEUlllE_EE10hipError_tT0_T1_T2_jT3_P12ihipStream_tbPNSt15iterator_traitsISN_E10value_typeEPNST_ISO_E10value_typeEPSP_NS1_7vsmem_tEENKUlT_SN_SO_SP_E_clIS8_S8_S9_S9_EESM_S12_SN_SO_SP_EUlS12_E1_NS1_11comp_targetILNS1_3genE5ELNS1_11target_archE942ELNS1_3gpuE9ELNS1_3repE0EEENS1_36merge_oddeven_config_static_selectorELNS0_4arch9wavefront6targetE0EEEvSO_,@function
_ZN7rocprim17ROCPRIM_400000_NS6detail17trampoline_kernelINS0_14default_configENS1_38merge_sort_block_merge_config_selectorIlNS0_10empty_typeEEEZZNS1_27merge_sort_block_merge_implIS3_PlPS5_mZN2at6native12_GLOBAL__N_124unique_dim_cuda_templateIN3c108BFloat16EEESt5tupleIJNSA_6TensorESH_SH_EERKSH_lbbbEUlllE_EE10hipError_tT0_T1_T2_jT3_P12ihipStream_tbPNSt15iterator_traitsISN_E10value_typeEPNST_ISO_E10value_typeEPSP_NS1_7vsmem_tEENKUlT_SN_SO_SP_E_clIS8_S8_S9_S9_EESM_S12_SN_SO_SP_EUlS12_E1_NS1_11comp_targetILNS1_3genE5ELNS1_11target_archE942ELNS1_3gpuE9ELNS1_3repE0EEENS1_36merge_oddeven_config_static_selectorELNS0_4arch9wavefront6targetE0EEEvSO_: ; @_ZN7rocprim17ROCPRIM_400000_NS6detail17trampoline_kernelINS0_14default_configENS1_38merge_sort_block_merge_config_selectorIlNS0_10empty_typeEEEZZNS1_27merge_sort_block_merge_implIS3_PlPS5_mZN2at6native12_GLOBAL__N_124unique_dim_cuda_templateIN3c108BFloat16EEESt5tupleIJNSA_6TensorESH_SH_EERKSH_lbbbEUlllE_EE10hipError_tT0_T1_T2_jT3_P12ihipStream_tbPNSt15iterator_traitsISN_E10value_typeEPNST_ISO_E10value_typeEPSP_NS1_7vsmem_tEENKUlT_SN_SO_SP_E_clIS8_S8_S9_S9_EESM_S12_SN_SO_SP_EUlS12_E1_NS1_11comp_targetILNS1_3genE5ELNS1_11target_archE942ELNS1_3gpuE9ELNS1_3repE0EEENS1_36merge_oddeven_config_static_selectorELNS0_4arch9wavefront6targetE0EEEvSO_
; %bb.0:
	.section	.rodata,"a",@progbits
	.p2align	6, 0x0
	.amdhsa_kernel _ZN7rocprim17ROCPRIM_400000_NS6detail17trampoline_kernelINS0_14default_configENS1_38merge_sort_block_merge_config_selectorIlNS0_10empty_typeEEEZZNS1_27merge_sort_block_merge_implIS3_PlPS5_mZN2at6native12_GLOBAL__N_124unique_dim_cuda_templateIN3c108BFloat16EEESt5tupleIJNSA_6TensorESH_SH_EERKSH_lbbbEUlllE_EE10hipError_tT0_T1_T2_jT3_P12ihipStream_tbPNSt15iterator_traitsISN_E10value_typeEPNST_ISO_E10value_typeEPSP_NS1_7vsmem_tEENKUlT_SN_SO_SP_E_clIS8_S8_S9_S9_EESM_S12_SN_SO_SP_EUlS12_E1_NS1_11comp_targetILNS1_3genE5ELNS1_11target_archE942ELNS1_3gpuE9ELNS1_3repE0EEENS1_36merge_oddeven_config_static_selectorELNS0_4arch9wavefront6targetE0EEEvSO_
		.amdhsa_group_segment_fixed_size 0
		.amdhsa_private_segment_fixed_size 0
		.amdhsa_kernarg_size 64
		.amdhsa_user_sgpr_count 2
		.amdhsa_user_sgpr_dispatch_ptr 0
		.amdhsa_user_sgpr_queue_ptr 0
		.amdhsa_user_sgpr_kernarg_segment_ptr 1
		.amdhsa_user_sgpr_dispatch_id 0
		.amdhsa_user_sgpr_kernarg_preload_length 0
		.amdhsa_user_sgpr_kernarg_preload_offset 0
		.amdhsa_user_sgpr_private_segment_size 0
		.amdhsa_wavefront_size32 1
		.amdhsa_uses_dynamic_stack 0
		.amdhsa_enable_private_segment 0
		.amdhsa_system_sgpr_workgroup_id_x 1
		.amdhsa_system_sgpr_workgroup_id_y 0
		.amdhsa_system_sgpr_workgroup_id_z 0
		.amdhsa_system_sgpr_workgroup_info 0
		.amdhsa_system_vgpr_workitem_id 0
		.amdhsa_next_free_vgpr 1
		.amdhsa_next_free_sgpr 1
		.amdhsa_named_barrier_count 0
		.amdhsa_reserve_vcc 0
		.amdhsa_float_round_mode_32 0
		.amdhsa_float_round_mode_16_64 0
		.amdhsa_float_denorm_mode_32 3
		.amdhsa_float_denorm_mode_16_64 3
		.amdhsa_fp16_overflow 0
		.amdhsa_memory_ordered 1
		.amdhsa_forward_progress 1
		.amdhsa_inst_pref_size 0
		.amdhsa_round_robin_scheduling 0
		.amdhsa_exception_fp_ieee_invalid_op 0
		.amdhsa_exception_fp_denorm_src 0
		.amdhsa_exception_fp_ieee_div_zero 0
		.amdhsa_exception_fp_ieee_overflow 0
		.amdhsa_exception_fp_ieee_underflow 0
		.amdhsa_exception_fp_ieee_inexact 0
		.amdhsa_exception_int_div_zero 0
	.end_amdhsa_kernel
	.section	.text._ZN7rocprim17ROCPRIM_400000_NS6detail17trampoline_kernelINS0_14default_configENS1_38merge_sort_block_merge_config_selectorIlNS0_10empty_typeEEEZZNS1_27merge_sort_block_merge_implIS3_PlPS5_mZN2at6native12_GLOBAL__N_124unique_dim_cuda_templateIN3c108BFloat16EEESt5tupleIJNSA_6TensorESH_SH_EERKSH_lbbbEUlllE_EE10hipError_tT0_T1_T2_jT3_P12ihipStream_tbPNSt15iterator_traitsISN_E10value_typeEPNST_ISO_E10value_typeEPSP_NS1_7vsmem_tEENKUlT_SN_SO_SP_E_clIS8_S8_S9_S9_EESM_S12_SN_SO_SP_EUlS12_E1_NS1_11comp_targetILNS1_3genE5ELNS1_11target_archE942ELNS1_3gpuE9ELNS1_3repE0EEENS1_36merge_oddeven_config_static_selectorELNS0_4arch9wavefront6targetE0EEEvSO_,"axG",@progbits,_ZN7rocprim17ROCPRIM_400000_NS6detail17trampoline_kernelINS0_14default_configENS1_38merge_sort_block_merge_config_selectorIlNS0_10empty_typeEEEZZNS1_27merge_sort_block_merge_implIS3_PlPS5_mZN2at6native12_GLOBAL__N_124unique_dim_cuda_templateIN3c108BFloat16EEESt5tupleIJNSA_6TensorESH_SH_EERKSH_lbbbEUlllE_EE10hipError_tT0_T1_T2_jT3_P12ihipStream_tbPNSt15iterator_traitsISN_E10value_typeEPNST_ISO_E10value_typeEPSP_NS1_7vsmem_tEENKUlT_SN_SO_SP_E_clIS8_S8_S9_S9_EESM_S12_SN_SO_SP_EUlS12_E1_NS1_11comp_targetILNS1_3genE5ELNS1_11target_archE942ELNS1_3gpuE9ELNS1_3repE0EEENS1_36merge_oddeven_config_static_selectorELNS0_4arch9wavefront6targetE0EEEvSO_,comdat
.Lfunc_end1143:
	.size	_ZN7rocprim17ROCPRIM_400000_NS6detail17trampoline_kernelINS0_14default_configENS1_38merge_sort_block_merge_config_selectorIlNS0_10empty_typeEEEZZNS1_27merge_sort_block_merge_implIS3_PlPS5_mZN2at6native12_GLOBAL__N_124unique_dim_cuda_templateIN3c108BFloat16EEESt5tupleIJNSA_6TensorESH_SH_EERKSH_lbbbEUlllE_EE10hipError_tT0_T1_T2_jT3_P12ihipStream_tbPNSt15iterator_traitsISN_E10value_typeEPNST_ISO_E10value_typeEPSP_NS1_7vsmem_tEENKUlT_SN_SO_SP_E_clIS8_S8_S9_S9_EESM_S12_SN_SO_SP_EUlS12_E1_NS1_11comp_targetILNS1_3genE5ELNS1_11target_archE942ELNS1_3gpuE9ELNS1_3repE0EEENS1_36merge_oddeven_config_static_selectorELNS0_4arch9wavefront6targetE0EEEvSO_, .Lfunc_end1143-_ZN7rocprim17ROCPRIM_400000_NS6detail17trampoline_kernelINS0_14default_configENS1_38merge_sort_block_merge_config_selectorIlNS0_10empty_typeEEEZZNS1_27merge_sort_block_merge_implIS3_PlPS5_mZN2at6native12_GLOBAL__N_124unique_dim_cuda_templateIN3c108BFloat16EEESt5tupleIJNSA_6TensorESH_SH_EERKSH_lbbbEUlllE_EE10hipError_tT0_T1_T2_jT3_P12ihipStream_tbPNSt15iterator_traitsISN_E10value_typeEPNST_ISO_E10value_typeEPSP_NS1_7vsmem_tEENKUlT_SN_SO_SP_E_clIS8_S8_S9_S9_EESM_S12_SN_SO_SP_EUlS12_E1_NS1_11comp_targetILNS1_3genE5ELNS1_11target_archE942ELNS1_3gpuE9ELNS1_3repE0EEENS1_36merge_oddeven_config_static_selectorELNS0_4arch9wavefront6targetE0EEEvSO_
                                        ; -- End function
	.set _ZN7rocprim17ROCPRIM_400000_NS6detail17trampoline_kernelINS0_14default_configENS1_38merge_sort_block_merge_config_selectorIlNS0_10empty_typeEEEZZNS1_27merge_sort_block_merge_implIS3_PlPS5_mZN2at6native12_GLOBAL__N_124unique_dim_cuda_templateIN3c108BFloat16EEESt5tupleIJNSA_6TensorESH_SH_EERKSH_lbbbEUlllE_EE10hipError_tT0_T1_T2_jT3_P12ihipStream_tbPNSt15iterator_traitsISN_E10value_typeEPNST_ISO_E10value_typeEPSP_NS1_7vsmem_tEENKUlT_SN_SO_SP_E_clIS8_S8_S9_S9_EESM_S12_SN_SO_SP_EUlS12_E1_NS1_11comp_targetILNS1_3genE5ELNS1_11target_archE942ELNS1_3gpuE9ELNS1_3repE0EEENS1_36merge_oddeven_config_static_selectorELNS0_4arch9wavefront6targetE0EEEvSO_.num_vgpr, 0
	.set _ZN7rocprim17ROCPRIM_400000_NS6detail17trampoline_kernelINS0_14default_configENS1_38merge_sort_block_merge_config_selectorIlNS0_10empty_typeEEEZZNS1_27merge_sort_block_merge_implIS3_PlPS5_mZN2at6native12_GLOBAL__N_124unique_dim_cuda_templateIN3c108BFloat16EEESt5tupleIJNSA_6TensorESH_SH_EERKSH_lbbbEUlllE_EE10hipError_tT0_T1_T2_jT3_P12ihipStream_tbPNSt15iterator_traitsISN_E10value_typeEPNST_ISO_E10value_typeEPSP_NS1_7vsmem_tEENKUlT_SN_SO_SP_E_clIS8_S8_S9_S9_EESM_S12_SN_SO_SP_EUlS12_E1_NS1_11comp_targetILNS1_3genE5ELNS1_11target_archE942ELNS1_3gpuE9ELNS1_3repE0EEENS1_36merge_oddeven_config_static_selectorELNS0_4arch9wavefront6targetE0EEEvSO_.num_agpr, 0
	.set _ZN7rocprim17ROCPRIM_400000_NS6detail17trampoline_kernelINS0_14default_configENS1_38merge_sort_block_merge_config_selectorIlNS0_10empty_typeEEEZZNS1_27merge_sort_block_merge_implIS3_PlPS5_mZN2at6native12_GLOBAL__N_124unique_dim_cuda_templateIN3c108BFloat16EEESt5tupleIJNSA_6TensorESH_SH_EERKSH_lbbbEUlllE_EE10hipError_tT0_T1_T2_jT3_P12ihipStream_tbPNSt15iterator_traitsISN_E10value_typeEPNST_ISO_E10value_typeEPSP_NS1_7vsmem_tEENKUlT_SN_SO_SP_E_clIS8_S8_S9_S9_EESM_S12_SN_SO_SP_EUlS12_E1_NS1_11comp_targetILNS1_3genE5ELNS1_11target_archE942ELNS1_3gpuE9ELNS1_3repE0EEENS1_36merge_oddeven_config_static_selectorELNS0_4arch9wavefront6targetE0EEEvSO_.numbered_sgpr, 0
	.set _ZN7rocprim17ROCPRIM_400000_NS6detail17trampoline_kernelINS0_14default_configENS1_38merge_sort_block_merge_config_selectorIlNS0_10empty_typeEEEZZNS1_27merge_sort_block_merge_implIS3_PlPS5_mZN2at6native12_GLOBAL__N_124unique_dim_cuda_templateIN3c108BFloat16EEESt5tupleIJNSA_6TensorESH_SH_EERKSH_lbbbEUlllE_EE10hipError_tT0_T1_T2_jT3_P12ihipStream_tbPNSt15iterator_traitsISN_E10value_typeEPNST_ISO_E10value_typeEPSP_NS1_7vsmem_tEENKUlT_SN_SO_SP_E_clIS8_S8_S9_S9_EESM_S12_SN_SO_SP_EUlS12_E1_NS1_11comp_targetILNS1_3genE5ELNS1_11target_archE942ELNS1_3gpuE9ELNS1_3repE0EEENS1_36merge_oddeven_config_static_selectorELNS0_4arch9wavefront6targetE0EEEvSO_.num_named_barrier, 0
	.set _ZN7rocprim17ROCPRIM_400000_NS6detail17trampoline_kernelINS0_14default_configENS1_38merge_sort_block_merge_config_selectorIlNS0_10empty_typeEEEZZNS1_27merge_sort_block_merge_implIS3_PlPS5_mZN2at6native12_GLOBAL__N_124unique_dim_cuda_templateIN3c108BFloat16EEESt5tupleIJNSA_6TensorESH_SH_EERKSH_lbbbEUlllE_EE10hipError_tT0_T1_T2_jT3_P12ihipStream_tbPNSt15iterator_traitsISN_E10value_typeEPNST_ISO_E10value_typeEPSP_NS1_7vsmem_tEENKUlT_SN_SO_SP_E_clIS8_S8_S9_S9_EESM_S12_SN_SO_SP_EUlS12_E1_NS1_11comp_targetILNS1_3genE5ELNS1_11target_archE942ELNS1_3gpuE9ELNS1_3repE0EEENS1_36merge_oddeven_config_static_selectorELNS0_4arch9wavefront6targetE0EEEvSO_.private_seg_size, 0
	.set _ZN7rocprim17ROCPRIM_400000_NS6detail17trampoline_kernelINS0_14default_configENS1_38merge_sort_block_merge_config_selectorIlNS0_10empty_typeEEEZZNS1_27merge_sort_block_merge_implIS3_PlPS5_mZN2at6native12_GLOBAL__N_124unique_dim_cuda_templateIN3c108BFloat16EEESt5tupleIJNSA_6TensorESH_SH_EERKSH_lbbbEUlllE_EE10hipError_tT0_T1_T2_jT3_P12ihipStream_tbPNSt15iterator_traitsISN_E10value_typeEPNST_ISO_E10value_typeEPSP_NS1_7vsmem_tEENKUlT_SN_SO_SP_E_clIS8_S8_S9_S9_EESM_S12_SN_SO_SP_EUlS12_E1_NS1_11comp_targetILNS1_3genE5ELNS1_11target_archE942ELNS1_3gpuE9ELNS1_3repE0EEENS1_36merge_oddeven_config_static_selectorELNS0_4arch9wavefront6targetE0EEEvSO_.uses_vcc, 0
	.set _ZN7rocprim17ROCPRIM_400000_NS6detail17trampoline_kernelINS0_14default_configENS1_38merge_sort_block_merge_config_selectorIlNS0_10empty_typeEEEZZNS1_27merge_sort_block_merge_implIS3_PlPS5_mZN2at6native12_GLOBAL__N_124unique_dim_cuda_templateIN3c108BFloat16EEESt5tupleIJNSA_6TensorESH_SH_EERKSH_lbbbEUlllE_EE10hipError_tT0_T1_T2_jT3_P12ihipStream_tbPNSt15iterator_traitsISN_E10value_typeEPNST_ISO_E10value_typeEPSP_NS1_7vsmem_tEENKUlT_SN_SO_SP_E_clIS8_S8_S9_S9_EESM_S12_SN_SO_SP_EUlS12_E1_NS1_11comp_targetILNS1_3genE5ELNS1_11target_archE942ELNS1_3gpuE9ELNS1_3repE0EEENS1_36merge_oddeven_config_static_selectorELNS0_4arch9wavefront6targetE0EEEvSO_.uses_flat_scratch, 0
	.set _ZN7rocprim17ROCPRIM_400000_NS6detail17trampoline_kernelINS0_14default_configENS1_38merge_sort_block_merge_config_selectorIlNS0_10empty_typeEEEZZNS1_27merge_sort_block_merge_implIS3_PlPS5_mZN2at6native12_GLOBAL__N_124unique_dim_cuda_templateIN3c108BFloat16EEESt5tupleIJNSA_6TensorESH_SH_EERKSH_lbbbEUlllE_EE10hipError_tT0_T1_T2_jT3_P12ihipStream_tbPNSt15iterator_traitsISN_E10value_typeEPNST_ISO_E10value_typeEPSP_NS1_7vsmem_tEENKUlT_SN_SO_SP_E_clIS8_S8_S9_S9_EESM_S12_SN_SO_SP_EUlS12_E1_NS1_11comp_targetILNS1_3genE5ELNS1_11target_archE942ELNS1_3gpuE9ELNS1_3repE0EEENS1_36merge_oddeven_config_static_selectorELNS0_4arch9wavefront6targetE0EEEvSO_.has_dyn_sized_stack, 0
	.set _ZN7rocprim17ROCPRIM_400000_NS6detail17trampoline_kernelINS0_14default_configENS1_38merge_sort_block_merge_config_selectorIlNS0_10empty_typeEEEZZNS1_27merge_sort_block_merge_implIS3_PlPS5_mZN2at6native12_GLOBAL__N_124unique_dim_cuda_templateIN3c108BFloat16EEESt5tupleIJNSA_6TensorESH_SH_EERKSH_lbbbEUlllE_EE10hipError_tT0_T1_T2_jT3_P12ihipStream_tbPNSt15iterator_traitsISN_E10value_typeEPNST_ISO_E10value_typeEPSP_NS1_7vsmem_tEENKUlT_SN_SO_SP_E_clIS8_S8_S9_S9_EESM_S12_SN_SO_SP_EUlS12_E1_NS1_11comp_targetILNS1_3genE5ELNS1_11target_archE942ELNS1_3gpuE9ELNS1_3repE0EEENS1_36merge_oddeven_config_static_selectorELNS0_4arch9wavefront6targetE0EEEvSO_.has_recursion, 0
	.set _ZN7rocprim17ROCPRIM_400000_NS6detail17trampoline_kernelINS0_14default_configENS1_38merge_sort_block_merge_config_selectorIlNS0_10empty_typeEEEZZNS1_27merge_sort_block_merge_implIS3_PlPS5_mZN2at6native12_GLOBAL__N_124unique_dim_cuda_templateIN3c108BFloat16EEESt5tupleIJNSA_6TensorESH_SH_EERKSH_lbbbEUlllE_EE10hipError_tT0_T1_T2_jT3_P12ihipStream_tbPNSt15iterator_traitsISN_E10value_typeEPNST_ISO_E10value_typeEPSP_NS1_7vsmem_tEENKUlT_SN_SO_SP_E_clIS8_S8_S9_S9_EESM_S12_SN_SO_SP_EUlS12_E1_NS1_11comp_targetILNS1_3genE5ELNS1_11target_archE942ELNS1_3gpuE9ELNS1_3repE0EEENS1_36merge_oddeven_config_static_selectorELNS0_4arch9wavefront6targetE0EEEvSO_.has_indirect_call, 0
	.section	.AMDGPU.csdata,"",@progbits
; Kernel info:
; codeLenInByte = 0
; TotalNumSgprs: 0
; NumVgprs: 0
; ScratchSize: 0
; MemoryBound: 0
; FloatMode: 240
; IeeeMode: 1
; LDSByteSize: 0 bytes/workgroup (compile time only)
; SGPRBlocks: 0
; VGPRBlocks: 0
; NumSGPRsForWavesPerEU: 1
; NumVGPRsForWavesPerEU: 1
; NamedBarCnt: 0
; Occupancy: 16
; WaveLimiterHint : 0
; COMPUTE_PGM_RSRC2:SCRATCH_EN: 0
; COMPUTE_PGM_RSRC2:USER_SGPR: 2
; COMPUTE_PGM_RSRC2:TRAP_HANDLER: 0
; COMPUTE_PGM_RSRC2:TGID_X_EN: 1
; COMPUTE_PGM_RSRC2:TGID_Y_EN: 0
; COMPUTE_PGM_RSRC2:TGID_Z_EN: 0
; COMPUTE_PGM_RSRC2:TIDIG_COMP_CNT: 0
	.section	.text._ZN7rocprim17ROCPRIM_400000_NS6detail17trampoline_kernelINS0_14default_configENS1_38merge_sort_block_merge_config_selectorIlNS0_10empty_typeEEEZZNS1_27merge_sort_block_merge_implIS3_PlPS5_mZN2at6native12_GLOBAL__N_124unique_dim_cuda_templateIN3c108BFloat16EEESt5tupleIJNSA_6TensorESH_SH_EERKSH_lbbbEUlllE_EE10hipError_tT0_T1_T2_jT3_P12ihipStream_tbPNSt15iterator_traitsISN_E10value_typeEPNST_ISO_E10value_typeEPSP_NS1_7vsmem_tEENKUlT_SN_SO_SP_E_clIS8_S8_S9_S9_EESM_S12_SN_SO_SP_EUlS12_E1_NS1_11comp_targetILNS1_3genE4ELNS1_11target_archE910ELNS1_3gpuE8ELNS1_3repE0EEENS1_36merge_oddeven_config_static_selectorELNS0_4arch9wavefront6targetE0EEEvSO_,"axG",@progbits,_ZN7rocprim17ROCPRIM_400000_NS6detail17trampoline_kernelINS0_14default_configENS1_38merge_sort_block_merge_config_selectorIlNS0_10empty_typeEEEZZNS1_27merge_sort_block_merge_implIS3_PlPS5_mZN2at6native12_GLOBAL__N_124unique_dim_cuda_templateIN3c108BFloat16EEESt5tupleIJNSA_6TensorESH_SH_EERKSH_lbbbEUlllE_EE10hipError_tT0_T1_T2_jT3_P12ihipStream_tbPNSt15iterator_traitsISN_E10value_typeEPNST_ISO_E10value_typeEPSP_NS1_7vsmem_tEENKUlT_SN_SO_SP_E_clIS8_S8_S9_S9_EESM_S12_SN_SO_SP_EUlS12_E1_NS1_11comp_targetILNS1_3genE4ELNS1_11target_archE910ELNS1_3gpuE8ELNS1_3repE0EEENS1_36merge_oddeven_config_static_selectorELNS0_4arch9wavefront6targetE0EEEvSO_,comdat
	.globl	_ZN7rocprim17ROCPRIM_400000_NS6detail17trampoline_kernelINS0_14default_configENS1_38merge_sort_block_merge_config_selectorIlNS0_10empty_typeEEEZZNS1_27merge_sort_block_merge_implIS3_PlPS5_mZN2at6native12_GLOBAL__N_124unique_dim_cuda_templateIN3c108BFloat16EEESt5tupleIJNSA_6TensorESH_SH_EERKSH_lbbbEUlllE_EE10hipError_tT0_T1_T2_jT3_P12ihipStream_tbPNSt15iterator_traitsISN_E10value_typeEPNST_ISO_E10value_typeEPSP_NS1_7vsmem_tEENKUlT_SN_SO_SP_E_clIS8_S8_S9_S9_EESM_S12_SN_SO_SP_EUlS12_E1_NS1_11comp_targetILNS1_3genE4ELNS1_11target_archE910ELNS1_3gpuE8ELNS1_3repE0EEENS1_36merge_oddeven_config_static_selectorELNS0_4arch9wavefront6targetE0EEEvSO_ ; -- Begin function _ZN7rocprim17ROCPRIM_400000_NS6detail17trampoline_kernelINS0_14default_configENS1_38merge_sort_block_merge_config_selectorIlNS0_10empty_typeEEEZZNS1_27merge_sort_block_merge_implIS3_PlPS5_mZN2at6native12_GLOBAL__N_124unique_dim_cuda_templateIN3c108BFloat16EEESt5tupleIJNSA_6TensorESH_SH_EERKSH_lbbbEUlllE_EE10hipError_tT0_T1_T2_jT3_P12ihipStream_tbPNSt15iterator_traitsISN_E10value_typeEPNST_ISO_E10value_typeEPSP_NS1_7vsmem_tEENKUlT_SN_SO_SP_E_clIS8_S8_S9_S9_EESM_S12_SN_SO_SP_EUlS12_E1_NS1_11comp_targetILNS1_3genE4ELNS1_11target_archE910ELNS1_3gpuE8ELNS1_3repE0EEENS1_36merge_oddeven_config_static_selectorELNS0_4arch9wavefront6targetE0EEEvSO_
	.p2align	8
	.type	_ZN7rocprim17ROCPRIM_400000_NS6detail17trampoline_kernelINS0_14default_configENS1_38merge_sort_block_merge_config_selectorIlNS0_10empty_typeEEEZZNS1_27merge_sort_block_merge_implIS3_PlPS5_mZN2at6native12_GLOBAL__N_124unique_dim_cuda_templateIN3c108BFloat16EEESt5tupleIJNSA_6TensorESH_SH_EERKSH_lbbbEUlllE_EE10hipError_tT0_T1_T2_jT3_P12ihipStream_tbPNSt15iterator_traitsISN_E10value_typeEPNST_ISO_E10value_typeEPSP_NS1_7vsmem_tEENKUlT_SN_SO_SP_E_clIS8_S8_S9_S9_EESM_S12_SN_SO_SP_EUlS12_E1_NS1_11comp_targetILNS1_3genE4ELNS1_11target_archE910ELNS1_3gpuE8ELNS1_3repE0EEENS1_36merge_oddeven_config_static_selectorELNS0_4arch9wavefront6targetE0EEEvSO_,@function
_ZN7rocprim17ROCPRIM_400000_NS6detail17trampoline_kernelINS0_14default_configENS1_38merge_sort_block_merge_config_selectorIlNS0_10empty_typeEEEZZNS1_27merge_sort_block_merge_implIS3_PlPS5_mZN2at6native12_GLOBAL__N_124unique_dim_cuda_templateIN3c108BFloat16EEESt5tupleIJNSA_6TensorESH_SH_EERKSH_lbbbEUlllE_EE10hipError_tT0_T1_T2_jT3_P12ihipStream_tbPNSt15iterator_traitsISN_E10value_typeEPNST_ISO_E10value_typeEPSP_NS1_7vsmem_tEENKUlT_SN_SO_SP_E_clIS8_S8_S9_S9_EESM_S12_SN_SO_SP_EUlS12_E1_NS1_11comp_targetILNS1_3genE4ELNS1_11target_archE910ELNS1_3gpuE8ELNS1_3repE0EEENS1_36merge_oddeven_config_static_selectorELNS0_4arch9wavefront6targetE0EEEvSO_: ; @_ZN7rocprim17ROCPRIM_400000_NS6detail17trampoline_kernelINS0_14default_configENS1_38merge_sort_block_merge_config_selectorIlNS0_10empty_typeEEEZZNS1_27merge_sort_block_merge_implIS3_PlPS5_mZN2at6native12_GLOBAL__N_124unique_dim_cuda_templateIN3c108BFloat16EEESt5tupleIJNSA_6TensorESH_SH_EERKSH_lbbbEUlllE_EE10hipError_tT0_T1_T2_jT3_P12ihipStream_tbPNSt15iterator_traitsISN_E10value_typeEPNST_ISO_E10value_typeEPSP_NS1_7vsmem_tEENKUlT_SN_SO_SP_E_clIS8_S8_S9_S9_EESM_S12_SN_SO_SP_EUlS12_E1_NS1_11comp_targetILNS1_3genE4ELNS1_11target_archE910ELNS1_3gpuE8ELNS1_3repE0EEENS1_36merge_oddeven_config_static_selectorELNS0_4arch9wavefront6targetE0EEEvSO_
; %bb.0:
	.section	.rodata,"a",@progbits
	.p2align	6, 0x0
	.amdhsa_kernel _ZN7rocprim17ROCPRIM_400000_NS6detail17trampoline_kernelINS0_14default_configENS1_38merge_sort_block_merge_config_selectorIlNS0_10empty_typeEEEZZNS1_27merge_sort_block_merge_implIS3_PlPS5_mZN2at6native12_GLOBAL__N_124unique_dim_cuda_templateIN3c108BFloat16EEESt5tupleIJNSA_6TensorESH_SH_EERKSH_lbbbEUlllE_EE10hipError_tT0_T1_T2_jT3_P12ihipStream_tbPNSt15iterator_traitsISN_E10value_typeEPNST_ISO_E10value_typeEPSP_NS1_7vsmem_tEENKUlT_SN_SO_SP_E_clIS8_S8_S9_S9_EESM_S12_SN_SO_SP_EUlS12_E1_NS1_11comp_targetILNS1_3genE4ELNS1_11target_archE910ELNS1_3gpuE8ELNS1_3repE0EEENS1_36merge_oddeven_config_static_selectorELNS0_4arch9wavefront6targetE0EEEvSO_
		.amdhsa_group_segment_fixed_size 0
		.amdhsa_private_segment_fixed_size 0
		.amdhsa_kernarg_size 64
		.amdhsa_user_sgpr_count 2
		.amdhsa_user_sgpr_dispatch_ptr 0
		.amdhsa_user_sgpr_queue_ptr 0
		.amdhsa_user_sgpr_kernarg_segment_ptr 1
		.amdhsa_user_sgpr_dispatch_id 0
		.amdhsa_user_sgpr_kernarg_preload_length 0
		.amdhsa_user_sgpr_kernarg_preload_offset 0
		.amdhsa_user_sgpr_private_segment_size 0
		.amdhsa_wavefront_size32 1
		.amdhsa_uses_dynamic_stack 0
		.amdhsa_enable_private_segment 0
		.amdhsa_system_sgpr_workgroup_id_x 1
		.amdhsa_system_sgpr_workgroup_id_y 0
		.amdhsa_system_sgpr_workgroup_id_z 0
		.amdhsa_system_sgpr_workgroup_info 0
		.amdhsa_system_vgpr_workitem_id 0
		.amdhsa_next_free_vgpr 1
		.amdhsa_next_free_sgpr 1
		.amdhsa_named_barrier_count 0
		.amdhsa_reserve_vcc 0
		.amdhsa_float_round_mode_32 0
		.amdhsa_float_round_mode_16_64 0
		.amdhsa_float_denorm_mode_32 3
		.amdhsa_float_denorm_mode_16_64 3
		.amdhsa_fp16_overflow 0
		.amdhsa_memory_ordered 1
		.amdhsa_forward_progress 1
		.amdhsa_inst_pref_size 0
		.amdhsa_round_robin_scheduling 0
		.amdhsa_exception_fp_ieee_invalid_op 0
		.amdhsa_exception_fp_denorm_src 0
		.amdhsa_exception_fp_ieee_div_zero 0
		.amdhsa_exception_fp_ieee_overflow 0
		.amdhsa_exception_fp_ieee_underflow 0
		.amdhsa_exception_fp_ieee_inexact 0
		.amdhsa_exception_int_div_zero 0
	.end_amdhsa_kernel
	.section	.text._ZN7rocprim17ROCPRIM_400000_NS6detail17trampoline_kernelINS0_14default_configENS1_38merge_sort_block_merge_config_selectorIlNS0_10empty_typeEEEZZNS1_27merge_sort_block_merge_implIS3_PlPS5_mZN2at6native12_GLOBAL__N_124unique_dim_cuda_templateIN3c108BFloat16EEESt5tupleIJNSA_6TensorESH_SH_EERKSH_lbbbEUlllE_EE10hipError_tT0_T1_T2_jT3_P12ihipStream_tbPNSt15iterator_traitsISN_E10value_typeEPNST_ISO_E10value_typeEPSP_NS1_7vsmem_tEENKUlT_SN_SO_SP_E_clIS8_S8_S9_S9_EESM_S12_SN_SO_SP_EUlS12_E1_NS1_11comp_targetILNS1_3genE4ELNS1_11target_archE910ELNS1_3gpuE8ELNS1_3repE0EEENS1_36merge_oddeven_config_static_selectorELNS0_4arch9wavefront6targetE0EEEvSO_,"axG",@progbits,_ZN7rocprim17ROCPRIM_400000_NS6detail17trampoline_kernelINS0_14default_configENS1_38merge_sort_block_merge_config_selectorIlNS0_10empty_typeEEEZZNS1_27merge_sort_block_merge_implIS3_PlPS5_mZN2at6native12_GLOBAL__N_124unique_dim_cuda_templateIN3c108BFloat16EEESt5tupleIJNSA_6TensorESH_SH_EERKSH_lbbbEUlllE_EE10hipError_tT0_T1_T2_jT3_P12ihipStream_tbPNSt15iterator_traitsISN_E10value_typeEPNST_ISO_E10value_typeEPSP_NS1_7vsmem_tEENKUlT_SN_SO_SP_E_clIS8_S8_S9_S9_EESM_S12_SN_SO_SP_EUlS12_E1_NS1_11comp_targetILNS1_3genE4ELNS1_11target_archE910ELNS1_3gpuE8ELNS1_3repE0EEENS1_36merge_oddeven_config_static_selectorELNS0_4arch9wavefront6targetE0EEEvSO_,comdat
.Lfunc_end1144:
	.size	_ZN7rocprim17ROCPRIM_400000_NS6detail17trampoline_kernelINS0_14default_configENS1_38merge_sort_block_merge_config_selectorIlNS0_10empty_typeEEEZZNS1_27merge_sort_block_merge_implIS3_PlPS5_mZN2at6native12_GLOBAL__N_124unique_dim_cuda_templateIN3c108BFloat16EEESt5tupleIJNSA_6TensorESH_SH_EERKSH_lbbbEUlllE_EE10hipError_tT0_T1_T2_jT3_P12ihipStream_tbPNSt15iterator_traitsISN_E10value_typeEPNST_ISO_E10value_typeEPSP_NS1_7vsmem_tEENKUlT_SN_SO_SP_E_clIS8_S8_S9_S9_EESM_S12_SN_SO_SP_EUlS12_E1_NS1_11comp_targetILNS1_3genE4ELNS1_11target_archE910ELNS1_3gpuE8ELNS1_3repE0EEENS1_36merge_oddeven_config_static_selectorELNS0_4arch9wavefront6targetE0EEEvSO_, .Lfunc_end1144-_ZN7rocprim17ROCPRIM_400000_NS6detail17trampoline_kernelINS0_14default_configENS1_38merge_sort_block_merge_config_selectorIlNS0_10empty_typeEEEZZNS1_27merge_sort_block_merge_implIS3_PlPS5_mZN2at6native12_GLOBAL__N_124unique_dim_cuda_templateIN3c108BFloat16EEESt5tupleIJNSA_6TensorESH_SH_EERKSH_lbbbEUlllE_EE10hipError_tT0_T1_T2_jT3_P12ihipStream_tbPNSt15iterator_traitsISN_E10value_typeEPNST_ISO_E10value_typeEPSP_NS1_7vsmem_tEENKUlT_SN_SO_SP_E_clIS8_S8_S9_S9_EESM_S12_SN_SO_SP_EUlS12_E1_NS1_11comp_targetILNS1_3genE4ELNS1_11target_archE910ELNS1_3gpuE8ELNS1_3repE0EEENS1_36merge_oddeven_config_static_selectorELNS0_4arch9wavefront6targetE0EEEvSO_
                                        ; -- End function
	.set _ZN7rocprim17ROCPRIM_400000_NS6detail17trampoline_kernelINS0_14default_configENS1_38merge_sort_block_merge_config_selectorIlNS0_10empty_typeEEEZZNS1_27merge_sort_block_merge_implIS3_PlPS5_mZN2at6native12_GLOBAL__N_124unique_dim_cuda_templateIN3c108BFloat16EEESt5tupleIJNSA_6TensorESH_SH_EERKSH_lbbbEUlllE_EE10hipError_tT0_T1_T2_jT3_P12ihipStream_tbPNSt15iterator_traitsISN_E10value_typeEPNST_ISO_E10value_typeEPSP_NS1_7vsmem_tEENKUlT_SN_SO_SP_E_clIS8_S8_S9_S9_EESM_S12_SN_SO_SP_EUlS12_E1_NS1_11comp_targetILNS1_3genE4ELNS1_11target_archE910ELNS1_3gpuE8ELNS1_3repE0EEENS1_36merge_oddeven_config_static_selectorELNS0_4arch9wavefront6targetE0EEEvSO_.num_vgpr, 0
	.set _ZN7rocprim17ROCPRIM_400000_NS6detail17trampoline_kernelINS0_14default_configENS1_38merge_sort_block_merge_config_selectorIlNS0_10empty_typeEEEZZNS1_27merge_sort_block_merge_implIS3_PlPS5_mZN2at6native12_GLOBAL__N_124unique_dim_cuda_templateIN3c108BFloat16EEESt5tupleIJNSA_6TensorESH_SH_EERKSH_lbbbEUlllE_EE10hipError_tT0_T1_T2_jT3_P12ihipStream_tbPNSt15iterator_traitsISN_E10value_typeEPNST_ISO_E10value_typeEPSP_NS1_7vsmem_tEENKUlT_SN_SO_SP_E_clIS8_S8_S9_S9_EESM_S12_SN_SO_SP_EUlS12_E1_NS1_11comp_targetILNS1_3genE4ELNS1_11target_archE910ELNS1_3gpuE8ELNS1_3repE0EEENS1_36merge_oddeven_config_static_selectorELNS0_4arch9wavefront6targetE0EEEvSO_.num_agpr, 0
	.set _ZN7rocprim17ROCPRIM_400000_NS6detail17trampoline_kernelINS0_14default_configENS1_38merge_sort_block_merge_config_selectorIlNS0_10empty_typeEEEZZNS1_27merge_sort_block_merge_implIS3_PlPS5_mZN2at6native12_GLOBAL__N_124unique_dim_cuda_templateIN3c108BFloat16EEESt5tupleIJNSA_6TensorESH_SH_EERKSH_lbbbEUlllE_EE10hipError_tT0_T1_T2_jT3_P12ihipStream_tbPNSt15iterator_traitsISN_E10value_typeEPNST_ISO_E10value_typeEPSP_NS1_7vsmem_tEENKUlT_SN_SO_SP_E_clIS8_S8_S9_S9_EESM_S12_SN_SO_SP_EUlS12_E1_NS1_11comp_targetILNS1_3genE4ELNS1_11target_archE910ELNS1_3gpuE8ELNS1_3repE0EEENS1_36merge_oddeven_config_static_selectorELNS0_4arch9wavefront6targetE0EEEvSO_.numbered_sgpr, 0
	.set _ZN7rocprim17ROCPRIM_400000_NS6detail17trampoline_kernelINS0_14default_configENS1_38merge_sort_block_merge_config_selectorIlNS0_10empty_typeEEEZZNS1_27merge_sort_block_merge_implIS3_PlPS5_mZN2at6native12_GLOBAL__N_124unique_dim_cuda_templateIN3c108BFloat16EEESt5tupleIJNSA_6TensorESH_SH_EERKSH_lbbbEUlllE_EE10hipError_tT0_T1_T2_jT3_P12ihipStream_tbPNSt15iterator_traitsISN_E10value_typeEPNST_ISO_E10value_typeEPSP_NS1_7vsmem_tEENKUlT_SN_SO_SP_E_clIS8_S8_S9_S9_EESM_S12_SN_SO_SP_EUlS12_E1_NS1_11comp_targetILNS1_3genE4ELNS1_11target_archE910ELNS1_3gpuE8ELNS1_3repE0EEENS1_36merge_oddeven_config_static_selectorELNS0_4arch9wavefront6targetE0EEEvSO_.num_named_barrier, 0
	.set _ZN7rocprim17ROCPRIM_400000_NS6detail17trampoline_kernelINS0_14default_configENS1_38merge_sort_block_merge_config_selectorIlNS0_10empty_typeEEEZZNS1_27merge_sort_block_merge_implIS3_PlPS5_mZN2at6native12_GLOBAL__N_124unique_dim_cuda_templateIN3c108BFloat16EEESt5tupleIJNSA_6TensorESH_SH_EERKSH_lbbbEUlllE_EE10hipError_tT0_T1_T2_jT3_P12ihipStream_tbPNSt15iterator_traitsISN_E10value_typeEPNST_ISO_E10value_typeEPSP_NS1_7vsmem_tEENKUlT_SN_SO_SP_E_clIS8_S8_S9_S9_EESM_S12_SN_SO_SP_EUlS12_E1_NS1_11comp_targetILNS1_3genE4ELNS1_11target_archE910ELNS1_3gpuE8ELNS1_3repE0EEENS1_36merge_oddeven_config_static_selectorELNS0_4arch9wavefront6targetE0EEEvSO_.private_seg_size, 0
	.set _ZN7rocprim17ROCPRIM_400000_NS6detail17trampoline_kernelINS0_14default_configENS1_38merge_sort_block_merge_config_selectorIlNS0_10empty_typeEEEZZNS1_27merge_sort_block_merge_implIS3_PlPS5_mZN2at6native12_GLOBAL__N_124unique_dim_cuda_templateIN3c108BFloat16EEESt5tupleIJNSA_6TensorESH_SH_EERKSH_lbbbEUlllE_EE10hipError_tT0_T1_T2_jT3_P12ihipStream_tbPNSt15iterator_traitsISN_E10value_typeEPNST_ISO_E10value_typeEPSP_NS1_7vsmem_tEENKUlT_SN_SO_SP_E_clIS8_S8_S9_S9_EESM_S12_SN_SO_SP_EUlS12_E1_NS1_11comp_targetILNS1_3genE4ELNS1_11target_archE910ELNS1_3gpuE8ELNS1_3repE0EEENS1_36merge_oddeven_config_static_selectorELNS0_4arch9wavefront6targetE0EEEvSO_.uses_vcc, 0
	.set _ZN7rocprim17ROCPRIM_400000_NS6detail17trampoline_kernelINS0_14default_configENS1_38merge_sort_block_merge_config_selectorIlNS0_10empty_typeEEEZZNS1_27merge_sort_block_merge_implIS3_PlPS5_mZN2at6native12_GLOBAL__N_124unique_dim_cuda_templateIN3c108BFloat16EEESt5tupleIJNSA_6TensorESH_SH_EERKSH_lbbbEUlllE_EE10hipError_tT0_T1_T2_jT3_P12ihipStream_tbPNSt15iterator_traitsISN_E10value_typeEPNST_ISO_E10value_typeEPSP_NS1_7vsmem_tEENKUlT_SN_SO_SP_E_clIS8_S8_S9_S9_EESM_S12_SN_SO_SP_EUlS12_E1_NS1_11comp_targetILNS1_3genE4ELNS1_11target_archE910ELNS1_3gpuE8ELNS1_3repE0EEENS1_36merge_oddeven_config_static_selectorELNS0_4arch9wavefront6targetE0EEEvSO_.uses_flat_scratch, 0
	.set _ZN7rocprim17ROCPRIM_400000_NS6detail17trampoline_kernelINS0_14default_configENS1_38merge_sort_block_merge_config_selectorIlNS0_10empty_typeEEEZZNS1_27merge_sort_block_merge_implIS3_PlPS5_mZN2at6native12_GLOBAL__N_124unique_dim_cuda_templateIN3c108BFloat16EEESt5tupleIJNSA_6TensorESH_SH_EERKSH_lbbbEUlllE_EE10hipError_tT0_T1_T2_jT3_P12ihipStream_tbPNSt15iterator_traitsISN_E10value_typeEPNST_ISO_E10value_typeEPSP_NS1_7vsmem_tEENKUlT_SN_SO_SP_E_clIS8_S8_S9_S9_EESM_S12_SN_SO_SP_EUlS12_E1_NS1_11comp_targetILNS1_3genE4ELNS1_11target_archE910ELNS1_3gpuE8ELNS1_3repE0EEENS1_36merge_oddeven_config_static_selectorELNS0_4arch9wavefront6targetE0EEEvSO_.has_dyn_sized_stack, 0
	.set _ZN7rocprim17ROCPRIM_400000_NS6detail17trampoline_kernelINS0_14default_configENS1_38merge_sort_block_merge_config_selectorIlNS0_10empty_typeEEEZZNS1_27merge_sort_block_merge_implIS3_PlPS5_mZN2at6native12_GLOBAL__N_124unique_dim_cuda_templateIN3c108BFloat16EEESt5tupleIJNSA_6TensorESH_SH_EERKSH_lbbbEUlllE_EE10hipError_tT0_T1_T2_jT3_P12ihipStream_tbPNSt15iterator_traitsISN_E10value_typeEPNST_ISO_E10value_typeEPSP_NS1_7vsmem_tEENKUlT_SN_SO_SP_E_clIS8_S8_S9_S9_EESM_S12_SN_SO_SP_EUlS12_E1_NS1_11comp_targetILNS1_3genE4ELNS1_11target_archE910ELNS1_3gpuE8ELNS1_3repE0EEENS1_36merge_oddeven_config_static_selectorELNS0_4arch9wavefront6targetE0EEEvSO_.has_recursion, 0
	.set _ZN7rocprim17ROCPRIM_400000_NS6detail17trampoline_kernelINS0_14default_configENS1_38merge_sort_block_merge_config_selectorIlNS0_10empty_typeEEEZZNS1_27merge_sort_block_merge_implIS3_PlPS5_mZN2at6native12_GLOBAL__N_124unique_dim_cuda_templateIN3c108BFloat16EEESt5tupleIJNSA_6TensorESH_SH_EERKSH_lbbbEUlllE_EE10hipError_tT0_T1_T2_jT3_P12ihipStream_tbPNSt15iterator_traitsISN_E10value_typeEPNST_ISO_E10value_typeEPSP_NS1_7vsmem_tEENKUlT_SN_SO_SP_E_clIS8_S8_S9_S9_EESM_S12_SN_SO_SP_EUlS12_E1_NS1_11comp_targetILNS1_3genE4ELNS1_11target_archE910ELNS1_3gpuE8ELNS1_3repE0EEENS1_36merge_oddeven_config_static_selectorELNS0_4arch9wavefront6targetE0EEEvSO_.has_indirect_call, 0
	.section	.AMDGPU.csdata,"",@progbits
; Kernel info:
; codeLenInByte = 0
; TotalNumSgprs: 0
; NumVgprs: 0
; ScratchSize: 0
; MemoryBound: 0
; FloatMode: 240
; IeeeMode: 1
; LDSByteSize: 0 bytes/workgroup (compile time only)
; SGPRBlocks: 0
; VGPRBlocks: 0
; NumSGPRsForWavesPerEU: 1
; NumVGPRsForWavesPerEU: 1
; NamedBarCnt: 0
; Occupancy: 16
; WaveLimiterHint : 0
; COMPUTE_PGM_RSRC2:SCRATCH_EN: 0
; COMPUTE_PGM_RSRC2:USER_SGPR: 2
; COMPUTE_PGM_RSRC2:TRAP_HANDLER: 0
; COMPUTE_PGM_RSRC2:TGID_X_EN: 1
; COMPUTE_PGM_RSRC2:TGID_Y_EN: 0
; COMPUTE_PGM_RSRC2:TGID_Z_EN: 0
; COMPUTE_PGM_RSRC2:TIDIG_COMP_CNT: 0
	.section	.text._ZN7rocprim17ROCPRIM_400000_NS6detail17trampoline_kernelINS0_14default_configENS1_38merge_sort_block_merge_config_selectorIlNS0_10empty_typeEEEZZNS1_27merge_sort_block_merge_implIS3_PlPS5_mZN2at6native12_GLOBAL__N_124unique_dim_cuda_templateIN3c108BFloat16EEESt5tupleIJNSA_6TensorESH_SH_EERKSH_lbbbEUlllE_EE10hipError_tT0_T1_T2_jT3_P12ihipStream_tbPNSt15iterator_traitsISN_E10value_typeEPNST_ISO_E10value_typeEPSP_NS1_7vsmem_tEENKUlT_SN_SO_SP_E_clIS8_S8_S9_S9_EESM_S12_SN_SO_SP_EUlS12_E1_NS1_11comp_targetILNS1_3genE3ELNS1_11target_archE908ELNS1_3gpuE7ELNS1_3repE0EEENS1_36merge_oddeven_config_static_selectorELNS0_4arch9wavefront6targetE0EEEvSO_,"axG",@progbits,_ZN7rocprim17ROCPRIM_400000_NS6detail17trampoline_kernelINS0_14default_configENS1_38merge_sort_block_merge_config_selectorIlNS0_10empty_typeEEEZZNS1_27merge_sort_block_merge_implIS3_PlPS5_mZN2at6native12_GLOBAL__N_124unique_dim_cuda_templateIN3c108BFloat16EEESt5tupleIJNSA_6TensorESH_SH_EERKSH_lbbbEUlllE_EE10hipError_tT0_T1_T2_jT3_P12ihipStream_tbPNSt15iterator_traitsISN_E10value_typeEPNST_ISO_E10value_typeEPSP_NS1_7vsmem_tEENKUlT_SN_SO_SP_E_clIS8_S8_S9_S9_EESM_S12_SN_SO_SP_EUlS12_E1_NS1_11comp_targetILNS1_3genE3ELNS1_11target_archE908ELNS1_3gpuE7ELNS1_3repE0EEENS1_36merge_oddeven_config_static_selectorELNS0_4arch9wavefront6targetE0EEEvSO_,comdat
	.globl	_ZN7rocprim17ROCPRIM_400000_NS6detail17trampoline_kernelINS0_14default_configENS1_38merge_sort_block_merge_config_selectorIlNS0_10empty_typeEEEZZNS1_27merge_sort_block_merge_implIS3_PlPS5_mZN2at6native12_GLOBAL__N_124unique_dim_cuda_templateIN3c108BFloat16EEESt5tupleIJNSA_6TensorESH_SH_EERKSH_lbbbEUlllE_EE10hipError_tT0_T1_T2_jT3_P12ihipStream_tbPNSt15iterator_traitsISN_E10value_typeEPNST_ISO_E10value_typeEPSP_NS1_7vsmem_tEENKUlT_SN_SO_SP_E_clIS8_S8_S9_S9_EESM_S12_SN_SO_SP_EUlS12_E1_NS1_11comp_targetILNS1_3genE3ELNS1_11target_archE908ELNS1_3gpuE7ELNS1_3repE0EEENS1_36merge_oddeven_config_static_selectorELNS0_4arch9wavefront6targetE0EEEvSO_ ; -- Begin function _ZN7rocprim17ROCPRIM_400000_NS6detail17trampoline_kernelINS0_14default_configENS1_38merge_sort_block_merge_config_selectorIlNS0_10empty_typeEEEZZNS1_27merge_sort_block_merge_implIS3_PlPS5_mZN2at6native12_GLOBAL__N_124unique_dim_cuda_templateIN3c108BFloat16EEESt5tupleIJNSA_6TensorESH_SH_EERKSH_lbbbEUlllE_EE10hipError_tT0_T1_T2_jT3_P12ihipStream_tbPNSt15iterator_traitsISN_E10value_typeEPNST_ISO_E10value_typeEPSP_NS1_7vsmem_tEENKUlT_SN_SO_SP_E_clIS8_S8_S9_S9_EESM_S12_SN_SO_SP_EUlS12_E1_NS1_11comp_targetILNS1_3genE3ELNS1_11target_archE908ELNS1_3gpuE7ELNS1_3repE0EEENS1_36merge_oddeven_config_static_selectorELNS0_4arch9wavefront6targetE0EEEvSO_
	.p2align	8
	.type	_ZN7rocprim17ROCPRIM_400000_NS6detail17trampoline_kernelINS0_14default_configENS1_38merge_sort_block_merge_config_selectorIlNS0_10empty_typeEEEZZNS1_27merge_sort_block_merge_implIS3_PlPS5_mZN2at6native12_GLOBAL__N_124unique_dim_cuda_templateIN3c108BFloat16EEESt5tupleIJNSA_6TensorESH_SH_EERKSH_lbbbEUlllE_EE10hipError_tT0_T1_T2_jT3_P12ihipStream_tbPNSt15iterator_traitsISN_E10value_typeEPNST_ISO_E10value_typeEPSP_NS1_7vsmem_tEENKUlT_SN_SO_SP_E_clIS8_S8_S9_S9_EESM_S12_SN_SO_SP_EUlS12_E1_NS1_11comp_targetILNS1_3genE3ELNS1_11target_archE908ELNS1_3gpuE7ELNS1_3repE0EEENS1_36merge_oddeven_config_static_selectorELNS0_4arch9wavefront6targetE0EEEvSO_,@function
_ZN7rocprim17ROCPRIM_400000_NS6detail17trampoline_kernelINS0_14default_configENS1_38merge_sort_block_merge_config_selectorIlNS0_10empty_typeEEEZZNS1_27merge_sort_block_merge_implIS3_PlPS5_mZN2at6native12_GLOBAL__N_124unique_dim_cuda_templateIN3c108BFloat16EEESt5tupleIJNSA_6TensorESH_SH_EERKSH_lbbbEUlllE_EE10hipError_tT0_T1_T2_jT3_P12ihipStream_tbPNSt15iterator_traitsISN_E10value_typeEPNST_ISO_E10value_typeEPSP_NS1_7vsmem_tEENKUlT_SN_SO_SP_E_clIS8_S8_S9_S9_EESM_S12_SN_SO_SP_EUlS12_E1_NS1_11comp_targetILNS1_3genE3ELNS1_11target_archE908ELNS1_3gpuE7ELNS1_3repE0EEENS1_36merge_oddeven_config_static_selectorELNS0_4arch9wavefront6targetE0EEEvSO_: ; @_ZN7rocprim17ROCPRIM_400000_NS6detail17trampoline_kernelINS0_14default_configENS1_38merge_sort_block_merge_config_selectorIlNS0_10empty_typeEEEZZNS1_27merge_sort_block_merge_implIS3_PlPS5_mZN2at6native12_GLOBAL__N_124unique_dim_cuda_templateIN3c108BFloat16EEESt5tupleIJNSA_6TensorESH_SH_EERKSH_lbbbEUlllE_EE10hipError_tT0_T1_T2_jT3_P12ihipStream_tbPNSt15iterator_traitsISN_E10value_typeEPNST_ISO_E10value_typeEPSP_NS1_7vsmem_tEENKUlT_SN_SO_SP_E_clIS8_S8_S9_S9_EESM_S12_SN_SO_SP_EUlS12_E1_NS1_11comp_targetILNS1_3genE3ELNS1_11target_archE908ELNS1_3gpuE7ELNS1_3repE0EEENS1_36merge_oddeven_config_static_selectorELNS0_4arch9wavefront6targetE0EEEvSO_
; %bb.0:
	.section	.rodata,"a",@progbits
	.p2align	6, 0x0
	.amdhsa_kernel _ZN7rocprim17ROCPRIM_400000_NS6detail17trampoline_kernelINS0_14default_configENS1_38merge_sort_block_merge_config_selectorIlNS0_10empty_typeEEEZZNS1_27merge_sort_block_merge_implIS3_PlPS5_mZN2at6native12_GLOBAL__N_124unique_dim_cuda_templateIN3c108BFloat16EEESt5tupleIJNSA_6TensorESH_SH_EERKSH_lbbbEUlllE_EE10hipError_tT0_T1_T2_jT3_P12ihipStream_tbPNSt15iterator_traitsISN_E10value_typeEPNST_ISO_E10value_typeEPSP_NS1_7vsmem_tEENKUlT_SN_SO_SP_E_clIS8_S8_S9_S9_EESM_S12_SN_SO_SP_EUlS12_E1_NS1_11comp_targetILNS1_3genE3ELNS1_11target_archE908ELNS1_3gpuE7ELNS1_3repE0EEENS1_36merge_oddeven_config_static_selectorELNS0_4arch9wavefront6targetE0EEEvSO_
		.amdhsa_group_segment_fixed_size 0
		.amdhsa_private_segment_fixed_size 0
		.amdhsa_kernarg_size 64
		.amdhsa_user_sgpr_count 2
		.amdhsa_user_sgpr_dispatch_ptr 0
		.amdhsa_user_sgpr_queue_ptr 0
		.amdhsa_user_sgpr_kernarg_segment_ptr 1
		.amdhsa_user_sgpr_dispatch_id 0
		.amdhsa_user_sgpr_kernarg_preload_length 0
		.amdhsa_user_sgpr_kernarg_preload_offset 0
		.amdhsa_user_sgpr_private_segment_size 0
		.amdhsa_wavefront_size32 1
		.amdhsa_uses_dynamic_stack 0
		.amdhsa_enable_private_segment 0
		.amdhsa_system_sgpr_workgroup_id_x 1
		.amdhsa_system_sgpr_workgroup_id_y 0
		.amdhsa_system_sgpr_workgroup_id_z 0
		.amdhsa_system_sgpr_workgroup_info 0
		.amdhsa_system_vgpr_workitem_id 0
		.amdhsa_next_free_vgpr 1
		.amdhsa_next_free_sgpr 1
		.amdhsa_named_barrier_count 0
		.amdhsa_reserve_vcc 0
		.amdhsa_float_round_mode_32 0
		.amdhsa_float_round_mode_16_64 0
		.amdhsa_float_denorm_mode_32 3
		.amdhsa_float_denorm_mode_16_64 3
		.amdhsa_fp16_overflow 0
		.amdhsa_memory_ordered 1
		.amdhsa_forward_progress 1
		.amdhsa_inst_pref_size 0
		.amdhsa_round_robin_scheduling 0
		.amdhsa_exception_fp_ieee_invalid_op 0
		.amdhsa_exception_fp_denorm_src 0
		.amdhsa_exception_fp_ieee_div_zero 0
		.amdhsa_exception_fp_ieee_overflow 0
		.amdhsa_exception_fp_ieee_underflow 0
		.amdhsa_exception_fp_ieee_inexact 0
		.amdhsa_exception_int_div_zero 0
	.end_amdhsa_kernel
	.section	.text._ZN7rocprim17ROCPRIM_400000_NS6detail17trampoline_kernelINS0_14default_configENS1_38merge_sort_block_merge_config_selectorIlNS0_10empty_typeEEEZZNS1_27merge_sort_block_merge_implIS3_PlPS5_mZN2at6native12_GLOBAL__N_124unique_dim_cuda_templateIN3c108BFloat16EEESt5tupleIJNSA_6TensorESH_SH_EERKSH_lbbbEUlllE_EE10hipError_tT0_T1_T2_jT3_P12ihipStream_tbPNSt15iterator_traitsISN_E10value_typeEPNST_ISO_E10value_typeEPSP_NS1_7vsmem_tEENKUlT_SN_SO_SP_E_clIS8_S8_S9_S9_EESM_S12_SN_SO_SP_EUlS12_E1_NS1_11comp_targetILNS1_3genE3ELNS1_11target_archE908ELNS1_3gpuE7ELNS1_3repE0EEENS1_36merge_oddeven_config_static_selectorELNS0_4arch9wavefront6targetE0EEEvSO_,"axG",@progbits,_ZN7rocprim17ROCPRIM_400000_NS6detail17trampoline_kernelINS0_14default_configENS1_38merge_sort_block_merge_config_selectorIlNS0_10empty_typeEEEZZNS1_27merge_sort_block_merge_implIS3_PlPS5_mZN2at6native12_GLOBAL__N_124unique_dim_cuda_templateIN3c108BFloat16EEESt5tupleIJNSA_6TensorESH_SH_EERKSH_lbbbEUlllE_EE10hipError_tT0_T1_T2_jT3_P12ihipStream_tbPNSt15iterator_traitsISN_E10value_typeEPNST_ISO_E10value_typeEPSP_NS1_7vsmem_tEENKUlT_SN_SO_SP_E_clIS8_S8_S9_S9_EESM_S12_SN_SO_SP_EUlS12_E1_NS1_11comp_targetILNS1_3genE3ELNS1_11target_archE908ELNS1_3gpuE7ELNS1_3repE0EEENS1_36merge_oddeven_config_static_selectorELNS0_4arch9wavefront6targetE0EEEvSO_,comdat
.Lfunc_end1145:
	.size	_ZN7rocprim17ROCPRIM_400000_NS6detail17trampoline_kernelINS0_14default_configENS1_38merge_sort_block_merge_config_selectorIlNS0_10empty_typeEEEZZNS1_27merge_sort_block_merge_implIS3_PlPS5_mZN2at6native12_GLOBAL__N_124unique_dim_cuda_templateIN3c108BFloat16EEESt5tupleIJNSA_6TensorESH_SH_EERKSH_lbbbEUlllE_EE10hipError_tT0_T1_T2_jT3_P12ihipStream_tbPNSt15iterator_traitsISN_E10value_typeEPNST_ISO_E10value_typeEPSP_NS1_7vsmem_tEENKUlT_SN_SO_SP_E_clIS8_S8_S9_S9_EESM_S12_SN_SO_SP_EUlS12_E1_NS1_11comp_targetILNS1_3genE3ELNS1_11target_archE908ELNS1_3gpuE7ELNS1_3repE0EEENS1_36merge_oddeven_config_static_selectorELNS0_4arch9wavefront6targetE0EEEvSO_, .Lfunc_end1145-_ZN7rocprim17ROCPRIM_400000_NS6detail17trampoline_kernelINS0_14default_configENS1_38merge_sort_block_merge_config_selectorIlNS0_10empty_typeEEEZZNS1_27merge_sort_block_merge_implIS3_PlPS5_mZN2at6native12_GLOBAL__N_124unique_dim_cuda_templateIN3c108BFloat16EEESt5tupleIJNSA_6TensorESH_SH_EERKSH_lbbbEUlllE_EE10hipError_tT0_T1_T2_jT3_P12ihipStream_tbPNSt15iterator_traitsISN_E10value_typeEPNST_ISO_E10value_typeEPSP_NS1_7vsmem_tEENKUlT_SN_SO_SP_E_clIS8_S8_S9_S9_EESM_S12_SN_SO_SP_EUlS12_E1_NS1_11comp_targetILNS1_3genE3ELNS1_11target_archE908ELNS1_3gpuE7ELNS1_3repE0EEENS1_36merge_oddeven_config_static_selectorELNS0_4arch9wavefront6targetE0EEEvSO_
                                        ; -- End function
	.set _ZN7rocprim17ROCPRIM_400000_NS6detail17trampoline_kernelINS0_14default_configENS1_38merge_sort_block_merge_config_selectorIlNS0_10empty_typeEEEZZNS1_27merge_sort_block_merge_implIS3_PlPS5_mZN2at6native12_GLOBAL__N_124unique_dim_cuda_templateIN3c108BFloat16EEESt5tupleIJNSA_6TensorESH_SH_EERKSH_lbbbEUlllE_EE10hipError_tT0_T1_T2_jT3_P12ihipStream_tbPNSt15iterator_traitsISN_E10value_typeEPNST_ISO_E10value_typeEPSP_NS1_7vsmem_tEENKUlT_SN_SO_SP_E_clIS8_S8_S9_S9_EESM_S12_SN_SO_SP_EUlS12_E1_NS1_11comp_targetILNS1_3genE3ELNS1_11target_archE908ELNS1_3gpuE7ELNS1_3repE0EEENS1_36merge_oddeven_config_static_selectorELNS0_4arch9wavefront6targetE0EEEvSO_.num_vgpr, 0
	.set _ZN7rocprim17ROCPRIM_400000_NS6detail17trampoline_kernelINS0_14default_configENS1_38merge_sort_block_merge_config_selectorIlNS0_10empty_typeEEEZZNS1_27merge_sort_block_merge_implIS3_PlPS5_mZN2at6native12_GLOBAL__N_124unique_dim_cuda_templateIN3c108BFloat16EEESt5tupleIJNSA_6TensorESH_SH_EERKSH_lbbbEUlllE_EE10hipError_tT0_T1_T2_jT3_P12ihipStream_tbPNSt15iterator_traitsISN_E10value_typeEPNST_ISO_E10value_typeEPSP_NS1_7vsmem_tEENKUlT_SN_SO_SP_E_clIS8_S8_S9_S9_EESM_S12_SN_SO_SP_EUlS12_E1_NS1_11comp_targetILNS1_3genE3ELNS1_11target_archE908ELNS1_3gpuE7ELNS1_3repE0EEENS1_36merge_oddeven_config_static_selectorELNS0_4arch9wavefront6targetE0EEEvSO_.num_agpr, 0
	.set _ZN7rocprim17ROCPRIM_400000_NS6detail17trampoline_kernelINS0_14default_configENS1_38merge_sort_block_merge_config_selectorIlNS0_10empty_typeEEEZZNS1_27merge_sort_block_merge_implIS3_PlPS5_mZN2at6native12_GLOBAL__N_124unique_dim_cuda_templateIN3c108BFloat16EEESt5tupleIJNSA_6TensorESH_SH_EERKSH_lbbbEUlllE_EE10hipError_tT0_T1_T2_jT3_P12ihipStream_tbPNSt15iterator_traitsISN_E10value_typeEPNST_ISO_E10value_typeEPSP_NS1_7vsmem_tEENKUlT_SN_SO_SP_E_clIS8_S8_S9_S9_EESM_S12_SN_SO_SP_EUlS12_E1_NS1_11comp_targetILNS1_3genE3ELNS1_11target_archE908ELNS1_3gpuE7ELNS1_3repE0EEENS1_36merge_oddeven_config_static_selectorELNS0_4arch9wavefront6targetE0EEEvSO_.numbered_sgpr, 0
	.set _ZN7rocprim17ROCPRIM_400000_NS6detail17trampoline_kernelINS0_14default_configENS1_38merge_sort_block_merge_config_selectorIlNS0_10empty_typeEEEZZNS1_27merge_sort_block_merge_implIS3_PlPS5_mZN2at6native12_GLOBAL__N_124unique_dim_cuda_templateIN3c108BFloat16EEESt5tupleIJNSA_6TensorESH_SH_EERKSH_lbbbEUlllE_EE10hipError_tT0_T1_T2_jT3_P12ihipStream_tbPNSt15iterator_traitsISN_E10value_typeEPNST_ISO_E10value_typeEPSP_NS1_7vsmem_tEENKUlT_SN_SO_SP_E_clIS8_S8_S9_S9_EESM_S12_SN_SO_SP_EUlS12_E1_NS1_11comp_targetILNS1_3genE3ELNS1_11target_archE908ELNS1_3gpuE7ELNS1_3repE0EEENS1_36merge_oddeven_config_static_selectorELNS0_4arch9wavefront6targetE0EEEvSO_.num_named_barrier, 0
	.set _ZN7rocprim17ROCPRIM_400000_NS6detail17trampoline_kernelINS0_14default_configENS1_38merge_sort_block_merge_config_selectorIlNS0_10empty_typeEEEZZNS1_27merge_sort_block_merge_implIS3_PlPS5_mZN2at6native12_GLOBAL__N_124unique_dim_cuda_templateIN3c108BFloat16EEESt5tupleIJNSA_6TensorESH_SH_EERKSH_lbbbEUlllE_EE10hipError_tT0_T1_T2_jT3_P12ihipStream_tbPNSt15iterator_traitsISN_E10value_typeEPNST_ISO_E10value_typeEPSP_NS1_7vsmem_tEENKUlT_SN_SO_SP_E_clIS8_S8_S9_S9_EESM_S12_SN_SO_SP_EUlS12_E1_NS1_11comp_targetILNS1_3genE3ELNS1_11target_archE908ELNS1_3gpuE7ELNS1_3repE0EEENS1_36merge_oddeven_config_static_selectorELNS0_4arch9wavefront6targetE0EEEvSO_.private_seg_size, 0
	.set _ZN7rocprim17ROCPRIM_400000_NS6detail17trampoline_kernelINS0_14default_configENS1_38merge_sort_block_merge_config_selectorIlNS0_10empty_typeEEEZZNS1_27merge_sort_block_merge_implIS3_PlPS5_mZN2at6native12_GLOBAL__N_124unique_dim_cuda_templateIN3c108BFloat16EEESt5tupleIJNSA_6TensorESH_SH_EERKSH_lbbbEUlllE_EE10hipError_tT0_T1_T2_jT3_P12ihipStream_tbPNSt15iterator_traitsISN_E10value_typeEPNST_ISO_E10value_typeEPSP_NS1_7vsmem_tEENKUlT_SN_SO_SP_E_clIS8_S8_S9_S9_EESM_S12_SN_SO_SP_EUlS12_E1_NS1_11comp_targetILNS1_3genE3ELNS1_11target_archE908ELNS1_3gpuE7ELNS1_3repE0EEENS1_36merge_oddeven_config_static_selectorELNS0_4arch9wavefront6targetE0EEEvSO_.uses_vcc, 0
	.set _ZN7rocprim17ROCPRIM_400000_NS6detail17trampoline_kernelINS0_14default_configENS1_38merge_sort_block_merge_config_selectorIlNS0_10empty_typeEEEZZNS1_27merge_sort_block_merge_implIS3_PlPS5_mZN2at6native12_GLOBAL__N_124unique_dim_cuda_templateIN3c108BFloat16EEESt5tupleIJNSA_6TensorESH_SH_EERKSH_lbbbEUlllE_EE10hipError_tT0_T1_T2_jT3_P12ihipStream_tbPNSt15iterator_traitsISN_E10value_typeEPNST_ISO_E10value_typeEPSP_NS1_7vsmem_tEENKUlT_SN_SO_SP_E_clIS8_S8_S9_S9_EESM_S12_SN_SO_SP_EUlS12_E1_NS1_11comp_targetILNS1_3genE3ELNS1_11target_archE908ELNS1_3gpuE7ELNS1_3repE0EEENS1_36merge_oddeven_config_static_selectorELNS0_4arch9wavefront6targetE0EEEvSO_.uses_flat_scratch, 0
	.set _ZN7rocprim17ROCPRIM_400000_NS6detail17trampoline_kernelINS0_14default_configENS1_38merge_sort_block_merge_config_selectorIlNS0_10empty_typeEEEZZNS1_27merge_sort_block_merge_implIS3_PlPS5_mZN2at6native12_GLOBAL__N_124unique_dim_cuda_templateIN3c108BFloat16EEESt5tupleIJNSA_6TensorESH_SH_EERKSH_lbbbEUlllE_EE10hipError_tT0_T1_T2_jT3_P12ihipStream_tbPNSt15iterator_traitsISN_E10value_typeEPNST_ISO_E10value_typeEPSP_NS1_7vsmem_tEENKUlT_SN_SO_SP_E_clIS8_S8_S9_S9_EESM_S12_SN_SO_SP_EUlS12_E1_NS1_11comp_targetILNS1_3genE3ELNS1_11target_archE908ELNS1_3gpuE7ELNS1_3repE0EEENS1_36merge_oddeven_config_static_selectorELNS0_4arch9wavefront6targetE0EEEvSO_.has_dyn_sized_stack, 0
	.set _ZN7rocprim17ROCPRIM_400000_NS6detail17trampoline_kernelINS0_14default_configENS1_38merge_sort_block_merge_config_selectorIlNS0_10empty_typeEEEZZNS1_27merge_sort_block_merge_implIS3_PlPS5_mZN2at6native12_GLOBAL__N_124unique_dim_cuda_templateIN3c108BFloat16EEESt5tupleIJNSA_6TensorESH_SH_EERKSH_lbbbEUlllE_EE10hipError_tT0_T1_T2_jT3_P12ihipStream_tbPNSt15iterator_traitsISN_E10value_typeEPNST_ISO_E10value_typeEPSP_NS1_7vsmem_tEENKUlT_SN_SO_SP_E_clIS8_S8_S9_S9_EESM_S12_SN_SO_SP_EUlS12_E1_NS1_11comp_targetILNS1_3genE3ELNS1_11target_archE908ELNS1_3gpuE7ELNS1_3repE0EEENS1_36merge_oddeven_config_static_selectorELNS0_4arch9wavefront6targetE0EEEvSO_.has_recursion, 0
	.set _ZN7rocprim17ROCPRIM_400000_NS6detail17trampoline_kernelINS0_14default_configENS1_38merge_sort_block_merge_config_selectorIlNS0_10empty_typeEEEZZNS1_27merge_sort_block_merge_implIS3_PlPS5_mZN2at6native12_GLOBAL__N_124unique_dim_cuda_templateIN3c108BFloat16EEESt5tupleIJNSA_6TensorESH_SH_EERKSH_lbbbEUlllE_EE10hipError_tT0_T1_T2_jT3_P12ihipStream_tbPNSt15iterator_traitsISN_E10value_typeEPNST_ISO_E10value_typeEPSP_NS1_7vsmem_tEENKUlT_SN_SO_SP_E_clIS8_S8_S9_S9_EESM_S12_SN_SO_SP_EUlS12_E1_NS1_11comp_targetILNS1_3genE3ELNS1_11target_archE908ELNS1_3gpuE7ELNS1_3repE0EEENS1_36merge_oddeven_config_static_selectorELNS0_4arch9wavefront6targetE0EEEvSO_.has_indirect_call, 0
	.section	.AMDGPU.csdata,"",@progbits
; Kernel info:
; codeLenInByte = 0
; TotalNumSgprs: 0
; NumVgprs: 0
; ScratchSize: 0
; MemoryBound: 0
; FloatMode: 240
; IeeeMode: 1
; LDSByteSize: 0 bytes/workgroup (compile time only)
; SGPRBlocks: 0
; VGPRBlocks: 0
; NumSGPRsForWavesPerEU: 1
; NumVGPRsForWavesPerEU: 1
; NamedBarCnt: 0
; Occupancy: 16
; WaveLimiterHint : 0
; COMPUTE_PGM_RSRC2:SCRATCH_EN: 0
; COMPUTE_PGM_RSRC2:USER_SGPR: 2
; COMPUTE_PGM_RSRC2:TRAP_HANDLER: 0
; COMPUTE_PGM_RSRC2:TGID_X_EN: 1
; COMPUTE_PGM_RSRC2:TGID_Y_EN: 0
; COMPUTE_PGM_RSRC2:TGID_Z_EN: 0
; COMPUTE_PGM_RSRC2:TIDIG_COMP_CNT: 0
	.section	.text._ZN7rocprim17ROCPRIM_400000_NS6detail17trampoline_kernelINS0_14default_configENS1_38merge_sort_block_merge_config_selectorIlNS0_10empty_typeEEEZZNS1_27merge_sort_block_merge_implIS3_PlPS5_mZN2at6native12_GLOBAL__N_124unique_dim_cuda_templateIN3c108BFloat16EEESt5tupleIJNSA_6TensorESH_SH_EERKSH_lbbbEUlllE_EE10hipError_tT0_T1_T2_jT3_P12ihipStream_tbPNSt15iterator_traitsISN_E10value_typeEPNST_ISO_E10value_typeEPSP_NS1_7vsmem_tEENKUlT_SN_SO_SP_E_clIS8_S8_S9_S9_EESM_S12_SN_SO_SP_EUlS12_E1_NS1_11comp_targetILNS1_3genE2ELNS1_11target_archE906ELNS1_3gpuE6ELNS1_3repE0EEENS1_36merge_oddeven_config_static_selectorELNS0_4arch9wavefront6targetE0EEEvSO_,"axG",@progbits,_ZN7rocprim17ROCPRIM_400000_NS6detail17trampoline_kernelINS0_14default_configENS1_38merge_sort_block_merge_config_selectorIlNS0_10empty_typeEEEZZNS1_27merge_sort_block_merge_implIS3_PlPS5_mZN2at6native12_GLOBAL__N_124unique_dim_cuda_templateIN3c108BFloat16EEESt5tupleIJNSA_6TensorESH_SH_EERKSH_lbbbEUlllE_EE10hipError_tT0_T1_T2_jT3_P12ihipStream_tbPNSt15iterator_traitsISN_E10value_typeEPNST_ISO_E10value_typeEPSP_NS1_7vsmem_tEENKUlT_SN_SO_SP_E_clIS8_S8_S9_S9_EESM_S12_SN_SO_SP_EUlS12_E1_NS1_11comp_targetILNS1_3genE2ELNS1_11target_archE906ELNS1_3gpuE6ELNS1_3repE0EEENS1_36merge_oddeven_config_static_selectorELNS0_4arch9wavefront6targetE0EEEvSO_,comdat
	.globl	_ZN7rocprim17ROCPRIM_400000_NS6detail17trampoline_kernelINS0_14default_configENS1_38merge_sort_block_merge_config_selectorIlNS0_10empty_typeEEEZZNS1_27merge_sort_block_merge_implIS3_PlPS5_mZN2at6native12_GLOBAL__N_124unique_dim_cuda_templateIN3c108BFloat16EEESt5tupleIJNSA_6TensorESH_SH_EERKSH_lbbbEUlllE_EE10hipError_tT0_T1_T2_jT3_P12ihipStream_tbPNSt15iterator_traitsISN_E10value_typeEPNST_ISO_E10value_typeEPSP_NS1_7vsmem_tEENKUlT_SN_SO_SP_E_clIS8_S8_S9_S9_EESM_S12_SN_SO_SP_EUlS12_E1_NS1_11comp_targetILNS1_3genE2ELNS1_11target_archE906ELNS1_3gpuE6ELNS1_3repE0EEENS1_36merge_oddeven_config_static_selectorELNS0_4arch9wavefront6targetE0EEEvSO_ ; -- Begin function _ZN7rocprim17ROCPRIM_400000_NS6detail17trampoline_kernelINS0_14default_configENS1_38merge_sort_block_merge_config_selectorIlNS0_10empty_typeEEEZZNS1_27merge_sort_block_merge_implIS3_PlPS5_mZN2at6native12_GLOBAL__N_124unique_dim_cuda_templateIN3c108BFloat16EEESt5tupleIJNSA_6TensorESH_SH_EERKSH_lbbbEUlllE_EE10hipError_tT0_T1_T2_jT3_P12ihipStream_tbPNSt15iterator_traitsISN_E10value_typeEPNST_ISO_E10value_typeEPSP_NS1_7vsmem_tEENKUlT_SN_SO_SP_E_clIS8_S8_S9_S9_EESM_S12_SN_SO_SP_EUlS12_E1_NS1_11comp_targetILNS1_3genE2ELNS1_11target_archE906ELNS1_3gpuE6ELNS1_3repE0EEENS1_36merge_oddeven_config_static_selectorELNS0_4arch9wavefront6targetE0EEEvSO_
	.p2align	8
	.type	_ZN7rocprim17ROCPRIM_400000_NS6detail17trampoline_kernelINS0_14default_configENS1_38merge_sort_block_merge_config_selectorIlNS0_10empty_typeEEEZZNS1_27merge_sort_block_merge_implIS3_PlPS5_mZN2at6native12_GLOBAL__N_124unique_dim_cuda_templateIN3c108BFloat16EEESt5tupleIJNSA_6TensorESH_SH_EERKSH_lbbbEUlllE_EE10hipError_tT0_T1_T2_jT3_P12ihipStream_tbPNSt15iterator_traitsISN_E10value_typeEPNST_ISO_E10value_typeEPSP_NS1_7vsmem_tEENKUlT_SN_SO_SP_E_clIS8_S8_S9_S9_EESM_S12_SN_SO_SP_EUlS12_E1_NS1_11comp_targetILNS1_3genE2ELNS1_11target_archE906ELNS1_3gpuE6ELNS1_3repE0EEENS1_36merge_oddeven_config_static_selectorELNS0_4arch9wavefront6targetE0EEEvSO_,@function
_ZN7rocprim17ROCPRIM_400000_NS6detail17trampoline_kernelINS0_14default_configENS1_38merge_sort_block_merge_config_selectorIlNS0_10empty_typeEEEZZNS1_27merge_sort_block_merge_implIS3_PlPS5_mZN2at6native12_GLOBAL__N_124unique_dim_cuda_templateIN3c108BFloat16EEESt5tupleIJNSA_6TensorESH_SH_EERKSH_lbbbEUlllE_EE10hipError_tT0_T1_T2_jT3_P12ihipStream_tbPNSt15iterator_traitsISN_E10value_typeEPNST_ISO_E10value_typeEPSP_NS1_7vsmem_tEENKUlT_SN_SO_SP_E_clIS8_S8_S9_S9_EESM_S12_SN_SO_SP_EUlS12_E1_NS1_11comp_targetILNS1_3genE2ELNS1_11target_archE906ELNS1_3gpuE6ELNS1_3repE0EEENS1_36merge_oddeven_config_static_selectorELNS0_4arch9wavefront6targetE0EEEvSO_: ; @_ZN7rocprim17ROCPRIM_400000_NS6detail17trampoline_kernelINS0_14default_configENS1_38merge_sort_block_merge_config_selectorIlNS0_10empty_typeEEEZZNS1_27merge_sort_block_merge_implIS3_PlPS5_mZN2at6native12_GLOBAL__N_124unique_dim_cuda_templateIN3c108BFloat16EEESt5tupleIJNSA_6TensorESH_SH_EERKSH_lbbbEUlllE_EE10hipError_tT0_T1_T2_jT3_P12ihipStream_tbPNSt15iterator_traitsISN_E10value_typeEPNST_ISO_E10value_typeEPSP_NS1_7vsmem_tEENKUlT_SN_SO_SP_E_clIS8_S8_S9_S9_EESM_S12_SN_SO_SP_EUlS12_E1_NS1_11comp_targetILNS1_3genE2ELNS1_11target_archE906ELNS1_3gpuE6ELNS1_3repE0EEENS1_36merge_oddeven_config_static_selectorELNS0_4arch9wavefront6targetE0EEEvSO_
; %bb.0:
	.section	.rodata,"a",@progbits
	.p2align	6, 0x0
	.amdhsa_kernel _ZN7rocprim17ROCPRIM_400000_NS6detail17trampoline_kernelINS0_14default_configENS1_38merge_sort_block_merge_config_selectorIlNS0_10empty_typeEEEZZNS1_27merge_sort_block_merge_implIS3_PlPS5_mZN2at6native12_GLOBAL__N_124unique_dim_cuda_templateIN3c108BFloat16EEESt5tupleIJNSA_6TensorESH_SH_EERKSH_lbbbEUlllE_EE10hipError_tT0_T1_T2_jT3_P12ihipStream_tbPNSt15iterator_traitsISN_E10value_typeEPNST_ISO_E10value_typeEPSP_NS1_7vsmem_tEENKUlT_SN_SO_SP_E_clIS8_S8_S9_S9_EESM_S12_SN_SO_SP_EUlS12_E1_NS1_11comp_targetILNS1_3genE2ELNS1_11target_archE906ELNS1_3gpuE6ELNS1_3repE0EEENS1_36merge_oddeven_config_static_selectorELNS0_4arch9wavefront6targetE0EEEvSO_
		.amdhsa_group_segment_fixed_size 0
		.amdhsa_private_segment_fixed_size 0
		.amdhsa_kernarg_size 64
		.amdhsa_user_sgpr_count 2
		.amdhsa_user_sgpr_dispatch_ptr 0
		.amdhsa_user_sgpr_queue_ptr 0
		.amdhsa_user_sgpr_kernarg_segment_ptr 1
		.amdhsa_user_sgpr_dispatch_id 0
		.amdhsa_user_sgpr_kernarg_preload_length 0
		.amdhsa_user_sgpr_kernarg_preload_offset 0
		.amdhsa_user_sgpr_private_segment_size 0
		.amdhsa_wavefront_size32 1
		.amdhsa_uses_dynamic_stack 0
		.amdhsa_enable_private_segment 0
		.amdhsa_system_sgpr_workgroup_id_x 1
		.amdhsa_system_sgpr_workgroup_id_y 0
		.amdhsa_system_sgpr_workgroup_id_z 0
		.amdhsa_system_sgpr_workgroup_info 0
		.amdhsa_system_vgpr_workitem_id 0
		.amdhsa_next_free_vgpr 1
		.amdhsa_next_free_sgpr 1
		.amdhsa_named_barrier_count 0
		.amdhsa_reserve_vcc 0
		.amdhsa_float_round_mode_32 0
		.amdhsa_float_round_mode_16_64 0
		.amdhsa_float_denorm_mode_32 3
		.amdhsa_float_denorm_mode_16_64 3
		.amdhsa_fp16_overflow 0
		.amdhsa_memory_ordered 1
		.amdhsa_forward_progress 1
		.amdhsa_inst_pref_size 0
		.amdhsa_round_robin_scheduling 0
		.amdhsa_exception_fp_ieee_invalid_op 0
		.amdhsa_exception_fp_denorm_src 0
		.amdhsa_exception_fp_ieee_div_zero 0
		.amdhsa_exception_fp_ieee_overflow 0
		.amdhsa_exception_fp_ieee_underflow 0
		.amdhsa_exception_fp_ieee_inexact 0
		.amdhsa_exception_int_div_zero 0
	.end_amdhsa_kernel
	.section	.text._ZN7rocprim17ROCPRIM_400000_NS6detail17trampoline_kernelINS0_14default_configENS1_38merge_sort_block_merge_config_selectorIlNS0_10empty_typeEEEZZNS1_27merge_sort_block_merge_implIS3_PlPS5_mZN2at6native12_GLOBAL__N_124unique_dim_cuda_templateIN3c108BFloat16EEESt5tupleIJNSA_6TensorESH_SH_EERKSH_lbbbEUlllE_EE10hipError_tT0_T1_T2_jT3_P12ihipStream_tbPNSt15iterator_traitsISN_E10value_typeEPNST_ISO_E10value_typeEPSP_NS1_7vsmem_tEENKUlT_SN_SO_SP_E_clIS8_S8_S9_S9_EESM_S12_SN_SO_SP_EUlS12_E1_NS1_11comp_targetILNS1_3genE2ELNS1_11target_archE906ELNS1_3gpuE6ELNS1_3repE0EEENS1_36merge_oddeven_config_static_selectorELNS0_4arch9wavefront6targetE0EEEvSO_,"axG",@progbits,_ZN7rocprim17ROCPRIM_400000_NS6detail17trampoline_kernelINS0_14default_configENS1_38merge_sort_block_merge_config_selectorIlNS0_10empty_typeEEEZZNS1_27merge_sort_block_merge_implIS3_PlPS5_mZN2at6native12_GLOBAL__N_124unique_dim_cuda_templateIN3c108BFloat16EEESt5tupleIJNSA_6TensorESH_SH_EERKSH_lbbbEUlllE_EE10hipError_tT0_T1_T2_jT3_P12ihipStream_tbPNSt15iterator_traitsISN_E10value_typeEPNST_ISO_E10value_typeEPSP_NS1_7vsmem_tEENKUlT_SN_SO_SP_E_clIS8_S8_S9_S9_EESM_S12_SN_SO_SP_EUlS12_E1_NS1_11comp_targetILNS1_3genE2ELNS1_11target_archE906ELNS1_3gpuE6ELNS1_3repE0EEENS1_36merge_oddeven_config_static_selectorELNS0_4arch9wavefront6targetE0EEEvSO_,comdat
.Lfunc_end1146:
	.size	_ZN7rocprim17ROCPRIM_400000_NS6detail17trampoline_kernelINS0_14default_configENS1_38merge_sort_block_merge_config_selectorIlNS0_10empty_typeEEEZZNS1_27merge_sort_block_merge_implIS3_PlPS5_mZN2at6native12_GLOBAL__N_124unique_dim_cuda_templateIN3c108BFloat16EEESt5tupleIJNSA_6TensorESH_SH_EERKSH_lbbbEUlllE_EE10hipError_tT0_T1_T2_jT3_P12ihipStream_tbPNSt15iterator_traitsISN_E10value_typeEPNST_ISO_E10value_typeEPSP_NS1_7vsmem_tEENKUlT_SN_SO_SP_E_clIS8_S8_S9_S9_EESM_S12_SN_SO_SP_EUlS12_E1_NS1_11comp_targetILNS1_3genE2ELNS1_11target_archE906ELNS1_3gpuE6ELNS1_3repE0EEENS1_36merge_oddeven_config_static_selectorELNS0_4arch9wavefront6targetE0EEEvSO_, .Lfunc_end1146-_ZN7rocprim17ROCPRIM_400000_NS6detail17trampoline_kernelINS0_14default_configENS1_38merge_sort_block_merge_config_selectorIlNS0_10empty_typeEEEZZNS1_27merge_sort_block_merge_implIS3_PlPS5_mZN2at6native12_GLOBAL__N_124unique_dim_cuda_templateIN3c108BFloat16EEESt5tupleIJNSA_6TensorESH_SH_EERKSH_lbbbEUlllE_EE10hipError_tT0_T1_T2_jT3_P12ihipStream_tbPNSt15iterator_traitsISN_E10value_typeEPNST_ISO_E10value_typeEPSP_NS1_7vsmem_tEENKUlT_SN_SO_SP_E_clIS8_S8_S9_S9_EESM_S12_SN_SO_SP_EUlS12_E1_NS1_11comp_targetILNS1_3genE2ELNS1_11target_archE906ELNS1_3gpuE6ELNS1_3repE0EEENS1_36merge_oddeven_config_static_selectorELNS0_4arch9wavefront6targetE0EEEvSO_
                                        ; -- End function
	.set _ZN7rocprim17ROCPRIM_400000_NS6detail17trampoline_kernelINS0_14default_configENS1_38merge_sort_block_merge_config_selectorIlNS0_10empty_typeEEEZZNS1_27merge_sort_block_merge_implIS3_PlPS5_mZN2at6native12_GLOBAL__N_124unique_dim_cuda_templateIN3c108BFloat16EEESt5tupleIJNSA_6TensorESH_SH_EERKSH_lbbbEUlllE_EE10hipError_tT0_T1_T2_jT3_P12ihipStream_tbPNSt15iterator_traitsISN_E10value_typeEPNST_ISO_E10value_typeEPSP_NS1_7vsmem_tEENKUlT_SN_SO_SP_E_clIS8_S8_S9_S9_EESM_S12_SN_SO_SP_EUlS12_E1_NS1_11comp_targetILNS1_3genE2ELNS1_11target_archE906ELNS1_3gpuE6ELNS1_3repE0EEENS1_36merge_oddeven_config_static_selectorELNS0_4arch9wavefront6targetE0EEEvSO_.num_vgpr, 0
	.set _ZN7rocprim17ROCPRIM_400000_NS6detail17trampoline_kernelINS0_14default_configENS1_38merge_sort_block_merge_config_selectorIlNS0_10empty_typeEEEZZNS1_27merge_sort_block_merge_implIS3_PlPS5_mZN2at6native12_GLOBAL__N_124unique_dim_cuda_templateIN3c108BFloat16EEESt5tupleIJNSA_6TensorESH_SH_EERKSH_lbbbEUlllE_EE10hipError_tT0_T1_T2_jT3_P12ihipStream_tbPNSt15iterator_traitsISN_E10value_typeEPNST_ISO_E10value_typeEPSP_NS1_7vsmem_tEENKUlT_SN_SO_SP_E_clIS8_S8_S9_S9_EESM_S12_SN_SO_SP_EUlS12_E1_NS1_11comp_targetILNS1_3genE2ELNS1_11target_archE906ELNS1_3gpuE6ELNS1_3repE0EEENS1_36merge_oddeven_config_static_selectorELNS0_4arch9wavefront6targetE0EEEvSO_.num_agpr, 0
	.set _ZN7rocprim17ROCPRIM_400000_NS6detail17trampoline_kernelINS0_14default_configENS1_38merge_sort_block_merge_config_selectorIlNS0_10empty_typeEEEZZNS1_27merge_sort_block_merge_implIS3_PlPS5_mZN2at6native12_GLOBAL__N_124unique_dim_cuda_templateIN3c108BFloat16EEESt5tupleIJNSA_6TensorESH_SH_EERKSH_lbbbEUlllE_EE10hipError_tT0_T1_T2_jT3_P12ihipStream_tbPNSt15iterator_traitsISN_E10value_typeEPNST_ISO_E10value_typeEPSP_NS1_7vsmem_tEENKUlT_SN_SO_SP_E_clIS8_S8_S9_S9_EESM_S12_SN_SO_SP_EUlS12_E1_NS1_11comp_targetILNS1_3genE2ELNS1_11target_archE906ELNS1_3gpuE6ELNS1_3repE0EEENS1_36merge_oddeven_config_static_selectorELNS0_4arch9wavefront6targetE0EEEvSO_.numbered_sgpr, 0
	.set _ZN7rocprim17ROCPRIM_400000_NS6detail17trampoline_kernelINS0_14default_configENS1_38merge_sort_block_merge_config_selectorIlNS0_10empty_typeEEEZZNS1_27merge_sort_block_merge_implIS3_PlPS5_mZN2at6native12_GLOBAL__N_124unique_dim_cuda_templateIN3c108BFloat16EEESt5tupleIJNSA_6TensorESH_SH_EERKSH_lbbbEUlllE_EE10hipError_tT0_T1_T2_jT3_P12ihipStream_tbPNSt15iterator_traitsISN_E10value_typeEPNST_ISO_E10value_typeEPSP_NS1_7vsmem_tEENKUlT_SN_SO_SP_E_clIS8_S8_S9_S9_EESM_S12_SN_SO_SP_EUlS12_E1_NS1_11comp_targetILNS1_3genE2ELNS1_11target_archE906ELNS1_3gpuE6ELNS1_3repE0EEENS1_36merge_oddeven_config_static_selectorELNS0_4arch9wavefront6targetE0EEEvSO_.num_named_barrier, 0
	.set _ZN7rocprim17ROCPRIM_400000_NS6detail17trampoline_kernelINS0_14default_configENS1_38merge_sort_block_merge_config_selectorIlNS0_10empty_typeEEEZZNS1_27merge_sort_block_merge_implIS3_PlPS5_mZN2at6native12_GLOBAL__N_124unique_dim_cuda_templateIN3c108BFloat16EEESt5tupleIJNSA_6TensorESH_SH_EERKSH_lbbbEUlllE_EE10hipError_tT0_T1_T2_jT3_P12ihipStream_tbPNSt15iterator_traitsISN_E10value_typeEPNST_ISO_E10value_typeEPSP_NS1_7vsmem_tEENKUlT_SN_SO_SP_E_clIS8_S8_S9_S9_EESM_S12_SN_SO_SP_EUlS12_E1_NS1_11comp_targetILNS1_3genE2ELNS1_11target_archE906ELNS1_3gpuE6ELNS1_3repE0EEENS1_36merge_oddeven_config_static_selectorELNS0_4arch9wavefront6targetE0EEEvSO_.private_seg_size, 0
	.set _ZN7rocprim17ROCPRIM_400000_NS6detail17trampoline_kernelINS0_14default_configENS1_38merge_sort_block_merge_config_selectorIlNS0_10empty_typeEEEZZNS1_27merge_sort_block_merge_implIS3_PlPS5_mZN2at6native12_GLOBAL__N_124unique_dim_cuda_templateIN3c108BFloat16EEESt5tupleIJNSA_6TensorESH_SH_EERKSH_lbbbEUlllE_EE10hipError_tT0_T1_T2_jT3_P12ihipStream_tbPNSt15iterator_traitsISN_E10value_typeEPNST_ISO_E10value_typeEPSP_NS1_7vsmem_tEENKUlT_SN_SO_SP_E_clIS8_S8_S9_S9_EESM_S12_SN_SO_SP_EUlS12_E1_NS1_11comp_targetILNS1_3genE2ELNS1_11target_archE906ELNS1_3gpuE6ELNS1_3repE0EEENS1_36merge_oddeven_config_static_selectorELNS0_4arch9wavefront6targetE0EEEvSO_.uses_vcc, 0
	.set _ZN7rocprim17ROCPRIM_400000_NS6detail17trampoline_kernelINS0_14default_configENS1_38merge_sort_block_merge_config_selectorIlNS0_10empty_typeEEEZZNS1_27merge_sort_block_merge_implIS3_PlPS5_mZN2at6native12_GLOBAL__N_124unique_dim_cuda_templateIN3c108BFloat16EEESt5tupleIJNSA_6TensorESH_SH_EERKSH_lbbbEUlllE_EE10hipError_tT0_T1_T2_jT3_P12ihipStream_tbPNSt15iterator_traitsISN_E10value_typeEPNST_ISO_E10value_typeEPSP_NS1_7vsmem_tEENKUlT_SN_SO_SP_E_clIS8_S8_S9_S9_EESM_S12_SN_SO_SP_EUlS12_E1_NS1_11comp_targetILNS1_3genE2ELNS1_11target_archE906ELNS1_3gpuE6ELNS1_3repE0EEENS1_36merge_oddeven_config_static_selectorELNS0_4arch9wavefront6targetE0EEEvSO_.uses_flat_scratch, 0
	.set _ZN7rocprim17ROCPRIM_400000_NS6detail17trampoline_kernelINS0_14default_configENS1_38merge_sort_block_merge_config_selectorIlNS0_10empty_typeEEEZZNS1_27merge_sort_block_merge_implIS3_PlPS5_mZN2at6native12_GLOBAL__N_124unique_dim_cuda_templateIN3c108BFloat16EEESt5tupleIJNSA_6TensorESH_SH_EERKSH_lbbbEUlllE_EE10hipError_tT0_T1_T2_jT3_P12ihipStream_tbPNSt15iterator_traitsISN_E10value_typeEPNST_ISO_E10value_typeEPSP_NS1_7vsmem_tEENKUlT_SN_SO_SP_E_clIS8_S8_S9_S9_EESM_S12_SN_SO_SP_EUlS12_E1_NS1_11comp_targetILNS1_3genE2ELNS1_11target_archE906ELNS1_3gpuE6ELNS1_3repE0EEENS1_36merge_oddeven_config_static_selectorELNS0_4arch9wavefront6targetE0EEEvSO_.has_dyn_sized_stack, 0
	.set _ZN7rocprim17ROCPRIM_400000_NS6detail17trampoline_kernelINS0_14default_configENS1_38merge_sort_block_merge_config_selectorIlNS0_10empty_typeEEEZZNS1_27merge_sort_block_merge_implIS3_PlPS5_mZN2at6native12_GLOBAL__N_124unique_dim_cuda_templateIN3c108BFloat16EEESt5tupleIJNSA_6TensorESH_SH_EERKSH_lbbbEUlllE_EE10hipError_tT0_T1_T2_jT3_P12ihipStream_tbPNSt15iterator_traitsISN_E10value_typeEPNST_ISO_E10value_typeEPSP_NS1_7vsmem_tEENKUlT_SN_SO_SP_E_clIS8_S8_S9_S9_EESM_S12_SN_SO_SP_EUlS12_E1_NS1_11comp_targetILNS1_3genE2ELNS1_11target_archE906ELNS1_3gpuE6ELNS1_3repE0EEENS1_36merge_oddeven_config_static_selectorELNS0_4arch9wavefront6targetE0EEEvSO_.has_recursion, 0
	.set _ZN7rocprim17ROCPRIM_400000_NS6detail17trampoline_kernelINS0_14default_configENS1_38merge_sort_block_merge_config_selectorIlNS0_10empty_typeEEEZZNS1_27merge_sort_block_merge_implIS3_PlPS5_mZN2at6native12_GLOBAL__N_124unique_dim_cuda_templateIN3c108BFloat16EEESt5tupleIJNSA_6TensorESH_SH_EERKSH_lbbbEUlllE_EE10hipError_tT0_T1_T2_jT3_P12ihipStream_tbPNSt15iterator_traitsISN_E10value_typeEPNST_ISO_E10value_typeEPSP_NS1_7vsmem_tEENKUlT_SN_SO_SP_E_clIS8_S8_S9_S9_EESM_S12_SN_SO_SP_EUlS12_E1_NS1_11comp_targetILNS1_3genE2ELNS1_11target_archE906ELNS1_3gpuE6ELNS1_3repE0EEENS1_36merge_oddeven_config_static_selectorELNS0_4arch9wavefront6targetE0EEEvSO_.has_indirect_call, 0
	.section	.AMDGPU.csdata,"",@progbits
; Kernel info:
; codeLenInByte = 0
; TotalNumSgprs: 0
; NumVgprs: 0
; ScratchSize: 0
; MemoryBound: 0
; FloatMode: 240
; IeeeMode: 1
; LDSByteSize: 0 bytes/workgroup (compile time only)
; SGPRBlocks: 0
; VGPRBlocks: 0
; NumSGPRsForWavesPerEU: 1
; NumVGPRsForWavesPerEU: 1
; NamedBarCnt: 0
; Occupancy: 16
; WaveLimiterHint : 0
; COMPUTE_PGM_RSRC2:SCRATCH_EN: 0
; COMPUTE_PGM_RSRC2:USER_SGPR: 2
; COMPUTE_PGM_RSRC2:TRAP_HANDLER: 0
; COMPUTE_PGM_RSRC2:TGID_X_EN: 1
; COMPUTE_PGM_RSRC2:TGID_Y_EN: 0
; COMPUTE_PGM_RSRC2:TGID_Z_EN: 0
; COMPUTE_PGM_RSRC2:TIDIG_COMP_CNT: 0
	.section	.text._ZN7rocprim17ROCPRIM_400000_NS6detail17trampoline_kernelINS0_14default_configENS1_38merge_sort_block_merge_config_selectorIlNS0_10empty_typeEEEZZNS1_27merge_sort_block_merge_implIS3_PlPS5_mZN2at6native12_GLOBAL__N_124unique_dim_cuda_templateIN3c108BFloat16EEESt5tupleIJNSA_6TensorESH_SH_EERKSH_lbbbEUlllE_EE10hipError_tT0_T1_T2_jT3_P12ihipStream_tbPNSt15iterator_traitsISN_E10value_typeEPNST_ISO_E10value_typeEPSP_NS1_7vsmem_tEENKUlT_SN_SO_SP_E_clIS8_S8_S9_S9_EESM_S12_SN_SO_SP_EUlS12_E1_NS1_11comp_targetILNS1_3genE9ELNS1_11target_archE1100ELNS1_3gpuE3ELNS1_3repE0EEENS1_36merge_oddeven_config_static_selectorELNS0_4arch9wavefront6targetE0EEEvSO_,"axG",@progbits,_ZN7rocprim17ROCPRIM_400000_NS6detail17trampoline_kernelINS0_14default_configENS1_38merge_sort_block_merge_config_selectorIlNS0_10empty_typeEEEZZNS1_27merge_sort_block_merge_implIS3_PlPS5_mZN2at6native12_GLOBAL__N_124unique_dim_cuda_templateIN3c108BFloat16EEESt5tupleIJNSA_6TensorESH_SH_EERKSH_lbbbEUlllE_EE10hipError_tT0_T1_T2_jT3_P12ihipStream_tbPNSt15iterator_traitsISN_E10value_typeEPNST_ISO_E10value_typeEPSP_NS1_7vsmem_tEENKUlT_SN_SO_SP_E_clIS8_S8_S9_S9_EESM_S12_SN_SO_SP_EUlS12_E1_NS1_11comp_targetILNS1_3genE9ELNS1_11target_archE1100ELNS1_3gpuE3ELNS1_3repE0EEENS1_36merge_oddeven_config_static_selectorELNS0_4arch9wavefront6targetE0EEEvSO_,comdat
	.globl	_ZN7rocprim17ROCPRIM_400000_NS6detail17trampoline_kernelINS0_14default_configENS1_38merge_sort_block_merge_config_selectorIlNS0_10empty_typeEEEZZNS1_27merge_sort_block_merge_implIS3_PlPS5_mZN2at6native12_GLOBAL__N_124unique_dim_cuda_templateIN3c108BFloat16EEESt5tupleIJNSA_6TensorESH_SH_EERKSH_lbbbEUlllE_EE10hipError_tT0_T1_T2_jT3_P12ihipStream_tbPNSt15iterator_traitsISN_E10value_typeEPNST_ISO_E10value_typeEPSP_NS1_7vsmem_tEENKUlT_SN_SO_SP_E_clIS8_S8_S9_S9_EESM_S12_SN_SO_SP_EUlS12_E1_NS1_11comp_targetILNS1_3genE9ELNS1_11target_archE1100ELNS1_3gpuE3ELNS1_3repE0EEENS1_36merge_oddeven_config_static_selectorELNS0_4arch9wavefront6targetE0EEEvSO_ ; -- Begin function _ZN7rocprim17ROCPRIM_400000_NS6detail17trampoline_kernelINS0_14default_configENS1_38merge_sort_block_merge_config_selectorIlNS0_10empty_typeEEEZZNS1_27merge_sort_block_merge_implIS3_PlPS5_mZN2at6native12_GLOBAL__N_124unique_dim_cuda_templateIN3c108BFloat16EEESt5tupleIJNSA_6TensorESH_SH_EERKSH_lbbbEUlllE_EE10hipError_tT0_T1_T2_jT3_P12ihipStream_tbPNSt15iterator_traitsISN_E10value_typeEPNST_ISO_E10value_typeEPSP_NS1_7vsmem_tEENKUlT_SN_SO_SP_E_clIS8_S8_S9_S9_EESM_S12_SN_SO_SP_EUlS12_E1_NS1_11comp_targetILNS1_3genE9ELNS1_11target_archE1100ELNS1_3gpuE3ELNS1_3repE0EEENS1_36merge_oddeven_config_static_selectorELNS0_4arch9wavefront6targetE0EEEvSO_
	.p2align	8
	.type	_ZN7rocprim17ROCPRIM_400000_NS6detail17trampoline_kernelINS0_14default_configENS1_38merge_sort_block_merge_config_selectorIlNS0_10empty_typeEEEZZNS1_27merge_sort_block_merge_implIS3_PlPS5_mZN2at6native12_GLOBAL__N_124unique_dim_cuda_templateIN3c108BFloat16EEESt5tupleIJNSA_6TensorESH_SH_EERKSH_lbbbEUlllE_EE10hipError_tT0_T1_T2_jT3_P12ihipStream_tbPNSt15iterator_traitsISN_E10value_typeEPNST_ISO_E10value_typeEPSP_NS1_7vsmem_tEENKUlT_SN_SO_SP_E_clIS8_S8_S9_S9_EESM_S12_SN_SO_SP_EUlS12_E1_NS1_11comp_targetILNS1_3genE9ELNS1_11target_archE1100ELNS1_3gpuE3ELNS1_3repE0EEENS1_36merge_oddeven_config_static_selectorELNS0_4arch9wavefront6targetE0EEEvSO_,@function
_ZN7rocprim17ROCPRIM_400000_NS6detail17trampoline_kernelINS0_14default_configENS1_38merge_sort_block_merge_config_selectorIlNS0_10empty_typeEEEZZNS1_27merge_sort_block_merge_implIS3_PlPS5_mZN2at6native12_GLOBAL__N_124unique_dim_cuda_templateIN3c108BFloat16EEESt5tupleIJNSA_6TensorESH_SH_EERKSH_lbbbEUlllE_EE10hipError_tT0_T1_T2_jT3_P12ihipStream_tbPNSt15iterator_traitsISN_E10value_typeEPNST_ISO_E10value_typeEPSP_NS1_7vsmem_tEENKUlT_SN_SO_SP_E_clIS8_S8_S9_S9_EESM_S12_SN_SO_SP_EUlS12_E1_NS1_11comp_targetILNS1_3genE9ELNS1_11target_archE1100ELNS1_3gpuE3ELNS1_3repE0EEENS1_36merge_oddeven_config_static_selectorELNS0_4arch9wavefront6targetE0EEEvSO_: ; @_ZN7rocprim17ROCPRIM_400000_NS6detail17trampoline_kernelINS0_14default_configENS1_38merge_sort_block_merge_config_selectorIlNS0_10empty_typeEEEZZNS1_27merge_sort_block_merge_implIS3_PlPS5_mZN2at6native12_GLOBAL__N_124unique_dim_cuda_templateIN3c108BFloat16EEESt5tupleIJNSA_6TensorESH_SH_EERKSH_lbbbEUlllE_EE10hipError_tT0_T1_T2_jT3_P12ihipStream_tbPNSt15iterator_traitsISN_E10value_typeEPNST_ISO_E10value_typeEPSP_NS1_7vsmem_tEENKUlT_SN_SO_SP_E_clIS8_S8_S9_S9_EESM_S12_SN_SO_SP_EUlS12_E1_NS1_11comp_targetILNS1_3genE9ELNS1_11target_archE1100ELNS1_3gpuE3ELNS1_3repE0EEENS1_36merge_oddeven_config_static_selectorELNS0_4arch9wavefront6targetE0EEEvSO_
; %bb.0:
	.section	.rodata,"a",@progbits
	.p2align	6, 0x0
	.amdhsa_kernel _ZN7rocprim17ROCPRIM_400000_NS6detail17trampoline_kernelINS0_14default_configENS1_38merge_sort_block_merge_config_selectorIlNS0_10empty_typeEEEZZNS1_27merge_sort_block_merge_implIS3_PlPS5_mZN2at6native12_GLOBAL__N_124unique_dim_cuda_templateIN3c108BFloat16EEESt5tupleIJNSA_6TensorESH_SH_EERKSH_lbbbEUlllE_EE10hipError_tT0_T1_T2_jT3_P12ihipStream_tbPNSt15iterator_traitsISN_E10value_typeEPNST_ISO_E10value_typeEPSP_NS1_7vsmem_tEENKUlT_SN_SO_SP_E_clIS8_S8_S9_S9_EESM_S12_SN_SO_SP_EUlS12_E1_NS1_11comp_targetILNS1_3genE9ELNS1_11target_archE1100ELNS1_3gpuE3ELNS1_3repE0EEENS1_36merge_oddeven_config_static_selectorELNS0_4arch9wavefront6targetE0EEEvSO_
		.amdhsa_group_segment_fixed_size 0
		.amdhsa_private_segment_fixed_size 0
		.amdhsa_kernarg_size 64
		.amdhsa_user_sgpr_count 2
		.amdhsa_user_sgpr_dispatch_ptr 0
		.amdhsa_user_sgpr_queue_ptr 0
		.amdhsa_user_sgpr_kernarg_segment_ptr 1
		.amdhsa_user_sgpr_dispatch_id 0
		.amdhsa_user_sgpr_kernarg_preload_length 0
		.amdhsa_user_sgpr_kernarg_preload_offset 0
		.amdhsa_user_sgpr_private_segment_size 0
		.amdhsa_wavefront_size32 1
		.amdhsa_uses_dynamic_stack 0
		.amdhsa_enable_private_segment 0
		.amdhsa_system_sgpr_workgroup_id_x 1
		.amdhsa_system_sgpr_workgroup_id_y 0
		.amdhsa_system_sgpr_workgroup_id_z 0
		.amdhsa_system_sgpr_workgroup_info 0
		.amdhsa_system_vgpr_workitem_id 0
		.amdhsa_next_free_vgpr 1
		.amdhsa_next_free_sgpr 1
		.amdhsa_named_barrier_count 0
		.amdhsa_reserve_vcc 0
		.amdhsa_float_round_mode_32 0
		.amdhsa_float_round_mode_16_64 0
		.amdhsa_float_denorm_mode_32 3
		.amdhsa_float_denorm_mode_16_64 3
		.amdhsa_fp16_overflow 0
		.amdhsa_memory_ordered 1
		.amdhsa_forward_progress 1
		.amdhsa_inst_pref_size 0
		.amdhsa_round_robin_scheduling 0
		.amdhsa_exception_fp_ieee_invalid_op 0
		.amdhsa_exception_fp_denorm_src 0
		.amdhsa_exception_fp_ieee_div_zero 0
		.amdhsa_exception_fp_ieee_overflow 0
		.amdhsa_exception_fp_ieee_underflow 0
		.amdhsa_exception_fp_ieee_inexact 0
		.amdhsa_exception_int_div_zero 0
	.end_amdhsa_kernel
	.section	.text._ZN7rocprim17ROCPRIM_400000_NS6detail17trampoline_kernelINS0_14default_configENS1_38merge_sort_block_merge_config_selectorIlNS0_10empty_typeEEEZZNS1_27merge_sort_block_merge_implIS3_PlPS5_mZN2at6native12_GLOBAL__N_124unique_dim_cuda_templateIN3c108BFloat16EEESt5tupleIJNSA_6TensorESH_SH_EERKSH_lbbbEUlllE_EE10hipError_tT0_T1_T2_jT3_P12ihipStream_tbPNSt15iterator_traitsISN_E10value_typeEPNST_ISO_E10value_typeEPSP_NS1_7vsmem_tEENKUlT_SN_SO_SP_E_clIS8_S8_S9_S9_EESM_S12_SN_SO_SP_EUlS12_E1_NS1_11comp_targetILNS1_3genE9ELNS1_11target_archE1100ELNS1_3gpuE3ELNS1_3repE0EEENS1_36merge_oddeven_config_static_selectorELNS0_4arch9wavefront6targetE0EEEvSO_,"axG",@progbits,_ZN7rocprim17ROCPRIM_400000_NS6detail17trampoline_kernelINS0_14default_configENS1_38merge_sort_block_merge_config_selectorIlNS0_10empty_typeEEEZZNS1_27merge_sort_block_merge_implIS3_PlPS5_mZN2at6native12_GLOBAL__N_124unique_dim_cuda_templateIN3c108BFloat16EEESt5tupleIJNSA_6TensorESH_SH_EERKSH_lbbbEUlllE_EE10hipError_tT0_T1_T2_jT3_P12ihipStream_tbPNSt15iterator_traitsISN_E10value_typeEPNST_ISO_E10value_typeEPSP_NS1_7vsmem_tEENKUlT_SN_SO_SP_E_clIS8_S8_S9_S9_EESM_S12_SN_SO_SP_EUlS12_E1_NS1_11comp_targetILNS1_3genE9ELNS1_11target_archE1100ELNS1_3gpuE3ELNS1_3repE0EEENS1_36merge_oddeven_config_static_selectorELNS0_4arch9wavefront6targetE0EEEvSO_,comdat
.Lfunc_end1147:
	.size	_ZN7rocprim17ROCPRIM_400000_NS6detail17trampoline_kernelINS0_14default_configENS1_38merge_sort_block_merge_config_selectorIlNS0_10empty_typeEEEZZNS1_27merge_sort_block_merge_implIS3_PlPS5_mZN2at6native12_GLOBAL__N_124unique_dim_cuda_templateIN3c108BFloat16EEESt5tupleIJNSA_6TensorESH_SH_EERKSH_lbbbEUlllE_EE10hipError_tT0_T1_T2_jT3_P12ihipStream_tbPNSt15iterator_traitsISN_E10value_typeEPNST_ISO_E10value_typeEPSP_NS1_7vsmem_tEENKUlT_SN_SO_SP_E_clIS8_S8_S9_S9_EESM_S12_SN_SO_SP_EUlS12_E1_NS1_11comp_targetILNS1_3genE9ELNS1_11target_archE1100ELNS1_3gpuE3ELNS1_3repE0EEENS1_36merge_oddeven_config_static_selectorELNS0_4arch9wavefront6targetE0EEEvSO_, .Lfunc_end1147-_ZN7rocprim17ROCPRIM_400000_NS6detail17trampoline_kernelINS0_14default_configENS1_38merge_sort_block_merge_config_selectorIlNS0_10empty_typeEEEZZNS1_27merge_sort_block_merge_implIS3_PlPS5_mZN2at6native12_GLOBAL__N_124unique_dim_cuda_templateIN3c108BFloat16EEESt5tupleIJNSA_6TensorESH_SH_EERKSH_lbbbEUlllE_EE10hipError_tT0_T1_T2_jT3_P12ihipStream_tbPNSt15iterator_traitsISN_E10value_typeEPNST_ISO_E10value_typeEPSP_NS1_7vsmem_tEENKUlT_SN_SO_SP_E_clIS8_S8_S9_S9_EESM_S12_SN_SO_SP_EUlS12_E1_NS1_11comp_targetILNS1_3genE9ELNS1_11target_archE1100ELNS1_3gpuE3ELNS1_3repE0EEENS1_36merge_oddeven_config_static_selectorELNS0_4arch9wavefront6targetE0EEEvSO_
                                        ; -- End function
	.set _ZN7rocprim17ROCPRIM_400000_NS6detail17trampoline_kernelINS0_14default_configENS1_38merge_sort_block_merge_config_selectorIlNS0_10empty_typeEEEZZNS1_27merge_sort_block_merge_implIS3_PlPS5_mZN2at6native12_GLOBAL__N_124unique_dim_cuda_templateIN3c108BFloat16EEESt5tupleIJNSA_6TensorESH_SH_EERKSH_lbbbEUlllE_EE10hipError_tT0_T1_T2_jT3_P12ihipStream_tbPNSt15iterator_traitsISN_E10value_typeEPNST_ISO_E10value_typeEPSP_NS1_7vsmem_tEENKUlT_SN_SO_SP_E_clIS8_S8_S9_S9_EESM_S12_SN_SO_SP_EUlS12_E1_NS1_11comp_targetILNS1_3genE9ELNS1_11target_archE1100ELNS1_3gpuE3ELNS1_3repE0EEENS1_36merge_oddeven_config_static_selectorELNS0_4arch9wavefront6targetE0EEEvSO_.num_vgpr, 0
	.set _ZN7rocprim17ROCPRIM_400000_NS6detail17trampoline_kernelINS0_14default_configENS1_38merge_sort_block_merge_config_selectorIlNS0_10empty_typeEEEZZNS1_27merge_sort_block_merge_implIS3_PlPS5_mZN2at6native12_GLOBAL__N_124unique_dim_cuda_templateIN3c108BFloat16EEESt5tupleIJNSA_6TensorESH_SH_EERKSH_lbbbEUlllE_EE10hipError_tT0_T1_T2_jT3_P12ihipStream_tbPNSt15iterator_traitsISN_E10value_typeEPNST_ISO_E10value_typeEPSP_NS1_7vsmem_tEENKUlT_SN_SO_SP_E_clIS8_S8_S9_S9_EESM_S12_SN_SO_SP_EUlS12_E1_NS1_11comp_targetILNS1_3genE9ELNS1_11target_archE1100ELNS1_3gpuE3ELNS1_3repE0EEENS1_36merge_oddeven_config_static_selectorELNS0_4arch9wavefront6targetE0EEEvSO_.num_agpr, 0
	.set _ZN7rocprim17ROCPRIM_400000_NS6detail17trampoline_kernelINS0_14default_configENS1_38merge_sort_block_merge_config_selectorIlNS0_10empty_typeEEEZZNS1_27merge_sort_block_merge_implIS3_PlPS5_mZN2at6native12_GLOBAL__N_124unique_dim_cuda_templateIN3c108BFloat16EEESt5tupleIJNSA_6TensorESH_SH_EERKSH_lbbbEUlllE_EE10hipError_tT0_T1_T2_jT3_P12ihipStream_tbPNSt15iterator_traitsISN_E10value_typeEPNST_ISO_E10value_typeEPSP_NS1_7vsmem_tEENKUlT_SN_SO_SP_E_clIS8_S8_S9_S9_EESM_S12_SN_SO_SP_EUlS12_E1_NS1_11comp_targetILNS1_3genE9ELNS1_11target_archE1100ELNS1_3gpuE3ELNS1_3repE0EEENS1_36merge_oddeven_config_static_selectorELNS0_4arch9wavefront6targetE0EEEvSO_.numbered_sgpr, 0
	.set _ZN7rocprim17ROCPRIM_400000_NS6detail17trampoline_kernelINS0_14default_configENS1_38merge_sort_block_merge_config_selectorIlNS0_10empty_typeEEEZZNS1_27merge_sort_block_merge_implIS3_PlPS5_mZN2at6native12_GLOBAL__N_124unique_dim_cuda_templateIN3c108BFloat16EEESt5tupleIJNSA_6TensorESH_SH_EERKSH_lbbbEUlllE_EE10hipError_tT0_T1_T2_jT3_P12ihipStream_tbPNSt15iterator_traitsISN_E10value_typeEPNST_ISO_E10value_typeEPSP_NS1_7vsmem_tEENKUlT_SN_SO_SP_E_clIS8_S8_S9_S9_EESM_S12_SN_SO_SP_EUlS12_E1_NS1_11comp_targetILNS1_3genE9ELNS1_11target_archE1100ELNS1_3gpuE3ELNS1_3repE0EEENS1_36merge_oddeven_config_static_selectorELNS0_4arch9wavefront6targetE0EEEvSO_.num_named_barrier, 0
	.set _ZN7rocprim17ROCPRIM_400000_NS6detail17trampoline_kernelINS0_14default_configENS1_38merge_sort_block_merge_config_selectorIlNS0_10empty_typeEEEZZNS1_27merge_sort_block_merge_implIS3_PlPS5_mZN2at6native12_GLOBAL__N_124unique_dim_cuda_templateIN3c108BFloat16EEESt5tupleIJNSA_6TensorESH_SH_EERKSH_lbbbEUlllE_EE10hipError_tT0_T1_T2_jT3_P12ihipStream_tbPNSt15iterator_traitsISN_E10value_typeEPNST_ISO_E10value_typeEPSP_NS1_7vsmem_tEENKUlT_SN_SO_SP_E_clIS8_S8_S9_S9_EESM_S12_SN_SO_SP_EUlS12_E1_NS1_11comp_targetILNS1_3genE9ELNS1_11target_archE1100ELNS1_3gpuE3ELNS1_3repE0EEENS1_36merge_oddeven_config_static_selectorELNS0_4arch9wavefront6targetE0EEEvSO_.private_seg_size, 0
	.set _ZN7rocprim17ROCPRIM_400000_NS6detail17trampoline_kernelINS0_14default_configENS1_38merge_sort_block_merge_config_selectorIlNS0_10empty_typeEEEZZNS1_27merge_sort_block_merge_implIS3_PlPS5_mZN2at6native12_GLOBAL__N_124unique_dim_cuda_templateIN3c108BFloat16EEESt5tupleIJNSA_6TensorESH_SH_EERKSH_lbbbEUlllE_EE10hipError_tT0_T1_T2_jT3_P12ihipStream_tbPNSt15iterator_traitsISN_E10value_typeEPNST_ISO_E10value_typeEPSP_NS1_7vsmem_tEENKUlT_SN_SO_SP_E_clIS8_S8_S9_S9_EESM_S12_SN_SO_SP_EUlS12_E1_NS1_11comp_targetILNS1_3genE9ELNS1_11target_archE1100ELNS1_3gpuE3ELNS1_3repE0EEENS1_36merge_oddeven_config_static_selectorELNS0_4arch9wavefront6targetE0EEEvSO_.uses_vcc, 0
	.set _ZN7rocprim17ROCPRIM_400000_NS6detail17trampoline_kernelINS0_14default_configENS1_38merge_sort_block_merge_config_selectorIlNS0_10empty_typeEEEZZNS1_27merge_sort_block_merge_implIS3_PlPS5_mZN2at6native12_GLOBAL__N_124unique_dim_cuda_templateIN3c108BFloat16EEESt5tupleIJNSA_6TensorESH_SH_EERKSH_lbbbEUlllE_EE10hipError_tT0_T1_T2_jT3_P12ihipStream_tbPNSt15iterator_traitsISN_E10value_typeEPNST_ISO_E10value_typeEPSP_NS1_7vsmem_tEENKUlT_SN_SO_SP_E_clIS8_S8_S9_S9_EESM_S12_SN_SO_SP_EUlS12_E1_NS1_11comp_targetILNS1_3genE9ELNS1_11target_archE1100ELNS1_3gpuE3ELNS1_3repE0EEENS1_36merge_oddeven_config_static_selectorELNS0_4arch9wavefront6targetE0EEEvSO_.uses_flat_scratch, 0
	.set _ZN7rocprim17ROCPRIM_400000_NS6detail17trampoline_kernelINS0_14default_configENS1_38merge_sort_block_merge_config_selectorIlNS0_10empty_typeEEEZZNS1_27merge_sort_block_merge_implIS3_PlPS5_mZN2at6native12_GLOBAL__N_124unique_dim_cuda_templateIN3c108BFloat16EEESt5tupleIJNSA_6TensorESH_SH_EERKSH_lbbbEUlllE_EE10hipError_tT0_T1_T2_jT3_P12ihipStream_tbPNSt15iterator_traitsISN_E10value_typeEPNST_ISO_E10value_typeEPSP_NS1_7vsmem_tEENKUlT_SN_SO_SP_E_clIS8_S8_S9_S9_EESM_S12_SN_SO_SP_EUlS12_E1_NS1_11comp_targetILNS1_3genE9ELNS1_11target_archE1100ELNS1_3gpuE3ELNS1_3repE0EEENS1_36merge_oddeven_config_static_selectorELNS0_4arch9wavefront6targetE0EEEvSO_.has_dyn_sized_stack, 0
	.set _ZN7rocprim17ROCPRIM_400000_NS6detail17trampoline_kernelINS0_14default_configENS1_38merge_sort_block_merge_config_selectorIlNS0_10empty_typeEEEZZNS1_27merge_sort_block_merge_implIS3_PlPS5_mZN2at6native12_GLOBAL__N_124unique_dim_cuda_templateIN3c108BFloat16EEESt5tupleIJNSA_6TensorESH_SH_EERKSH_lbbbEUlllE_EE10hipError_tT0_T1_T2_jT3_P12ihipStream_tbPNSt15iterator_traitsISN_E10value_typeEPNST_ISO_E10value_typeEPSP_NS1_7vsmem_tEENKUlT_SN_SO_SP_E_clIS8_S8_S9_S9_EESM_S12_SN_SO_SP_EUlS12_E1_NS1_11comp_targetILNS1_3genE9ELNS1_11target_archE1100ELNS1_3gpuE3ELNS1_3repE0EEENS1_36merge_oddeven_config_static_selectorELNS0_4arch9wavefront6targetE0EEEvSO_.has_recursion, 0
	.set _ZN7rocprim17ROCPRIM_400000_NS6detail17trampoline_kernelINS0_14default_configENS1_38merge_sort_block_merge_config_selectorIlNS0_10empty_typeEEEZZNS1_27merge_sort_block_merge_implIS3_PlPS5_mZN2at6native12_GLOBAL__N_124unique_dim_cuda_templateIN3c108BFloat16EEESt5tupleIJNSA_6TensorESH_SH_EERKSH_lbbbEUlllE_EE10hipError_tT0_T1_T2_jT3_P12ihipStream_tbPNSt15iterator_traitsISN_E10value_typeEPNST_ISO_E10value_typeEPSP_NS1_7vsmem_tEENKUlT_SN_SO_SP_E_clIS8_S8_S9_S9_EESM_S12_SN_SO_SP_EUlS12_E1_NS1_11comp_targetILNS1_3genE9ELNS1_11target_archE1100ELNS1_3gpuE3ELNS1_3repE0EEENS1_36merge_oddeven_config_static_selectorELNS0_4arch9wavefront6targetE0EEEvSO_.has_indirect_call, 0
	.section	.AMDGPU.csdata,"",@progbits
; Kernel info:
; codeLenInByte = 0
; TotalNumSgprs: 0
; NumVgprs: 0
; ScratchSize: 0
; MemoryBound: 0
; FloatMode: 240
; IeeeMode: 1
; LDSByteSize: 0 bytes/workgroup (compile time only)
; SGPRBlocks: 0
; VGPRBlocks: 0
; NumSGPRsForWavesPerEU: 1
; NumVGPRsForWavesPerEU: 1
; NamedBarCnt: 0
; Occupancy: 16
; WaveLimiterHint : 0
; COMPUTE_PGM_RSRC2:SCRATCH_EN: 0
; COMPUTE_PGM_RSRC2:USER_SGPR: 2
; COMPUTE_PGM_RSRC2:TRAP_HANDLER: 0
; COMPUTE_PGM_RSRC2:TGID_X_EN: 1
; COMPUTE_PGM_RSRC2:TGID_Y_EN: 0
; COMPUTE_PGM_RSRC2:TGID_Z_EN: 0
; COMPUTE_PGM_RSRC2:TIDIG_COMP_CNT: 0
	.section	.text._ZN7rocprim17ROCPRIM_400000_NS6detail17trampoline_kernelINS0_14default_configENS1_38merge_sort_block_merge_config_selectorIlNS0_10empty_typeEEEZZNS1_27merge_sort_block_merge_implIS3_PlPS5_mZN2at6native12_GLOBAL__N_124unique_dim_cuda_templateIN3c108BFloat16EEESt5tupleIJNSA_6TensorESH_SH_EERKSH_lbbbEUlllE_EE10hipError_tT0_T1_T2_jT3_P12ihipStream_tbPNSt15iterator_traitsISN_E10value_typeEPNST_ISO_E10value_typeEPSP_NS1_7vsmem_tEENKUlT_SN_SO_SP_E_clIS8_S8_S9_S9_EESM_S12_SN_SO_SP_EUlS12_E1_NS1_11comp_targetILNS1_3genE8ELNS1_11target_archE1030ELNS1_3gpuE2ELNS1_3repE0EEENS1_36merge_oddeven_config_static_selectorELNS0_4arch9wavefront6targetE0EEEvSO_,"axG",@progbits,_ZN7rocprim17ROCPRIM_400000_NS6detail17trampoline_kernelINS0_14default_configENS1_38merge_sort_block_merge_config_selectorIlNS0_10empty_typeEEEZZNS1_27merge_sort_block_merge_implIS3_PlPS5_mZN2at6native12_GLOBAL__N_124unique_dim_cuda_templateIN3c108BFloat16EEESt5tupleIJNSA_6TensorESH_SH_EERKSH_lbbbEUlllE_EE10hipError_tT0_T1_T2_jT3_P12ihipStream_tbPNSt15iterator_traitsISN_E10value_typeEPNST_ISO_E10value_typeEPSP_NS1_7vsmem_tEENKUlT_SN_SO_SP_E_clIS8_S8_S9_S9_EESM_S12_SN_SO_SP_EUlS12_E1_NS1_11comp_targetILNS1_3genE8ELNS1_11target_archE1030ELNS1_3gpuE2ELNS1_3repE0EEENS1_36merge_oddeven_config_static_selectorELNS0_4arch9wavefront6targetE0EEEvSO_,comdat
	.globl	_ZN7rocprim17ROCPRIM_400000_NS6detail17trampoline_kernelINS0_14default_configENS1_38merge_sort_block_merge_config_selectorIlNS0_10empty_typeEEEZZNS1_27merge_sort_block_merge_implIS3_PlPS5_mZN2at6native12_GLOBAL__N_124unique_dim_cuda_templateIN3c108BFloat16EEESt5tupleIJNSA_6TensorESH_SH_EERKSH_lbbbEUlllE_EE10hipError_tT0_T1_T2_jT3_P12ihipStream_tbPNSt15iterator_traitsISN_E10value_typeEPNST_ISO_E10value_typeEPSP_NS1_7vsmem_tEENKUlT_SN_SO_SP_E_clIS8_S8_S9_S9_EESM_S12_SN_SO_SP_EUlS12_E1_NS1_11comp_targetILNS1_3genE8ELNS1_11target_archE1030ELNS1_3gpuE2ELNS1_3repE0EEENS1_36merge_oddeven_config_static_selectorELNS0_4arch9wavefront6targetE0EEEvSO_ ; -- Begin function _ZN7rocprim17ROCPRIM_400000_NS6detail17trampoline_kernelINS0_14default_configENS1_38merge_sort_block_merge_config_selectorIlNS0_10empty_typeEEEZZNS1_27merge_sort_block_merge_implIS3_PlPS5_mZN2at6native12_GLOBAL__N_124unique_dim_cuda_templateIN3c108BFloat16EEESt5tupleIJNSA_6TensorESH_SH_EERKSH_lbbbEUlllE_EE10hipError_tT0_T1_T2_jT3_P12ihipStream_tbPNSt15iterator_traitsISN_E10value_typeEPNST_ISO_E10value_typeEPSP_NS1_7vsmem_tEENKUlT_SN_SO_SP_E_clIS8_S8_S9_S9_EESM_S12_SN_SO_SP_EUlS12_E1_NS1_11comp_targetILNS1_3genE8ELNS1_11target_archE1030ELNS1_3gpuE2ELNS1_3repE0EEENS1_36merge_oddeven_config_static_selectorELNS0_4arch9wavefront6targetE0EEEvSO_
	.p2align	8
	.type	_ZN7rocprim17ROCPRIM_400000_NS6detail17trampoline_kernelINS0_14default_configENS1_38merge_sort_block_merge_config_selectorIlNS0_10empty_typeEEEZZNS1_27merge_sort_block_merge_implIS3_PlPS5_mZN2at6native12_GLOBAL__N_124unique_dim_cuda_templateIN3c108BFloat16EEESt5tupleIJNSA_6TensorESH_SH_EERKSH_lbbbEUlllE_EE10hipError_tT0_T1_T2_jT3_P12ihipStream_tbPNSt15iterator_traitsISN_E10value_typeEPNST_ISO_E10value_typeEPSP_NS1_7vsmem_tEENKUlT_SN_SO_SP_E_clIS8_S8_S9_S9_EESM_S12_SN_SO_SP_EUlS12_E1_NS1_11comp_targetILNS1_3genE8ELNS1_11target_archE1030ELNS1_3gpuE2ELNS1_3repE0EEENS1_36merge_oddeven_config_static_selectorELNS0_4arch9wavefront6targetE0EEEvSO_,@function
_ZN7rocprim17ROCPRIM_400000_NS6detail17trampoline_kernelINS0_14default_configENS1_38merge_sort_block_merge_config_selectorIlNS0_10empty_typeEEEZZNS1_27merge_sort_block_merge_implIS3_PlPS5_mZN2at6native12_GLOBAL__N_124unique_dim_cuda_templateIN3c108BFloat16EEESt5tupleIJNSA_6TensorESH_SH_EERKSH_lbbbEUlllE_EE10hipError_tT0_T1_T2_jT3_P12ihipStream_tbPNSt15iterator_traitsISN_E10value_typeEPNST_ISO_E10value_typeEPSP_NS1_7vsmem_tEENKUlT_SN_SO_SP_E_clIS8_S8_S9_S9_EESM_S12_SN_SO_SP_EUlS12_E1_NS1_11comp_targetILNS1_3genE8ELNS1_11target_archE1030ELNS1_3gpuE2ELNS1_3repE0EEENS1_36merge_oddeven_config_static_selectorELNS0_4arch9wavefront6targetE0EEEvSO_: ; @_ZN7rocprim17ROCPRIM_400000_NS6detail17trampoline_kernelINS0_14default_configENS1_38merge_sort_block_merge_config_selectorIlNS0_10empty_typeEEEZZNS1_27merge_sort_block_merge_implIS3_PlPS5_mZN2at6native12_GLOBAL__N_124unique_dim_cuda_templateIN3c108BFloat16EEESt5tupleIJNSA_6TensorESH_SH_EERKSH_lbbbEUlllE_EE10hipError_tT0_T1_T2_jT3_P12ihipStream_tbPNSt15iterator_traitsISN_E10value_typeEPNST_ISO_E10value_typeEPSP_NS1_7vsmem_tEENKUlT_SN_SO_SP_E_clIS8_S8_S9_S9_EESM_S12_SN_SO_SP_EUlS12_E1_NS1_11comp_targetILNS1_3genE8ELNS1_11target_archE1030ELNS1_3gpuE2ELNS1_3repE0EEENS1_36merge_oddeven_config_static_selectorELNS0_4arch9wavefront6targetE0EEEvSO_
; %bb.0:
	.section	.rodata,"a",@progbits
	.p2align	6, 0x0
	.amdhsa_kernel _ZN7rocprim17ROCPRIM_400000_NS6detail17trampoline_kernelINS0_14default_configENS1_38merge_sort_block_merge_config_selectorIlNS0_10empty_typeEEEZZNS1_27merge_sort_block_merge_implIS3_PlPS5_mZN2at6native12_GLOBAL__N_124unique_dim_cuda_templateIN3c108BFloat16EEESt5tupleIJNSA_6TensorESH_SH_EERKSH_lbbbEUlllE_EE10hipError_tT0_T1_T2_jT3_P12ihipStream_tbPNSt15iterator_traitsISN_E10value_typeEPNST_ISO_E10value_typeEPSP_NS1_7vsmem_tEENKUlT_SN_SO_SP_E_clIS8_S8_S9_S9_EESM_S12_SN_SO_SP_EUlS12_E1_NS1_11comp_targetILNS1_3genE8ELNS1_11target_archE1030ELNS1_3gpuE2ELNS1_3repE0EEENS1_36merge_oddeven_config_static_selectorELNS0_4arch9wavefront6targetE0EEEvSO_
		.amdhsa_group_segment_fixed_size 0
		.amdhsa_private_segment_fixed_size 0
		.amdhsa_kernarg_size 64
		.amdhsa_user_sgpr_count 2
		.amdhsa_user_sgpr_dispatch_ptr 0
		.amdhsa_user_sgpr_queue_ptr 0
		.amdhsa_user_sgpr_kernarg_segment_ptr 1
		.amdhsa_user_sgpr_dispatch_id 0
		.amdhsa_user_sgpr_kernarg_preload_length 0
		.amdhsa_user_sgpr_kernarg_preload_offset 0
		.amdhsa_user_sgpr_private_segment_size 0
		.amdhsa_wavefront_size32 1
		.amdhsa_uses_dynamic_stack 0
		.amdhsa_enable_private_segment 0
		.amdhsa_system_sgpr_workgroup_id_x 1
		.amdhsa_system_sgpr_workgroup_id_y 0
		.amdhsa_system_sgpr_workgroup_id_z 0
		.amdhsa_system_sgpr_workgroup_info 0
		.amdhsa_system_vgpr_workitem_id 0
		.amdhsa_next_free_vgpr 1
		.amdhsa_next_free_sgpr 1
		.amdhsa_named_barrier_count 0
		.amdhsa_reserve_vcc 0
		.amdhsa_float_round_mode_32 0
		.amdhsa_float_round_mode_16_64 0
		.amdhsa_float_denorm_mode_32 3
		.amdhsa_float_denorm_mode_16_64 3
		.amdhsa_fp16_overflow 0
		.amdhsa_memory_ordered 1
		.amdhsa_forward_progress 1
		.amdhsa_inst_pref_size 0
		.amdhsa_round_robin_scheduling 0
		.amdhsa_exception_fp_ieee_invalid_op 0
		.amdhsa_exception_fp_denorm_src 0
		.amdhsa_exception_fp_ieee_div_zero 0
		.amdhsa_exception_fp_ieee_overflow 0
		.amdhsa_exception_fp_ieee_underflow 0
		.amdhsa_exception_fp_ieee_inexact 0
		.amdhsa_exception_int_div_zero 0
	.end_amdhsa_kernel
	.section	.text._ZN7rocprim17ROCPRIM_400000_NS6detail17trampoline_kernelINS0_14default_configENS1_38merge_sort_block_merge_config_selectorIlNS0_10empty_typeEEEZZNS1_27merge_sort_block_merge_implIS3_PlPS5_mZN2at6native12_GLOBAL__N_124unique_dim_cuda_templateIN3c108BFloat16EEESt5tupleIJNSA_6TensorESH_SH_EERKSH_lbbbEUlllE_EE10hipError_tT0_T1_T2_jT3_P12ihipStream_tbPNSt15iterator_traitsISN_E10value_typeEPNST_ISO_E10value_typeEPSP_NS1_7vsmem_tEENKUlT_SN_SO_SP_E_clIS8_S8_S9_S9_EESM_S12_SN_SO_SP_EUlS12_E1_NS1_11comp_targetILNS1_3genE8ELNS1_11target_archE1030ELNS1_3gpuE2ELNS1_3repE0EEENS1_36merge_oddeven_config_static_selectorELNS0_4arch9wavefront6targetE0EEEvSO_,"axG",@progbits,_ZN7rocprim17ROCPRIM_400000_NS6detail17trampoline_kernelINS0_14default_configENS1_38merge_sort_block_merge_config_selectorIlNS0_10empty_typeEEEZZNS1_27merge_sort_block_merge_implIS3_PlPS5_mZN2at6native12_GLOBAL__N_124unique_dim_cuda_templateIN3c108BFloat16EEESt5tupleIJNSA_6TensorESH_SH_EERKSH_lbbbEUlllE_EE10hipError_tT0_T1_T2_jT3_P12ihipStream_tbPNSt15iterator_traitsISN_E10value_typeEPNST_ISO_E10value_typeEPSP_NS1_7vsmem_tEENKUlT_SN_SO_SP_E_clIS8_S8_S9_S9_EESM_S12_SN_SO_SP_EUlS12_E1_NS1_11comp_targetILNS1_3genE8ELNS1_11target_archE1030ELNS1_3gpuE2ELNS1_3repE0EEENS1_36merge_oddeven_config_static_selectorELNS0_4arch9wavefront6targetE0EEEvSO_,comdat
.Lfunc_end1148:
	.size	_ZN7rocprim17ROCPRIM_400000_NS6detail17trampoline_kernelINS0_14default_configENS1_38merge_sort_block_merge_config_selectorIlNS0_10empty_typeEEEZZNS1_27merge_sort_block_merge_implIS3_PlPS5_mZN2at6native12_GLOBAL__N_124unique_dim_cuda_templateIN3c108BFloat16EEESt5tupleIJNSA_6TensorESH_SH_EERKSH_lbbbEUlllE_EE10hipError_tT0_T1_T2_jT3_P12ihipStream_tbPNSt15iterator_traitsISN_E10value_typeEPNST_ISO_E10value_typeEPSP_NS1_7vsmem_tEENKUlT_SN_SO_SP_E_clIS8_S8_S9_S9_EESM_S12_SN_SO_SP_EUlS12_E1_NS1_11comp_targetILNS1_3genE8ELNS1_11target_archE1030ELNS1_3gpuE2ELNS1_3repE0EEENS1_36merge_oddeven_config_static_selectorELNS0_4arch9wavefront6targetE0EEEvSO_, .Lfunc_end1148-_ZN7rocprim17ROCPRIM_400000_NS6detail17trampoline_kernelINS0_14default_configENS1_38merge_sort_block_merge_config_selectorIlNS0_10empty_typeEEEZZNS1_27merge_sort_block_merge_implIS3_PlPS5_mZN2at6native12_GLOBAL__N_124unique_dim_cuda_templateIN3c108BFloat16EEESt5tupleIJNSA_6TensorESH_SH_EERKSH_lbbbEUlllE_EE10hipError_tT0_T1_T2_jT3_P12ihipStream_tbPNSt15iterator_traitsISN_E10value_typeEPNST_ISO_E10value_typeEPSP_NS1_7vsmem_tEENKUlT_SN_SO_SP_E_clIS8_S8_S9_S9_EESM_S12_SN_SO_SP_EUlS12_E1_NS1_11comp_targetILNS1_3genE8ELNS1_11target_archE1030ELNS1_3gpuE2ELNS1_3repE0EEENS1_36merge_oddeven_config_static_selectorELNS0_4arch9wavefront6targetE0EEEvSO_
                                        ; -- End function
	.set _ZN7rocprim17ROCPRIM_400000_NS6detail17trampoline_kernelINS0_14default_configENS1_38merge_sort_block_merge_config_selectorIlNS0_10empty_typeEEEZZNS1_27merge_sort_block_merge_implIS3_PlPS5_mZN2at6native12_GLOBAL__N_124unique_dim_cuda_templateIN3c108BFloat16EEESt5tupleIJNSA_6TensorESH_SH_EERKSH_lbbbEUlllE_EE10hipError_tT0_T1_T2_jT3_P12ihipStream_tbPNSt15iterator_traitsISN_E10value_typeEPNST_ISO_E10value_typeEPSP_NS1_7vsmem_tEENKUlT_SN_SO_SP_E_clIS8_S8_S9_S9_EESM_S12_SN_SO_SP_EUlS12_E1_NS1_11comp_targetILNS1_3genE8ELNS1_11target_archE1030ELNS1_3gpuE2ELNS1_3repE0EEENS1_36merge_oddeven_config_static_selectorELNS0_4arch9wavefront6targetE0EEEvSO_.num_vgpr, 0
	.set _ZN7rocprim17ROCPRIM_400000_NS6detail17trampoline_kernelINS0_14default_configENS1_38merge_sort_block_merge_config_selectorIlNS0_10empty_typeEEEZZNS1_27merge_sort_block_merge_implIS3_PlPS5_mZN2at6native12_GLOBAL__N_124unique_dim_cuda_templateIN3c108BFloat16EEESt5tupleIJNSA_6TensorESH_SH_EERKSH_lbbbEUlllE_EE10hipError_tT0_T1_T2_jT3_P12ihipStream_tbPNSt15iterator_traitsISN_E10value_typeEPNST_ISO_E10value_typeEPSP_NS1_7vsmem_tEENKUlT_SN_SO_SP_E_clIS8_S8_S9_S9_EESM_S12_SN_SO_SP_EUlS12_E1_NS1_11comp_targetILNS1_3genE8ELNS1_11target_archE1030ELNS1_3gpuE2ELNS1_3repE0EEENS1_36merge_oddeven_config_static_selectorELNS0_4arch9wavefront6targetE0EEEvSO_.num_agpr, 0
	.set _ZN7rocprim17ROCPRIM_400000_NS6detail17trampoline_kernelINS0_14default_configENS1_38merge_sort_block_merge_config_selectorIlNS0_10empty_typeEEEZZNS1_27merge_sort_block_merge_implIS3_PlPS5_mZN2at6native12_GLOBAL__N_124unique_dim_cuda_templateIN3c108BFloat16EEESt5tupleIJNSA_6TensorESH_SH_EERKSH_lbbbEUlllE_EE10hipError_tT0_T1_T2_jT3_P12ihipStream_tbPNSt15iterator_traitsISN_E10value_typeEPNST_ISO_E10value_typeEPSP_NS1_7vsmem_tEENKUlT_SN_SO_SP_E_clIS8_S8_S9_S9_EESM_S12_SN_SO_SP_EUlS12_E1_NS1_11comp_targetILNS1_3genE8ELNS1_11target_archE1030ELNS1_3gpuE2ELNS1_3repE0EEENS1_36merge_oddeven_config_static_selectorELNS0_4arch9wavefront6targetE0EEEvSO_.numbered_sgpr, 0
	.set _ZN7rocprim17ROCPRIM_400000_NS6detail17trampoline_kernelINS0_14default_configENS1_38merge_sort_block_merge_config_selectorIlNS0_10empty_typeEEEZZNS1_27merge_sort_block_merge_implIS3_PlPS5_mZN2at6native12_GLOBAL__N_124unique_dim_cuda_templateIN3c108BFloat16EEESt5tupleIJNSA_6TensorESH_SH_EERKSH_lbbbEUlllE_EE10hipError_tT0_T1_T2_jT3_P12ihipStream_tbPNSt15iterator_traitsISN_E10value_typeEPNST_ISO_E10value_typeEPSP_NS1_7vsmem_tEENKUlT_SN_SO_SP_E_clIS8_S8_S9_S9_EESM_S12_SN_SO_SP_EUlS12_E1_NS1_11comp_targetILNS1_3genE8ELNS1_11target_archE1030ELNS1_3gpuE2ELNS1_3repE0EEENS1_36merge_oddeven_config_static_selectorELNS0_4arch9wavefront6targetE0EEEvSO_.num_named_barrier, 0
	.set _ZN7rocprim17ROCPRIM_400000_NS6detail17trampoline_kernelINS0_14default_configENS1_38merge_sort_block_merge_config_selectorIlNS0_10empty_typeEEEZZNS1_27merge_sort_block_merge_implIS3_PlPS5_mZN2at6native12_GLOBAL__N_124unique_dim_cuda_templateIN3c108BFloat16EEESt5tupleIJNSA_6TensorESH_SH_EERKSH_lbbbEUlllE_EE10hipError_tT0_T1_T2_jT3_P12ihipStream_tbPNSt15iterator_traitsISN_E10value_typeEPNST_ISO_E10value_typeEPSP_NS1_7vsmem_tEENKUlT_SN_SO_SP_E_clIS8_S8_S9_S9_EESM_S12_SN_SO_SP_EUlS12_E1_NS1_11comp_targetILNS1_3genE8ELNS1_11target_archE1030ELNS1_3gpuE2ELNS1_3repE0EEENS1_36merge_oddeven_config_static_selectorELNS0_4arch9wavefront6targetE0EEEvSO_.private_seg_size, 0
	.set _ZN7rocprim17ROCPRIM_400000_NS6detail17trampoline_kernelINS0_14default_configENS1_38merge_sort_block_merge_config_selectorIlNS0_10empty_typeEEEZZNS1_27merge_sort_block_merge_implIS3_PlPS5_mZN2at6native12_GLOBAL__N_124unique_dim_cuda_templateIN3c108BFloat16EEESt5tupleIJNSA_6TensorESH_SH_EERKSH_lbbbEUlllE_EE10hipError_tT0_T1_T2_jT3_P12ihipStream_tbPNSt15iterator_traitsISN_E10value_typeEPNST_ISO_E10value_typeEPSP_NS1_7vsmem_tEENKUlT_SN_SO_SP_E_clIS8_S8_S9_S9_EESM_S12_SN_SO_SP_EUlS12_E1_NS1_11comp_targetILNS1_3genE8ELNS1_11target_archE1030ELNS1_3gpuE2ELNS1_3repE0EEENS1_36merge_oddeven_config_static_selectorELNS0_4arch9wavefront6targetE0EEEvSO_.uses_vcc, 0
	.set _ZN7rocprim17ROCPRIM_400000_NS6detail17trampoline_kernelINS0_14default_configENS1_38merge_sort_block_merge_config_selectorIlNS0_10empty_typeEEEZZNS1_27merge_sort_block_merge_implIS3_PlPS5_mZN2at6native12_GLOBAL__N_124unique_dim_cuda_templateIN3c108BFloat16EEESt5tupleIJNSA_6TensorESH_SH_EERKSH_lbbbEUlllE_EE10hipError_tT0_T1_T2_jT3_P12ihipStream_tbPNSt15iterator_traitsISN_E10value_typeEPNST_ISO_E10value_typeEPSP_NS1_7vsmem_tEENKUlT_SN_SO_SP_E_clIS8_S8_S9_S9_EESM_S12_SN_SO_SP_EUlS12_E1_NS1_11comp_targetILNS1_3genE8ELNS1_11target_archE1030ELNS1_3gpuE2ELNS1_3repE0EEENS1_36merge_oddeven_config_static_selectorELNS0_4arch9wavefront6targetE0EEEvSO_.uses_flat_scratch, 0
	.set _ZN7rocprim17ROCPRIM_400000_NS6detail17trampoline_kernelINS0_14default_configENS1_38merge_sort_block_merge_config_selectorIlNS0_10empty_typeEEEZZNS1_27merge_sort_block_merge_implIS3_PlPS5_mZN2at6native12_GLOBAL__N_124unique_dim_cuda_templateIN3c108BFloat16EEESt5tupleIJNSA_6TensorESH_SH_EERKSH_lbbbEUlllE_EE10hipError_tT0_T1_T2_jT3_P12ihipStream_tbPNSt15iterator_traitsISN_E10value_typeEPNST_ISO_E10value_typeEPSP_NS1_7vsmem_tEENKUlT_SN_SO_SP_E_clIS8_S8_S9_S9_EESM_S12_SN_SO_SP_EUlS12_E1_NS1_11comp_targetILNS1_3genE8ELNS1_11target_archE1030ELNS1_3gpuE2ELNS1_3repE0EEENS1_36merge_oddeven_config_static_selectorELNS0_4arch9wavefront6targetE0EEEvSO_.has_dyn_sized_stack, 0
	.set _ZN7rocprim17ROCPRIM_400000_NS6detail17trampoline_kernelINS0_14default_configENS1_38merge_sort_block_merge_config_selectorIlNS0_10empty_typeEEEZZNS1_27merge_sort_block_merge_implIS3_PlPS5_mZN2at6native12_GLOBAL__N_124unique_dim_cuda_templateIN3c108BFloat16EEESt5tupleIJNSA_6TensorESH_SH_EERKSH_lbbbEUlllE_EE10hipError_tT0_T1_T2_jT3_P12ihipStream_tbPNSt15iterator_traitsISN_E10value_typeEPNST_ISO_E10value_typeEPSP_NS1_7vsmem_tEENKUlT_SN_SO_SP_E_clIS8_S8_S9_S9_EESM_S12_SN_SO_SP_EUlS12_E1_NS1_11comp_targetILNS1_3genE8ELNS1_11target_archE1030ELNS1_3gpuE2ELNS1_3repE0EEENS1_36merge_oddeven_config_static_selectorELNS0_4arch9wavefront6targetE0EEEvSO_.has_recursion, 0
	.set _ZN7rocprim17ROCPRIM_400000_NS6detail17trampoline_kernelINS0_14default_configENS1_38merge_sort_block_merge_config_selectorIlNS0_10empty_typeEEEZZNS1_27merge_sort_block_merge_implIS3_PlPS5_mZN2at6native12_GLOBAL__N_124unique_dim_cuda_templateIN3c108BFloat16EEESt5tupleIJNSA_6TensorESH_SH_EERKSH_lbbbEUlllE_EE10hipError_tT0_T1_T2_jT3_P12ihipStream_tbPNSt15iterator_traitsISN_E10value_typeEPNST_ISO_E10value_typeEPSP_NS1_7vsmem_tEENKUlT_SN_SO_SP_E_clIS8_S8_S9_S9_EESM_S12_SN_SO_SP_EUlS12_E1_NS1_11comp_targetILNS1_3genE8ELNS1_11target_archE1030ELNS1_3gpuE2ELNS1_3repE0EEENS1_36merge_oddeven_config_static_selectorELNS0_4arch9wavefront6targetE0EEEvSO_.has_indirect_call, 0
	.section	.AMDGPU.csdata,"",@progbits
; Kernel info:
; codeLenInByte = 0
; TotalNumSgprs: 0
; NumVgprs: 0
; ScratchSize: 0
; MemoryBound: 0
; FloatMode: 240
; IeeeMode: 1
; LDSByteSize: 0 bytes/workgroup (compile time only)
; SGPRBlocks: 0
; VGPRBlocks: 0
; NumSGPRsForWavesPerEU: 1
; NumVGPRsForWavesPerEU: 1
; NamedBarCnt: 0
; Occupancy: 16
; WaveLimiterHint : 0
; COMPUTE_PGM_RSRC2:SCRATCH_EN: 0
; COMPUTE_PGM_RSRC2:USER_SGPR: 2
; COMPUTE_PGM_RSRC2:TRAP_HANDLER: 0
; COMPUTE_PGM_RSRC2:TGID_X_EN: 1
; COMPUTE_PGM_RSRC2:TGID_Y_EN: 0
; COMPUTE_PGM_RSRC2:TGID_Z_EN: 0
; COMPUTE_PGM_RSRC2:TIDIG_COMP_CNT: 0
	.section	.text._ZN7rocprim17ROCPRIM_400000_NS6detail17trampoline_kernelINS0_14default_configENS1_35adjacent_difference_config_selectorILb0ElEEZNS1_24adjacent_difference_implIS3_Lb0ELb0EPlS7_ZN2at6native12_GLOBAL__N_124unique_dim_cuda_templateIN3c108BFloat16EEESt5tupleIJNS8_6TensorESF_SF_EERKSF_lbbbEUlllE1_EE10hipError_tPvRmT2_T3_mT4_P12ihipStream_tbEUlT_E_NS1_11comp_targetILNS1_3genE0ELNS1_11target_archE4294967295ELNS1_3gpuE0ELNS1_3repE0EEENS1_30default_config_static_selectorELNS0_4arch9wavefront6targetE0EEEvT1_,"axG",@progbits,_ZN7rocprim17ROCPRIM_400000_NS6detail17trampoline_kernelINS0_14default_configENS1_35adjacent_difference_config_selectorILb0ElEEZNS1_24adjacent_difference_implIS3_Lb0ELb0EPlS7_ZN2at6native12_GLOBAL__N_124unique_dim_cuda_templateIN3c108BFloat16EEESt5tupleIJNS8_6TensorESF_SF_EERKSF_lbbbEUlllE1_EE10hipError_tPvRmT2_T3_mT4_P12ihipStream_tbEUlT_E_NS1_11comp_targetILNS1_3genE0ELNS1_11target_archE4294967295ELNS1_3gpuE0ELNS1_3repE0EEENS1_30default_config_static_selectorELNS0_4arch9wavefront6targetE0EEEvT1_,comdat
	.globl	_ZN7rocprim17ROCPRIM_400000_NS6detail17trampoline_kernelINS0_14default_configENS1_35adjacent_difference_config_selectorILb0ElEEZNS1_24adjacent_difference_implIS3_Lb0ELb0EPlS7_ZN2at6native12_GLOBAL__N_124unique_dim_cuda_templateIN3c108BFloat16EEESt5tupleIJNS8_6TensorESF_SF_EERKSF_lbbbEUlllE1_EE10hipError_tPvRmT2_T3_mT4_P12ihipStream_tbEUlT_E_NS1_11comp_targetILNS1_3genE0ELNS1_11target_archE4294967295ELNS1_3gpuE0ELNS1_3repE0EEENS1_30default_config_static_selectorELNS0_4arch9wavefront6targetE0EEEvT1_ ; -- Begin function _ZN7rocprim17ROCPRIM_400000_NS6detail17trampoline_kernelINS0_14default_configENS1_35adjacent_difference_config_selectorILb0ElEEZNS1_24adjacent_difference_implIS3_Lb0ELb0EPlS7_ZN2at6native12_GLOBAL__N_124unique_dim_cuda_templateIN3c108BFloat16EEESt5tupleIJNS8_6TensorESF_SF_EERKSF_lbbbEUlllE1_EE10hipError_tPvRmT2_T3_mT4_P12ihipStream_tbEUlT_E_NS1_11comp_targetILNS1_3genE0ELNS1_11target_archE4294967295ELNS1_3gpuE0ELNS1_3repE0EEENS1_30default_config_static_selectorELNS0_4arch9wavefront6targetE0EEEvT1_
	.p2align	8
	.type	_ZN7rocprim17ROCPRIM_400000_NS6detail17trampoline_kernelINS0_14default_configENS1_35adjacent_difference_config_selectorILb0ElEEZNS1_24adjacent_difference_implIS3_Lb0ELb0EPlS7_ZN2at6native12_GLOBAL__N_124unique_dim_cuda_templateIN3c108BFloat16EEESt5tupleIJNS8_6TensorESF_SF_EERKSF_lbbbEUlllE1_EE10hipError_tPvRmT2_T3_mT4_P12ihipStream_tbEUlT_E_NS1_11comp_targetILNS1_3genE0ELNS1_11target_archE4294967295ELNS1_3gpuE0ELNS1_3repE0EEENS1_30default_config_static_selectorELNS0_4arch9wavefront6targetE0EEEvT1_,@function
_ZN7rocprim17ROCPRIM_400000_NS6detail17trampoline_kernelINS0_14default_configENS1_35adjacent_difference_config_selectorILb0ElEEZNS1_24adjacent_difference_implIS3_Lb0ELb0EPlS7_ZN2at6native12_GLOBAL__N_124unique_dim_cuda_templateIN3c108BFloat16EEESt5tupleIJNS8_6TensorESF_SF_EERKSF_lbbbEUlllE1_EE10hipError_tPvRmT2_T3_mT4_P12ihipStream_tbEUlT_E_NS1_11comp_targetILNS1_3genE0ELNS1_11target_archE4294967295ELNS1_3gpuE0ELNS1_3repE0EEENS1_30default_config_static_selectorELNS0_4arch9wavefront6targetE0EEEvT1_: ; @_ZN7rocprim17ROCPRIM_400000_NS6detail17trampoline_kernelINS0_14default_configENS1_35adjacent_difference_config_selectorILb0ElEEZNS1_24adjacent_difference_implIS3_Lb0ELb0EPlS7_ZN2at6native12_GLOBAL__N_124unique_dim_cuda_templateIN3c108BFloat16EEESt5tupleIJNS8_6TensorESF_SF_EERKSF_lbbbEUlllE1_EE10hipError_tPvRmT2_T3_mT4_P12ihipStream_tbEUlT_E_NS1_11comp_targetILNS1_3genE0ELNS1_11target_archE4294967295ELNS1_3gpuE0ELNS1_3repE0EEENS1_30default_config_static_selectorELNS0_4arch9wavefront6targetE0EEEvT1_
; %bb.0:
	s_load_b256 s[4:11], s[0:1], 0x0
	s_bfe_u32 s2, ttmp6, 0x4000c
	s_and_b32 s3, ttmp6, 15
	s_add_co_i32 s2, s2, 1
	s_getreg_b32 s12, hwreg(HW_REG_IB_STS2, 6, 4)
	s_mul_i32 s2, ttmp9, s2
	s_load_b64 s[16:17], s[0:1], 0x38
	s_add_co_i32 s3, s3, s2
	s_mov_b32 s23, 0
	s_delay_alu instid0(SALU_CYCLE_1)
	s_mov_b32 s19, s23
	s_wait_kmcnt 0x0
	s_lshl_b64 s[6:7], s[6:7], 3
	s_cmp_eq_u32 s12, 0
	s_add_nc_u64 s[4:5], s[4:5], s[6:7]
	s_cselect_b32 s18, ttmp9, s3
	s_and_b64 s[12:13], s[10:11], 0x7f
	s_lshr_b64 s[20:21], s[10:11], 7
	s_lshl_b32 s2, s18, 7
	s_cmp_lg_u64 s[12:13], 0
	s_load_b128 s[12:15], s[0:1], 0x20
	s_cselect_b32 s3, -1, 0
	s_add_nc_u64 s[18:19], s[16:17], s[18:19]
	v_cndmask_b32_e64 v1, 0, 1, s3
	s_delay_alu instid0(VALU_DEP_1) | instskip(SKIP_2) | instid1(SALU_CYCLE_1)
	v_readfirstlane_b32 s22, v1
	s_wait_xcnt 0x0
	s_add_nc_u64 s[0:1], s[20:21], s[22:23]
	s_add_nc_u64 s[16:17], s[0:1], -1
	s_delay_alu instid0(SALU_CYCLE_1)
	v_cmp_ge_u64_e64 s11, s[18:19], s[16:17]
	s_and_b32 vcc_lo, exec_lo, s11
	s_cbranch_vccz .LBB1149_4
; %bb.1:
	s_lshl_b32 s3, s16, 7
	s_mov_b32 s20, exec_lo
	s_sub_co_i32 s3, s10, s3
                                        ; implicit-def: $vgpr2_vgpr3
	s_delay_alu instid0(SALU_CYCLE_1)
	v_cmpx_gt_u32_e64 s3, v0
	s_cbranch_execz .LBB1149_3
; %bb.2:
	s_mov_b32 s3, 0
	s_delay_alu instid0(SALU_CYCLE_1) | instskip(NEXT) | instid1(SALU_CYCLE_1)
	s_lshl_b64 s[22:23], s[2:3], 3
	s_add_nc_u64 s[22:23], s[4:5], s[22:23]
	global_load_b64 v[2:3], v0, s[22:23] scale_offset
.LBB1149_3:
	s_wait_xcnt 0x0
	s_or_b32 exec_lo, exec_lo, s20
	v_lshlrev_b32_e32 v1, 3, v0
	s_wait_loadcnt 0x0
	ds_store_b64 v1, v[2:3]
	s_wait_dscnt 0x0
	s_barrier_signal -1
	s_barrier_wait -1
	s_branch .LBB1149_6
.LBB1149_4:
                                        ; implicit-def: $vgpr1
	s_cbranch_execz .LBB1149_6
; %bb.5:
	s_mov_b32 s3, 0
	v_lshlrev_b32_e32 v1, 3, v0
	s_lshl_b64 s[20:21], s[2:3], 3
	s_delay_alu instid0(SALU_CYCLE_1)
	s_add_nc_u64 s[20:21], s[4:5], s[20:21]
	global_load_b64 v[2:3], v0, s[20:21] scale_offset
	s_wait_loadcnt 0x0
	ds_store_b64 v1, v[2:3]
	s_wait_dscnt 0x0
	s_barrier_signal -1
	s_barrier_wait -1
.LBB1149_6:
	ds_load_b64 v[2:3], v1
	s_cmp_eq_u64 s[18:19], 0
	s_wait_dscnt 0x0
	s_barrier_signal -1
	s_barrier_wait -1
	s_cbranch_scc1 .LBB1149_15
; %bb.7:
	s_mov_b32 s3, 0
	s_delay_alu instid0(SALU_CYCLE_1) | instskip(SKIP_2) | instid1(SALU_CYCLE_1)
	s_lshl_b64 s[20:21], s[2:3], 3
	s_cmp_eq_u64 s[18:19], s[16:17]
	s_add_nc_u64 s[4:5], s[4:5], s[20:21]
	s_add_nc_u64 s[4:5], s[4:5], -8
	s_load_b64 s[4:5], s[4:5], 0x0
	s_cbranch_scc1 .LBB1149_16
; %bb.8:
	s_wait_kmcnt 0x0
	v_mov_b64_e32 v[4:5], s[4:5]
	v_lshlrev_b32_e32 v1, 3, v0
	s_mov_b32 s3, exec_lo
	ds_store_b64 v1, v[2:3]
	s_wait_dscnt 0x0
	s_barrier_signal -1
	s_barrier_wait -1
	v_cmpx_ne_u32_e32 0, v0
; %bb.9:
	v_add_nc_u32_e32 v1, -8, v1
	ds_load_b64 v[4:5], v1
; %bb.10:
	s_or_b32 exec_lo, exec_lo, s3
	v_cmp_lt_i64_e64 s3, s[12:13], 1
	s_and_b32 vcc_lo, exec_lo, s3
	s_cbranch_vccnz .LBB1149_18
; %bb.11:
	v_mul_u64_e32 v[6:7], s[12:13], v[2:3]
	s_wait_dscnt 0x0
	v_mul_u64_e32 v[4:5], s[12:13], v[4:5]
	s_mov_b32 s3, 0
	s_mov_b64 s[20:21], s[12:13]
                                        ; implicit-def: $sgpr17
	s_delay_alu instid0(VALU_DEP_2) | instskip(NEXT) | instid1(VALU_DEP_2)
	v_lshl_add_u64 v[6:7], v[6:7], 1, s[14:15]
	v_lshl_add_u64 v[8:9], v[4:5], 1, s[14:15]
	s_branch .LBB1149_13
.LBB1149_12:                            ;   in Loop: Header=BB1149_13 Depth=1
	s_or_b32 exec_lo, exec_lo, s19
	s_delay_alu instid0(SALU_CYCLE_1) | instskip(NEXT) | instid1(SALU_CYCLE_1)
	s_and_b32 s19, exec_lo, s17
	s_or_b32 s3, s19, s3
	s_delay_alu instid0(SALU_CYCLE_1)
	s_and_not1_b32 exec_lo, exec_lo, s3
	s_cbranch_execz .LBB1149_17
.LBB1149_13:                            ; =>This Inner Loop Header: Depth=1
	global_load_u16 v1, v[8:9], off
	global_load_u16 v4, v[6:7], off
	s_or_b32 s17, s17, exec_lo
	s_mov_b32 s19, exec_lo
	s_wait_loadcnt 0x0
	v_dual_lshlrev_b32 v1, 16, v1 :: v_dual_lshlrev_b32 v10, 16, v4
	v_mov_b64_e32 v[4:5], 1
	s_delay_alu instid0(VALU_DEP_2)
	v_cmpx_eq_f32_e32 v10, v1
	s_cbranch_execz .LBB1149_12
; %bb.14:                               ;   in Loop: Header=BB1149_13 Depth=1
	s_add_nc_u64 s[20:21], s[20:21], -1
	v_add_nc_u64_e32 v[6:7], 2, v[6:7]
	s_cmp_eq_u64 s[20:21], 0
	v_add_nc_u64_e32 v[8:9], 2, v[8:9]
	v_mov_b64_e32 v[4:5], 0
	s_cselect_b32 s22, -1, 0
	s_and_not1_b32 s17, s17, exec_lo
	s_and_b32 s22, s22, exec_lo
	s_delay_alu instid0(SALU_CYCLE_1)
	s_or_b32 s17, s17, s22
	s_branch .LBB1149_12
.LBB1149_15:
                                        ; implicit-def: $vgpr4_vgpr5
	s_branch .LBB1149_31
.LBB1149_16:
                                        ; implicit-def: $vgpr4_vgpr5
	s_cbranch_execnz .LBB1149_19
	s_branch .LBB1149_30
.LBB1149_17:
	s_or_b32 exec_lo, exec_lo, s3
	s_branch .LBB1149_30
.LBB1149_18:
	s_wait_dscnt 0x0
	v_mov_b64_e32 v[4:5], 0
	s_branch .LBB1149_30
.LBB1149_19:
	s_wait_kmcnt 0x0
	v_mov_b64_e32 v[6:7], s[4:5]
	v_lshlrev_b32_e32 v1, 3, v0
	s_mov_b32 s3, exec_lo
	ds_store_b64 v1, v[2:3]
	s_wait_dscnt 0x0
	s_barrier_signal -1
	s_barrier_wait -1
	v_cmpx_ne_u32_e32 0, v0
; %bb.20:
	v_add_nc_u32_e32 v1, -8, v1
	ds_load_b64 v[6:7], v1
; %bb.21:
	s_or_b32 exec_lo, exec_lo, s3
	s_lshl_b32 s3, s18, 7
	v_mov_b64_e32 v[4:5], v[2:3]
	s_sub_co_i32 s3, s10, s3
	s_delay_alu instid0(SALU_CYCLE_1)
	v_cmp_gt_u32_e32 vcc_lo, s3, v0
	s_and_saveexec_b32 s3, vcc_lo
	s_cbranch_execz .LBB1149_29
; %bb.22:
	v_cmp_lt_i64_e64 s4, s[12:13], 1
	s_and_b32 vcc_lo, exec_lo, s4
	s_cbranch_vccnz .LBB1149_28
; %bb.23:
	v_mul_u64_e32 v[4:5], s[12:13], v[2:3]
	s_wait_dscnt 0x0
	v_mul_u64_e32 v[8:9], s[12:13], v[6:7]
	s_mov_b32 s17, 0
	s_mov_b64 s[4:5], s[12:13]
                                        ; implicit-def: $sgpr18
	s_delay_alu instid0(VALU_DEP_2) | instskip(NEXT) | instid1(VALU_DEP_2)
	v_lshl_add_u64 v[6:7], v[4:5], 1, s[14:15]
	v_lshl_add_u64 v[8:9], v[8:9], 1, s[14:15]
	s_branch .LBB1149_25
.LBB1149_24:                            ;   in Loop: Header=BB1149_25 Depth=1
	s_or_b32 exec_lo, exec_lo, s19
	s_delay_alu instid0(SALU_CYCLE_1) | instskip(NEXT) | instid1(SALU_CYCLE_1)
	s_and_b32 s19, exec_lo, s18
	s_or_b32 s17, s19, s17
	s_delay_alu instid0(SALU_CYCLE_1)
	s_and_not1_b32 exec_lo, exec_lo, s17
	s_cbranch_execz .LBB1149_27
.LBB1149_25:                            ; =>This Inner Loop Header: Depth=1
	global_load_u16 v1, v[8:9], off
	global_load_u16 v4, v[6:7], off
	s_or_b32 s18, s18, exec_lo
	s_mov_b32 s19, exec_lo
	s_wait_loadcnt 0x0
	v_dual_lshlrev_b32 v1, 16, v1 :: v_dual_lshlrev_b32 v10, 16, v4
	v_mov_b64_e32 v[4:5], 1
	s_delay_alu instid0(VALU_DEP_2)
	v_cmpx_eq_f32_e32 v10, v1
	s_cbranch_execz .LBB1149_24
; %bb.26:                               ;   in Loop: Header=BB1149_25 Depth=1
	s_add_nc_u64 s[4:5], s[4:5], -1
	v_add_nc_u64_e32 v[6:7], 2, v[6:7]
	s_cmp_eq_u64 s[4:5], 0
	v_add_nc_u64_e32 v[8:9], 2, v[8:9]
	v_mov_b64_e32 v[4:5], 0
	s_cselect_b32 s20, -1, 0
	s_and_not1_b32 s18, s18, exec_lo
	s_and_b32 s20, s20, exec_lo
	s_delay_alu instid0(SALU_CYCLE_1)
	s_or_b32 s18, s18, s20
	s_branch .LBB1149_24
.LBB1149_27:
	s_or_b32 exec_lo, exec_lo, s17
	s_branch .LBB1149_29
.LBB1149_28:
	v_mov_b64_e32 v[4:5], 0
.LBB1149_29:
	s_or_b32 exec_lo, exec_lo, s3
.LBB1149_30:
	s_cbranch_execnz .LBB1149_51
.LBB1149_31:
	s_cmp_eq_u64 s[0:1], 1
	v_cmp_ne_u32_e32 vcc_lo, 0, v0
	s_cbranch_scc1 .LBB1149_38
; %bb.32:
	v_mov_b64_e32 v[4:5], v[2:3]
	v_lshlrev_b32_e32 v1, 3, v0
	s_mov_b32 s3, 0
	ds_store_b64 v1, v[2:3]
	s_wait_dscnt 0x0
	s_barrier_signal -1
	s_barrier_wait -1
	s_wait_kmcnt 0x0
	s_and_saveexec_b32 s4, vcc_lo
	s_cbranch_execz .LBB1149_40
; %bb.33:
	v_cmp_lt_i64_e64 s0, s[12:13], 1
	s_and_b32 vcc_lo, exec_lo, s0
	s_cbranch_vccnz .LBB1149_48
; %bb.34:
	v_add_nc_u32_e32 v1, -8, v1
	v_mul_u64_e32 v[6:7], s[12:13], v[2:3]
	s_mov_b32 s5, 0
	s_mov_b64 s[0:1], s[12:13]
                                        ; implicit-def: $sgpr17
	ds_load_b64 v[4:5], v1
	s_wait_dscnt 0x0
	v_mul_u64_e32 v[4:5], s[12:13], v[4:5]
	v_lshl_add_u64 v[6:7], v[6:7], 1, s[14:15]
	s_delay_alu instid0(VALU_DEP_2)
	v_lshl_add_u64 v[8:9], v[4:5], 1, s[14:15]
	s_branch .LBB1149_36
.LBB1149_35:                            ;   in Loop: Header=BB1149_36 Depth=1
	s_or_b32 exec_lo, exec_lo, s18
	s_delay_alu instid0(SALU_CYCLE_1) | instskip(NEXT) | instid1(SALU_CYCLE_1)
	s_and_b32 s18, exec_lo, s17
	s_or_b32 s5, s18, s5
	s_delay_alu instid0(SALU_CYCLE_1)
	s_and_not1_b32 exec_lo, exec_lo, s5
	s_cbranch_execz .LBB1149_39
.LBB1149_36:                            ; =>This Inner Loop Header: Depth=1
	global_load_u16 v1, v[8:9], off
	global_load_u16 v4, v[6:7], off
	s_or_b32 s17, s17, exec_lo
	s_mov_b32 s18, exec_lo
	s_wait_loadcnt 0x0
	v_dual_lshlrev_b32 v1, 16, v1 :: v_dual_lshlrev_b32 v10, 16, v4
	v_mov_b64_e32 v[4:5], 1
	s_delay_alu instid0(VALU_DEP_2)
	v_cmpx_eq_f32_e32 v10, v1
	s_cbranch_execz .LBB1149_35
; %bb.37:                               ;   in Loop: Header=BB1149_36 Depth=1
	s_add_nc_u64 s[0:1], s[0:1], -1
	v_add_nc_u64_e32 v[6:7], 2, v[6:7]
	s_cmp_eq_u64 s[0:1], 0
	v_add_nc_u64_e32 v[8:9], 2, v[8:9]
	v_mov_b64_e32 v[4:5], 0
	s_cselect_b32 s19, -1, 0
	s_and_not1_b32 s17, s17, exec_lo
	s_and_b32 s19, s19, exec_lo
	s_delay_alu instid0(SALU_CYCLE_1)
	s_or_b32 s17, s17, s19
	s_branch .LBB1149_35
.LBB1149_38:
                                        ; implicit-def: $vgpr4_vgpr5
	s_branch .LBB1149_41
.LBB1149_39:
	s_or_b32 exec_lo, exec_lo, s5
.LBB1149_40:
	s_delay_alu instid0(SALU_CYCLE_1) | instskip(NEXT) | instid1(SALU_CYCLE_1)
	s_or_b32 exec_lo, exec_lo, s4
	s_and_not1_b32 vcc_lo, exec_lo, s3
	s_cbranch_vccnz .LBB1149_51
.LBB1149_41:
	v_cmp_ne_u32_e32 vcc_lo, 0, v0
	v_cmp_gt_u32_e64 s0, s10, v0
	v_lshlrev_b32_e32 v1, 3, v0
	s_and_b32 s1, vcc_lo, s0
	ds_store_b64 v1, v[2:3]
	s_wait_dscnt 0x0
	s_barrier_signal -1
	s_barrier_wait -1
	s_and_saveexec_b32 s0, s1
	s_cbranch_execz .LBB1149_50
; %bb.42:
	s_wait_kmcnt 0x0
	v_cmp_lt_i64_e64 s1, s[12:13], 1
	s_and_b32 vcc_lo, exec_lo, s1
	s_cbranch_vccnz .LBB1149_49
; %bb.43:
	v_add_nc_u32_e32 v1, -8, v1
	v_mul_u64_e32 v[2:3], s[12:13], v[2:3]
	s_mov_b32 s1, 0
                                        ; implicit-def: $sgpr3
	ds_load_b64 v[4:5], v1
	s_wait_dscnt 0x0
	v_mul_u64_e32 v[6:7], s[12:13], v[4:5]
	v_lshl_add_u64 v[4:5], v[2:3], 1, s[14:15]
	s_delay_alu instid0(VALU_DEP_2)
	v_lshl_add_u64 v[6:7], v[6:7], 1, s[14:15]
	s_branch .LBB1149_45
.LBB1149_44:                            ;   in Loop: Header=BB1149_45 Depth=1
	s_or_b32 exec_lo, exec_lo, s4
	s_delay_alu instid0(SALU_CYCLE_1) | instskip(NEXT) | instid1(SALU_CYCLE_1)
	s_and_b32 s4, exec_lo, s3
	s_or_b32 s1, s4, s1
	s_delay_alu instid0(SALU_CYCLE_1)
	s_and_not1_b32 exec_lo, exec_lo, s1
	s_cbranch_execz .LBB1149_47
.LBB1149_45:                            ; =>This Inner Loop Header: Depth=1
	global_load_u16 v1, v[6:7], off
	global_load_u16 v2, v[4:5], off
	s_or_b32 s3, s3, exec_lo
	s_mov_b32 s4, exec_lo
	s_wait_loadcnt 0x0
	v_dual_lshlrev_b32 v1, 16, v1 :: v_dual_lshlrev_b32 v8, 16, v2
	v_mov_b64_e32 v[2:3], 1
	s_delay_alu instid0(VALU_DEP_2)
	v_cmpx_eq_f32_e32 v8, v1
	s_cbranch_execz .LBB1149_44
; %bb.46:                               ;   in Loop: Header=BB1149_45 Depth=1
	s_add_nc_u64 s[12:13], s[12:13], -1
	v_add_nc_u64_e32 v[4:5], 2, v[4:5]
	s_cmp_eq_u64 s[12:13], 0
	v_add_nc_u64_e32 v[6:7], 2, v[6:7]
	v_mov_b64_e32 v[2:3], 0
	s_cselect_b32 s5, -1, 0
	s_and_not1_b32 s3, s3, exec_lo
	s_and_b32 s5, s5, exec_lo
	s_delay_alu instid0(SALU_CYCLE_1)
	s_or_b32 s3, s3, s5
	s_branch .LBB1149_44
.LBB1149_47:
	s_or_b32 exec_lo, exec_lo, s1
	s_branch .LBB1149_50
.LBB1149_48:
	v_mov_b64_e32 v[4:5], 0
	s_or_b32 exec_lo, exec_lo, s4
	s_delay_alu instid0(SALU_CYCLE_1)
	s_and_not1_b32 vcc_lo, exec_lo, s3
	s_cbranch_vccz .LBB1149_41
	s_branch .LBB1149_51
.LBB1149_49:
	v_mov_b64_e32 v[2:3], 0
.LBB1149_50:
	s_or_b32 exec_lo, exec_lo, s0
	s_delay_alu instid0(VALU_DEP_1)
	v_mov_b64_e32 v[4:5], v[2:3]
.LBB1149_51:
	s_add_nc_u64 s[0:1], s[8:9], s[6:7]
	s_and_b32 vcc_lo, exec_lo, s11
	s_mov_b32 s3, -1
	s_wait_dscnt 0x0
	s_barrier_signal -1
	s_barrier_wait -1
	s_cbranch_vccnz .LBB1149_54
; %bb.52:
	s_and_not1_b32 vcc_lo, exec_lo, s3
	s_cbranch_vccz .LBB1149_57
.LBB1149_53:
	s_endpgm
.LBB1149_54:
	v_lshlrev_b32_e32 v1, 3, v0
	s_lshl_b32 s3, s16, 7
	s_wait_kmcnt 0x0
	s_mov_b32 s4, exec_lo
	s_sub_co_i32 s3, s10, s3
	ds_store_b64 v1, v[4:5]
	s_wait_dscnt 0x0
	s_barrier_signal -1
	s_barrier_wait -1
	v_cmpx_gt_u32_e64 s3, v0
	s_cbranch_execz .LBB1149_56
; %bb.55:
	ds_load_b64 v[2:3], v1
	s_mov_b32 s3, 0
	s_delay_alu instid0(SALU_CYCLE_1) | instskip(NEXT) | instid1(SALU_CYCLE_1)
	s_lshl_b64 s[6:7], s[2:3], 3
	s_add_nc_u64 s[6:7], s[0:1], s[6:7]
	s_wait_dscnt 0x0
	global_store_b64 v0, v[2:3], s[6:7] scale_offset
.LBB1149_56:
	s_wait_xcnt 0x0
	s_or_b32 exec_lo, exec_lo, s4
	s_cbranch_execnz .LBB1149_53
.LBB1149_57:
	v_lshlrev_b32_e32 v1, 3, v0
	s_mov_b32 s3, 0
	s_delay_alu instid0(SALU_CYCLE_1) | instskip(NEXT) | instid1(SALU_CYCLE_1)
	s_lshl_b64 s[2:3], s[2:3], 3
	s_add_nc_u64 s[0:1], s[0:1], s[2:3]
	ds_store_b64 v1, v[4:5]
	s_wait_storecnt_dscnt 0x0
	s_barrier_signal -1
	s_barrier_wait -1
	ds_load_b64 v[2:3], v1
	s_wait_dscnt 0x0
	global_store_b64 v0, v[2:3], s[0:1] scale_offset
	s_endpgm
	.section	.rodata,"a",@progbits
	.p2align	6, 0x0
	.amdhsa_kernel _ZN7rocprim17ROCPRIM_400000_NS6detail17trampoline_kernelINS0_14default_configENS1_35adjacent_difference_config_selectorILb0ElEEZNS1_24adjacent_difference_implIS3_Lb0ELb0EPlS7_ZN2at6native12_GLOBAL__N_124unique_dim_cuda_templateIN3c108BFloat16EEESt5tupleIJNS8_6TensorESF_SF_EERKSF_lbbbEUlllE1_EE10hipError_tPvRmT2_T3_mT4_P12ihipStream_tbEUlT_E_NS1_11comp_targetILNS1_3genE0ELNS1_11target_archE4294967295ELNS1_3gpuE0ELNS1_3repE0EEENS1_30default_config_static_selectorELNS0_4arch9wavefront6targetE0EEEvT1_
		.amdhsa_group_segment_fixed_size 2048
		.amdhsa_private_segment_fixed_size 0
		.amdhsa_kernarg_size 64
		.amdhsa_user_sgpr_count 2
		.amdhsa_user_sgpr_dispatch_ptr 0
		.amdhsa_user_sgpr_queue_ptr 0
		.amdhsa_user_sgpr_kernarg_segment_ptr 1
		.amdhsa_user_sgpr_dispatch_id 0
		.amdhsa_user_sgpr_kernarg_preload_length 0
		.amdhsa_user_sgpr_kernarg_preload_offset 0
		.amdhsa_user_sgpr_private_segment_size 0
		.amdhsa_wavefront_size32 1
		.amdhsa_uses_dynamic_stack 0
		.amdhsa_enable_private_segment 0
		.amdhsa_system_sgpr_workgroup_id_x 1
		.amdhsa_system_sgpr_workgroup_id_y 0
		.amdhsa_system_sgpr_workgroup_id_z 0
		.amdhsa_system_sgpr_workgroup_info 0
		.amdhsa_system_vgpr_workitem_id 0
		.amdhsa_next_free_vgpr 11
		.amdhsa_next_free_sgpr 24
		.amdhsa_named_barrier_count 0
		.amdhsa_reserve_vcc 1
		.amdhsa_float_round_mode_32 0
		.amdhsa_float_round_mode_16_64 0
		.amdhsa_float_denorm_mode_32 3
		.amdhsa_float_denorm_mode_16_64 3
		.amdhsa_fp16_overflow 0
		.amdhsa_memory_ordered 1
		.amdhsa_forward_progress 1
		.amdhsa_inst_pref_size 14
		.amdhsa_round_robin_scheduling 0
		.amdhsa_exception_fp_ieee_invalid_op 0
		.amdhsa_exception_fp_denorm_src 0
		.amdhsa_exception_fp_ieee_div_zero 0
		.amdhsa_exception_fp_ieee_overflow 0
		.amdhsa_exception_fp_ieee_underflow 0
		.amdhsa_exception_fp_ieee_inexact 0
		.amdhsa_exception_int_div_zero 0
	.end_amdhsa_kernel
	.section	.text._ZN7rocprim17ROCPRIM_400000_NS6detail17trampoline_kernelINS0_14default_configENS1_35adjacent_difference_config_selectorILb0ElEEZNS1_24adjacent_difference_implIS3_Lb0ELb0EPlS7_ZN2at6native12_GLOBAL__N_124unique_dim_cuda_templateIN3c108BFloat16EEESt5tupleIJNS8_6TensorESF_SF_EERKSF_lbbbEUlllE1_EE10hipError_tPvRmT2_T3_mT4_P12ihipStream_tbEUlT_E_NS1_11comp_targetILNS1_3genE0ELNS1_11target_archE4294967295ELNS1_3gpuE0ELNS1_3repE0EEENS1_30default_config_static_selectorELNS0_4arch9wavefront6targetE0EEEvT1_,"axG",@progbits,_ZN7rocprim17ROCPRIM_400000_NS6detail17trampoline_kernelINS0_14default_configENS1_35adjacent_difference_config_selectorILb0ElEEZNS1_24adjacent_difference_implIS3_Lb0ELb0EPlS7_ZN2at6native12_GLOBAL__N_124unique_dim_cuda_templateIN3c108BFloat16EEESt5tupleIJNS8_6TensorESF_SF_EERKSF_lbbbEUlllE1_EE10hipError_tPvRmT2_T3_mT4_P12ihipStream_tbEUlT_E_NS1_11comp_targetILNS1_3genE0ELNS1_11target_archE4294967295ELNS1_3gpuE0ELNS1_3repE0EEENS1_30default_config_static_selectorELNS0_4arch9wavefront6targetE0EEEvT1_,comdat
.Lfunc_end1149:
	.size	_ZN7rocprim17ROCPRIM_400000_NS6detail17trampoline_kernelINS0_14default_configENS1_35adjacent_difference_config_selectorILb0ElEEZNS1_24adjacent_difference_implIS3_Lb0ELb0EPlS7_ZN2at6native12_GLOBAL__N_124unique_dim_cuda_templateIN3c108BFloat16EEESt5tupleIJNS8_6TensorESF_SF_EERKSF_lbbbEUlllE1_EE10hipError_tPvRmT2_T3_mT4_P12ihipStream_tbEUlT_E_NS1_11comp_targetILNS1_3genE0ELNS1_11target_archE4294967295ELNS1_3gpuE0ELNS1_3repE0EEENS1_30default_config_static_selectorELNS0_4arch9wavefront6targetE0EEEvT1_, .Lfunc_end1149-_ZN7rocprim17ROCPRIM_400000_NS6detail17trampoline_kernelINS0_14default_configENS1_35adjacent_difference_config_selectorILb0ElEEZNS1_24adjacent_difference_implIS3_Lb0ELb0EPlS7_ZN2at6native12_GLOBAL__N_124unique_dim_cuda_templateIN3c108BFloat16EEESt5tupleIJNS8_6TensorESF_SF_EERKSF_lbbbEUlllE1_EE10hipError_tPvRmT2_T3_mT4_P12ihipStream_tbEUlT_E_NS1_11comp_targetILNS1_3genE0ELNS1_11target_archE4294967295ELNS1_3gpuE0ELNS1_3repE0EEENS1_30default_config_static_selectorELNS0_4arch9wavefront6targetE0EEEvT1_
                                        ; -- End function
	.set _ZN7rocprim17ROCPRIM_400000_NS6detail17trampoline_kernelINS0_14default_configENS1_35adjacent_difference_config_selectorILb0ElEEZNS1_24adjacent_difference_implIS3_Lb0ELb0EPlS7_ZN2at6native12_GLOBAL__N_124unique_dim_cuda_templateIN3c108BFloat16EEESt5tupleIJNS8_6TensorESF_SF_EERKSF_lbbbEUlllE1_EE10hipError_tPvRmT2_T3_mT4_P12ihipStream_tbEUlT_E_NS1_11comp_targetILNS1_3genE0ELNS1_11target_archE4294967295ELNS1_3gpuE0ELNS1_3repE0EEENS1_30default_config_static_selectorELNS0_4arch9wavefront6targetE0EEEvT1_.num_vgpr, 11
	.set _ZN7rocprim17ROCPRIM_400000_NS6detail17trampoline_kernelINS0_14default_configENS1_35adjacent_difference_config_selectorILb0ElEEZNS1_24adjacent_difference_implIS3_Lb0ELb0EPlS7_ZN2at6native12_GLOBAL__N_124unique_dim_cuda_templateIN3c108BFloat16EEESt5tupleIJNS8_6TensorESF_SF_EERKSF_lbbbEUlllE1_EE10hipError_tPvRmT2_T3_mT4_P12ihipStream_tbEUlT_E_NS1_11comp_targetILNS1_3genE0ELNS1_11target_archE4294967295ELNS1_3gpuE0ELNS1_3repE0EEENS1_30default_config_static_selectorELNS0_4arch9wavefront6targetE0EEEvT1_.num_agpr, 0
	.set _ZN7rocprim17ROCPRIM_400000_NS6detail17trampoline_kernelINS0_14default_configENS1_35adjacent_difference_config_selectorILb0ElEEZNS1_24adjacent_difference_implIS3_Lb0ELb0EPlS7_ZN2at6native12_GLOBAL__N_124unique_dim_cuda_templateIN3c108BFloat16EEESt5tupleIJNS8_6TensorESF_SF_EERKSF_lbbbEUlllE1_EE10hipError_tPvRmT2_T3_mT4_P12ihipStream_tbEUlT_E_NS1_11comp_targetILNS1_3genE0ELNS1_11target_archE4294967295ELNS1_3gpuE0ELNS1_3repE0EEENS1_30default_config_static_selectorELNS0_4arch9wavefront6targetE0EEEvT1_.numbered_sgpr, 24
	.set _ZN7rocprim17ROCPRIM_400000_NS6detail17trampoline_kernelINS0_14default_configENS1_35adjacent_difference_config_selectorILb0ElEEZNS1_24adjacent_difference_implIS3_Lb0ELb0EPlS7_ZN2at6native12_GLOBAL__N_124unique_dim_cuda_templateIN3c108BFloat16EEESt5tupleIJNS8_6TensorESF_SF_EERKSF_lbbbEUlllE1_EE10hipError_tPvRmT2_T3_mT4_P12ihipStream_tbEUlT_E_NS1_11comp_targetILNS1_3genE0ELNS1_11target_archE4294967295ELNS1_3gpuE0ELNS1_3repE0EEENS1_30default_config_static_selectorELNS0_4arch9wavefront6targetE0EEEvT1_.num_named_barrier, 0
	.set _ZN7rocprim17ROCPRIM_400000_NS6detail17trampoline_kernelINS0_14default_configENS1_35adjacent_difference_config_selectorILb0ElEEZNS1_24adjacent_difference_implIS3_Lb0ELb0EPlS7_ZN2at6native12_GLOBAL__N_124unique_dim_cuda_templateIN3c108BFloat16EEESt5tupleIJNS8_6TensorESF_SF_EERKSF_lbbbEUlllE1_EE10hipError_tPvRmT2_T3_mT4_P12ihipStream_tbEUlT_E_NS1_11comp_targetILNS1_3genE0ELNS1_11target_archE4294967295ELNS1_3gpuE0ELNS1_3repE0EEENS1_30default_config_static_selectorELNS0_4arch9wavefront6targetE0EEEvT1_.private_seg_size, 0
	.set _ZN7rocprim17ROCPRIM_400000_NS6detail17trampoline_kernelINS0_14default_configENS1_35adjacent_difference_config_selectorILb0ElEEZNS1_24adjacent_difference_implIS3_Lb0ELb0EPlS7_ZN2at6native12_GLOBAL__N_124unique_dim_cuda_templateIN3c108BFloat16EEESt5tupleIJNS8_6TensorESF_SF_EERKSF_lbbbEUlllE1_EE10hipError_tPvRmT2_T3_mT4_P12ihipStream_tbEUlT_E_NS1_11comp_targetILNS1_3genE0ELNS1_11target_archE4294967295ELNS1_3gpuE0ELNS1_3repE0EEENS1_30default_config_static_selectorELNS0_4arch9wavefront6targetE0EEEvT1_.uses_vcc, 1
	.set _ZN7rocprim17ROCPRIM_400000_NS6detail17trampoline_kernelINS0_14default_configENS1_35adjacent_difference_config_selectorILb0ElEEZNS1_24adjacent_difference_implIS3_Lb0ELb0EPlS7_ZN2at6native12_GLOBAL__N_124unique_dim_cuda_templateIN3c108BFloat16EEESt5tupleIJNS8_6TensorESF_SF_EERKSF_lbbbEUlllE1_EE10hipError_tPvRmT2_T3_mT4_P12ihipStream_tbEUlT_E_NS1_11comp_targetILNS1_3genE0ELNS1_11target_archE4294967295ELNS1_3gpuE0ELNS1_3repE0EEENS1_30default_config_static_selectorELNS0_4arch9wavefront6targetE0EEEvT1_.uses_flat_scratch, 0
	.set _ZN7rocprim17ROCPRIM_400000_NS6detail17trampoline_kernelINS0_14default_configENS1_35adjacent_difference_config_selectorILb0ElEEZNS1_24adjacent_difference_implIS3_Lb0ELb0EPlS7_ZN2at6native12_GLOBAL__N_124unique_dim_cuda_templateIN3c108BFloat16EEESt5tupleIJNS8_6TensorESF_SF_EERKSF_lbbbEUlllE1_EE10hipError_tPvRmT2_T3_mT4_P12ihipStream_tbEUlT_E_NS1_11comp_targetILNS1_3genE0ELNS1_11target_archE4294967295ELNS1_3gpuE0ELNS1_3repE0EEENS1_30default_config_static_selectorELNS0_4arch9wavefront6targetE0EEEvT1_.has_dyn_sized_stack, 0
	.set _ZN7rocprim17ROCPRIM_400000_NS6detail17trampoline_kernelINS0_14default_configENS1_35adjacent_difference_config_selectorILb0ElEEZNS1_24adjacent_difference_implIS3_Lb0ELb0EPlS7_ZN2at6native12_GLOBAL__N_124unique_dim_cuda_templateIN3c108BFloat16EEESt5tupleIJNS8_6TensorESF_SF_EERKSF_lbbbEUlllE1_EE10hipError_tPvRmT2_T3_mT4_P12ihipStream_tbEUlT_E_NS1_11comp_targetILNS1_3genE0ELNS1_11target_archE4294967295ELNS1_3gpuE0ELNS1_3repE0EEENS1_30default_config_static_selectorELNS0_4arch9wavefront6targetE0EEEvT1_.has_recursion, 0
	.set _ZN7rocprim17ROCPRIM_400000_NS6detail17trampoline_kernelINS0_14default_configENS1_35adjacent_difference_config_selectorILb0ElEEZNS1_24adjacent_difference_implIS3_Lb0ELb0EPlS7_ZN2at6native12_GLOBAL__N_124unique_dim_cuda_templateIN3c108BFloat16EEESt5tupleIJNS8_6TensorESF_SF_EERKSF_lbbbEUlllE1_EE10hipError_tPvRmT2_T3_mT4_P12ihipStream_tbEUlT_E_NS1_11comp_targetILNS1_3genE0ELNS1_11target_archE4294967295ELNS1_3gpuE0ELNS1_3repE0EEENS1_30default_config_static_selectorELNS0_4arch9wavefront6targetE0EEEvT1_.has_indirect_call, 0
	.section	.AMDGPU.csdata,"",@progbits
; Kernel info:
; codeLenInByte = 1768
; TotalNumSgprs: 26
; NumVgprs: 11
; ScratchSize: 0
; MemoryBound: 0
; FloatMode: 240
; IeeeMode: 1
; LDSByteSize: 2048 bytes/workgroup (compile time only)
; SGPRBlocks: 0
; VGPRBlocks: 0
; NumSGPRsForWavesPerEU: 26
; NumVGPRsForWavesPerEU: 11
; NamedBarCnt: 0
; Occupancy: 16
; WaveLimiterHint : 0
; COMPUTE_PGM_RSRC2:SCRATCH_EN: 0
; COMPUTE_PGM_RSRC2:USER_SGPR: 2
; COMPUTE_PGM_RSRC2:TRAP_HANDLER: 0
; COMPUTE_PGM_RSRC2:TGID_X_EN: 1
; COMPUTE_PGM_RSRC2:TGID_Y_EN: 0
; COMPUTE_PGM_RSRC2:TGID_Z_EN: 0
; COMPUTE_PGM_RSRC2:TIDIG_COMP_CNT: 0
	.section	.text._ZN7rocprim17ROCPRIM_400000_NS6detail17trampoline_kernelINS0_14default_configENS1_35adjacent_difference_config_selectorILb0ElEEZNS1_24adjacent_difference_implIS3_Lb0ELb0EPlS7_ZN2at6native12_GLOBAL__N_124unique_dim_cuda_templateIN3c108BFloat16EEESt5tupleIJNS8_6TensorESF_SF_EERKSF_lbbbEUlllE1_EE10hipError_tPvRmT2_T3_mT4_P12ihipStream_tbEUlT_E_NS1_11comp_targetILNS1_3genE10ELNS1_11target_archE1201ELNS1_3gpuE5ELNS1_3repE0EEENS1_30default_config_static_selectorELNS0_4arch9wavefront6targetE0EEEvT1_,"axG",@progbits,_ZN7rocprim17ROCPRIM_400000_NS6detail17trampoline_kernelINS0_14default_configENS1_35adjacent_difference_config_selectorILb0ElEEZNS1_24adjacent_difference_implIS3_Lb0ELb0EPlS7_ZN2at6native12_GLOBAL__N_124unique_dim_cuda_templateIN3c108BFloat16EEESt5tupleIJNS8_6TensorESF_SF_EERKSF_lbbbEUlllE1_EE10hipError_tPvRmT2_T3_mT4_P12ihipStream_tbEUlT_E_NS1_11comp_targetILNS1_3genE10ELNS1_11target_archE1201ELNS1_3gpuE5ELNS1_3repE0EEENS1_30default_config_static_selectorELNS0_4arch9wavefront6targetE0EEEvT1_,comdat
	.globl	_ZN7rocprim17ROCPRIM_400000_NS6detail17trampoline_kernelINS0_14default_configENS1_35adjacent_difference_config_selectorILb0ElEEZNS1_24adjacent_difference_implIS3_Lb0ELb0EPlS7_ZN2at6native12_GLOBAL__N_124unique_dim_cuda_templateIN3c108BFloat16EEESt5tupleIJNS8_6TensorESF_SF_EERKSF_lbbbEUlllE1_EE10hipError_tPvRmT2_T3_mT4_P12ihipStream_tbEUlT_E_NS1_11comp_targetILNS1_3genE10ELNS1_11target_archE1201ELNS1_3gpuE5ELNS1_3repE0EEENS1_30default_config_static_selectorELNS0_4arch9wavefront6targetE0EEEvT1_ ; -- Begin function _ZN7rocprim17ROCPRIM_400000_NS6detail17trampoline_kernelINS0_14default_configENS1_35adjacent_difference_config_selectorILb0ElEEZNS1_24adjacent_difference_implIS3_Lb0ELb0EPlS7_ZN2at6native12_GLOBAL__N_124unique_dim_cuda_templateIN3c108BFloat16EEESt5tupleIJNS8_6TensorESF_SF_EERKSF_lbbbEUlllE1_EE10hipError_tPvRmT2_T3_mT4_P12ihipStream_tbEUlT_E_NS1_11comp_targetILNS1_3genE10ELNS1_11target_archE1201ELNS1_3gpuE5ELNS1_3repE0EEENS1_30default_config_static_selectorELNS0_4arch9wavefront6targetE0EEEvT1_
	.p2align	8
	.type	_ZN7rocprim17ROCPRIM_400000_NS6detail17trampoline_kernelINS0_14default_configENS1_35adjacent_difference_config_selectorILb0ElEEZNS1_24adjacent_difference_implIS3_Lb0ELb0EPlS7_ZN2at6native12_GLOBAL__N_124unique_dim_cuda_templateIN3c108BFloat16EEESt5tupleIJNS8_6TensorESF_SF_EERKSF_lbbbEUlllE1_EE10hipError_tPvRmT2_T3_mT4_P12ihipStream_tbEUlT_E_NS1_11comp_targetILNS1_3genE10ELNS1_11target_archE1201ELNS1_3gpuE5ELNS1_3repE0EEENS1_30default_config_static_selectorELNS0_4arch9wavefront6targetE0EEEvT1_,@function
_ZN7rocprim17ROCPRIM_400000_NS6detail17trampoline_kernelINS0_14default_configENS1_35adjacent_difference_config_selectorILb0ElEEZNS1_24adjacent_difference_implIS3_Lb0ELb0EPlS7_ZN2at6native12_GLOBAL__N_124unique_dim_cuda_templateIN3c108BFloat16EEESt5tupleIJNS8_6TensorESF_SF_EERKSF_lbbbEUlllE1_EE10hipError_tPvRmT2_T3_mT4_P12ihipStream_tbEUlT_E_NS1_11comp_targetILNS1_3genE10ELNS1_11target_archE1201ELNS1_3gpuE5ELNS1_3repE0EEENS1_30default_config_static_selectorELNS0_4arch9wavefront6targetE0EEEvT1_: ; @_ZN7rocprim17ROCPRIM_400000_NS6detail17trampoline_kernelINS0_14default_configENS1_35adjacent_difference_config_selectorILb0ElEEZNS1_24adjacent_difference_implIS3_Lb0ELb0EPlS7_ZN2at6native12_GLOBAL__N_124unique_dim_cuda_templateIN3c108BFloat16EEESt5tupleIJNS8_6TensorESF_SF_EERKSF_lbbbEUlllE1_EE10hipError_tPvRmT2_T3_mT4_P12ihipStream_tbEUlT_E_NS1_11comp_targetILNS1_3genE10ELNS1_11target_archE1201ELNS1_3gpuE5ELNS1_3repE0EEENS1_30default_config_static_selectorELNS0_4arch9wavefront6targetE0EEEvT1_
; %bb.0:
	.section	.rodata,"a",@progbits
	.p2align	6, 0x0
	.amdhsa_kernel _ZN7rocprim17ROCPRIM_400000_NS6detail17trampoline_kernelINS0_14default_configENS1_35adjacent_difference_config_selectorILb0ElEEZNS1_24adjacent_difference_implIS3_Lb0ELb0EPlS7_ZN2at6native12_GLOBAL__N_124unique_dim_cuda_templateIN3c108BFloat16EEESt5tupleIJNS8_6TensorESF_SF_EERKSF_lbbbEUlllE1_EE10hipError_tPvRmT2_T3_mT4_P12ihipStream_tbEUlT_E_NS1_11comp_targetILNS1_3genE10ELNS1_11target_archE1201ELNS1_3gpuE5ELNS1_3repE0EEENS1_30default_config_static_selectorELNS0_4arch9wavefront6targetE0EEEvT1_
		.amdhsa_group_segment_fixed_size 0
		.amdhsa_private_segment_fixed_size 0
		.amdhsa_kernarg_size 64
		.amdhsa_user_sgpr_count 2
		.amdhsa_user_sgpr_dispatch_ptr 0
		.amdhsa_user_sgpr_queue_ptr 0
		.amdhsa_user_sgpr_kernarg_segment_ptr 1
		.amdhsa_user_sgpr_dispatch_id 0
		.amdhsa_user_sgpr_kernarg_preload_length 0
		.amdhsa_user_sgpr_kernarg_preload_offset 0
		.amdhsa_user_sgpr_private_segment_size 0
		.amdhsa_wavefront_size32 1
		.amdhsa_uses_dynamic_stack 0
		.amdhsa_enable_private_segment 0
		.amdhsa_system_sgpr_workgroup_id_x 1
		.amdhsa_system_sgpr_workgroup_id_y 0
		.amdhsa_system_sgpr_workgroup_id_z 0
		.amdhsa_system_sgpr_workgroup_info 0
		.amdhsa_system_vgpr_workitem_id 0
		.amdhsa_next_free_vgpr 1
		.amdhsa_next_free_sgpr 1
		.amdhsa_named_barrier_count 0
		.amdhsa_reserve_vcc 0
		.amdhsa_float_round_mode_32 0
		.amdhsa_float_round_mode_16_64 0
		.amdhsa_float_denorm_mode_32 3
		.amdhsa_float_denorm_mode_16_64 3
		.amdhsa_fp16_overflow 0
		.amdhsa_memory_ordered 1
		.amdhsa_forward_progress 1
		.amdhsa_inst_pref_size 0
		.amdhsa_round_robin_scheduling 0
		.amdhsa_exception_fp_ieee_invalid_op 0
		.amdhsa_exception_fp_denorm_src 0
		.amdhsa_exception_fp_ieee_div_zero 0
		.amdhsa_exception_fp_ieee_overflow 0
		.amdhsa_exception_fp_ieee_underflow 0
		.amdhsa_exception_fp_ieee_inexact 0
		.amdhsa_exception_int_div_zero 0
	.end_amdhsa_kernel
	.section	.text._ZN7rocprim17ROCPRIM_400000_NS6detail17trampoline_kernelINS0_14default_configENS1_35adjacent_difference_config_selectorILb0ElEEZNS1_24adjacent_difference_implIS3_Lb0ELb0EPlS7_ZN2at6native12_GLOBAL__N_124unique_dim_cuda_templateIN3c108BFloat16EEESt5tupleIJNS8_6TensorESF_SF_EERKSF_lbbbEUlllE1_EE10hipError_tPvRmT2_T3_mT4_P12ihipStream_tbEUlT_E_NS1_11comp_targetILNS1_3genE10ELNS1_11target_archE1201ELNS1_3gpuE5ELNS1_3repE0EEENS1_30default_config_static_selectorELNS0_4arch9wavefront6targetE0EEEvT1_,"axG",@progbits,_ZN7rocprim17ROCPRIM_400000_NS6detail17trampoline_kernelINS0_14default_configENS1_35adjacent_difference_config_selectorILb0ElEEZNS1_24adjacent_difference_implIS3_Lb0ELb0EPlS7_ZN2at6native12_GLOBAL__N_124unique_dim_cuda_templateIN3c108BFloat16EEESt5tupleIJNS8_6TensorESF_SF_EERKSF_lbbbEUlllE1_EE10hipError_tPvRmT2_T3_mT4_P12ihipStream_tbEUlT_E_NS1_11comp_targetILNS1_3genE10ELNS1_11target_archE1201ELNS1_3gpuE5ELNS1_3repE0EEENS1_30default_config_static_selectorELNS0_4arch9wavefront6targetE0EEEvT1_,comdat
.Lfunc_end1150:
	.size	_ZN7rocprim17ROCPRIM_400000_NS6detail17trampoline_kernelINS0_14default_configENS1_35adjacent_difference_config_selectorILb0ElEEZNS1_24adjacent_difference_implIS3_Lb0ELb0EPlS7_ZN2at6native12_GLOBAL__N_124unique_dim_cuda_templateIN3c108BFloat16EEESt5tupleIJNS8_6TensorESF_SF_EERKSF_lbbbEUlllE1_EE10hipError_tPvRmT2_T3_mT4_P12ihipStream_tbEUlT_E_NS1_11comp_targetILNS1_3genE10ELNS1_11target_archE1201ELNS1_3gpuE5ELNS1_3repE0EEENS1_30default_config_static_selectorELNS0_4arch9wavefront6targetE0EEEvT1_, .Lfunc_end1150-_ZN7rocprim17ROCPRIM_400000_NS6detail17trampoline_kernelINS0_14default_configENS1_35adjacent_difference_config_selectorILb0ElEEZNS1_24adjacent_difference_implIS3_Lb0ELb0EPlS7_ZN2at6native12_GLOBAL__N_124unique_dim_cuda_templateIN3c108BFloat16EEESt5tupleIJNS8_6TensorESF_SF_EERKSF_lbbbEUlllE1_EE10hipError_tPvRmT2_T3_mT4_P12ihipStream_tbEUlT_E_NS1_11comp_targetILNS1_3genE10ELNS1_11target_archE1201ELNS1_3gpuE5ELNS1_3repE0EEENS1_30default_config_static_selectorELNS0_4arch9wavefront6targetE0EEEvT1_
                                        ; -- End function
	.set _ZN7rocprim17ROCPRIM_400000_NS6detail17trampoline_kernelINS0_14default_configENS1_35adjacent_difference_config_selectorILb0ElEEZNS1_24adjacent_difference_implIS3_Lb0ELb0EPlS7_ZN2at6native12_GLOBAL__N_124unique_dim_cuda_templateIN3c108BFloat16EEESt5tupleIJNS8_6TensorESF_SF_EERKSF_lbbbEUlllE1_EE10hipError_tPvRmT2_T3_mT4_P12ihipStream_tbEUlT_E_NS1_11comp_targetILNS1_3genE10ELNS1_11target_archE1201ELNS1_3gpuE5ELNS1_3repE0EEENS1_30default_config_static_selectorELNS0_4arch9wavefront6targetE0EEEvT1_.num_vgpr, 0
	.set _ZN7rocprim17ROCPRIM_400000_NS6detail17trampoline_kernelINS0_14default_configENS1_35adjacent_difference_config_selectorILb0ElEEZNS1_24adjacent_difference_implIS3_Lb0ELb0EPlS7_ZN2at6native12_GLOBAL__N_124unique_dim_cuda_templateIN3c108BFloat16EEESt5tupleIJNS8_6TensorESF_SF_EERKSF_lbbbEUlllE1_EE10hipError_tPvRmT2_T3_mT4_P12ihipStream_tbEUlT_E_NS1_11comp_targetILNS1_3genE10ELNS1_11target_archE1201ELNS1_3gpuE5ELNS1_3repE0EEENS1_30default_config_static_selectorELNS0_4arch9wavefront6targetE0EEEvT1_.num_agpr, 0
	.set _ZN7rocprim17ROCPRIM_400000_NS6detail17trampoline_kernelINS0_14default_configENS1_35adjacent_difference_config_selectorILb0ElEEZNS1_24adjacent_difference_implIS3_Lb0ELb0EPlS7_ZN2at6native12_GLOBAL__N_124unique_dim_cuda_templateIN3c108BFloat16EEESt5tupleIJNS8_6TensorESF_SF_EERKSF_lbbbEUlllE1_EE10hipError_tPvRmT2_T3_mT4_P12ihipStream_tbEUlT_E_NS1_11comp_targetILNS1_3genE10ELNS1_11target_archE1201ELNS1_3gpuE5ELNS1_3repE0EEENS1_30default_config_static_selectorELNS0_4arch9wavefront6targetE0EEEvT1_.numbered_sgpr, 0
	.set _ZN7rocprim17ROCPRIM_400000_NS6detail17trampoline_kernelINS0_14default_configENS1_35adjacent_difference_config_selectorILb0ElEEZNS1_24adjacent_difference_implIS3_Lb0ELb0EPlS7_ZN2at6native12_GLOBAL__N_124unique_dim_cuda_templateIN3c108BFloat16EEESt5tupleIJNS8_6TensorESF_SF_EERKSF_lbbbEUlllE1_EE10hipError_tPvRmT2_T3_mT4_P12ihipStream_tbEUlT_E_NS1_11comp_targetILNS1_3genE10ELNS1_11target_archE1201ELNS1_3gpuE5ELNS1_3repE0EEENS1_30default_config_static_selectorELNS0_4arch9wavefront6targetE0EEEvT1_.num_named_barrier, 0
	.set _ZN7rocprim17ROCPRIM_400000_NS6detail17trampoline_kernelINS0_14default_configENS1_35adjacent_difference_config_selectorILb0ElEEZNS1_24adjacent_difference_implIS3_Lb0ELb0EPlS7_ZN2at6native12_GLOBAL__N_124unique_dim_cuda_templateIN3c108BFloat16EEESt5tupleIJNS8_6TensorESF_SF_EERKSF_lbbbEUlllE1_EE10hipError_tPvRmT2_T3_mT4_P12ihipStream_tbEUlT_E_NS1_11comp_targetILNS1_3genE10ELNS1_11target_archE1201ELNS1_3gpuE5ELNS1_3repE0EEENS1_30default_config_static_selectorELNS0_4arch9wavefront6targetE0EEEvT1_.private_seg_size, 0
	.set _ZN7rocprim17ROCPRIM_400000_NS6detail17trampoline_kernelINS0_14default_configENS1_35adjacent_difference_config_selectorILb0ElEEZNS1_24adjacent_difference_implIS3_Lb0ELb0EPlS7_ZN2at6native12_GLOBAL__N_124unique_dim_cuda_templateIN3c108BFloat16EEESt5tupleIJNS8_6TensorESF_SF_EERKSF_lbbbEUlllE1_EE10hipError_tPvRmT2_T3_mT4_P12ihipStream_tbEUlT_E_NS1_11comp_targetILNS1_3genE10ELNS1_11target_archE1201ELNS1_3gpuE5ELNS1_3repE0EEENS1_30default_config_static_selectorELNS0_4arch9wavefront6targetE0EEEvT1_.uses_vcc, 0
	.set _ZN7rocprim17ROCPRIM_400000_NS6detail17trampoline_kernelINS0_14default_configENS1_35adjacent_difference_config_selectorILb0ElEEZNS1_24adjacent_difference_implIS3_Lb0ELb0EPlS7_ZN2at6native12_GLOBAL__N_124unique_dim_cuda_templateIN3c108BFloat16EEESt5tupleIJNS8_6TensorESF_SF_EERKSF_lbbbEUlllE1_EE10hipError_tPvRmT2_T3_mT4_P12ihipStream_tbEUlT_E_NS1_11comp_targetILNS1_3genE10ELNS1_11target_archE1201ELNS1_3gpuE5ELNS1_3repE0EEENS1_30default_config_static_selectorELNS0_4arch9wavefront6targetE0EEEvT1_.uses_flat_scratch, 0
	.set _ZN7rocprim17ROCPRIM_400000_NS6detail17trampoline_kernelINS0_14default_configENS1_35adjacent_difference_config_selectorILb0ElEEZNS1_24adjacent_difference_implIS3_Lb0ELb0EPlS7_ZN2at6native12_GLOBAL__N_124unique_dim_cuda_templateIN3c108BFloat16EEESt5tupleIJNS8_6TensorESF_SF_EERKSF_lbbbEUlllE1_EE10hipError_tPvRmT2_T3_mT4_P12ihipStream_tbEUlT_E_NS1_11comp_targetILNS1_3genE10ELNS1_11target_archE1201ELNS1_3gpuE5ELNS1_3repE0EEENS1_30default_config_static_selectorELNS0_4arch9wavefront6targetE0EEEvT1_.has_dyn_sized_stack, 0
	.set _ZN7rocprim17ROCPRIM_400000_NS6detail17trampoline_kernelINS0_14default_configENS1_35adjacent_difference_config_selectorILb0ElEEZNS1_24adjacent_difference_implIS3_Lb0ELb0EPlS7_ZN2at6native12_GLOBAL__N_124unique_dim_cuda_templateIN3c108BFloat16EEESt5tupleIJNS8_6TensorESF_SF_EERKSF_lbbbEUlllE1_EE10hipError_tPvRmT2_T3_mT4_P12ihipStream_tbEUlT_E_NS1_11comp_targetILNS1_3genE10ELNS1_11target_archE1201ELNS1_3gpuE5ELNS1_3repE0EEENS1_30default_config_static_selectorELNS0_4arch9wavefront6targetE0EEEvT1_.has_recursion, 0
	.set _ZN7rocprim17ROCPRIM_400000_NS6detail17trampoline_kernelINS0_14default_configENS1_35adjacent_difference_config_selectorILb0ElEEZNS1_24adjacent_difference_implIS3_Lb0ELb0EPlS7_ZN2at6native12_GLOBAL__N_124unique_dim_cuda_templateIN3c108BFloat16EEESt5tupleIJNS8_6TensorESF_SF_EERKSF_lbbbEUlllE1_EE10hipError_tPvRmT2_T3_mT4_P12ihipStream_tbEUlT_E_NS1_11comp_targetILNS1_3genE10ELNS1_11target_archE1201ELNS1_3gpuE5ELNS1_3repE0EEENS1_30default_config_static_selectorELNS0_4arch9wavefront6targetE0EEEvT1_.has_indirect_call, 0
	.section	.AMDGPU.csdata,"",@progbits
; Kernel info:
; codeLenInByte = 0
; TotalNumSgprs: 0
; NumVgprs: 0
; ScratchSize: 0
; MemoryBound: 0
; FloatMode: 240
; IeeeMode: 1
; LDSByteSize: 0 bytes/workgroup (compile time only)
; SGPRBlocks: 0
; VGPRBlocks: 0
; NumSGPRsForWavesPerEU: 1
; NumVGPRsForWavesPerEU: 1
; NamedBarCnt: 0
; Occupancy: 16
; WaveLimiterHint : 0
; COMPUTE_PGM_RSRC2:SCRATCH_EN: 0
; COMPUTE_PGM_RSRC2:USER_SGPR: 2
; COMPUTE_PGM_RSRC2:TRAP_HANDLER: 0
; COMPUTE_PGM_RSRC2:TGID_X_EN: 1
; COMPUTE_PGM_RSRC2:TGID_Y_EN: 0
; COMPUTE_PGM_RSRC2:TGID_Z_EN: 0
; COMPUTE_PGM_RSRC2:TIDIG_COMP_CNT: 0
	.section	.text._ZN7rocprim17ROCPRIM_400000_NS6detail17trampoline_kernelINS0_14default_configENS1_35adjacent_difference_config_selectorILb0ElEEZNS1_24adjacent_difference_implIS3_Lb0ELb0EPlS7_ZN2at6native12_GLOBAL__N_124unique_dim_cuda_templateIN3c108BFloat16EEESt5tupleIJNS8_6TensorESF_SF_EERKSF_lbbbEUlllE1_EE10hipError_tPvRmT2_T3_mT4_P12ihipStream_tbEUlT_E_NS1_11comp_targetILNS1_3genE5ELNS1_11target_archE942ELNS1_3gpuE9ELNS1_3repE0EEENS1_30default_config_static_selectorELNS0_4arch9wavefront6targetE0EEEvT1_,"axG",@progbits,_ZN7rocprim17ROCPRIM_400000_NS6detail17trampoline_kernelINS0_14default_configENS1_35adjacent_difference_config_selectorILb0ElEEZNS1_24adjacent_difference_implIS3_Lb0ELb0EPlS7_ZN2at6native12_GLOBAL__N_124unique_dim_cuda_templateIN3c108BFloat16EEESt5tupleIJNS8_6TensorESF_SF_EERKSF_lbbbEUlllE1_EE10hipError_tPvRmT2_T3_mT4_P12ihipStream_tbEUlT_E_NS1_11comp_targetILNS1_3genE5ELNS1_11target_archE942ELNS1_3gpuE9ELNS1_3repE0EEENS1_30default_config_static_selectorELNS0_4arch9wavefront6targetE0EEEvT1_,comdat
	.globl	_ZN7rocprim17ROCPRIM_400000_NS6detail17trampoline_kernelINS0_14default_configENS1_35adjacent_difference_config_selectorILb0ElEEZNS1_24adjacent_difference_implIS3_Lb0ELb0EPlS7_ZN2at6native12_GLOBAL__N_124unique_dim_cuda_templateIN3c108BFloat16EEESt5tupleIJNS8_6TensorESF_SF_EERKSF_lbbbEUlllE1_EE10hipError_tPvRmT2_T3_mT4_P12ihipStream_tbEUlT_E_NS1_11comp_targetILNS1_3genE5ELNS1_11target_archE942ELNS1_3gpuE9ELNS1_3repE0EEENS1_30default_config_static_selectorELNS0_4arch9wavefront6targetE0EEEvT1_ ; -- Begin function _ZN7rocprim17ROCPRIM_400000_NS6detail17trampoline_kernelINS0_14default_configENS1_35adjacent_difference_config_selectorILb0ElEEZNS1_24adjacent_difference_implIS3_Lb0ELb0EPlS7_ZN2at6native12_GLOBAL__N_124unique_dim_cuda_templateIN3c108BFloat16EEESt5tupleIJNS8_6TensorESF_SF_EERKSF_lbbbEUlllE1_EE10hipError_tPvRmT2_T3_mT4_P12ihipStream_tbEUlT_E_NS1_11comp_targetILNS1_3genE5ELNS1_11target_archE942ELNS1_3gpuE9ELNS1_3repE0EEENS1_30default_config_static_selectorELNS0_4arch9wavefront6targetE0EEEvT1_
	.p2align	8
	.type	_ZN7rocprim17ROCPRIM_400000_NS6detail17trampoline_kernelINS0_14default_configENS1_35adjacent_difference_config_selectorILb0ElEEZNS1_24adjacent_difference_implIS3_Lb0ELb0EPlS7_ZN2at6native12_GLOBAL__N_124unique_dim_cuda_templateIN3c108BFloat16EEESt5tupleIJNS8_6TensorESF_SF_EERKSF_lbbbEUlllE1_EE10hipError_tPvRmT2_T3_mT4_P12ihipStream_tbEUlT_E_NS1_11comp_targetILNS1_3genE5ELNS1_11target_archE942ELNS1_3gpuE9ELNS1_3repE0EEENS1_30default_config_static_selectorELNS0_4arch9wavefront6targetE0EEEvT1_,@function
_ZN7rocprim17ROCPRIM_400000_NS6detail17trampoline_kernelINS0_14default_configENS1_35adjacent_difference_config_selectorILb0ElEEZNS1_24adjacent_difference_implIS3_Lb0ELb0EPlS7_ZN2at6native12_GLOBAL__N_124unique_dim_cuda_templateIN3c108BFloat16EEESt5tupleIJNS8_6TensorESF_SF_EERKSF_lbbbEUlllE1_EE10hipError_tPvRmT2_T3_mT4_P12ihipStream_tbEUlT_E_NS1_11comp_targetILNS1_3genE5ELNS1_11target_archE942ELNS1_3gpuE9ELNS1_3repE0EEENS1_30default_config_static_selectorELNS0_4arch9wavefront6targetE0EEEvT1_: ; @_ZN7rocprim17ROCPRIM_400000_NS6detail17trampoline_kernelINS0_14default_configENS1_35adjacent_difference_config_selectorILb0ElEEZNS1_24adjacent_difference_implIS3_Lb0ELb0EPlS7_ZN2at6native12_GLOBAL__N_124unique_dim_cuda_templateIN3c108BFloat16EEESt5tupleIJNS8_6TensorESF_SF_EERKSF_lbbbEUlllE1_EE10hipError_tPvRmT2_T3_mT4_P12ihipStream_tbEUlT_E_NS1_11comp_targetILNS1_3genE5ELNS1_11target_archE942ELNS1_3gpuE9ELNS1_3repE0EEENS1_30default_config_static_selectorELNS0_4arch9wavefront6targetE0EEEvT1_
; %bb.0:
	.section	.rodata,"a",@progbits
	.p2align	6, 0x0
	.amdhsa_kernel _ZN7rocprim17ROCPRIM_400000_NS6detail17trampoline_kernelINS0_14default_configENS1_35adjacent_difference_config_selectorILb0ElEEZNS1_24adjacent_difference_implIS3_Lb0ELb0EPlS7_ZN2at6native12_GLOBAL__N_124unique_dim_cuda_templateIN3c108BFloat16EEESt5tupleIJNS8_6TensorESF_SF_EERKSF_lbbbEUlllE1_EE10hipError_tPvRmT2_T3_mT4_P12ihipStream_tbEUlT_E_NS1_11comp_targetILNS1_3genE5ELNS1_11target_archE942ELNS1_3gpuE9ELNS1_3repE0EEENS1_30default_config_static_selectorELNS0_4arch9wavefront6targetE0EEEvT1_
		.amdhsa_group_segment_fixed_size 0
		.amdhsa_private_segment_fixed_size 0
		.amdhsa_kernarg_size 64
		.amdhsa_user_sgpr_count 2
		.amdhsa_user_sgpr_dispatch_ptr 0
		.amdhsa_user_sgpr_queue_ptr 0
		.amdhsa_user_sgpr_kernarg_segment_ptr 1
		.amdhsa_user_sgpr_dispatch_id 0
		.amdhsa_user_sgpr_kernarg_preload_length 0
		.amdhsa_user_sgpr_kernarg_preload_offset 0
		.amdhsa_user_sgpr_private_segment_size 0
		.amdhsa_wavefront_size32 1
		.amdhsa_uses_dynamic_stack 0
		.amdhsa_enable_private_segment 0
		.amdhsa_system_sgpr_workgroup_id_x 1
		.amdhsa_system_sgpr_workgroup_id_y 0
		.amdhsa_system_sgpr_workgroup_id_z 0
		.amdhsa_system_sgpr_workgroup_info 0
		.amdhsa_system_vgpr_workitem_id 0
		.amdhsa_next_free_vgpr 1
		.amdhsa_next_free_sgpr 1
		.amdhsa_named_barrier_count 0
		.amdhsa_reserve_vcc 0
		.amdhsa_float_round_mode_32 0
		.amdhsa_float_round_mode_16_64 0
		.amdhsa_float_denorm_mode_32 3
		.amdhsa_float_denorm_mode_16_64 3
		.amdhsa_fp16_overflow 0
		.amdhsa_memory_ordered 1
		.amdhsa_forward_progress 1
		.amdhsa_inst_pref_size 0
		.amdhsa_round_robin_scheduling 0
		.amdhsa_exception_fp_ieee_invalid_op 0
		.amdhsa_exception_fp_denorm_src 0
		.amdhsa_exception_fp_ieee_div_zero 0
		.amdhsa_exception_fp_ieee_overflow 0
		.amdhsa_exception_fp_ieee_underflow 0
		.amdhsa_exception_fp_ieee_inexact 0
		.amdhsa_exception_int_div_zero 0
	.end_amdhsa_kernel
	.section	.text._ZN7rocprim17ROCPRIM_400000_NS6detail17trampoline_kernelINS0_14default_configENS1_35adjacent_difference_config_selectorILb0ElEEZNS1_24adjacent_difference_implIS3_Lb0ELb0EPlS7_ZN2at6native12_GLOBAL__N_124unique_dim_cuda_templateIN3c108BFloat16EEESt5tupleIJNS8_6TensorESF_SF_EERKSF_lbbbEUlllE1_EE10hipError_tPvRmT2_T3_mT4_P12ihipStream_tbEUlT_E_NS1_11comp_targetILNS1_3genE5ELNS1_11target_archE942ELNS1_3gpuE9ELNS1_3repE0EEENS1_30default_config_static_selectorELNS0_4arch9wavefront6targetE0EEEvT1_,"axG",@progbits,_ZN7rocprim17ROCPRIM_400000_NS6detail17trampoline_kernelINS0_14default_configENS1_35adjacent_difference_config_selectorILb0ElEEZNS1_24adjacent_difference_implIS3_Lb0ELb0EPlS7_ZN2at6native12_GLOBAL__N_124unique_dim_cuda_templateIN3c108BFloat16EEESt5tupleIJNS8_6TensorESF_SF_EERKSF_lbbbEUlllE1_EE10hipError_tPvRmT2_T3_mT4_P12ihipStream_tbEUlT_E_NS1_11comp_targetILNS1_3genE5ELNS1_11target_archE942ELNS1_3gpuE9ELNS1_3repE0EEENS1_30default_config_static_selectorELNS0_4arch9wavefront6targetE0EEEvT1_,comdat
.Lfunc_end1151:
	.size	_ZN7rocprim17ROCPRIM_400000_NS6detail17trampoline_kernelINS0_14default_configENS1_35adjacent_difference_config_selectorILb0ElEEZNS1_24adjacent_difference_implIS3_Lb0ELb0EPlS7_ZN2at6native12_GLOBAL__N_124unique_dim_cuda_templateIN3c108BFloat16EEESt5tupleIJNS8_6TensorESF_SF_EERKSF_lbbbEUlllE1_EE10hipError_tPvRmT2_T3_mT4_P12ihipStream_tbEUlT_E_NS1_11comp_targetILNS1_3genE5ELNS1_11target_archE942ELNS1_3gpuE9ELNS1_3repE0EEENS1_30default_config_static_selectorELNS0_4arch9wavefront6targetE0EEEvT1_, .Lfunc_end1151-_ZN7rocprim17ROCPRIM_400000_NS6detail17trampoline_kernelINS0_14default_configENS1_35adjacent_difference_config_selectorILb0ElEEZNS1_24adjacent_difference_implIS3_Lb0ELb0EPlS7_ZN2at6native12_GLOBAL__N_124unique_dim_cuda_templateIN3c108BFloat16EEESt5tupleIJNS8_6TensorESF_SF_EERKSF_lbbbEUlllE1_EE10hipError_tPvRmT2_T3_mT4_P12ihipStream_tbEUlT_E_NS1_11comp_targetILNS1_3genE5ELNS1_11target_archE942ELNS1_3gpuE9ELNS1_3repE0EEENS1_30default_config_static_selectorELNS0_4arch9wavefront6targetE0EEEvT1_
                                        ; -- End function
	.set _ZN7rocprim17ROCPRIM_400000_NS6detail17trampoline_kernelINS0_14default_configENS1_35adjacent_difference_config_selectorILb0ElEEZNS1_24adjacent_difference_implIS3_Lb0ELb0EPlS7_ZN2at6native12_GLOBAL__N_124unique_dim_cuda_templateIN3c108BFloat16EEESt5tupleIJNS8_6TensorESF_SF_EERKSF_lbbbEUlllE1_EE10hipError_tPvRmT2_T3_mT4_P12ihipStream_tbEUlT_E_NS1_11comp_targetILNS1_3genE5ELNS1_11target_archE942ELNS1_3gpuE9ELNS1_3repE0EEENS1_30default_config_static_selectorELNS0_4arch9wavefront6targetE0EEEvT1_.num_vgpr, 0
	.set _ZN7rocprim17ROCPRIM_400000_NS6detail17trampoline_kernelINS0_14default_configENS1_35adjacent_difference_config_selectorILb0ElEEZNS1_24adjacent_difference_implIS3_Lb0ELb0EPlS7_ZN2at6native12_GLOBAL__N_124unique_dim_cuda_templateIN3c108BFloat16EEESt5tupleIJNS8_6TensorESF_SF_EERKSF_lbbbEUlllE1_EE10hipError_tPvRmT2_T3_mT4_P12ihipStream_tbEUlT_E_NS1_11comp_targetILNS1_3genE5ELNS1_11target_archE942ELNS1_3gpuE9ELNS1_3repE0EEENS1_30default_config_static_selectorELNS0_4arch9wavefront6targetE0EEEvT1_.num_agpr, 0
	.set _ZN7rocprim17ROCPRIM_400000_NS6detail17trampoline_kernelINS0_14default_configENS1_35adjacent_difference_config_selectorILb0ElEEZNS1_24adjacent_difference_implIS3_Lb0ELb0EPlS7_ZN2at6native12_GLOBAL__N_124unique_dim_cuda_templateIN3c108BFloat16EEESt5tupleIJNS8_6TensorESF_SF_EERKSF_lbbbEUlllE1_EE10hipError_tPvRmT2_T3_mT4_P12ihipStream_tbEUlT_E_NS1_11comp_targetILNS1_3genE5ELNS1_11target_archE942ELNS1_3gpuE9ELNS1_3repE0EEENS1_30default_config_static_selectorELNS0_4arch9wavefront6targetE0EEEvT1_.numbered_sgpr, 0
	.set _ZN7rocprim17ROCPRIM_400000_NS6detail17trampoline_kernelINS0_14default_configENS1_35adjacent_difference_config_selectorILb0ElEEZNS1_24adjacent_difference_implIS3_Lb0ELb0EPlS7_ZN2at6native12_GLOBAL__N_124unique_dim_cuda_templateIN3c108BFloat16EEESt5tupleIJNS8_6TensorESF_SF_EERKSF_lbbbEUlllE1_EE10hipError_tPvRmT2_T3_mT4_P12ihipStream_tbEUlT_E_NS1_11comp_targetILNS1_3genE5ELNS1_11target_archE942ELNS1_3gpuE9ELNS1_3repE0EEENS1_30default_config_static_selectorELNS0_4arch9wavefront6targetE0EEEvT1_.num_named_barrier, 0
	.set _ZN7rocprim17ROCPRIM_400000_NS6detail17trampoline_kernelINS0_14default_configENS1_35adjacent_difference_config_selectorILb0ElEEZNS1_24adjacent_difference_implIS3_Lb0ELb0EPlS7_ZN2at6native12_GLOBAL__N_124unique_dim_cuda_templateIN3c108BFloat16EEESt5tupleIJNS8_6TensorESF_SF_EERKSF_lbbbEUlllE1_EE10hipError_tPvRmT2_T3_mT4_P12ihipStream_tbEUlT_E_NS1_11comp_targetILNS1_3genE5ELNS1_11target_archE942ELNS1_3gpuE9ELNS1_3repE0EEENS1_30default_config_static_selectorELNS0_4arch9wavefront6targetE0EEEvT1_.private_seg_size, 0
	.set _ZN7rocprim17ROCPRIM_400000_NS6detail17trampoline_kernelINS0_14default_configENS1_35adjacent_difference_config_selectorILb0ElEEZNS1_24adjacent_difference_implIS3_Lb0ELb0EPlS7_ZN2at6native12_GLOBAL__N_124unique_dim_cuda_templateIN3c108BFloat16EEESt5tupleIJNS8_6TensorESF_SF_EERKSF_lbbbEUlllE1_EE10hipError_tPvRmT2_T3_mT4_P12ihipStream_tbEUlT_E_NS1_11comp_targetILNS1_3genE5ELNS1_11target_archE942ELNS1_3gpuE9ELNS1_3repE0EEENS1_30default_config_static_selectorELNS0_4arch9wavefront6targetE0EEEvT1_.uses_vcc, 0
	.set _ZN7rocprim17ROCPRIM_400000_NS6detail17trampoline_kernelINS0_14default_configENS1_35adjacent_difference_config_selectorILb0ElEEZNS1_24adjacent_difference_implIS3_Lb0ELb0EPlS7_ZN2at6native12_GLOBAL__N_124unique_dim_cuda_templateIN3c108BFloat16EEESt5tupleIJNS8_6TensorESF_SF_EERKSF_lbbbEUlllE1_EE10hipError_tPvRmT2_T3_mT4_P12ihipStream_tbEUlT_E_NS1_11comp_targetILNS1_3genE5ELNS1_11target_archE942ELNS1_3gpuE9ELNS1_3repE0EEENS1_30default_config_static_selectorELNS0_4arch9wavefront6targetE0EEEvT1_.uses_flat_scratch, 0
	.set _ZN7rocprim17ROCPRIM_400000_NS6detail17trampoline_kernelINS0_14default_configENS1_35adjacent_difference_config_selectorILb0ElEEZNS1_24adjacent_difference_implIS3_Lb0ELb0EPlS7_ZN2at6native12_GLOBAL__N_124unique_dim_cuda_templateIN3c108BFloat16EEESt5tupleIJNS8_6TensorESF_SF_EERKSF_lbbbEUlllE1_EE10hipError_tPvRmT2_T3_mT4_P12ihipStream_tbEUlT_E_NS1_11comp_targetILNS1_3genE5ELNS1_11target_archE942ELNS1_3gpuE9ELNS1_3repE0EEENS1_30default_config_static_selectorELNS0_4arch9wavefront6targetE0EEEvT1_.has_dyn_sized_stack, 0
	.set _ZN7rocprim17ROCPRIM_400000_NS6detail17trampoline_kernelINS0_14default_configENS1_35adjacent_difference_config_selectorILb0ElEEZNS1_24adjacent_difference_implIS3_Lb0ELb0EPlS7_ZN2at6native12_GLOBAL__N_124unique_dim_cuda_templateIN3c108BFloat16EEESt5tupleIJNS8_6TensorESF_SF_EERKSF_lbbbEUlllE1_EE10hipError_tPvRmT2_T3_mT4_P12ihipStream_tbEUlT_E_NS1_11comp_targetILNS1_3genE5ELNS1_11target_archE942ELNS1_3gpuE9ELNS1_3repE0EEENS1_30default_config_static_selectorELNS0_4arch9wavefront6targetE0EEEvT1_.has_recursion, 0
	.set _ZN7rocprim17ROCPRIM_400000_NS6detail17trampoline_kernelINS0_14default_configENS1_35adjacent_difference_config_selectorILb0ElEEZNS1_24adjacent_difference_implIS3_Lb0ELb0EPlS7_ZN2at6native12_GLOBAL__N_124unique_dim_cuda_templateIN3c108BFloat16EEESt5tupleIJNS8_6TensorESF_SF_EERKSF_lbbbEUlllE1_EE10hipError_tPvRmT2_T3_mT4_P12ihipStream_tbEUlT_E_NS1_11comp_targetILNS1_3genE5ELNS1_11target_archE942ELNS1_3gpuE9ELNS1_3repE0EEENS1_30default_config_static_selectorELNS0_4arch9wavefront6targetE0EEEvT1_.has_indirect_call, 0
	.section	.AMDGPU.csdata,"",@progbits
; Kernel info:
; codeLenInByte = 0
; TotalNumSgprs: 0
; NumVgprs: 0
; ScratchSize: 0
; MemoryBound: 0
; FloatMode: 240
; IeeeMode: 1
; LDSByteSize: 0 bytes/workgroup (compile time only)
; SGPRBlocks: 0
; VGPRBlocks: 0
; NumSGPRsForWavesPerEU: 1
; NumVGPRsForWavesPerEU: 1
; NamedBarCnt: 0
; Occupancy: 16
; WaveLimiterHint : 0
; COMPUTE_PGM_RSRC2:SCRATCH_EN: 0
; COMPUTE_PGM_RSRC2:USER_SGPR: 2
; COMPUTE_PGM_RSRC2:TRAP_HANDLER: 0
; COMPUTE_PGM_RSRC2:TGID_X_EN: 1
; COMPUTE_PGM_RSRC2:TGID_Y_EN: 0
; COMPUTE_PGM_RSRC2:TGID_Z_EN: 0
; COMPUTE_PGM_RSRC2:TIDIG_COMP_CNT: 0
	.section	.text._ZN7rocprim17ROCPRIM_400000_NS6detail17trampoline_kernelINS0_14default_configENS1_35adjacent_difference_config_selectorILb0ElEEZNS1_24adjacent_difference_implIS3_Lb0ELb0EPlS7_ZN2at6native12_GLOBAL__N_124unique_dim_cuda_templateIN3c108BFloat16EEESt5tupleIJNS8_6TensorESF_SF_EERKSF_lbbbEUlllE1_EE10hipError_tPvRmT2_T3_mT4_P12ihipStream_tbEUlT_E_NS1_11comp_targetILNS1_3genE4ELNS1_11target_archE910ELNS1_3gpuE8ELNS1_3repE0EEENS1_30default_config_static_selectorELNS0_4arch9wavefront6targetE0EEEvT1_,"axG",@progbits,_ZN7rocprim17ROCPRIM_400000_NS6detail17trampoline_kernelINS0_14default_configENS1_35adjacent_difference_config_selectorILb0ElEEZNS1_24adjacent_difference_implIS3_Lb0ELb0EPlS7_ZN2at6native12_GLOBAL__N_124unique_dim_cuda_templateIN3c108BFloat16EEESt5tupleIJNS8_6TensorESF_SF_EERKSF_lbbbEUlllE1_EE10hipError_tPvRmT2_T3_mT4_P12ihipStream_tbEUlT_E_NS1_11comp_targetILNS1_3genE4ELNS1_11target_archE910ELNS1_3gpuE8ELNS1_3repE0EEENS1_30default_config_static_selectorELNS0_4arch9wavefront6targetE0EEEvT1_,comdat
	.globl	_ZN7rocprim17ROCPRIM_400000_NS6detail17trampoline_kernelINS0_14default_configENS1_35adjacent_difference_config_selectorILb0ElEEZNS1_24adjacent_difference_implIS3_Lb0ELb0EPlS7_ZN2at6native12_GLOBAL__N_124unique_dim_cuda_templateIN3c108BFloat16EEESt5tupleIJNS8_6TensorESF_SF_EERKSF_lbbbEUlllE1_EE10hipError_tPvRmT2_T3_mT4_P12ihipStream_tbEUlT_E_NS1_11comp_targetILNS1_3genE4ELNS1_11target_archE910ELNS1_3gpuE8ELNS1_3repE0EEENS1_30default_config_static_selectorELNS0_4arch9wavefront6targetE0EEEvT1_ ; -- Begin function _ZN7rocprim17ROCPRIM_400000_NS6detail17trampoline_kernelINS0_14default_configENS1_35adjacent_difference_config_selectorILb0ElEEZNS1_24adjacent_difference_implIS3_Lb0ELb0EPlS7_ZN2at6native12_GLOBAL__N_124unique_dim_cuda_templateIN3c108BFloat16EEESt5tupleIJNS8_6TensorESF_SF_EERKSF_lbbbEUlllE1_EE10hipError_tPvRmT2_T3_mT4_P12ihipStream_tbEUlT_E_NS1_11comp_targetILNS1_3genE4ELNS1_11target_archE910ELNS1_3gpuE8ELNS1_3repE0EEENS1_30default_config_static_selectorELNS0_4arch9wavefront6targetE0EEEvT1_
	.p2align	8
	.type	_ZN7rocprim17ROCPRIM_400000_NS6detail17trampoline_kernelINS0_14default_configENS1_35adjacent_difference_config_selectorILb0ElEEZNS1_24adjacent_difference_implIS3_Lb0ELb0EPlS7_ZN2at6native12_GLOBAL__N_124unique_dim_cuda_templateIN3c108BFloat16EEESt5tupleIJNS8_6TensorESF_SF_EERKSF_lbbbEUlllE1_EE10hipError_tPvRmT2_T3_mT4_P12ihipStream_tbEUlT_E_NS1_11comp_targetILNS1_3genE4ELNS1_11target_archE910ELNS1_3gpuE8ELNS1_3repE0EEENS1_30default_config_static_selectorELNS0_4arch9wavefront6targetE0EEEvT1_,@function
_ZN7rocprim17ROCPRIM_400000_NS6detail17trampoline_kernelINS0_14default_configENS1_35adjacent_difference_config_selectorILb0ElEEZNS1_24adjacent_difference_implIS3_Lb0ELb0EPlS7_ZN2at6native12_GLOBAL__N_124unique_dim_cuda_templateIN3c108BFloat16EEESt5tupleIJNS8_6TensorESF_SF_EERKSF_lbbbEUlllE1_EE10hipError_tPvRmT2_T3_mT4_P12ihipStream_tbEUlT_E_NS1_11comp_targetILNS1_3genE4ELNS1_11target_archE910ELNS1_3gpuE8ELNS1_3repE0EEENS1_30default_config_static_selectorELNS0_4arch9wavefront6targetE0EEEvT1_: ; @_ZN7rocprim17ROCPRIM_400000_NS6detail17trampoline_kernelINS0_14default_configENS1_35adjacent_difference_config_selectorILb0ElEEZNS1_24adjacent_difference_implIS3_Lb0ELb0EPlS7_ZN2at6native12_GLOBAL__N_124unique_dim_cuda_templateIN3c108BFloat16EEESt5tupleIJNS8_6TensorESF_SF_EERKSF_lbbbEUlllE1_EE10hipError_tPvRmT2_T3_mT4_P12ihipStream_tbEUlT_E_NS1_11comp_targetILNS1_3genE4ELNS1_11target_archE910ELNS1_3gpuE8ELNS1_3repE0EEENS1_30default_config_static_selectorELNS0_4arch9wavefront6targetE0EEEvT1_
; %bb.0:
	.section	.rodata,"a",@progbits
	.p2align	6, 0x0
	.amdhsa_kernel _ZN7rocprim17ROCPRIM_400000_NS6detail17trampoline_kernelINS0_14default_configENS1_35adjacent_difference_config_selectorILb0ElEEZNS1_24adjacent_difference_implIS3_Lb0ELb0EPlS7_ZN2at6native12_GLOBAL__N_124unique_dim_cuda_templateIN3c108BFloat16EEESt5tupleIJNS8_6TensorESF_SF_EERKSF_lbbbEUlllE1_EE10hipError_tPvRmT2_T3_mT4_P12ihipStream_tbEUlT_E_NS1_11comp_targetILNS1_3genE4ELNS1_11target_archE910ELNS1_3gpuE8ELNS1_3repE0EEENS1_30default_config_static_selectorELNS0_4arch9wavefront6targetE0EEEvT1_
		.amdhsa_group_segment_fixed_size 0
		.amdhsa_private_segment_fixed_size 0
		.amdhsa_kernarg_size 64
		.amdhsa_user_sgpr_count 2
		.amdhsa_user_sgpr_dispatch_ptr 0
		.amdhsa_user_sgpr_queue_ptr 0
		.amdhsa_user_sgpr_kernarg_segment_ptr 1
		.amdhsa_user_sgpr_dispatch_id 0
		.amdhsa_user_sgpr_kernarg_preload_length 0
		.amdhsa_user_sgpr_kernarg_preload_offset 0
		.amdhsa_user_sgpr_private_segment_size 0
		.amdhsa_wavefront_size32 1
		.amdhsa_uses_dynamic_stack 0
		.amdhsa_enable_private_segment 0
		.amdhsa_system_sgpr_workgroup_id_x 1
		.amdhsa_system_sgpr_workgroup_id_y 0
		.amdhsa_system_sgpr_workgroup_id_z 0
		.amdhsa_system_sgpr_workgroup_info 0
		.amdhsa_system_vgpr_workitem_id 0
		.amdhsa_next_free_vgpr 1
		.amdhsa_next_free_sgpr 1
		.amdhsa_named_barrier_count 0
		.amdhsa_reserve_vcc 0
		.amdhsa_float_round_mode_32 0
		.amdhsa_float_round_mode_16_64 0
		.amdhsa_float_denorm_mode_32 3
		.amdhsa_float_denorm_mode_16_64 3
		.amdhsa_fp16_overflow 0
		.amdhsa_memory_ordered 1
		.amdhsa_forward_progress 1
		.amdhsa_inst_pref_size 0
		.amdhsa_round_robin_scheduling 0
		.amdhsa_exception_fp_ieee_invalid_op 0
		.amdhsa_exception_fp_denorm_src 0
		.amdhsa_exception_fp_ieee_div_zero 0
		.amdhsa_exception_fp_ieee_overflow 0
		.amdhsa_exception_fp_ieee_underflow 0
		.amdhsa_exception_fp_ieee_inexact 0
		.amdhsa_exception_int_div_zero 0
	.end_amdhsa_kernel
	.section	.text._ZN7rocprim17ROCPRIM_400000_NS6detail17trampoline_kernelINS0_14default_configENS1_35adjacent_difference_config_selectorILb0ElEEZNS1_24adjacent_difference_implIS3_Lb0ELb0EPlS7_ZN2at6native12_GLOBAL__N_124unique_dim_cuda_templateIN3c108BFloat16EEESt5tupleIJNS8_6TensorESF_SF_EERKSF_lbbbEUlllE1_EE10hipError_tPvRmT2_T3_mT4_P12ihipStream_tbEUlT_E_NS1_11comp_targetILNS1_3genE4ELNS1_11target_archE910ELNS1_3gpuE8ELNS1_3repE0EEENS1_30default_config_static_selectorELNS0_4arch9wavefront6targetE0EEEvT1_,"axG",@progbits,_ZN7rocprim17ROCPRIM_400000_NS6detail17trampoline_kernelINS0_14default_configENS1_35adjacent_difference_config_selectorILb0ElEEZNS1_24adjacent_difference_implIS3_Lb0ELb0EPlS7_ZN2at6native12_GLOBAL__N_124unique_dim_cuda_templateIN3c108BFloat16EEESt5tupleIJNS8_6TensorESF_SF_EERKSF_lbbbEUlllE1_EE10hipError_tPvRmT2_T3_mT4_P12ihipStream_tbEUlT_E_NS1_11comp_targetILNS1_3genE4ELNS1_11target_archE910ELNS1_3gpuE8ELNS1_3repE0EEENS1_30default_config_static_selectorELNS0_4arch9wavefront6targetE0EEEvT1_,comdat
.Lfunc_end1152:
	.size	_ZN7rocprim17ROCPRIM_400000_NS6detail17trampoline_kernelINS0_14default_configENS1_35adjacent_difference_config_selectorILb0ElEEZNS1_24adjacent_difference_implIS3_Lb0ELb0EPlS7_ZN2at6native12_GLOBAL__N_124unique_dim_cuda_templateIN3c108BFloat16EEESt5tupleIJNS8_6TensorESF_SF_EERKSF_lbbbEUlllE1_EE10hipError_tPvRmT2_T3_mT4_P12ihipStream_tbEUlT_E_NS1_11comp_targetILNS1_3genE4ELNS1_11target_archE910ELNS1_3gpuE8ELNS1_3repE0EEENS1_30default_config_static_selectorELNS0_4arch9wavefront6targetE0EEEvT1_, .Lfunc_end1152-_ZN7rocprim17ROCPRIM_400000_NS6detail17trampoline_kernelINS0_14default_configENS1_35adjacent_difference_config_selectorILb0ElEEZNS1_24adjacent_difference_implIS3_Lb0ELb0EPlS7_ZN2at6native12_GLOBAL__N_124unique_dim_cuda_templateIN3c108BFloat16EEESt5tupleIJNS8_6TensorESF_SF_EERKSF_lbbbEUlllE1_EE10hipError_tPvRmT2_T3_mT4_P12ihipStream_tbEUlT_E_NS1_11comp_targetILNS1_3genE4ELNS1_11target_archE910ELNS1_3gpuE8ELNS1_3repE0EEENS1_30default_config_static_selectorELNS0_4arch9wavefront6targetE0EEEvT1_
                                        ; -- End function
	.set _ZN7rocprim17ROCPRIM_400000_NS6detail17trampoline_kernelINS0_14default_configENS1_35adjacent_difference_config_selectorILb0ElEEZNS1_24adjacent_difference_implIS3_Lb0ELb0EPlS7_ZN2at6native12_GLOBAL__N_124unique_dim_cuda_templateIN3c108BFloat16EEESt5tupleIJNS8_6TensorESF_SF_EERKSF_lbbbEUlllE1_EE10hipError_tPvRmT2_T3_mT4_P12ihipStream_tbEUlT_E_NS1_11comp_targetILNS1_3genE4ELNS1_11target_archE910ELNS1_3gpuE8ELNS1_3repE0EEENS1_30default_config_static_selectorELNS0_4arch9wavefront6targetE0EEEvT1_.num_vgpr, 0
	.set _ZN7rocprim17ROCPRIM_400000_NS6detail17trampoline_kernelINS0_14default_configENS1_35adjacent_difference_config_selectorILb0ElEEZNS1_24adjacent_difference_implIS3_Lb0ELb0EPlS7_ZN2at6native12_GLOBAL__N_124unique_dim_cuda_templateIN3c108BFloat16EEESt5tupleIJNS8_6TensorESF_SF_EERKSF_lbbbEUlllE1_EE10hipError_tPvRmT2_T3_mT4_P12ihipStream_tbEUlT_E_NS1_11comp_targetILNS1_3genE4ELNS1_11target_archE910ELNS1_3gpuE8ELNS1_3repE0EEENS1_30default_config_static_selectorELNS0_4arch9wavefront6targetE0EEEvT1_.num_agpr, 0
	.set _ZN7rocprim17ROCPRIM_400000_NS6detail17trampoline_kernelINS0_14default_configENS1_35adjacent_difference_config_selectorILb0ElEEZNS1_24adjacent_difference_implIS3_Lb0ELb0EPlS7_ZN2at6native12_GLOBAL__N_124unique_dim_cuda_templateIN3c108BFloat16EEESt5tupleIJNS8_6TensorESF_SF_EERKSF_lbbbEUlllE1_EE10hipError_tPvRmT2_T3_mT4_P12ihipStream_tbEUlT_E_NS1_11comp_targetILNS1_3genE4ELNS1_11target_archE910ELNS1_3gpuE8ELNS1_3repE0EEENS1_30default_config_static_selectorELNS0_4arch9wavefront6targetE0EEEvT1_.numbered_sgpr, 0
	.set _ZN7rocprim17ROCPRIM_400000_NS6detail17trampoline_kernelINS0_14default_configENS1_35adjacent_difference_config_selectorILb0ElEEZNS1_24adjacent_difference_implIS3_Lb0ELb0EPlS7_ZN2at6native12_GLOBAL__N_124unique_dim_cuda_templateIN3c108BFloat16EEESt5tupleIJNS8_6TensorESF_SF_EERKSF_lbbbEUlllE1_EE10hipError_tPvRmT2_T3_mT4_P12ihipStream_tbEUlT_E_NS1_11comp_targetILNS1_3genE4ELNS1_11target_archE910ELNS1_3gpuE8ELNS1_3repE0EEENS1_30default_config_static_selectorELNS0_4arch9wavefront6targetE0EEEvT1_.num_named_barrier, 0
	.set _ZN7rocprim17ROCPRIM_400000_NS6detail17trampoline_kernelINS0_14default_configENS1_35adjacent_difference_config_selectorILb0ElEEZNS1_24adjacent_difference_implIS3_Lb0ELb0EPlS7_ZN2at6native12_GLOBAL__N_124unique_dim_cuda_templateIN3c108BFloat16EEESt5tupleIJNS8_6TensorESF_SF_EERKSF_lbbbEUlllE1_EE10hipError_tPvRmT2_T3_mT4_P12ihipStream_tbEUlT_E_NS1_11comp_targetILNS1_3genE4ELNS1_11target_archE910ELNS1_3gpuE8ELNS1_3repE0EEENS1_30default_config_static_selectorELNS0_4arch9wavefront6targetE0EEEvT1_.private_seg_size, 0
	.set _ZN7rocprim17ROCPRIM_400000_NS6detail17trampoline_kernelINS0_14default_configENS1_35adjacent_difference_config_selectorILb0ElEEZNS1_24adjacent_difference_implIS3_Lb0ELb0EPlS7_ZN2at6native12_GLOBAL__N_124unique_dim_cuda_templateIN3c108BFloat16EEESt5tupleIJNS8_6TensorESF_SF_EERKSF_lbbbEUlllE1_EE10hipError_tPvRmT2_T3_mT4_P12ihipStream_tbEUlT_E_NS1_11comp_targetILNS1_3genE4ELNS1_11target_archE910ELNS1_3gpuE8ELNS1_3repE0EEENS1_30default_config_static_selectorELNS0_4arch9wavefront6targetE0EEEvT1_.uses_vcc, 0
	.set _ZN7rocprim17ROCPRIM_400000_NS6detail17trampoline_kernelINS0_14default_configENS1_35adjacent_difference_config_selectorILb0ElEEZNS1_24adjacent_difference_implIS3_Lb0ELb0EPlS7_ZN2at6native12_GLOBAL__N_124unique_dim_cuda_templateIN3c108BFloat16EEESt5tupleIJNS8_6TensorESF_SF_EERKSF_lbbbEUlllE1_EE10hipError_tPvRmT2_T3_mT4_P12ihipStream_tbEUlT_E_NS1_11comp_targetILNS1_3genE4ELNS1_11target_archE910ELNS1_3gpuE8ELNS1_3repE0EEENS1_30default_config_static_selectorELNS0_4arch9wavefront6targetE0EEEvT1_.uses_flat_scratch, 0
	.set _ZN7rocprim17ROCPRIM_400000_NS6detail17trampoline_kernelINS0_14default_configENS1_35adjacent_difference_config_selectorILb0ElEEZNS1_24adjacent_difference_implIS3_Lb0ELb0EPlS7_ZN2at6native12_GLOBAL__N_124unique_dim_cuda_templateIN3c108BFloat16EEESt5tupleIJNS8_6TensorESF_SF_EERKSF_lbbbEUlllE1_EE10hipError_tPvRmT2_T3_mT4_P12ihipStream_tbEUlT_E_NS1_11comp_targetILNS1_3genE4ELNS1_11target_archE910ELNS1_3gpuE8ELNS1_3repE0EEENS1_30default_config_static_selectorELNS0_4arch9wavefront6targetE0EEEvT1_.has_dyn_sized_stack, 0
	.set _ZN7rocprim17ROCPRIM_400000_NS6detail17trampoline_kernelINS0_14default_configENS1_35adjacent_difference_config_selectorILb0ElEEZNS1_24adjacent_difference_implIS3_Lb0ELb0EPlS7_ZN2at6native12_GLOBAL__N_124unique_dim_cuda_templateIN3c108BFloat16EEESt5tupleIJNS8_6TensorESF_SF_EERKSF_lbbbEUlllE1_EE10hipError_tPvRmT2_T3_mT4_P12ihipStream_tbEUlT_E_NS1_11comp_targetILNS1_3genE4ELNS1_11target_archE910ELNS1_3gpuE8ELNS1_3repE0EEENS1_30default_config_static_selectorELNS0_4arch9wavefront6targetE0EEEvT1_.has_recursion, 0
	.set _ZN7rocprim17ROCPRIM_400000_NS6detail17trampoline_kernelINS0_14default_configENS1_35adjacent_difference_config_selectorILb0ElEEZNS1_24adjacent_difference_implIS3_Lb0ELb0EPlS7_ZN2at6native12_GLOBAL__N_124unique_dim_cuda_templateIN3c108BFloat16EEESt5tupleIJNS8_6TensorESF_SF_EERKSF_lbbbEUlllE1_EE10hipError_tPvRmT2_T3_mT4_P12ihipStream_tbEUlT_E_NS1_11comp_targetILNS1_3genE4ELNS1_11target_archE910ELNS1_3gpuE8ELNS1_3repE0EEENS1_30default_config_static_selectorELNS0_4arch9wavefront6targetE0EEEvT1_.has_indirect_call, 0
	.section	.AMDGPU.csdata,"",@progbits
; Kernel info:
; codeLenInByte = 0
; TotalNumSgprs: 0
; NumVgprs: 0
; ScratchSize: 0
; MemoryBound: 0
; FloatMode: 240
; IeeeMode: 1
; LDSByteSize: 0 bytes/workgroup (compile time only)
; SGPRBlocks: 0
; VGPRBlocks: 0
; NumSGPRsForWavesPerEU: 1
; NumVGPRsForWavesPerEU: 1
; NamedBarCnt: 0
; Occupancy: 16
; WaveLimiterHint : 0
; COMPUTE_PGM_RSRC2:SCRATCH_EN: 0
; COMPUTE_PGM_RSRC2:USER_SGPR: 2
; COMPUTE_PGM_RSRC2:TRAP_HANDLER: 0
; COMPUTE_PGM_RSRC2:TGID_X_EN: 1
; COMPUTE_PGM_RSRC2:TGID_Y_EN: 0
; COMPUTE_PGM_RSRC2:TGID_Z_EN: 0
; COMPUTE_PGM_RSRC2:TIDIG_COMP_CNT: 0
	.section	.text._ZN7rocprim17ROCPRIM_400000_NS6detail17trampoline_kernelINS0_14default_configENS1_35adjacent_difference_config_selectorILb0ElEEZNS1_24adjacent_difference_implIS3_Lb0ELb0EPlS7_ZN2at6native12_GLOBAL__N_124unique_dim_cuda_templateIN3c108BFloat16EEESt5tupleIJNS8_6TensorESF_SF_EERKSF_lbbbEUlllE1_EE10hipError_tPvRmT2_T3_mT4_P12ihipStream_tbEUlT_E_NS1_11comp_targetILNS1_3genE3ELNS1_11target_archE908ELNS1_3gpuE7ELNS1_3repE0EEENS1_30default_config_static_selectorELNS0_4arch9wavefront6targetE0EEEvT1_,"axG",@progbits,_ZN7rocprim17ROCPRIM_400000_NS6detail17trampoline_kernelINS0_14default_configENS1_35adjacent_difference_config_selectorILb0ElEEZNS1_24adjacent_difference_implIS3_Lb0ELb0EPlS7_ZN2at6native12_GLOBAL__N_124unique_dim_cuda_templateIN3c108BFloat16EEESt5tupleIJNS8_6TensorESF_SF_EERKSF_lbbbEUlllE1_EE10hipError_tPvRmT2_T3_mT4_P12ihipStream_tbEUlT_E_NS1_11comp_targetILNS1_3genE3ELNS1_11target_archE908ELNS1_3gpuE7ELNS1_3repE0EEENS1_30default_config_static_selectorELNS0_4arch9wavefront6targetE0EEEvT1_,comdat
	.globl	_ZN7rocprim17ROCPRIM_400000_NS6detail17trampoline_kernelINS0_14default_configENS1_35adjacent_difference_config_selectorILb0ElEEZNS1_24adjacent_difference_implIS3_Lb0ELb0EPlS7_ZN2at6native12_GLOBAL__N_124unique_dim_cuda_templateIN3c108BFloat16EEESt5tupleIJNS8_6TensorESF_SF_EERKSF_lbbbEUlllE1_EE10hipError_tPvRmT2_T3_mT4_P12ihipStream_tbEUlT_E_NS1_11comp_targetILNS1_3genE3ELNS1_11target_archE908ELNS1_3gpuE7ELNS1_3repE0EEENS1_30default_config_static_selectorELNS0_4arch9wavefront6targetE0EEEvT1_ ; -- Begin function _ZN7rocprim17ROCPRIM_400000_NS6detail17trampoline_kernelINS0_14default_configENS1_35adjacent_difference_config_selectorILb0ElEEZNS1_24adjacent_difference_implIS3_Lb0ELb0EPlS7_ZN2at6native12_GLOBAL__N_124unique_dim_cuda_templateIN3c108BFloat16EEESt5tupleIJNS8_6TensorESF_SF_EERKSF_lbbbEUlllE1_EE10hipError_tPvRmT2_T3_mT4_P12ihipStream_tbEUlT_E_NS1_11comp_targetILNS1_3genE3ELNS1_11target_archE908ELNS1_3gpuE7ELNS1_3repE0EEENS1_30default_config_static_selectorELNS0_4arch9wavefront6targetE0EEEvT1_
	.p2align	8
	.type	_ZN7rocprim17ROCPRIM_400000_NS6detail17trampoline_kernelINS0_14default_configENS1_35adjacent_difference_config_selectorILb0ElEEZNS1_24adjacent_difference_implIS3_Lb0ELb0EPlS7_ZN2at6native12_GLOBAL__N_124unique_dim_cuda_templateIN3c108BFloat16EEESt5tupleIJNS8_6TensorESF_SF_EERKSF_lbbbEUlllE1_EE10hipError_tPvRmT2_T3_mT4_P12ihipStream_tbEUlT_E_NS1_11comp_targetILNS1_3genE3ELNS1_11target_archE908ELNS1_3gpuE7ELNS1_3repE0EEENS1_30default_config_static_selectorELNS0_4arch9wavefront6targetE0EEEvT1_,@function
_ZN7rocprim17ROCPRIM_400000_NS6detail17trampoline_kernelINS0_14default_configENS1_35adjacent_difference_config_selectorILb0ElEEZNS1_24adjacent_difference_implIS3_Lb0ELb0EPlS7_ZN2at6native12_GLOBAL__N_124unique_dim_cuda_templateIN3c108BFloat16EEESt5tupleIJNS8_6TensorESF_SF_EERKSF_lbbbEUlllE1_EE10hipError_tPvRmT2_T3_mT4_P12ihipStream_tbEUlT_E_NS1_11comp_targetILNS1_3genE3ELNS1_11target_archE908ELNS1_3gpuE7ELNS1_3repE0EEENS1_30default_config_static_selectorELNS0_4arch9wavefront6targetE0EEEvT1_: ; @_ZN7rocprim17ROCPRIM_400000_NS6detail17trampoline_kernelINS0_14default_configENS1_35adjacent_difference_config_selectorILb0ElEEZNS1_24adjacent_difference_implIS3_Lb0ELb0EPlS7_ZN2at6native12_GLOBAL__N_124unique_dim_cuda_templateIN3c108BFloat16EEESt5tupleIJNS8_6TensorESF_SF_EERKSF_lbbbEUlllE1_EE10hipError_tPvRmT2_T3_mT4_P12ihipStream_tbEUlT_E_NS1_11comp_targetILNS1_3genE3ELNS1_11target_archE908ELNS1_3gpuE7ELNS1_3repE0EEENS1_30default_config_static_selectorELNS0_4arch9wavefront6targetE0EEEvT1_
; %bb.0:
	.section	.rodata,"a",@progbits
	.p2align	6, 0x0
	.amdhsa_kernel _ZN7rocprim17ROCPRIM_400000_NS6detail17trampoline_kernelINS0_14default_configENS1_35adjacent_difference_config_selectorILb0ElEEZNS1_24adjacent_difference_implIS3_Lb0ELb0EPlS7_ZN2at6native12_GLOBAL__N_124unique_dim_cuda_templateIN3c108BFloat16EEESt5tupleIJNS8_6TensorESF_SF_EERKSF_lbbbEUlllE1_EE10hipError_tPvRmT2_T3_mT4_P12ihipStream_tbEUlT_E_NS1_11comp_targetILNS1_3genE3ELNS1_11target_archE908ELNS1_3gpuE7ELNS1_3repE0EEENS1_30default_config_static_selectorELNS0_4arch9wavefront6targetE0EEEvT1_
		.amdhsa_group_segment_fixed_size 0
		.amdhsa_private_segment_fixed_size 0
		.amdhsa_kernarg_size 64
		.amdhsa_user_sgpr_count 2
		.amdhsa_user_sgpr_dispatch_ptr 0
		.amdhsa_user_sgpr_queue_ptr 0
		.amdhsa_user_sgpr_kernarg_segment_ptr 1
		.amdhsa_user_sgpr_dispatch_id 0
		.amdhsa_user_sgpr_kernarg_preload_length 0
		.amdhsa_user_sgpr_kernarg_preload_offset 0
		.amdhsa_user_sgpr_private_segment_size 0
		.amdhsa_wavefront_size32 1
		.amdhsa_uses_dynamic_stack 0
		.amdhsa_enable_private_segment 0
		.amdhsa_system_sgpr_workgroup_id_x 1
		.amdhsa_system_sgpr_workgroup_id_y 0
		.amdhsa_system_sgpr_workgroup_id_z 0
		.amdhsa_system_sgpr_workgroup_info 0
		.amdhsa_system_vgpr_workitem_id 0
		.amdhsa_next_free_vgpr 1
		.amdhsa_next_free_sgpr 1
		.amdhsa_named_barrier_count 0
		.amdhsa_reserve_vcc 0
		.amdhsa_float_round_mode_32 0
		.amdhsa_float_round_mode_16_64 0
		.amdhsa_float_denorm_mode_32 3
		.amdhsa_float_denorm_mode_16_64 3
		.amdhsa_fp16_overflow 0
		.amdhsa_memory_ordered 1
		.amdhsa_forward_progress 1
		.amdhsa_inst_pref_size 0
		.amdhsa_round_robin_scheduling 0
		.amdhsa_exception_fp_ieee_invalid_op 0
		.amdhsa_exception_fp_denorm_src 0
		.amdhsa_exception_fp_ieee_div_zero 0
		.amdhsa_exception_fp_ieee_overflow 0
		.amdhsa_exception_fp_ieee_underflow 0
		.amdhsa_exception_fp_ieee_inexact 0
		.amdhsa_exception_int_div_zero 0
	.end_amdhsa_kernel
	.section	.text._ZN7rocprim17ROCPRIM_400000_NS6detail17trampoline_kernelINS0_14default_configENS1_35adjacent_difference_config_selectorILb0ElEEZNS1_24adjacent_difference_implIS3_Lb0ELb0EPlS7_ZN2at6native12_GLOBAL__N_124unique_dim_cuda_templateIN3c108BFloat16EEESt5tupleIJNS8_6TensorESF_SF_EERKSF_lbbbEUlllE1_EE10hipError_tPvRmT2_T3_mT4_P12ihipStream_tbEUlT_E_NS1_11comp_targetILNS1_3genE3ELNS1_11target_archE908ELNS1_3gpuE7ELNS1_3repE0EEENS1_30default_config_static_selectorELNS0_4arch9wavefront6targetE0EEEvT1_,"axG",@progbits,_ZN7rocprim17ROCPRIM_400000_NS6detail17trampoline_kernelINS0_14default_configENS1_35adjacent_difference_config_selectorILb0ElEEZNS1_24adjacent_difference_implIS3_Lb0ELb0EPlS7_ZN2at6native12_GLOBAL__N_124unique_dim_cuda_templateIN3c108BFloat16EEESt5tupleIJNS8_6TensorESF_SF_EERKSF_lbbbEUlllE1_EE10hipError_tPvRmT2_T3_mT4_P12ihipStream_tbEUlT_E_NS1_11comp_targetILNS1_3genE3ELNS1_11target_archE908ELNS1_3gpuE7ELNS1_3repE0EEENS1_30default_config_static_selectorELNS0_4arch9wavefront6targetE0EEEvT1_,comdat
.Lfunc_end1153:
	.size	_ZN7rocprim17ROCPRIM_400000_NS6detail17trampoline_kernelINS0_14default_configENS1_35adjacent_difference_config_selectorILb0ElEEZNS1_24adjacent_difference_implIS3_Lb0ELb0EPlS7_ZN2at6native12_GLOBAL__N_124unique_dim_cuda_templateIN3c108BFloat16EEESt5tupleIJNS8_6TensorESF_SF_EERKSF_lbbbEUlllE1_EE10hipError_tPvRmT2_T3_mT4_P12ihipStream_tbEUlT_E_NS1_11comp_targetILNS1_3genE3ELNS1_11target_archE908ELNS1_3gpuE7ELNS1_3repE0EEENS1_30default_config_static_selectorELNS0_4arch9wavefront6targetE0EEEvT1_, .Lfunc_end1153-_ZN7rocprim17ROCPRIM_400000_NS6detail17trampoline_kernelINS0_14default_configENS1_35adjacent_difference_config_selectorILb0ElEEZNS1_24adjacent_difference_implIS3_Lb0ELb0EPlS7_ZN2at6native12_GLOBAL__N_124unique_dim_cuda_templateIN3c108BFloat16EEESt5tupleIJNS8_6TensorESF_SF_EERKSF_lbbbEUlllE1_EE10hipError_tPvRmT2_T3_mT4_P12ihipStream_tbEUlT_E_NS1_11comp_targetILNS1_3genE3ELNS1_11target_archE908ELNS1_3gpuE7ELNS1_3repE0EEENS1_30default_config_static_selectorELNS0_4arch9wavefront6targetE0EEEvT1_
                                        ; -- End function
	.set _ZN7rocprim17ROCPRIM_400000_NS6detail17trampoline_kernelINS0_14default_configENS1_35adjacent_difference_config_selectorILb0ElEEZNS1_24adjacent_difference_implIS3_Lb0ELb0EPlS7_ZN2at6native12_GLOBAL__N_124unique_dim_cuda_templateIN3c108BFloat16EEESt5tupleIJNS8_6TensorESF_SF_EERKSF_lbbbEUlllE1_EE10hipError_tPvRmT2_T3_mT4_P12ihipStream_tbEUlT_E_NS1_11comp_targetILNS1_3genE3ELNS1_11target_archE908ELNS1_3gpuE7ELNS1_3repE0EEENS1_30default_config_static_selectorELNS0_4arch9wavefront6targetE0EEEvT1_.num_vgpr, 0
	.set _ZN7rocprim17ROCPRIM_400000_NS6detail17trampoline_kernelINS0_14default_configENS1_35adjacent_difference_config_selectorILb0ElEEZNS1_24adjacent_difference_implIS3_Lb0ELb0EPlS7_ZN2at6native12_GLOBAL__N_124unique_dim_cuda_templateIN3c108BFloat16EEESt5tupleIJNS8_6TensorESF_SF_EERKSF_lbbbEUlllE1_EE10hipError_tPvRmT2_T3_mT4_P12ihipStream_tbEUlT_E_NS1_11comp_targetILNS1_3genE3ELNS1_11target_archE908ELNS1_3gpuE7ELNS1_3repE0EEENS1_30default_config_static_selectorELNS0_4arch9wavefront6targetE0EEEvT1_.num_agpr, 0
	.set _ZN7rocprim17ROCPRIM_400000_NS6detail17trampoline_kernelINS0_14default_configENS1_35adjacent_difference_config_selectorILb0ElEEZNS1_24adjacent_difference_implIS3_Lb0ELb0EPlS7_ZN2at6native12_GLOBAL__N_124unique_dim_cuda_templateIN3c108BFloat16EEESt5tupleIJNS8_6TensorESF_SF_EERKSF_lbbbEUlllE1_EE10hipError_tPvRmT2_T3_mT4_P12ihipStream_tbEUlT_E_NS1_11comp_targetILNS1_3genE3ELNS1_11target_archE908ELNS1_3gpuE7ELNS1_3repE0EEENS1_30default_config_static_selectorELNS0_4arch9wavefront6targetE0EEEvT1_.numbered_sgpr, 0
	.set _ZN7rocprim17ROCPRIM_400000_NS6detail17trampoline_kernelINS0_14default_configENS1_35adjacent_difference_config_selectorILb0ElEEZNS1_24adjacent_difference_implIS3_Lb0ELb0EPlS7_ZN2at6native12_GLOBAL__N_124unique_dim_cuda_templateIN3c108BFloat16EEESt5tupleIJNS8_6TensorESF_SF_EERKSF_lbbbEUlllE1_EE10hipError_tPvRmT2_T3_mT4_P12ihipStream_tbEUlT_E_NS1_11comp_targetILNS1_3genE3ELNS1_11target_archE908ELNS1_3gpuE7ELNS1_3repE0EEENS1_30default_config_static_selectorELNS0_4arch9wavefront6targetE0EEEvT1_.num_named_barrier, 0
	.set _ZN7rocprim17ROCPRIM_400000_NS6detail17trampoline_kernelINS0_14default_configENS1_35adjacent_difference_config_selectorILb0ElEEZNS1_24adjacent_difference_implIS3_Lb0ELb0EPlS7_ZN2at6native12_GLOBAL__N_124unique_dim_cuda_templateIN3c108BFloat16EEESt5tupleIJNS8_6TensorESF_SF_EERKSF_lbbbEUlllE1_EE10hipError_tPvRmT2_T3_mT4_P12ihipStream_tbEUlT_E_NS1_11comp_targetILNS1_3genE3ELNS1_11target_archE908ELNS1_3gpuE7ELNS1_3repE0EEENS1_30default_config_static_selectorELNS0_4arch9wavefront6targetE0EEEvT1_.private_seg_size, 0
	.set _ZN7rocprim17ROCPRIM_400000_NS6detail17trampoline_kernelINS0_14default_configENS1_35adjacent_difference_config_selectorILb0ElEEZNS1_24adjacent_difference_implIS3_Lb0ELb0EPlS7_ZN2at6native12_GLOBAL__N_124unique_dim_cuda_templateIN3c108BFloat16EEESt5tupleIJNS8_6TensorESF_SF_EERKSF_lbbbEUlllE1_EE10hipError_tPvRmT2_T3_mT4_P12ihipStream_tbEUlT_E_NS1_11comp_targetILNS1_3genE3ELNS1_11target_archE908ELNS1_3gpuE7ELNS1_3repE0EEENS1_30default_config_static_selectorELNS0_4arch9wavefront6targetE0EEEvT1_.uses_vcc, 0
	.set _ZN7rocprim17ROCPRIM_400000_NS6detail17trampoline_kernelINS0_14default_configENS1_35adjacent_difference_config_selectorILb0ElEEZNS1_24adjacent_difference_implIS3_Lb0ELb0EPlS7_ZN2at6native12_GLOBAL__N_124unique_dim_cuda_templateIN3c108BFloat16EEESt5tupleIJNS8_6TensorESF_SF_EERKSF_lbbbEUlllE1_EE10hipError_tPvRmT2_T3_mT4_P12ihipStream_tbEUlT_E_NS1_11comp_targetILNS1_3genE3ELNS1_11target_archE908ELNS1_3gpuE7ELNS1_3repE0EEENS1_30default_config_static_selectorELNS0_4arch9wavefront6targetE0EEEvT1_.uses_flat_scratch, 0
	.set _ZN7rocprim17ROCPRIM_400000_NS6detail17trampoline_kernelINS0_14default_configENS1_35adjacent_difference_config_selectorILb0ElEEZNS1_24adjacent_difference_implIS3_Lb0ELb0EPlS7_ZN2at6native12_GLOBAL__N_124unique_dim_cuda_templateIN3c108BFloat16EEESt5tupleIJNS8_6TensorESF_SF_EERKSF_lbbbEUlllE1_EE10hipError_tPvRmT2_T3_mT4_P12ihipStream_tbEUlT_E_NS1_11comp_targetILNS1_3genE3ELNS1_11target_archE908ELNS1_3gpuE7ELNS1_3repE0EEENS1_30default_config_static_selectorELNS0_4arch9wavefront6targetE0EEEvT1_.has_dyn_sized_stack, 0
	.set _ZN7rocprim17ROCPRIM_400000_NS6detail17trampoline_kernelINS0_14default_configENS1_35adjacent_difference_config_selectorILb0ElEEZNS1_24adjacent_difference_implIS3_Lb0ELb0EPlS7_ZN2at6native12_GLOBAL__N_124unique_dim_cuda_templateIN3c108BFloat16EEESt5tupleIJNS8_6TensorESF_SF_EERKSF_lbbbEUlllE1_EE10hipError_tPvRmT2_T3_mT4_P12ihipStream_tbEUlT_E_NS1_11comp_targetILNS1_3genE3ELNS1_11target_archE908ELNS1_3gpuE7ELNS1_3repE0EEENS1_30default_config_static_selectorELNS0_4arch9wavefront6targetE0EEEvT1_.has_recursion, 0
	.set _ZN7rocprim17ROCPRIM_400000_NS6detail17trampoline_kernelINS0_14default_configENS1_35adjacent_difference_config_selectorILb0ElEEZNS1_24adjacent_difference_implIS3_Lb0ELb0EPlS7_ZN2at6native12_GLOBAL__N_124unique_dim_cuda_templateIN3c108BFloat16EEESt5tupleIJNS8_6TensorESF_SF_EERKSF_lbbbEUlllE1_EE10hipError_tPvRmT2_T3_mT4_P12ihipStream_tbEUlT_E_NS1_11comp_targetILNS1_3genE3ELNS1_11target_archE908ELNS1_3gpuE7ELNS1_3repE0EEENS1_30default_config_static_selectorELNS0_4arch9wavefront6targetE0EEEvT1_.has_indirect_call, 0
	.section	.AMDGPU.csdata,"",@progbits
; Kernel info:
; codeLenInByte = 0
; TotalNumSgprs: 0
; NumVgprs: 0
; ScratchSize: 0
; MemoryBound: 0
; FloatMode: 240
; IeeeMode: 1
; LDSByteSize: 0 bytes/workgroup (compile time only)
; SGPRBlocks: 0
; VGPRBlocks: 0
; NumSGPRsForWavesPerEU: 1
; NumVGPRsForWavesPerEU: 1
; NamedBarCnt: 0
; Occupancy: 16
; WaveLimiterHint : 0
; COMPUTE_PGM_RSRC2:SCRATCH_EN: 0
; COMPUTE_PGM_RSRC2:USER_SGPR: 2
; COMPUTE_PGM_RSRC2:TRAP_HANDLER: 0
; COMPUTE_PGM_RSRC2:TGID_X_EN: 1
; COMPUTE_PGM_RSRC2:TGID_Y_EN: 0
; COMPUTE_PGM_RSRC2:TGID_Z_EN: 0
; COMPUTE_PGM_RSRC2:TIDIG_COMP_CNT: 0
	.section	.text._ZN7rocprim17ROCPRIM_400000_NS6detail17trampoline_kernelINS0_14default_configENS1_35adjacent_difference_config_selectorILb0ElEEZNS1_24adjacent_difference_implIS3_Lb0ELb0EPlS7_ZN2at6native12_GLOBAL__N_124unique_dim_cuda_templateIN3c108BFloat16EEESt5tupleIJNS8_6TensorESF_SF_EERKSF_lbbbEUlllE1_EE10hipError_tPvRmT2_T3_mT4_P12ihipStream_tbEUlT_E_NS1_11comp_targetILNS1_3genE2ELNS1_11target_archE906ELNS1_3gpuE6ELNS1_3repE0EEENS1_30default_config_static_selectorELNS0_4arch9wavefront6targetE0EEEvT1_,"axG",@progbits,_ZN7rocprim17ROCPRIM_400000_NS6detail17trampoline_kernelINS0_14default_configENS1_35adjacent_difference_config_selectorILb0ElEEZNS1_24adjacent_difference_implIS3_Lb0ELb0EPlS7_ZN2at6native12_GLOBAL__N_124unique_dim_cuda_templateIN3c108BFloat16EEESt5tupleIJNS8_6TensorESF_SF_EERKSF_lbbbEUlllE1_EE10hipError_tPvRmT2_T3_mT4_P12ihipStream_tbEUlT_E_NS1_11comp_targetILNS1_3genE2ELNS1_11target_archE906ELNS1_3gpuE6ELNS1_3repE0EEENS1_30default_config_static_selectorELNS0_4arch9wavefront6targetE0EEEvT1_,comdat
	.globl	_ZN7rocprim17ROCPRIM_400000_NS6detail17trampoline_kernelINS0_14default_configENS1_35adjacent_difference_config_selectorILb0ElEEZNS1_24adjacent_difference_implIS3_Lb0ELb0EPlS7_ZN2at6native12_GLOBAL__N_124unique_dim_cuda_templateIN3c108BFloat16EEESt5tupleIJNS8_6TensorESF_SF_EERKSF_lbbbEUlllE1_EE10hipError_tPvRmT2_T3_mT4_P12ihipStream_tbEUlT_E_NS1_11comp_targetILNS1_3genE2ELNS1_11target_archE906ELNS1_3gpuE6ELNS1_3repE0EEENS1_30default_config_static_selectorELNS0_4arch9wavefront6targetE0EEEvT1_ ; -- Begin function _ZN7rocprim17ROCPRIM_400000_NS6detail17trampoline_kernelINS0_14default_configENS1_35adjacent_difference_config_selectorILb0ElEEZNS1_24adjacent_difference_implIS3_Lb0ELb0EPlS7_ZN2at6native12_GLOBAL__N_124unique_dim_cuda_templateIN3c108BFloat16EEESt5tupleIJNS8_6TensorESF_SF_EERKSF_lbbbEUlllE1_EE10hipError_tPvRmT2_T3_mT4_P12ihipStream_tbEUlT_E_NS1_11comp_targetILNS1_3genE2ELNS1_11target_archE906ELNS1_3gpuE6ELNS1_3repE0EEENS1_30default_config_static_selectorELNS0_4arch9wavefront6targetE0EEEvT1_
	.p2align	8
	.type	_ZN7rocprim17ROCPRIM_400000_NS6detail17trampoline_kernelINS0_14default_configENS1_35adjacent_difference_config_selectorILb0ElEEZNS1_24adjacent_difference_implIS3_Lb0ELb0EPlS7_ZN2at6native12_GLOBAL__N_124unique_dim_cuda_templateIN3c108BFloat16EEESt5tupleIJNS8_6TensorESF_SF_EERKSF_lbbbEUlllE1_EE10hipError_tPvRmT2_T3_mT4_P12ihipStream_tbEUlT_E_NS1_11comp_targetILNS1_3genE2ELNS1_11target_archE906ELNS1_3gpuE6ELNS1_3repE0EEENS1_30default_config_static_selectorELNS0_4arch9wavefront6targetE0EEEvT1_,@function
_ZN7rocprim17ROCPRIM_400000_NS6detail17trampoline_kernelINS0_14default_configENS1_35adjacent_difference_config_selectorILb0ElEEZNS1_24adjacent_difference_implIS3_Lb0ELb0EPlS7_ZN2at6native12_GLOBAL__N_124unique_dim_cuda_templateIN3c108BFloat16EEESt5tupleIJNS8_6TensorESF_SF_EERKSF_lbbbEUlllE1_EE10hipError_tPvRmT2_T3_mT4_P12ihipStream_tbEUlT_E_NS1_11comp_targetILNS1_3genE2ELNS1_11target_archE906ELNS1_3gpuE6ELNS1_3repE0EEENS1_30default_config_static_selectorELNS0_4arch9wavefront6targetE0EEEvT1_: ; @_ZN7rocprim17ROCPRIM_400000_NS6detail17trampoline_kernelINS0_14default_configENS1_35adjacent_difference_config_selectorILb0ElEEZNS1_24adjacent_difference_implIS3_Lb0ELb0EPlS7_ZN2at6native12_GLOBAL__N_124unique_dim_cuda_templateIN3c108BFloat16EEESt5tupleIJNS8_6TensorESF_SF_EERKSF_lbbbEUlllE1_EE10hipError_tPvRmT2_T3_mT4_P12ihipStream_tbEUlT_E_NS1_11comp_targetILNS1_3genE2ELNS1_11target_archE906ELNS1_3gpuE6ELNS1_3repE0EEENS1_30default_config_static_selectorELNS0_4arch9wavefront6targetE0EEEvT1_
; %bb.0:
	.section	.rodata,"a",@progbits
	.p2align	6, 0x0
	.amdhsa_kernel _ZN7rocprim17ROCPRIM_400000_NS6detail17trampoline_kernelINS0_14default_configENS1_35adjacent_difference_config_selectorILb0ElEEZNS1_24adjacent_difference_implIS3_Lb0ELb0EPlS7_ZN2at6native12_GLOBAL__N_124unique_dim_cuda_templateIN3c108BFloat16EEESt5tupleIJNS8_6TensorESF_SF_EERKSF_lbbbEUlllE1_EE10hipError_tPvRmT2_T3_mT4_P12ihipStream_tbEUlT_E_NS1_11comp_targetILNS1_3genE2ELNS1_11target_archE906ELNS1_3gpuE6ELNS1_3repE0EEENS1_30default_config_static_selectorELNS0_4arch9wavefront6targetE0EEEvT1_
		.amdhsa_group_segment_fixed_size 0
		.amdhsa_private_segment_fixed_size 0
		.amdhsa_kernarg_size 64
		.amdhsa_user_sgpr_count 2
		.amdhsa_user_sgpr_dispatch_ptr 0
		.amdhsa_user_sgpr_queue_ptr 0
		.amdhsa_user_sgpr_kernarg_segment_ptr 1
		.amdhsa_user_sgpr_dispatch_id 0
		.amdhsa_user_sgpr_kernarg_preload_length 0
		.amdhsa_user_sgpr_kernarg_preload_offset 0
		.amdhsa_user_sgpr_private_segment_size 0
		.amdhsa_wavefront_size32 1
		.amdhsa_uses_dynamic_stack 0
		.amdhsa_enable_private_segment 0
		.amdhsa_system_sgpr_workgroup_id_x 1
		.amdhsa_system_sgpr_workgroup_id_y 0
		.amdhsa_system_sgpr_workgroup_id_z 0
		.amdhsa_system_sgpr_workgroup_info 0
		.amdhsa_system_vgpr_workitem_id 0
		.amdhsa_next_free_vgpr 1
		.amdhsa_next_free_sgpr 1
		.amdhsa_named_barrier_count 0
		.amdhsa_reserve_vcc 0
		.amdhsa_float_round_mode_32 0
		.amdhsa_float_round_mode_16_64 0
		.amdhsa_float_denorm_mode_32 3
		.amdhsa_float_denorm_mode_16_64 3
		.amdhsa_fp16_overflow 0
		.amdhsa_memory_ordered 1
		.amdhsa_forward_progress 1
		.amdhsa_inst_pref_size 0
		.amdhsa_round_robin_scheduling 0
		.amdhsa_exception_fp_ieee_invalid_op 0
		.amdhsa_exception_fp_denorm_src 0
		.amdhsa_exception_fp_ieee_div_zero 0
		.amdhsa_exception_fp_ieee_overflow 0
		.amdhsa_exception_fp_ieee_underflow 0
		.amdhsa_exception_fp_ieee_inexact 0
		.amdhsa_exception_int_div_zero 0
	.end_amdhsa_kernel
	.section	.text._ZN7rocprim17ROCPRIM_400000_NS6detail17trampoline_kernelINS0_14default_configENS1_35adjacent_difference_config_selectorILb0ElEEZNS1_24adjacent_difference_implIS3_Lb0ELb0EPlS7_ZN2at6native12_GLOBAL__N_124unique_dim_cuda_templateIN3c108BFloat16EEESt5tupleIJNS8_6TensorESF_SF_EERKSF_lbbbEUlllE1_EE10hipError_tPvRmT2_T3_mT4_P12ihipStream_tbEUlT_E_NS1_11comp_targetILNS1_3genE2ELNS1_11target_archE906ELNS1_3gpuE6ELNS1_3repE0EEENS1_30default_config_static_selectorELNS0_4arch9wavefront6targetE0EEEvT1_,"axG",@progbits,_ZN7rocprim17ROCPRIM_400000_NS6detail17trampoline_kernelINS0_14default_configENS1_35adjacent_difference_config_selectorILb0ElEEZNS1_24adjacent_difference_implIS3_Lb0ELb0EPlS7_ZN2at6native12_GLOBAL__N_124unique_dim_cuda_templateIN3c108BFloat16EEESt5tupleIJNS8_6TensorESF_SF_EERKSF_lbbbEUlllE1_EE10hipError_tPvRmT2_T3_mT4_P12ihipStream_tbEUlT_E_NS1_11comp_targetILNS1_3genE2ELNS1_11target_archE906ELNS1_3gpuE6ELNS1_3repE0EEENS1_30default_config_static_selectorELNS0_4arch9wavefront6targetE0EEEvT1_,comdat
.Lfunc_end1154:
	.size	_ZN7rocprim17ROCPRIM_400000_NS6detail17trampoline_kernelINS0_14default_configENS1_35adjacent_difference_config_selectorILb0ElEEZNS1_24adjacent_difference_implIS3_Lb0ELb0EPlS7_ZN2at6native12_GLOBAL__N_124unique_dim_cuda_templateIN3c108BFloat16EEESt5tupleIJNS8_6TensorESF_SF_EERKSF_lbbbEUlllE1_EE10hipError_tPvRmT2_T3_mT4_P12ihipStream_tbEUlT_E_NS1_11comp_targetILNS1_3genE2ELNS1_11target_archE906ELNS1_3gpuE6ELNS1_3repE0EEENS1_30default_config_static_selectorELNS0_4arch9wavefront6targetE0EEEvT1_, .Lfunc_end1154-_ZN7rocprim17ROCPRIM_400000_NS6detail17trampoline_kernelINS0_14default_configENS1_35adjacent_difference_config_selectorILb0ElEEZNS1_24adjacent_difference_implIS3_Lb0ELb0EPlS7_ZN2at6native12_GLOBAL__N_124unique_dim_cuda_templateIN3c108BFloat16EEESt5tupleIJNS8_6TensorESF_SF_EERKSF_lbbbEUlllE1_EE10hipError_tPvRmT2_T3_mT4_P12ihipStream_tbEUlT_E_NS1_11comp_targetILNS1_3genE2ELNS1_11target_archE906ELNS1_3gpuE6ELNS1_3repE0EEENS1_30default_config_static_selectorELNS0_4arch9wavefront6targetE0EEEvT1_
                                        ; -- End function
	.set _ZN7rocprim17ROCPRIM_400000_NS6detail17trampoline_kernelINS0_14default_configENS1_35adjacent_difference_config_selectorILb0ElEEZNS1_24adjacent_difference_implIS3_Lb0ELb0EPlS7_ZN2at6native12_GLOBAL__N_124unique_dim_cuda_templateIN3c108BFloat16EEESt5tupleIJNS8_6TensorESF_SF_EERKSF_lbbbEUlllE1_EE10hipError_tPvRmT2_T3_mT4_P12ihipStream_tbEUlT_E_NS1_11comp_targetILNS1_3genE2ELNS1_11target_archE906ELNS1_3gpuE6ELNS1_3repE0EEENS1_30default_config_static_selectorELNS0_4arch9wavefront6targetE0EEEvT1_.num_vgpr, 0
	.set _ZN7rocprim17ROCPRIM_400000_NS6detail17trampoline_kernelINS0_14default_configENS1_35adjacent_difference_config_selectorILb0ElEEZNS1_24adjacent_difference_implIS3_Lb0ELb0EPlS7_ZN2at6native12_GLOBAL__N_124unique_dim_cuda_templateIN3c108BFloat16EEESt5tupleIJNS8_6TensorESF_SF_EERKSF_lbbbEUlllE1_EE10hipError_tPvRmT2_T3_mT4_P12ihipStream_tbEUlT_E_NS1_11comp_targetILNS1_3genE2ELNS1_11target_archE906ELNS1_3gpuE6ELNS1_3repE0EEENS1_30default_config_static_selectorELNS0_4arch9wavefront6targetE0EEEvT1_.num_agpr, 0
	.set _ZN7rocprim17ROCPRIM_400000_NS6detail17trampoline_kernelINS0_14default_configENS1_35adjacent_difference_config_selectorILb0ElEEZNS1_24adjacent_difference_implIS3_Lb0ELb0EPlS7_ZN2at6native12_GLOBAL__N_124unique_dim_cuda_templateIN3c108BFloat16EEESt5tupleIJNS8_6TensorESF_SF_EERKSF_lbbbEUlllE1_EE10hipError_tPvRmT2_T3_mT4_P12ihipStream_tbEUlT_E_NS1_11comp_targetILNS1_3genE2ELNS1_11target_archE906ELNS1_3gpuE6ELNS1_3repE0EEENS1_30default_config_static_selectorELNS0_4arch9wavefront6targetE0EEEvT1_.numbered_sgpr, 0
	.set _ZN7rocprim17ROCPRIM_400000_NS6detail17trampoline_kernelINS0_14default_configENS1_35adjacent_difference_config_selectorILb0ElEEZNS1_24adjacent_difference_implIS3_Lb0ELb0EPlS7_ZN2at6native12_GLOBAL__N_124unique_dim_cuda_templateIN3c108BFloat16EEESt5tupleIJNS8_6TensorESF_SF_EERKSF_lbbbEUlllE1_EE10hipError_tPvRmT2_T3_mT4_P12ihipStream_tbEUlT_E_NS1_11comp_targetILNS1_3genE2ELNS1_11target_archE906ELNS1_3gpuE6ELNS1_3repE0EEENS1_30default_config_static_selectorELNS0_4arch9wavefront6targetE0EEEvT1_.num_named_barrier, 0
	.set _ZN7rocprim17ROCPRIM_400000_NS6detail17trampoline_kernelINS0_14default_configENS1_35adjacent_difference_config_selectorILb0ElEEZNS1_24adjacent_difference_implIS3_Lb0ELb0EPlS7_ZN2at6native12_GLOBAL__N_124unique_dim_cuda_templateIN3c108BFloat16EEESt5tupleIJNS8_6TensorESF_SF_EERKSF_lbbbEUlllE1_EE10hipError_tPvRmT2_T3_mT4_P12ihipStream_tbEUlT_E_NS1_11comp_targetILNS1_3genE2ELNS1_11target_archE906ELNS1_3gpuE6ELNS1_3repE0EEENS1_30default_config_static_selectorELNS0_4arch9wavefront6targetE0EEEvT1_.private_seg_size, 0
	.set _ZN7rocprim17ROCPRIM_400000_NS6detail17trampoline_kernelINS0_14default_configENS1_35adjacent_difference_config_selectorILb0ElEEZNS1_24adjacent_difference_implIS3_Lb0ELb0EPlS7_ZN2at6native12_GLOBAL__N_124unique_dim_cuda_templateIN3c108BFloat16EEESt5tupleIJNS8_6TensorESF_SF_EERKSF_lbbbEUlllE1_EE10hipError_tPvRmT2_T3_mT4_P12ihipStream_tbEUlT_E_NS1_11comp_targetILNS1_3genE2ELNS1_11target_archE906ELNS1_3gpuE6ELNS1_3repE0EEENS1_30default_config_static_selectorELNS0_4arch9wavefront6targetE0EEEvT1_.uses_vcc, 0
	.set _ZN7rocprim17ROCPRIM_400000_NS6detail17trampoline_kernelINS0_14default_configENS1_35adjacent_difference_config_selectorILb0ElEEZNS1_24adjacent_difference_implIS3_Lb0ELb0EPlS7_ZN2at6native12_GLOBAL__N_124unique_dim_cuda_templateIN3c108BFloat16EEESt5tupleIJNS8_6TensorESF_SF_EERKSF_lbbbEUlllE1_EE10hipError_tPvRmT2_T3_mT4_P12ihipStream_tbEUlT_E_NS1_11comp_targetILNS1_3genE2ELNS1_11target_archE906ELNS1_3gpuE6ELNS1_3repE0EEENS1_30default_config_static_selectorELNS0_4arch9wavefront6targetE0EEEvT1_.uses_flat_scratch, 0
	.set _ZN7rocprim17ROCPRIM_400000_NS6detail17trampoline_kernelINS0_14default_configENS1_35adjacent_difference_config_selectorILb0ElEEZNS1_24adjacent_difference_implIS3_Lb0ELb0EPlS7_ZN2at6native12_GLOBAL__N_124unique_dim_cuda_templateIN3c108BFloat16EEESt5tupleIJNS8_6TensorESF_SF_EERKSF_lbbbEUlllE1_EE10hipError_tPvRmT2_T3_mT4_P12ihipStream_tbEUlT_E_NS1_11comp_targetILNS1_3genE2ELNS1_11target_archE906ELNS1_3gpuE6ELNS1_3repE0EEENS1_30default_config_static_selectorELNS0_4arch9wavefront6targetE0EEEvT1_.has_dyn_sized_stack, 0
	.set _ZN7rocprim17ROCPRIM_400000_NS6detail17trampoline_kernelINS0_14default_configENS1_35adjacent_difference_config_selectorILb0ElEEZNS1_24adjacent_difference_implIS3_Lb0ELb0EPlS7_ZN2at6native12_GLOBAL__N_124unique_dim_cuda_templateIN3c108BFloat16EEESt5tupleIJNS8_6TensorESF_SF_EERKSF_lbbbEUlllE1_EE10hipError_tPvRmT2_T3_mT4_P12ihipStream_tbEUlT_E_NS1_11comp_targetILNS1_3genE2ELNS1_11target_archE906ELNS1_3gpuE6ELNS1_3repE0EEENS1_30default_config_static_selectorELNS0_4arch9wavefront6targetE0EEEvT1_.has_recursion, 0
	.set _ZN7rocprim17ROCPRIM_400000_NS6detail17trampoline_kernelINS0_14default_configENS1_35adjacent_difference_config_selectorILb0ElEEZNS1_24adjacent_difference_implIS3_Lb0ELb0EPlS7_ZN2at6native12_GLOBAL__N_124unique_dim_cuda_templateIN3c108BFloat16EEESt5tupleIJNS8_6TensorESF_SF_EERKSF_lbbbEUlllE1_EE10hipError_tPvRmT2_T3_mT4_P12ihipStream_tbEUlT_E_NS1_11comp_targetILNS1_3genE2ELNS1_11target_archE906ELNS1_3gpuE6ELNS1_3repE0EEENS1_30default_config_static_selectorELNS0_4arch9wavefront6targetE0EEEvT1_.has_indirect_call, 0
	.section	.AMDGPU.csdata,"",@progbits
; Kernel info:
; codeLenInByte = 0
; TotalNumSgprs: 0
; NumVgprs: 0
; ScratchSize: 0
; MemoryBound: 0
; FloatMode: 240
; IeeeMode: 1
; LDSByteSize: 0 bytes/workgroup (compile time only)
; SGPRBlocks: 0
; VGPRBlocks: 0
; NumSGPRsForWavesPerEU: 1
; NumVGPRsForWavesPerEU: 1
; NamedBarCnt: 0
; Occupancy: 16
; WaveLimiterHint : 0
; COMPUTE_PGM_RSRC2:SCRATCH_EN: 0
; COMPUTE_PGM_RSRC2:USER_SGPR: 2
; COMPUTE_PGM_RSRC2:TRAP_HANDLER: 0
; COMPUTE_PGM_RSRC2:TGID_X_EN: 1
; COMPUTE_PGM_RSRC2:TGID_Y_EN: 0
; COMPUTE_PGM_RSRC2:TGID_Z_EN: 0
; COMPUTE_PGM_RSRC2:TIDIG_COMP_CNT: 0
	.section	.text._ZN7rocprim17ROCPRIM_400000_NS6detail17trampoline_kernelINS0_14default_configENS1_35adjacent_difference_config_selectorILb0ElEEZNS1_24adjacent_difference_implIS3_Lb0ELb0EPlS7_ZN2at6native12_GLOBAL__N_124unique_dim_cuda_templateIN3c108BFloat16EEESt5tupleIJNS8_6TensorESF_SF_EERKSF_lbbbEUlllE1_EE10hipError_tPvRmT2_T3_mT4_P12ihipStream_tbEUlT_E_NS1_11comp_targetILNS1_3genE9ELNS1_11target_archE1100ELNS1_3gpuE3ELNS1_3repE0EEENS1_30default_config_static_selectorELNS0_4arch9wavefront6targetE0EEEvT1_,"axG",@progbits,_ZN7rocprim17ROCPRIM_400000_NS6detail17trampoline_kernelINS0_14default_configENS1_35adjacent_difference_config_selectorILb0ElEEZNS1_24adjacent_difference_implIS3_Lb0ELb0EPlS7_ZN2at6native12_GLOBAL__N_124unique_dim_cuda_templateIN3c108BFloat16EEESt5tupleIJNS8_6TensorESF_SF_EERKSF_lbbbEUlllE1_EE10hipError_tPvRmT2_T3_mT4_P12ihipStream_tbEUlT_E_NS1_11comp_targetILNS1_3genE9ELNS1_11target_archE1100ELNS1_3gpuE3ELNS1_3repE0EEENS1_30default_config_static_selectorELNS0_4arch9wavefront6targetE0EEEvT1_,comdat
	.globl	_ZN7rocprim17ROCPRIM_400000_NS6detail17trampoline_kernelINS0_14default_configENS1_35adjacent_difference_config_selectorILb0ElEEZNS1_24adjacent_difference_implIS3_Lb0ELb0EPlS7_ZN2at6native12_GLOBAL__N_124unique_dim_cuda_templateIN3c108BFloat16EEESt5tupleIJNS8_6TensorESF_SF_EERKSF_lbbbEUlllE1_EE10hipError_tPvRmT2_T3_mT4_P12ihipStream_tbEUlT_E_NS1_11comp_targetILNS1_3genE9ELNS1_11target_archE1100ELNS1_3gpuE3ELNS1_3repE0EEENS1_30default_config_static_selectorELNS0_4arch9wavefront6targetE0EEEvT1_ ; -- Begin function _ZN7rocprim17ROCPRIM_400000_NS6detail17trampoline_kernelINS0_14default_configENS1_35adjacent_difference_config_selectorILb0ElEEZNS1_24adjacent_difference_implIS3_Lb0ELb0EPlS7_ZN2at6native12_GLOBAL__N_124unique_dim_cuda_templateIN3c108BFloat16EEESt5tupleIJNS8_6TensorESF_SF_EERKSF_lbbbEUlllE1_EE10hipError_tPvRmT2_T3_mT4_P12ihipStream_tbEUlT_E_NS1_11comp_targetILNS1_3genE9ELNS1_11target_archE1100ELNS1_3gpuE3ELNS1_3repE0EEENS1_30default_config_static_selectorELNS0_4arch9wavefront6targetE0EEEvT1_
	.p2align	8
	.type	_ZN7rocprim17ROCPRIM_400000_NS6detail17trampoline_kernelINS0_14default_configENS1_35adjacent_difference_config_selectorILb0ElEEZNS1_24adjacent_difference_implIS3_Lb0ELb0EPlS7_ZN2at6native12_GLOBAL__N_124unique_dim_cuda_templateIN3c108BFloat16EEESt5tupleIJNS8_6TensorESF_SF_EERKSF_lbbbEUlllE1_EE10hipError_tPvRmT2_T3_mT4_P12ihipStream_tbEUlT_E_NS1_11comp_targetILNS1_3genE9ELNS1_11target_archE1100ELNS1_3gpuE3ELNS1_3repE0EEENS1_30default_config_static_selectorELNS0_4arch9wavefront6targetE0EEEvT1_,@function
_ZN7rocprim17ROCPRIM_400000_NS6detail17trampoline_kernelINS0_14default_configENS1_35adjacent_difference_config_selectorILb0ElEEZNS1_24adjacent_difference_implIS3_Lb0ELb0EPlS7_ZN2at6native12_GLOBAL__N_124unique_dim_cuda_templateIN3c108BFloat16EEESt5tupleIJNS8_6TensorESF_SF_EERKSF_lbbbEUlllE1_EE10hipError_tPvRmT2_T3_mT4_P12ihipStream_tbEUlT_E_NS1_11comp_targetILNS1_3genE9ELNS1_11target_archE1100ELNS1_3gpuE3ELNS1_3repE0EEENS1_30default_config_static_selectorELNS0_4arch9wavefront6targetE0EEEvT1_: ; @_ZN7rocprim17ROCPRIM_400000_NS6detail17trampoline_kernelINS0_14default_configENS1_35adjacent_difference_config_selectorILb0ElEEZNS1_24adjacent_difference_implIS3_Lb0ELb0EPlS7_ZN2at6native12_GLOBAL__N_124unique_dim_cuda_templateIN3c108BFloat16EEESt5tupleIJNS8_6TensorESF_SF_EERKSF_lbbbEUlllE1_EE10hipError_tPvRmT2_T3_mT4_P12ihipStream_tbEUlT_E_NS1_11comp_targetILNS1_3genE9ELNS1_11target_archE1100ELNS1_3gpuE3ELNS1_3repE0EEENS1_30default_config_static_selectorELNS0_4arch9wavefront6targetE0EEEvT1_
; %bb.0:
	.section	.rodata,"a",@progbits
	.p2align	6, 0x0
	.amdhsa_kernel _ZN7rocprim17ROCPRIM_400000_NS6detail17trampoline_kernelINS0_14default_configENS1_35adjacent_difference_config_selectorILb0ElEEZNS1_24adjacent_difference_implIS3_Lb0ELb0EPlS7_ZN2at6native12_GLOBAL__N_124unique_dim_cuda_templateIN3c108BFloat16EEESt5tupleIJNS8_6TensorESF_SF_EERKSF_lbbbEUlllE1_EE10hipError_tPvRmT2_T3_mT4_P12ihipStream_tbEUlT_E_NS1_11comp_targetILNS1_3genE9ELNS1_11target_archE1100ELNS1_3gpuE3ELNS1_3repE0EEENS1_30default_config_static_selectorELNS0_4arch9wavefront6targetE0EEEvT1_
		.amdhsa_group_segment_fixed_size 0
		.amdhsa_private_segment_fixed_size 0
		.amdhsa_kernarg_size 64
		.amdhsa_user_sgpr_count 2
		.amdhsa_user_sgpr_dispatch_ptr 0
		.amdhsa_user_sgpr_queue_ptr 0
		.amdhsa_user_sgpr_kernarg_segment_ptr 1
		.amdhsa_user_sgpr_dispatch_id 0
		.amdhsa_user_sgpr_kernarg_preload_length 0
		.amdhsa_user_sgpr_kernarg_preload_offset 0
		.amdhsa_user_sgpr_private_segment_size 0
		.amdhsa_wavefront_size32 1
		.amdhsa_uses_dynamic_stack 0
		.amdhsa_enable_private_segment 0
		.amdhsa_system_sgpr_workgroup_id_x 1
		.amdhsa_system_sgpr_workgroup_id_y 0
		.amdhsa_system_sgpr_workgroup_id_z 0
		.amdhsa_system_sgpr_workgroup_info 0
		.amdhsa_system_vgpr_workitem_id 0
		.amdhsa_next_free_vgpr 1
		.amdhsa_next_free_sgpr 1
		.amdhsa_named_barrier_count 0
		.amdhsa_reserve_vcc 0
		.amdhsa_float_round_mode_32 0
		.amdhsa_float_round_mode_16_64 0
		.amdhsa_float_denorm_mode_32 3
		.amdhsa_float_denorm_mode_16_64 3
		.amdhsa_fp16_overflow 0
		.amdhsa_memory_ordered 1
		.amdhsa_forward_progress 1
		.amdhsa_inst_pref_size 0
		.amdhsa_round_robin_scheduling 0
		.amdhsa_exception_fp_ieee_invalid_op 0
		.amdhsa_exception_fp_denorm_src 0
		.amdhsa_exception_fp_ieee_div_zero 0
		.amdhsa_exception_fp_ieee_overflow 0
		.amdhsa_exception_fp_ieee_underflow 0
		.amdhsa_exception_fp_ieee_inexact 0
		.amdhsa_exception_int_div_zero 0
	.end_amdhsa_kernel
	.section	.text._ZN7rocprim17ROCPRIM_400000_NS6detail17trampoline_kernelINS0_14default_configENS1_35adjacent_difference_config_selectorILb0ElEEZNS1_24adjacent_difference_implIS3_Lb0ELb0EPlS7_ZN2at6native12_GLOBAL__N_124unique_dim_cuda_templateIN3c108BFloat16EEESt5tupleIJNS8_6TensorESF_SF_EERKSF_lbbbEUlllE1_EE10hipError_tPvRmT2_T3_mT4_P12ihipStream_tbEUlT_E_NS1_11comp_targetILNS1_3genE9ELNS1_11target_archE1100ELNS1_3gpuE3ELNS1_3repE0EEENS1_30default_config_static_selectorELNS0_4arch9wavefront6targetE0EEEvT1_,"axG",@progbits,_ZN7rocprim17ROCPRIM_400000_NS6detail17trampoline_kernelINS0_14default_configENS1_35adjacent_difference_config_selectorILb0ElEEZNS1_24adjacent_difference_implIS3_Lb0ELb0EPlS7_ZN2at6native12_GLOBAL__N_124unique_dim_cuda_templateIN3c108BFloat16EEESt5tupleIJNS8_6TensorESF_SF_EERKSF_lbbbEUlllE1_EE10hipError_tPvRmT2_T3_mT4_P12ihipStream_tbEUlT_E_NS1_11comp_targetILNS1_3genE9ELNS1_11target_archE1100ELNS1_3gpuE3ELNS1_3repE0EEENS1_30default_config_static_selectorELNS0_4arch9wavefront6targetE0EEEvT1_,comdat
.Lfunc_end1155:
	.size	_ZN7rocprim17ROCPRIM_400000_NS6detail17trampoline_kernelINS0_14default_configENS1_35adjacent_difference_config_selectorILb0ElEEZNS1_24adjacent_difference_implIS3_Lb0ELb0EPlS7_ZN2at6native12_GLOBAL__N_124unique_dim_cuda_templateIN3c108BFloat16EEESt5tupleIJNS8_6TensorESF_SF_EERKSF_lbbbEUlllE1_EE10hipError_tPvRmT2_T3_mT4_P12ihipStream_tbEUlT_E_NS1_11comp_targetILNS1_3genE9ELNS1_11target_archE1100ELNS1_3gpuE3ELNS1_3repE0EEENS1_30default_config_static_selectorELNS0_4arch9wavefront6targetE0EEEvT1_, .Lfunc_end1155-_ZN7rocprim17ROCPRIM_400000_NS6detail17trampoline_kernelINS0_14default_configENS1_35adjacent_difference_config_selectorILb0ElEEZNS1_24adjacent_difference_implIS3_Lb0ELb0EPlS7_ZN2at6native12_GLOBAL__N_124unique_dim_cuda_templateIN3c108BFloat16EEESt5tupleIJNS8_6TensorESF_SF_EERKSF_lbbbEUlllE1_EE10hipError_tPvRmT2_T3_mT4_P12ihipStream_tbEUlT_E_NS1_11comp_targetILNS1_3genE9ELNS1_11target_archE1100ELNS1_3gpuE3ELNS1_3repE0EEENS1_30default_config_static_selectorELNS0_4arch9wavefront6targetE0EEEvT1_
                                        ; -- End function
	.set _ZN7rocprim17ROCPRIM_400000_NS6detail17trampoline_kernelINS0_14default_configENS1_35adjacent_difference_config_selectorILb0ElEEZNS1_24adjacent_difference_implIS3_Lb0ELb0EPlS7_ZN2at6native12_GLOBAL__N_124unique_dim_cuda_templateIN3c108BFloat16EEESt5tupleIJNS8_6TensorESF_SF_EERKSF_lbbbEUlllE1_EE10hipError_tPvRmT2_T3_mT4_P12ihipStream_tbEUlT_E_NS1_11comp_targetILNS1_3genE9ELNS1_11target_archE1100ELNS1_3gpuE3ELNS1_3repE0EEENS1_30default_config_static_selectorELNS0_4arch9wavefront6targetE0EEEvT1_.num_vgpr, 0
	.set _ZN7rocprim17ROCPRIM_400000_NS6detail17trampoline_kernelINS0_14default_configENS1_35adjacent_difference_config_selectorILb0ElEEZNS1_24adjacent_difference_implIS3_Lb0ELb0EPlS7_ZN2at6native12_GLOBAL__N_124unique_dim_cuda_templateIN3c108BFloat16EEESt5tupleIJNS8_6TensorESF_SF_EERKSF_lbbbEUlllE1_EE10hipError_tPvRmT2_T3_mT4_P12ihipStream_tbEUlT_E_NS1_11comp_targetILNS1_3genE9ELNS1_11target_archE1100ELNS1_3gpuE3ELNS1_3repE0EEENS1_30default_config_static_selectorELNS0_4arch9wavefront6targetE0EEEvT1_.num_agpr, 0
	.set _ZN7rocprim17ROCPRIM_400000_NS6detail17trampoline_kernelINS0_14default_configENS1_35adjacent_difference_config_selectorILb0ElEEZNS1_24adjacent_difference_implIS3_Lb0ELb0EPlS7_ZN2at6native12_GLOBAL__N_124unique_dim_cuda_templateIN3c108BFloat16EEESt5tupleIJNS8_6TensorESF_SF_EERKSF_lbbbEUlllE1_EE10hipError_tPvRmT2_T3_mT4_P12ihipStream_tbEUlT_E_NS1_11comp_targetILNS1_3genE9ELNS1_11target_archE1100ELNS1_3gpuE3ELNS1_3repE0EEENS1_30default_config_static_selectorELNS0_4arch9wavefront6targetE0EEEvT1_.numbered_sgpr, 0
	.set _ZN7rocprim17ROCPRIM_400000_NS6detail17trampoline_kernelINS0_14default_configENS1_35adjacent_difference_config_selectorILb0ElEEZNS1_24adjacent_difference_implIS3_Lb0ELb0EPlS7_ZN2at6native12_GLOBAL__N_124unique_dim_cuda_templateIN3c108BFloat16EEESt5tupleIJNS8_6TensorESF_SF_EERKSF_lbbbEUlllE1_EE10hipError_tPvRmT2_T3_mT4_P12ihipStream_tbEUlT_E_NS1_11comp_targetILNS1_3genE9ELNS1_11target_archE1100ELNS1_3gpuE3ELNS1_3repE0EEENS1_30default_config_static_selectorELNS0_4arch9wavefront6targetE0EEEvT1_.num_named_barrier, 0
	.set _ZN7rocprim17ROCPRIM_400000_NS6detail17trampoline_kernelINS0_14default_configENS1_35adjacent_difference_config_selectorILb0ElEEZNS1_24adjacent_difference_implIS3_Lb0ELb0EPlS7_ZN2at6native12_GLOBAL__N_124unique_dim_cuda_templateIN3c108BFloat16EEESt5tupleIJNS8_6TensorESF_SF_EERKSF_lbbbEUlllE1_EE10hipError_tPvRmT2_T3_mT4_P12ihipStream_tbEUlT_E_NS1_11comp_targetILNS1_3genE9ELNS1_11target_archE1100ELNS1_3gpuE3ELNS1_3repE0EEENS1_30default_config_static_selectorELNS0_4arch9wavefront6targetE0EEEvT1_.private_seg_size, 0
	.set _ZN7rocprim17ROCPRIM_400000_NS6detail17trampoline_kernelINS0_14default_configENS1_35adjacent_difference_config_selectorILb0ElEEZNS1_24adjacent_difference_implIS3_Lb0ELb0EPlS7_ZN2at6native12_GLOBAL__N_124unique_dim_cuda_templateIN3c108BFloat16EEESt5tupleIJNS8_6TensorESF_SF_EERKSF_lbbbEUlllE1_EE10hipError_tPvRmT2_T3_mT4_P12ihipStream_tbEUlT_E_NS1_11comp_targetILNS1_3genE9ELNS1_11target_archE1100ELNS1_3gpuE3ELNS1_3repE0EEENS1_30default_config_static_selectorELNS0_4arch9wavefront6targetE0EEEvT1_.uses_vcc, 0
	.set _ZN7rocprim17ROCPRIM_400000_NS6detail17trampoline_kernelINS0_14default_configENS1_35adjacent_difference_config_selectorILb0ElEEZNS1_24adjacent_difference_implIS3_Lb0ELb0EPlS7_ZN2at6native12_GLOBAL__N_124unique_dim_cuda_templateIN3c108BFloat16EEESt5tupleIJNS8_6TensorESF_SF_EERKSF_lbbbEUlllE1_EE10hipError_tPvRmT2_T3_mT4_P12ihipStream_tbEUlT_E_NS1_11comp_targetILNS1_3genE9ELNS1_11target_archE1100ELNS1_3gpuE3ELNS1_3repE0EEENS1_30default_config_static_selectorELNS0_4arch9wavefront6targetE0EEEvT1_.uses_flat_scratch, 0
	.set _ZN7rocprim17ROCPRIM_400000_NS6detail17trampoline_kernelINS0_14default_configENS1_35adjacent_difference_config_selectorILb0ElEEZNS1_24adjacent_difference_implIS3_Lb0ELb0EPlS7_ZN2at6native12_GLOBAL__N_124unique_dim_cuda_templateIN3c108BFloat16EEESt5tupleIJNS8_6TensorESF_SF_EERKSF_lbbbEUlllE1_EE10hipError_tPvRmT2_T3_mT4_P12ihipStream_tbEUlT_E_NS1_11comp_targetILNS1_3genE9ELNS1_11target_archE1100ELNS1_3gpuE3ELNS1_3repE0EEENS1_30default_config_static_selectorELNS0_4arch9wavefront6targetE0EEEvT1_.has_dyn_sized_stack, 0
	.set _ZN7rocprim17ROCPRIM_400000_NS6detail17trampoline_kernelINS0_14default_configENS1_35adjacent_difference_config_selectorILb0ElEEZNS1_24adjacent_difference_implIS3_Lb0ELb0EPlS7_ZN2at6native12_GLOBAL__N_124unique_dim_cuda_templateIN3c108BFloat16EEESt5tupleIJNS8_6TensorESF_SF_EERKSF_lbbbEUlllE1_EE10hipError_tPvRmT2_T3_mT4_P12ihipStream_tbEUlT_E_NS1_11comp_targetILNS1_3genE9ELNS1_11target_archE1100ELNS1_3gpuE3ELNS1_3repE0EEENS1_30default_config_static_selectorELNS0_4arch9wavefront6targetE0EEEvT1_.has_recursion, 0
	.set _ZN7rocprim17ROCPRIM_400000_NS6detail17trampoline_kernelINS0_14default_configENS1_35adjacent_difference_config_selectorILb0ElEEZNS1_24adjacent_difference_implIS3_Lb0ELb0EPlS7_ZN2at6native12_GLOBAL__N_124unique_dim_cuda_templateIN3c108BFloat16EEESt5tupleIJNS8_6TensorESF_SF_EERKSF_lbbbEUlllE1_EE10hipError_tPvRmT2_T3_mT4_P12ihipStream_tbEUlT_E_NS1_11comp_targetILNS1_3genE9ELNS1_11target_archE1100ELNS1_3gpuE3ELNS1_3repE0EEENS1_30default_config_static_selectorELNS0_4arch9wavefront6targetE0EEEvT1_.has_indirect_call, 0
	.section	.AMDGPU.csdata,"",@progbits
; Kernel info:
; codeLenInByte = 0
; TotalNumSgprs: 0
; NumVgprs: 0
; ScratchSize: 0
; MemoryBound: 0
; FloatMode: 240
; IeeeMode: 1
; LDSByteSize: 0 bytes/workgroup (compile time only)
; SGPRBlocks: 0
; VGPRBlocks: 0
; NumSGPRsForWavesPerEU: 1
; NumVGPRsForWavesPerEU: 1
; NamedBarCnt: 0
; Occupancy: 16
; WaveLimiterHint : 0
; COMPUTE_PGM_RSRC2:SCRATCH_EN: 0
; COMPUTE_PGM_RSRC2:USER_SGPR: 2
; COMPUTE_PGM_RSRC2:TRAP_HANDLER: 0
; COMPUTE_PGM_RSRC2:TGID_X_EN: 1
; COMPUTE_PGM_RSRC2:TGID_Y_EN: 0
; COMPUTE_PGM_RSRC2:TGID_Z_EN: 0
; COMPUTE_PGM_RSRC2:TIDIG_COMP_CNT: 0
	.section	.text._ZN7rocprim17ROCPRIM_400000_NS6detail17trampoline_kernelINS0_14default_configENS1_35adjacent_difference_config_selectorILb0ElEEZNS1_24adjacent_difference_implIS3_Lb0ELb0EPlS7_ZN2at6native12_GLOBAL__N_124unique_dim_cuda_templateIN3c108BFloat16EEESt5tupleIJNS8_6TensorESF_SF_EERKSF_lbbbEUlllE1_EE10hipError_tPvRmT2_T3_mT4_P12ihipStream_tbEUlT_E_NS1_11comp_targetILNS1_3genE8ELNS1_11target_archE1030ELNS1_3gpuE2ELNS1_3repE0EEENS1_30default_config_static_selectorELNS0_4arch9wavefront6targetE0EEEvT1_,"axG",@progbits,_ZN7rocprim17ROCPRIM_400000_NS6detail17trampoline_kernelINS0_14default_configENS1_35adjacent_difference_config_selectorILb0ElEEZNS1_24adjacent_difference_implIS3_Lb0ELb0EPlS7_ZN2at6native12_GLOBAL__N_124unique_dim_cuda_templateIN3c108BFloat16EEESt5tupleIJNS8_6TensorESF_SF_EERKSF_lbbbEUlllE1_EE10hipError_tPvRmT2_T3_mT4_P12ihipStream_tbEUlT_E_NS1_11comp_targetILNS1_3genE8ELNS1_11target_archE1030ELNS1_3gpuE2ELNS1_3repE0EEENS1_30default_config_static_selectorELNS0_4arch9wavefront6targetE0EEEvT1_,comdat
	.globl	_ZN7rocprim17ROCPRIM_400000_NS6detail17trampoline_kernelINS0_14default_configENS1_35adjacent_difference_config_selectorILb0ElEEZNS1_24adjacent_difference_implIS3_Lb0ELb0EPlS7_ZN2at6native12_GLOBAL__N_124unique_dim_cuda_templateIN3c108BFloat16EEESt5tupleIJNS8_6TensorESF_SF_EERKSF_lbbbEUlllE1_EE10hipError_tPvRmT2_T3_mT4_P12ihipStream_tbEUlT_E_NS1_11comp_targetILNS1_3genE8ELNS1_11target_archE1030ELNS1_3gpuE2ELNS1_3repE0EEENS1_30default_config_static_selectorELNS0_4arch9wavefront6targetE0EEEvT1_ ; -- Begin function _ZN7rocprim17ROCPRIM_400000_NS6detail17trampoline_kernelINS0_14default_configENS1_35adjacent_difference_config_selectorILb0ElEEZNS1_24adjacent_difference_implIS3_Lb0ELb0EPlS7_ZN2at6native12_GLOBAL__N_124unique_dim_cuda_templateIN3c108BFloat16EEESt5tupleIJNS8_6TensorESF_SF_EERKSF_lbbbEUlllE1_EE10hipError_tPvRmT2_T3_mT4_P12ihipStream_tbEUlT_E_NS1_11comp_targetILNS1_3genE8ELNS1_11target_archE1030ELNS1_3gpuE2ELNS1_3repE0EEENS1_30default_config_static_selectorELNS0_4arch9wavefront6targetE0EEEvT1_
	.p2align	8
	.type	_ZN7rocprim17ROCPRIM_400000_NS6detail17trampoline_kernelINS0_14default_configENS1_35adjacent_difference_config_selectorILb0ElEEZNS1_24adjacent_difference_implIS3_Lb0ELb0EPlS7_ZN2at6native12_GLOBAL__N_124unique_dim_cuda_templateIN3c108BFloat16EEESt5tupleIJNS8_6TensorESF_SF_EERKSF_lbbbEUlllE1_EE10hipError_tPvRmT2_T3_mT4_P12ihipStream_tbEUlT_E_NS1_11comp_targetILNS1_3genE8ELNS1_11target_archE1030ELNS1_3gpuE2ELNS1_3repE0EEENS1_30default_config_static_selectorELNS0_4arch9wavefront6targetE0EEEvT1_,@function
_ZN7rocprim17ROCPRIM_400000_NS6detail17trampoline_kernelINS0_14default_configENS1_35adjacent_difference_config_selectorILb0ElEEZNS1_24adjacent_difference_implIS3_Lb0ELb0EPlS7_ZN2at6native12_GLOBAL__N_124unique_dim_cuda_templateIN3c108BFloat16EEESt5tupleIJNS8_6TensorESF_SF_EERKSF_lbbbEUlllE1_EE10hipError_tPvRmT2_T3_mT4_P12ihipStream_tbEUlT_E_NS1_11comp_targetILNS1_3genE8ELNS1_11target_archE1030ELNS1_3gpuE2ELNS1_3repE0EEENS1_30default_config_static_selectorELNS0_4arch9wavefront6targetE0EEEvT1_: ; @_ZN7rocprim17ROCPRIM_400000_NS6detail17trampoline_kernelINS0_14default_configENS1_35adjacent_difference_config_selectorILb0ElEEZNS1_24adjacent_difference_implIS3_Lb0ELb0EPlS7_ZN2at6native12_GLOBAL__N_124unique_dim_cuda_templateIN3c108BFloat16EEESt5tupleIJNS8_6TensorESF_SF_EERKSF_lbbbEUlllE1_EE10hipError_tPvRmT2_T3_mT4_P12ihipStream_tbEUlT_E_NS1_11comp_targetILNS1_3genE8ELNS1_11target_archE1030ELNS1_3gpuE2ELNS1_3repE0EEENS1_30default_config_static_selectorELNS0_4arch9wavefront6targetE0EEEvT1_
; %bb.0:
	.section	.rodata,"a",@progbits
	.p2align	6, 0x0
	.amdhsa_kernel _ZN7rocprim17ROCPRIM_400000_NS6detail17trampoline_kernelINS0_14default_configENS1_35adjacent_difference_config_selectorILb0ElEEZNS1_24adjacent_difference_implIS3_Lb0ELb0EPlS7_ZN2at6native12_GLOBAL__N_124unique_dim_cuda_templateIN3c108BFloat16EEESt5tupleIJNS8_6TensorESF_SF_EERKSF_lbbbEUlllE1_EE10hipError_tPvRmT2_T3_mT4_P12ihipStream_tbEUlT_E_NS1_11comp_targetILNS1_3genE8ELNS1_11target_archE1030ELNS1_3gpuE2ELNS1_3repE0EEENS1_30default_config_static_selectorELNS0_4arch9wavefront6targetE0EEEvT1_
		.amdhsa_group_segment_fixed_size 0
		.amdhsa_private_segment_fixed_size 0
		.amdhsa_kernarg_size 64
		.amdhsa_user_sgpr_count 2
		.amdhsa_user_sgpr_dispatch_ptr 0
		.amdhsa_user_sgpr_queue_ptr 0
		.amdhsa_user_sgpr_kernarg_segment_ptr 1
		.amdhsa_user_sgpr_dispatch_id 0
		.amdhsa_user_sgpr_kernarg_preload_length 0
		.amdhsa_user_sgpr_kernarg_preload_offset 0
		.amdhsa_user_sgpr_private_segment_size 0
		.amdhsa_wavefront_size32 1
		.amdhsa_uses_dynamic_stack 0
		.amdhsa_enable_private_segment 0
		.amdhsa_system_sgpr_workgroup_id_x 1
		.amdhsa_system_sgpr_workgroup_id_y 0
		.amdhsa_system_sgpr_workgroup_id_z 0
		.amdhsa_system_sgpr_workgroup_info 0
		.amdhsa_system_vgpr_workitem_id 0
		.amdhsa_next_free_vgpr 1
		.amdhsa_next_free_sgpr 1
		.amdhsa_named_barrier_count 0
		.amdhsa_reserve_vcc 0
		.amdhsa_float_round_mode_32 0
		.amdhsa_float_round_mode_16_64 0
		.amdhsa_float_denorm_mode_32 3
		.amdhsa_float_denorm_mode_16_64 3
		.amdhsa_fp16_overflow 0
		.amdhsa_memory_ordered 1
		.amdhsa_forward_progress 1
		.amdhsa_inst_pref_size 0
		.amdhsa_round_robin_scheduling 0
		.amdhsa_exception_fp_ieee_invalid_op 0
		.amdhsa_exception_fp_denorm_src 0
		.amdhsa_exception_fp_ieee_div_zero 0
		.amdhsa_exception_fp_ieee_overflow 0
		.amdhsa_exception_fp_ieee_underflow 0
		.amdhsa_exception_fp_ieee_inexact 0
		.amdhsa_exception_int_div_zero 0
	.end_amdhsa_kernel
	.section	.text._ZN7rocprim17ROCPRIM_400000_NS6detail17trampoline_kernelINS0_14default_configENS1_35adjacent_difference_config_selectorILb0ElEEZNS1_24adjacent_difference_implIS3_Lb0ELb0EPlS7_ZN2at6native12_GLOBAL__N_124unique_dim_cuda_templateIN3c108BFloat16EEESt5tupleIJNS8_6TensorESF_SF_EERKSF_lbbbEUlllE1_EE10hipError_tPvRmT2_T3_mT4_P12ihipStream_tbEUlT_E_NS1_11comp_targetILNS1_3genE8ELNS1_11target_archE1030ELNS1_3gpuE2ELNS1_3repE0EEENS1_30default_config_static_selectorELNS0_4arch9wavefront6targetE0EEEvT1_,"axG",@progbits,_ZN7rocprim17ROCPRIM_400000_NS6detail17trampoline_kernelINS0_14default_configENS1_35adjacent_difference_config_selectorILb0ElEEZNS1_24adjacent_difference_implIS3_Lb0ELb0EPlS7_ZN2at6native12_GLOBAL__N_124unique_dim_cuda_templateIN3c108BFloat16EEESt5tupleIJNS8_6TensorESF_SF_EERKSF_lbbbEUlllE1_EE10hipError_tPvRmT2_T3_mT4_P12ihipStream_tbEUlT_E_NS1_11comp_targetILNS1_3genE8ELNS1_11target_archE1030ELNS1_3gpuE2ELNS1_3repE0EEENS1_30default_config_static_selectorELNS0_4arch9wavefront6targetE0EEEvT1_,comdat
.Lfunc_end1156:
	.size	_ZN7rocprim17ROCPRIM_400000_NS6detail17trampoline_kernelINS0_14default_configENS1_35adjacent_difference_config_selectorILb0ElEEZNS1_24adjacent_difference_implIS3_Lb0ELb0EPlS7_ZN2at6native12_GLOBAL__N_124unique_dim_cuda_templateIN3c108BFloat16EEESt5tupleIJNS8_6TensorESF_SF_EERKSF_lbbbEUlllE1_EE10hipError_tPvRmT2_T3_mT4_P12ihipStream_tbEUlT_E_NS1_11comp_targetILNS1_3genE8ELNS1_11target_archE1030ELNS1_3gpuE2ELNS1_3repE0EEENS1_30default_config_static_selectorELNS0_4arch9wavefront6targetE0EEEvT1_, .Lfunc_end1156-_ZN7rocprim17ROCPRIM_400000_NS6detail17trampoline_kernelINS0_14default_configENS1_35adjacent_difference_config_selectorILb0ElEEZNS1_24adjacent_difference_implIS3_Lb0ELb0EPlS7_ZN2at6native12_GLOBAL__N_124unique_dim_cuda_templateIN3c108BFloat16EEESt5tupleIJNS8_6TensorESF_SF_EERKSF_lbbbEUlllE1_EE10hipError_tPvRmT2_T3_mT4_P12ihipStream_tbEUlT_E_NS1_11comp_targetILNS1_3genE8ELNS1_11target_archE1030ELNS1_3gpuE2ELNS1_3repE0EEENS1_30default_config_static_selectorELNS0_4arch9wavefront6targetE0EEEvT1_
                                        ; -- End function
	.set _ZN7rocprim17ROCPRIM_400000_NS6detail17trampoline_kernelINS0_14default_configENS1_35adjacent_difference_config_selectorILb0ElEEZNS1_24adjacent_difference_implIS3_Lb0ELb0EPlS7_ZN2at6native12_GLOBAL__N_124unique_dim_cuda_templateIN3c108BFloat16EEESt5tupleIJNS8_6TensorESF_SF_EERKSF_lbbbEUlllE1_EE10hipError_tPvRmT2_T3_mT4_P12ihipStream_tbEUlT_E_NS1_11comp_targetILNS1_3genE8ELNS1_11target_archE1030ELNS1_3gpuE2ELNS1_3repE0EEENS1_30default_config_static_selectorELNS0_4arch9wavefront6targetE0EEEvT1_.num_vgpr, 0
	.set _ZN7rocprim17ROCPRIM_400000_NS6detail17trampoline_kernelINS0_14default_configENS1_35adjacent_difference_config_selectorILb0ElEEZNS1_24adjacent_difference_implIS3_Lb0ELb0EPlS7_ZN2at6native12_GLOBAL__N_124unique_dim_cuda_templateIN3c108BFloat16EEESt5tupleIJNS8_6TensorESF_SF_EERKSF_lbbbEUlllE1_EE10hipError_tPvRmT2_T3_mT4_P12ihipStream_tbEUlT_E_NS1_11comp_targetILNS1_3genE8ELNS1_11target_archE1030ELNS1_3gpuE2ELNS1_3repE0EEENS1_30default_config_static_selectorELNS0_4arch9wavefront6targetE0EEEvT1_.num_agpr, 0
	.set _ZN7rocprim17ROCPRIM_400000_NS6detail17trampoline_kernelINS0_14default_configENS1_35adjacent_difference_config_selectorILb0ElEEZNS1_24adjacent_difference_implIS3_Lb0ELb0EPlS7_ZN2at6native12_GLOBAL__N_124unique_dim_cuda_templateIN3c108BFloat16EEESt5tupleIJNS8_6TensorESF_SF_EERKSF_lbbbEUlllE1_EE10hipError_tPvRmT2_T3_mT4_P12ihipStream_tbEUlT_E_NS1_11comp_targetILNS1_3genE8ELNS1_11target_archE1030ELNS1_3gpuE2ELNS1_3repE0EEENS1_30default_config_static_selectorELNS0_4arch9wavefront6targetE0EEEvT1_.numbered_sgpr, 0
	.set _ZN7rocprim17ROCPRIM_400000_NS6detail17trampoline_kernelINS0_14default_configENS1_35adjacent_difference_config_selectorILb0ElEEZNS1_24adjacent_difference_implIS3_Lb0ELb0EPlS7_ZN2at6native12_GLOBAL__N_124unique_dim_cuda_templateIN3c108BFloat16EEESt5tupleIJNS8_6TensorESF_SF_EERKSF_lbbbEUlllE1_EE10hipError_tPvRmT2_T3_mT4_P12ihipStream_tbEUlT_E_NS1_11comp_targetILNS1_3genE8ELNS1_11target_archE1030ELNS1_3gpuE2ELNS1_3repE0EEENS1_30default_config_static_selectorELNS0_4arch9wavefront6targetE0EEEvT1_.num_named_barrier, 0
	.set _ZN7rocprim17ROCPRIM_400000_NS6detail17trampoline_kernelINS0_14default_configENS1_35adjacent_difference_config_selectorILb0ElEEZNS1_24adjacent_difference_implIS3_Lb0ELb0EPlS7_ZN2at6native12_GLOBAL__N_124unique_dim_cuda_templateIN3c108BFloat16EEESt5tupleIJNS8_6TensorESF_SF_EERKSF_lbbbEUlllE1_EE10hipError_tPvRmT2_T3_mT4_P12ihipStream_tbEUlT_E_NS1_11comp_targetILNS1_3genE8ELNS1_11target_archE1030ELNS1_3gpuE2ELNS1_3repE0EEENS1_30default_config_static_selectorELNS0_4arch9wavefront6targetE0EEEvT1_.private_seg_size, 0
	.set _ZN7rocprim17ROCPRIM_400000_NS6detail17trampoline_kernelINS0_14default_configENS1_35adjacent_difference_config_selectorILb0ElEEZNS1_24adjacent_difference_implIS3_Lb0ELb0EPlS7_ZN2at6native12_GLOBAL__N_124unique_dim_cuda_templateIN3c108BFloat16EEESt5tupleIJNS8_6TensorESF_SF_EERKSF_lbbbEUlllE1_EE10hipError_tPvRmT2_T3_mT4_P12ihipStream_tbEUlT_E_NS1_11comp_targetILNS1_3genE8ELNS1_11target_archE1030ELNS1_3gpuE2ELNS1_3repE0EEENS1_30default_config_static_selectorELNS0_4arch9wavefront6targetE0EEEvT1_.uses_vcc, 0
	.set _ZN7rocprim17ROCPRIM_400000_NS6detail17trampoline_kernelINS0_14default_configENS1_35adjacent_difference_config_selectorILb0ElEEZNS1_24adjacent_difference_implIS3_Lb0ELb0EPlS7_ZN2at6native12_GLOBAL__N_124unique_dim_cuda_templateIN3c108BFloat16EEESt5tupleIJNS8_6TensorESF_SF_EERKSF_lbbbEUlllE1_EE10hipError_tPvRmT2_T3_mT4_P12ihipStream_tbEUlT_E_NS1_11comp_targetILNS1_3genE8ELNS1_11target_archE1030ELNS1_3gpuE2ELNS1_3repE0EEENS1_30default_config_static_selectorELNS0_4arch9wavefront6targetE0EEEvT1_.uses_flat_scratch, 0
	.set _ZN7rocprim17ROCPRIM_400000_NS6detail17trampoline_kernelINS0_14default_configENS1_35adjacent_difference_config_selectorILb0ElEEZNS1_24adjacent_difference_implIS3_Lb0ELb0EPlS7_ZN2at6native12_GLOBAL__N_124unique_dim_cuda_templateIN3c108BFloat16EEESt5tupleIJNS8_6TensorESF_SF_EERKSF_lbbbEUlllE1_EE10hipError_tPvRmT2_T3_mT4_P12ihipStream_tbEUlT_E_NS1_11comp_targetILNS1_3genE8ELNS1_11target_archE1030ELNS1_3gpuE2ELNS1_3repE0EEENS1_30default_config_static_selectorELNS0_4arch9wavefront6targetE0EEEvT1_.has_dyn_sized_stack, 0
	.set _ZN7rocprim17ROCPRIM_400000_NS6detail17trampoline_kernelINS0_14default_configENS1_35adjacent_difference_config_selectorILb0ElEEZNS1_24adjacent_difference_implIS3_Lb0ELb0EPlS7_ZN2at6native12_GLOBAL__N_124unique_dim_cuda_templateIN3c108BFloat16EEESt5tupleIJNS8_6TensorESF_SF_EERKSF_lbbbEUlllE1_EE10hipError_tPvRmT2_T3_mT4_P12ihipStream_tbEUlT_E_NS1_11comp_targetILNS1_3genE8ELNS1_11target_archE1030ELNS1_3gpuE2ELNS1_3repE0EEENS1_30default_config_static_selectorELNS0_4arch9wavefront6targetE0EEEvT1_.has_recursion, 0
	.set _ZN7rocprim17ROCPRIM_400000_NS6detail17trampoline_kernelINS0_14default_configENS1_35adjacent_difference_config_selectorILb0ElEEZNS1_24adjacent_difference_implIS3_Lb0ELb0EPlS7_ZN2at6native12_GLOBAL__N_124unique_dim_cuda_templateIN3c108BFloat16EEESt5tupleIJNS8_6TensorESF_SF_EERKSF_lbbbEUlllE1_EE10hipError_tPvRmT2_T3_mT4_P12ihipStream_tbEUlT_E_NS1_11comp_targetILNS1_3genE8ELNS1_11target_archE1030ELNS1_3gpuE2ELNS1_3repE0EEENS1_30default_config_static_selectorELNS0_4arch9wavefront6targetE0EEEvT1_.has_indirect_call, 0
	.section	.AMDGPU.csdata,"",@progbits
; Kernel info:
; codeLenInByte = 0
; TotalNumSgprs: 0
; NumVgprs: 0
; ScratchSize: 0
; MemoryBound: 0
; FloatMode: 240
; IeeeMode: 1
; LDSByteSize: 0 bytes/workgroup (compile time only)
; SGPRBlocks: 0
; VGPRBlocks: 0
; NumSGPRsForWavesPerEU: 1
; NumVGPRsForWavesPerEU: 1
; NamedBarCnt: 0
; Occupancy: 16
; WaveLimiterHint : 0
; COMPUTE_PGM_RSRC2:SCRATCH_EN: 0
; COMPUTE_PGM_RSRC2:USER_SGPR: 2
; COMPUTE_PGM_RSRC2:TRAP_HANDLER: 0
; COMPUTE_PGM_RSRC2:TGID_X_EN: 1
; COMPUTE_PGM_RSRC2:TGID_Y_EN: 0
; COMPUTE_PGM_RSRC2:TGID_Z_EN: 0
; COMPUTE_PGM_RSRC2:TIDIG_COMP_CNT: 0
	.section	.text._ZN7rocprim17ROCPRIM_400000_NS6detail17trampoline_kernelINS0_14default_configENS1_25transform_config_selectorIlLb0EEEZNS1_14transform_implILb0ES3_S5_NS0_18transform_iteratorINS0_17counting_iteratorImlEEZNS1_24adjacent_difference_implIS3_Lb1ELb0EPlSB_ZN2at6native12_GLOBAL__N_124unique_dim_cuda_templateIN3c108BFloat16EEESt5tupleIJNSC_6TensorESJ_SJ_EERKSJ_lbbbEUlllE1_EE10hipError_tPvRmT2_T3_mT4_P12ihipStream_tbEUlmE_lEESB_NS0_8identityIvEEEESO_SR_SS_mST_SV_bEUlT_E_NS1_11comp_targetILNS1_3genE0ELNS1_11target_archE4294967295ELNS1_3gpuE0ELNS1_3repE0EEENS1_30default_config_static_selectorELNS0_4arch9wavefront6targetE0EEEvT1_,"axG",@progbits,_ZN7rocprim17ROCPRIM_400000_NS6detail17trampoline_kernelINS0_14default_configENS1_25transform_config_selectorIlLb0EEEZNS1_14transform_implILb0ES3_S5_NS0_18transform_iteratorINS0_17counting_iteratorImlEEZNS1_24adjacent_difference_implIS3_Lb1ELb0EPlSB_ZN2at6native12_GLOBAL__N_124unique_dim_cuda_templateIN3c108BFloat16EEESt5tupleIJNSC_6TensorESJ_SJ_EERKSJ_lbbbEUlllE1_EE10hipError_tPvRmT2_T3_mT4_P12ihipStream_tbEUlmE_lEESB_NS0_8identityIvEEEESO_SR_SS_mST_SV_bEUlT_E_NS1_11comp_targetILNS1_3genE0ELNS1_11target_archE4294967295ELNS1_3gpuE0ELNS1_3repE0EEENS1_30default_config_static_selectorELNS0_4arch9wavefront6targetE0EEEvT1_,comdat
	.globl	_ZN7rocprim17ROCPRIM_400000_NS6detail17trampoline_kernelINS0_14default_configENS1_25transform_config_selectorIlLb0EEEZNS1_14transform_implILb0ES3_S5_NS0_18transform_iteratorINS0_17counting_iteratorImlEEZNS1_24adjacent_difference_implIS3_Lb1ELb0EPlSB_ZN2at6native12_GLOBAL__N_124unique_dim_cuda_templateIN3c108BFloat16EEESt5tupleIJNSC_6TensorESJ_SJ_EERKSJ_lbbbEUlllE1_EE10hipError_tPvRmT2_T3_mT4_P12ihipStream_tbEUlmE_lEESB_NS0_8identityIvEEEESO_SR_SS_mST_SV_bEUlT_E_NS1_11comp_targetILNS1_3genE0ELNS1_11target_archE4294967295ELNS1_3gpuE0ELNS1_3repE0EEENS1_30default_config_static_selectorELNS0_4arch9wavefront6targetE0EEEvT1_ ; -- Begin function _ZN7rocprim17ROCPRIM_400000_NS6detail17trampoline_kernelINS0_14default_configENS1_25transform_config_selectorIlLb0EEEZNS1_14transform_implILb0ES3_S5_NS0_18transform_iteratorINS0_17counting_iteratorImlEEZNS1_24adjacent_difference_implIS3_Lb1ELb0EPlSB_ZN2at6native12_GLOBAL__N_124unique_dim_cuda_templateIN3c108BFloat16EEESt5tupleIJNSC_6TensorESJ_SJ_EERKSJ_lbbbEUlllE1_EE10hipError_tPvRmT2_T3_mT4_P12ihipStream_tbEUlmE_lEESB_NS0_8identityIvEEEESO_SR_SS_mST_SV_bEUlT_E_NS1_11comp_targetILNS1_3genE0ELNS1_11target_archE4294967295ELNS1_3gpuE0ELNS1_3repE0EEENS1_30default_config_static_selectorELNS0_4arch9wavefront6targetE0EEEvT1_
	.p2align	8
	.type	_ZN7rocprim17ROCPRIM_400000_NS6detail17trampoline_kernelINS0_14default_configENS1_25transform_config_selectorIlLb0EEEZNS1_14transform_implILb0ES3_S5_NS0_18transform_iteratorINS0_17counting_iteratorImlEEZNS1_24adjacent_difference_implIS3_Lb1ELb0EPlSB_ZN2at6native12_GLOBAL__N_124unique_dim_cuda_templateIN3c108BFloat16EEESt5tupleIJNSC_6TensorESJ_SJ_EERKSJ_lbbbEUlllE1_EE10hipError_tPvRmT2_T3_mT4_P12ihipStream_tbEUlmE_lEESB_NS0_8identityIvEEEESO_SR_SS_mST_SV_bEUlT_E_NS1_11comp_targetILNS1_3genE0ELNS1_11target_archE4294967295ELNS1_3gpuE0ELNS1_3repE0EEENS1_30default_config_static_selectorELNS0_4arch9wavefront6targetE0EEEvT1_,@function
_ZN7rocprim17ROCPRIM_400000_NS6detail17trampoline_kernelINS0_14default_configENS1_25transform_config_selectorIlLb0EEEZNS1_14transform_implILb0ES3_S5_NS0_18transform_iteratorINS0_17counting_iteratorImlEEZNS1_24adjacent_difference_implIS3_Lb1ELb0EPlSB_ZN2at6native12_GLOBAL__N_124unique_dim_cuda_templateIN3c108BFloat16EEESt5tupleIJNSC_6TensorESJ_SJ_EERKSJ_lbbbEUlllE1_EE10hipError_tPvRmT2_T3_mT4_P12ihipStream_tbEUlmE_lEESB_NS0_8identityIvEEEESO_SR_SS_mST_SV_bEUlT_E_NS1_11comp_targetILNS1_3genE0ELNS1_11target_archE4294967295ELNS1_3gpuE0ELNS1_3repE0EEENS1_30default_config_static_selectorELNS0_4arch9wavefront6targetE0EEEvT1_: ; @_ZN7rocprim17ROCPRIM_400000_NS6detail17trampoline_kernelINS0_14default_configENS1_25transform_config_selectorIlLb0EEEZNS1_14transform_implILb0ES3_S5_NS0_18transform_iteratorINS0_17counting_iteratorImlEEZNS1_24adjacent_difference_implIS3_Lb1ELb0EPlSB_ZN2at6native12_GLOBAL__N_124unique_dim_cuda_templateIN3c108BFloat16EEESt5tupleIJNSC_6TensorESJ_SJ_EERKSJ_lbbbEUlllE1_EE10hipError_tPvRmT2_T3_mT4_P12ihipStream_tbEUlmE_lEESB_NS0_8identityIvEEEESO_SR_SS_mST_SV_bEUlT_E_NS1_11comp_targetILNS1_3genE0ELNS1_11target_archE4294967295ELNS1_3gpuE0ELNS1_3repE0EEENS1_30default_config_static_selectorELNS0_4arch9wavefront6targetE0EEEvT1_
; %bb.0:
	s_clause 0x1
	s_load_b32 s2, s[0:1], 0x38
	s_load_b32 s3, s[0:1], 0x20
	s_bfe_u32 s4, ttmp6, 0x4000c
	s_and_b32 s5, ttmp6, 15
	s_add_co_i32 s4, s4, 1
	s_getreg_b32 s6, hwreg(HW_REG_IB_STS2, 6, 4)
	s_mul_i32 s4, ttmp9, s4
	s_delay_alu instid0(SALU_CYCLE_1)
	s_add_co_i32 s5, s5, s4
	s_cmp_eq_u32 s6, 0
	s_cselect_b32 s4, ttmp9, s5
	s_wait_kmcnt 0x0
	s_add_co_i32 s5, s2, -1
	s_lshl_b32 s2, s4, 7
	s_cmp_lg_u32 s4, s5
	s_cselect_b32 s4, -1, 0
	s_sub_co_i32 s3, s3, s2
	s_delay_alu instid0(SALU_CYCLE_1) | instskip(SKIP_2) | instid1(SALU_CYCLE_1)
	v_cmp_gt_u32_e32 vcc_lo, s3, v0
	s_mov_b32 s3, 0
	s_or_b32 s4, s4, vcc_lo
	s_and_saveexec_b32 s5, s4
	s_cbranch_execz .LBB1157_2
; %bb.1:
	s_clause 0x3
	s_load_b64 s[8:9], s[0:1], 0x18
	s_load_b128 s[4:7], s[0:1], 0x0
	s_load_b32 s10, s[0:1], 0x10
	s_load_b64 s[12:13], s[0:1], 0x28
	v_mov_b32_e32 v1, 0
	s_mov_b32 s11, s3
	s_wait_kmcnt 0x0
	s_add_nc_u64 s[0:1], s[4:5], s[8:9]
	s_delay_alu instid0(SALU_CYCLE_1) | instskip(SKIP_3) | instid1(SALU_CYCLE_1)
	s_add_nc_u64 s[0:1], s[0:1], s[2:3]
	s_lshl_b64 s[2:3], s[2:3], 3
	v_add_nc_u64_e32 v[2:3], s[0:1], v[0:1]
	s_lshl_b64 s[0:1], s[8:9], 3
	s_add_nc_u64 s[0:1], s[12:13], s[0:1]
	s_delay_alu instid0(SALU_CYCLE_1) | instskip(NEXT) | instid1(VALU_DEP_1)
	s_add_nc_u64 s[0:1], s[0:1], s[2:3]
	v_mul_u64_e32 v[2:3], s[10:11], v[2:3]
	s_delay_alu instid0(VALU_DEP_1)
	v_lshl_add_u64 v[2:3], v[2:3], 3, s[6:7]
	global_load_b64 v[2:3], v[2:3], off
	s_wait_loadcnt 0x0
	global_store_b64 v0, v[2:3], s[0:1] scale_offset
.LBB1157_2:
	s_endpgm
	.section	.rodata,"a",@progbits
	.p2align	6, 0x0
	.amdhsa_kernel _ZN7rocprim17ROCPRIM_400000_NS6detail17trampoline_kernelINS0_14default_configENS1_25transform_config_selectorIlLb0EEEZNS1_14transform_implILb0ES3_S5_NS0_18transform_iteratorINS0_17counting_iteratorImlEEZNS1_24adjacent_difference_implIS3_Lb1ELb0EPlSB_ZN2at6native12_GLOBAL__N_124unique_dim_cuda_templateIN3c108BFloat16EEESt5tupleIJNSC_6TensorESJ_SJ_EERKSJ_lbbbEUlllE1_EE10hipError_tPvRmT2_T3_mT4_P12ihipStream_tbEUlmE_lEESB_NS0_8identityIvEEEESO_SR_SS_mST_SV_bEUlT_E_NS1_11comp_targetILNS1_3genE0ELNS1_11target_archE4294967295ELNS1_3gpuE0ELNS1_3repE0EEENS1_30default_config_static_selectorELNS0_4arch9wavefront6targetE0EEEvT1_
		.amdhsa_group_segment_fixed_size 0
		.amdhsa_private_segment_fixed_size 0
		.amdhsa_kernarg_size 312
		.amdhsa_user_sgpr_count 2
		.amdhsa_user_sgpr_dispatch_ptr 0
		.amdhsa_user_sgpr_queue_ptr 0
		.amdhsa_user_sgpr_kernarg_segment_ptr 1
		.amdhsa_user_sgpr_dispatch_id 0
		.amdhsa_user_sgpr_kernarg_preload_length 0
		.amdhsa_user_sgpr_kernarg_preload_offset 0
		.amdhsa_user_sgpr_private_segment_size 0
		.amdhsa_wavefront_size32 1
		.amdhsa_uses_dynamic_stack 0
		.amdhsa_enable_private_segment 0
		.amdhsa_system_sgpr_workgroup_id_x 1
		.amdhsa_system_sgpr_workgroup_id_y 0
		.amdhsa_system_sgpr_workgroup_id_z 0
		.amdhsa_system_sgpr_workgroup_info 0
		.amdhsa_system_vgpr_workitem_id 0
		.amdhsa_next_free_vgpr 4
		.amdhsa_next_free_sgpr 14
		.amdhsa_named_barrier_count 0
		.amdhsa_reserve_vcc 1
		.amdhsa_float_round_mode_32 0
		.amdhsa_float_round_mode_16_64 0
		.amdhsa_float_denorm_mode_32 3
		.amdhsa_float_denorm_mode_16_64 3
		.amdhsa_fp16_overflow 0
		.amdhsa_memory_ordered 1
		.amdhsa_forward_progress 1
		.amdhsa_inst_pref_size 2
		.amdhsa_round_robin_scheduling 0
		.amdhsa_exception_fp_ieee_invalid_op 0
		.amdhsa_exception_fp_denorm_src 0
		.amdhsa_exception_fp_ieee_div_zero 0
		.amdhsa_exception_fp_ieee_overflow 0
		.amdhsa_exception_fp_ieee_underflow 0
		.amdhsa_exception_fp_ieee_inexact 0
		.amdhsa_exception_int_div_zero 0
	.end_amdhsa_kernel
	.section	.text._ZN7rocprim17ROCPRIM_400000_NS6detail17trampoline_kernelINS0_14default_configENS1_25transform_config_selectorIlLb0EEEZNS1_14transform_implILb0ES3_S5_NS0_18transform_iteratorINS0_17counting_iteratorImlEEZNS1_24adjacent_difference_implIS3_Lb1ELb0EPlSB_ZN2at6native12_GLOBAL__N_124unique_dim_cuda_templateIN3c108BFloat16EEESt5tupleIJNSC_6TensorESJ_SJ_EERKSJ_lbbbEUlllE1_EE10hipError_tPvRmT2_T3_mT4_P12ihipStream_tbEUlmE_lEESB_NS0_8identityIvEEEESO_SR_SS_mST_SV_bEUlT_E_NS1_11comp_targetILNS1_3genE0ELNS1_11target_archE4294967295ELNS1_3gpuE0ELNS1_3repE0EEENS1_30default_config_static_selectorELNS0_4arch9wavefront6targetE0EEEvT1_,"axG",@progbits,_ZN7rocprim17ROCPRIM_400000_NS6detail17trampoline_kernelINS0_14default_configENS1_25transform_config_selectorIlLb0EEEZNS1_14transform_implILb0ES3_S5_NS0_18transform_iteratorINS0_17counting_iteratorImlEEZNS1_24adjacent_difference_implIS3_Lb1ELb0EPlSB_ZN2at6native12_GLOBAL__N_124unique_dim_cuda_templateIN3c108BFloat16EEESt5tupleIJNSC_6TensorESJ_SJ_EERKSJ_lbbbEUlllE1_EE10hipError_tPvRmT2_T3_mT4_P12ihipStream_tbEUlmE_lEESB_NS0_8identityIvEEEESO_SR_SS_mST_SV_bEUlT_E_NS1_11comp_targetILNS1_3genE0ELNS1_11target_archE4294967295ELNS1_3gpuE0ELNS1_3repE0EEENS1_30default_config_static_selectorELNS0_4arch9wavefront6targetE0EEEvT1_,comdat
.Lfunc_end1157:
	.size	_ZN7rocprim17ROCPRIM_400000_NS6detail17trampoline_kernelINS0_14default_configENS1_25transform_config_selectorIlLb0EEEZNS1_14transform_implILb0ES3_S5_NS0_18transform_iteratorINS0_17counting_iteratorImlEEZNS1_24adjacent_difference_implIS3_Lb1ELb0EPlSB_ZN2at6native12_GLOBAL__N_124unique_dim_cuda_templateIN3c108BFloat16EEESt5tupleIJNSC_6TensorESJ_SJ_EERKSJ_lbbbEUlllE1_EE10hipError_tPvRmT2_T3_mT4_P12ihipStream_tbEUlmE_lEESB_NS0_8identityIvEEEESO_SR_SS_mST_SV_bEUlT_E_NS1_11comp_targetILNS1_3genE0ELNS1_11target_archE4294967295ELNS1_3gpuE0ELNS1_3repE0EEENS1_30default_config_static_selectorELNS0_4arch9wavefront6targetE0EEEvT1_, .Lfunc_end1157-_ZN7rocprim17ROCPRIM_400000_NS6detail17trampoline_kernelINS0_14default_configENS1_25transform_config_selectorIlLb0EEEZNS1_14transform_implILb0ES3_S5_NS0_18transform_iteratorINS0_17counting_iteratorImlEEZNS1_24adjacent_difference_implIS3_Lb1ELb0EPlSB_ZN2at6native12_GLOBAL__N_124unique_dim_cuda_templateIN3c108BFloat16EEESt5tupleIJNSC_6TensorESJ_SJ_EERKSJ_lbbbEUlllE1_EE10hipError_tPvRmT2_T3_mT4_P12ihipStream_tbEUlmE_lEESB_NS0_8identityIvEEEESO_SR_SS_mST_SV_bEUlT_E_NS1_11comp_targetILNS1_3genE0ELNS1_11target_archE4294967295ELNS1_3gpuE0ELNS1_3repE0EEENS1_30default_config_static_selectorELNS0_4arch9wavefront6targetE0EEEvT1_
                                        ; -- End function
	.set _ZN7rocprim17ROCPRIM_400000_NS6detail17trampoline_kernelINS0_14default_configENS1_25transform_config_selectorIlLb0EEEZNS1_14transform_implILb0ES3_S5_NS0_18transform_iteratorINS0_17counting_iteratorImlEEZNS1_24adjacent_difference_implIS3_Lb1ELb0EPlSB_ZN2at6native12_GLOBAL__N_124unique_dim_cuda_templateIN3c108BFloat16EEESt5tupleIJNSC_6TensorESJ_SJ_EERKSJ_lbbbEUlllE1_EE10hipError_tPvRmT2_T3_mT4_P12ihipStream_tbEUlmE_lEESB_NS0_8identityIvEEEESO_SR_SS_mST_SV_bEUlT_E_NS1_11comp_targetILNS1_3genE0ELNS1_11target_archE4294967295ELNS1_3gpuE0ELNS1_3repE0EEENS1_30default_config_static_selectorELNS0_4arch9wavefront6targetE0EEEvT1_.num_vgpr, 4
	.set _ZN7rocprim17ROCPRIM_400000_NS6detail17trampoline_kernelINS0_14default_configENS1_25transform_config_selectorIlLb0EEEZNS1_14transform_implILb0ES3_S5_NS0_18transform_iteratorINS0_17counting_iteratorImlEEZNS1_24adjacent_difference_implIS3_Lb1ELb0EPlSB_ZN2at6native12_GLOBAL__N_124unique_dim_cuda_templateIN3c108BFloat16EEESt5tupleIJNSC_6TensorESJ_SJ_EERKSJ_lbbbEUlllE1_EE10hipError_tPvRmT2_T3_mT4_P12ihipStream_tbEUlmE_lEESB_NS0_8identityIvEEEESO_SR_SS_mST_SV_bEUlT_E_NS1_11comp_targetILNS1_3genE0ELNS1_11target_archE4294967295ELNS1_3gpuE0ELNS1_3repE0EEENS1_30default_config_static_selectorELNS0_4arch9wavefront6targetE0EEEvT1_.num_agpr, 0
	.set _ZN7rocprim17ROCPRIM_400000_NS6detail17trampoline_kernelINS0_14default_configENS1_25transform_config_selectorIlLb0EEEZNS1_14transform_implILb0ES3_S5_NS0_18transform_iteratorINS0_17counting_iteratorImlEEZNS1_24adjacent_difference_implIS3_Lb1ELb0EPlSB_ZN2at6native12_GLOBAL__N_124unique_dim_cuda_templateIN3c108BFloat16EEESt5tupleIJNSC_6TensorESJ_SJ_EERKSJ_lbbbEUlllE1_EE10hipError_tPvRmT2_T3_mT4_P12ihipStream_tbEUlmE_lEESB_NS0_8identityIvEEEESO_SR_SS_mST_SV_bEUlT_E_NS1_11comp_targetILNS1_3genE0ELNS1_11target_archE4294967295ELNS1_3gpuE0ELNS1_3repE0EEENS1_30default_config_static_selectorELNS0_4arch9wavefront6targetE0EEEvT1_.numbered_sgpr, 14
	.set _ZN7rocprim17ROCPRIM_400000_NS6detail17trampoline_kernelINS0_14default_configENS1_25transform_config_selectorIlLb0EEEZNS1_14transform_implILb0ES3_S5_NS0_18transform_iteratorINS0_17counting_iteratorImlEEZNS1_24adjacent_difference_implIS3_Lb1ELb0EPlSB_ZN2at6native12_GLOBAL__N_124unique_dim_cuda_templateIN3c108BFloat16EEESt5tupleIJNSC_6TensorESJ_SJ_EERKSJ_lbbbEUlllE1_EE10hipError_tPvRmT2_T3_mT4_P12ihipStream_tbEUlmE_lEESB_NS0_8identityIvEEEESO_SR_SS_mST_SV_bEUlT_E_NS1_11comp_targetILNS1_3genE0ELNS1_11target_archE4294967295ELNS1_3gpuE0ELNS1_3repE0EEENS1_30default_config_static_selectorELNS0_4arch9wavefront6targetE0EEEvT1_.num_named_barrier, 0
	.set _ZN7rocprim17ROCPRIM_400000_NS6detail17trampoline_kernelINS0_14default_configENS1_25transform_config_selectorIlLb0EEEZNS1_14transform_implILb0ES3_S5_NS0_18transform_iteratorINS0_17counting_iteratorImlEEZNS1_24adjacent_difference_implIS3_Lb1ELb0EPlSB_ZN2at6native12_GLOBAL__N_124unique_dim_cuda_templateIN3c108BFloat16EEESt5tupleIJNSC_6TensorESJ_SJ_EERKSJ_lbbbEUlllE1_EE10hipError_tPvRmT2_T3_mT4_P12ihipStream_tbEUlmE_lEESB_NS0_8identityIvEEEESO_SR_SS_mST_SV_bEUlT_E_NS1_11comp_targetILNS1_3genE0ELNS1_11target_archE4294967295ELNS1_3gpuE0ELNS1_3repE0EEENS1_30default_config_static_selectorELNS0_4arch9wavefront6targetE0EEEvT1_.private_seg_size, 0
	.set _ZN7rocprim17ROCPRIM_400000_NS6detail17trampoline_kernelINS0_14default_configENS1_25transform_config_selectorIlLb0EEEZNS1_14transform_implILb0ES3_S5_NS0_18transform_iteratorINS0_17counting_iteratorImlEEZNS1_24adjacent_difference_implIS3_Lb1ELb0EPlSB_ZN2at6native12_GLOBAL__N_124unique_dim_cuda_templateIN3c108BFloat16EEESt5tupleIJNSC_6TensorESJ_SJ_EERKSJ_lbbbEUlllE1_EE10hipError_tPvRmT2_T3_mT4_P12ihipStream_tbEUlmE_lEESB_NS0_8identityIvEEEESO_SR_SS_mST_SV_bEUlT_E_NS1_11comp_targetILNS1_3genE0ELNS1_11target_archE4294967295ELNS1_3gpuE0ELNS1_3repE0EEENS1_30default_config_static_selectorELNS0_4arch9wavefront6targetE0EEEvT1_.uses_vcc, 1
	.set _ZN7rocprim17ROCPRIM_400000_NS6detail17trampoline_kernelINS0_14default_configENS1_25transform_config_selectorIlLb0EEEZNS1_14transform_implILb0ES3_S5_NS0_18transform_iteratorINS0_17counting_iteratorImlEEZNS1_24adjacent_difference_implIS3_Lb1ELb0EPlSB_ZN2at6native12_GLOBAL__N_124unique_dim_cuda_templateIN3c108BFloat16EEESt5tupleIJNSC_6TensorESJ_SJ_EERKSJ_lbbbEUlllE1_EE10hipError_tPvRmT2_T3_mT4_P12ihipStream_tbEUlmE_lEESB_NS0_8identityIvEEEESO_SR_SS_mST_SV_bEUlT_E_NS1_11comp_targetILNS1_3genE0ELNS1_11target_archE4294967295ELNS1_3gpuE0ELNS1_3repE0EEENS1_30default_config_static_selectorELNS0_4arch9wavefront6targetE0EEEvT1_.uses_flat_scratch, 0
	.set _ZN7rocprim17ROCPRIM_400000_NS6detail17trampoline_kernelINS0_14default_configENS1_25transform_config_selectorIlLb0EEEZNS1_14transform_implILb0ES3_S5_NS0_18transform_iteratorINS0_17counting_iteratorImlEEZNS1_24adjacent_difference_implIS3_Lb1ELb0EPlSB_ZN2at6native12_GLOBAL__N_124unique_dim_cuda_templateIN3c108BFloat16EEESt5tupleIJNSC_6TensorESJ_SJ_EERKSJ_lbbbEUlllE1_EE10hipError_tPvRmT2_T3_mT4_P12ihipStream_tbEUlmE_lEESB_NS0_8identityIvEEEESO_SR_SS_mST_SV_bEUlT_E_NS1_11comp_targetILNS1_3genE0ELNS1_11target_archE4294967295ELNS1_3gpuE0ELNS1_3repE0EEENS1_30default_config_static_selectorELNS0_4arch9wavefront6targetE0EEEvT1_.has_dyn_sized_stack, 0
	.set _ZN7rocprim17ROCPRIM_400000_NS6detail17trampoline_kernelINS0_14default_configENS1_25transform_config_selectorIlLb0EEEZNS1_14transform_implILb0ES3_S5_NS0_18transform_iteratorINS0_17counting_iteratorImlEEZNS1_24adjacent_difference_implIS3_Lb1ELb0EPlSB_ZN2at6native12_GLOBAL__N_124unique_dim_cuda_templateIN3c108BFloat16EEESt5tupleIJNSC_6TensorESJ_SJ_EERKSJ_lbbbEUlllE1_EE10hipError_tPvRmT2_T3_mT4_P12ihipStream_tbEUlmE_lEESB_NS0_8identityIvEEEESO_SR_SS_mST_SV_bEUlT_E_NS1_11comp_targetILNS1_3genE0ELNS1_11target_archE4294967295ELNS1_3gpuE0ELNS1_3repE0EEENS1_30default_config_static_selectorELNS0_4arch9wavefront6targetE0EEEvT1_.has_recursion, 0
	.set _ZN7rocprim17ROCPRIM_400000_NS6detail17trampoline_kernelINS0_14default_configENS1_25transform_config_selectorIlLb0EEEZNS1_14transform_implILb0ES3_S5_NS0_18transform_iteratorINS0_17counting_iteratorImlEEZNS1_24adjacent_difference_implIS3_Lb1ELb0EPlSB_ZN2at6native12_GLOBAL__N_124unique_dim_cuda_templateIN3c108BFloat16EEESt5tupleIJNSC_6TensorESJ_SJ_EERKSJ_lbbbEUlllE1_EE10hipError_tPvRmT2_T3_mT4_P12ihipStream_tbEUlmE_lEESB_NS0_8identityIvEEEESO_SR_SS_mST_SV_bEUlT_E_NS1_11comp_targetILNS1_3genE0ELNS1_11target_archE4294967295ELNS1_3gpuE0ELNS1_3repE0EEENS1_30default_config_static_selectorELNS0_4arch9wavefront6targetE0EEEvT1_.has_indirect_call, 0
	.section	.AMDGPU.csdata,"",@progbits
; Kernel info:
; codeLenInByte = 240
; TotalNumSgprs: 16
; NumVgprs: 4
; ScratchSize: 0
; MemoryBound: 0
; FloatMode: 240
; IeeeMode: 1
; LDSByteSize: 0 bytes/workgroup (compile time only)
; SGPRBlocks: 0
; VGPRBlocks: 0
; NumSGPRsForWavesPerEU: 16
; NumVGPRsForWavesPerEU: 4
; NamedBarCnt: 0
; Occupancy: 16
; WaveLimiterHint : 0
; COMPUTE_PGM_RSRC2:SCRATCH_EN: 0
; COMPUTE_PGM_RSRC2:USER_SGPR: 2
; COMPUTE_PGM_RSRC2:TRAP_HANDLER: 0
; COMPUTE_PGM_RSRC2:TGID_X_EN: 1
; COMPUTE_PGM_RSRC2:TGID_Y_EN: 0
; COMPUTE_PGM_RSRC2:TGID_Z_EN: 0
; COMPUTE_PGM_RSRC2:TIDIG_COMP_CNT: 0
	.section	.text._ZN7rocprim17ROCPRIM_400000_NS6detail17trampoline_kernelINS0_14default_configENS1_25transform_config_selectorIlLb0EEEZNS1_14transform_implILb0ES3_S5_NS0_18transform_iteratorINS0_17counting_iteratorImlEEZNS1_24adjacent_difference_implIS3_Lb1ELb0EPlSB_ZN2at6native12_GLOBAL__N_124unique_dim_cuda_templateIN3c108BFloat16EEESt5tupleIJNSC_6TensorESJ_SJ_EERKSJ_lbbbEUlllE1_EE10hipError_tPvRmT2_T3_mT4_P12ihipStream_tbEUlmE_lEESB_NS0_8identityIvEEEESO_SR_SS_mST_SV_bEUlT_E_NS1_11comp_targetILNS1_3genE5ELNS1_11target_archE942ELNS1_3gpuE9ELNS1_3repE0EEENS1_30default_config_static_selectorELNS0_4arch9wavefront6targetE0EEEvT1_,"axG",@progbits,_ZN7rocprim17ROCPRIM_400000_NS6detail17trampoline_kernelINS0_14default_configENS1_25transform_config_selectorIlLb0EEEZNS1_14transform_implILb0ES3_S5_NS0_18transform_iteratorINS0_17counting_iteratorImlEEZNS1_24adjacent_difference_implIS3_Lb1ELb0EPlSB_ZN2at6native12_GLOBAL__N_124unique_dim_cuda_templateIN3c108BFloat16EEESt5tupleIJNSC_6TensorESJ_SJ_EERKSJ_lbbbEUlllE1_EE10hipError_tPvRmT2_T3_mT4_P12ihipStream_tbEUlmE_lEESB_NS0_8identityIvEEEESO_SR_SS_mST_SV_bEUlT_E_NS1_11comp_targetILNS1_3genE5ELNS1_11target_archE942ELNS1_3gpuE9ELNS1_3repE0EEENS1_30default_config_static_selectorELNS0_4arch9wavefront6targetE0EEEvT1_,comdat
	.globl	_ZN7rocprim17ROCPRIM_400000_NS6detail17trampoline_kernelINS0_14default_configENS1_25transform_config_selectorIlLb0EEEZNS1_14transform_implILb0ES3_S5_NS0_18transform_iteratorINS0_17counting_iteratorImlEEZNS1_24adjacent_difference_implIS3_Lb1ELb0EPlSB_ZN2at6native12_GLOBAL__N_124unique_dim_cuda_templateIN3c108BFloat16EEESt5tupleIJNSC_6TensorESJ_SJ_EERKSJ_lbbbEUlllE1_EE10hipError_tPvRmT2_T3_mT4_P12ihipStream_tbEUlmE_lEESB_NS0_8identityIvEEEESO_SR_SS_mST_SV_bEUlT_E_NS1_11comp_targetILNS1_3genE5ELNS1_11target_archE942ELNS1_3gpuE9ELNS1_3repE0EEENS1_30default_config_static_selectorELNS0_4arch9wavefront6targetE0EEEvT1_ ; -- Begin function _ZN7rocprim17ROCPRIM_400000_NS6detail17trampoline_kernelINS0_14default_configENS1_25transform_config_selectorIlLb0EEEZNS1_14transform_implILb0ES3_S5_NS0_18transform_iteratorINS0_17counting_iteratorImlEEZNS1_24adjacent_difference_implIS3_Lb1ELb0EPlSB_ZN2at6native12_GLOBAL__N_124unique_dim_cuda_templateIN3c108BFloat16EEESt5tupleIJNSC_6TensorESJ_SJ_EERKSJ_lbbbEUlllE1_EE10hipError_tPvRmT2_T3_mT4_P12ihipStream_tbEUlmE_lEESB_NS0_8identityIvEEEESO_SR_SS_mST_SV_bEUlT_E_NS1_11comp_targetILNS1_3genE5ELNS1_11target_archE942ELNS1_3gpuE9ELNS1_3repE0EEENS1_30default_config_static_selectorELNS0_4arch9wavefront6targetE0EEEvT1_
	.p2align	8
	.type	_ZN7rocprim17ROCPRIM_400000_NS6detail17trampoline_kernelINS0_14default_configENS1_25transform_config_selectorIlLb0EEEZNS1_14transform_implILb0ES3_S5_NS0_18transform_iteratorINS0_17counting_iteratorImlEEZNS1_24adjacent_difference_implIS3_Lb1ELb0EPlSB_ZN2at6native12_GLOBAL__N_124unique_dim_cuda_templateIN3c108BFloat16EEESt5tupleIJNSC_6TensorESJ_SJ_EERKSJ_lbbbEUlllE1_EE10hipError_tPvRmT2_T3_mT4_P12ihipStream_tbEUlmE_lEESB_NS0_8identityIvEEEESO_SR_SS_mST_SV_bEUlT_E_NS1_11comp_targetILNS1_3genE5ELNS1_11target_archE942ELNS1_3gpuE9ELNS1_3repE0EEENS1_30default_config_static_selectorELNS0_4arch9wavefront6targetE0EEEvT1_,@function
_ZN7rocprim17ROCPRIM_400000_NS6detail17trampoline_kernelINS0_14default_configENS1_25transform_config_selectorIlLb0EEEZNS1_14transform_implILb0ES3_S5_NS0_18transform_iteratorINS0_17counting_iteratorImlEEZNS1_24adjacent_difference_implIS3_Lb1ELb0EPlSB_ZN2at6native12_GLOBAL__N_124unique_dim_cuda_templateIN3c108BFloat16EEESt5tupleIJNSC_6TensorESJ_SJ_EERKSJ_lbbbEUlllE1_EE10hipError_tPvRmT2_T3_mT4_P12ihipStream_tbEUlmE_lEESB_NS0_8identityIvEEEESO_SR_SS_mST_SV_bEUlT_E_NS1_11comp_targetILNS1_3genE5ELNS1_11target_archE942ELNS1_3gpuE9ELNS1_3repE0EEENS1_30default_config_static_selectorELNS0_4arch9wavefront6targetE0EEEvT1_: ; @_ZN7rocprim17ROCPRIM_400000_NS6detail17trampoline_kernelINS0_14default_configENS1_25transform_config_selectorIlLb0EEEZNS1_14transform_implILb0ES3_S5_NS0_18transform_iteratorINS0_17counting_iteratorImlEEZNS1_24adjacent_difference_implIS3_Lb1ELb0EPlSB_ZN2at6native12_GLOBAL__N_124unique_dim_cuda_templateIN3c108BFloat16EEESt5tupleIJNSC_6TensorESJ_SJ_EERKSJ_lbbbEUlllE1_EE10hipError_tPvRmT2_T3_mT4_P12ihipStream_tbEUlmE_lEESB_NS0_8identityIvEEEESO_SR_SS_mST_SV_bEUlT_E_NS1_11comp_targetILNS1_3genE5ELNS1_11target_archE942ELNS1_3gpuE9ELNS1_3repE0EEENS1_30default_config_static_selectorELNS0_4arch9wavefront6targetE0EEEvT1_
; %bb.0:
	.section	.rodata,"a",@progbits
	.p2align	6, 0x0
	.amdhsa_kernel _ZN7rocprim17ROCPRIM_400000_NS6detail17trampoline_kernelINS0_14default_configENS1_25transform_config_selectorIlLb0EEEZNS1_14transform_implILb0ES3_S5_NS0_18transform_iteratorINS0_17counting_iteratorImlEEZNS1_24adjacent_difference_implIS3_Lb1ELb0EPlSB_ZN2at6native12_GLOBAL__N_124unique_dim_cuda_templateIN3c108BFloat16EEESt5tupleIJNSC_6TensorESJ_SJ_EERKSJ_lbbbEUlllE1_EE10hipError_tPvRmT2_T3_mT4_P12ihipStream_tbEUlmE_lEESB_NS0_8identityIvEEEESO_SR_SS_mST_SV_bEUlT_E_NS1_11comp_targetILNS1_3genE5ELNS1_11target_archE942ELNS1_3gpuE9ELNS1_3repE0EEENS1_30default_config_static_selectorELNS0_4arch9wavefront6targetE0EEEvT1_
		.amdhsa_group_segment_fixed_size 0
		.amdhsa_private_segment_fixed_size 0
		.amdhsa_kernarg_size 56
		.amdhsa_user_sgpr_count 2
		.amdhsa_user_sgpr_dispatch_ptr 0
		.amdhsa_user_sgpr_queue_ptr 0
		.amdhsa_user_sgpr_kernarg_segment_ptr 1
		.amdhsa_user_sgpr_dispatch_id 0
		.amdhsa_user_sgpr_kernarg_preload_length 0
		.amdhsa_user_sgpr_kernarg_preload_offset 0
		.amdhsa_user_sgpr_private_segment_size 0
		.amdhsa_wavefront_size32 1
		.amdhsa_uses_dynamic_stack 0
		.amdhsa_enable_private_segment 0
		.amdhsa_system_sgpr_workgroup_id_x 1
		.amdhsa_system_sgpr_workgroup_id_y 0
		.amdhsa_system_sgpr_workgroup_id_z 0
		.amdhsa_system_sgpr_workgroup_info 0
		.amdhsa_system_vgpr_workitem_id 0
		.amdhsa_next_free_vgpr 1
		.amdhsa_next_free_sgpr 1
		.amdhsa_named_barrier_count 0
		.amdhsa_reserve_vcc 0
		.amdhsa_float_round_mode_32 0
		.amdhsa_float_round_mode_16_64 0
		.amdhsa_float_denorm_mode_32 3
		.amdhsa_float_denorm_mode_16_64 3
		.amdhsa_fp16_overflow 0
		.amdhsa_memory_ordered 1
		.amdhsa_forward_progress 1
		.amdhsa_inst_pref_size 0
		.amdhsa_round_robin_scheduling 0
		.amdhsa_exception_fp_ieee_invalid_op 0
		.amdhsa_exception_fp_denorm_src 0
		.amdhsa_exception_fp_ieee_div_zero 0
		.amdhsa_exception_fp_ieee_overflow 0
		.amdhsa_exception_fp_ieee_underflow 0
		.amdhsa_exception_fp_ieee_inexact 0
		.amdhsa_exception_int_div_zero 0
	.end_amdhsa_kernel
	.section	.text._ZN7rocprim17ROCPRIM_400000_NS6detail17trampoline_kernelINS0_14default_configENS1_25transform_config_selectorIlLb0EEEZNS1_14transform_implILb0ES3_S5_NS0_18transform_iteratorINS0_17counting_iteratorImlEEZNS1_24adjacent_difference_implIS3_Lb1ELb0EPlSB_ZN2at6native12_GLOBAL__N_124unique_dim_cuda_templateIN3c108BFloat16EEESt5tupleIJNSC_6TensorESJ_SJ_EERKSJ_lbbbEUlllE1_EE10hipError_tPvRmT2_T3_mT4_P12ihipStream_tbEUlmE_lEESB_NS0_8identityIvEEEESO_SR_SS_mST_SV_bEUlT_E_NS1_11comp_targetILNS1_3genE5ELNS1_11target_archE942ELNS1_3gpuE9ELNS1_3repE0EEENS1_30default_config_static_selectorELNS0_4arch9wavefront6targetE0EEEvT1_,"axG",@progbits,_ZN7rocprim17ROCPRIM_400000_NS6detail17trampoline_kernelINS0_14default_configENS1_25transform_config_selectorIlLb0EEEZNS1_14transform_implILb0ES3_S5_NS0_18transform_iteratorINS0_17counting_iteratorImlEEZNS1_24adjacent_difference_implIS3_Lb1ELb0EPlSB_ZN2at6native12_GLOBAL__N_124unique_dim_cuda_templateIN3c108BFloat16EEESt5tupleIJNSC_6TensorESJ_SJ_EERKSJ_lbbbEUlllE1_EE10hipError_tPvRmT2_T3_mT4_P12ihipStream_tbEUlmE_lEESB_NS0_8identityIvEEEESO_SR_SS_mST_SV_bEUlT_E_NS1_11comp_targetILNS1_3genE5ELNS1_11target_archE942ELNS1_3gpuE9ELNS1_3repE0EEENS1_30default_config_static_selectorELNS0_4arch9wavefront6targetE0EEEvT1_,comdat
.Lfunc_end1158:
	.size	_ZN7rocprim17ROCPRIM_400000_NS6detail17trampoline_kernelINS0_14default_configENS1_25transform_config_selectorIlLb0EEEZNS1_14transform_implILb0ES3_S5_NS0_18transform_iteratorINS0_17counting_iteratorImlEEZNS1_24adjacent_difference_implIS3_Lb1ELb0EPlSB_ZN2at6native12_GLOBAL__N_124unique_dim_cuda_templateIN3c108BFloat16EEESt5tupleIJNSC_6TensorESJ_SJ_EERKSJ_lbbbEUlllE1_EE10hipError_tPvRmT2_T3_mT4_P12ihipStream_tbEUlmE_lEESB_NS0_8identityIvEEEESO_SR_SS_mST_SV_bEUlT_E_NS1_11comp_targetILNS1_3genE5ELNS1_11target_archE942ELNS1_3gpuE9ELNS1_3repE0EEENS1_30default_config_static_selectorELNS0_4arch9wavefront6targetE0EEEvT1_, .Lfunc_end1158-_ZN7rocprim17ROCPRIM_400000_NS6detail17trampoline_kernelINS0_14default_configENS1_25transform_config_selectorIlLb0EEEZNS1_14transform_implILb0ES3_S5_NS0_18transform_iteratorINS0_17counting_iteratorImlEEZNS1_24adjacent_difference_implIS3_Lb1ELb0EPlSB_ZN2at6native12_GLOBAL__N_124unique_dim_cuda_templateIN3c108BFloat16EEESt5tupleIJNSC_6TensorESJ_SJ_EERKSJ_lbbbEUlllE1_EE10hipError_tPvRmT2_T3_mT4_P12ihipStream_tbEUlmE_lEESB_NS0_8identityIvEEEESO_SR_SS_mST_SV_bEUlT_E_NS1_11comp_targetILNS1_3genE5ELNS1_11target_archE942ELNS1_3gpuE9ELNS1_3repE0EEENS1_30default_config_static_selectorELNS0_4arch9wavefront6targetE0EEEvT1_
                                        ; -- End function
	.set _ZN7rocprim17ROCPRIM_400000_NS6detail17trampoline_kernelINS0_14default_configENS1_25transform_config_selectorIlLb0EEEZNS1_14transform_implILb0ES3_S5_NS0_18transform_iteratorINS0_17counting_iteratorImlEEZNS1_24adjacent_difference_implIS3_Lb1ELb0EPlSB_ZN2at6native12_GLOBAL__N_124unique_dim_cuda_templateIN3c108BFloat16EEESt5tupleIJNSC_6TensorESJ_SJ_EERKSJ_lbbbEUlllE1_EE10hipError_tPvRmT2_T3_mT4_P12ihipStream_tbEUlmE_lEESB_NS0_8identityIvEEEESO_SR_SS_mST_SV_bEUlT_E_NS1_11comp_targetILNS1_3genE5ELNS1_11target_archE942ELNS1_3gpuE9ELNS1_3repE0EEENS1_30default_config_static_selectorELNS0_4arch9wavefront6targetE0EEEvT1_.num_vgpr, 0
	.set _ZN7rocprim17ROCPRIM_400000_NS6detail17trampoline_kernelINS0_14default_configENS1_25transform_config_selectorIlLb0EEEZNS1_14transform_implILb0ES3_S5_NS0_18transform_iteratorINS0_17counting_iteratorImlEEZNS1_24adjacent_difference_implIS3_Lb1ELb0EPlSB_ZN2at6native12_GLOBAL__N_124unique_dim_cuda_templateIN3c108BFloat16EEESt5tupleIJNSC_6TensorESJ_SJ_EERKSJ_lbbbEUlllE1_EE10hipError_tPvRmT2_T3_mT4_P12ihipStream_tbEUlmE_lEESB_NS0_8identityIvEEEESO_SR_SS_mST_SV_bEUlT_E_NS1_11comp_targetILNS1_3genE5ELNS1_11target_archE942ELNS1_3gpuE9ELNS1_3repE0EEENS1_30default_config_static_selectorELNS0_4arch9wavefront6targetE0EEEvT1_.num_agpr, 0
	.set _ZN7rocprim17ROCPRIM_400000_NS6detail17trampoline_kernelINS0_14default_configENS1_25transform_config_selectorIlLb0EEEZNS1_14transform_implILb0ES3_S5_NS0_18transform_iteratorINS0_17counting_iteratorImlEEZNS1_24adjacent_difference_implIS3_Lb1ELb0EPlSB_ZN2at6native12_GLOBAL__N_124unique_dim_cuda_templateIN3c108BFloat16EEESt5tupleIJNSC_6TensorESJ_SJ_EERKSJ_lbbbEUlllE1_EE10hipError_tPvRmT2_T3_mT4_P12ihipStream_tbEUlmE_lEESB_NS0_8identityIvEEEESO_SR_SS_mST_SV_bEUlT_E_NS1_11comp_targetILNS1_3genE5ELNS1_11target_archE942ELNS1_3gpuE9ELNS1_3repE0EEENS1_30default_config_static_selectorELNS0_4arch9wavefront6targetE0EEEvT1_.numbered_sgpr, 0
	.set _ZN7rocprim17ROCPRIM_400000_NS6detail17trampoline_kernelINS0_14default_configENS1_25transform_config_selectorIlLb0EEEZNS1_14transform_implILb0ES3_S5_NS0_18transform_iteratorINS0_17counting_iteratorImlEEZNS1_24adjacent_difference_implIS3_Lb1ELb0EPlSB_ZN2at6native12_GLOBAL__N_124unique_dim_cuda_templateIN3c108BFloat16EEESt5tupleIJNSC_6TensorESJ_SJ_EERKSJ_lbbbEUlllE1_EE10hipError_tPvRmT2_T3_mT4_P12ihipStream_tbEUlmE_lEESB_NS0_8identityIvEEEESO_SR_SS_mST_SV_bEUlT_E_NS1_11comp_targetILNS1_3genE5ELNS1_11target_archE942ELNS1_3gpuE9ELNS1_3repE0EEENS1_30default_config_static_selectorELNS0_4arch9wavefront6targetE0EEEvT1_.num_named_barrier, 0
	.set _ZN7rocprim17ROCPRIM_400000_NS6detail17trampoline_kernelINS0_14default_configENS1_25transform_config_selectorIlLb0EEEZNS1_14transform_implILb0ES3_S5_NS0_18transform_iteratorINS0_17counting_iteratorImlEEZNS1_24adjacent_difference_implIS3_Lb1ELb0EPlSB_ZN2at6native12_GLOBAL__N_124unique_dim_cuda_templateIN3c108BFloat16EEESt5tupleIJNSC_6TensorESJ_SJ_EERKSJ_lbbbEUlllE1_EE10hipError_tPvRmT2_T3_mT4_P12ihipStream_tbEUlmE_lEESB_NS0_8identityIvEEEESO_SR_SS_mST_SV_bEUlT_E_NS1_11comp_targetILNS1_3genE5ELNS1_11target_archE942ELNS1_3gpuE9ELNS1_3repE0EEENS1_30default_config_static_selectorELNS0_4arch9wavefront6targetE0EEEvT1_.private_seg_size, 0
	.set _ZN7rocprim17ROCPRIM_400000_NS6detail17trampoline_kernelINS0_14default_configENS1_25transform_config_selectorIlLb0EEEZNS1_14transform_implILb0ES3_S5_NS0_18transform_iteratorINS0_17counting_iteratorImlEEZNS1_24adjacent_difference_implIS3_Lb1ELb0EPlSB_ZN2at6native12_GLOBAL__N_124unique_dim_cuda_templateIN3c108BFloat16EEESt5tupleIJNSC_6TensorESJ_SJ_EERKSJ_lbbbEUlllE1_EE10hipError_tPvRmT2_T3_mT4_P12ihipStream_tbEUlmE_lEESB_NS0_8identityIvEEEESO_SR_SS_mST_SV_bEUlT_E_NS1_11comp_targetILNS1_3genE5ELNS1_11target_archE942ELNS1_3gpuE9ELNS1_3repE0EEENS1_30default_config_static_selectorELNS0_4arch9wavefront6targetE0EEEvT1_.uses_vcc, 0
	.set _ZN7rocprim17ROCPRIM_400000_NS6detail17trampoline_kernelINS0_14default_configENS1_25transform_config_selectorIlLb0EEEZNS1_14transform_implILb0ES3_S5_NS0_18transform_iteratorINS0_17counting_iteratorImlEEZNS1_24adjacent_difference_implIS3_Lb1ELb0EPlSB_ZN2at6native12_GLOBAL__N_124unique_dim_cuda_templateIN3c108BFloat16EEESt5tupleIJNSC_6TensorESJ_SJ_EERKSJ_lbbbEUlllE1_EE10hipError_tPvRmT2_T3_mT4_P12ihipStream_tbEUlmE_lEESB_NS0_8identityIvEEEESO_SR_SS_mST_SV_bEUlT_E_NS1_11comp_targetILNS1_3genE5ELNS1_11target_archE942ELNS1_3gpuE9ELNS1_3repE0EEENS1_30default_config_static_selectorELNS0_4arch9wavefront6targetE0EEEvT1_.uses_flat_scratch, 0
	.set _ZN7rocprim17ROCPRIM_400000_NS6detail17trampoline_kernelINS0_14default_configENS1_25transform_config_selectorIlLb0EEEZNS1_14transform_implILb0ES3_S5_NS0_18transform_iteratorINS0_17counting_iteratorImlEEZNS1_24adjacent_difference_implIS3_Lb1ELb0EPlSB_ZN2at6native12_GLOBAL__N_124unique_dim_cuda_templateIN3c108BFloat16EEESt5tupleIJNSC_6TensorESJ_SJ_EERKSJ_lbbbEUlllE1_EE10hipError_tPvRmT2_T3_mT4_P12ihipStream_tbEUlmE_lEESB_NS0_8identityIvEEEESO_SR_SS_mST_SV_bEUlT_E_NS1_11comp_targetILNS1_3genE5ELNS1_11target_archE942ELNS1_3gpuE9ELNS1_3repE0EEENS1_30default_config_static_selectorELNS0_4arch9wavefront6targetE0EEEvT1_.has_dyn_sized_stack, 0
	.set _ZN7rocprim17ROCPRIM_400000_NS6detail17trampoline_kernelINS0_14default_configENS1_25transform_config_selectorIlLb0EEEZNS1_14transform_implILb0ES3_S5_NS0_18transform_iteratorINS0_17counting_iteratorImlEEZNS1_24adjacent_difference_implIS3_Lb1ELb0EPlSB_ZN2at6native12_GLOBAL__N_124unique_dim_cuda_templateIN3c108BFloat16EEESt5tupleIJNSC_6TensorESJ_SJ_EERKSJ_lbbbEUlllE1_EE10hipError_tPvRmT2_T3_mT4_P12ihipStream_tbEUlmE_lEESB_NS0_8identityIvEEEESO_SR_SS_mST_SV_bEUlT_E_NS1_11comp_targetILNS1_3genE5ELNS1_11target_archE942ELNS1_3gpuE9ELNS1_3repE0EEENS1_30default_config_static_selectorELNS0_4arch9wavefront6targetE0EEEvT1_.has_recursion, 0
	.set _ZN7rocprim17ROCPRIM_400000_NS6detail17trampoline_kernelINS0_14default_configENS1_25transform_config_selectorIlLb0EEEZNS1_14transform_implILb0ES3_S5_NS0_18transform_iteratorINS0_17counting_iteratorImlEEZNS1_24adjacent_difference_implIS3_Lb1ELb0EPlSB_ZN2at6native12_GLOBAL__N_124unique_dim_cuda_templateIN3c108BFloat16EEESt5tupleIJNSC_6TensorESJ_SJ_EERKSJ_lbbbEUlllE1_EE10hipError_tPvRmT2_T3_mT4_P12ihipStream_tbEUlmE_lEESB_NS0_8identityIvEEEESO_SR_SS_mST_SV_bEUlT_E_NS1_11comp_targetILNS1_3genE5ELNS1_11target_archE942ELNS1_3gpuE9ELNS1_3repE0EEENS1_30default_config_static_selectorELNS0_4arch9wavefront6targetE0EEEvT1_.has_indirect_call, 0
	.section	.AMDGPU.csdata,"",@progbits
; Kernel info:
; codeLenInByte = 0
; TotalNumSgprs: 0
; NumVgprs: 0
; ScratchSize: 0
; MemoryBound: 0
; FloatMode: 240
; IeeeMode: 1
; LDSByteSize: 0 bytes/workgroup (compile time only)
; SGPRBlocks: 0
; VGPRBlocks: 0
; NumSGPRsForWavesPerEU: 1
; NumVGPRsForWavesPerEU: 1
; NamedBarCnt: 0
; Occupancy: 16
; WaveLimiterHint : 0
; COMPUTE_PGM_RSRC2:SCRATCH_EN: 0
; COMPUTE_PGM_RSRC2:USER_SGPR: 2
; COMPUTE_PGM_RSRC2:TRAP_HANDLER: 0
; COMPUTE_PGM_RSRC2:TGID_X_EN: 1
; COMPUTE_PGM_RSRC2:TGID_Y_EN: 0
; COMPUTE_PGM_RSRC2:TGID_Z_EN: 0
; COMPUTE_PGM_RSRC2:TIDIG_COMP_CNT: 0
	.section	.text._ZN7rocprim17ROCPRIM_400000_NS6detail17trampoline_kernelINS0_14default_configENS1_25transform_config_selectorIlLb0EEEZNS1_14transform_implILb0ES3_S5_NS0_18transform_iteratorINS0_17counting_iteratorImlEEZNS1_24adjacent_difference_implIS3_Lb1ELb0EPlSB_ZN2at6native12_GLOBAL__N_124unique_dim_cuda_templateIN3c108BFloat16EEESt5tupleIJNSC_6TensorESJ_SJ_EERKSJ_lbbbEUlllE1_EE10hipError_tPvRmT2_T3_mT4_P12ihipStream_tbEUlmE_lEESB_NS0_8identityIvEEEESO_SR_SS_mST_SV_bEUlT_E_NS1_11comp_targetILNS1_3genE4ELNS1_11target_archE910ELNS1_3gpuE8ELNS1_3repE0EEENS1_30default_config_static_selectorELNS0_4arch9wavefront6targetE0EEEvT1_,"axG",@progbits,_ZN7rocprim17ROCPRIM_400000_NS6detail17trampoline_kernelINS0_14default_configENS1_25transform_config_selectorIlLb0EEEZNS1_14transform_implILb0ES3_S5_NS0_18transform_iteratorINS0_17counting_iteratorImlEEZNS1_24adjacent_difference_implIS3_Lb1ELb0EPlSB_ZN2at6native12_GLOBAL__N_124unique_dim_cuda_templateIN3c108BFloat16EEESt5tupleIJNSC_6TensorESJ_SJ_EERKSJ_lbbbEUlllE1_EE10hipError_tPvRmT2_T3_mT4_P12ihipStream_tbEUlmE_lEESB_NS0_8identityIvEEEESO_SR_SS_mST_SV_bEUlT_E_NS1_11comp_targetILNS1_3genE4ELNS1_11target_archE910ELNS1_3gpuE8ELNS1_3repE0EEENS1_30default_config_static_selectorELNS0_4arch9wavefront6targetE0EEEvT1_,comdat
	.globl	_ZN7rocprim17ROCPRIM_400000_NS6detail17trampoline_kernelINS0_14default_configENS1_25transform_config_selectorIlLb0EEEZNS1_14transform_implILb0ES3_S5_NS0_18transform_iteratorINS0_17counting_iteratorImlEEZNS1_24adjacent_difference_implIS3_Lb1ELb0EPlSB_ZN2at6native12_GLOBAL__N_124unique_dim_cuda_templateIN3c108BFloat16EEESt5tupleIJNSC_6TensorESJ_SJ_EERKSJ_lbbbEUlllE1_EE10hipError_tPvRmT2_T3_mT4_P12ihipStream_tbEUlmE_lEESB_NS0_8identityIvEEEESO_SR_SS_mST_SV_bEUlT_E_NS1_11comp_targetILNS1_3genE4ELNS1_11target_archE910ELNS1_3gpuE8ELNS1_3repE0EEENS1_30default_config_static_selectorELNS0_4arch9wavefront6targetE0EEEvT1_ ; -- Begin function _ZN7rocprim17ROCPRIM_400000_NS6detail17trampoline_kernelINS0_14default_configENS1_25transform_config_selectorIlLb0EEEZNS1_14transform_implILb0ES3_S5_NS0_18transform_iteratorINS0_17counting_iteratorImlEEZNS1_24adjacent_difference_implIS3_Lb1ELb0EPlSB_ZN2at6native12_GLOBAL__N_124unique_dim_cuda_templateIN3c108BFloat16EEESt5tupleIJNSC_6TensorESJ_SJ_EERKSJ_lbbbEUlllE1_EE10hipError_tPvRmT2_T3_mT4_P12ihipStream_tbEUlmE_lEESB_NS0_8identityIvEEEESO_SR_SS_mST_SV_bEUlT_E_NS1_11comp_targetILNS1_3genE4ELNS1_11target_archE910ELNS1_3gpuE8ELNS1_3repE0EEENS1_30default_config_static_selectorELNS0_4arch9wavefront6targetE0EEEvT1_
	.p2align	8
	.type	_ZN7rocprim17ROCPRIM_400000_NS6detail17trampoline_kernelINS0_14default_configENS1_25transform_config_selectorIlLb0EEEZNS1_14transform_implILb0ES3_S5_NS0_18transform_iteratorINS0_17counting_iteratorImlEEZNS1_24adjacent_difference_implIS3_Lb1ELb0EPlSB_ZN2at6native12_GLOBAL__N_124unique_dim_cuda_templateIN3c108BFloat16EEESt5tupleIJNSC_6TensorESJ_SJ_EERKSJ_lbbbEUlllE1_EE10hipError_tPvRmT2_T3_mT4_P12ihipStream_tbEUlmE_lEESB_NS0_8identityIvEEEESO_SR_SS_mST_SV_bEUlT_E_NS1_11comp_targetILNS1_3genE4ELNS1_11target_archE910ELNS1_3gpuE8ELNS1_3repE0EEENS1_30default_config_static_selectorELNS0_4arch9wavefront6targetE0EEEvT1_,@function
_ZN7rocprim17ROCPRIM_400000_NS6detail17trampoline_kernelINS0_14default_configENS1_25transform_config_selectorIlLb0EEEZNS1_14transform_implILb0ES3_S5_NS0_18transform_iteratorINS0_17counting_iteratorImlEEZNS1_24adjacent_difference_implIS3_Lb1ELb0EPlSB_ZN2at6native12_GLOBAL__N_124unique_dim_cuda_templateIN3c108BFloat16EEESt5tupleIJNSC_6TensorESJ_SJ_EERKSJ_lbbbEUlllE1_EE10hipError_tPvRmT2_T3_mT4_P12ihipStream_tbEUlmE_lEESB_NS0_8identityIvEEEESO_SR_SS_mST_SV_bEUlT_E_NS1_11comp_targetILNS1_3genE4ELNS1_11target_archE910ELNS1_3gpuE8ELNS1_3repE0EEENS1_30default_config_static_selectorELNS0_4arch9wavefront6targetE0EEEvT1_: ; @_ZN7rocprim17ROCPRIM_400000_NS6detail17trampoline_kernelINS0_14default_configENS1_25transform_config_selectorIlLb0EEEZNS1_14transform_implILb0ES3_S5_NS0_18transform_iteratorINS0_17counting_iteratorImlEEZNS1_24adjacent_difference_implIS3_Lb1ELb0EPlSB_ZN2at6native12_GLOBAL__N_124unique_dim_cuda_templateIN3c108BFloat16EEESt5tupleIJNSC_6TensorESJ_SJ_EERKSJ_lbbbEUlllE1_EE10hipError_tPvRmT2_T3_mT4_P12ihipStream_tbEUlmE_lEESB_NS0_8identityIvEEEESO_SR_SS_mST_SV_bEUlT_E_NS1_11comp_targetILNS1_3genE4ELNS1_11target_archE910ELNS1_3gpuE8ELNS1_3repE0EEENS1_30default_config_static_selectorELNS0_4arch9wavefront6targetE0EEEvT1_
; %bb.0:
	.section	.rodata,"a",@progbits
	.p2align	6, 0x0
	.amdhsa_kernel _ZN7rocprim17ROCPRIM_400000_NS6detail17trampoline_kernelINS0_14default_configENS1_25transform_config_selectorIlLb0EEEZNS1_14transform_implILb0ES3_S5_NS0_18transform_iteratorINS0_17counting_iteratorImlEEZNS1_24adjacent_difference_implIS3_Lb1ELb0EPlSB_ZN2at6native12_GLOBAL__N_124unique_dim_cuda_templateIN3c108BFloat16EEESt5tupleIJNSC_6TensorESJ_SJ_EERKSJ_lbbbEUlllE1_EE10hipError_tPvRmT2_T3_mT4_P12ihipStream_tbEUlmE_lEESB_NS0_8identityIvEEEESO_SR_SS_mST_SV_bEUlT_E_NS1_11comp_targetILNS1_3genE4ELNS1_11target_archE910ELNS1_3gpuE8ELNS1_3repE0EEENS1_30default_config_static_selectorELNS0_4arch9wavefront6targetE0EEEvT1_
		.amdhsa_group_segment_fixed_size 0
		.amdhsa_private_segment_fixed_size 0
		.amdhsa_kernarg_size 56
		.amdhsa_user_sgpr_count 2
		.amdhsa_user_sgpr_dispatch_ptr 0
		.amdhsa_user_sgpr_queue_ptr 0
		.amdhsa_user_sgpr_kernarg_segment_ptr 1
		.amdhsa_user_sgpr_dispatch_id 0
		.amdhsa_user_sgpr_kernarg_preload_length 0
		.amdhsa_user_sgpr_kernarg_preload_offset 0
		.amdhsa_user_sgpr_private_segment_size 0
		.amdhsa_wavefront_size32 1
		.amdhsa_uses_dynamic_stack 0
		.amdhsa_enable_private_segment 0
		.amdhsa_system_sgpr_workgroup_id_x 1
		.amdhsa_system_sgpr_workgroup_id_y 0
		.amdhsa_system_sgpr_workgroup_id_z 0
		.amdhsa_system_sgpr_workgroup_info 0
		.amdhsa_system_vgpr_workitem_id 0
		.amdhsa_next_free_vgpr 1
		.amdhsa_next_free_sgpr 1
		.amdhsa_named_barrier_count 0
		.amdhsa_reserve_vcc 0
		.amdhsa_float_round_mode_32 0
		.amdhsa_float_round_mode_16_64 0
		.amdhsa_float_denorm_mode_32 3
		.amdhsa_float_denorm_mode_16_64 3
		.amdhsa_fp16_overflow 0
		.amdhsa_memory_ordered 1
		.amdhsa_forward_progress 1
		.amdhsa_inst_pref_size 0
		.amdhsa_round_robin_scheduling 0
		.amdhsa_exception_fp_ieee_invalid_op 0
		.amdhsa_exception_fp_denorm_src 0
		.amdhsa_exception_fp_ieee_div_zero 0
		.amdhsa_exception_fp_ieee_overflow 0
		.amdhsa_exception_fp_ieee_underflow 0
		.amdhsa_exception_fp_ieee_inexact 0
		.amdhsa_exception_int_div_zero 0
	.end_amdhsa_kernel
	.section	.text._ZN7rocprim17ROCPRIM_400000_NS6detail17trampoline_kernelINS0_14default_configENS1_25transform_config_selectorIlLb0EEEZNS1_14transform_implILb0ES3_S5_NS0_18transform_iteratorINS0_17counting_iteratorImlEEZNS1_24adjacent_difference_implIS3_Lb1ELb0EPlSB_ZN2at6native12_GLOBAL__N_124unique_dim_cuda_templateIN3c108BFloat16EEESt5tupleIJNSC_6TensorESJ_SJ_EERKSJ_lbbbEUlllE1_EE10hipError_tPvRmT2_T3_mT4_P12ihipStream_tbEUlmE_lEESB_NS0_8identityIvEEEESO_SR_SS_mST_SV_bEUlT_E_NS1_11comp_targetILNS1_3genE4ELNS1_11target_archE910ELNS1_3gpuE8ELNS1_3repE0EEENS1_30default_config_static_selectorELNS0_4arch9wavefront6targetE0EEEvT1_,"axG",@progbits,_ZN7rocprim17ROCPRIM_400000_NS6detail17trampoline_kernelINS0_14default_configENS1_25transform_config_selectorIlLb0EEEZNS1_14transform_implILb0ES3_S5_NS0_18transform_iteratorINS0_17counting_iteratorImlEEZNS1_24adjacent_difference_implIS3_Lb1ELb0EPlSB_ZN2at6native12_GLOBAL__N_124unique_dim_cuda_templateIN3c108BFloat16EEESt5tupleIJNSC_6TensorESJ_SJ_EERKSJ_lbbbEUlllE1_EE10hipError_tPvRmT2_T3_mT4_P12ihipStream_tbEUlmE_lEESB_NS0_8identityIvEEEESO_SR_SS_mST_SV_bEUlT_E_NS1_11comp_targetILNS1_3genE4ELNS1_11target_archE910ELNS1_3gpuE8ELNS1_3repE0EEENS1_30default_config_static_selectorELNS0_4arch9wavefront6targetE0EEEvT1_,comdat
.Lfunc_end1159:
	.size	_ZN7rocprim17ROCPRIM_400000_NS6detail17trampoline_kernelINS0_14default_configENS1_25transform_config_selectorIlLb0EEEZNS1_14transform_implILb0ES3_S5_NS0_18transform_iteratorINS0_17counting_iteratorImlEEZNS1_24adjacent_difference_implIS3_Lb1ELb0EPlSB_ZN2at6native12_GLOBAL__N_124unique_dim_cuda_templateIN3c108BFloat16EEESt5tupleIJNSC_6TensorESJ_SJ_EERKSJ_lbbbEUlllE1_EE10hipError_tPvRmT2_T3_mT4_P12ihipStream_tbEUlmE_lEESB_NS0_8identityIvEEEESO_SR_SS_mST_SV_bEUlT_E_NS1_11comp_targetILNS1_3genE4ELNS1_11target_archE910ELNS1_3gpuE8ELNS1_3repE0EEENS1_30default_config_static_selectorELNS0_4arch9wavefront6targetE0EEEvT1_, .Lfunc_end1159-_ZN7rocprim17ROCPRIM_400000_NS6detail17trampoline_kernelINS0_14default_configENS1_25transform_config_selectorIlLb0EEEZNS1_14transform_implILb0ES3_S5_NS0_18transform_iteratorINS0_17counting_iteratorImlEEZNS1_24adjacent_difference_implIS3_Lb1ELb0EPlSB_ZN2at6native12_GLOBAL__N_124unique_dim_cuda_templateIN3c108BFloat16EEESt5tupleIJNSC_6TensorESJ_SJ_EERKSJ_lbbbEUlllE1_EE10hipError_tPvRmT2_T3_mT4_P12ihipStream_tbEUlmE_lEESB_NS0_8identityIvEEEESO_SR_SS_mST_SV_bEUlT_E_NS1_11comp_targetILNS1_3genE4ELNS1_11target_archE910ELNS1_3gpuE8ELNS1_3repE0EEENS1_30default_config_static_selectorELNS0_4arch9wavefront6targetE0EEEvT1_
                                        ; -- End function
	.set _ZN7rocprim17ROCPRIM_400000_NS6detail17trampoline_kernelINS0_14default_configENS1_25transform_config_selectorIlLb0EEEZNS1_14transform_implILb0ES3_S5_NS0_18transform_iteratorINS0_17counting_iteratorImlEEZNS1_24adjacent_difference_implIS3_Lb1ELb0EPlSB_ZN2at6native12_GLOBAL__N_124unique_dim_cuda_templateIN3c108BFloat16EEESt5tupleIJNSC_6TensorESJ_SJ_EERKSJ_lbbbEUlllE1_EE10hipError_tPvRmT2_T3_mT4_P12ihipStream_tbEUlmE_lEESB_NS0_8identityIvEEEESO_SR_SS_mST_SV_bEUlT_E_NS1_11comp_targetILNS1_3genE4ELNS1_11target_archE910ELNS1_3gpuE8ELNS1_3repE0EEENS1_30default_config_static_selectorELNS0_4arch9wavefront6targetE0EEEvT1_.num_vgpr, 0
	.set _ZN7rocprim17ROCPRIM_400000_NS6detail17trampoline_kernelINS0_14default_configENS1_25transform_config_selectorIlLb0EEEZNS1_14transform_implILb0ES3_S5_NS0_18transform_iteratorINS0_17counting_iteratorImlEEZNS1_24adjacent_difference_implIS3_Lb1ELb0EPlSB_ZN2at6native12_GLOBAL__N_124unique_dim_cuda_templateIN3c108BFloat16EEESt5tupleIJNSC_6TensorESJ_SJ_EERKSJ_lbbbEUlllE1_EE10hipError_tPvRmT2_T3_mT4_P12ihipStream_tbEUlmE_lEESB_NS0_8identityIvEEEESO_SR_SS_mST_SV_bEUlT_E_NS1_11comp_targetILNS1_3genE4ELNS1_11target_archE910ELNS1_3gpuE8ELNS1_3repE0EEENS1_30default_config_static_selectorELNS0_4arch9wavefront6targetE0EEEvT1_.num_agpr, 0
	.set _ZN7rocprim17ROCPRIM_400000_NS6detail17trampoline_kernelINS0_14default_configENS1_25transform_config_selectorIlLb0EEEZNS1_14transform_implILb0ES3_S5_NS0_18transform_iteratorINS0_17counting_iteratorImlEEZNS1_24adjacent_difference_implIS3_Lb1ELb0EPlSB_ZN2at6native12_GLOBAL__N_124unique_dim_cuda_templateIN3c108BFloat16EEESt5tupleIJNSC_6TensorESJ_SJ_EERKSJ_lbbbEUlllE1_EE10hipError_tPvRmT2_T3_mT4_P12ihipStream_tbEUlmE_lEESB_NS0_8identityIvEEEESO_SR_SS_mST_SV_bEUlT_E_NS1_11comp_targetILNS1_3genE4ELNS1_11target_archE910ELNS1_3gpuE8ELNS1_3repE0EEENS1_30default_config_static_selectorELNS0_4arch9wavefront6targetE0EEEvT1_.numbered_sgpr, 0
	.set _ZN7rocprim17ROCPRIM_400000_NS6detail17trampoline_kernelINS0_14default_configENS1_25transform_config_selectorIlLb0EEEZNS1_14transform_implILb0ES3_S5_NS0_18transform_iteratorINS0_17counting_iteratorImlEEZNS1_24adjacent_difference_implIS3_Lb1ELb0EPlSB_ZN2at6native12_GLOBAL__N_124unique_dim_cuda_templateIN3c108BFloat16EEESt5tupleIJNSC_6TensorESJ_SJ_EERKSJ_lbbbEUlllE1_EE10hipError_tPvRmT2_T3_mT4_P12ihipStream_tbEUlmE_lEESB_NS0_8identityIvEEEESO_SR_SS_mST_SV_bEUlT_E_NS1_11comp_targetILNS1_3genE4ELNS1_11target_archE910ELNS1_3gpuE8ELNS1_3repE0EEENS1_30default_config_static_selectorELNS0_4arch9wavefront6targetE0EEEvT1_.num_named_barrier, 0
	.set _ZN7rocprim17ROCPRIM_400000_NS6detail17trampoline_kernelINS0_14default_configENS1_25transform_config_selectorIlLb0EEEZNS1_14transform_implILb0ES3_S5_NS0_18transform_iteratorINS0_17counting_iteratorImlEEZNS1_24adjacent_difference_implIS3_Lb1ELb0EPlSB_ZN2at6native12_GLOBAL__N_124unique_dim_cuda_templateIN3c108BFloat16EEESt5tupleIJNSC_6TensorESJ_SJ_EERKSJ_lbbbEUlllE1_EE10hipError_tPvRmT2_T3_mT4_P12ihipStream_tbEUlmE_lEESB_NS0_8identityIvEEEESO_SR_SS_mST_SV_bEUlT_E_NS1_11comp_targetILNS1_3genE4ELNS1_11target_archE910ELNS1_3gpuE8ELNS1_3repE0EEENS1_30default_config_static_selectorELNS0_4arch9wavefront6targetE0EEEvT1_.private_seg_size, 0
	.set _ZN7rocprim17ROCPRIM_400000_NS6detail17trampoline_kernelINS0_14default_configENS1_25transform_config_selectorIlLb0EEEZNS1_14transform_implILb0ES3_S5_NS0_18transform_iteratorINS0_17counting_iteratorImlEEZNS1_24adjacent_difference_implIS3_Lb1ELb0EPlSB_ZN2at6native12_GLOBAL__N_124unique_dim_cuda_templateIN3c108BFloat16EEESt5tupleIJNSC_6TensorESJ_SJ_EERKSJ_lbbbEUlllE1_EE10hipError_tPvRmT2_T3_mT4_P12ihipStream_tbEUlmE_lEESB_NS0_8identityIvEEEESO_SR_SS_mST_SV_bEUlT_E_NS1_11comp_targetILNS1_3genE4ELNS1_11target_archE910ELNS1_3gpuE8ELNS1_3repE0EEENS1_30default_config_static_selectorELNS0_4arch9wavefront6targetE0EEEvT1_.uses_vcc, 0
	.set _ZN7rocprim17ROCPRIM_400000_NS6detail17trampoline_kernelINS0_14default_configENS1_25transform_config_selectorIlLb0EEEZNS1_14transform_implILb0ES3_S5_NS0_18transform_iteratorINS0_17counting_iteratorImlEEZNS1_24adjacent_difference_implIS3_Lb1ELb0EPlSB_ZN2at6native12_GLOBAL__N_124unique_dim_cuda_templateIN3c108BFloat16EEESt5tupleIJNSC_6TensorESJ_SJ_EERKSJ_lbbbEUlllE1_EE10hipError_tPvRmT2_T3_mT4_P12ihipStream_tbEUlmE_lEESB_NS0_8identityIvEEEESO_SR_SS_mST_SV_bEUlT_E_NS1_11comp_targetILNS1_3genE4ELNS1_11target_archE910ELNS1_3gpuE8ELNS1_3repE0EEENS1_30default_config_static_selectorELNS0_4arch9wavefront6targetE0EEEvT1_.uses_flat_scratch, 0
	.set _ZN7rocprim17ROCPRIM_400000_NS6detail17trampoline_kernelINS0_14default_configENS1_25transform_config_selectorIlLb0EEEZNS1_14transform_implILb0ES3_S5_NS0_18transform_iteratorINS0_17counting_iteratorImlEEZNS1_24adjacent_difference_implIS3_Lb1ELb0EPlSB_ZN2at6native12_GLOBAL__N_124unique_dim_cuda_templateIN3c108BFloat16EEESt5tupleIJNSC_6TensorESJ_SJ_EERKSJ_lbbbEUlllE1_EE10hipError_tPvRmT2_T3_mT4_P12ihipStream_tbEUlmE_lEESB_NS0_8identityIvEEEESO_SR_SS_mST_SV_bEUlT_E_NS1_11comp_targetILNS1_3genE4ELNS1_11target_archE910ELNS1_3gpuE8ELNS1_3repE0EEENS1_30default_config_static_selectorELNS0_4arch9wavefront6targetE0EEEvT1_.has_dyn_sized_stack, 0
	.set _ZN7rocprim17ROCPRIM_400000_NS6detail17trampoline_kernelINS0_14default_configENS1_25transform_config_selectorIlLb0EEEZNS1_14transform_implILb0ES3_S5_NS0_18transform_iteratorINS0_17counting_iteratorImlEEZNS1_24adjacent_difference_implIS3_Lb1ELb0EPlSB_ZN2at6native12_GLOBAL__N_124unique_dim_cuda_templateIN3c108BFloat16EEESt5tupleIJNSC_6TensorESJ_SJ_EERKSJ_lbbbEUlllE1_EE10hipError_tPvRmT2_T3_mT4_P12ihipStream_tbEUlmE_lEESB_NS0_8identityIvEEEESO_SR_SS_mST_SV_bEUlT_E_NS1_11comp_targetILNS1_3genE4ELNS1_11target_archE910ELNS1_3gpuE8ELNS1_3repE0EEENS1_30default_config_static_selectorELNS0_4arch9wavefront6targetE0EEEvT1_.has_recursion, 0
	.set _ZN7rocprim17ROCPRIM_400000_NS6detail17trampoline_kernelINS0_14default_configENS1_25transform_config_selectorIlLb0EEEZNS1_14transform_implILb0ES3_S5_NS0_18transform_iteratorINS0_17counting_iteratorImlEEZNS1_24adjacent_difference_implIS3_Lb1ELb0EPlSB_ZN2at6native12_GLOBAL__N_124unique_dim_cuda_templateIN3c108BFloat16EEESt5tupleIJNSC_6TensorESJ_SJ_EERKSJ_lbbbEUlllE1_EE10hipError_tPvRmT2_T3_mT4_P12ihipStream_tbEUlmE_lEESB_NS0_8identityIvEEEESO_SR_SS_mST_SV_bEUlT_E_NS1_11comp_targetILNS1_3genE4ELNS1_11target_archE910ELNS1_3gpuE8ELNS1_3repE0EEENS1_30default_config_static_selectorELNS0_4arch9wavefront6targetE0EEEvT1_.has_indirect_call, 0
	.section	.AMDGPU.csdata,"",@progbits
; Kernel info:
; codeLenInByte = 0
; TotalNumSgprs: 0
; NumVgprs: 0
; ScratchSize: 0
; MemoryBound: 0
; FloatMode: 240
; IeeeMode: 1
; LDSByteSize: 0 bytes/workgroup (compile time only)
; SGPRBlocks: 0
; VGPRBlocks: 0
; NumSGPRsForWavesPerEU: 1
; NumVGPRsForWavesPerEU: 1
; NamedBarCnt: 0
; Occupancy: 16
; WaveLimiterHint : 0
; COMPUTE_PGM_RSRC2:SCRATCH_EN: 0
; COMPUTE_PGM_RSRC2:USER_SGPR: 2
; COMPUTE_PGM_RSRC2:TRAP_HANDLER: 0
; COMPUTE_PGM_RSRC2:TGID_X_EN: 1
; COMPUTE_PGM_RSRC2:TGID_Y_EN: 0
; COMPUTE_PGM_RSRC2:TGID_Z_EN: 0
; COMPUTE_PGM_RSRC2:TIDIG_COMP_CNT: 0
	.section	.text._ZN7rocprim17ROCPRIM_400000_NS6detail17trampoline_kernelINS0_14default_configENS1_25transform_config_selectorIlLb0EEEZNS1_14transform_implILb0ES3_S5_NS0_18transform_iteratorINS0_17counting_iteratorImlEEZNS1_24adjacent_difference_implIS3_Lb1ELb0EPlSB_ZN2at6native12_GLOBAL__N_124unique_dim_cuda_templateIN3c108BFloat16EEESt5tupleIJNSC_6TensorESJ_SJ_EERKSJ_lbbbEUlllE1_EE10hipError_tPvRmT2_T3_mT4_P12ihipStream_tbEUlmE_lEESB_NS0_8identityIvEEEESO_SR_SS_mST_SV_bEUlT_E_NS1_11comp_targetILNS1_3genE3ELNS1_11target_archE908ELNS1_3gpuE7ELNS1_3repE0EEENS1_30default_config_static_selectorELNS0_4arch9wavefront6targetE0EEEvT1_,"axG",@progbits,_ZN7rocprim17ROCPRIM_400000_NS6detail17trampoline_kernelINS0_14default_configENS1_25transform_config_selectorIlLb0EEEZNS1_14transform_implILb0ES3_S5_NS0_18transform_iteratorINS0_17counting_iteratorImlEEZNS1_24adjacent_difference_implIS3_Lb1ELb0EPlSB_ZN2at6native12_GLOBAL__N_124unique_dim_cuda_templateIN3c108BFloat16EEESt5tupleIJNSC_6TensorESJ_SJ_EERKSJ_lbbbEUlllE1_EE10hipError_tPvRmT2_T3_mT4_P12ihipStream_tbEUlmE_lEESB_NS0_8identityIvEEEESO_SR_SS_mST_SV_bEUlT_E_NS1_11comp_targetILNS1_3genE3ELNS1_11target_archE908ELNS1_3gpuE7ELNS1_3repE0EEENS1_30default_config_static_selectorELNS0_4arch9wavefront6targetE0EEEvT1_,comdat
	.globl	_ZN7rocprim17ROCPRIM_400000_NS6detail17trampoline_kernelINS0_14default_configENS1_25transform_config_selectorIlLb0EEEZNS1_14transform_implILb0ES3_S5_NS0_18transform_iteratorINS0_17counting_iteratorImlEEZNS1_24adjacent_difference_implIS3_Lb1ELb0EPlSB_ZN2at6native12_GLOBAL__N_124unique_dim_cuda_templateIN3c108BFloat16EEESt5tupleIJNSC_6TensorESJ_SJ_EERKSJ_lbbbEUlllE1_EE10hipError_tPvRmT2_T3_mT4_P12ihipStream_tbEUlmE_lEESB_NS0_8identityIvEEEESO_SR_SS_mST_SV_bEUlT_E_NS1_11comp_targetILNS1_3genE3ELNS1_11target_archE908ELNS1_3gpuE7ELNS1_3repE0EEENS1_30default_config_static_selectorELNS0_4arch9wavefront6targetE0EEEvT1_ ; -- Begin function _ZN7rocprim17ROCPRIM_400000_NS6detail17trampoline_kernelINS0_14default_configENS1_25transform_config_selectorIlLb0EEEZNS1_14transform_implILb0ES3_S5_NS0_18transform_iteratorINS0_17counting_iteratorImlEEZNS1_24adjacent_difference_implIS3_Lb1ELb0EPlSB_ZN2at6native12_GLOBAL__N_124unique_dim_cuda_templateIN3c108BFloat16EEESt5tupleIJNSC_6TensorESJ_SJ_EERKSJ_lbbbEUlllE1_EE10hipError_tPvRmT2_T3_mT4_P12ihipStream_tbEUlmE_lEESB_NS0_8identityIvEEEESO_SR_SS_mST_SV_bEUlT_E_NS1_11comp_targetILNS1_3genE3ELNS1_11target_archE908ELNS1_3gpuE7ELNS1_3repE0EEENS1_30default_config_static_selectorELNS0_4arch9wavefront6targetE0EEEvT1_
	.p2align	8
	.type	_ZN7rocprim17ROCPRIM_400000_NS6detail17trampoline_kernelINS0_14default_configENS1_25transform_config_selectorIlLb0EEEZNS1_14transform_implILb0ES3_S5_NS0_18transform_iteratorINS0_17counting_iteratorImlEEZNS1_24adjacent_difference_implIS3_Lb1ELb0EPlSB_ZN2at6native12_GLOBAL__N_124unique_dim_cuda_templateIN3c108BFloat16EEESt5tupleIJNSC_6TensorESJ_SJ_EERKSJ_lbbbEUlllE1_EE10hipError_tPvRmT2_T3_mT4_P12ihipStream_tbEUlmE_lEESB_NS0_8identityIvEEEESO_SR_SS_mST_SV_bEUlT_E_NS1_11comp_targetILNS1_3genE3ELNS1_11target_archE908ELNS1_3gpuE7ELNS1_3repE0EEENS1_30default_config_static_selectorELNS0_4arch9wavefront6targetE0EEEvT1_,@function
_ZN7rocprim17ROCPRIM_400000_NS6detail17trampoline_kernelINS0_14default_configENS1_25transform_config_selectorIlLb0EEEZNS1_14transform_implILb0ES3_S5_NS0_18transform_iteratorINS0_17counting_iteratorImlEEZNS1_24adjacent_difference_implIS3_Lb1ELb0EPlSB_ZN2at6native12_GLOBAL__N_124unique_dim_cuda_templateIN3c108BFloat16EEESt5tupleIJNSC_6TensorESJ_SJ_EERKSJ_lbbbEUlllE1_EE10hipError_tPvRmT2_T3_mT4_P12ihipStream_tbEUlmE_lEESB_NS0_8identityIvEEEESO_SR_SS_mST_SV_bEUlT_E_NS1_11comp_targetILNS1_3genE3ELNS1_11target_archE908ELNS1_3gpuE7ELNS1_3repE0EEENS1_30default_config_static_selectorELNS0_4arch9wavefront6targetE0EEEvT1_: ; @_ZN7rocprim17ROCPRIM_400000_NS6detail17trampoline_kernelINS0_14default_configENS1_25transform_config_selectorIlLb0EEEZNS1_14transform_implILb0ES3_S5_NS0_18transform_iteratorINS0_17counting_iteratorImlEEZNS1_24adjacent_difference_implIS3_Lb1ELb0EPlSB_ZN2at6native12_GLOBAL__N_124unique_dim_cuda_templateIN3c108BFloat16EEESt5tupleIJNSC_6TensorESJ_SJ_EERKSJ_lbbbEUlllE1_EE10hipError_tPvRmT2_T3_mT4_P12ihipStream_tbEUlmE_lEESB_NS0_8identityIvEEEESO_SR_SS_mST_SV_bEUlT_E_NS1_11comp_targetILNS1_3genE3ELNS1_11target_archE908ELNS1_3gpuE7ELNS1_3repE0EEENS1_30default_config_static_selectorELNS0_4arch9wavefront6targetE0EEEvT1_
; %bb.0:
	.section	.rodata,"a",@progbits
	.p2align	6, 0x0
	.amdhsa_kernel _ZN7rocprim17ROCPRIM_400000_NS6detail17trampoline_kernelINS0_14default_configENS1_25transform_config_selectorIlLb0EEEZNS1_14transform_implILb0ES3_S5_NS0_18transform_iteratorINS0_17counting_iteratorImlEEZNS1_24adjacent_difference_implIS3_Lb1ELb0EPlSB_ZN2at6native12_GLOBAL__N_124unique_dim_cuda_templateIN3c108BFloat16EEESt5tupleIJNSC_6TensorESJ_SJ_EERKSJ_lbbbEUlllE1_EE10hipError_tPvRmT2_T3_mT4_P12ihipStream_tbEUlmE_lEESB_NS0_8identityIvEEEESO_SR_SS_mST_SV_bEUlT_E_NS1_11comp_targetILNS1_3genE3ELNS1_11target_archE908ELNS1_3gpuE7ELNS1_3repE0EEENS1_30default_config_static_selectorELNS0_4arch9wavefront6targetE0EEEvT1_
		.amdhsa_group_segment_fixed_size 0
		.amdhsa_private_segment_fixed_size 0
		.amdhsa_kernarg_size 56
		.amdhsa_user_sgpr_count 2
		.amdhsa_user_sgpr_dispatch_ptr 0
		.amdhsa_user_sgpr_queue_ptr 0
		.amdhsa_user_sgpr_kernarg_segment_ptr 1
		.amdhsa_user_sgpr_dispatch_id 0
		.amdhsa_user_sgpr_kernarg_preload_length 0
		.amdhsa_user_sgpr_kernarg_preload_offset 0
		.amdhsa_user_sgpr_private_segment_size 0
		.amdhsa_wavefront_size32 1
		.amdhsa_uses_dynamic_stack 0
		.amdhsa_enable_private_segment 0
		.amdhsa_system_sgpr_workgroup_id_x 1
		.amdhsa_system_sgpr_workgroup_id_y 0
		.amdhsa_system_sgpr_workgroup_id_z 0
		.amdhsa_system_sgpr_workgroup_info 0
		.amdhsa_system_vgpr_workitem_id 0
		.amdhsa_next_free_vgpr 1
		.amdhsa_next_free_sgpr 1
		.amdhsa_named_barrier_count 0
		.amdhsa_reserve_vcc 0
		.amdhsa_float_round_mode_32 0
		.amdhsa_float_round_mode_16_64 0
		.amdhsa_float_denorm_mode_32 3
		.amdhsa_float_denorm_mode_16_64 3
		.amdhsa_fp16_overflow 0
		.amdhsa_memory_ordered 1
		.amdhsa_forward_progress 1
		.amdhsa_inst_pref_size 0
		.amdhsa_round_robin_scheduling 0
		.amdhsa_exception_fp_ieee_invalid_op 0
		.amdhsa_exception_fp_denorm_src 0
		.amdhsa_exception_fp_ieee_div_zero 0
		.amdhsa_exception_fp_ieee_overflow 0
		.amdhsa_exception_fp_ieee_underflow 0
		.amdhsa_exception_fp_ieee_inexact 0
		.amdhsa_exception_int_div_zero 0
	.end_amdhsa_kernel
	.section	.text._ZN7rocprim17ROCPRIM_400000_NS6detail17trampoline_kernelINS0_14default_configENS1_25transform_config_selectorIlLb0EEEZNS1_14transform_implILb0ES3_S5_NS0_18transform_iteratorINS0_17counting_iteratorImlEEZNS1_24adjacent_difference_implIS3_Lb1ELb0EPlSB_ZN2at6native12_GLOBAL__N_124unique_dim_cuda_templateIN3c108BFloat16EEESt5tupleIJNSC_6TensorESJ_SJ_EERKSJ_lbbbEUlllE1_EE10hipError_tPvRmT2_T3_mT4_P12ihipStream_tbEUlmE_lEESB_NS0_8identityIvEEEESO_SR_SS_mST_SV_bEUlT_E_NS1_11comp_targetILNS1_3genE3ELNS1_11target_archE908ELNS1_3gpuE7ELNS1_3repE0EEENS1_30default_config_static_selectorELNS0_4arch9wavefront6targetE0EEEvT1_,"axG",@progbits,_ZN7rocprim17ROCPRIM_400000_NS6detail17trampoline_kernelINS0_14default_configENS1_25transform_config_selectorIlLb0EEEZNS1_14transform_implILb0ES3_S5_NS0_18transform_iteratorINS0_17counting_iteratorImlEEZNS1_24adjacent_difference_implIS3_Lb1ELb0EPlSB_ZN2at6native12_GLOBAL__N_124unique_dim_cuda_templateIN3c108BFloat16EEESt5tupleIJNSC_6TensorESJ_SJ_EERKSJ_lbbbEUlllE1_EE10hipError_tPvRmT2_T3_mT4_P12ihipStream_tbEUlmE_lEESB_NS0_8identityIvEEEESO_SR_SS_mST_SV_bEUlT_E_NS1_11comp_targetILNS1_3genE3ELNS1_11target_archE908ELNS1_3gpuE7ELNS1_3repE0EEENS1_30default_config_static_selectorELNS0_4arch9wavefront6targetE0EEEvT1_,comdat
.Lfunc_end1160:
	.size	_ZN7rocprim17ROCPRIM_400000_NS6detail17trampoline_kernelINS0_14default_configENS1_25transform_config_selectorIlLb0EEEZNS1_14transform_implILb0ES3_S5_NS0_18transform_iteratorINS0_17counting_iteratorImlEEZNS1_24adjacent_difference_implIS3_Lb1ELb0EPlSB_ZN2at6native12_GLOBAL__N_124unique_dim_cuda_templateIN3c108BFloat16EEESt5tupleIJNSC_6TensorESJ_SJ_EERKSJ_lbbbEUlllE1_EE10hipError_tPvRmT2_T3_mT4_P12ihipStream_tbEUlmE_lEESB_NS0_8identityIvEEEESO_SR_SS_mST_SV_bEUlT_E_NS1_11comp_targetILNS1_3genE3ELNS1_11target_archE908ELNS1_3gpuE7ELNS1_3repE0EEENS1_30default_config_static_selectorELNS0_4arch9wavefront6targetE0EEEvT1_, .Lfunc_end1160-_ZN7rocprim17ROCPRIM_400000_NS6detail17trampoline_kernelINS0_14default_configENS1_25transform_config_selectorIlLb0EEEZNS1_14transform_implILb0ES3_S5_NS0_18transform_iteratorINS0_17counting_iteratorImlEEZNS1_24adjacent_difference_implIS3_Lb1ELb0EPlSB_ZN2at6native12_GLOBAL__N_124unique_dim_cuda_templateIN3c108BFloat16EEESt5tupleIJNSC_6TensorESJ_SJ_EERKSJ_lbbbEUlllE1_EE10hipError_tPvRmT2_T3_mT4_P12ihipStream_tbEUlmE_lEESB_NS0_8identityIvEEEESO_SR_SS_mST_SV_bEUlT_E_NS1_11comp_targetILNS1_3genE3ELNS1_11target_archE908ELNS1_3gpuE7ELNS1_3repE0EEENS1_30default_config_static_selectorELNS0_4arch9wavefront6targetE0EEEvT1_
                                        ; -- End function
	.set _ZN7rocprim17ROCPRIM_400000_NS6detail17trampoline_kernelINS0_14default_configENS1_25transform_config_selectorIlLb0EEEZNS1_14transform_implILb0ES3_S5_NS0_18transform_iteratorINS0_17counting_iteratorImlEEZNS1_24adjacent_difference_implIS3_Lb1ELb0EPlSB_ZN2at6native12_GLOBAL__N_124unique_dim_cuda_templateIN3c108BFloat16EEESt5tupleIJNSC_6TensorESJ_SJ_EERKSJ_lbbbEUlllE1_EE10hipError_tPvRmT2_T3_mT4_P12ihipStream_tbEUlmE_lEESB_NS0_8identityIvEEEESO_SR_SS_mST_SV_bEUlT_E_NS1_11comp_targetILNS1_3genE3ELNS1_11target_archE908ELNS1_3gpuE7ELNS1_3repE0EEENS1_30default_config_static_selectorELNS0_4arch9wavefront6targetE0EEEvT1_.num_vgpr, 0
	.set _ZN7rocprim17ROCPRIM_400000_NS6detail17trampoline_kernelINS0_14default_configENS1_25transform_config_selectorIlLb0EEEZNS1_14transform_implILb0ES3_S5_NS0_18transform_iteratorINS0_17counting_iteratorImlEEZNS1_24adjacent_difference_implIS3_Lb1ELb0EPlSB_ZN2at6native12_GLOBAL__N_124unique_dim_cuda_templateIN3c108BFloat16EEESt5tupleIJNSC_6TensorESJ_SJ_EERKSJ_lbbbEUlllE1_EE10hipError_tPvRmT2_T3_mT4_P12ihipStream_tbEUlmE_lEESB_NS0_8identityIvEEEESO_SR_SS_mST_SV_bEUlT_E_NS1_11comp_targetILNS1_3genE3ELNS1_11target_archE908ELNS1_3gpuE7ELNS1_3repE0EEENS1_30default_config_static_selectorELNS0_4arch9wavefront6targetE0EEEvT1_.num_agpr, 0
	.set _ZN7rocprim17ROCPRIM_400000_NS6detail17trampoline_kernelINS0_14default_configENS1_25transform_config_selectorIlLb0EEEZNS1_14transform_implILb0ES3_S5_NS0_18transform_iteratorINS0_17counting_iteratorImlEEZNS1_24adjacent_difference_implIS3_Lb1ELb0EPlSB_ZN2at6native12_GLOBAL__N_124unique_dim_cuda_templateIN3c108BFloat16EEESt5tupleIJNSC_6TensorESJ_SJ_EERKSJ_lbbbEUlllE1_EE10hipError_tPvRmT2_T3_mT4_P12ihipStream_tbEUlmE_lEESB_NS0_8identityIvEEEESO_SR_SS_mST_SV_bEUlT_E_NS1_11comp_targetILNS1_3genE3ELNS1_11target_archE908ELNS1_3gpuE7ELNS1_3repE0EEENS1_30default_config_static_selectorELNS0_4arch9wavefront6targetE0EEEvT1_.numbered_sgpr, 0
	.set _ZN7rocprim17ROCPRIM_400000_NS6detail17trampoline_kernelINS0_14default_configENS1_25transform_config_selectorIlLb0EEEZNS1_14transform_implILb0ES3_S5_NS0_18transform_iteratorINS0_17counting_iteratorImlEEZNS1_24adjacent_difference_implIS3_Lb1ELb0EPlSB_ZN2at6native12_GLOBAL__N_124unique_dim_cuda_templateIN3c108BFloat16EEESt5tupleIJNSC_6TensorESJ_SJ_EERKSJ_lbbbEUlllE1_EE10hipError_tPvRmT2_T3_mT4_P12ihipStream_tbEUlmE_lEESB_NS0_8identityIvEEEESO_SR_SS_mST_SV_bEUlT_E_NS1_11comp_targetILNS1_3genE3ELNS1_11target_archE908ELNS1_3gpuE7ELNS1_3repE0EEENS1_30default_config_static_selectorELNS0_4arch9wavefront6targetE0EEEvT1_.num_named_barrier, 0
	.set _ZN7rocprim17ROCPRIM_400000_NS6detail17trampoline_kernelINS0_14default_configENS1_25transform_config_selectorIlLb0EEEZNS1_14transform_implILb0ES3_S5_NS0_18transform_iteratorINS0_17counting_iteratorImlEEZNS1_24adjacent_difference_implIS3_Lb1ELb0EPlSB_ZN2at6native12_GLOBAL__N_124unique_dim_cuda_templateIN3c108BFloat16EEESt5tupleIJNSC_6TensorESJ_SJ_EERKSJ_lbbbEUlllE1_EE10hipError_tPvRmT2_T3_mT4_P12ihipStream_tbEUlmE_lEESB_NS0_8identityIvEEEESO_SR_SS_mST_SV_bEUlT_E_NS1_11comp_targetILNS1_3genE3ELNS1_11target_archE908ELNS1_3gpuE7ELNS1_3repE0EEENS1_30default_config_static_selectorELNS0_4arch9wavefront6targetE0EEEvT1_.private_seg_size, 0
	.set _ZN7rocprim17ROCPRIM_400000_NS6detail17trampoline_kernelINS0_14default_configENS1_25transform_config_selectorIlLb0EEEZNS1_14transform_implILb0ES3_S5_NS0_18transform_iteratorINS0_17counting_iteratorImlEEZNS1_24adjacent_difference_implIS3_Lb1ELb0EPlSB_ZN2at6native12_GLOBAL__N_124unique_dim_cuda_templateIN3c108BFloat16EEESt5tupleIJNSC_6TensorESJ_SJ_EERKSJ_lbbbEUlllE1_EE10hipError_tPvRmT2_T3_mT4_P12ihipStream_tbEUlmE_lEESB_NS0_8identityIvEEEESO_SR_SS_mST_SV_bEUlT_E_NS1_11comp_targetILNS1_3genE3ELNS1_11target_archE908ELNS1_3gpuE7ELNS1_3repE0EEENS1_30default_config_static_selectorELNS0_4arch9wavefront6targetE0EEEvT1_.uses_vcc, 0
	.set _ZN7rocprim17ROCPRIM_400000_NS6detail17trampoline_kernelINS0_14default_configENS1_25transform_config_selectorIlLb0EEEZNS1_14transform_implILb0ES3_S5_NS0_18transform_iteratorINS0_17counting_iteratorImlEEZNS1_24adjacent_difference_implIS3_Lb1ELb0EPlSB_ZN2at6native12_GLOBAL__N_124unique_dim_cuda_templateIN3c108BFloat16EEESt5tupleIJNSC_6TensorESJ_SJ_EERKSJ_lbbbEUlllE1_EE10hipError_tPvRmT2_T3_mT4_P12ihipStream_tbEUlmE_lEESB_NS0_8identityIvEEEESO_SR_SS_mST_SV_bEUlT_E_NS1_11comp_targetILNS1_3genE3ELNS1_11target_archE908ELNS1_3gpuE7ELNS1_3repE0EEENS1_30default_config_static_selectorELNS0_4arch9wavefront6targetE0EEEvT1_.uses_flat_scratch, 0
	.set _ZN7rocprim17ROCPRIM_400000_NS6detail17trampoline_kernelINS0_14default_configENS1_25transform_config_selectorIlLb0EEEZNS1_14transform_implILb0ES3_S5_NS0_18transform_iteratorINS0_17counting_iteratorImlEEZNS1_24adjacent_difference_implIS3_Lb1ELb0EPlSB_ZN2at6native12_GLOBAL__N_124unique_dim_cuda_templateIN3c108BFloat16EEESt5tupleIJNSC_6TensorESJ_SJ_EERKSJ_lbbbEUlllE1_EE10hipError_tPvRmT2_T3_mT4_P12ihipStream_tbEUlmE_lEESB_NS0_8identityIvEEEESO_SR_SS_mST_SV_bEUlT_E_NS1_11comp_targetILNS1_3genE3ELNS1_11target_archE908ELNS1_3gpuE7ELNS1_3repE0EEENS1_30default_config_static_selectorELNS0_4arch9wavefront6targetE0EEEvT1_.has_dyn_sized_stack, 0
	.set _ZN7rocprim17ROCPRIM_400000_NS6detail17trampoline_kernelINS0_14default_configENS1_25transform_config_selectorIlLb0EEEZNS1_14transform_implILb0ES3_S5_NS0_18transform_iteratorINS0_17counting_iteratorImlEEZNS1_24adjacent_difference_implIS3_Lb1ELb0EPlSB_ZN2at6native12_GLOBAL__N_124unique_dim_cuda_templateIN3c108BFloat16EEESt5tupleIJNSC_6TensorESJ_SJ_EERKSJ_lbbbEUlllE1_EE10hipError_tPvRmT2_T3_mT4_P12ihipStream_tbEUlmE_lEESB_NS0_8identityIvEEEESO_SR_SS_mST_SV_bEUlT_E_NS1_11comp_targetILNS1_3genE3ELNS1_11target_archE908ELNS1_3gpuE7ELNS1_3repE0EEENS1_30default_config_static_selectorELNS0_4arch9wavefront6targetE0EEEvT1_.has_recursion, 0
	.set _ZN7rocprim17ROCPRIM_400000_NS6detail17trampoline_kernelINS0_14default_configENS1_25transform_config_selectorIlLb0EEEZNS1_14transform_implILb0ES3_S5_NS0_18transform_iteratorINS0_17counting_iteratorImlEEZNS1_24adjacent_difference_implIS3_Lb1ELb0EPlSB_ZN2at6native12_GLOBAL__N_124unique_dim_cuda_templateIN3c108BFloat16EEESt5tupleIJNSC_6TensorESJ_SJ_EERKSJ_lbbbEUlllE1_EE10hipError_tPvRmT2_T3_mT4_P12ihipStream_tbEUlmE_lEESB_NS0_8identityIvEEEESO_SR_SS_mST_SV_bEUlT_E_NS1_11comp_targetILNS1_3genE3ELNS1_11target_archE908ELNS1_3gpuE7ELNS1_3repE0EEENS1_30default_config_static_selectorELNS0_4arch9wavefront6targetE0EEEvT1_.has_indirect_call, 0
	.section	.AMDGPU.csdata,"",@progbits
; Kernel info:
; codeLenInByte = 0
; TotalNumSgprs: 0
; NumVgprs: 0
; ScratchSize: 0
; MemoryBound: 0
; FloatMode: 240
; IeeeMode: 1
; LDSByteSize: 0 bytes/workgroup (compile time only)
; SGPRBlocks: 0
; VGPRBlocks: 0
; NumSGPRsForWavesPerEU: 1
; NumVGPRsForWavesPerEU: 1
; NamedBarCnt: 0
; Occupancy: 16
; WaveLimiterHint : 0
; COMPUTE_PGM_RSRC2:SCRATCH_EN: 0
; COMPUTE_PGM_RSRC2:USER_SGPR: 2
; COMPUTE_PGM_RSRC2:TRAP_HANDLER: 0
; COMPUTE_PGM_RSRC2:TGID_X_EN: 1
; COMPUTE_PGM_RSRC2:TGID_Y_EN: 0
; COMPUTE_PGM_RSRC2:TGID_Z_EN: 0
; COMPUTE_PGM_RSRC2:TIDIG_COMP_CNT: 0
	.section	.text._ZN7rocprim17ROCPRIM_400000_NS6detail17trampoline_kernelINS0_14default_configENS1_25transform_config_selectorIlLb0EEEZNS1_14transform_implILb0ES3_S5_NS0_18transform_iteratorINS0_17counting_iteratorImlEEZNS1_24adjacent_difference_implIS3_Lb1ELb0EPlSB_ZN2at6native12_GLOBAL__N_124unique_dim_cuda_templateIN3c108BFloat16EEESt5tupleIJNSC_6TensorESJ_SJ_EERKSJ_lbbbEUlllE1_EE10hipError_tPvRmT2_T3_mT4_P12ihipStream_tbEUlmE_lEESB_NS0_8identityIvEEEESO_SR_SS_mST_SV_bEUlT_E_NS1_11comp_targetILNS1_3genE2ELNS1_11target_archE906ELNS1_3gpuE6ELNS1_3repE0EEENS1_30default_config_static_selectorELNS0_4arch9wavefront6targetE0EEEvT1_,"axG",@progbits,_ZN7rocprim17ROCPRIM_400000_NS6detail17trampoline_kernelINS0_14default_configENS1_25transform_config_selectorIlLb0EEEZNS1_14transform_implILb0ES3_S5_NS0_18transform_iteratorINS0_17counting_iteratorImlEEZNS1_24adjacent_difference_implIS3_Lb1ELb0EPlSB_ZN2at6native12_GLOBAL__N_124unique_dim_cuda_templateIN3c108BFloat16EEESt5tupleIJNSC_6TensorESJ_SJ_EERKSJ_lbbbEUlllE1_EE10hipError_tPvRmT2_T3_mT4_P12ihipStream_tbEUlmE_lEESB_NS0_8identityIvEEEESO_SR_SS_mST_SV_bEUlT_E_NS1_11comp_targetILNS1_3genE2ELNS1_11target_archE906ELNS1_3gpuE6ELNS1_3repE0EEENS1_30default_config_static_selectorELNS0_4arch9wavefront6targetE0EEEvT1_,comdat
	.globl	_ZN7rocprim17ROCPRIM_400000_NS6detail17trampoline_kernelINS0_14default_configENS1_25transform_config_selectorIlLb0EEEZNS1_14transform_implILb0ES3_S5_NS0_18transform_iteratorINS0_17counting_iteratorImlEEZNS1_24adjacent_difference_implIS3_Lb1ELb0EPlSB_ZN2at6native12_GLOBAL__N_124unique_dim_cuda_templateIN3c108BFloat16EEESt5tupleIJNSC_6TensorESJ_SJ_EERKSJ_lbbbEUlllE1_EE10hipError_tPvRmT2_T3_mT4_P12ihipStream_tbEUlmE_lEESB_NS0_8identityIvEEEESO_SR_SS_mST_SV_bEUlT_E_NS1_11comp_targetILNS1_3genE2ELNS1_11target_archE906ELNS1_3gpuE6ELNS1_3repE0EEENS1_30default_config_static_selectorELNS0_4arch9wavefront6targetE0EEEvT1_ ; -- Begin function _ZN7rocprim17ROCPRIM_400000_NS6detail17trampoline_kernelINS0_14default_configENS1_25transform_config_selectorIlLb0EEEZNS1_14transform_implILb0ES3_S5_NS0_18transform_iteratorINS0_17counting_iteratorImlEEZNS1_24adjacent_difference_implIS3_Lb1ELb0EPlSB_ZN2at6native12_GLOBAL__N_124unique_dim_cuda_templateIN3c108BFloat16EEESt5tupleIJNSC_6TensorESJ_SJ_EERKSJ_lbbbEUlllE1_EE10hipError_tPvRmT2_T3_mT4_P12ihipStream_tbEUlmE_lEESB_NS0_8identityIvEEEESO_SR_SS_mST_SV_bEUlT_E_NS1_11comp_targetILNS1_3genE2ELNS1_11target_archE906ELNS1_3gpuE6ELNS1_3repE0EEENS1_30default_config_static_selectorELNS0_4arch9wavefront6targetE0EEEvT1_
	.p2align	8
	.type	_ZN7rocprim17ROCPRIM_400000_NS6detail17trampoline_kernelINS0_14default_configENS1_25transform_config_selectorIlLb0EEEZNS1_14transform_implILb0ES3_S5_NS0_18transform_iteratorINS0_17counting_iteratorImlEEZNS1_24adjacent_difference_implIS3_Lb1ELb0EPlSB_ZN2at6native12_GLOBAL__N_124unique_dim_cuda_templateIN3c108BFloat16EEESt5tupleIJNSC_6TensorESJ_SJ_EERKSJ_lbbbEUlllE1_EE10hipError_tPvRmT2_T3_mT4_P12ihipStream_tbEUlmE_lEESB_NS0_8identityIvEEEESO_SR_SS_mST_SV_bEUlT_E_NS1_11comp_targetILNS1_3genE2ELNS1_11target_archE906ELNS1_3gpuE6ELNS1_3repE0EEENS1_30default_config_static_selectorELNS0_4arch9wavefront6targetE0EEEvT1_,@function
_ZN7rocprim17ROCPRIM_400000_NS6detail17trampoline_kernelINS0_14default_configENS1_25transform_config_selectorIlLb0EEEZNS1_14transform_implILb0ES3_S5_NS0_18transform_iteratorINS0_17counting_iteratorImlEEZNS1_24adjacent_difference_implIS3_Lb1ELb0EPlSB_ZN2at6native12_GLOBAL__N_124unique_dim_cuda_templateIN3c108BFloat16EEESt5tupleIJNSC_6TensorESJ_SJ_EERKSJ_lbbbEUlllE1_EE10hipError_tPvRmT2_T3_mT4_P12ihipStream_tbEUlmE_lEESB_NS0_8identityIvEEEESO_SR_SS_mST_SV_bEUlT_E_NS1_11comp_targetILNS1_3genE2ELNS1_11target_archE906ELNS1_3gpuE6ELNS1_3repE0EEENS1_30default_config_static_selectorELNS0_4arch9wavefront6targetE0EEEvT1_: ; @_ZN7rocprim17ROCPRIM_400000_NS6detail17trampoline_kernelINS0_14default_configENS1_25transform_config_selectorIlLb0EEEZNS1_14transform_implILb0ES3_S5_NS0_18transform_iteratorINS0_17counting_iteratorImlEEZNS1_24adjacent_difference_implIS3_Lb1ELb0EPlSB_ZN2at6native12_GLOBAL__N_124unique_dim_cuda_templateIN3c108BFloat16EEESt5tupleIJNSC_6TensorESJ_SJ_EERKSJ_lbbbEUlllE1_EE10hipError_tPvRmT2_T3_mT4_P12ihipStream_tbEUlmE_lEESB_NS0_8identityIvEEEESO_SR_SS_mST_SV_bEUlT_E_NS1_11comp_targetILNS1_3genE2ELNS1_11target_archE906ELNS1_3gpuE6ELNS1_3repE0EEENS1_30default_config_static_selectorELNS0_4arch9wavefront6targetE0EEEvT1_
; %bb.0:
	.section	.rodata,"a",@progbits
	.p2align	6, 0x0
	.amdhsa_kernel _ZN7rocprim17ROCPRIM_400000_NS6detail17trampoline_kernelINS0_14default_configENS1_25transform_config_selectorIlLb0EEEZNS1_14transform_implILb0ES3_S5_NS0_18transform_iteratorINS0_17counting_iteratorImlEEZNS1_24adjacent_difference_implIS3_Lb1ELb0EPlSB_ZN2at6native12_GLOBAL__N_124unique_dim_cuda_templateIN3c108BFloat16EEESt5tupleIJNSC_6TensorESJ_SJ_EERKSJ_lbbbEUlllE1_EE10hipError_tPvRmT2_T3_mT4_P12ihipStream_tbEUlmE_lEESB_NS0_8identityIvEEEESO_SR_SS_mST_SV_bEUlT_E_NS1_11comp_targetILNS1_3genE2ELNS1_11target_archE906ELNS1_3gpuE6ELNS1_3repE0EEENS1_30default_config_static_selectorELNS0_4arch9wavefront6targetE0EEEvT1_
		.amdhsa_group_segment_fixed_size 0
		.amdhsa_private_segment_fixed_size 0
		.amdhsa_kernarg_size 56
		.amdhsa_user_sgpr_count 2
		.amdhsa_user_sgpr_dispatch_ptr 0
		.amdhsa_user_sgpr_queue_ptr 0
		.amdhsa_user_sgpr_kernarg_segment_ptr 1
		.amdhsa_user_sgpr_dispatch_id 0
		.amdhsa_user_sgpr_kernarg_preload_length 0
		.amdhsa_user_sgpr_kernarg_preload_offset 0
		.amdhsa_user_sgpr_private_segment_size 0
		.amdhsa_wavefront_size32 1
		.amdhsa_uses_dynamic_stack 0
		.amdhsa_enable_private_segment 0
		.amdhsa_system_sgpr_workgroup_id_x 1
		.amdhsa_system_sgpr_workgroup_id_y 0
		.amdhsa_system_sgpr_workgroup_id_z 0
		.amdhsa_system_sgpr_workgroup_info 0
		.amdhsa_system_vgpr_workitem_id 0
		.amdhsa_next_free_vgpr 1
		.amdhsa_next_free_sgpr 1
		.amdhsa_named_barrier_count 0
		.amdhsa_reserve_vcc 0
		.amdhsa_float_round_mode_32 0
		.amdhsa_float_round_mode_16_64 0
		.amdhsa_float_denorm_mode_32 3
		.amdhsa_float_denorm_mode_16_64 3
		.amdhsa_fp16_overflow 0
		.amdhsa_memory_ordered 1
		.amdhsa_forward_progress 1
		.amdhsa_inst_pref_size 0
		.amdhsa_round_robin_scheduling 0
		.amdhsa_exception_fp_ieee_invalid_op 0
		.amdhsa_exception_fp_denorm_src 0
		.amdhsa_exception_fp_ieee_div_zero 0
		.amdhsa_exception_fp_ieee_overflow 0
		.amdhsa_exception_fp_ieee_underflow 0
		.amdhsa_exception_fp_ieee_inexact 0
		.amdhsa_exception_int_div_zero 0
	.end_amdhsa_kernel
	.section	.text._ZN7rocprim17ROCPRIM_400000_NS6detail17trampoline_kernelINS0_14default_configENS1_25transform_config_selectorIlLb0EEEZNS1_14transform_implILb0ES3_S5_NS0_18transform_iteratorINS0_17counting_iteratorImlEEZNS1_24adjacent_difference_implIS3_Lb1ELb0EPlSB_ZN2at6native12_GLOBAL__N_124unique_dim_cuda_templateIN3c108BFloat16EEESt5tupleIJNSC_6TensorESJ_SJ_EERKSJ_lbbbEUlllE1_EE10hipError_tPvRmT2_T3_mT4_P12ihipStream_tbEUlmE_lEESB_NS0_8identityIvEEEESO_SR_SS_mST_SV_bEUlT_E_NS1_11comp_targetILNS1_3genE2ELNS1_11target_archE906ELNS1_3gpuE6ELNS1_3repE0EEENS1_30default_config_static_selectorELNS0_4arch9wavefront6targetE0EEEvT1_,"axG",@progbits,_ZN7rocprim17ROCPRIM_400000_NS6detail17trampoline_kernelINS0_14default_configENS1_25transform_config_selectorIlLb0EEEZNS1_14transform_implILb0ES3_S5_NS0_18transform_iteratorINS0_17counting_iteratorImlEEZNS1_24adjacent_difference_implIS3_Lb1ELb0EPlSB_ZN2at6native12_GLOBAL__N_124unique_dim_cuda_templateIN3c108BFloat16EEESt5tupleIJNSC_6TensorESJ_SJ_EERKSJ_lbbbEUlllE1_EE10hipError_tPvRmT2_T3_mT4_P12ihipStream_tbEUlmE_lEESB_NS0_8identityIvEEEESO_SR_SS_mST_SV_bEUlT_E_NS1_11comp_targetILNS1_3genE2ELNS1_11target_archE906ELNS1_3gpuE6ELNS1_3repE0EEENS1_30default_config_static_selectorELNS0_4arch9wavefront6targetE0EEEvT1_,comdat
.Lfunc_end1161:
	.size	_ZN7rocprim17ROCPRIM_400000_NS6detail17trampoline_kernelINS0_14default_configENS1_25transform_config_selectorIlLb0EEEZNS1_14transform_implILb0ES3_S5_NS0_18transform_iteratorINS0_17counting_iteratorImlEEZNS1_24adjacent_difference_implIS3_Lb1ELb0EPlSB_ZN2at6native12_GLOBAL__N_124unique_dim_cuda_templateIN3c108BFloat16EEESt5tupleIJNSC_6TensorESJ_SJ_EERKSJ_lbbbEUlllE1_EE10hipError_tPvRmT2_T3_mT4_P12ihipStream_tbEUlmE_lEESB_NS0_8identityIvEEEESO_SR_SS_mST_SV_bEUlT_E_NS1_11comp_targetILNS1_3genE2ELNS1_11target_archE906ELNS1_3gpuE6ELNS1_3repE0EEENS1_30default_config_static_selectorELNS0_4arch9wavefront6targetE0EEEvT1_, .Lfunc_end1161-_ZN7rocprim17ROCPRIM_400000_NS6detail17trampoline_kernelINS0_14default_configENS1_25transform_config_selectorIlLb0EEEZNS1_14transform_implILb0ES3_S5_NS0_18transform_iteratorINS0_17counting_iteratorImlEEZNS1_24adjacent_difference_implIS3_Lb1ELb0EPlSB_ZN2at6native12_GLOBAL__N_124unique_dim_cuda_templateIN3c108BFloat16EEESt5tupleIJNSC_6TensorESJ_SJ_EERKSJ_lbbbEUlllE1_EE10hipError_tPvRmT2_T3_mT4_P12ihipStream_tbEUlmE_lEESB_NS0_8identityIvEEEESO_SR_SS_mST_SV_bEUlT_E_NS1_11comp_targetILNS1_3genE2ELNS1_11target_archE906ELNS1_3gpuE6ELNS1_3repE0EEENS1_30default_config_static_selectorELNS0_4arch9wavefront6targetE0EEEvT1_
                                        ; -- End function
	.set _ZN7rocprim17ROCPRIM_400000_NS6detail17trampoline_kernelINS0_14default_configENS1_25transform_config_selectorIlLb0EEEZNS1_14transform_implILb0ES3_S5_NS0_18transform_iteratorINS0_17counting_iteratorImlEEZNS1_24adjacent_difference_implIS3_Lb1ELb0EPlSB_ZN2at6native12_GLOBAL__N_124unique_dim_cuda_templateIN3c108BFloat16EEESt5tupleIJNSC_6TensorESJ_SJ_EERKSJ_lbbbEUlllE1_EE10hipError_tPvRmT2_T3_mT4_P12ihipStream_tbEUlmE_lEESB_NS0_8identityIvEEEESO_SR_SS_mST_SV_bEUlT_E_NS1_11comp_targetILNS1_3genE2ELNS1_11target_archE906ELNS1_3gpuE6ELNS1_3repE0EEENS1_30default_config_static_selectorELNS0_4arch9wavefront6targetE0EEEvT1_.num_vgpr, 0
	.set _ZN7rocprim17ROCPRIM_400000_NS6detail17trampoline_kernelINS0_14default_configENS1_25transform_config_selectorIlLb0EEEZNS1_14transform_implILb0ES3_S5_NS0_18transform_iteratorINS0_17counting_iteratorImlEEZNS1_24adjacent_difference_implIS3_Lb1ELb0EPlSB_ZN2at6native12_GLOBAL__N_124unique_dim_cuda_templateIN3c108BFloat16EEESt5tupleIJNSC_6TensorESJ_SJ_EERKSJ_lbbbEUlllE1_EE10hipError_tPvRmT2_T3_mT4_P12ihipStream_tbEUlmE_lEESB_NS0_8identityIvEEEESO_SR_SS_mST_SV_bEUlT_E_NS1_11comp_targetILNS1_3genE2ELNS1_11target_archE906ELNS1_3gpuE6ELNS1_3repE0EEENS1_30default_config_static_selectorELNS0_4arch9wavefront6targetE0EEEvT1_.num_agpr, 0
	.set _ZN7rocprim17ROCPRIM_400000_NS6detail17trampoline_kernelINS0_14default_configENS1_25transform_config_selectorIlLb0EEEZNS1_14transform_implILb0ES3_S5_NS0_18transform_iteratorINS0_17counting_iteratorImlEEZNS1_24adjacent_difference_implIS3_Lb1ELb0EPlSB_ZN2at6native12_GLOBAL__N_124unique_dim_cuda_templateIN3c108BFloat16EEESt5tupleIJNSC_6TensorESJ_SJ_EERKSJ_lbbbEUlllE1_EE10hipError_tPvRmT2_T3_mT4_P12ihipStream_tbEUlmE_lEESB_NS0_8identityIvEEEESO_SR_SS_mST_SV_bEUlT_E_NS1_11comp_targetILNS1_3genE2ELNS1_11target_archE906ELNS1_3gpuE6ELNS1_3repE0EEENS1_30default_config_static_selectorELNS0_4arch9wavefront6targetE0EEEvT1_.numbered_sgpr, 0
	.set _ZN7rocprim17ROCPRIM_400000_NS6detail17trampoline_kernelINS0_14default_configENS1_25transform_config_selectorIlLb0EEEZNS1_14transform_implILb0ES3_S5_NS0_18transform_iteratorINS0_17counting_iteratorImlEEZNS1_24adjacent_difference_implIS3_Lb1ELb0EPlSB_ZN2at6native12_GLOBAL__N_124unique_dim_cuda_templateIN3c108BFloat16EEESt5tupleIJNSC_6TensorESJ_SJ_EERKSJ_lbbbEUlllE1_EE10hipError_tPvRmT2_T3_mT4_P12ihipStream_tbEUlmE_lEESB_NS0_8identityIvEEEESO_SR_SS_mST_SV_bEUlT_E_NS1_11comp_targetILNS1_3genE2ELNS1_11target_archE906ELNS1_3gpuE6ELNS1_3repE0EEENS1_30default_config_static_selectorELNS0_4arch9wavefront6targetE0EEEvT1_.num_named_barrier, 0
	.set _ZN7rocprim17ROCPRIM_400000_NS6detail17trampoline_kernelINS0_14default_configENS1_25transform_config_selectorIlLb0EEEZNS1_14transform_implILb0ES3_S5_NS0_18transform_iteratorINS0_17counting_iteratorImlEEZNS1_24adjacent_difference_implIS3_Lb1ELb0EPlSB_ZN2at6native12_GLOBAL__N_124unique_dim_cuda_templateIN3c108BFloat16EEESt5tupleIJNSC_6TensorESJ_SJ_EERKSJ_lbbbEUlllE1_EE10hipError_tPvRmT2_T3_mT4_P12ihipStream_tbEUlmE_lEESB_NS0_8identityIvEEEESO_SR_SS_mST_SV_bEUlT_E_NS1_11comp_targetILNS1_3genE2ELNS1_11target_archE906ELNS1_3gpuE6ELNS1_3repE0EEENS1_30default_config_static_selectorELNS0_4arch9wavefront6targetE0EEEvT1_.private_seg_size, 0
	.set _ZN7rocprim17ROCPRIM_400000_NS6detail17trampoline_kernelINS0_14default_configENS1_25transform_config_selectorIlLb0EEEZNS1_14transform_implILb0ES3_S5_NS0_18transform_iteratorINS0_17counting_iteratorImlEEZNS1_24adjacent_difference_implIS3_Lb1ELb0EPlSB_ZN2at6native12_GLOBAL__N_124unique_dim_cuda_templateIN3c108BFloat16EEESt5tupleIJNSC_6TensorESJ_SJ_EERKSJ_lbbbEUlllE1_EE10hipError_tPvRmT2_T3_mT4_P12ihipStream_tbEUlmE_lEESB_NS0_8identityIvEEEESO_SR_SS_mST_SV_bEUlT_E_NS1_11comp_targetILNS1_3genE2ELNS1_11target_archE906ELNS1_3gpuE6ELNS1_3repE0EEENS1_30default_config_static_selectorELNS0_4arch9wavefront6targetE0EEEvT1_.uses_vcc, 0
	.set _ZN7rocprim17ROCPRIM_400000_NS6detail17trampoline_kernelINS0_14default_configENS1_25transform_config_selectorIlLb0EEEZNS1_14transform_implILb0ES3_S5_NS0_18transform_iteratorINS0_17counting_iteratorImlEEZNS1_24adjacent_difference_implIS3_Lb1ELb0EPlSB_ZN2at6native12_GLOBAL__N_124unique_dim_cuda_templateIN3c108BFloat16EEESt5tupleIJNSC_6TensorESJ_SJ_EERKSJ_lbbbEUlllE1_EE10hipError_tPvRmT2_T3_mT4_P12ihipStream_tbEUlmE_lEESB_NS0_8identityIvEEEESO_SR_SS_mST_SV_bEUlT_E_NS1_11comp_targetILNS1_3genE2ELNS1_11target_archE906ELNS1_3gpuE6ELNS1_3repE0EEENS1_30default_config_static_selectorELNS0_4arch9wavefront6targetE0EEEvT1_.uses_flat_scratch, 0
	.set _ZN7rocprim17ROCPRIM_400000_NS6detail17trampoline_kernelINS0_14default_configENS1_25transform_config_selectorIlLb0EEEZNS1_14transform_implILb0ES3_S5_NS0_18transform_iteratorINS0_17counting_iteratorImlEEZNS1_24adjacent_difference_implIS3_Lb1ELb0EPlSB_ZN2at6native12_GLOBAL__N_124unique_dim_cuda_templateIN3c108BFloat16EEESt5tupleIJNSC_6TensorESJ_SJ_EERKSJ_lbbbEUlllE1_EE10hipError_tPvRmT2_T3_mT4_P12ihipStream_tbEUlmE_lEESB_NS0_8identityIvEEEESO_SR_SS_mST_SV_bEUlT_E_NS1_11comp_targetILNS1_3genE2ELNS1_11target_archE906ELNS1_3gpuE6ELNS1_3repE0EEENS1_30default_config_static_selectorELNS0_4arch9wavefront6targetE0EEEvT1_.has_dyn_sized_stack, 0
	.set _ZN7rocprim17ROCPRIM_400000_NS6detail17trampoline_kernelINS0_14default_configENS1_25transform_config_selectorIlLb0EEEZNS1_14transform_implILb0ES3_S5_NS0_18transform_iteratorINS0_17counting_iteratorImlEEZNS1_24adjacent_difference_implIS3_Lb1ELb0EPlSB_ZN2at6native12_GLOBAL__N_124unique_dim_cuda_templateIN3c108BFloat16EEESt5tupleIJNSC_6TensorESJ_SJ_EERKSJ_lbbbEUlllE1_EE10hipError_tPvRmT2_T3_mT4_P12ihipStream_tbEUlmE_lEESB_NS0_8identityIvEEEESO_SR_SS_mST_SV_bEUlT_E_NS1_11comp_targetILNS1_3genE2ELNS1_11target_archE906ELNS1_3gpuE6ELNS1_3repE0EEENS1_30default_config_static_selectorELNS0_4arch9wavefront6targetE0EEEvT1_.has_recursion, 0
	.set _ZN7rocprim17ROCPRIM_400000_NS6detail17trampoline_kernelINS0_14default_configENS1_25transform_config_selectorIlLb0EEEZNS1_14transform_implILb0ES3_S5_NS0_18transform_iteratorINS0_17counting_iteratorImlEEZNS1_24adjacent_difference_implIS3_Lb1ELb0EPlSB_ZN2at6native12_GLOBAL__N_124unique_dim_cuda_templateIN3c108BFloat16EEESt5tupleIJNSC_6TensorESJ_SJ_EERKSJ_lbbbEUlllE1_EE10hipError_tPvRmT2_T3_mT4_P12ihipStream_tbEUlmE_lEESB_NS0_8identityIvEEEESO_SR_SS_mST_SV_bEUlT_E_NS1_11comp_targetILNS1_3genE2ELNS1_11target_archE906ELNS1_3gpuE6ELNS1_3repE0EEENS1_30default_config_static_selectorELNS0_4arch9wavefront6targetE0EEEvT1_.has_indirect_call, 0
	.section	.AMDGPU.csdata,"",@progbits
; Kernel info:
; codeLenInByte = 0
; TotalNumSgprs: 0
; NumVgprs: 0
; ScratchSize: 0
; MemoryBound: 0
; FloatMode: 240
; IeeeMode: 1
; LDSByteSize: 0 bytes/workgroup (compile time only)
; SGPRBlocks: 0
; VGPRBlocks: 0
; NumSGPRsForWavesPerEU: 1
; NumVGPRsForWavesPerEU: 1
; NamedBarCnt: 0
; Occupancy: 16
; WaveLimiterHint : 0
; COMPUTE_PGM_RSRC2:SCRATCH_EN: 0
; COMPUTE_PGM_RSRC2:USER_SGPR: 2
; COMPUTE_PGM_RSRC2:TRAP_HANDLER: 0
; COMPUTE_PGM_RSRC2:TGID_X_EN: 1
; COMPUTE_PGM_RSRC2:TGID_Y_EN: 0
; COMPUTE_PGM_RSRC2:TGID_Z_EN: 0
; COMPUTE_PGM_RSRC2:TIDIG_COMP_CNT: 0
	.section	.text._ZN7rocprim17ROCPRIM_400000_NS6detail17trampoline_kernelINS0_14default_configENS1_25transform_config_selectorIlLb0EEEZNS1_14transform_implILb0ES3_S5_NS0_18transform_iteratorINS0_17counting_iteratorImlEEZNS1_24adjacent_difference_implIS3_Lb1ELb0EPlSB_ZN2at6native12_GLOBAL__N_124unique_dim_cuda_templateIN3c108BFloat16EEESt5tupleIJNSC_6TensorESJ_SJ_EERKSJ_lbbbEUlllE1_EE10hipError_tPvRmT2_T3_mT4_P12ihipStream_tbEUlmE_lEESB_NS0_8identityIvEEEESO_SR_SS_mST_SV_bEUlT_E_NS1_11comp_targetILNS1_3genE10ELNS1_11target_archE1201ELNS1_3gpuE5ELNS1_3repE0EEENS1_30default_config_static_selectorELNS0_4arch9wavefront6targetE0EEEvT1_,"axG",@progbits,_ZN7rocprim17ROCPRIM_400000_NS6detail17trampoline_kernelINS0_14default_configENS1_25transform_config_selectorIlLb0EEEZNS1_14transform_implILb0ES3_S5_NS0_18transform_iteratorINS0_17counting_iteratorImlEEZNS1_24adjacent_difference_implIS3_Lb1ELb0EPlSB_ZN2at6native12_GLOBAL__N_124unique_dim_cuda_templateIN3c108BFloat16EEESt5tupleIJNSC_6TensorESJ_SJ_EERKSJ_lbbbEUlllE1_EE10hipError_tPvRmT2_T3_mT4_P12ihipStream_tbEUlmE_lEESB_NS0_8identityIvEEEESO_SR_SS_mST_SV_bEUlT_E_NS1_11comp_targetILNS1_3genE10ELNS1_11target_archE1201ELNS1_3gpuE5ELNS1_3repE0EEENS1_30default_config_static_selectorELNS0_4arch9wavefront6targetE0EEEvT1_,comdat
	.globl	_ZN7rocprim17ROCPRIM_400000_NS6detail17trampoline_kernelINS0_14default_configENS1_25transform_config_selectorIlLb0EEEZNS1_14transform_implILb0ES3_S5_NS0_18transform_iteratorINS0_17counting_iteratorImlEEZNS1_24adjacent_difference_implIS3_Lb1ELb0EPlSB_ZN2at6native12_GLOBAL__N_124unique_dim_cuda_templateIN3c108BFloat16EEESt5tupleIJNSC_6TensorESJ_SJ_EERKSJ_lbbbEUlllE1_EE10hipError_tPvRmT2_T3_mT4_P12ihipStream_tbEUlmE_lEESB_NS0_8identityIvEEEESO_SR_SS_mST_SV_bEUlT_E_NS1_11comp_targetILNS1_3genE10ELNS1_11target_archE1201ELNS1_3gpuE5ELNS1_3repE0EEENS1_30default_config_static_selectorELNS0_4arch9wavefront6targetE0EEEvT1_ ; -- Begin function _ZN7rocprim17ROCPRIM_400000_NS6detail17trampoline_kernelINS0_14default_configENS1_25transform_config_selectorIlLb0EEEZNS1_14transform_implILb0ES3_S5_NS0_18transform_iteratorINS0_17counting_iteratorImlEEZNS1_24adjacent_difference_implIS3_Lb1ELb0EPlSB_ZN2at6native12_GLOBAL__N_124unique_dim_cuda_templateIN3c108BFloat16EEESt5tupleIJNSC_6TensorESJ_SJ_EERKSJ_lbbbEUlllE1_EE10hipError_tPvRmT2_T3_mT4_P12ihipStream_tbEUlmE_lEESB_NS0_8identityIvEEEESO_SR_SS_mST_SV_bEUlT_E_NS1_11comp_targetILNS1_3genE10ELNS1_11target_archE1201ELNS1_3gpuE5ELNS1_3repE0EEENS1_30default_config_static_selectorELNS0_4arch9wavefront6targetE0EEEvT1_
	.p2align	8
	.type	_ZN7rocprim17ROCPRIM_400000_NS6detail17trampoline_kernelINS0_14default_configENS1_25transform_config_selectorIlLb0EEEZNS1_14transform_implILb0ES3_S5_NS0_18transform_iteratorINS0_17counting_iteratorImlEEZNS1_24adjacent_difference_implIS3_Lb1ELb0EPlSB_ZN2at6native12_GLOBAL__N_124unique_dim_cuda_templateIN3c108BFloat16EEESt5tupleIJNSC_6TensorESJ_SJ_EERKSJ_lbbbEUlllE1_EE10hipError_tPvRmT2_T3_mT4_P12ihipStream_tbEUlmE_lEESB_NS0_8identityIvEEEESO_SR_SS_mST_SV_bEUlT_E_NS1_11comp_targetILNS1_3genE10ELNS1_11target_archE1201ELNS1_3gpuE5ELNS1_3repE0EEENS1_30default_config_static_selectorELNS0_4arch9wavefront6targetE0EEEvT1_,@function
_ZN7rocprim17ROCPRIM_400000_NS6detail17trampoline_kernelINS0_14default_configENS1_25transform_config_selectorIlLb0EEEZNS1_14transform_implILb0ES3_S5_NS0_18transform_iteratorINS0_17counting_iteratorImlEEZNS1_24adjacent_difference_implIS3_Lb1ELb0EPlSB_ZN2at6native12_GLOBAL__N_124unique_dim_cuda_templateIN3c108BFloat16EEESt5tupleIJNSC_6TensorESJ_SJ_EERKSJ_lbbbEUlllE1_EE10hipError_tPvRmT2_T3_mT4_P12ihipStream_tbEUlmE_lEESB_NS0_8identityIvEEEESO_SR_SS_mST_SV_bEUlT_E_NS1_11comp_targetILNS1_3genE10ELNS1_11target_archE1201ELNS1_3gpuE5ELNS1_3repE0EEENS1_30default_config_static_selectorELNS0_4arch9wavefront6targetE0EEEvT1_: ; @_ZN7rocprim17ROCPRIM_400000_NS6detail17trampoline_kernelINS0_14default_configENS1_25transform_config_selectorIlLb0EEEZNS1_14transform_implILb0ES3_S5_NS0_18transform_iteratorINS0_17counting_iteratorImlEEZNS1_24adjacent_difference_implIS3_Lb1ELb0EPlSB_ZN2at6native12_GLOBAL__N_124unique_dim_cuda_templateIN3c108BFloat16EEESt5tupleIJNSC_6TensorESJ_SJ_EERKSJ_lbbbEUlllE1_EE10hipError_tPvRmT2_T3_mT4_P12ihipStream_tbEUlmE_lEESB_NS0_8identityIvEEEESO_SR_SS_mST_SV_bEUlT_E_NS1_11comp_targetILNS1_3genE10ELNS1_11target_archE1201ELNS1_3gpuE5ELNS1_3repE0EEENS1_30default_config_static_selectorELNS0_4arch9wavefront6targetE0EEEvT1_
; %bb.0:
	.section	.rodata,"a",@progbits
	.p2align	6, 0x0
	.amdhsa_kernel _ZN7rocprim17ROCPRIM_400000_NS6detail17trampoline_kernelINS0_14default_configENS1_25transform_config_selectorIlLb0EEEZNS1_14transform_implILb0ES3_S5_NS0_18transform_iteratorINS0_17counting_iteratorImlEEZNS1_24adjacent_difference_implIS3_Lb1ELb0EPlSB_ZN2at6native12_GLOBAL__N_124unique_dim_cuda_templateIN3c108BFloat16EEESt5tupleIJNSC_6TensorESJ_SJ_EERKSJ_lbbbEUlllE1_EE10hipError_tPvRmT2_T3_mT4_P12ihipStream_tbEUlmE_lEESB_NS0_8identityIvEEEESO_SR_SS_mST_SV_bEUlT_E_NS1_11comp_targetILNS1_3genE10ELNS1_11target_archE1201ELNS1_3gpuE5ELNS1_3repE0EEENS1_30default_config_static_selectorELNS0_4arch9wavefront6targetE0EEEvT1_
		.amdhsa_group_segment_fixed_size 0
		.amdhsa_private_segment_fixed_size 0
		.amdhsa_kernarg_size 56
		.amdhsa_user_sgpr_count 2
		.amdhsa_user_sgpr_dispatch_ptr 0
		.amdhsa_user_sgpr_queue_ptr 0
		.amdhsa_user_sgpr_kernarg_segment_ptr 1
		.amdhsa_user_sgpr_dispatch_id 0
		.amdhsa_user_sgpr_kernarg_preload_length 0
		.amdhsa_user_sgpr_kernarg_preload_offset 0
		.amdhsa_user_sgpr_private_segment_size 0
		.amdhsa_wavefront_size32 1
		.amdhsa_uses_dynamic_stack 0
		.amdhsa_enable_private_segment 0
		.amdhsa_system_sgpr_workgroup_id_x 1
		.amdhsa_system_sgpr_workgroup_id_y 0
		.amdhsa_system_sgpr_workgroup_id_z 0
		.amdhsa_system_sgpr_workgroup_info 0
		.amdhsa_system_vgpr_workitem_id 0
		.amdhsa_next_free_vgpr 1
		.amdhsa_next_free_sgpr 1
		.amdhsa_named_barrier_count 0
		.amdhsa_reserve_vcc 0
		.amdhsa_float_round_mode_32 0
		.amdhsa_float_round_mode_16_64 0
		.amdhsa_float_denorm_mode_32 3
		.amdhsa_float_denorm_mode_16_64 3
		.amdhsa_fp16_overflow 0
		.amdhsa_memory_ordered 1
		.amdhsa_forward_progress 1
		.amdhsa_inst_pref_size 0
		.amdhsa_round_robin_scheduling 0
		.amdhsa_exception_fp_ieee_invalid_op 0
		.amdhsa_exception_fp_denorm_src 0
		.amdhsa_exception_fp_ieee_div_zero 0
		.amdhsa_exception_fp_ieee_overflow 0
		.amdhsa_exception_fp_ieee_underflow 0
		.amdhsa_exception_fp_ieee_inexact 0
		.amdhsa_exception_int_div_zero 0
	.end_amdhsa_kernel
	.section	.text._ZN7rocprim17ROCPRIM_400000_NS6detail17trampoline_kernelINS0_14default_configENS1_25transform_config_selectorIlLb0EEEZNS1_14transform_implILb0ES3_S5_NS0_18transform_iteratorINS0_17counting_iteratorImlEEZNS1_24adjacent_difference_implIS3_Lb1ELb0EPlSB_ZN2at6native12_GLOBAL__N_124unique_dim_cuda_templateIN3c108BFloat16EEESt5tupleIJNSC_6TensorESJ_SJ_EERKSJ_lbbbEUlllE1_EE10hipError_tPvRmT2_T3_mT4_P12ihipStream_tbEUlmE_lEESB_NS0_8identityIvEEEESO_SR_SS_mST_SV_bEUlT_E_NS1_11comp_targetILNS1_3genE10ELNS1_11target_archE1201ELNS1_3gpuE5ELNS1_3repE0EEENS1_30default_config_static_selectorELNS0_4arch9wavefront6targetE0EEEvT1_,"axG",@progbits,_ZN7rocprim17ROCPRIM_400000_NS6detail17trampoline_kernelINS0_14default_configENS1_25transform_config_selectorIlLb0EEEZNS1_14transform_implILb0ES3_S5_NS0_18transform_iteratorINS0_17counting_iteratorImlEEZNS1_24adjacent_difference_implIS3_Lb1ELb0EPlSB_ZN2at6native12_GLOBAL__N_124unique_dim_cuda_templateIN3c108BFloat16EEESt5tupleIJNSC_6TensorESJ_SJ_EERKSJ_lbbbEUlllE1_EE10hipError_tPvRmT2_T3_mT4_P12ihipStream_tbEUlmE_lEESB_NS0_8identityIvEEEESO_SR_SS_mST_SV_bEUlT_E_NS1_11comp_targetILNS1_3genE10ELNS1_11target_archE1201ELNS1_3gpuE5ELNS1_3repE0EEENS1_30default_config_static_selectorELNS0_4arch9wavefront6targetE0EEEvT1_,comdat
.Lfunc_end1162:
	.size	_ZN7rocprim17ROCPRIM_400000_NS6detail17trampoline_kernelINS0_14default_configENS1_25transform_config_selectorIlLb0EEEZNS1_14transform_implILb0ES3_S5_NS0_18transform_iteratorINS0_17counting_iteratorImlEEZNS1_24adjacent_difference_implIS3_Lb1ELb0EPlSB_ZN2at6native12_GLOBAL__N_124unique_dim_cuda_templateIN3c108BFloat16EEESt5tupleIJNSC_6TensorESJ_SJ_EERKSJ_lbbbEUlllE1_EE10hipError_tPvRmT2_T3_mT4_P12ihipStream_tbEUlmE_lEESB_NS0_8identityIvEEEESO_SR_SS_mST_SV_bEUlT_E_NS1_11comp_targetILNS1_3genE10ELNS1_11target_archE1201ELNS1_3gpuE5ELNS1_3repE0EEENS1_30default_config_static_selectorELNS0_4arch9wavefront6targetE0EEEvT1_, .Lfunc_end1162-_ZN7rocprim17ROCPRIM_400000_NS6detail17trampoline_kernelINS0_14default_configENS1_25transform_config_selectorIlLb0EEEZNS1_14transform_implILb0ES3_S5_NS0_18transform_iteratorINS0_17counting_iteratorImlEEZNS1_24adjacent_difference_implIS3_Lb1ELb0EPlSB_ZN2at6native12_GLOBAL__N_124unique_dim_cuda_templateIN3c108BFloat16EEESt5tupleIJNSC_6TensorESJ_SJ_EERKSJ_lbbbEUlllE1_EE10hipError_tPvRmT2_T3_mT4_P12ihipStream_tbEUlmE_lEESB_NS0_8identityIvEEEESO_SR_SS_mST_SV_bEUlT_E_NS1_11comp_targetILNS1_3genE10ELNS1_11target_archE1201ELNS1_3gpuE5ELNS1_3repE0EEENS1_30default_config_static_selectorELNS0_4arch9wavefront6targetE0EEEvT1_
                                        ; -- End function
	.set _ZN7rocprim17ROCPRIM_400000_NS6detail17trampoline_kernelINS0_14default_configENS1_25transform_config_selectorIlLb0EEEZNS1_14transform_implILb0ES3_S5_NS0_18transform_iteratorINS0_17counting_iteratorImlEEZNS1_24adjacent_difference_implIS3_Lb1ELb0EPlSB_ZN2at6native12_GLOBAL__N_124unique_dim_cuda_templateIN3c108BFloat16EEESt5tupleIJNSC_6TensorESJ_SJ_EERKSJ_lbbbEUlllE1_EE10hipError_tPvRmT2_T3_mT4_P12ihipStream_tbEUlmE_lEESB_NS0_8identityIvEEEESO_SR_SS_mST_SV_bEUlT_E_NS1_11comp_targetILNS1_3genE10ELNS1_11target_archE1201ELNS1_3gpuE5ELNS1_3repE0EEENS1_30default_config_static_selectorELNS0_4arch9wavefront6targetE0EEEvT1_.num_vgpr, 0
	.set _ZN7rocprim17ROCPRIM_400000_NS6detail17trampoline_kernelINS0_14default_configENS1_25transform_config_selectorIlLb0EEEZNS1_14transform_implILb0ES3_S5_NS0_18transform_iteratorINS0_17counting_iteratorImlEEZNS1_24adjacent_difference_implIS3_Lb1ELb0EPlSB_ZN2at6native12_GLOBAL__N_124unique_dim_cuda_templateIN3c108BFloat16EEESt5tupleIJNSC_6TensorESJ_SJ_EERKSJ_lbbbEUlllE1_EE10hipError_tPvRmT2_T3_mT4_P12ihipStream_tbEUlmE_lEESB_NS0_8identityIvEEEESO_SR_SS_mST_SV_bEUlT_E_NS1_11comp_targetILNS1_3genE10ELNS1_11target_archE1201ELNS1_3gpuE5ELNS1_3repE0EEENS1_30default_config_static_selectorELNS0_4arch9wavefront6targetE0EEEvT1_.num_agpr, 0
	.set _ZN7rocprim17ROCPRIM_400000_NS6detail17trampoline_kernelINS0_14default_configENS1_25transform_config_selectorIlLb0EEEZNS1_14transform_implILb0ES3_S5_NS0_18transform_iteratorINS0_17counting_iteratorImlEEZNS1_24adjacent_difference_implIS3_Lb1ELb0EPlSB_ZN2at6native12_GLOBAL__N_124unique_dim_cuda_templateIN3c108BFloat16EEESt5tupleIJNSC_6TensorESJ_SJ_EERKSJ_lbbbEUlllE1_EE10hipError_tPvRmT2_T3_mT4_P12ihipStream_tbEUlmE_lEESB_NS0_8identityIvEEEESO_SR_SS_mST_SV_bEUlT_E_NS1_11comp_targetILNS1_3genE10ELNS1_11target_archE1201ELNS1_3gpuE5ELNS1_3repE0EEENS1_30default_config_static_selectorELNS0_4arch9wavefront6targetE0EEEvT1_.numbered_sgpr, 0
	.set _ZN7rocprim17ROCPRIM_400000_NS6detail17trampoline_kernelINS0_14default_configENS1_25transform_config_selectorIlLb0EEEZNS1_14transform_implILb0ES3_S5_NS0_18transform_iteratorINS0_17counting_iteratorImlEEZNS1_24adjacent_difference_implIS3_Lb1ELb0EPlSB_ZN2at6native12_GLOBAL__N_124unique_dim_cuda_templateIN3c108BFloat16EEESt5tupleIJNSC_6TensorESJ_SJ_EERKSJ_lbbbEUlllE1_EE10hipError_tPvRmT2_T3_mT4_P12ihipStream_tbEUlmE_lEESB_NS0_8identityIvEEEESO_SR_SS_mST_SV_bEUlT_E_NS1_11comp_targetILNS1_3genE10ELNS1_11target_archE1201ELNS1_3gpuE5ELNS1_3repE0EEENS1_30default_config_static_selectorELNS0_4arch9wavefront6targetE0EEEvT1_.num_named_barrier, 0
	.set _ZN7rocprim17ROCPRIM_400000_NS6detail17trampoline_kernelINS0_14default_configENS1_25transform_config_selectorIlLb0EEEZNS1_14transform_implILb0ES3_S5_NS0_18transform_iteratorINS0_17counting_iteratorImlEEZNS1_24adjacent_difference_implIS3_Lb1ELb0EPlSB_ZN2at6native12_GLOBAL__N_124unique_dim_cuda_templateIN3c108BFloat16EEESt5tupleIJNSC_6TensorESJ_SJ_EERKSJ_lbbbEUlllE1_EE10hipError_tPvRmT2_T3_mT4_P12ihipStream_tbEUlmE_lEESB_NS0_8identityIvEEEESO_SR_SS_mST_SV_bEUlT_E_NS1_11comp_targetILNS1_3genE10ELNS1_11target_archE1201ELNS1_3gpuE5ELNS1_3repE0EEENS1_30default_config_static_selectorELNS0_4arch9wavefront6targetE0EEEvT1_.private_seg_size, 0
	.set _ZN7rocprim17ROCPRIM_400000_NS6detail17trampoline_kernelINS0_14default_configENS1_25transform_config_selectorIlLb0EEEZNS1_14transform_implILb0ES3_S5_NS0_18transform_iteratorINS0_17counting_iteratorImlEEZNS1_24adjacent_difference_implIS3_Lb1ELb0EPlSB_ZN2at6native12_GLOBAL__N_124unique_dim_cuda_templateIN3c108BFloat16EEESt5tupleIJNSC_6TensorESJ_SJ_EERKSJ_lbbbEUlllE1_EE10hipError_tPvRmT2_T3_mT4_P12ihipStream_tbEUlmE_lEESB_NS0_8identityIvEEEESO_SR_SS_mST_SV_bEUlT_E_NS1_11comp_targetILNS1_3genE10ELNS1_11target_archE1201ELNS1_3gpuE5ELNS1_3repE0EEENS1_30default_config_static_selectorELNS0_4arch9wavefront6targetE0EEEvT1_.uses_vcc, 0
	.set _ZN7rocprim17ROCPRIM_400000_NS6detail17trampoline_kernelINS0_14default_configENS1_25transform_config_selectorIlLb0EEEZNS1_14transform_implILb0ES3_S5_NS0_18transform_iteratorINS0_17counting_iteratorImlEEZNS1_24adjacent_difference_implIS3_Lb1ELb0EPlSB_ZN2at6native12_GLOBAL__N_124unique_dim_cuda_templateIN3c108BFloat16EEESt5tupleIJNSC_6TensorESJ_SJ_EERKSJ_lbbbEUlllE1_EE10hipError_tPvRmT2_T3_mT4_P12ihipStream_tbEUlmE_lEESB_NS0_8identityIvEEEESO_SR_SS_mST_SV_bEUlT_E_NS1_11comp_targetILNS1_3genE10ELNS1_11target_archE1201ELNS1_3gpuE5ELNS1_3repE0EEENS1_30default_config_static_selectorELNS0_4arch9wavefront6targetE0EEEvT1_.uses_flat_scratch, 0
	.set _ZN7rocprim17ROCPRIM_400000_NS6detail17trampoline_kernelINS0_14default_configENS1_25transform_config_selectorIlLb0EEEZNS1_14transform_implILb0ES3_S5_NS0_18transform_iteratorINS0_17counting_iteratorImlEEZNS1_24adjacent_difference_implIS3_Lb1ELb0EPlSB_ZN2at6native12_GLOBAL__N_124unique_dim_cuda_templateIN3c108BFloat16EEESt5tupleIJNSC_6TensorESJ_SJ_EERKSJ_lbbbEUlllE1_EE10hipError_tPvRmT2_T3_mT4_P12ihipStream_tbEUlmE_lEESB_NS0_8identityIvEEEESO_SR_SS_mST_SV_bEUlT_E_NS1_11comp_targetILNS1_3genE10ELNS1_11target_archE1201ELNS1_3gpuE5ELNS1_3repE0EEENS1_30default_config_static_selectorELNS0_4arch9wavefront6targetE0EEEvT1_.has_dyn_sized_stack, 0
	.set _ZN7rocprim17ROCPRIM_400000_NS6detail17trampoline_kernelINS0_14default_configENS1_25transform_config_selectorIlLb0EEEZNS1_14transform_implILb0ES3_S5_NS0_18transform_iteratorINS0_17counting_iteratorImlEEZNS1_24adjacent_difference_implIS3_Lb1ELb0EPlSB_ZN2at6native12_GLOBAL__N_124unique_dim_cuda_templateIN3c108BFloat16EEESt5tupleIJNSC_6TensorESJ_SJ_EERKSJ_lbbbEUlllE1_EE10hipError_tPvRmT2_T3_mT4_P12ihipStream_tbEUlmE_lEESB_NS0_8identityIvEEEESO_SR_SS_mST_SV_bEUlT_E_NS1_11comp_targetILNS1_3genE10ELNS1_11target_archE1201ELNS1_3gpuE5ELNS1_3repE0EEENS1_30default_config_static_selectorELNS0_4arch9wavefront6targetE0EEEvT1_.has_recursion, 0
	.set _ZN7rocprim17ROCPRIM_400000_NS6detail17trampoline_kernelINS0_14default_configENS1_25transform_config_selectorIlLb0EEEZNS1_14transform_implILb0ES3_S5_NS0_18transform_iteratorINS0_17counting_iteratorImlEEZNS1_24adjacent_difference_implIS3_Lb1ELb0EPlSB_ZN2at6native12_GLOBAL__N_124unique_dim_cuda_templateIN3c108BFloat16EEESt5tupleIJNSC_6TensorESJ_SJ_EERKSJ_lbbbEUlllE1_EE10hipError_tPvRmT2_T3_mT4_P12ihipStream_tbEUlmE_lEESB_NS0_8identityIvEEEESO_SR_SS_mST_SV_bEUlT_E_NS1_11comp_targetILNS1_3genE10ELNS1_11target_archE1201ELNS1_3gpuE5ELNS1_3repE0EEENS1_30default_config_static_selectorELNS0_4arch9wavefront6targetE0EEEvT1_.has_indirect_call, 0
	.section	.AMDGPU.csdata,"",@progbits
; Kernel info:
; codeLenInByte = 0
; TotalNumSgprs: 0
; NumVgprs: 0
; ScratchSize: 0
; MemoryBound: 0
; FloatMode: 240
; IeeeMode: 1
; LDSByteSize: 0 bytes/workgroup (compile time only)
; SGPRBlocks: 0
; VGPRBlocks: 0
; NumSGPRsForWavesPerEU: 1
; NumVGPRsForWavesPerEU: 1
; NamedBarCnt: 0
; Occupancy: 16
; WaveLimiterHint : 0
; COMPUTE_PGM_RSRC2:SCRATCH_EN: 0
; COMPUTE_PGM_RSRC2:USER_SGPR: 2
; COMPUTE_PGM_RSRC2:TRAP_HANDLER: 0
; COMPUTE_PGM_RSRC2:TGID_X_EN: 1
; COMPUTE_PGM_RSRC2:TGID_Y_EN: 0
; COMPUTE_PGM_RSRC2:TGID_Z_EN: 0
; COMPUTE_PGM_RSRC2:TIDIG_COMP_CNT: 0
	.section	.text._ZN7rocprim17ROCPRIM_400000_NS6detail17trampoline_kernelINS0_14default_configENS1_25transform_config_selectorIlLb0EEEZNS1_14transform_implILb0ES3_S5_NS0_18transform_iteratorINS0_17counting_iteratorImlEEZNS1_24adjacent_difference_implIS3_Lb1ELb0EPlSB_ZN2at6native12_GLOBAL__N_124unique_dim_cuda_templateIN3c108BFloat16EEESt5tupleIJNSC_6TensorESJ_SJ_EERKSJ_lbbbEUlllE1_EE10hipError_tPvRmT2_T3_mT4_P12ihipStream_tbEUlmE_lEESB_NS0_8identityIvEEEESO_SR_SS_mST_SV_bEUlT_E_NS1_11comp_targetILNS1_3genE10ELNS1_11target_archE1200ELNS1_3gpuE4ELNS1_3repE0EEENS1_30default_config_static_selectorELNS0_4arch9wavefront6targetE0EEEvT1_,"axG",@progbits,_ZN7rocprim17ROCPRIM_400000_NS6detail17trampoline_kernelINS0_14default_configENS1_25transform_config_selectorIlLb0EEEZNS1_14transform_implILb0ES3_S5_NS0_18transform_iteratorINS0_17counting_iteratorImlEEZNS1_24adjacent_difference_implIS3_Lb1ELb0EPlSB_ZN2at6native12_GLOBAL__N_124unique_dim_cuda_templateIN3c108BFloat16EEESt5tupleIJNSC_6TensorESJ_SJ_EERKSJ_lbbbEUlllE1_EE10hipError_tPvRmT2_T3_mT4_P12ihipStream_tbEUlmE_lEESB_NS0_8identityIvEEEESO_SR_SS_mST_SV_bEUlT_E_NS1_11comp_targetILNS1_3genE10ELNS1_11target_archE1200ELNS1_3gpuE4ELNS1_3repE0EEENS1_30default_config_static_selectorELNS0_4arch9wavefront6targetE0EEEvT1_,comdat
	.globl	_ZN7rocprim17ROCPRIM_400000_NS6detail17trampoline_kernelINS0_14default_configENS1_25transform_config_selectorIlLb0EEEZNS1_14transform_implILb0ES3_S5_NS0_18transform_iteratorINS0_17counting_iteratorImlEEZNS1_24adjacent_difference_implIS3_Lb1ELb0EPlSB_ZN2at6native12_GLOBAL__N_124unique_dim_cuda_templateIN3c108BFloat16EEESt5tupleIJNSC_6TensorESJ_SJ_EERKSJ_lbbbEUlllE1_EE10hipError_tPvRmT2_T3_mT4_P12ihipStream_tbEUlmE_lEESB_NS0_8identityIvEEEESO_SR_SS_mST_SV_bEUlT_E_NS1_11comp_targetILNS1_3genE10ELNS1_11target_archE1200ELNS1_3gpuE4ELNS1_3repE0EEENS1_30default_config_static_selectorELNS0_4arch9wavefront6targetE0EEEvT1_ ; -- Begin function _ZN7rocprim17ROCPRIM_400000_NS6detail17trampoline_kernelINS0_14default_configENS1_25transform_config_selectorIlLb0EEEZNS1_14transform_implILb0ES3_S5_NS0_18transform_iteratorINS0_17counting_iteratorImlEEZNS1_24adjacent_difference_implIS3_Lb1ELb0EPlSB_ZN2at6native12_GLOBAL__N_124unique_dim_cuda_templateIN3c108BFloat16EEESt5tupleIJNSC_6TensorESJ_SJ_EERKSJ_lbbbEUlllE1_EE10hipError_tPvRmT2_T3_mT4_P12ihipStream_tbEUlmE_lEESB_NS0_8identityIvEEEESO_SR_SS_mST_SV_bEUlT_E_NS1_11comp_targetILNS1_3genE10ELNS1_11target_archE1200ELNS1_3gpuE4ELNS1_3repE0EEENS1_30default_config_static_selectorELNS0_4arch9wavefront6targetE0EEEvT1_
	.p2align	8
	.type	_ZN7rocprim17ROCPRIM_400000_NS6detail17trampoline_kernelINS0_14default_configENS1_25transform_config_selectorIlLb0EEEZNS1_14transform_implILb0ES3_S5_NS0_18transform_iteratorINS0_17counting_iteratorImlEEZNS1_24adjacent_difference_implIS3_Lb1ELb0EPlSB_ZN2at6native12_GLOBAL__N_124unique_dim_cuda_templateIN3c108BFloat16EEESt5tupleIJNSC_6TensorESJ_SJ_EERKSJ_lbbbEUlllE1_EE10hipError_tPvRmT2_T3_mT4_P12ihipStream_tbEUlmE_lEESB_NS0_8identityIvEEEESO_SR_SS_mST_SV_bEUlT_E_NS1_11comp_targetILNS1_3genE10ELNS1_11target_archE1200ELNS1_3gpuE4ELNS1_3repE0EEENS1_30default_config_static_selectorELNS0_4arch9wavefront6targetE0EEEvT1_,@function
_ZN7rocprim17ROCPRIM_400000_NS6detail17trampoline_kernelINS0_14default_configENS1_25transform_config_selectorIlLb0EEEZNS1_14transform_implILb0ES3_S5_NS0_18transform_iteratorINS0_17counting_iteratorImlEEZNS1_24adjacent_difference_implIS3_Lb1ELb0EPlSB_ZN2at6native12_GLOBAL__N_124unique_dim_cuda_templateIN3c108BFloat16EEESt5tupleIJNSC_6TensorESJ_SJ_EERKSJ_lbbbEUlllE1_EE10hipError_tPvRmT2_T3_mT4_P12ihipStream_tbEUlmE_lEESB_NS0_8identityIvEEEESO_SR_SS_mST_SV_bEUlT_E_NS1_11comp_targetILNS1_3genE10ELNS1_11target_archE1200ELNS1_3gpuE4ELNS1_3repE0EEENS1_30default_config_static_selectorELNS0_4arch9wavefront6targetE0EEEvT1_: ; @_ZN7rocprim17ROCPRIM_400000_NS6detail17trampoline_kernelINS0_14default_configENS1_25transform_config_selectorIlLb0EEEZNS1_14transform_implILb0ES3_S5_NS0_18transform_iteratorINS0_17counting_iteratorImlEEZNS1_24adjacent_difference_implIS3_Lb1ELb0EPlSB_ZN2at6native12_GLOBAL__N_124unique_dim_cuda_templateIN3c108BFloat16EEESt5tupleIJNSC_6TensorESJ_SJ_EERKSJ_lbbbEUlllE1_EE10hipError_tPvRmT2_T3_mT4_P12ihipStream_tbEUlmE_lEESB_NS0_8identityIvEEEESO_SR_SS_mST_SV_bEUlT_E_NS1_11comp_targetILNS1_3genE10ELNS1_11target_archE1200ELNS1_3gpuE4ELNS1_3repE0EEENS1_30default_config_static_selectorELNS0_4arch9wavefront6targetE0EEEvT1_
; %bb.0:
	.section	.rodata,"a",@progbits
	.p2align	6, 0x0
	.amdhsa_kernel _ZN7rocprim17ROCPRIM_400000_NS6detail17trampoline_kernelINS0_14default_configENS1_25transform_config_selectorIlLb0EEEZNS1_14transform_implILb0ES3_S5_NS0_18transform_iteratorINS0_17counting_iteratorImlEEZNS1_24adjacent_difference_implIS3_Lb1ELb0EPlSB_ZN2at6native12_GLOBAL__N_124unique_dim_cuda_templateIN3c108BFloat16EEESt5tupleIJNSC_6TensorESJ_SJ_EERKSJ_lbbbEUlllE1_EE10hipError_tPvRmT2_T3_mT4_P12ihipStream_tbEUlmE_lEESB_NS0_8identityIvEEEESO_SR_SS_mST_SV_bEUlT_E_NS1_11comp_targetILNS1_3genE10ELNS1_11target_archE1200ELNS1_3gpuE4ELNS1_3repE0EEENS1_30default_config_static_selectorELNS0_4arch9wavefront6targetE0EEEvT1_
		.amdhsa_group_segment_fixed_size 0
		.amdhsa_private_segment_fixed_size 0
		.amdhsa_kernarg_size 56
		.amdhsa_user_sgpr_count 2
		.amdhsa_user_sgpr_dispatch_ptr 0
		.amdhsa_user_sgpr_queue_ptr 0
		.amdhsa_user_sgpr_kernarg_segment_ptr 1
		.amdhsa_user_sgpr_dispatch_id 0
		.amdhsa_user_sgpr_kernarg_preload_length 0
		.amdhsa_user_sgpr_kernarg_preload_offset 0
		.amdhsa_user_sgpr_private_segment_size 0
		.amdhsa_wavefront_size32 1
		.amdhsa_uses_dynamic_stack 0
		.amdhsa_enable_private_segment 0
		.amdhsa_system_sgpr_workgroup_id_x 1
		.amdhsa_system_sgpr_workgroup_id_y 0
		.amdhsa_system_sgpr_workgroup_id_z 0
		.amdhsa_system_sgpr_workgroup_info 0
		.amdhsa_system_vgpr_workitem_id 0
		.amdhsa_next_free_vgpr 1
		.amdhsa_next_free_sgpr 1
		.amdhsa_named_barrier_count 0
		.amdhsa_reserve_vcc 0
		.amdhsa_float_round_mode_32 0
		.amdhsa_float_round_mode_16_64 0
		.amdhsa_float_denorm_mode_32 3
		.amdhsa_float_denorm_mode_16_64 3
		.amdhsa_fp16_overflow 0
		.amdhsa_memory_ordered 1
		.amdhsa_forward_progress 1
		.amdhsa_inst_pref_size 0
		.amdhsa_round_robin_scheduling 0
		.amdhsa_exception_fp_ieee_invalid_op 0
		.amdhsa_exception_fp_denorm_src 0
		.amdhsa_exception_fp_ieee_div_zero 0
		.amdhsa_exception_fp_ieee_overflow 0
		.amdhsa_exception_fp_ieee_underflow 0
		.amdhsa_exception_fp_ieee_inexact 0
		.amdhsa_exception_int_div_zero 0
	.end_amdhsa_kernel
	.section	.text._ZN7rocprim17ROCPRIM_400000_NS6detail17trampoline_kernelINS0_14default_configENS1_25transform_config_selectorIlLb0EEEZNS1_14transform_implILb0ES3_S5_NS0_18transform_iteratorINS0_17counting_iteratorImlEEZNS1_24adjacent_difference_implIS3_Lb1ELb0EPlSB_ZN2at6native12_GLOBAL__N_124unique_dim_cuda_templateIN3c108BFloat16EEESt5tupleIJNSC_6TensorESJ_SJ_EERKSJ_lbbbEUlllE1_EE10hipError_tPvRmT2_T3_mT4_P12ihipStream_tbEUlmE_lEESB_NS0_8identityIvEEEESO_SR_SS_mST_SV_bEUlT_E_NS1_11comp_targetILNS1_3genE10ELNS1_11target_archE1200ELNS1_3gpuE4ELNS1_3repE0EEENS1_30default_config_static_selectorELNS0_4arch9wavefront6targetE0EEEvT1_,"axG",@progbits,_ZN7rocprim17ROCPRIM_400000_NS6detail17trampoline_kernelINS0_14default_configENS1_25transform_config_selectorIlLb0EEEZNS1_14transform_implILb0ES3_S5_NS0_18transform_iteratorINS0_17counting_iteratorImlEEZNS1_24adjacent_difference_implIS3_Lb1ELb0EPlSB_ZN2at6native12_GLOBAL__N_124unique_dim_cuda_templateIN3c108BFloat16EEESt5tupleIJNSC_6TensorESJ_SJ_EERKSJ_lbbbEUlllE1_EE10hipError_tPvRmT2_T3_mT4_P12ihipStream_tbEUlmE_lEESB_NS0_8identityIvEEEESO_SR_SS_mST_SV_bEUlT_E_NS1_11comp_targetILNS1_3genE10ELNS1_11target_archE1200ELNS1_3gpuE4ELNS1_3repE0EEENS1_30default_config_static_selectorELNS0_4arch9wavefront6targetE0EEEvT1_,comdat
.Lfunc_end1163:
	.size	_ZN7rocprim17ROCPRIM_400000_NS6detail17trampoline_kernelINS0_14default_configENS1_25transform_config_selectorIlLb0EEEZNS1_14transform_implILb0ES3_S5_NS0_18transform_iteratorINS0_17counting_iteratorImlEEZNS1_24adjacent_difference_implIS3_Lb1ELb0EPlSB_ZN2at6native12_GLOBAL__N_124unique_dim_cuda_templateIN3c108BFloat16EEESt5tupleIJNSC_6TensorESJ_SJ_EERKSJ_lbbbEUlllE1_EE10hipError_tPvRmT2_T3_mT4_P12ihipStream_tbEUlmE_lEESB_NS0_8identityIvEEEESO_SR_SS_mST_SV_bEUlT_E_NS1_11comp_targetILNS1_3genE10ELNS1_11target_archE1200ELNS1_3gpuE4ELNS1_3repE0EEENS1_30default_config_static_selectorELNS0_4arch9wavefront6targetE0EEEvT1_, .Lfunc_end1163-_ZN7rocprim17ROCPRIM_400000_NS6detail17trampoline_kernelINS0_14default_configENS1_25transform_config_selectorIlLb0EEEZNS1_14transform_implILb0ES3_S5_NS0_18transform_iteratorINS0_17counting_iteratorImlEEZNS1_24adjacent_difference_implIS3_Lb1ELb0EPlSB_ZN2at6native12_GLOBAL__N_124unique_dim_cuda_templateIN3c108BFloat16EEESt5tupleIJNSC_6TensorESJ_SJ_EERKSJ_lbbbEUlllE1_EE10hipError_tPvRmT2_T3_mT4_P12ihipStream_tbEUlmE_lEESB_NS0_8identityIvEEEESO_SR_SS_mST_SV_bEUlT_E_NS1_11comp_targetILNS1_3genE10ELNS1_11target_archE1200ELNS1_3gpuE4ELNS1_3repE0EEENS1_30default_config_static_selectorELNS0_4arch9wavefront6targetE0EEEvT1_
                                        ; -- End function
	.set _ZN7rocprim17ROCPRIM_400000_NS6detail17trampoline_kernelINS0_14default_configENS1_25transform_config_selectorIlLb0EEEZNS1_14transform_implILb0ES3_S5_NS0_18transform_iteratorINS0_17counting_iteratorImlEEZNS1_24adjacent_difference_implIS3_Lb1ELb0EPlSB_ZN2at6native12_GLOBAL__N_124unique_dim_cuda_templateIN3c108BFloat16EEESt5tupleIJNSC_6TensorESJ_SJ_EERKSJ_lbbbEUlllE1_EE10hipError_tPvRmT2_T3_mT4_P12ihipStream_tbEUlmE_lEESB_NS0_8identityIvEEEESO_SR_SS_mST_SV_bEUlT_E_NS1_11comp_targetILNS1_3genE10ELNS1_11target_archE1200ELNS1_3gpuE4ELNS1_3repE0EEENS1_30default_config_static_selectorELNS0_4arch9wavefront6targetE0EEEvT1_.num_vgpr, 0
	.set _ZN7rocprim17ROCPRIM_400000_NS6detail17trampoline_kernelINS0_14default_configENS1_25transform_config_selectorIlLb0EEEZNS1_14transform_implILb0ES3_S5_NS0_18transform_iteratorINS0_17counting_iteratorImlEEZNS1_24adjacent_difference_implIS3_Lb1ELb0EPlSB_ZN2at6native12_GLOBAL__N_124unique_dim_cuda_templateIN3c108BFloat16EEESt5tupleIJNSC_6TensorESJ_SJ_EERKSJ_lbbbEUlllE1_EE10hipError_tPvRmT2_T3_mT4_P12ihipStream_tbEUlmE_lEESB_NS0_8identityIvEEEESO_SR_SS_mST_SV_bEUlT_E_NS1_11comp_targetILNS1_3genE10ELNS1_11target_archE1200ELNS1_3gpuE4ELNS1_3repE0EEENS1_30default_config_static_selectorELNS0_4arch9wavefront6targetE0EEEvT1_.num_agpr, 0
	.set _ZN7rocprim17ROCPRIM_400000_NS6detail17trampoline_kernelINS0_14default_configENS1_25transform_config_selectorIlLb0EEEZNS1_14transform_implILb0ES3_S5_NS0_18transform_iteratorINS0_17counting_iteratorImlEEZNS1_24adjacent_difference_implIS3_Lb1ELb0EPlSB_ZN2at6native12_GLOBAL__N_124unique_dim_cuda_templateIN3c108BFloat16EEESt5tupleIJNSC_6TensorESJ_SJ_EERKSJ_lbbbEUlllE1_EE10hipError_tPvRmT2_T3_mT4_P12ihipStream_tbEUlmE_lEESB_NS0_8identityIvEEEESO_SR_SS_mST_SV_bEUlT_E_NS1_11comp_targetILNS1_3genE10ELNS1_11target_archE1200ELNS1_3gpuE4ELNS1_3repE0EEENS1_30default_config_static_selectorELNS0_4arch9wavefront6targetE0EEEvT1_.numbered_sgpr, 0
	.set _ZN7rocprim17ROCPRIM_400000_NS6detail17trampoline_kernelINS0_14default_configENS1_25transform_config_selectorIlLb0EEEZNS1_14transform_implILb0ES3_S5_NS0_18transform_iteratorINS0_17counting_iteratorImlEEZNS1_24adjacent_difference_implIS3_Lb1ELb0EPlSB_ZN2at6native12_GLOBAL__N_124unique_dim_cuda_templateIN3c108BFloat16EEESt5tupleIJNSC_6TensorESJ_SJ_EERKSJ_lbbbEUlllE1_EE10hipError_tPvRmT2_T3_mT4_P12ihipStream_tbEUlmE_lEESB_NS0_8identityIvEEEESO_SR_SS_mST_SV_bEUlT_E_NS1_11comp_targetILNS1_3genE10ELNS1_11target_archE1200ELNS1_3gpuE4ELNS1_3repE0EEENS1_30default_config_static_selectorELNS0_4arch9wavefront6targetE0EEEvT1_.num_named_barrier, 0
	.set _ZN7rocprim17ROCPRIM_400000_NS6detail17trampoline_kernelINS0_14default_configENS1_25transform_config_selectorIlLb0EEEZNS1_14transform_implILb0ES3_S5_NS0_18transform_iteratorINS0_17counting_iteratorImlEEZNS1_24adjacent_difference_implIS3_Lb1ELb0EPlSB_ZN2at6native12_GLOBAL__N_124unique_dim_cuda_templateIN3c108BFloat16EEESt5tupleIJNSC_6TensorESJ_SJ_EERKSJ_lbbbEUlllE1_EE10hipError_tPvRmT2_T3_mT4_P12ihipStream_tbEUlmE_lEESB_NS0_8identityIvEEEESO_SR_SS_mST_SV_bEUlT_E_NS1_11comp_targetILNS1_3genE10ELNS1_11target_archE1200ELNS1_3gpuE4ELNS1_3repE0EEENS1_30default_config_static_selectorELNS0_4arch9wavefront6targetE0EEEvT1_.private_seg_size, 0
	.set _ZN7rocprim17ROCPRIM_400000_NS6detail17trampoline_kernelINS0_14default_configENS1_25transform_config_selectorIlLb0EEEZNS1_14transform_implILb0ES3_S5_NS0_18transform_iteratorINS0_17counting_iteratorImlEEZNS1_24adjacent_difference_implIS3_Lb1ELb0EPlSB_ZN2at6native12_GLOBAL__N_124unique_dim_cuda_templateIN3c108BFloat16EEESt5tupleIJNSC_6TensorESJ_SJ_EERKSJ_lbbbEUlllE1_EE10hipError_tPvRmT2_T3_mT4_P12ihipStream_tbEUlmE_lEESB_NS0_8identityIvEEEESO_SR_SS_mST_SV_bEUlT_E_NS1_11comp_targetILNS1_3genE10ELNS1_11target_archE1200ELNS1_3gpuE4ELNS1_3repE0EEENS1_30default_config_static_selectorELNS0_4arch9wavefront6targetE0EEEvT1_.uses_vcc, 0
	.set _ZN7rocprim17ROCPRIM_400000_NS6detail17trampoline_kernelINS0_14default_configENS1_25transform_config_selectorIlLb0EEEZNS1_14transform_implILb0ES3_S5_NS0_18transform_iteratorINS0_17counting_iteratorImlEEZNS1_24adjacent_difference_implIS3_Lb1ELb0EPlSB_ZN2at6native12_GLOBAL__N_124unique_dim_cuda_templateIN3c108BFloat16EEESt5tupleIJNSC_6TensorESJ_SJ_EERKSJ_lbbbEUlllE1_EE10hipError_tPvRmT2_T3_mT4_P12ihipStream_tbEUlmE_lEESB_NS0_8identityIvEEEESO_SR_SS_mST_SV_bEUlT_E_NS1_11comp_targetILNS1_3genE10ELNS1_11target_archE1200ELNS1_3gpuE4ELNS1_3repE0EEENS1_30default_config_static_selectorELNS0_4arch9wavefront6targetE0EEEvT1_.uses_flat_scratch, 0
	.set _ZN7rocprim17ROCPRIM_400000_NS6detail17trampoline_kernelINS0_14default_configENS1_25transform_config_selectorIlLb0EEEZNS1_14transform_implILb0ES3_S5_NS0_18transform_iteratorINS0_17counting_iteratorImlEEZNS1_24adjacent_difference_implIS3_Lb1ELb0EPlSB_ZN2at6native12_GLOBAL__N_124unique_dim_cuda_templateIN3c108BFloat16EEESt5tupleIJNSC_6TensorESJ_SJ_EERKSJ_lbbbEUlllE1_EE10hipError_tPvRmT2_T3_mT4_P12ihipStream_tbEUlmE_lEESB_NS0_8identityIvEEEESO_SR_SS_mST_SV_bEUlT_E_NS1_11comp_targetILNS1_3genE10ELNS1_11target_archE1200ELNS1_3gpuE4ELNS1_3repE0EEENS1_30default_config_static_selectorELNS0_4arch9wavefront6targetE0EEEvT1_.has_dyn_sized_stack, 0
	.set _ZN7rocprim17ROCPRIM_400000_NS6detail17trampoline_kernelINS0_14default_configENS1_25transform_config_selectorIlLb0EEEZNS1_14transform_implILb0ES3_S5_NS0_18transform_iteratorINS0_17counting_iteratorImlEEZNS1_24adjacent_difference_implIS3_Lb1ELb0EPlSB_ZN2at6native12_GLOBAL__N_124unique_dim_cuda_templateIN3c108BFloat16EEESt5tupleIJNSC_6TensorESJ_SJ_EERKSJ_lbbbEUlllE1_EE10hipError_tPvRmT2_T3_mT4_P12ihipStream_tbEUlmE_lEESB_NS0_8identityIvEEEESO_SR_SS_mST_SV_bEUlT_E_NS1_11comp_targetILNS1_3genE10ELNS1_11target_archE1200ELNS1_3gpuE4ELNS1_3repE0EEENS1_30default_config_static_selectorELNS0_4arch9wavefront6targetE0EEEvT1_.has_recursion, 0
	.set _ZN7rocprim17ROCPRIM_400000_NS6detail17trampoline_kernelINS0_14default_configENS1_25transform_config_selectorIlLb0EEEZNS1_14transform_implILb0ES3_S5_NS0_18transform_iteratorINS0_17counting_iteratorImlEEZNS1_24adjacent_difference_implIS3_Lb1ELb0EPlSB_ZN2at6native12_GLOBAL__N_124unique_dim_cuda_templateIN3c108BFloat16EEESt5tupleIJNSC_6TensorESJ_SJ_EERKSJ_lbbbEUlllE1_EE10hipError_tPvRmT2_T3_mT4_P12ihipStream_tbEUlmE_lEESB_NS0_8identityIvEEEESO_SR_SS_mST_SV_bEUlT_E_NS1_11comp_targetILNS1_3genE10ELNS1_11target_archE1200ELNS1_3gpuE4ELNS1_3repE0EEENS1_30default_config_static_selectorELNS0_4arch9wavefront6targetE0EEEvT1_.has_indirect_call, 0
	.section	.AMDGPU.csdata,"",@progbits
; Kernel info:
; codeLenInByte = 0
; TotalNumSgprs: 0
; NumVgprs: 0
; ScratchSize: 0
; MemoryBound: 0
; FloatMode: 240
; IeeeMode: 1
; LDSByteSize: 0 bytes/workgroup (compile time only)
; SGPRBlocks: 0
; VGPRBlocks: 0
; NumSGPRsForWavesPerEU: 1
; NumVGPRsForWavesPerEU: 1
; NamedBarCnt: 0
; Occupancy: 16
; WaveLimiterHint : 0
; COMPUTE_PGM_RSRC2:SCRATCH_EN: 0
; COMPUTE_PGM_RSRC2:USER_SGPR: 2
; COMPUTE_PGM_RSRC2:TRAP_HANDLER: 0
; COMPUTE_PGM_RSRC2:TGID_X_EN: 1
; COMPUTE_PGM_RSRC2:TGID_Y_EN: 0
; COMPUTE_PGM_RSRC2:TGID_Z_EN: 0
; COMPUTE_PGM_RSRC2:TIDIG_COMP_CNT: 0
	.section	.text._ZN7rocprim17ROCPRIM_400000_NS6detail17trampoline_kernelINS0_14default_configENS1_25transform_config_selectorIlLb0EEEZNS1_14transform_implILb0ES3_S5_NS0_18transform_iteratorINS0_17counting_iteratorImlEEZNS1_24adjacent_difference_implIS3_Lb1ELb0EPlSB_ZN2at6native12_GLOBAL__N_124unique_dim_cuda_templateIN3c108BFloat16EEESt5tupleIJNSC_6TensorESJ_SJ_EERKSJ_lbbbEUlllE1_EE10hipError_tPvRmT2_T3_mT4_P12ihipStream_tbEUlmE_lEESB_NS0_8identityIvEEEESO_SR_SS_mST_SV_bEUlT_E_NS1_11comp_targetILNS1_3genE9ELNS1_11target_archE1100ELNS1_3gpuE3ELNS1_3repE0EEENS1_30default_config_static_selectorELNS0_4arch9wavefront6targetE0EEEvT1_,"axG",@progbits,_ZN7rocprim17ROCPRIM_400000_NS6detail17trampoline_kernelINS0_14default_configENS1_25transform_config_selectorIlLb0EEEZNS1_14transform_implILb0ES3_S5_NS0_18transform_iteratorINS0_17counting_iteratorImlEEZNS1_24adjacent_difference_implIS3_Lb1ELb0EPlSB_ZN2at6native12_GLOBAL__N_124unique_dim_cuda_templateIN3c108BFloat16EEESt5tupleIJNSC_6TensorESJ_SJ_EERKSJ_lbbbEUlllE1_EE10hipError_tPvRmT2_T3_mT4_P12ihipStream_tbEUlmE_lEESB_NS0_8identityIvEEEESO_SR_SS_mST_SV_bEUlT_E_NS1_11comp_targetILNS1_3genE9ELNS1_11target_archE1100ELNS1_3gpuE3ELNS1_3repE0EEENS1_30default_config_static_selectorELNS0_4arch9wavefront6targetE0EEEvT1_,comdat
	.globl	_ZN7rocprim17ROCPRIM_400000_NS6detail17trampoline_kernelINS0_14default_configENS1_25transform_config_selectorIlLb0EEEZNS1_14transform_implILb0ES3_S5_NS0_18transform_iteratorINS0_17counting_iteratorImlEEZNS1_24adjacent_difference_implIS3_Lb1ELb0EPlSB_ZN2at6native12_GLOBAL__N_124unique_dim_cuda_templateIN3c108BFloat16EEESt5tupleIJNSC_6TensorESJ_SJ_EERKSJ_lbbbEUlllE1_EE10hipError_tPvRmT2_T3_mT4_P12ihipStream_tbEUlmE_lEESB_NS0_8identityIvEEEESO_SR_SS_mST_SV_bEUlT_E_NS1_11comp_targetILNS1_3genE9ELNS1_11target_archE1100ELNS1_3gpuE3ELNS1_3repE0EEENS1_30default_config_static_selectorELNS0_4arch9wavefront6targetE0EEEvT1_ ; -- Begin function _ZN7rocprim17ROCPRIM_400000_NS6detail17trampoline_kernelINS0_14default_configENS1_25transform_config_selectorIlLb0EEEZNS1_14transform_implILb0ES3_S5_NS0_18transform_iteratorINS0_17counting_iteratorImlEEZNS1_24adjacent_difference_implIS3_Lb1ELb0EPlSB_ZN2at6native12_GLOBAL__N_124unique_dim_cuda_templateIN3c108BFloat16EEESt5tupleIJNSC_6TensorESJ_SJ_EERKSJ_lbbbEUlllE1_EE10hipError_tPvRmT2_T3_mT4_P12ihipStream_tbEUlmE_lEESB_NS0_8identityIvEEEESO_SR_SS_mST_SV_bEUlT_E_NS1_11comp_targetILNS1_3genE9ELNS1_11target_archE1100ELNS1_3gpuE3ELNS1_3repE0EEENS1_30default_config_static_selectorELNS0_4arch9wavefront6targetE0EEEvT1_
	.p2align	8
	.type	_ZN7rocprim17ROCPRIM_400000_NS6detail17trampoline_kernelINS0_14default_configENS1_25transform_config_selectorIlLb0EEEZNS1_14transform_implILb0ES3_S5_NS0_18transform_iteratorINS0_17counting_iteratorImlEEZNS1_24adjacent_difference_implIS3_Lb1ELb0EPlSB_ZN2at6native12_GLOBAL__N_124unique_dim_cuda_templateIN3c108BFloat16EEESt5tupleIJNSC_6TensorESJ_SJ_EERKSJ_lbbbEUlllE1_EE10hipError_tPvRmT2_T3_mT4_P12ihipStream_tbEUlmE_lEESB_NS0_8identityIvEEEESO_SR_SS_mST_SV_bEUlT_E_NS1_11comp_targetILNS1_3genE9ELNS1_11target_archE1100ELNS1_3gpuE3ELNS1_3repE0EEENS1_30default_config_static_selectorELNS0_4arch9wavefront6targetE0EEEvT1_,@function
_ZN7rocprim17ROCPRIM_400000_NS6detail17trampoline_kernelINS0_14default_configENS1_25transform_config_selectorIlLb0EEEZNS1_14transform_implILb0ES3_S5_NS0_18transform_iteratorINS0_17counting_iteratorImlEEZNS1_24adjacent_difference_implIS3_Lb1ELb0EPlSB_ZN2at6native12_GLOBAL__N_124unique_dim_cuda_templateIN3c108BFloat16EEESt5tupleIJNSC_6TensorESJ_SJ_EERKSJ_lbbbEUlllE1_EE10hipError_tPvRmT2_T3_mT4_P12ihipStream_tbEUlmE_lEESB_NS0_8identityIvEEEESO_SR_SS_mST_SV_bEUlT_E_NS1_11comp_targetILNS1_3genE9ELNS1_11target_archE1100ELNS1_3gpuE3ELNS1_3repE0EEENS1_30default_config_static_selectorELNS0_4arch9wavefront6targetE0EEEvT1_: ; @_ZN7rocprim17ROCPRIM_400000_NS6detail17trampoline_kernelINS0_14default_configENS1_25transform_config_selectorIlLb0EEEZNS1_14transform_implILb0ES3_S5_NS0_18transform_iteratorINS0_17counting_iteratorImlEEZNS1_24adjacent_difference_implIS3_Lb1ELb0EPlSB_ZN2at6native12_GLOBAL__N_124unique_dim_cuda_templateIN3c108BFloat16EEESt5tupleIJNSC_6TensorESJ_SJ_EERKSJ_lbbbEUlllE1_EE10hipError_tPvRmT2_T3_mT4_P12ihipStream_tbEUlmE_lEESB_NS0_8identityIvEEEESO_SR_SS_mST_SV_bEUlT_E_NS1_11comp_targetILNS1_3genE9ELNS1_11target_archE1100ELNS1_3gpuE3ELNS1_3repE0EEENS1_30default_config_static_selectorELNS0_4arch9wavefront6targetE0EEEvT1_
; %bb.0:
	.section	.rodata,"a",@progbits
	.p2align	6, 0x0
	.amdhsa_kernel _ZN7rocprim17ROCPRIM_400000_NS6detail17trampoline_kernelINS0_14default_configENS1_25transform_config_selectorIlLb0EEEZNS1_14transform_implILb0ES3_S5_NS0_18transform_iteratorINS0_17counting_iteratorImlEEZNS1_24adjacent_difference_implIS3_Lb1ELb0EPlSB_ZN2at6native12_GLOBAL__N_124unique_dim_cuda_templateIN3c108BFloat16EEESt5tupleIJNSC_6TensorESJ_SJ_EERKSJ_lbbbEUlllE1_EE10hipError_tPvRmT2_T3_mT4_P12ihipStream_tbEUlmE_lEESB_NS0_8identityIvEEEESO_SR_SS_mST_SV_bEUlT_E_NS1_11comp_targetILNS1_3genE9ELNS1_11target_archE1100ELNS1_3gpuE3ELNS1_3repE0EEENS1_30default_config_static_selectorELNS0_4arch9wavefront6targetE0EEEvT1_
		.amdhsa_group_segment_fixed_size 0
		.amdhsa_private_segment_fixed_size 0
		.amdhsa_kernarg_size 56
		.amdhsa_user_sgpr_count 2
		.amdhsa_user_sgpr_dispatch_ptr 0
		.amdhsa_user_sgpr_queue_ptr 0
		.amdhsa_user_sgpr_kernarg_segment_ptr 1
		.amdhsa_user_sgpr_dispatch_id 0
		.amdhsa_user_sgpr_kernarg_preload_length 0
		.amdhsa_user_sgpr_kernarg_preload_offset 0
		.amdhsa_user_sgpr_private_segment_size 0
		.amdhsa_wavefront_size32 1
		.amdhsa_uses_dynamic_stack 0
		.amdhsa_enable_private_segment 0
		.amdhsa_system_sgpr_workgroup_id_x 1
		.amdhsa_system_sgpr_workgroup_id_y 0
		.amdhsa_system_sgpr_workgroup_id_z 0
		.amdhsa_system_sgpr_workgroup_info 0
		.amdhsa_system_vgpr_workitem_id 0
		.amdhsa_next_free_vgpr 1
		.amdhsa_next_free_sgpr 1
		.amdhsa_named_barrier_count 0
		.amdhsa_reserve_vcc 0
		.amdhsa_float_round_mode_32 0
		.amdhsa_float_round_mode_16_64 0
		.amdhsa_float_denorm_mode_32 3
		.amdhsa_float_denorm_mode_16_64 3
		.amdhsa_fp16_overflow 0
		.amdhsa_memory_ordered 1
		.amdhsa_forward_progress 1
		.amdhsa_inst_pref_size 0
		.amdhsa_round_robin_scheduling 0
		.amdhsa_exception_fp_ieee_invalid_op 0
		.amdhsa_exception_fp_denorm_src 0
		.amdhsa_exception_fp_ieee_div_zero 0
		.amdhsa_exception_fp_ieee_overflow 0
		.amdhsa_exception_fp_ieee_underflow 0
		.amdhsa_exception_fp_ieee_inexact 0
		.amdhsa_exception_int_div_zero 0
	.end_amdhsa_kernel
	.section	.text._ZN7rocprim17ROCPRIM_400000_NS6detail17trampoline_kernelINS0_14default_configENS1_25transform_config_selectorIlLb0EEEZNS1_14transform_implILb0ES3_S5_NS0_18transform_iteratorINS0_17counting_iteratorImlEEZNS1_24adjacent_difference_implIS3_Lb1ELb0EPlSB_ZN2at6native12_GLOBAL__N_124unique_dim_cuda_templateIN3c108BFloat16EEESt5tupleIJNSC_6TensorESJ_SJ_EERKSJ_lbbbEUlllE1_EE10hipError_tPvRmT2_T3_mT4_P12ihipStream_tbEUlmE_lEESB_NS0_8identityIvEEEESO_SR_SS_mST_SV_bEUlT_E_NS1_11comp_targetILNS1_3genE9ELNS1_11target_archE1100ELNS1_3gpuE3ELNS1_3repE0EEENS1_30default_config_static_selectorELNS0_4arch9wavefront6targetE0EEEvT1_,"axG",@progbits,_ZN7rocprim17ROCPRIM_400000_NS6detail17trampoline_kernelINS0_14default_configENS1_25transform_config_selectorIlLb0EEEZNS1_14transform_implILb0ES3_S5_NS0_18transform_iteratorINS0_17counting_iteratorImlEEZNS1_24adjacent_difference_implIS3_Lb1ELb0EPlSB_ZN2at6native12_GLOBAL__N_124unique_dim_cuda_templateIN3c108BFloat16EEESt5tupleIJNSC_6TensorESJ_SJ_EERKSJ_lbbbEUlllE1_EE10hipError_tPvRmT2_T3_mT4_P12ihipStream_tbEUlmE_lEESB_NS0_8identityIvEEEESO_SR_SS_mST_SV_bEUlT_E_NS1_11comp_targetILNS1_3genE9ELNS1_11target_archE1100ELNS1_3gpuE3ELNS1_3repE0EEENS1_30default_config_static_selectorELNS0_4arch9wavefront6targetE0EEEvT1_,comdat
.Lfunc_end1164:
	.size	_ZN7rocprim17ROCPRIM_400000_NS6detail17trampoline_kernelINS0_14default_configENS1_25transform_config_selectorIlLb0EEEZNS1_14transform_implILb0ES3_S5_NS0_18transform_iteratorINS0_17counting_iteratorImlEEZNS1_24adjacent_difference_implIS3_Lb1ELb0EPlSB_ZN2at6native12_GLOBAL__N_124unique_dim_cuda_templateIN3c108BFloat16EEESt5tupleIJNSC_6TensorESJ_SJ_EERKSJ_lbbbEUlllE1_EE10hipError_tPvRmT2_T3_mT4_P12ihipStream_tbEUlmE_lEESB_NS0_8identityIvEEEESO_SR_SS_mST_SV_bEUlT_E_NS1_11comp_targetILNS1_3genE9ELNS1_11target_archE1100ELNS1_3gpuE3ELNS1_3repE0EEENS1_30default_config_static_selectorELNS0_4arch9wavefront6targetE0EEEvT1_, .Lfunc_end1164-_ZN7rocprim17ROCPRIM_400000_NS6detail17trampoline_kernelINS0_14default_configENS1_25transform_config_selectorIlLb0EEEZNS1_14transform_implILb0ES3_S5_NS0_18transform_iteratorINS0_17counting_iteratorImlEEZNS1_24adjacent_difference_implIS3_Lb1ELb0EPlSB_ZN2at6native12_GLOBAL__N_124unique_dim_cuda_templateIN3c108BFloat16EEESt5tupleIJNSC_6TensorESJ_SJ_EERKSJ_lbbbEUlllE1_EE10hipError_tPvRmT2_T3_mT4_P12ihipStream_tbEUlmE_lEESB_NS0_8identityIvEEEESO_SR_SS_mST_SV_bEUlT_E_NS1_11comp_targetILNS1_3genE9ELNS1_11target_archE1100ELNS1_3gpuE3ELNS1_3repE0EEENS1_30default_config_static_selectorELNS0_4arch9wavefront6targetE0EEEvT1_
                                        ; -- End function
	.set _ZN7rocprim17ROCPRIM_400000_NS6detail17trampoline_kernelINS0_14default_configENS1_25transform_config_selectorIlLb0EEEZNS1_14transform_implILb0ES3_S5_NS0_18transform_iteratorINS0_17counting_iteratorImlEEZNS1_24adjacent_difference_implIS3_Lb1ELb0EPlSB_ZN2at6native12_GLOBAL__N_124unique_dim_cuda_templateIN3c108BFloat16EEESt5tupleIJNSC_6TensorESJ_SJ_EERKSJ_lbbbEUlllE1_EE10hipError_tPvRmT2_T3_mT4_P12ihipStream_tbEUlmE_lEESB_NS0_8identityIvEEEESO_SR_SS_mST_SV_bEUlT_E_NS1_11comp_targetILNS1_3genE9ELNS1_11target_archE1100ELNS1_3gpuE3ELNS1_3repE0EEENS1_30default_config_static_selectorELNS0_4arch9wavefront6targetE0EEEvT1_.num_vgpr, 0
	.set _ZN7rocprim17ROCPRIM_400000_NS6detail17trampoline_kernelINS0_14default_configENS1_25transform_config_selectorIlLb0EEEZNS1_14transform_implILb0ES3_S5_NS0_18transform_iteratorINS0_17counting_iteratorImlEEZNS1_24adjacent_difference_implIS3_Lb1ELb0EPlSB_ZN2at6native12_GLOBAL__N_124unique_dim_cuda_templateIN3c108BFloat16EEESt5tupleIJNSC_6TensorESJ_SJ_EERKSJ_lbbbEUlllE1_EE10hipError_tPvRmT2_T3_mT4_P12ihipStream_tbEUlmE_lEESB_NS0_8identityIvEEEESO_SR_SS_mST_SV_bEUlT_E_NS1_11comp_targetILNS1_3genE9ELNS1_11target_archE1100ELNS1_3gpuE3ELNS1_3repE0EEENS1_30default_config_static_selectorELNS0_4arch9wavefront6targetE0EEEvT1_.num_agpr, 0
	.set _ZN7rocprim17ROCPRIM_400000_NS6detail17trampoline_kernelINS0_14default_configENS1_25transform_config_selectorIlLb0EEEZNS1_14transform_implILb0ES3_S5_NS0_18transform_iteratorINS0_17counting_iteratorImlEEZNS1_24adjacent_difference_implIS3_Lb1ELb0EPlSB_ZN2at6native12_GLOBAL__N_124unique_dim_cuda_templateIN3c108BFloat16EEESt5tupleIJNSC_6TensorESJ_SJ_EERKSJ_lbbbEUlllE1_EE10hipError_tPvRmT2_T3_mT4_P12ihipStream_tbEUlmE_lEESB_NS0_8identityIvEEEESO_SR_SS_mST_SV_bEUlT_E_NS1_11comp_targetILNS1_3genE9ELNS1_11target_archE1100ELNS1_3gpuE3ELNS1_3repE0EEENS1_30default_config_static_selectorELNS0_4arch9wavefront6targetE0EEEvT1_.numbered_sgpr, 0
	.set _ZN7rocprim17ROCPRIM_400000_NS6detail17trampoline_kernelINS0_14default_configENS1_25transform_config_selectorIlLb0EEEZNS1_14transform_implILb0ES3_S5_NS0_18transform_iteratorINS0_17counting_iteratorImlEEZNS1_24adjacent_difference_implIS3_Lb1ELb0EPlSB_ZN2at6native12_GLOBAL__N_124unique_dim_cuda_templateIN3c108BFloat16EEESt5tupleIJNSC_6TensorESJ_SJ_EERKSJ_lbbbEUlllE1_EE10hipError_tPvRmT2_T3_mT4_P12ihipStream_tbEUlmE_lEESB_NS0_8identityIvEEEESO_SR_SS_mST_SV_bEUlT_E_NS1_11comp_targetILNS1_3genE9ELNS1_11target_archE1100ELNS1_3gpuE3ELNS1_3repE0EEENS1_30default_config_static_selectorELNS0_4arch9wavefront6targetE0EEEvT1_.num_named_barrier, 0
	.set _ZN7rocprim17ROCPRIM_400000_NS6detail17trampoline_kernelINS0_14default_configENS1_25transform_config_selectorIlLb0EEEZNS1_14transform_implILb0ES3_S5_NS0_18transform_iteratorINS0_17counting_iteratorImlEEZNS1_24adjacent_difference_implIS3_Lb1ELb0EPlSB_ZN2at6native12_GLOBAL__N_124unique_dim_cuda_templateIN3c108BFloat16EEESt5tupleIJNSC_6TensorESJ_SJ_EERKSJ_lbbbEUlllE1_EE10hipError_tPvRmT2_T3_mT4_P12ihipStream_tbEUlmE_lEESB_NS0_8identityIvEEEESO_SR_SS_mST_SV_bEUlT_E_NS1_11comp_targetILNS1_3genE9ELNS1_11target_archE1100ELNS1_3gpuE3ELNS1_3repE0EEENS1_30default_config_static_selectorELNS0_4arch9wavefront6targetE0EEEvT1_.private_seg_size, 0
	.set _ZN7rocprim17ROCPRIM_400000_NS6detail17trampoline_kernelINS0_14default_configENS1_25transform_config_selectorIlLb0EEEZNS1_14transform_implILb0ES3_S5_NS0_18transform_iteratorINS0_17counting_iteratorImlEEZNS1_24adjacent_difference_implIS3_Lb1ELb0EPlSB_ZN2at6native12_GLOBAL__N_124unique_dim_cuda_templateIN3c108BFloat16EEESt5tupleIJNSC_6TensorESJ_SJ_EERKSJ_lbbbEUlllE1_EE10hipError_tPvRmT2_T3_mT4_P12ihipStream_tbEUlmE_lEESB_NS0_8identityIvEEEESO_SR_SS_mST_SV_bEUlT_E_NS1_11comp_targetILNS1_3genE9ELNS1_11target_archE1100ELNS1_3gpuE3ELNS1_3repE0EEENS1_30default_config_static_selectorELNS0_4arch9wavefront6targetE0EEEvT1_.uses_vcc, 0
	.set _ZN7rocprim17ROCPRIM_400000_NS6detail17trampoline_kernelINS0_14default_configENS1_25transform_config_selectorIlLb0EEEZNS1_14transform_implILb0ES3_S5_NS0_18transform_iteratorINS0_17counting_iteratorImlEEZNS1_24adjacent_difference_implIS3_Lb1ELb0EPlSB_ZN2at6native12_GLOBAL__N_124unique_dim_cuda_templateIN3c108BFloat16EEESt5tupleIJNSC_6TensorESJ_SJ_EERKSJ_lbbbEUlllE1_EE10hipError_tPvRmT2_T3_mT4_P12ihipStream_tbEUlmE_lEESB_NS0_8identityIvEEEESO_SR_SS_mST_SV_bEUlT_E_NS1_11comp_targetILNS1_3genE9ELNS1_11target_archE1100ELNS1_3gpuE3ELNS1_3repE0EEENS1_30default_config_static_selectorELNS0_4arch9wavefront6targetE0EEEvT1_.uses_flat_scratch, 0
	.set _ZN7rocprim17ROCPRIM_400000_NS6detail17trampoline_kernelINS0_14default_configENS1_25transform_config_selectorIlLb0EEEZNS1_14transform_implILb0ES3_S5_NS0_18transform_iteratorINS0_17counting_iteratorImlEEZNS1_24adjacent_difference_implIS3_Lb1ELb0EPlSB_ZN2at6native12_GLOBAL__N_124unique_dim_cuda_templateIN3c108BFloat16EEESt5tupleIJNSC_6TensorESJ_SJ_EERKSJ_lbbbEUlllE1_EE10hipError_tPvRmT2_T3_mT4_P12ihipStream_tbEUlmE_lEESB_NS0_8identityIvEEEESO_SR_SS_mST_SV_bEUlT_E_NS1_11comp_targetILNS1_3genE9ELNS1_11target_archE1100ELNS1_3gpuE3ELNS1_3repE0EEENS1_30default_config_static_selectorELNS0_4arch9wavefront6targetE0EEEvT1_.has_dyn_sized_stack, 0
	.set _ZN7rocprim17ROCPRIM_400000_NS6detail17trampoline_kernelINS0_14default_configENS1_25transform_config_selectorIlLb0EEEZNS1_14transform_implILb0ES3_S5_NS0_18transform_iteratorINS0_17counting_iteratorImlEEZNS1_24adjacent_difference_implIS3_Lb1ELb0EPlSB_ZN2at6native12_GLOBAL__N_124unique_dim_cuda_templateIN3c108BFloat16EEESt5tupleIJNSC_6TensorESJ_SJ_EERKSJ_lbbbEUlllE1_EE10hipError_tPvRmT2_T3_mT4_P12ihipStream_tbEUlmE_lEESB_NS0_8identityIvEEEESO_SR_SS_mST_SV_bEUlT_E_NS1_11comp_targetILNS1_3genE9ELNS1_11target_archE1100ELNS1_3gpuE3ELNS1_3repE0EEENS1_30default_config_static_selectorELNS0_4arch9wavefront6targetE0EEEvT1_.has_recursion, 0
	.set _ZN7rocprim17ROCPRIM_400000_NS6detail17trampoline_kernelINS0_14default_configENS1_25transform_config_selectorIlLb0EEEZNS1_14transform_implILb0ES3_S5_NS0_18transform_iteratorINS0_17counting_iteratorImlEEZNS1_24adjacent_difference_implIS3_Lb1ELb0EPlSB_ZN2at6native12_GLOBAL__N_124unique_dim_cuda_templateIN3c108BFloat16EEESt5tupleIJNSC_6TensorESJ_SJ_EERKSJ_lbbbEUlllE1_EE10hipError_tPvRmT2_T3_mT4_P12ihipStream_tbEUlmE_lEESB_NS0_8identityIvEEEESO_SR_SS_mST_SV_bEUlT_E_NS1_11comp_targetILNS1_3genE9ELNS1_11target_archE1100ELNS1_3gpuE3ELNS1_3repE0EEENS1_30default_config_static_selectorELNS0_4arch9wavefront6targetE0EEEvT1_.has_indirect_call, 0
	.section	.AMDGPU.csdata,"",@progbits
; Kernel info:
; codeLenInByte = 0
; TotalNumSgprs: 0
; NumVgprs: 0
; ScratchSize: 0
; MemoryBound: 0
; FloatMode: 240
; IeeeMode: 1
; LDSByteSize: 0 bytes/workgroup (compile time only)
; SGPRBlocks: 0
; VGPRBlocks: 0
; NumSGPRsForWavesPerEU: 1
; NumVGPRsForWavesPerEU: 1
; NamedBarCnt: 0
; Occupancy: 16
; WaveLimiterHint : 0
; COMPUTE_PGM_RSRC2:SCRATCH_EN: 0
; COMPUTE_PGM_RSRC2:USER_SGPR: 2
; COMPUTE_PGM_RSRC2:TRAP_HANDLER: 0
; COMPUTE_PGM_RSRC2:TGID_X_EN: 1
; COMPUTE_PGM_RSRC2:TGID_Y_EN: 0
; COMPUTE_PGM_RSRC2:TGID_Z_EN: 0
; COMPUTE_PGM_RSRC2:TIDIG_COMP_CNT: 0
	.section	.text._ZN7rocprim17ROCPRIM_400000_NS6detail17trampoline_kernelINS0_14default_configENS1_25transform_config_selectorIlLb0EEEZNS1_14transform_implILb0ES3_S5_NS0_18transform_iteratorINS0_17counting_iteratorImlEEZNS1_24adjacent_difference_implIS3_Lb1ELb0EPlSB_ZN2at6native12_GLOBAL__N_124unique_dim_cuda_templateIN3c108BFloat16EEESt5tupleIJNSC_6TensorESJ_SJ_EERKSJ_lbbbEUlllE1_EE10hipError_tPvRmT2_T3_mT4_P12ihipStream_tbEUlmE_lEESB_NS0_8identityIvEEEESO_SR_SS_mST_SV_bEUlT_E_NS1_11comp_targetILNS1_3genE8ELNS1_11target_archE1030ELNS1_3gpuE2ELNS1_3repE0EEENS1_30default_config_static_selectorELNS0_4arch9wavefront6targetE0EEEvT1_,"axG",@progbits,_ZN7rocprim17ROCPRIM_400000_NS6detail17trampoline_kernelINS0_14default_configENS1_25transform_config_selectorIlLb0EEEZNS1_14transform_implILb0ES3_S5_NS0_18transform_iteratorINS0_17counting_iteratorImlEEZNS1_24adjacent_difference_implIS3_Lb1ELb0EPlSB_ZN2at6native12_GLOBAL__N_124unique_dim_cuda_templateIN3c108BFloat16EEESt5tupleIJNSC_6TensorESJ_SJ_EERKSJ_lbbbEUlllE1_EE10hipError_tPvRmT2_T3_mT4_P12ihipStream_tbEUlmE_lEESB_NS0_8identityIvEEEESO_SR_SS_mST_SV_bEUlT_E_NS1_11comp_targetILNS1_3genE8ELNS1_11target_archE1030ELNS1_3gpuE2ELNS1_3repE0EEENS1_30default_config_static_selectorELNS0_4arch9wavefront6targetE0EEEvT1_,comdat
	.globl	_ZN7rocprim17ROCPRIM_400000_NS6detail17trampoline_kernelINS0_14default_configENS1_25transform_config_selectorIlLb0EEEZNS1_14transform_implILb0ES3_S5_NS0_18transform_iteratorINS0_17counting_iteratorImlEEZNS1_24adjacent_difference_implIS3_Lb1ELb0EPlSB_ZN2at6native12_GLOBAL__N_124unique_dim_cuda_templateIN3c108BFloat16EEESt5tupleIJNSC_6TensorESJ_SJ_EERKSJ_lbbbEUlllE1_EE10hipError_tPvRmT2_T3_mT4_P12ihipStream_tbEUlmE_lEESB_NS0_8identityIvEEEESO_SR_SS_mST_SV_bEUlT_E_NS1_11comp_targetILNS1_3genE8ELNS1_11target_archE1030ELNS1_3gpuE2ELNS1_3repE0EEENS1_30default_config_static_selectorELNS0_4arch9wavefront6targetE0EEEvT1_ ; -- Begin function _ZN7rocprim17ROCPRIM_400000_NS6detail17trampoline_kernelINS0_14default_configENS1_25transform_config_selectorIlLb0EEEZNS1_14transform_implILb0ES3_S5_NS0_18transform_iteratorINS0_17counting_iteratorImlEEZNS1_24adjacent_difference_implIS3_Lb1ELb0EPlSB_ZN2at6native12_GLOBAL__N_124unique_dim_cuda_templateIN3c108BFloat16EEESt5tupleIJNSC_6TensorESJ_SJ_EERKSJ_lbbbEUlllE1_EE10hipError_tPvRmT2_T3_mT4_P12ihipStream_tbEUlmE_lEESB_NS0_8identityIvEEEESO_SR_SS_mST_SV_bEUlT_E_NS1_11comp_targetILNS1_3genE8ELNS1_11target_archE1030ELNS1_3gpuE2ELNS1_3repE0EEENS1_30default_config_static_selectorELNS0_4arch9wavefront6targetE0EEEvT1_
	.p2align	8
	.type	_ZN7rocprim17ROCPRIM_400000_NS6detail17trampoline_kernelINS0_14default_configENS1_25transform_config_selectorIlLb0EEEZNS1_14transform_implILb0ES3_S5_NS0_18transform_iteratorINS0_17counting_iteratorImlEEZNS1_24adjacent_difference_implIS3_Lb1ELb0EPlSB_ZN2at6native12_GLOBAL__N_124unique_dim_cuda_templateIN3c108BFloat16EEESt5tupleIJNSC_6TensorESJ_SJ_EERKSJ_lbbbEUlllE1_EE10hipError_tPvRmT2_T3_mT4_P12ihipStream_tbEUlmE_lEESB_NS0_8identityIvEEEESO_SR_SS_mST_SV_bEUlT_E_NS1_11comp_targetILNS1_3genE8ELNS1_11target_archE1030ELNS1_3gpuE2ELNS1_3repE0EEENS1_30default_config_static_selectorELNS0_4arch9wavefront6targetE0EEEvT1_,@function
_ZN7rocprim17ROCPRIM_400000_NS6detail17trampoline_kernelINS0_14default_configENS1_25transform_config_selectorIlLb0EEEZNS1_14transform_implILb0ES3_S5_NS0_18transform_iteratorINS0_17counting_iteratorImlEEZNS1_24adjacent_difference_implIS3_Lb1ELb0EPlSB_ZN2at6native12_GLOBAL__N_124unique_dim_cuda_templateIN3c108BFloat16EEESt5tupleIJNSC_6TensorESJ_SJ_EERKSJ_lbbbEUlllE1_EE10hipError_tPvRmT2_T3_mT4_P12ihipStream_tbEUlmE_lEESB_NS0_8identityIvEEEESO_SR_SS_mST_SV_bEUlT_E_NS1_11comp_targetILNS1_3genE8ELNS1_11target_archE1030ELNS1_3gpuE2ELNS1_3repE0EEENS1_30default_config_static_selectorELNS0_4arch9wavefront6targetE0EEEvT1_: ; @_ZN7rocprim17ROCPRIM_400000_NS6detail17trampoline_kernelINS0_14default_configENS1_25transform_config_selectorIlLb0EEEZNS1_14transform_implILb0ES3_S5_NS0_18transform_iteratorINS0_17counting_iteratorImlEEZNS1_24adjacent_difference_implIS3_Lb1ELb0EPlSB_ZN2at6native12_GLOBAL__N_124unique_dim_cuda_templateIN3c108BFloat16EEESt5tupleIJNSC_6TensorESJ_SJ_EERKSJ_lbbbEUlllE1_EE10hipError_tPvRmT2_T3_mT4_P12ihipStream_tbEUlmE_lEESB_NS0_8identityIvEEEESO_SR_SS_mST_SV_bEUlT_E_NS1_11comp_targetILNS1_3genE8ELNS1_11target_archE1030ELNS1_3gpuE2ELNS1_3repE0EEENS1_30default_config_static_selectorELNS0_4arch9wavefront6targetE0EEEvT1_
; %bb.0:
	.section	.rodata,"a",@progbits
	.p2align	6, 0x0
	.amdhsa_kernel _ZN7rocprim17ROCPRIM_400000_NS6detail17trampoline_kernelINS0_14default_configENS1_25transform_config_selectorIlLb0EEEZNS1_14transform_implILb0ES3_S5_NS0_18transform_iteratorINS0_17counting_iteratorImlEEZNS1_24adjacent_difference_implIS3_Lb1ELb0EPlSB_ZN2at6native12_GLOBAL__N_124unique_dim_cuda_templateIN3c108BFloat16EEESt5tupleIJNSC_6TensorESJ_SJ_EERKSJ_lbbbEUlllE1_EE10hipError_tPvRmT2_T3_mT4_P12ihipStream_tbEUlmE_lEESB_NS0_8identityIvEEEESO_SR_SS_mST_SV_bEUlT_E_NS1_11comp_targetILNS1_3genE8ELNS1_11target_archE1030ELNS1_3gpuE2ELNS1_3repE0EEENS1_30default_config_static_selectorELNS0_4arch9wavefront6targetE0EEEvT1_
		.amdhsa_group_segment_fixed_size 0
		.amdhsa_private_segment_fixed_size 0
		.amdhsa_kernarg_size 56
		.amdhsa_user_sgpr_count 2
		.amdhsa_user_sgpr_dispatch_ptr 0
		.amdhsa_user_sgpr_queue_ptr 0
		.amdhsa_user_sgpr_kernarg_segment_ptr 1
		.amdhsa_user_sgpr_dispatch_id 0
		.amdhsa_user_sgpr_kernarg_preload_length 0
		.amdhsa_user_sgpr_kernarg_preload_offset 0
		.amdhsa_user_sgpr_private_segment_size 0
		.amdhsa_wavefront_size32 1
		.amdhsa_uses_dynamic_stack 0
		.amdhsa_enable_private_segment 0
		.amdhsa_system_sgpr_workgroup_id_x 1
		.amdhsa_system_sgpr_workgroup_id_y 0
		.amdhsa_system_sgpr_workgroup_id_z 0
		.amdhsa_system_sgpr_workgroup_info 0
		.amdhsa_system_vgpr_workitem_id 0
		.amdhsa_next_free_vgpr 1
		.amdhsa_next_free_sgpr 1
		.amdhsa_named_barrier_count 0
		.amdhsa_reserve_vcc 0
		.amdhsa_float_round_mode_32 0
		.amdhsa_float_round_mode_16_64 0
		.amdhsa_float_denorm_mode_32 3
		.amdhsa_float_denorm_mode_16_64 3
		.amdhsa_fp16_overflow 0
		.amdhsa_memory_ordered 1
		.amdhsa_forward_progress 1
		.amdhsa_inst_pref_size 0
		.amdhsa_round_robin_scheduling 0
		.amdhsa_exception_fp_ieee_invalid_op 0
		.amdhsa_exception_fp_denorm_src 0
		.amdhsa_exception_fp_ieee_div_zero 0
		.amdhsa_exception_fp_ieee_overflow 0
		.amdhsa_exception_fp_ieee_underflow 0
		.amdhsa_exception_fp_ieee_inexact 0
		.amdhsa_exception_int_div_zero 0
	.end_amdhsa_kernel
	.section	.text._ZN7rocprim17ROCPRIM_400000_NS6detail17trampoline_kernelINS0_14default_configENS1_25transform_config_selectorIlLb0EEEZNS1_14transform_implILb0ES3_S5_NS0_18transform_iteratorINS0_17counting_iteratorImlEEZNS1_24adjacent_difference_implIS3_Lb1ELb0EPlSB_ZN2at6native12_GLOBAL__N_124unique_dim_cuda_templateIN3c108BFloat16EEESt5tupleIJNSC_6TensorESJ_SJ_EERKSJ_lbbbEUlllE1_EE10hipError_tPvRmT2_T3_mT4_P12ihipStream_tbEUlmE_lEESB_NS0_8identityIvEEEESO_SR_SS_mST_SV_bEUlT_E_NS1_11comp_targetILNS1_3genE8ELNS1_11target_archE1030ELNS1_3gpuE2ELNS1_3repE0EEENS1_30default_config_static_selectorELNS0_4arch9wavefront6targetE0EEEvT1_,"axG",@progbits,_ZN7rocprim17ROCPRIM_400000_NS6detail17trampoline_kernelINS0_14default_configENS1_25transform_config_selectorIlLb0EEEZNS1_14transform_implILb0ES3_S5_NS0_18transform_iteratorINS0_17counting_iteratorImlEEZNS1_24adjacent_difference_implIS3_Lb1ELb0EPlSB_ZN2at6native12_GLOBAL__N_124unique_dim_cuda_templateIN3c108BFloat16EEESt5tupleIJNSC_6TensorESJ_SJ_EERKSJ_lbbbEUlllE1_EE10hipError_tPvRmT2_T3_mT4_P12ihipStream_tbEUlmE_lEESB_NS0_8identityIvEEEESO_SR_SS_mST_SV_bEUlT_E_NS1_11comp_targetILNS1_3genE8ELNS1_11target_archE1030ELNS1_3gpuE2ELNS1_3repE0EEENS1_30default_config_static_selectorELNS0_4arch9wavefront6targetE0EEEvT1_,comdat
.Lfunc_end1165:
	.size	_ZN7rocprim17ROCPRIM_400000_NS6detail17trampoline_kernelINS0_14default_configENS1_25transform_config_selectorIlLb0EEEZNS1_14transform_implILb0ES3_S5_NS0_18transform_iteratorINS0_17counting_iteratorImlEEZNS1_24adjacent_difference_implIS3_Lb1ELb0EPlSB_ZN2at6native12_GLOBAL__N_124unique_dim_cuda_templateIN3c108BFloat16EEESt5tupleIJNSC_6TensorESJ_SJ_EERKSJ_lbbbEUlllE1_EE10hipError_tPvRmT2_T3_mT4_P12ihipStream_tbEUlmE_lEESB_NS0_8identityIvEEEESO_SR_SS_mST_SV_bEUlT_E_NS1_11comp_targetILNS1_3genE8ELNS1_11target_archE1030ELNS1_3gpuE2ELNS1_3repE0EEENS1_30default_config_static_selectorELNS0_4arch9wavefront6targetE0EEEvT1_, .Lfunc_end1165-_ZN7rocprim17ROCPRIM_400000_NS6detail17trampoline_kernelINS0_14default_configENS1_25transform_config_selectorIlLb0EEEZNS1_14transform_implILb0ES3_S5_NS0_18transform_iteratorINS0_17counting_iteratorImlEEZNS1_24adjacent_difference_implIS3_Lb1ELb0EPlSB_ZN2at6native12_GLOBAL__N_124unique_dim_cuda_templateIN3c108BFloat16EEESt5tupleIJNSC_6TensorESJ_SJ_EERKSJ_lbbbEUlllE1_EE10hipError_tPvRmT2_T3_mT4_P12ihipStream_tbEUlmE_lEESB_NS0_8identityIvEEEESO_SR_SS_mST_SV_bEUlT_E_NS1_11comp_targetILNS1_3genE8ELNS1_11target_archE1030ELNS1_3gpuE2ELNS1_3repE0EEENS1_30default_config_static_selectorELNS0_4arch9wavefront6targetE0EEEvT1_
                                        ; -- End function
	.set _ZN7rocprim17ROCPRIM_400000_NS6detail17trampoline_kernelINS0_14default_configENS1_25transform_config_selectorIlLb0EEEZNS1_14transform_implILb0ES3_S5_NS0_18transform_iteratorINS0_17counting_iteratorImlEEZNS1_24adjacent_difference_implIS3_Lb1ELb0EPlSB_ZN2at6native12_GLOBAL__N_124unique_dim_cuda_templateIN3c108BFloat16EEESt5tupleIJNSC_6TensorESJ_SJ_EERKSJ_lbbbEUlllE1_EE10hipError_tPvRmT2_T3_mT4_P12ihipStream_tbEUlmE_lEESB_NS0_8identityIvEEEESO_SR_SS_mST_SV_bEUlT_E_NS1_11comp_targetILNS1_3genE8ELNS1_11target_archE1030ELNS1_3gpuE2ELNS1_3repE0EEENS1_30default_config_static_selectorELNS0_4arch9wavefront6targetE0EEEvT1_.num_vgpr, 0
	.set _ZN7rocprim17ROCPRIM_400000_NS6detail17trampoline_kernelINS0_14default_configENS1_25transform_config_selectorIlLb0EEEZNS1_14transform_implILb0ES3_S5_NS0_18transform_iteratorINS0_17counting_iteratorImlEEZNS1_24adjacent_difference_implIS3_Lb1ELb0EPlSB_ZN2at6native12_GLOBAL__N_124unique_dim_cuda_templateIN3c108BFloat16EEESt5tupleIJNSC_6TensorESJ_SJ_EERKSJ_lbbbEUlllE1_EE10hipError_tPvRmT2_T3_mT4_P12ihipStream_tbEUlmE_lEESB_NS0_8identityIvEEEESO_SR_SS_mST_SV_bEUlT_E_NS1_11comp_targetILNS1_3genE8ELNS1_11target_archE1030ELNS1_3gpuE2ELNS1_3repE0EEENS1_30default_config_static_selectorELNS0_4arch9wavefront6targetE0EEEvT1_.num_agpr, 0
	.set _ZN7rocprim17ROCPRIM_400000_NS6detail17trampoline_kernelINS0_14default_configENS1_25transform_config_selectorIlLb0EEEZNS1_14transform_implILb0ES3_S5_NS0_18transform_iteratorINS0_17counting_iteratorImlEEZNS1_24adjacent_difference_implIS3_Lb1ELb0EPlSB_ZN2at6native12_GLOBAL__N_124unique_dim_cuda_templateIN3c108BFloat16EEESt5tupleIJNSC_6TensorESJ_SJ_EERKSJ_lbbbEUlllE1_EE10hipError_tPvRmT2_T3_mT4_P12ihipStream_tbEUlmE_lEESB_NS0_8identityIvEEEESO_SR_SS_mST_SV_bEUlT_E_NS1_11comp_targetILNS1_3genE8ELNS1_11target_archE1030ELNS1_3gpuE2ELNS1_3repE0EEENS1_30default_config_static_selectorELNS0_4arch9wavefront6targetE0EEEvT1_.numbered_sgpr, 0
	.set _ZN7rocprim17ROCPRIM_400000_NS6detail17trampoline_kernelINS0_14default_configENS1_25transform_config_selectorIlLb0EEEZNS1_14transform_implILb0ES3_S5_NS0_18transform_iteratorINS0_17counting_iteratorImlEEZNS1_24adjacent_difference_implIS3_Lb1ELb0EPlSB_ZN2at6native12_GLOBAL__N_124unique_dim_cuda_templateIN3c108BFloat16EEESt5tupleIJNSC_6TensorESJ_SJ_EERKSJ_lbbbEUlllE1_EE10hipError_tPvRmT2_T3_mT4_P12ihipStream_tbEUlmE_lEESB_NS0_8identityIvEEEESO_SR_SS_mST_SV_bEUlT_E_NS1_11comp_targetILNS1_3genE8ELNS1_11target_archE1030ELNS1_3gpuE2ELNS1_3repE0EEENS1_30default_config_static_selectorELNS0_4arch9wavefront6targetE0EEEvT1_.num_named_barrier, 0
	.set _ZN7rocprim17ROCPRIM_400000_NS6detail17trampoline_kernelINS0_14default_configENS1_25transform_config_selectorIlLb0EEEZNS1_14transform_implILb0ES3_S5_NS0_18transform_iteratorINS0_17counting_iteratorImlEEZNS1_24adjacent_difference_implIS3_Lb1ELb0EPlSB_ZN2at6native12_GLOBAL__N_124unique_dim_cuda_templateIN3c108BFloat16EEESt5tupleIJNSC_6TensorESJ_SJ_EERKSJ_lbbbEUlllE1_EE10hipError_tPvRmT2_T3_mT4_P12ihipStream_tbEUlmE_lEESB_NS0_8identityIvEEEESO_SR_SS_mST_SV_bEUlT_E_NS1_11comp_targetILNS1_3genE8ELNS1_11target_archE1030ELNS1_3gpuE2ELNS1_3repE0EEENS1_30default_config_static_selectorELNS0_4arch9wavefront6targetE0EEEvT1_.private_seg_size, 0
	.set _ZN7rocprim17ROCPRIM_400000_NS6detail17trampoline_kernelINS0_14default_configENS1_25transform_config_selectorIlLb0EEEZNS1_14transform_implILb0ES3_S5_NS0_18transform_iteratorINS0_17counting_iteratorImlEEZNS1_24adjacent_difference_implIS3_Lb1ELb0EPlSB_ZN2at6native12_GLOBAL__N_124unique_dim_cuda_templateIN3c108BFloat16EEESt5tupleIJNSC_6TensorESJ_SJ_EERKSJ_lbbbEUlllE1_EE10hipError_tPvRmT2_T3_mT4_P12ihipStream_tbEUlmE_lEESB_NS0_8identityIvEEEESO_SR_SS_mST_SV_bEUlT_E_NS1_11comp_targetILNS1_3genE8ELNS1_11target_archE1030ELNS1_3gpuE2ELNS1_3repE0EEENS1_30default_config_static_selectorELNS0_4arch9wavefront6targetE0EEEvT1_.uses_vcc, 0
	.set _ZN7rocprim17ROCPRIM_400000_NS6detail17trampoline_kernelINS0_14default_configENS1_25transform_config_selectorIlLb0EEEZNS1_14transform_implILb0ES3_S5_NS0_18transform_iteratorINS0_17counting_iteratorImlEEZNS1_24adjacent_difference_implIS3_Lb1ELb0EPlSB_ZN2at6native12_GLOBAL__N_124unique_dim_cuda_templateIN3c108BFloat16EEESt5tupleIJNSC_6TensorESJ_SJ_EERKSJ_lbbbEUlllE1_EE10hipError_tPvRmT2_T3_mT4_P12ihipStream_tbEUlmE_lEESB_NS0_8identityIvEEEESO_SR_SS_mST_SV_bEUlT_E_NS1_11comp_targetILNS1_3genE8ELNS1_11target_archE1030ELNS1_3gpuE2ELNS1_3repE0EEENS1_30default_config_static_selectorELNS0_4arch9wavefront6targetE0EEEvT1_.uses_flat_scratch, 0
	.set _ZN7rocprim17ROCPRIM_400000_NS6detail17trampoline_kernelINS0_14default_configENS1_25transform_config_selectorIlLb0EEEZNS1_14transform_implILb0ES3_S5_NS0_18transform_iteratorINS0_17counting_iteratorImlEEZNS1_24adjacent_difference_implIS3_Lb1ELb0EPlSB_ZN2at6native12_GLOBAL__N_124unique_dim_cuda_templateIN3c108BFloat16EEESt5tupleIJNSC_6TensorESJ_SJ_EERKSJ_lbbbEUlllE1_EE10hipError_tPvRmT2_T3_mT4_P12ihipStream_tbEUlmE_lEESB_NS0_8identityIvEEEESO_SR_SS_mST_SV_bEUlT_E_NS1_11comp_targetILNS1_3genE8ELNS1_11target_archE1030ELNS1_3gpuE2ELNS1_3repE0EEENS1_30default_config_static_selectorELNS0_4arch9wavefront6targetE0EEEvT1_.has_dyn_sized_stack, 0
	.set _ZN7rocprim17ROCPRIM_400000_NS6detail17trampoline_kernelINS0_14default_configENS1_25transform_config_selectorIlLb0EEEZNS1_14transform_implILb0ES3_S5_NS0_18transform_iteratorINS0_17counting_iteratorImlEEZNS1_24adjacent_difference_implIS3_Lb1ELb0EPlSB_ZN2at6native12_GLOBAL__N_124unique_dim_cuda_templateIN3c108BFloat16EEESt5tupleIJNSC_6TensorESJ_SJ_EERKSJ_lbbbEUlllE1_EE10hipError_tPvRmT2_T3_mT4_P12ihipStream_tbEUlmE_lEESB_NS0_8identityIvEEEESO_SR_SS_mST_SV_bEUlT_E_NS1_11comp_targetILNS1_3genE8ELNS1_11target_archE1030ELNS1_3gpuE2ELNS1_3repE0EEENS1_30default_config_static_selectorELNS0_4arch9wavefront6targetE0EEEvT1_.has_recursion, 0
	.set _ZN7rocprim17ROCPRIM_400000_NS6detail17trampoline_kernelINS0_14default_configENS1_25transform_config_selectorIlLb0EEEZNS1_14transform_implILb0ES3_S5_NS0_18transform_iteratorINS0_17counting_iteratorImlEEZNS1_24adjacent_difference_implIS3_Lb1ELb0EPlSB_ZN2at6native12_GLOBAL__N_124unique_dim_cuda_templateIN3c108BFloat16EEESt5tupleIJNSC_6TensorESJ_SJ_EERKSJ_lbbbEUlllE1_EE10hipError_tPvRmT2_T3_mT4_P12ihipStream_tbEUlmE_lEESB_NS0_8identityIvEEEESO_SR_SS_mST_SV_bEUlT_E_NS1_11comp_targetILNS1_3genE8ELNS1_11target_archE1030ELNS1_3gpuE2ELNS1_3repE0EEENS1_30default_config_static_selectorELNS0_4arch9wavefront6targetE0EEEvT1_.has_indirect_call, 0
	.section	.AMDGPU.csdata,"",@progbits
; Kernel info:
; codeLenInByte = 0
; TotalNumSgprs: 0
; NumVgprs: 0
; ScratchSize: 0
; MemoryBound: 0
; FloatMode: 240
; IeeeMode: 1
; LDSByteSize: 0 bytes/workgroup (compile time only)
; SGPRBlocks: 0
; VGPRBlocks: 0
; NumSGPRsForWavesPerEU: 1
; NumVGPRsForWavesPerEU: 1
; NamedBarCnt: 0
; Occupancy: 16
; WaveLimiterHint : 0
; COMPUTE_PGM_RSRC2:SCRATCH_EN: 0
; COMPUTE_PGM_RSRC2:USER_SGPR: 2
; COMPUTE_PGM_RSRC2:TRAP_HANDLER: 0
; COMPUTE_PGM_RSRC2:TGID_X_EN: 1
; COMPUTE_PGM_RSRC2:TGID_Y_EN: 0
; COMPUTE_PGM_RSRC2:TGID_Z_EN: 0
; COMPUTE_PGM_RSRC2:TIDIG_COMP_CNT: 0
	.section	.text._ZN7rocprim17ROCPRIM_400000_NS6detail17trampoline_kernelINS0_14default_configENS1_35adjacent_difference_config_selectorILb1ElEEZNS1_24adjacent_difference_implIS3_Lb1ELb0EPlS7_ZN2at6native12_GLOBAL__N_124unique_dim_cuda_templateIN3c108BFloat16EEESt5tupleIJNS8_6TensorESF_SF_EERKSF_lbbbEUlllE1_EE10hipError_tPvRmT2_T3_mT4_P12ihipStream_tbEUlT_E_NS1_11comp_targetILNS1_3genE0ELNS1_11target_archE4294967295ELNS1_3gpuE0ELNS1_3repE0EEENS1_30default_config_static_selectorELNS0_4arch9wavefront6targetE0EEEvT1_,"axG",@progbits,_ZN7rocprim17ROCPRIM_400000_NS6detail17trampoline_kernelINS0_14default_configENS1_35adjacent_difference_config_selectorILb1ElEEZNS1_24adjacent_difference_implIS3_Lb1ELb0EPlS7_ZN2at6native12_GLOBAL__N_124unique_dim_cuda_templateIN3c108BFloat16EEESt5tupleIJNS8_6TensorESF_SF_EERKSF_lbbbEUlllE1_EE10hipError_tPvRmT2_T3_mT4_P12ihipStream_tbEUlT_E_NS1_11comp_targetILNS1_3genE0ELNS1_11target_archE4294967295ELNS1_3gpuE0ELNS1_3repE0EEENS1_30default_config_static_selectorELNS0_4arch9wavefront6targetE0EEEvT1_,comdat
	.globl	_ZN7rocprim17ROCPRIM_400000_NS6detail17trampoline_kernelINS0_14default_configENS1_35adjacent_difference_config_selectorILb1ElEEZNS1_24adjacent_difference_implIS3_Lb1ELb0EPlS7_ZN2at6native12_GLOBAL__N_124unique_dim_cuda_templateIN3c108BFloat16EEESt5tupleIJNS8_6TensorESF_SF_EERKSF_lbbbEUlllE1_EE10hipError_tPvRmT2_T3_mT4_P12ihipStream_tbEUlT_E_NS1_11comp_targetILNS1_3genE0ELNS1_11target_archE4294967295ELNS1_3gpuE0ELNS1_3repE0EEENS1_30default_config_static_selectorELNS0_4arch9wavefront6targetE0EEEvT1_ ; -- Begin function _ZN7rocprim17ROCPRIM_400000_NS6detail17trampoline_kernelINS0_14default_configENS1_35adjacent_difference_config_selectorILb1ElEEZNS1_24adjacent_difference_implIS3_Lb1ELb0EPlS7_ZN2at6native12_GLOBAL__N_124unique_dim_cuda_templateIN3c108BFloat16EEESt5tupleIJNS8_6TensorESF_SF_EERKSF_lbbbEUlllE1_EE10hipError_tPvRmT2_T3_mT4_P12ihipStream_tbEUlT_E_NS1_11comp_targetILNS1_3genE0ELNS1_11target_archE4294967295ELNS1_3gpuE0ELNS1_3repE0EEENS1_30default_config_static_selectorELNS0_4arch9wavefront6targetE0EEEvT1_
	.p2align	8
	.type	_ZN7rocprim17ROCPRIM_400000_NS6detail17trampoline_kernelINS0_14default_configENS1_35adjacent_difference_config_selectorILb1ElEEZNS1_24adjacent_difference_implIS3_Lb1ELb0EPlS7_ZN2at6native12_GLOBAL__N_124unique_dim_cuda_templateIN3c108BFloat16EEESt5tupleIJNS8_6TensorESF_SF_EERKSF_lbbbEUlllE1_EE10hipError_tPvRmT2_T3_mT4_P12ihipStream_tbEUlT_E_NS1_11comp_targetILNS1_3genE0ELNS1_11target_archE4294967295ELNS1_3gpuE0ELNS1_3repE0EEENS1_30default_config_static_selectorELNS0_4arch9wavefront6targetE0EEEvT1_,@function
_ZN7rocprim17ROCPRIM_400000_NS6detail17trampoline_kernelINS0_14default_configENS1_35adjacent_difference_config_selectorILb1ElEEZNS1_24adjacent_difference_implIS3_Lb1ELb0EPlS7_ZN2at6native12_GLOBAL__N_124unique_dim_cuda_templateIN3c108BFloat16EEESt5tupleIJNS8_6TensorESF_SF_EERKSF_lbbbEUlllE1_EE10hipError_tPvRmT2_T3_mT4_P12ihipStream_tbEUlT_E_NS1_11comp_targetILNS1_3genE0ELNS1_11target_archE4294967295ELNS1_3gpuE0ELNS1_3repE0EEENS1_30default_config_static_selectorELNS0_4arch9wavefront6targetE0EEEvT1_: ; @_ZN7rocprim17ROCPRIM_400000_NS6detail17trampoline_kernelINS0_14default_configENS1_35adjacent_difference_config_selectorILb1ElEEZNS1_24adjacent_difference_implIS3_Lb1ELb0EPlS7_ZN2at6native12_GLOBAL__N_124unique_dim_cuda_templateIN3c108BFloat16EEESt5tupleIJNS8_6TensorESF_SF_EERKSF_lbbbEUlllE1_EE10hipError_tPvRmT2_T3_mT4_P12ihipStream_tbEUlT_E_NS1_11comp_targetILNS1_3genE0ELNS1_11target_archE4294967295ELNS1_3gpuE0ELNS1_3repE0EEENS1_30default_config_static_selectorELNS0_4arch9wavefront6targetE0EEEvT1_
; %bb.0:
	s_load_b512 s[4:19], s[0:1], 0x0
	s_wait_xcnt 0x0
	s_bfe_u32 s0, ttmp6, 0x4000c
	s_and_b32 s1, ttmp6, 15
	s_add_co_i32 s0, s0, 1
	s_getreg_b32 s2, hwreg(HW_REG_IB_STS2, 6, 4)
	s_mul_i32 s0, ttmp9, s0
	s_mov_b32 s25, 0
	s_add_co_i32 s1, s1, s0
	s_wait_kmcnt 0x0
	s_lshl_b64 s[20:21], s[6:7], 3
	s_cmp_eq_u32 s2, 0
	s_add_nc_u64 s[4:5], s[4:5], s[20:21]
	s_cselect_b32 s3, ttmp9, s1
	s_and_b64 s[6:7], s[10:11], 0x3ff
	s_lshr_b64 s[0:1], s[10:11], 10
	s_lshl_b32 s2, s3, 10
	s_cmp_lg_u64 s[6:7], 0
	s_cselect_b32 s6, -1, 0
	s_delay_alu instid0(SALU_CYCLE_1) | instskip(NEXT) | instid1(VALU_DEP_1)
	v_cndmask_b32_e64 v1, 0, 1, s6
	v_readfirstlane_b32 s24, v1
	s_add_nc_u64 s[0:1], s[0:1], s[24:25]
	s_mov_b32 s24, s3
	s_add_nc_u64 s[6:7], s[0:1], -1
	s_add_nc_u64 s[22:23], s[18:19], s[24:25]
	s_mov_b32 s3, -1
	v_cmp_ge_u64_e64 s11, s[22:23], s[6:7]
	s_and_b32 vcc_lo, exec_lo, s11
	s_cbranch_vccz .LBB1166_6
; %bb.1:
	v_mov_b32_e32 v2, 0
	s_lshl_b32 s3, s6, 10
	s_delay_alu instid0(SALU_CYCLE_1) | instskip(SKIP_1) | instid1(VALU_DEP_1)
	s_sub_co_i32 s28, s10, s3
	s_mov_b32 s3, s25
	v_dual_mov_b32 v3, v2 :: v_dual_mov_b32 v4, v2
	v_mov_b32_e32 v5, v2
	s_lshl_b64 s[26:27], s[2:3], 3
	s_mov_b32 s3, exec_lo
	s_add_nc_u64 s[26:27], s[4:5], s[26:27]
	v_cmpx_gt_u32_e64 s28, v0
	s_cbranch_execz .LBB1166_3
; %bb.2:
	global_load_b64 v[4:5], v0, s[26:27] scale_offset
	v_dual_mov_b32 v6, v2 :: v_dual_mov_b32 v7, v2
	s_wait_loadcnt 0x0
	v_mov_b64_e32 v[2:3], v[4:5]
	s_delay_alu instid0(VALU_DEP_2)
	v_mov_b64_e32 v[4:5], v[6:7]
.LBB1166_3:
	s_or_b32 exec_lo, exec_lo, s3
	v_or_b32_e32 v1, 0x200, v0
	s_mov_b32 s3, exec_lo
	s_delay_alu instid0(VALU_DEP_1)
	v_cmpx_gt_u32_e64 s28, v1
	s_cbranch_execz .LBB1166_5
; %bb.4:
	global_load_b64 v[4:5], v0, s[26:27] offset:4096 scale_offset
.LBB1166_5:
	s_wait_xcnt 0x0
	s_or_b32 exec_lo, exec_lo, s3
	v_dual_lshrrev_b32 v6, 2, v0 :: v_dual_lshrrev_b32 v1, 2, v1
	v_lshlrev_b32_e32 v7, 3, v0
	s_mov_b32 s3, 0
	s_delay_alu instid0(VALU_DEP_2) | instskip(NEXT) | instid1(VALU_DEP_3)
	v_and_b32_e32 v6, 0x78, v6
	v_and_b32_e32 v1, 0xf8, v1
	s_delay_alu instid0(VALU_DEP_1)
	v_dual_add_nc_u32 v6, v6, v7 :: v_dual_add_nc_u32 v1, v1, v7
	ds_store_b64 v6, v[2:3]
	s_wait_loadcnt 0x0
	ds_store_b64 v1, v[4:5] offset:4096
	s_wait_dscnt 0x0
	s_barrier_signal -1
	s_barrier_wait -1
.LBB1166_6:
	s_and_b32 vcc_lo, exec_lo, s3
	s_cbranch_vccz .LBB1166_8
; %bb.7:
	s_mov_b32 s3, 0
	v_or_b32_e32 v1, 0x200, v0
	s_lshl_b64 s[26:27], s[2:3], 3
	v_lshrrev_b32_e32 v6, 2, v0
	s_add_nc_u64 s[4:5], s[4:5], s[26:27]
	v_lshlrev_b32_e32 v7, 3, v0
	s_clause 0x1
	global_load_b64 v[2:3], v0, s[4:5] scale_offset
	global_load_b64 v[4:5], v0, s[4:5] offset:4096 scale_offset
	v_lshrrev_b32_e32 v1, 2, v1
	v_and_b32_e32 v6, 0x78, v6
	s_delay_alu instid0(VALU_DEP_2) | instskip(NEXT) | instid1(VALU_DEP_1)
	v_and_b32_e32 v1, 0xf8, v1
	v_dual_add_nc_u32 v6, v6, v7 :: v_dual_add_nc_u32 v1, v1, v7
	s_wait_loadcnt 0x1
	ds_store_b64 v6, v[2:3]
	s_wait_loadcnt 0x0
	ds_store_b64 v1, v[4:5] offset:4096
	s_wait_dscnt 0x0
	s_barrier_signal -1
	s_barrier_wait -1
.LBB1166_8:
	v_lshrrev_b32_e32 v1, 1, v0
	s_cmp_eq_u64 s[22:23], 0
	s_delay_alu instid0(VALU_DEP_1) | instskip(NEXT) | instid1(VALU_DEP_1)
	v_and_b32_e32 v1, 0xf8, v1
	v_lshl_add_u32 v1, v0, 4, v1
	ds_load_2addr_b64 v[2:5], v1 offset1:1
	s_wait_dscnt 0x0
	s_barrier_signal -1
	s_barrier_wait -1
	s_cbranch_scc1 .LBB1166_15
; %bb.9:
	s_lshl_b64 s[4:5], s[18:19], 3
	s_delay_alu instid0(SALU_CYCLE_1) | instskip(SKIP_3) | instid1(SALU_CYCLE_1)
	s_add_nc_u64 s[4:5], s[16:17], s[4:5]
	s_lshl_b64 s[16:17], s[24:25], 3
	s_cmp_eq_u64 s[22:23], s[6:7]
	s_add_nc_u64 s[4:5], s[4:5], s[16:17]
	s_add_nc_u64 s[4:5], s[4:5], -8
	s_load_b64 s[4:5], s[4:5], 0x0
	s_cbranch_scc1 .LBB1166_16
; %bb.10:
	v_cmp_lt_i64_e64 s7, s[12:13], 1
	v_mov_b64_e32 v[8:9], 0
	v_cmp_gt_i64_e64 s3, s[12:13], 0
	v_lshlrev_b32_e32 v12, 3, v0
	s_and_b32 vcc_lo, exec_lo, s7
	ds_store_b64 v12, v[4:5]
	s_cbranch_vccnz .LBB1166_18
; %bb.11:
	v_mul_u64_e32 v[6:7], s[12:13], v[4:5]
	v_mul_u64_e32 v[8:9], s[12:13], v[2:3]
	s_mov_b32 s7, 0
	s_mov_b64 s[16:17], s[12:13]
                                        ; implicit-def: $sgpr18
	s_delay_alu instid0(VALU_DEP_2) | instskip(NEXT) | instid1(VALU_DEP_2)
	v_lshl_add_u64 v[6:7], v[6:7], 1, s[14:15]
	v_lshl_add_u64 v[10:11], v[8:9], 1, s[14:15]
	s_branch .LBB1166_13
.LBB1166_12:                            ;   in Loop: Header=BB1166_13 Depth=1
	s_or_b32 exec_lo, exec_lo, s19
	s_delay_alu instid0(SALU_CYCLE_1) | instskip(NEXT) | instid1(SALU_CYCLE_1)
	s_and_b32 s19, exec_lo, s18
	s_or_b32 s7, s19, s7
	s_delay_alu instid0(SALU_CYCLE_1)
	s_and_not1_b32 exec_lo, exec_lo, s7
	s_cbranch_execz .LBB1166_17
.LBB1166_13:                            ; =>This Inner Loop Header: Depth=1
	global_load_u16 v8, v[10:11], off
	global_load_u16 v9, v[6:7], off
	s_or_b32 s18, s18, exec_lo
	s_mov_b32 s19, exec_lo
	s_wait_loadcnt 0x0
	v_dual_lshlrev_b32 v13, 16, v8 :: v_dual_lshlrev_b32 v14, 16, v9
	v_mov_b64_e32 v[8:9], 1
	s_delay_alu instid0(VALU_DEP_2)
	v_cmpx_eq_f32_e32 v14, v13
	s_cbranch_execz .LBB1166_12
; %bb.14:                               ;   in Loop: Header=BB1166_13 Depth=1
	s_add_nc_u64 s[16:17], s[16:17], -1
	v_add_nc_u64_e32 v[6:7], 2, v[6:7]
	s_cmp_eq_u64 s[16:17], 0
	v_add_nc_u64_e32 v[10:11], 2, v[10:11]
	v_mov_b64_e32 v[8:9], 0
	s_cselect_b32 s23, -1, 0
	s_and_not1_b32 s18, s18, exec_lo
	s_and_b32 s23, s23, exec_lo
	s_delay_alu instid0(SALU_CYCLE_1)
	s_or_b32 s18, s18, s23
	s_branch .LBB1166_12
.LBB1166_15:
                                        ; implicit-def: $vgpr8_vgpr9
                                        ; implicit-def: $vgpr6_vgpr7
	s_branch .LBB1166_47
.LBB1166_16:
                                        ; implicit-def: $vgpr8_vgpr9
                                        ; implicit-def: $vgpr6_vgpr7
	s_cbranch_execnz .LBB1166_27
	s_branch .LBB1166_46
.LBB1166_17:
	s_or_b32 exec_lo, exec_lo, s7
.LBB1166_18:
	s_wait_kmcnt 0x0
	v_mov_b64_e32 v[6:7], s[4:5]
	s_mov_b32 s7, exec_lo
	s_wait_dscnt 0x0
	s_barrier_signal -1
	s_barrier_wait -1
	v_cmpx_ne_u32_e32 0, v0
; %bb.19:
	v_add_nc_u32_e32 v6, -8, v12
	ds_load_b64 v[6:7], v6
; %bb.20:
	s_or_b32 exec_lo, exec_lo, s7
	s_delay_alu instid0(SALU_CYCLE_1)
	s_and_not1_b32 vcc_lo, exec_lo, s3
	s_cbranch_vccnz .LBB1166_26
; %bb.21:
	v_mul_u64_e32 v[10:11], s[12:13], v[2:3]
	s_wait_dscnt 0x0
	v_mul_u64_e32 v[6:7], s[12:13], v[6:7]
	s_mov_b32 s3, 0
	s_mov_b64 s[16:17], s[12:13]
                                        ; implicit-def: $sgpr7
	s_delay_alu instid0(VALU_DEP_2) | instskip(NEXT) | instid1(VALU_DEP_2)
	v_lshl_add_u64 v[10:11], v[10:11], 1, s[14:15]
	v_lshl_add_u64 v[12:13], v[6:7], 1, s[14:15]
	s_branch .LBB1166_23
.LBB1166_22:                            ;   in Loop: Header=BB1166_23 Depth=1
	s_or_b32 exec_lo, exec_lo, s18
	s_delay_alu instid0(SALU_CYCLE_1) | instskip(NEXT) | instid1(SALU_CYCLE_1)
	s_and_b32 s18, exec_lo, s7
	s_or_b32 s3, s18, s3
	s_delay_alu instid0(SALU_CYCLE_1)
	s_and_not1_b32 exec_lo, exec_lo, s3
	s_cbranch_execz .LBB1166_25
.LBB1166_23:                            ; =>This Inner Loop Header: Depth=1
	global_load_u16 v6, v[12:13], off
	global_load_u16 v7, v[10:11], off
	s_or_b32 s7, s7, exec_lo
	s_mov_b32 s18, exec_lo
	s_wait_loadcnt 0x0
	v_dual_lshlrev_b32 v14, 16, v6 :: v_dual_lshlrev_b32 v15, 16, v7
	v_mov_b64_e32 v[6:7], 1
	s_delay_alu instid0(VALU_DEP_2)
	v_cmpx_eq_f32_e32 v15, v14
	s_cbranch_execz .LBB1166_22
; %bb.24:                               ;   in Loop: Header=BB1166_23 Depth=1
	s_add_nc_u64 s[16:17], s[16:17], -1
	v_add_nc_u64_e32 v[10:11], 2, v[10:11]
	s_cmp_eq_u64 s[16:17], 0
	v_add_nc_u64_e32 v[12:13], 2, v[12:13]
	v_mov_b64_e32 v[6:7], 0
	s_cselect_b32 s19, -1, 0
	s_and_not1_b32 s7, s7, exec_lo
	s_and_b32 s19, s19, exec_lo
	s_delay_alu instid0(SALU_CYCLE_1)
	s_or_b32 s7, s7, s19
	s_branch .LBB1166_22
.LBB1166_25:
	s_or_b32 exec_lo, exec_lo, s3
	s_branch .LBB1166_46
.LBB1166_26:
	s_wait_dscnt 0x0
	v_mov_b64_e32 v[6:7], 0
	s_branch .LBB1166_46
.LBB1166_27:
	v_dual_lshlrev_b32 v12, 1, v0 :: v_dual_lshlrev_b32 v13, 3, v0
	v_mov_b64_e32 v[8:9], v[4:5]
	s_lshl_b32 s3, s22, 10
	s_mov_b32 s7, exec_lo
	s_delay_alu instid0(VALU_DEP_2)
	v_or_b32_e32 v10, 1, v12
	s_sub_co_i32 s3, s10, s3
	v_mov_b64_e32 v[6:7], v[2:3]
	ds_store_b64 v13, v[4:5]
	v_cmpx_gt_u32_e64 s3, v10
	s_cbranch_execz .LBB1166_35
; %bb.28:
	v_cmp_lt_i64_e64 s16, s[12:13], 1
	s_and_b32 vcc_lo, exec_lo, s16
	s_cbranch_vccnz .LBB1166_34
; %bb.29:
	v_mul_u64_e32 v[6:7], s[12:13], v[4:5]
	v_mul_u64_e32 v[8:9], s[12:13], v[2:3]
	s_mov_b32 s18, 0
	s_mov_b64 s[16:17], s[12:13]
                                        ; implicit-def: $sgpr19
	s_delay_alu instid0(VALU_DEP_2) | instskip(NEXT) | instid1(VALU_DEP_2)
	v_lshl_add_u64 v[6:7], v[6:7], 1, s[14:15]
	v_lshl_add_u64 v[10:11], v[8:9], 1, s[14:15]
	s_branch .LBB1166_31
.LBB1166_30:                            ;   in Loop: Header=BB1166_31 Depth=1
	s_or_b32 exec_lo, exec_lo, s22
	s_delay_alu instid0(SALU_CYCLE_1) | instskip(NEXT) | instid1(SALU_CYCLE_1)
	s_and_b32 s22, exec_lo, s19
	s_or_b32 s18, s22, s18
	s_delay_alu instid0(SALU_CYCLE_1)
	s_and_not1_b32 exec_lo, exec_lo, s18
	s_cbranch_execz .LBB1166_33
.LBB1166_31:                            ; =>This Inner Loop Header: Depth=1
	global_load_u16 v8, v[10:11], off
	global_load_u16 v9, v[6:7], off
	s_or_b32 s19, s19, exec_lo
	s_mov_b32 s22, exec_lo
	s_wait_loadcnt 0x0
	v_dual_lshlrev_b32 v14, 16, v8 :: v_dual_lshlrev_b32 v15, 16, v9
	v_mov_b64_e32 v[8:9], 1
	s_delay_alu instid0(VALU_DEP_2)
	v_cmpx_eq_f32_e32 v15, v14
	s_cbranch_execz .LBB1166_30
; %bb.32:                               ;   in Loop: Header=BB1166_31 Depth=1
	s_add_nc_u64 s[16:17], s[16:17], -1
	v_add_nc_u64_e32 v[6:7], 2, v[6:7]
	s_cmp_eq_u64 s[16:17], 0
	v_add_nc_u64_e32 v[10:11], 2, v[10:11]
	s_cselect_b32 s23, -1, 0
	s_and_not1_b32 s19, s19, exec_lo
	s_and_b32 s23, s23, exec_lo
	v_mov_b64_e32 v[8:9], 0
	s_or_b32 s19, s19, s23
	s_branch .LBB1166_30
.LBB1166_33:
	s_or_b32 exec_lo, exec_lo, s18
	s_branch .LBB1166_35
.LBB1166_34:
	v_mov_b64_e32 v[8:9], 0
.LBB1166_35:
	s_or_b32 exec_lo, exec_lo, s7
	s_wait_kmcnt 0x0
	v_mov_b64_e32 v[10:11], s[4:5]
	s_mov_b32 s4, exec_lo
	s_wait_dscnt 0x0
	s_barrier_signal -1
	s_barrier_wait -1
	v_cmpx_ne_u32_e32 0, v0
; %bb.36:
	v_add_nc_u32_e32 v6, -8, v13
	ds_load_b64 v[10:11], v6
; %bb.37:
	s_or_b32 exec_lo, exec_lo, s4
	v_mov_b64_e32 v[6:7], v[2:3]
	v_cmp_gt_u32_e32 vcc_lo, s3, v12
	s_and_saveexec_b32 s3, vcc_lo
	s_cbranch_execz .LBB1166_45
; %bb.38:
	v_cmp_lt_i64_e64 s4, s[12:13], 1
	s_and_b32 vcc_lo, exec_lo, s4
	s_cbranch_vccnz .LBB1166_44
; %bb.39:
	v_mul_u64_e32 v[6:7], s[12:13], v[2:3]
	s_wait_dscnt 0x0
	v_mul_u64_e32 v[12:13], s[12:13], v[10:11]
	s_mov_b32 s7, 0
	s_mov_b64 s[4:5], s[12:13]
                                        ; implicit-def: $sgpr16
	s_delay_alu instid0(VALU_DEP_2) | instskip(NEXT) | instid1(VALU_DEP_2)
	v_lshl_add_u64 v[10:11], v[6:7], 1, s[14:15]
	v_lshl_add_u64 v[12:13], v[12:13], 1, s[14:15]
	s_branch .LBB1166_41
.LBB1166_40:                            ;   in Loop: Header=BB1166_41 Depth=1
	s_or_b32 exec_lo, exec_lo, s17
	s_delay_alu instid0(SALU_CYCLE_1) | instskip(NEXT) | instid1(SALU_CYCLE_1)
	s_and_b32 s17, exec_lo, s16
	s_or_b32 s7, s17, s7
	s_delay_alu instid0(SALU_CYCLE_1)
	s_and_not1_b32 exec_lo, exec_lo, s7
	s_cbranch_execz .LBB1166_43
.LBB1166_41:                            ; =>This Inner Loop Header: Depth=1
	global_load_u16 v6, v[12:13], off
	global_load_u16 v7, v[10:11], off
	s_or_b32 s16, s16, exec_lo
	s_mov_b32 s17, exec_lo
	s_wait_loadcnt 0x0
	v_dual_lshlrev_b32 v14, 16, v6 :: v_dual_lshlrev_b32 v15, 16, v7
	v_mov_b64_e32 v[6:7], 1
	s_delay_alu instid0(VALU_DEP_2)
	v_cmpx_eq_f32_e32 v15, v14
	s_cbranch_execz .LBB1166_40
; %bb.42:                               ;   in Loop: Header=BB1166_41 Depth=1
	s_add_nc_u64 s[4:5], s[4:5], -1
	v_add_nc_u64_e32 v[10:11], 2, v[10:11]
	s_cmp_eq_u64 s[4:5], 0
	v_add_nc_u64_e32 v[12:13], 2, v[12:13]
	v_mov_b64_e32 v[6:7], 0
	s_cselect_b32 s18, -1, 0
	s_and_not1_b32 s16, s16, exec_lo
	s_and_b32 s18, s18, exec_lo
	s_delay_alu instid0(SALU_CYCLE_1)
	s_or_b32 s16, s16, s18
	s_branch .LBB1166_40
.LBB1166_43:
	s_or_b32 exec_lo, exec_lo, s7
	s_branch .LBB1166_45
.LBB1166_44:
	v_mov_b64_e32 v[6:7], 0
.LBB1166_45:
	s_or_b32 exec_lo, exec_lo, s3
.LBB1166_46:
	s_cbranch_execnz .LBB1166_81
.LBB1166_47:
	s_cmp_eq_u64 s[0:1], 1
	s_cbranch_scc1 .LBB1166_53
; %bb.48:
	v_cmp_lt_i64_e64 s0, s[12:13], 1
	v_mov_b64_e32 v[8:9], 0
	s_wait_kmcnt 0x0
	v_cmp_gt_i64_e64 s4, s[12:13], 0
	v_lshlrev_b32_e32 v12, 3, v0
	s_and_b32 vcc_lo, exec_lo, s0
	ds_store_b64 v12, v[4:5]
	s_cbranch_vccnz .LBB1166_55
; %bb.49:
	v_mul_u64_e32 v[6:7], s[12:13], v[4:5]
	v_mul_u64_e32 v[8:9], s[12:13], v[2:3]
	s_mov_b32 s3, 0
	s_mov_b64 s[0:1], s[12:13]
                                        ; implicit-def: $sgpr5
	s_delay_alu instid0(VALU_DEP_2) | instskip(SKIP_1) | instid1(VALU_DEP_2)
	v_lshl_add_u64 v[6:7], v[6:7], 1, s[14:15]
	s_wait_dscnt 0x1
	v_lshl_add_u64 v[10:11], v[8:9], 1, s[14:15]
	s_branch .LBB1166_51
.LBB1166_50:                            ;   in Loop: Header=BB1166_51 Depth=1
	s_or_b32 exec_lo, exec_lo, s7
	s_delay_alu instid0(SALU_CYCLE_1) | instskip(NEXT) | instid1(SALU_CYCLE_1)
	s_and_b32 s7, exec_lo, s5
	s_or_b32 s3, s7, s3
	s_delay_alu instid0(SALU_CYCLE_1)
	s_and_not1_b32 exec_lo, exec_lo, s3
	s_cbranch_execz .LBB1166_54
.LBB1166_51:                            ; =>This Inner Loop Header: Depth=1
	global_load_u16 v8, v[10:11], off
	global_load_u16 v9, v[6:7], off
	s_or_b32 s5, s5, exec_lo
	s_mov_b32 s7, exec_lo
	s_wait_loadcnt 0x0
	v_dual_lshlrev_b32 v13, 16, v8 :: v_dual_lshlrev_b32 v14, 16, v9
	v_mov_b64_e32 v[8:9], 1
	s_delay_alu instid0(VALU_DEP_2)
	v_cmpx_eq_f32_e32 v14, v13
	s_cbranch_execz .LBB1166_50
; %bb.52:                               ;   in Loop: Header=BB1166_51 Depth=1
	s_add_nc_u64 s[0:1], s[0:1], -1
	v_add_nc_u64_e32 v[6:7], 2, v[6:7]
	s_cmp_eq_u64 s[0:1], 0
	v_add_nc_u64_e32 v[10:11], 2, v[10:11]
	v_mov_b64_e32 v[8:9], 0
	s_cselect_b32 s16, -1, 0
	s_and_not1_b32 s5, s5, exec_lo
	s_and_b32 s16, s16, exec_lo
	s_delay_alu instid0(SALU_CYCLE_1)
	s_or_b32 s5, s5, s16
	s_branch .LBB1166_50
.LBB1166_53:
                                        ; implicit-def: $vgpr8_vgpr9
                                        ; implicit-def: $vgpr6_vgpr7
	s_cbranch_execnz .LBB1166_63
	s_branch .LBB1166_81
.LBB1166_54:
	s_or_b32 exec_lo, exec_lo, s3
.LBB1166_55:
	v_mov_b64_e32 v[6:7], v[2:3]
	s_mov_b32 s3, 0
	s_mov_b32 s5, exec_lo
	s_wait_dscnt 0x0
	s_barrier_signal -1
	s_barrier_wait -1
	v_cmpx_ne_u32_e32 0, v0
	s_cbranch_execz .LBB1166_62
; %bb.56:
	s_and_not1_b32 vcc_lo, exec_lo, s4
	s_cbranch_vccnz .LBB1166_70
; %bb.57:
	v_add_nc_u32_e32 v6, -8, v12
	v_mul_u64_e32 v[10:11], s[12:13], v[2:3]
	s_mov_b32 s4, 0
	s_mov_b64 s[0:1], s[12:13]
                                        ; implicit-def: $sgpr7
	ds_load_b64 v[6:7], v6
	s_wait_dscnt 0x0
	v_mul_u64_e32 v[6:7], s[12:13], v[6:7]
	v_lshl_add_u64 v[10:11], v[10:11], 1, s[14:15]
	s_delay_alu instid0(VALU_DEP_2)
	v_lshl_add_u64 v[12:13], v[6:7], 1, s[14:15]
	s_branch .LBB1166_59
.LBB1166_58:                            ;   in Loop: Header=BB1166_59 Depth=1
	s_or_b32 exec_lo, exec_lo, s16
	s_delay_alu instid0(SALU_CYCLE_1) | instskip(NEXT) | instid1(SALU_CYCLE_1)
	s_and_b32 s16, exec_lo, s7
	s_or_b32 s4, s16, s4
	s_delay_alu instid0(SALU_CYCLE_1)
	s_and_not1_b32 exec_lo, exec_lo, s4
	s_cbranch_execz .LBB1166_61
.LBB1166_59:                            ; =>This Inner Loop Header: Depth=1
	global_load_u16 v6, v[12:13], off
	global_load_u16 v7, v[10:11], off
	s_or_b32 s7, s7, exec_lo
	s_mov_b32 s16, exec_lo
	s_wait_loadcnt 0x0
	v_dual_lshlrev_b32 v14, 16, v6 :: v_dual_lshlrev_b32 v15, 16, v7
	v_mov_b64_e32 v[6:7], 1
	s_delay_alu instid0(VALU_DEP_2)
	v_cmpx_eq_f32_e32 v15, v14
	s_cbranch_execz .LBB1166_58
; %bb.60:                               ;   in Loop: Header=BB1166_59 Depth=1
	s_add_nc_u64 s[0:1], s[0:1], -1
	v_add_nc_u64_e32 v[10:11], 2, v[10:11]
	s_cmp_eq_u64 s[0:1], 0
	v_add_nc_u64_e32 v[12:13], 2, v[12:13]
	v_mov_b64_e32 v[6:7], 0
	s_cselect_b32 s17, -1, 0
	s_and_not1_b32 s7, s7, exec_lo
	s_and_b32 s17, s17, exec_lo
	s_delay_alu instid0(SALU_CYCLE_1)
	s_or_b32 s7, s7, s17
	s_branch .LBB1166_58
.LBB1166_61:
	s_or_b32 exec_lo, exec_lo, s4
.LBB1166_62:
	s_delay_alu instid0(SALU_CYCLE_1) | instskip(NEXT) | instid1(SALU_CYCLE_1)
	s_or_b32 exec_lo, exec_lo, s5
	s_and_b32 vcc_lo, exec_lo, s3
	s_cbranch_vccz .LBB1166_81
.LBB1166_63:
	s_wait_dscnt 0x0
	v_dual_lshlrev_b32 v11, 1, v0 :: v_dual_lshlrev_b32 v10, 3, v0
	v_mov_b64_e32 v[8:9], v[4:5]
	s_mov_b32 s3, exec_lo
	v_mov_b64_e32 v[6:7], v[2:3]
	s_delay_alu instid0(VALU_DEP_3)
	v_or_b32_e32 v12, 1, v11
	ds_store_b64 v10, v[4:5]
	v_cmpx_gt_u32_e64 s10, v12
	s_cbranch_execz .LBB1166_72
; %bb.64:
	v_cmp_lt_i64_e64 s0, s[12:13], 1
	s_and_b32 vcc_lo, exec_lo, s0
	s_cbranch_vccnz .LBB1166_71
; %bb.65:
	v_mul_u64_e32 v[4:5], s[12:13], v[4:5]
	v_mul_u64_e32 v[6:7], s[12:13], v[2:3]
	s_wait_kmcnt 0x0
	s_mov_b32 s4, 0
	s_mov_b64 s[0:1], s[12:13]
                                        ; implicit-def: $sgpr5
	s_delay_alu instid0(VALU_DEP_2) | instskip(NEXT) | instid1(VALU_DEP_2)
	v_lshl_add_u64 v[4:5], v[4:5], 1, s[14:15]
	v_lshl_add_u64 v[6:7], v[6:7], 1, s[14:15]
	s_branch .LBB1166_67
.LBB1166_66:                            ;   in Loop: Header=BB1166_67 Depth=1
	s_or_b32 exec_lo, exec_lo, s7
	s_delay_alu instid0(SALU_CYCLE_1) | instskip(NEXT) | instid1(SALU_CYCLE_1)
	s_and_b32 s7, exec_lo, s5
	s_or_b32 s4, s7, s4
	s_delay_alu instid0(SALU_CYCLE_1)
	s_and_not1_b32 exec_lo, exec_lo, s4
	s_cbranch_execz .LBB1166_69
.LBB1166_67:                            ; =>This Inner Loop Header: Depth=1
	global_load_u16 v8, v[6:7], off
	global_load_u16 v9, v[4:5], off
	s_or_b32 s5, s5, exec_lo
	s_mov_b32 s7, exec_lo
	s_wait_loadcnt 0x0
	v_dual_lshlrev_b32 v12, 16, v8 :: v_dual_lshlrev_b32 v13, 16, v9
	v_mov_b64_e32 v[8:9], 1
	s_delay_alu instid0(VALU_DEP_2)
	v_cmpx_eq_f32_e32 v13, v12
	s_cbranch_execz .LBB1166_66
; %bb.68:                               ;   in Loop: Header=BB1166_67 Depth=1
	s_add_nc_u64 s[0:1], s[0:1], -1
	v_add_nc_u64_e32 v[4:5], 2, v[4:5]
	s_cmp_eq_u64 s[0:1], 0
	v_add_nc_u64_e32 v[6:7], 2, v[6:7]
	s_cselect_b32 s16, -1, 0
	s_and_not1_b32 s5, s5, exec_lo
	s_and_b32 s16, s16, exec_lo
	v_mov_b64_e32 v[8:9], 0
	s_or_b32 s5, s5, s16
	s_branch .LBB1166_66
.LBB1166_69:
	s_or_b32 exec_lo, exec_lo, s4
	s_branch .LBB1166_72
.LBB1166_70:
	v_mov_b64_e32 v[6:7], 0
	s_or_b32 exec_lo, exec_lo, s5
	s_delay_alu instid0(SALU_CYCLE_1)
	s_and_b32 vcc_lo, exec_lo, s3
	s_cbranch_vccnz .LBB1166_63
	s_branch .LBB1166_81
.LBB1166_71:
	v_mov_b64_e32 v[8:9], 0
.LBB1166_72:
	s_or_b32 exec_lo, exec_lo, s3
	v_cmp_ne_u32_e32 vcc_lo, 0, v0
	v_cmp_gt_u32_e64 s0, s10, v11
	s_wait_dscnt 0x0
	s_barrier_signal -1
	s_barrier_wait -1
	s_and_b32 s1, vcc_lo, s0
	s_delay_alu instid0(SALU_CYCLE_1)
	s_and_saveexec_b32 s0, s1
	s_cbranch_execz .LBB1166_80
; %bb.73:
	v_cmp_lt_i64_e64 s1, s[12:13], 1
	s_and_b32 vcc_lo, exec_lo, s1
	s_cbranch_vccnz .LBB1166_79
; %bb.74:
	v_add_nc_u32_e32 v4, -8, v10
	v_mul_u64_e32 v[2:3], s[12:13], v[2:3]
	s_mov_b32 s1, 0
                                        ; implicit-def: $sgpr3
	ds_load_b64 v[4:5], v4
	s_wait_dscnt 0x0
	v_mul_u64_e32 v[6:7], s[12:13], v[4:5]
	v_lshl_add_u64 v[4:5], v[2:3], 1, s[14:15]
	s_delay_alu instid0(VALU_DEP_2)
	v_lshl_add_u64 v[6:7], v[6:7], 1, s[14:15]
	s_branch .LBB1166_76
.LBB1166_75:                            ;   in Loop: Header=BB1166_76 Depth=1
	s_or_b32 exec_lo, exec_lo, s4
	s_delay_alu instid0(SALU_CYCLE_1) | instskip(NEXT) | instid1(SALU_CYCLE_1)
	s_and_b32 s4, exec_lo, s3
	s_or_b32 s1, s4, s1
	s_delay_alu instid0(SALU_CYCLE_1)
	s_and_not1_b32 exec_lo, exec_lo, s1
	s_cbranch_execz .LBB1166_78
.LBB1166_76:                            ; =>This Inner Loop Header: Depth=1
	global_load_u16 v2, v[6:7], off
	global_load_u16 v3, v[4:5], off
	s_or_b32 s3, s3, exec_lo
	s_wait_kmcnt 0x0
	s_mov_b32 s4, exec_lo
	s_wait_loadcnt 0x0
	v_dual_lshlrev_b32 v10, 16, v2 :: v_dual_lshlrev_b32 v11, 16, v3
	v_mov_b64_e32 v[2:3], 1
	s_delay_alu instid0(VALU_DEP_2)
	v_cmpx_eq_f32_e32 v11, v10
	s_cbranch_execz .LBB1166_75
; %bb.77:                               ;   in Loop: Header=BB1166_76 Depth=1
	s_add_nc_u64 s[12:13], s[12:13], -1
	v_add_nc_u64_e32 v[4:5], 2, v[4:5]
	s_cmp_eq_u64 s[12:13], 0
	v_add_nc_u64_e32 v[6:7], 2, v[6:7]
	v_mov_b64_e32 v[2:3], 0
	s_cselect_b32 s5, -1, 0
	s_and_not1_b32 s3, s3, exec_lo
	s_and_b32 s5, s5, exec_lo
	s_delay_alu instid0(SALU_CYCLE_1)
	s_or_b32 s3, s3, s5
	s_branch .LBB1166_75
.LBB1166_78:
	s_or_b32 exec_lo, exec_lo, s1
	s_branch .LBB1166_80
.LBB1166_79:
	v_mov_b64_e32 v[2:3], 0
.LBB1166_80:
	s_or_b32 exec_lo, exec_lo, s0
	s_delay_alu instid0(VALU_DEP_1)
	v_mov_b64_e32 v[6:7], v[2:3]
.LBB1166_81:
	s_add_nc_u64 s[0:1], s[8:9], s[20:21]
	s_and_b32 vcc_lo, exec_lo, s11
	s_wait_dscnt 0x0
	s_barrier_signal -1
	s_barrier_wait -1
	s_cbranch_vccz .LBB1166_85
; %bb.82:
	v_or_b32_e32 v10, 0x200, v0
	ds_store_2addr_b64 v1, v[6:7], v[8:9] offset1:1
	s_wait_dscnt 0x0
	s_barrier_signal -1
	s_barrier_wait -1
	v_dual_lshrrev_b32 v2, 2, v10 :: v_dual_lshlrev_b32 v4, 3, v0
	s_mov_b32 s3, 0
	s_lshl_b32 s8, s6, 10
	s_delay_alu instid0(VALU_DEP_1)
	v_and_b32_e32 v2, 0xf8, v2
	s_wait_kmcnt 0x0
	s_lshl_b64 s[4:5], s[2:3], 3
	v_mov_b32_e32 v5, 0
	s_add_nc_u64 s[6:7], s[0:1], s[4:5]
	s_sub_co_i32 s4, s10, s8
	v_add_nc_u32_e32 v2, v2, v4
	s_mov_b32 s5, exec_lo
	v_add_nc_u64_e32 v[4:5], s[6:7], v[4:5]
	ds_load_b64 v[2:3], v2 offset:4096
	v_cmpx_gt_u32_e64 s4, v0
	s_cbranch_execz .LBB1166_84
; %bb.83:
	v_lshrrev_b32_e32 v11, 2, v0
	s_delay_alu instid0(VALU_DEP_1) | instskip(NEXT) | instid1(VALU_DEP_1)
	v_and_b32_e32 v11, 0x78, v11
	v_lshl_add_u32 v11, v0, 3, v11
	ds_load_b64 v[12:13], v11
	s_wait_dscnt 0x0
	global_store_b64 v[4:5], v[12:13], off
.LBB1166_84:
	s_wait_xcnt 0x0
	s_or_b32 exec_lo, exec_lo, s5
	v_cmp_gt_u32_e64 s4, s4, v10
	s_and_b32 vcc_lo, exec_lo, s3
	s_cbranch_vccnz .LBB1166_86
	s_branch .LBB1166_87
.LBB1166_85:
	s_wait_kmcnt 0x0
	s_mov_b32 s4, 0
                                        ; implicit-def: $vgpr2_vgpr3
                                        ; implicit-def: $vgpr4_vgpr5
	s_cbranch_execz .LBB1166_87
.LBB1166_86:
	s_wait_dscnt 0x0
	v_or_b32_e32 v2, 0x200, v0
	v_dual_lshrrev_b32 v3, 2, v0 :: v_dual_lshlrev_b32 v4, 3, v0
	v_mov_b32_e32 v5, 0
	ds_store_2addr_b64 v1, v[6:7], v[8:9] offset1:1
	v_lshrrev_b32_e32 v2, 2, v2
	v_and_b32_e32 v3, 0x78, v3
	s_wait_storecnt_dscnt 0x0
	s_barrier_signal -1
	s_barrier_wait -1
	v_and_b32_e32 v2, 0xf8, v2
	v_add_nc_u32_e32 v1, v3, v4
	s_mov_b32 s3, 0
	s_or_b32 s4, s4, exec_lo
	s_delay_alu instid0(VALU_DEP_2) | instskip(SKIP_4) | instid1(SALU_CYCLE_1)
	v_add_nc_u32_e32 v2, v2, v4
	s_lshl_b64 s[2:3], s[2:3], 3
	ds_load_b64 v[6:7], v1
	ds_load_b64 v[2:3], v2 offset:4096
	s_add_nc_u64 s[0:1], s[0:1], s[2:3]
	v_add_nc_u64_e32 v[4:5], s[0:1], v[4:5]
	s_wait_dscnt 0x1
	global_store_b64 v0, v[6:7], s[0:1] scale_offset
.LBB1166_87:
	s_wait_xcnt 0x0
	s_and_saveexec_b32 s0, s4
	s_cbranch_execnz .LBB1166_89
; %bb.88:
	s_endpgm
.LBB1166_89:
	s_wait_dscnt 0x0
	global_store_b64 v[4:5], v[2:3], off offset:4096
	s_endpgm
	.section	.rodata,"a",@progbits
	.p2align	6, 0x0
	.amdhsa_kernel _ZN7rocprim17ROCPRIM_400000_NS6detail17trampoline_kernelINS0_14default_configENS1_35adjacent_difference_config_selectorILb1ElEEZNS1_24adjacent_difference_implIS3_Lb1ELb0EPlS7_ZN2at6native12_GLOBAL__N_124unique_dim_cuda_templateIN3c108BFloat16EEESt5tupleIJNS8_6TensorESF_SF_EERKSF_lbbbEUlllE1_EE10hipError_tPvRmT2_T3_mT4_P12ihipStream_tbEUlT_E_NS1_11comp_targetILNS1_3genE0ELNS1_11target_archE4294967295ELNS1_3gpuE0ELNS1_3repE0EEENS1_30default_config_static_selectorELNS0_4arch9wavefront6targetE0EEEvT1_
		.amdhsa_group_segment_fixed_size 8448
		.amdhsa_private_segment_fixed_size 0
		.amdhsa_kernarg_size 64
		.amdhsa_user_sgpr_count 2
		.amdhsa_user_sgpr_dispatch_ptr 0
		.amdhsa_user_sgpr_queue_ptr 0
		.amdhsa_user_sgpr_kernarg_segment_ptr 1
		.amdhsa_user_sgpr_dispatch_id 0
		.amdhsa_user_sgpr_kernarg_preload_length 0
		.amdhsa_user_sgpr_kernarg_preload_offset 0
		.amdhsa_user_sgpr_private_segment_size 0
		.amdhsa_wavefront_size32 1
		.amdhsa_uses_dynamic_stack 0
		.amdhsa_enable_private_segment 0
		.amdhsa_system_sgpr_workgroup_id_x 1
		.amdhsa_system_sgpr_workgroup_id_y 0
		.amdhsa_system_sgpr_workgroup_id_z 0
		.amdhsa_system_sgpr_workgroup_info 0
		.amdhsa_system_vgpr_workitem_id 0
		.amdhsa_next_free_vgpr 16
		.amdhsa_next_free_sgpr 29
		.amdhsa_named_barrier_count 0
		.amdhsa_reserve_vcc 1
		.amdhsa_float_round_mode_32 0
		.amdhsa_float_round_mode_16_64 0
		.amdhsa_float_denorm_mode_32 3
		.amdhsa_float_denorm_mode_16_64 3
		.amdhsa_fp16_overflow 0
		.amdhsa_memory_ordered 1
		.amdhsa_forward_progress 1
		.amdhsa_inst_pref_size 25
		.amdhsa_round_robin_scheduling 0
		.amdhsa_exception_fp_ieee_invalid_op 0
		.amdhsa_exception_fp_denorm_src 0
		.amdhsa_exception_fp_ieee_div_zero 0
		.amdhsa_exception_fp_ieee_overflow 0
		.amdhsa_exception_fp_ieee_underflow 0
		.amdhsa_exception_fp_ieee_inexact 0
		.amdhsa_exception_int_div_zero 0
	.end_amdhsa_kernel
	.section	.text._ZN7rocprim17ROCPRIM_400000_NS6detail17trampoline_kernelINS0_14default_configENS1_35adjacent_difference_config_selectorILb1ElEEZNS1_24adjacent_difference_implIS3_Lb1ELb0EPlS7_ZN2at6native12_GLOBAL__N_124unique_dim_cuda_templateIN3c108BFloat16EEESt5tupleIJNS8_6TensorESF_SF_EERKSF_lbbbEUlllE1_EE10hipError_tPvRmT2_T3_mT4_P12ihipStream_tbEUlT_E_NS1_11comp_targetILNS1_3genE0ELNS1_11target_archE4294967295ELNS1_3gpuE0ELNS1_3repE0EEENS1_30default_config_static_selectorELNS0_4arch9wavefront6targetE0EEEvT1_,"axG",@progbits,_ZN7rocprim17ROCPRIM_400000_NS6detail17trampoline_kernelINS0_14default_configENS1_35adjacent_difference_config_selectorILb1ElEEZNS1_24adjacent_difference_implIS3_Lb1ELb0EPlS7_ZN2at6native12_GLOBAL__N_124unique_dim_cuda_templateIN3c108BFloat16EEESt5tupleIJNS8_6TensorESF_SF_EERKSF_lbbbEUlllE1_EE10hipError_tPvRmT2_T3_mT4_P12ihipStream_tbEUlT_E_NS1_11comp_targetILNS1_3genE0ELNS1_11target_archE4294967295ELNS1_3gpuE0ELNS1_3repE0EEENS1_30default_config_static_selectorELNS0_4arch9wavefront6targetE0EEEvT1_,comdat
.Lfunc_end1166:
	.size	_ZN7rocprim17ROCPRIM_400000_NS6detail17trampoline_kernelINS0_14default_configENS1_35adjacent_difference_config_selectorILb1ElEEZNS1_24adjacent_difference_implIS3_Lb1ELb0EPlS7_ZN2at6native12_GLOBAL__N_124unique_dim_cuda_templateIN3c108BFloat16EEESt5tupleIJNS8_6TensorESF_SF_EERKSF_lbbbEUlllE1_EE10hipError_tPvRmT2_T3_mT4_P12ihipStream_tbEUlT_E_NS1_11comp_targetILNS1_3genE0ELNS1_11target_archE4294967295ELNS1_3gpuE0ELNS1_3repE0EEENS1_30default_config_static_selectorELNS0_4arch9wavefront6targetE0EEEvT1_, .Lfunc_end1166-_ZN7rocprim17ROCPRIM_400000_NS6detail17trampoline_kernelINS0_14default_configENS1_35adjacent_difference_config_selectorILb1ElEEZNS1_24adjacent_difference_implIS3_Lb1ELb0EPlS7_ZN2at6native12_GLOBAL__N_124unique_dim_cuda_templateIN3c108BFloat16EEESt5tupleIJNS8_6TensorESF_SF_EERKSF_lbbbEUlllE1_EE10hipError_tPvRmT2_T3_mT4_P12ihipStream_tbEUlT_E_NS1_11comp_targetILNS1_3genE0ELNS1_11target_archE4294967295ELNS1_3gpuE0ELNS1_3repE0EEENS1_30default_config_static_selectorELNS0_4arch9wavefront6targetE0EEEvT1_
                                        ; -- End function
	.set _ZN7rocprim17ROCPRIM_400000_NS6detail17trampoline_kernelINS0_14default_configENS1_35adjacent_difference_config_selectorILb1ElEEZNS1_24adjacent_difference_implIS3_Lb1ELb0EPlS7_ZN2at6native12_GLOBAL__N_124unique_dim_cuda_templateIN3c108BFloat16EEESt5tupleIJNS8_6TensorESF_SF_EERKSF_lbbbEUlllE1_EE10hipError_tPvRmT2_T3_mT4_P12ihipStream_tbEUlT_E_NS1_11comp_targetILNS1_3genE0ELNS1_11target_archE4294967295ELNS1_3gpuE0ELNS1_3repE0EEENS1_30default_config_static_selectorELNS0_4arch9wavefront6targetE0EEEvT1_.num_vgpr, 16
	.set _ZN7rocprim17ROCPRIM_400000_NS6detail17trampoline_kernelINS0_14default_configENS1_35adjacent_difference_config_selectorILb1ElEEZNS1_24adjacent_difference_implIS3_Lb1ELb0EPlS7_ZN2at6native12_GLOBAL__N_124unique_dim_cuda_templateIN3c108BFloat16EEESt5tupleIJNS8_6TensorESF_SF_EERKSF_lbbbEUlllE1_EE10hipError_tPvRmT2_T3_mT4_P12ihipStream_tbEUlT_E_NS1_11comp_targetILNS1_3genE0ELNS1_11target_archE4294967295ELNS1_3gpuE0ELNS1_3repE0EEENS1_30default_config_static_selectorELNS0_4arch9wavefront6targetE0EEEvT1_.num_agpr, 0
	.set _ZN7rocprim17ROCPRIM_400000_NS6detail17trampoline_kernelINS0_14default_configENS1_35adjacent_difference_config_selectorILb1ElEEZNS1_24adjacent_difference_implIS3_Lb1ELb0EPlS7_ZN2at6native12_GLOBAL__N_124unique_dim_cuda_templateIN3c108BFloat16EEESt5tupleIJNS8_6TensorESF_SF_EERKSF_lbbbEUlllE1_EE10hipError_tPvRmT2_T3_mT4_P12ihipStream_tbEUlT_E_NS1_11comp_targetILNS1_3genE0ELNS1_11target_archE4294967295ELNS1_3gpuE0ELNS1_3repE0EEENS1_30default_config_static_selectorELNS0_4arch9wavefront6targetE0EEEvT1_.numbered_sgpr, 29
	.set _ZN7rocprim17ROCPRIM_400000_NS6detail17trampoline_kernelINS0_14default_configENS1_35adjacent_difference_config_selectorILb1ElEEZNS1_24adjacent_difference_implIS3_Lb1ELb0EPlS7_ZN2at6native12_GLOBAL__N_124unique_dim_cuda_templateIN3c108BFloat16EEESt5tupleIJNS8_6TensorESF_SF_EERKSF_lbbbEUlllE1_EE10hipError_tPvRmT2_T3_mT4_P12ihipStream_tbEUlT_E_NS1_11comp_targetILNS1_3genE0ELNS1_11target_archE4294967295ELNS1_3gpuE0ELNS1_3repE0EEENS1_30default_config_static_selectorELNS0_4arch9wavefront6targetE0EEEvT1_.num_named_barrier, 0
	.set _ZN7rocprim17ROCPRIM_400000_NS6detail17trampoline_kernelINS0_14default_configENS1_35adjacent_difference_config_selectorILb1ElEEZNS1_24adjacent_difference_implIS3_Lb1ELb0EPlS7_ZN2at6native12_GLOBAL__N_124unique_dim_cuda_templateIN3c108BFloat16EEESt5tupleIJNS8_6TensorESF_SF_EERKSF_lbbbEUlllE1_EE10hipError_tPvRmT2_T3_mT4_P12ihipStream_tbEUlT_E_NS1_11comp_targetILNS1_3genE0ELNS1_11target_archE4294967295ELNS1_3gpuE0ELNS1_3repE0EEENS1_30default_config_static_selectorELNS0_4arch9wavefront6targetE0EEEvT1_.private_seg_size, 0
	.set _ZN7rocprim17ROCPRIM_400000_NS6detail17trampoline_kernelINS0_14default_configENS1_35adjacent_difference_config_selectorILb1ElEEZNS1_24adjacent_difference_implIS3_Lb1ELb0EPlS7_ZN2at6native12_GLOBAL__N_124unique_dim_cuda_templateIN3c108BFloat16EEESt5tupleIJNS8_6TensorESF_SF_EERKSF_lbbbEUlllE1_EE10hipError_tPvRmT2_T3_mT4_P12ihipStream_tbEUlT_E_NS1_11comp_targetILNS1_3genE0ELNS1_11target_archE4294967295ELNS1_3gpuE0ELNS1_3repE0EEENS1_30default_config_static_selectorELNS0_4arch9wavefront6targetE0EEEvT1_.uses_vcc, 1
	.set _ZN7rocprim17ROCPRIM_400000_NS6detail17trampoline_kernelINS0_14default_configENS1_35adjacent_difference_config_selectorILb1ElEEZNS1_24adjacent_difference_implIS3_Lb1ELb0EPlS7_ZN2at6native12_GLOBAL__N_124unique_dim_cuda_templateIN3c108BFloat16EEESt5tupleIJNS8_6TensorESF_SF_EERKSF_lbbbEUlllE1_EE10hipError_tPvRmT2_T3_mT4_P12ihipStream_tbEUlT_E_NS1_11comp_targetILNS1_3genE0ELNS1_11target_archE4294967295ELNS1_3gpuE0ELNS1_3repE0EEENS1_30default_config_static_selectorELNS0_4arch9wavefront6targetE0EEEvT1_.uses_flat_scratch, 0
	.set _ZN7rocprim17ROCPRIM_400000_NS6detail17trampoline_kernelINS0_14default_configENS1_35adjacent_difference_config_selectorILb1ElEEZNS1_24adjacent_difference_implIS3_Lb1ELb0EPlS7_ZN2at6native12_GLOBAL__N_124unique_dim_cuda_templateIN3c108BFloat16EEESt5tupleIJNS8_6TensorESF_SF_EERKSF_lbbbEUlllE1_EE10hipError_tPvRmT2_T3_mT4_P12ihipStream_tbEUlT_E_NS1_11comp_targetILNS1_3genE0ELNS1_11target_archE4294967295ELNS1_3gpuE0ELNS1_3repE0EEENS1_30default_config_static_selectorELNS0_4arch9wavefront6targetE0EEEvT1_.has_dyn_sized_stack, 0
	.set _ZN7rocprim17ROCPRIM_400000_NS6detail17trampoline_kernelINS0_14default_configENS1_35adjacent_difference_config_selectorILb1ElEEZNS1_24adjacent_difference_implIS3_Lb1ELb0EPlS7_ZN2at6native12_GLOBAL__N_124unique_dim_cuda_templateIN3c108BFloat16EEESt5tupleIJNS8_6TensorESF_SF_EERKSF_lbbbEUlllE1_EE10hipError_tPvRmT2_T3_mT4_P12ihipStream_tbEUlT_E_NS1_11comp_targetILNS1_3genE0ELNS1_11target_archE4294967295ELNS1_3gpuE0ELNS1_3repE0EEENS1_30default_config_static_selectorELNS0_4arch9wavefront6targetE0EEEvT1_.has_recursion, 0
	.set _ZN7rocprim17ROCPRIM_400000_NS6detail17trampoline_kernelINS0_14default_configENS1_35adjacent_difference_config_selectorILb1ElEEZNS1_24adjacent_difference_implIS3_Lb1ELb0EPlS7_ZN2at6native12_GLOBAL__N_124unique_dim_cuda_templateIN3c108BFloat16EEESt5tupleIJNS8_6TensorESF_SF_EERKSF_lbbbEUlllE1_EE10hipError_tPvRmT2_T3_mT4_P12ihipStream_tbEUlT_E_NS1_11comp_targetILNS1_3genE0ELNS1_11target_archE4294967295ELNS1_3gpuE0ELNS1_3repE0EEENS1_30default_config_static_selectorELNS0_4arch9wavefront6targetE0EEEvT1_.has_indirect_call, 0
	.section	.AMDGPU.csdata,"",@progbits
; Kernel info:
; codeLenInByte = 3076
; TotalNumSgprs: 31
; NumVgprs: 16
; ScratchSize: 0
; MemoryBound: 0
; FloatMode: 240
; IeeeMode: 1
; LDSByteSize: 8448 bytes/workgroup (compile time only)
; SGPRBlocks: 0
; VGPRBlocks: 0
; NumSGPRsForWavesPerEU: 31
; NumVGPRsForWavesPerEU: 16
; NamedBarCnt: 0
; Occupancy: 16
; WaveLimiterHint : 1
; COMPUTE_PGM_RSRC2:SCRATCH_EN: 0
; COMPUTE_PGM_RSRC2:USER_SGPR: 2
; COMPUTE_PGM_RSRC2:TRAP_HANDLER: 0
; COMPUTE_PGM_RSRC2:TGID_X_EN: 1
; COMPUTE_PGM_RSRC2:TGID_Y_EN: 0
; COMPUTE_PGM_RSRC2:TGID_Z_EN: 0
; COMPUTE_PGM_RSRC2:TIDIG_COMP_CNT: 0
	.section	.text._ZN7rocprim17ROCPRIM_400000_NS6detail17trampoline_kernelINS0_14default_configENS1_35adjacent_difference_config_selectorILb1ElEEZNS1_24adjacent_difference_implIS3_Lb1ELb0EPlS7_ZN2at6native12_GLOBAL__N_124unique_dim_cuda_templateIN3c108BFloat16EEESt5tupleIJNS8_6TensorESF_SF_EERKSF_lbbbEUlllE1_EE10hipError_tPvRmT2_T3_mT4_P12ihipStream_tbEUlT_E_NS1_11comp_targetILNS1_3genE10ELNS1_11target_archE1201ELNS1_3gpuE5ELNS1_3repE0EEENS1_30default_config_static_selectorELNS0_4arch9wavefront6targetE0EEEvT1_,"axG",@progbits,_ZN7rocprim17ROCPRIM_400000_NS6detail17trampoline_kernelINS0_14default_configENS1_35adjacent_difference_config_selectorILb1ElEEZNS1_24adjacent_difference_implIS3_Lb1ELb0EPlS7_ZN2at6native12_GLOBAL__N_124unique_dim_cuda_templateIN3c108BFloat16EEESt5tupleIJNS8_6TensorESF_SF_EERKSF_lbbbEUlllE1_EE10hipError_tPvRmT2_T3_mT4_P12ihipStream_tbEUlT_E_NS1_11comp_targetILNS1_3genE10ELNS1_11target_archE1201ELNS1_3gpuE5ELNS1_3repE0EEENS1_30default_config_static_selectorELNS0_4arch9wavefront6targetE0EEEvT1_,comdat
	.globl	_ZN7rocprim17ROCPRIM_400000_NS6detail17trampoline_kernelINS0_14default_configENS1_35adjacent_difference_config_selectorILb1ElEEZNS1_24adjacent_difference_implIS3_Lb1ELb0EPlS7_ZN2at6native12_GLOBAL__N_124unique_dim_cuda_templateIN3c108BFloat16EEESt5tupleIJNS8_6TensorESF_SF_EERKSF_lbbbEUlllE1_EE10hipError_tPvRmT2_T3_mT4_P12ihipStream_tbEUlT_E_NS1_11comp_targetILNS1_3genE10ELNS1_11target_archE1201ELNS1_3gpuE5ELNS1_3repE0EEENS1_30default_config_static_selectorELNS0_4arch9wavefront6targetE0EEEvT1_ ; -- Begin function _ZN7rocprim17ROCPRIM_400000_NS6detail17trampoline_kernelINS0_14default_configENS1_35adjacent_difference_config_selectorILb1ElEEZNS1_24adjacent_difference_implIS3_Lb1ELb0EPlS7_ZN2at6native12_GLOBAL__N_124unique_dim_cuda_templateIN3c108BFloat16EEESt5tupleIJNS8_6TensorESF_SF_EERKSF_lbbbEUlllE1_EE10hipError_tPvRmT2_T3_mT4_P12ihipStream_tbEUlT_E_NS1_11comp_targetILNS1_3genE10ELNS1_11target_archE1201ELNS1_3gpuE5ELNS1_3repE0EEENS1_30default_config_static_selectorELNS0_4arch9wavefront6targetE0EEEvT1_
	.p2align	8
	.type	_ZN7rocprim17ROCPRIM_400000_NS6detail17trampoline_kernelINS0_14default_configENS1_35adjacent_difference_config_selectorILb1ElEEZNS1_24adjacent_difference_implIS3_Lb1ELb0EPlS7_ZN2at6native12_GLOBAL__N_124unique_dim_cuda_templateIN3c108BFloat16EEESt5tupleIJNS8_6TensorESF_SF_EERKSF_lbbbEUlllE1_EE10hipError_tPvRmT2_T3_mT4_P12ihipStream_tbEUlT_E_NS1_11comp_targetILNS1_3genE10ELNS1_11target_archE1201ELNS1_3gpuE5ELNS1_3repE0EEENS1_30default_config_static_selectorELNS0_4arch9wavefront6targetE0EEEvT1_,@function
_ZN7rocprim17ROCPRIM_400000_NS6detail17trampoline_kernelINS0_14default_configENS1_35adjacent_difference_config_selectorILb1ElEEZNS1_24adjacent_difference_implIS3_Lb1ELb0EPlS7_ZN2at6native12_GLOBAL__N_124unique_dim_cuda_templateIN3c108BFloat16EEESt5tupleIJNS8_6TensorESF_SF_EERKSF_lbbbEUlllE1_EE10hipError_tPvRmT2_T3_mT4_P12ihipStream_tbEUlT_E_NS1_11comp_targetILNS1_3genE10ELNS1_11target_archE1201ELNS1_3gpuE5ELNS1_3repE0EEENS1_30default_config_static_selectorELNS0_4arch9wavefront6targetE0EEEvT1_: ; @_ZN7rocprim17ROCPRIM_400000_NS6detail17trampoline_kernelINS0_14default_configENS1_35adjacent_difference_config_selectorILb1ElEEZNS1_24adjacent_difference_implIS3_Lb1ELb0EPlS7_ZN2at6native12_GLOBAL__N_124unique_dim_cuda_templateIN3c108BFloat16EEESt5tupleIJNS8_6TensorESF_SF_EERKSF_lbbbEUlllE1_EE10hipError_tPvRmT2_T3_mT4_P12ihipStream_tbEUlT_E_NS1_11comp_targetILNS1_3genE10ELNS1_11target_archE1201ELNS1_3gpuE5ELNS1_3repE0EEENS1_30default_config_static_selectorELNS0_4arch9wavefront6targetE0EEEvT1_
; %bb.0:
	.section	.rodata,"a",@progbits
	.p2align	6, 0x0
	.amdhsa_kernel _ZN7rocprim17ROCPRIM_400000_NS6detail17trampoline_kernelINS0_14default_configENS1_35adjacent_difference_config_selectorILb1ElEEZNS1_24adjacent_difference_implIS3_Lb1ELb0EPlS7_ZN2at6native12_GLOBAL__N_124unique_dim_cuda_templateIN3c108BFloat16EEESt5tupleIJNS8_6TensorESF_SF_EERKSF_lbbbEUlllE1_EE10hipError_tPvRmT2_T3_mT4_P12ihipStream_tbEUlT_E_NS1_11comp_targetILNS1_3genE10ELNS1_11target_archE1201ELNS1_3gpuE5ELNS1_3repE0EEENS1_30default_config_static_selectorELNS0_4arch9wavefront6targetE0EEEvT1_
		.amdhsa_group_segment_fixed_size 0
		.amdhsa_private_segment_fixed_size 0
		.amdhsa_kernarg_size 64
		.amdhsa_user_sgpr_count 2
		.amdhsa_user_sgpr_dispatch_ptr 0
		.amdhsa_user_sgpr_queue_ptr 0
		.amdhsa_user_sgpr_kernarg_segment_ptr 1
		.amdhsa_user_sgpr_dispatch_id 0
		.amdhsa_user_sgpr_kernarg_preload_length 0
		.amdhsa_user_sgpr_kernarg_preload_offset 0
		.amdhsa_user_sgpr_private_segment_size 0
		.amdhsa_wavefront_size32 1
		.amdhsa_uses_dynamic_stack 0
		.amdhsa_enable_private_segment 0
		.amdhsa_system_sgpr_workgroup_id_x 1
		.amdhsa_system_sgpr_workgroup_id_y 0
		.amdhsa_system_sgpr_workgroup_id_z 0
		.amdhsa_system_sgpr_workgroup_info 0
		.amdhsa_system_vgpr_workitem_id 0
		.amdhsa_next_free_vgpr 1
		.amdhsa_next_free_sgpr 1
		.amdhsa_named_barrier_count 0
		.amdhsa_reserve_vcc 0
		.amdhsa_float_round_mode_32 0
		.amdhsa_float_round_mode_16_64 0
		.amdhsa_float_denorm_mode_32 3
		.amdhsa_float_denorm_mode_16_64 3
		.amdhsa_fp16_overflow 0
		.amdhsa_memory_ordered 1
		.amdhsa_forward_progress 1
		.amdhsa_inst_pref_size 0
		.amdhsa_round_robin_scheduling 0
		.amdhsa_exception_fp_ieee_invalid_op 0
		.amdhsa_exception_fp_denorm_src 0
		.amdhsa_exception_fp_ieee_div_zero 0
		.amdhsa_exception_fp_ieee_overflow 0
		.amdhsa_exception_fp_ieee_underflow 0
		.amdhsa_exception_fp_ieee_inexact 0
		.amdhsa_exception_int_div_zero 0
	.end_amdhsa_kernel
	.section	.text._ZN7rocprim17ROCPRIM_400000_NS6detail17trampoline_kernelINS0_14default_configENS1_35adjacent_difference_config_selectorILb1ElEEZNS1_24adjacent_difference_implIS3_Lb1ELb0EPlS7_ZN2at6native12_GLOBAL__N_124unique_dim_cuda_templateIN3c108BFloat16EEESt5tupleIJNS8_6TensorESF_SF_EERKSF_lbbbEUlllE1_EE10hipError_tPvRmT2_T3_mT4_P12ihipStream_tbEUlT_E_NS1_11comp_targetILNS1_3genE10ELNS1_11target_archE1201ELNS1_3gpuE5ELNS1_3repE0EEENS1_30default_config_static_selectorELNS0_4arch9wavefront6targetE0EEEvT1_,"axG",@progbits,_ZN7rocprim17ROCPRIM_400000_NS6detail17trampoline_kernelINS0_14default_configENS1_35adjacent_difference_config_selectorILb1ElEEZNS1_24adjacent_difference_implIS3_Lb1ELb0EPlS7_ZN2at6native12_GLOBAL__N_124unique_dim_cuda_templateIN3c108BFloat16EEESt5tupleIJNS8_6TensorESF_SF_EERKSF_lbbbEUlllE1_EE10hipError_tPvRmT2_T3_mT4_P12ihipStream_tbEUlT_E_NS1_11comp_targetILNS1_3genE10ELNS1_11target_archE1201ELNS1_3gpuE5ELNS1_3repE0EEENS1_30default_config_static_selectorELNS0_4arch9wavefront6targetE0EEEvT1_,comdat
.Lfunc_end1167:
	.size	_ZN7rocprim17ROCPRIM_400000_NS6detail17trampoline_kernelINS0_14default_configENS1_35adjacent_difference_config_selectorILb1ElEEZNS1_24adjacent_difference_implIS3_Lb1ELb0EPlS7_ZN2at6native12_GLOBAL__N_124unique_dim_cuda_templateIN3c108BFloat16EEESt5tupleIJNS8_6TensorESF_SF_EERKSF_lbbbEUlllE1_EE10hipError_tPvRmT2_T3_mT4_P12ihipStream_tbEUlT_E_NS1_11comp_targetILNS1_3genE10ELNS1_11target_archE1201ELNS1_3gpuE5ELNS1_3repE0EEENS1_30default_config_static_selectorELNS0_4arch9wavefront6targetE0EEEvT1_, .Lfunc_end1167-_ZN7rocprim17ROCPRIM_400000_NS6detail17trampoline_kernelINS0_14default_configENS1_35adjacent_difference_config_selectorILb1ElEEZNS1_24adjacent_difference_implIS3_Lb1ELb0EPlS7_ZN2at6native12_GLOBAL__N_124unique_dim_cuda_templateIN3c108BFloat16EEESt5tupleIJNS8_6TensorESF_SF_EERKSF_lbbbEUlllE1_EE10hipError_tPvRmT2_T3_mT4_P12ihipStream_tbEUlT_E_NS1_11comp_targetILNS1_3genE10ELNS1_11target_archE1201ELNS1_3gpuE5ELNS1_3repE0EEENS1_30default_config_static_selectorELNS0_4arch9wavefront6targetE0EEEvT1_
                                        ; -- End function
	.set _ZN7rocprim17ROCPRIM_400000_NS6detail17trampoline_kernelINS0_14default_configENS1_35adjacent_difference_config_selectorILb1ElEEZNS1_24adjacent_difference_implIS3_Lb1ELb0EPlS7_ZN2at6native12_GLOBAL__N_124unique_dim_cuda_templateIN3c108BFloat16EEESt5tupleIJNS8_6TensorESF_SF_EERKSF_lbbbEUlllE1_EE10hipError_tPvRmT2_T3_mT4_P12ihipStream_tbEUlT_E_NS1_11comp_targetILNS1_3genE10ELNS1_11target_archE1201ELNS1_3gpuE5ELNS1_3repE0EEENS1_30default_config_static_selectorELNS0_4arch9wavefront6targetE0EEEvT1_.num_vgpr, 0
	.set _ZN7rocprim17ROCPRIM_400000_NS6detail17trampoline_kernelINS0_14default_configENS1_35adjacent_difference_config_selectorILb1ElEEZNS1_24adjacent_difference_implIS3_Lb1ELb0EPlS7_ZN2at6native12_GLOBAL__N_124unique_dim_cuda_templateIN3c108BFloat16EEESt5tupleIJNS8_6TensorESF_SF_EERKSF_lbbbEUlllE1_EE10hipError_tPvRmT2_T3_mT4_P12ihipStream_tbEUlT_E_NS1_11comp_targetILNS1_3genE10ELNS1_11target_archE1201ELNS1_3gpuE5ELNS1_3repE0EEENS1_30default_config_static_selectorELNS0_4arch9wavefront6targetE0EEEvT1_.num_agpr, 0
	.set _ZN7rocprim17ROCPRIM_400000_NS6detail17trampoline_kernelINS0_14default_configENS1_35adjacent_difference_config_selectorILb1ElEEZNS1_24adjacent_difference_implIS3_Lb1ELb0EPlS7_ZN2at6native12_GLOBAL__N_124unique_dim_cuda_templateIN3c108BFloat16EEESt5tupleIJNS8_6TensorESF_SF_EERKSF_lbbbEUlllE1_EE10hipError_tPvRmT2_T3_mT4_P12ihipStream_tbEUlT_E_NS1_11comp_targetILNS1_3genE10ELNS1_11target_archE1201ELNS1_3gpuE5ELNS1_3repE0EEENS1_30default_config_static_selectorELNS0_4arch9wavefront6targetE0EEEvT1_.numbered_sgpr, 0
	.set _ZN7rocprim17ROCPRIM_400000_NS6detail17trampoline_kernelINS0_14default_configENS1_35adjacent_difference_config_selectorILb1ElEEZNS1_24adjacent_difference_implIS3_Lb1ELb0EPlS7_ZN2at6native12_GLOBAL__N_124unique_dim_cuda_templateIN3c108BFloat16EEESt5tupleIJNS8_6TensorESF_SF_EERKSF_lbbbEUlllE1_EE10hipError_tPvRmT2_T3_mT4_P12ihipStream_tbEUlT_E_NS1_11comp_targetILNS1_3genE10ELNS1_11target_archE1201ELNS1_3gpuE5ELNS1_3repE0EEENS1_30default_config_static_selectorELNS0_4arch9wavefront6targetE0EEEvT1_.num_named_barrier, 0
	.set _ZN7rocprim17ROCPRIM_400000_NS6detail17trampoline_kernelINS0_14default_configENS1_35adjacent_difference_config_selectorILb1ElEEZNS1_24adjacent_difference_implIS3_Lb1ELb0EPlS7_ZN2at6native12_GLOBAL__N_124unique_dim_cuda_templateIN3c108BFloat16EEESt5tupleIJNS8_6TensorESF_SF_EERKSF_lbbbEUlllE1_EE10hipError_tPvRmT2_T3_mT4_P12ihipStream_tbEUlT_E_NS1_11comp_targetILNS1_3genE10ELNS1_11target_archE1201ELNS1_3gpuE5ELNS1_3repE0EEENS1_30default_config_static_selectorELNS0_4arch9wavefront6targetE0EEEvT1_.private_seg_size, 0
	.set _ZN7rocprim17ROCPRIM_400000_NS6detail17trampoline_kernelINS0_14default_configENS1_35adjacent_difference_config_selectorILb1ElEEZNS1_24adjacent_difference_implIS3_Lb1ELb0EPlS7_ZN2at6native12_GLOBAL__N_124unique_dim_cuda_templateIN3c108BFloat16EEESt5tupleIJNS8_6TensorESF_SF_EERKSF_lbbbEUlllE1_EE10hipError_tPvRmT2_T3_mT4_P12ihipStream_tbEUlT_E_NS1_11comp_targetILNS1_3genE10ELNS1_11target_archE1201ELNS1_3gpuE5ELNS1_3repE0EEENS1_30default_config_static_selectorELNS0_4arch9wavefront6targetE0EEEvT1_.uses_vcc, 0
	.set _ZN7rocprim17ROCPRIM_400000_NS6detail17trampoline_kernelINS0_14default_configENS1_35adjacent_difference_config_selectorILb1ElEEZNS1_24adjacent_difference_implIS3_Lb1ELb0EPlS7_ZN2at6native12_GLOBAL__N_124unique_dim_cuda_templateIN3c108BFloat16EEESt5tupleIJNS8_6TensorESF_SF_EERKSF_lbbbEUlllE1_EE10hipError_tPvRmT2_T3_mT4_P12ihipStream_tbEUlT_E_NS1_11comp_targetILNS1_3genE10ELNS1_11target_archE1201ELNS1_3gpuE5ELNS1_3repE0EEENS1_30default_config_static_selectorELNS0_4arch9wavefront6targetE0EEEvT1_.uses_flat_scratch, 0
	.set _ZN7rocprim17ROCPRIM_400000_NS6detail17trampoline_kernelINS0_14default_configENS1_35adjacent_difference_config_selectorILb1ElEEZNS1_24adjacent_difference_implIS3_Lb1ELb0EPlS7_ZN2at6native12_GLOBAL__N_124unique_dim_cuda_templateIN3c108BFloat16EEESt5tupleIJNS8_6TensorESF_SF_EERKSF_lbbbEUlllE1_EE10hipError_tPvRmT2_T3_mT4_P12ihipStream_tbEUlT_E_NS1_11comp_targetILNS1_3genE10ELNS1_11target_archE1201ELNS1_3gpuE5ELNS1_3repE0EEENS1_30default_config_static_selectorELNS0_4arch9wavefront6targetE0EEEvT1_.has_dyn_sized_stack, 0
	.set _ZN7rocprim17ROCPRIM_400000_NS6detail17trampoline_kernelINS0_14default_configENS1_35adjacent_difference_config_selectorILb1ElEEZNS1_24adjacent_difference_implIS3_Lb1ELb0EPlS7_ZN2at6native12_GLOBAL__N_124unique_dim_cuda_templateIN3c108BFloat16EEESt5tupleIJNS8_6TensorESF_SF_EERKSF_lbbbEUlllE1_EE10hipError_tPvRmT2_T3_mT4_P12ihipStream_tbEUlT_E_NS1_11comp_targetILNS1_3genE10ELNS1_11target_archE1201ELNS1_3gpuE5ELNS1_3repE0EEENS1_30default_config_static_selectorELNS0_4arch9wavefront6targetE0EEEvT1_.has_recursion, 0
	.set _ZN7rocprim17ROCPRIM_400000_NS6detail17trampoline_kernelINS0_14default_configENS1_35adjacent_difference_config_selectorILb1ElEEZNS1_24adjacent_difference_implIS3_Lb1ELb0EPlS7_ZN2at6native12_GLOBAL__N_124unique_dim_cuda_templateIN3c108BFloat16EEESt5tupleIJNS8_6TensorESF_SF_EERKSF_lbbbEUlllE1_EE10hipError_tPvRmT2_T3_mT4_P12ihipStream_tbEUlT_E_NS1_11comp_targetILNS1_3genE10ELNS1_11target_archE1201ELNS1_3gpuE5ELNS1_3repE0EEENS1_30default_config_static_selectorELNS0_4arch9wavefront6targetE0EEEvT1_.has_indirect_call, 0
	.section	.AMDGPU.csdata,"",@progbits
; Kernel info:
; codeLenInByte = 0
; TotalNumSgprs: 0
; NumVgprs: 0
; ScratchSize: 0
; MemoryBound: 0
; FloatMode: 240
; IeeeMode: 1
; LDSByteSize: 0 bytes/workgroup (compile time only)
; SGPRBlocks: 0
; VGPRBlocks: 0
; NumSGPRsForWavesPerEU: 1
; NumVGPRsForWavesPerEU: 1
; NamedBarCnt: 0
; Occupancy: 16
; WaveLimiterHint : 0
; COMPUTE_PGM_RSRC2:SCRATCH_EN: 0
; COMPUTE_PGM_RSRC2:USER_SGPR: 2
; COMPUTE_PGM_RSRC2:TRAP_HANDLER: 0
; COMPUTE_PGM_RSRC2:TGID_X_EN: 1
; COMPUTE_PGM_RSRC2:TGID_Y_EN: 0
; COMPUTE_PGM_RSRC2:TGID_Z_EN: 0
; COMPUTE_PGM_RSRC2:TIDIG_COMP_CNT: 0
	.section	.text._ZN7rocprim17ROCPRIM_400000_NS6detail17trampoline_kernelINS0_14default_configENS1_35adjacent_difference_config_selectorILb1ElEEZNS1_24adjacent_difference_implIS3_Lb1ELb0EPlS7_ZN2at6native12_GLOBAL__N_124unique_dim_cuda_templateIN3c108BFloat16EEESt5tupleIJNS8_6TensorESF_SF_EERKSF_lbbbEUlllE1_EE10hipError_tPvRmT2_T3_mT4_P12ihipStream_tbEUlT_E_NS1_11comp_targetILNS1_3genE5ELNS1_11target_archE942ELNS1_3gpuE9ELNS1_3repE0EEENS1_30default_config_static_selectorELNS0_4arch9wavefront6targetE0EEEvT1_,"axG",@progbits,_ZN7rocprim17ROCPRIM_400000_NS6detail17trampoline_kernelINS0_14default_configENS1_35adjacent_difference_config_selectorILb1ElEEZNS1_24adjacent_difference_implIS3_Lb1ELb0EPlS7_ZN2at6native12_GLOBAL__N_124unique_dim_cuda_templateIN3c108BFloat16EEESt5tupleIJNS8_6TensorESF_SF_EERKSF_lbbbEUlllE1_EE10hipError_tPvRmT2_T3_mT4_P12ihipStream_tbEUlT_E_NS1_11comp_targetILNS1_3genE5ELNS1_11target_archE942ELNS1_3gpuE9ELNS1_3repE0EEENS1_30default_config_static_selectorELNS0_4arch9wavefront6targetE0EEEvT1_,comdat
	.globl	_ZN7rocprim17ROCPRIM_400000_NS6detail17trampoline_kernelINS0_14default_configENS1_35adjacent_difference_config_selectorILb1ElEEZNS1_24adjacent_difference_implIS3_Lb1ELb0EPlS7_ZN2at6native12_GLOBAL__N_124unique_dim_cuda_templateIN3c108BFloat16EEESt5tupleIJNS8_6TensorESF_SF_EERKSF_lbbbEUlllE1_EE10hipError_tPvRmT2_T3_mT4_P12ihipStream_tbEUlT_E_NS1_11comp_targetILNS1_3genE5ELNS1_11target_archE942ELNS1_3gpuE9ELNS1_3repE0EEENS1_30default_config_static_selectorELNS0_4arch9wavefront6targetE0EEEvT1_ ; -- Begin function _ZN7rocprim17ROCPRIM_400000_NS6detail17trampoline_kernelINS0_14default_configENS1_35adjacent_difference_config_selectorILb1ElEEZNS1_24adjacent_difference_implIS3_Lb1ELb0EPlS7_ZN2at6native12_GLOBAL__N_124unique_dim_cuda_templateIN3c108BFloat16EEESt5tupleIJNS8_6TensorESF_SF_EERKSF_lbbbEUlllE1_EE10hipError_tPvRmT2_T3_mT4_P12ihipStream_tbEUlT_E_NS1_11comp_targetILNS1_3genE5ELNS1_11target_archE942ELNS1_3gpuE9ELNS1_3repE0EEENS1_30default_config_static_selectorELNS0_4arch9wavefront6targetE0EEEvT1_
	.p2align	8
	.type	_ZN7rocprim17ROCPRIM_400000_NS6detail17trampoline_kernelINS0_14default_configENS1_35adjacent_difference_config_selectorILb1ElEEZNS1_24adjacent_difference_implIS3_Lb1ELb0EPlS7_ZN2at6native12_GLOBAL__N_124unique_dim_cuda_templateIN3c108BFloat16EEESt5tupleIJNS8_6TensorESF_SF_EERKSF_lbbbEUlllE1_EE10hipError_tPvRmT2_T3_mT4_P12ihipStream_tbEUlT_E_NS1_11comp_targetILNS1_3genE5ELNS1_11target_archE942ELNS1_3gpuE9ELNS1_3repE0EEENS1_30default_config_static_selectorELNS0_4arch9wavefront6targetE0EEEvT1_,@function
_ZN7rocprim17ROCPRIM_400000_NS6detail17trampoline_kernelINS0_14default_configENS1_35adjacent_difference_config_selectorILb1ElEEZNS1_24adjacent_difference_implIS3_Lb1ELb0EPlS7_ZN2at6native12_GLOBAL__N_124unique_dim_cuda_templateIN3c108BFloat16EEESt5tupleIJNS8_6TensorESF_SF_EERKSF_lbbbEUlllE1_EE10hipError_tPvRmT2_T3_mT4_P12ihipStream_tbEUlT_E_NS1_11comp_targetILNS1_3genE5ELNS1_11target_archE942ELNS1_3gpuE9ELNS1_3repE0EEENS1_30default_config_static_selectorELNS0_4arch9wavefront6targetE0EEEvT1_: ; @_ZN7rocprim17ROCPRIM_400000_NS6detail17trampoline_kernelINS0_14default_configENS1_35adjacent_difference_config_selectorILb1ElEEZNS1_24adjacent_difference_implIS3_Lb1ELb0EPlS7_ZN2at6native12_GLOBAL__N_124unique_dim_cuda_templateIN3c108BFloat16EEESt5tupleIJNS8_6TensorESF_SF_EERKSF_lbbbEUlllE1_EE10hipError_tPvRmT2_T3_mT4_P12ihipStream_tbEUlT_E_NS1_11comp_targetILNS1_3genE5ELNS1_11target_archE942ELNS1_3gpuE9ELNS1_3repE0EEENS1_30default_config_static_selectorELNS0_4arch9wavefront6targetE0EEEvT1_
; %bb.0:
	.section	.rodata,"a",@progbits
	.p2align	6, 0x0
	.amdhsa_kernel _ZN7rocprim17ROCPRIM_400000_NS6detail17trampoline_kernelINS0_14default_configENS1_35adjacent_difference_config_selectorILb1ElEEZNS1_24adjacent_difference_implIS3_Lb1ELb0EPlS7_ZN2at6native12_GLOBAL__N_124unique_dim_cuda_templateIN3c108BFloat16EEESt5tupleIJNS8_6TensorESF_SF_EERKSF_lbbbEUlllE1_EE10hipError_tPvRmT2_T3_mT4_P12ihipStream_tbEUlT_E_NS1_11comp_targetILNS1_3genE5ELNS1_11target_archE942ELNS1_3gpuE9ELNS1_3repE0EEENS1_30default_config_static_selectorELNS0_4arch9wavefront6targetE0EEEvT1_
		.amdhsa_group_segment_fixed_size 0
		.amdhsa_private_segment_fixed_size 0
		.amdhsa_kernarg_size 64
		.amdhsa_user_sgpr_count 2
		.amdhsa_user_sgpr_dispatch_ptr 0
		.amdhsa_user_sgpr_queue_ptr 0
		.amdhsa_user_sgpr_kernarg_segment_ptr 1
		.amdhsa_user_sgpr_dispatch_id 0
		.amdhsa_user_sgpr_kernarg_preload_length 0
		.amdhsa_user_sgpr_kernarg_preload_offset 0
		.amdhsa_user_sgpr_private_segment_size 0
		.amdhsa_wavefront_size32 1
		.amdhsa_uses_dynamic_stack 0
		.amdhsa_enable_private_segment 0
		.amdhsa_system_sgpr_workgroup_id_x 1
		.amdhsa_system_sgpr_workgroup_id_y 0
		.amdhsa_system_sgpr_workgroup_id_z 0
		.amdhsa_system_sgpr_workgroup_info 0
		.amdhsa_system_vgpr_workitem_id 0
		.amdhsa_next_free_vgpr 1
		.amdhsa_next_free_sgpr 1
		.amdhsa_named_barrier_count 0
		.amdhsa_reserve_vcc 0
		.amdhsa_float_round_mode_32 0
		.amdhsa_float_round_mode_16_64 0
		.amdhsa_float_denorm_mode_32 3
		.amdhsa_float_denorm_mode_16_64 3
		.amdhsa_fp16_overflow 0
		.amdhsa_memory_ordered 1
		.amdhsa_forward_progress 1
		.amdhsa_inst_pref_size 0
		.amdhsa_round_robin_scheduling 0
		.amdhsa_exception_fp_ieee_invalid_op 0
		.amdhsa_exception_fp_denorm_src 0
		.amdhsa_exception_fp_ieee_div_zero 0
		.amdhsa_exception_fp_ieee_overflow 0
		.amdhsa_exception_fp_ieee_underflow 0
		.amdhsa_exception_fp_ieee_inexact 0
		.amdhsa_exception_int_div_zero 0
	.end_amdhsa_kernel
	.section	.text._ZN7rocprim17ROCPRIM_400000_NS6detail17trampoline_kernelINS0_14default_configENS1_35adjacent_difference_config_selectorILb1ElEEZNS1_24adjacent_difference_implIS3_Lb1ELb0EPlS7_ZN2at6native12_GLOBAL__N_124unique_dim_cuda_templateIN3c108BFloat16EEESt5tupleIJNS8_6TensorESF_SF_EERKSF_lbbbEUlllE1_EE10hipError_tPvRmT2_T3_mT4_P12ihipStream_tbEUlT_E_NS1_11comp_targetILNS1_3genE5ELNS1_11target_archE942ELNS1_3gpuE9ELNS1_3repE0EEENS1_30default_config_static_selectorELNS0_4arch9wavefront6targetE0EEEvT1_,"axG",@progbits,_ZN7rocprim17ROCPRIM_400000_NS6detail17trampoline_kernelINS0_14default_configENS1_35adjacent_difference_config_selectorILb1ElEEZNS1_24adjacent_difference_implIS3_Lb1ELb0EPlS7_ZN2at6native12_GLOBAL__N_124unique_dim_cuda_templateIN3c108BFloat16EEESt5tupleIJNS8_6TensorESF_SF_EERKSF_lbbbEUlllE1_EE10hipError_tPvRmT2_T3_mT4_P12ihipStream_tbEUlT_E_NS1_11comp_targetILNS1_3genE5ELNS1_11target_archE942ELNS1_3gpuE9ELNS1_3repE0EEENS1_30default_config_static_selectorELNS0_4arch9wavefront6targetE0EEEvT1_,comdat
.Lfunc_end1168:
	.size	_ZN7rocprim17ROCPRIM_400000_NS6detail17trampoline_kernelINS0_14default_configENS1_35adjacent_difference_config_selectorILb1ElEEZNS1_24adjacent_difference_implIS3_Lb1ELb0EPlS7_ZN2at6native12_GLOBAL__N_124unique_dim_cuda_templateIN3c108BFloat16EEESt5tupleIJNS8_6TensorESF_SF_EERKSF_lbbbEUlllE1_EE10hipError_tPvRmT2_T3_mT4_P12ihipStream_tbEUlT_E_NS1_11comp_targetILNS1_3genE5ELNS1_11target_archE942ELNS1_3gpuE9ELNS1_3repE0EEENS1_30default_config_static_selectorELNS0_4arch9wavefront6targetE0EEEvT1_, .Lfunc_end1168-_ZN7rocprim17ROCPRIM_400000_NS6detail17trampoline_kernelINS0_14default_configENS1_35adjacent_difference_config_selectorILb1ElEEZNS1_24adjacent_difference_implIS3_Lb1ELb0EPlS7_ZN2at6native12_GLOBAL__N_124unique_dim_cuda_templateIN3c108BFloat16EEESt5tupleIJNS8_6TensorESF_SF_EERKSF_lbbbEUlllE1_EE10hipError_tPvRmT2_T3_mT4_P12ihipStream_tbEUlT_E_NS1_11comp_targetILNS1_3genE5ELNS1_11target_archE942ELNS1_3gpuE9ELNS1_3repE0EEENS1_30default_config_static_selectorELNS0_4arch9wavefront6targetE0EEEvT1_
                                        ; -- End function
	.set _ZN7rocprim17ROCPRIM_400000_NS6detail17trampoline_kernelINS0_14default_configENS1_35adjacent_difference_config_selectorILb1ElEEZNS1_24adjacent_difference_implIS3_Lb1ELb0EPlS7_ZN2at6native12_GLOBAL__N_124unique_dim_cuda_templateIN3c108BFloat16EEESt5tupleIJNS8_6TensorESF_SF_EERKSF_lbbbEUlllE1_EE10hipError_tPvRmT2_T3_mT4_P12ihipStream_tbEUlT_E_NS1_11comp_targetILNS1_3genE5ELNS1_11target_archE942ELNS1_3gpuE9ELNS1_3repE0EEENS1_30default_config_static_selectorELNS0_4arch9wavefront6targetE0EEEvT1_.num_vgpr, 0
	.set _ZN7rocprim17ROCPRIM_400000_NS6detail17trampoline_kernelINS0_14default_configENS1_35adjacent_difference_config_selectorILb1ElEEZNS1_24adjacent_difference_implIS3_Lb1ELb0EPlS7_ZN2at6native12_GLOBAL__N_124unique_dim_cuda_templateIN3c108BFloat16EEESt5tupleIJNS8_6TensorESF_SF_EERKSF_lbbbEUlllE1_EE10hipError_tPvRmT2_T3_mT4_P12ihipStream_tbEUlT_E_NS1_11comp_targetILNS1_3genE5ELNS1_11target_archE942ELNS1_3gpuE9ELNS1_3repE0EEENS1_30default_config_static_selectorELNS0_4arch9wavefront6targetE0EEEvT1_.num_agpr, 0
	.set _ZN7rocprim17ROCPRIM_400000_NS6detail17trampoline_kernelINS0_14default_configENS1_35adjacent_difference_config_selectorILb1ElEEZNS1_24adjacent_difference_implIS3_Lb1ELb0EPlS7_ZN2at6native12_GLOBAL__N_124unique_dim_cuda_templateIN3c108BFloat16EEESt5tupleIJNS8_6TensorESF_SF_EERKSF_lbbbEUlllE1_EE10hipError_tPvRmT2_T3_mT4_P12ihipStream_tbEUlT_E_NS1_11comp_targetILNS1_3genE5ELNS1_11target_archE942ELNS1_3gpuE9ELNS1_3repE0EEENS1_30default_config_static_selectorELNS0_4arch9wavefront6targetE0EEEvT1_.numbered_sgpr, 0
	.set _ZN7rocprim17ROCPRIM_400000_NS6detail17trampoline_kernelINS0_14default_configENS1_35adjacent_difference_config_selectorILb1ElEEZNS1_24adjacent_difference_implIS3_Lb1ELb0EPlS7_ZN2at6native12_GLOBAL__N_124unique_dim_cuda_templateIN3c108BFloat16EEESt5tupleIJNS8_6TensorESF_SF_EERKSF_lbbbEUlllE1_EE10hipError_tPvRmT2_T3_mT4_P12ihipStream_tbEUlT_E_NS1_11comp_targetILNS1_3genE5ELNS1_11target_archE942ELNS1_3gpuE9ELNS1_3repE0EEENS1_30default_config_static_selectorELNS0_4arch9wavefront6targetE0EEEvT1_.num_named_barrier, 0
	.set _ZN7rocprim17ROCPRIM_400000_NS6detail17trampoline_kernelINS0_14default_configENS1_35adjacent_difference_config_selectorILb1ElEEZNS1_24adjacent_difference_implIS3_Lb1ELb0EPlS7_ZN2at6native12_GLOBAL__N_124unique_dim_cuda_templateIN3c108BFloat16EEESt5tupleIJNS8_6TensorESF_SF_EERKSF_lbbbEUlllE1_EE10hipError_tPvRmT2_T3_mT4_P12ihipStream_tbEUlT_E_NS1_11comp_targetILNS1_3genE5ELNS1_11target_archE942ELNS1_3gpuE9ELNS1_3repE0EEENS1_30default_config_static_selectorELNS0_4arch9wavefront6targetE0EEEvT1_.private_seg_size, 0
	.set _ZN7rocprim17ROCPRIM_400000_NS6detail17trampoline_kernelINS0_14default_configENS1_35adjacent_difference_config_selectorILb1ElEEZNS1_24adjacent_difference_implIS3_Lb1ELb0EPlS7_ZN2at6native12_GLOBAL__N_124unique_dim_cuda_templateIN3c108BFloat16EEESt5tupleIJNS8_6TensorESF_SF_EERKSF_lbbbEUlllE1_EE10hipError_tPvRmT2_T3_mT4_P12ihipStream_tbEUlT_E_NS1_11comp_targetILNS1_3genE5ELNS1_11target_archE942ELNS1_3gpuE9ELNS1_3repE0EEENS1_30default_config_static_selectorELNS0_4arch9wavefront6targetE0EEEvT1_.uses_vcc, 0
	.set _ZN7rocprim17ROCPRIM_400000_NS6detail17trampoline_kernelINS0_14default_configENS1_35adjacent_difference_config_selectorILb1ElEEZNS1_24adjacent_difference_implIS3_Lb1ELb0EPlS7_ZN2at6native12_GLOBAL__N_124unique_dim_cuda_templateIN3c108BFloat16EEESt5tupleIJNS8_6TensorESF_SF_EERKSF_lbbbEUlllE1_EE10hipError_tPvRmT2_T3_mT4_P12ihipStream_tbEUlT_E_NS1_11comp_targetILNS1_3genE5ELNS1_11target_archE942ELNS1_3gpuE9ELNS1_3repE0EEENS1_30default_config_static_selectorELNS0_4arch9wavefront6targetE0EEEvT1_.uses_flat_scratch, 0
	.set _ZN7rocprim17ROCPRIM_400000_NS6detail17trampoline_kernelINS0_14default_configENS1_35adjacent_difference_config_selectorILb1ElEEZNS1_24adjacent_difference_implIS3_Lb1ELb0EPlS7_ZN2at6native12_GLOBAL__N_124unique_dim_cuda_templateIN3c108BFloat16EEESt5tupleIJNS8_6TensorESF_SF_EERKSF_lbbbEUlllE1_EE10hipError_tPvRmT2_T3_mT4_P12ihipStream_tbEUlT_E_NS1_11comp_targetILNS1_3genE5ELNS1_11target_archE942ELNS1_3gpuE9ELNS1_3repE0EEENS1_30default_config_static_selectorELNS0_4arch9wavefront6targetE0EEEvT1_.has_dyn_sized_stack, 0
	.set _ZN7rocprim17ROCPRIM_400000_NS6detail17trampoline_kernelINS0_14default_configENS1_35adjacent_difference_config_selectorILb1ElEEZNS1_24adjacent_difference_implIS3_Lb1ELb0EPlS7_ZN2at6native12_GLOBAL__N_124unique_dim_cuda_templateIN3c108BFloat16EEESt5tupleIJNS8_6TensorESF_SF_EERKSF_lbbbEUlllE1_EE10hipError_tPvRmT2_T3_mT4_P12ihipStream_tbEUlT_E_NS1_11comp_targetILNS1_3genE5ELNS1_11target_archE942ELNS1_3gpuE9ELNS1_3repE0EEENS1_30default_config_static_selectorELNS0_4arch9wavefront6targetE0EEEvT1_.has_recursion, 0
	.set _ZN7rocprim17ROCPRIM_400000_NS6detail17trampoline_kernelINS0_14default_configENS1_35adjacent_difference_config_selectorILb1ElEEZNS1_24adjacent_difference_implIS3_Lb1ELb0EPlS7_ZN2at6native12_GLOBAL__N_124unique_dim_cuda_templateIN3c108BFloat16EEESt5tupleIJNS8_6TensorESF_SF_EERKSF_lbbbEUlllE1_EE10hipError_tPvRmT2_T3_mT4_P12ihipStream_tbEUlT_E_NS1_11comp_targetILNS1_3genE5ELNS1_11target_archE942ELNS1_3gpuE9ELNS1_3repE0EEENS1_30default_config_static_selectorELNS0_4arch9wavefront6targetE0EEEvT1_.has_indirect_call, 0
	.section	.AMDGPU.csdata,"",@progbits
; Kernel info:
; codeLenInByte = 0
; TotalNumSgprs: 0
; NumVgprs: 0
; ScratchSize: 0
; MemoryBound: 0
; FloatMode: 240
; IeeeMode: 1
; LDSByteSize: 0 bytes/workgroup (compile time only)
; SGPRBlocks: 0
; VGPRBlocks: 0
; NumSGPRsForWavesPerEU: 1
; NumVGPRsForWavesPerEU: 1
; NamedBarCnt: 0
; Occupancy: 16
; WaveLimiterHint : 0
; COMPUTE_PGM_RSRC2:SCRATCH_EN: 0
; COMPUTE_PGM_RSRC2:USER_SGPR: 2
; COMPUTE_PGM_RSRC2:TRAP_HANDLER: 0
; COMPUTE_PGM_RSRC2:TGID_X_EN: 1
; COMPUTE_PGM_RSRC2:TGID_Y_EN: 0
; COMPUTE_PGM_RSRC2:TGID_Z_EN: 0
; COMPUTE_PGM_RSRC2:TIDIG_COMP_CNT: 0
	.section	.text._ZN7rocprim17ROCPRIM_400000_NS6detail17trampoline_kernelINS0_14default_configENS1_35adjacent_difference_config_selectorILb1ElEEZNS1_24adjacent_difference_implIS3_Lb1ELb0EPlS7_ZN2at6native12_GLOBAL__N_124unique_dim_cuda_templateIN3c108BFloat16EEESt5tupleIJNS8_6TensorESF_SF_EERKSF_lbbbEUlllE1_EE10hipError_tPvRmT2_T3_mT4_P12ihipStream_tbEUlT_E_NS1_11comp_targetILNS1_3genE4ELNS1_11target_archE910ELNS1_3gpuE8ELNS1_3repE0EEENS1_30default_config_static_selectorELNS0_4arch9wavefront6targetE0EEEvT1_,"axG",@progbits,_ZN7rocprim17ROCPRIM_400000_NS6detail17trampoline_kernelINS0_14default_configENS1_35adjacent_difference_config_selectorILb1ElEEZNS1_24adjacent_difference_implIS3_Lb1ELb0EPlS7_ZN2at6native12_GLOBAL__N_124unique_dim_cuda_templateIN3c108BFloat16EEESt5tupleIJNS8_6TensorESF_SF_EERKSF_lbbbEUlllE1_EE10hipError_tPvRmT2_T3_mT4_P12ihipStream_tbEUlT_E_NS1_11comp_targetILNS1_3genE4ELNS1_11target_archE910ELNS1_3gpuE8ELNS1_3repE0EEENS1_30default_config_static_selectorELNS0_4arch9wavefront6targetE0EEEvT1_,comdat
	.globl	_ZN7rocprim17ROCPRIM_400000_NS6detail17trampoline_kernelINS0_14default_configENS1_35adjacent_difference_config_selectorILb1ElEEZNS1_24adjacent_difference_implIS3_Lb1ELb0EPlS7_ZN2at6native12_GLOBAL__N_124unique_dim_cuda_templateIN3c108BFloat16EEESt5tupleIJNS8_6TensorESF_SF_EERKSF_lbbbEUlllE1_EE10hipError_tPvRmT2_T3_mT4_P12ihipStream_tbEUlT_E_NS1_11comp_targetILNS1_3genE4ELNS1_11target_archE910ELNS1_3gpuE8ELNS1_3repE0EEENS1_30default_config_static_selectorELNS0_4arch9wavefront6targetE0EEEvT1_ ; -- Begin function _ZN7rocprim17ROCPRIM_400000_NS6detail17trampoline_kernelINS0_14default_configENS1_35adjacent_difference_config_selectorILb1ElEEZNS1_24adjacent_difference_implIS3_Lb1ELb0EPlS7_ZN2at6native12_GLOBAL__N_124unique_dim_cuda_templateIN3c108BFloat16EEESt5tupleIJNS8_6TensorESF_SF_EERKSF_lbbbEUlllE1_EE10hipError_tPvRmT2_T3_mT4_P12ihipStream_tbEUlT_E_NS1_11comp_targetILNS1_3genE4ELNS1_11target_archE910ELNS1_3gpuE8ELNS1_3repE0EEENS1_30default_config_static_selectorELNS0_4arch9wavefront6targetE0EEEvT1_
	.p2align	8
	.type	_ZN7rocprim17ROCPRIM_400000_NS6detail17trampoline_kernelINS0_14default_configENS1_35adjacent_difference_config_selectorILb1ElEEZNS1_24adjacent_difference_implIS3_Lb1ELb0EPlS7_ZN2at6native12_GLOBAL__N_124unique_dim_cuda_templateIN3c108BFloat16EEESt5tupleIJNS8_6TensorESF_SF_EERKSF_lbbbEUlllE1_EE10hipError_tPvRmT2_T3_mT4_P12ihipStream_tbEUlT_E_NS1_11comp_targetILNS1_3genE4ELNS1_11target_archE910ELNS1_3gpuE8ELNS1_3repE0EEENS1_30default_config_static_selectorELNS0_4arch9wavefront6targetE0EEEvT1_,@function
_ZN7rocprim17ROCPRIM_400000_NS6detail17trampoline_kernelINS0_14default_configENS1_35adjacent_difference_config_selectorILb1ElEEZNS1_24adjacent_difference_implIS3_Lb1ELb0EPlS7_ZN2at6native12_GLOBAL__N_124unique_dim_cuda_templateIN3c108BFloat16EEESt5tupleIJNS8_6TensorESF_SF_EERKSF_lbbbEUlllE1_EE10hipError_tPvRmT2_T3_mT4_P12ihipStream_tbEUlT_E_NS1_11comp_targetILNS1_3genE4ELNS1_11target_archE910ELNS1_3gpuE8ELNS1_3repE0EEENS1_30default_config_static_selectorELNS0_4arch9wavefront6targetE0EEEvT1_: ; @_ZN7rocprim17ROCPRIM_400000_NS6detail17trampoline_kernelINS0_14default_configENS1_35adjacent_difference_config_selectorILb1ElEEZNS1_24adjacent_difference_implIS3_Lb1ELb0EPlS7_ZN2at6native12_GLOBAL__N_124unique_dim_cuda_templateIN3c108BFloat16EEESt5tupleIJNS8_6TensorESF_SF_EERKSF_lbbbEUlllE1_EE10hipError_tPvRmT2_T3_mT4_P12ihipStream_tbEUlT_E_NS1_11comp_targetILNS1_3genE4ELNS1_11target_archE910ELNS1_3gpuE8ELNS1_3repE0EEENS1_30default_config_static_selectorELNS0_4arch9wavefront6targetE0EEEvT1_
; %bb.0:
	.section	.rodata,"a",@progbits
	.p2align	6, 0x0
	.amdhsa_kernel _ZN7rocprim17ROCPRIM_400000_NS6detail17trampoline_kernelINS0_14default_configENS1_35adjacent_difference_config_selectorILb1ElEEZNS1_24adjacent_difference_implIS3_Lb1ELb0EPlS7_ZN2at6native12_GLOBAL__N_124unique_dim_cuda_templateIN3c108BFloat16EEESt5tupleIJNS8_6TensorESF_SF_EERKSF_lbbbEUlllE1_EE10hipError_tPvRmT2_T3_mT4_P12ihipStream_tbEUlT_E_NS1_11comp_targetILNS1_3genE4ELNS1_11target_archE910ELNS1_3gpuE8ELNS1_3repE0EEENS1_30default_config_static_selectorELNS0_4arch9wavefront6targetE0EEEvT1_
		.amdhsa_group_segment_fixed_size 0
		.amdhsa_private_segment_fixed_size 0
		.amdhsa_kernarg_size 64
		.amdhsa_user_sgpr_count 2
		.amdhsa_user_sgpr_dispatch_ptr 0
		.amdhsa_user_sgpr_queue_ptr 0
		.amdhsa_user_sgpr_kernarg_segment_ptr 1
		.amdhsa_user_sgpr_dispatch_id 0
		.amdhsa_user_sgpr_kernarg_preload_length 0
		.amdhsa_user_sgpr_kernarg_preload_offset 0
		.amdhsa_user_sgpr_private_segment_size 0
		.amdhsa_wavefront_size32 1
		.amdhsa_uses_dynamic_stack 0
		.amdhsa_enable_private_segment 0
		.amdhsa_system_sgpr_workgroup_id_x 1
		.amdhsa_system_sgpr_workgroup_id_y 0
		.amdhsa_system_sgpr_workgroup_id_z 0
		.amdhsa_system_sgpr_workgroup_info 0
		.amdhsa_system_vgpr_workitem_id 0
		.amdhsa_next_free_vgpr 1
		.amdhsa_next_free_sgpr 1
		.amdhsa_named_barrier_count 0
		.amdhsa_reserve_vcc 0
		.amdhsa_float_round_mode_32 0
		.amdhsa_float_round_mode_16_64 0
		.amdhsa_float_denorm_mode_32 3
		.amdhsa_float_denorm_mode_16_64 3
		.amdhsa_fp16_overflow 0
		.amdhsa_memory_ordered 1
		.amdhsa_forward_progress 1
		.amdhsa_inst_pref_size 0
		.amdhsa_round_robin_scheduling 0
		.amdhsa_exception_fp_ieee_invalid_op 0
		.amdhsa_exception_fp_denorm_src 0
		.amdhsa_exception_fp_ieee_div_zero 0
		.amdhsa_exception_fp_ieee_overflow 0
		.amdhsa_exception_fp_ieee_underflow 0
		.amdhsa_exception_fp_ieee_inexact 0
		.amdhsa_exception_int_div_zero 0
	.end_amdhsa_kernel
	.section	.text._ZN7rocprim17ROCPRIM_400000_NS6detail17trampoline_kernelINS0_14default_configENS1_35adjacent_difference_config_selectorILb1ElEEZNS1_24adjacent_difference_implIS3_Lb1ELb0EPlS7_ZN2at6native12_GLOBAL__N_124unique_dim_cuda_templateIN3c108BFloat16EEESt5tupleIJNS8_6TensorESF_SF_EERKSF_lbbbEUlllE1_EE10hipError_tPvRmT2_T3_mT4_P12ihipStream_tbEUlT_E_NS1_11comp_targetILNS1_3genE4ELNS1_11target_archE910ELNS1_3gpuE8ELNS1_3repE0EEENS1_30default_config_static_selectorELNS0_4arch9wavefront6targetE0EEEvT1_,"axG",@progbits,_ZN7rocprim17ROCPRIM_400000_NS6detail17trampoline_kernelINS0_14default_configENS1_35adjacent_difference_config_selectorILb1ElEEZNS1_24adjacent_difference_implIS3_Lb1ELb0EPlS7_ZN2at6native12_GLOBAL__N_124unique_dim_cuda_templateIN3c108BFloat16EEESt5tupleIJNS8_6TensorESF_SF_EERKSF_lbbbEUlllE1_EE10hipError_tPvRmT2_T3_mT4_P12ihipStream_tbEUlT_E_NS1_11comp_targetILNS1_3genE4ELNS1_11target_archE910ELNS1_3gpuE8ELNS1_3repE0EEENS1_30default_config_static_selectorELNS0_4arch9wavefront6targetE0EEEvT1_,comdat
.Lfunc_end1169:
	.size	_ZN7rocprim17ROCPRIM_400000_NS6detail17trampoline_kernelINS0_14default_configENS1_35adjacent_difference_config_selectorILb1ElEEZNS1_24adjacent_difference_implIS3_Lb1ELb0EPlS7_ZN2at6native12_GLOBAL__N_124unique_dim_cuda_templateIN3c108BFloat16EEESt5tupleIJNS8_6TensorESF_SF_EERKSF_lbbbEUlllE1_EE10hipError_tPvRmT2_T3_mT4_P12ihipStream_tbEUlT_E_NS1_11comp_targetILNS1_3genE4ELNS1_11target_archE910ELNS1_3gpuE8ELNS1_3repE0EEENS1_30default_config_static_selectorELNS0_4arch9wavefront6targetE0EEEvT1_, .Lfunc_end1169-_ZN7rocprim17ROCPRIM_400000_NS6detail17trampoline_kernelINS0_14default_configENS1_35adjacent_difference_config_selectorILb1ElEEZNS1_24adjacent_difference_implIS3_Lb1ELb0EPlS7_ZN2at6native12_GLOBAL__N_124unique_dim_cuda_templateIN3c108BFloat16EEESt5tupleIJNS8_6TensorESF_SF_EERKSF_lbbbEUlllE1_EE10hipError_tPvRmT2_T3_mT4_P12ihipStream_tbEUlT_E_NS1_11comp_targetILNS1_3genE4ELNS1_11target_archE910ELNS1_3gpuE8ELNS1_3repE0EEENS1_30default_config_static_selectorELNS0_4arch9wavefront6targetE0EEEvT1_
                                        ; -- End function
	.set _ZN7rocprim17ROCPRIM_400000_NS6detail17trampoline_kernelINS0_14default_configENS1_35adjacent_difference_config_selectorILb1ElEEZNS1_24adjacent_difference_implIS3_Lb1ELb0EPlS7_ZN2at6native12_GLOBAL__N_124unique_dim_cuda_templateIN3c108BFloat16EEESt5tupleIJNS8_6TensorESF_SF_EERKSF_lbbbEUlllE1_EE10hipError_tPvRmT2_T3_mT4_P12ihipStream_tbEUlT_E_NS1_11comp_targetILNS1_3genE4ELNS1_11target_archE910ELNS1_3gpuE8ELNS1_3repE0EEENS1_30default_config_static_selectorELNS0_4arch9wavefront6targetE0EEEvT1_.num_vgpr, 0
	.set _ZN7rocprim17ROCPRIM_400000_NS6detail17trampoline_kernelINS0_14default_configENS1_35adjacent_difference_config_selectorILb1ElEEZNS1_24adjacent_difference_implIS3_Lb1ELb0EPlS7_ZN2at6native12_GLOBAL__N_124unique_dim_cuda_templateIN3c108BFloat16EEESt5tupleIJNS8_6TensorESF_SF_EERKSF_lbbbEUlllE1_EE10hipError_tPvRmT2_T3_mT4_P12ihipStream_tbEUlT_E_NS1_11comp_targetILNS1_3genE4ELNS1_11target_archE910ELNS1_3gpuE8ELNS1_3repE0EEENS1_30default_config_static_selectorELNS0_4arch9wavefront6targetE0EEEvT1_.num_agpr, 0
	.set _ZN7rocprim17ROCPRIM_400000_NS6detail17trampoline_kernelINS0_14default_configENS1_35adjacent_difference_config_selectorILb1ElEEZNS1_24adjacent_difference_implIS3_Lb1ELb0EPlS7_ZN2at6native12_GLOBAL__N_124unique_dim_cuda_templateIN3c108BFloat16EEESt5tupleIJNS8_6TensorESF_SF_EERKSF_lbbbEUlllE1_EE10hipError_tPvRmT2_T3_mT4_P12ihipStream_tbEUlT_E_NS1_11comp_targetILNS1_3genE4ELNS1_11target_archE910ELNS1_3gpuE8ELNS1_3repE0EEENS1_30default_config_static_selectorELNS0_4arch9wavefront6targetE0EEEvT1_.numbered_sgpr, 0
	.set _ZN7rocprim17ROCPRIM_400000_NS6detail17trampoline_kernelINS0_14default_configENS1_35adjacent_difference_config_selectorILb1ElEEZNS1_24adjacent_difference_implIS3_Lb1ELb0EPlS7_ZN2at6native12_GLOBAL__N_124unique_dim_cuda_templateIN3c108BFloat16EEESt5tupleIJNS8_6TensorESF_SF_EERKSF_lbbbEUlllE1_EE10hipError_tPvRmT2_T3_mT4_P12ihipStream_tbEUlT_E_NS1_11comp_targetILNS1_3genE4ELNS1_11target_archE910ELNS1_3gpuE8ELNS1_3repE0EEENS1_30default_config_static_selectorELNS0_4arch9wavefront6targetE0EEEvT1_.num_named_barrier, 0
	.set _ZN7rocprim17ROCPRIM_400000_NS6detail17trampoline_kernelINS0_14default_configENS1_35adjacent_difference_config_selectorILb1ElEEZNS1_24adjacent_difference_implIS3_Lb1ELb0EPlS7_ZN2at6native12_GLOBAL__N_124unique_dim_cuda_templateIN3c108BFloat16EEESt5tupleIJNS8_6TensorESF_SF_EERKSF_lbbbEUlllE1_EE10hipError_tPvRmT2_T3_mT4_P12ihipStream_tbEUlT_E_NS1_11comp_targetILNS1_3genE4ELNS1_11target_archE910ELNS1_3gpuE8ELNS1_3repE0EEENS1_30default_config_static_selectorELNS0_4arch9wavefront6targetE0EEEvT1_.private_seg_size, 0
	.set _ZN7rocprim17ROCPRIM_400000_NS6detail17trampoline_kernelINS0_14default_configENS1_35adjacent_difference_config_selectorILb1ElEEZNS1_24adjacent_difference_implIS3_Lb1ELb0EPlS7_ZN2at6native12_GLOBAL__N_124unique_dim_cuda_templateIN3c108BFloat16EEESt5tupleIJNS8_6TensorESF_SF_EERKSF_lbbbEUlllE1_EE10hipError_tPvRmT2_T3_mT4_P12ihipStream_tbEUlT_E_NS1_11comp_targetILNS1_3genE4ELNS1_11target_archE910ELNS1_3gpuE8ELNS1_3repE0EEENS1_30default_config_static_selectorELNS0_4arch9wavefront6targetE0EEEvT1_.uses_vcc, 0
	.set _ZN7rocprim17ROCPRIM_400000_NS6detail17trampoline_kernelINS0_14default_configENS1_35adjacent_difference_config_selectorILb1ElEEZNS1_24adjacent_difference_implIS3_Lb1ELb0EPlS7_ZN2at6native12_GLOBAL__N_124unique_dim_cuda_templateIN3c108BFloat16EEESt5tupleIJNS8_6TensorESF_SF_EERKSF_lbbbEUlllE1_EE10hipError_tPvRmT2_T3_mT4_P12ihipStream_tbEUlT_E_NS1_11comp_targetILNS1_3genE4ELNS1_11target_archE910ELNS1_3gpuE8ELNS1_3repE0EEENS1_30default_config_static_selectorELNS0_4arch9wavefront6targetE0EEEvT1_.uses_flat_scratch, 0
	.set _ZN7rocprim17ROCPRIM_400000_NS6detail17trampoline_kernelINS0_14default_configENS1_35adjacent_difference_config_selectorILb1ElEEZNS1_24adjacent_difference_implIS3_Lb1ELb0EPlS7_ZN2at6native12_GLOBAL__N_124unique_dim_cuda_templateIN3c108BFloat16EEESt5tupleIJNS8_6TensorESF_SF_EERKSF_lbbbEUlllE1_EE10hipError_tPvRmT2_T3_mT4_P12ihipStream_tbEUlT_E_NS1_11comp_targetILNS1_3genE4ELNS1_11target_archE910ELNS1_3gpuE8ELNS1_3repE0EEENS1_30default_config_static_selectorELNS0_4arch9wavefront6targetE0EEEvT1_.has_dyn_sized_stack, 0
	.set _ZN7rocprim17ROCPRIM_400000_NS6detail17trampoline_kernelINS0_14default_configENS1_35adjacent_difference_config_selectorILb1ElEEZNS1_24adjacent_difference_implIS3_Lb1ELb0EPlS7_ZN2at6native12_GLOBAL__N_124unique_dim_cuda_templateIN3c108BFloat16EEESt5tupleIJNS8_6TensorESF_SF_EERKSF_lbbbEUlllE1_EE10hipError_tPvRmT2_T3_mT4_P12ihipStream_tbEUlT_E_NS1_11comp_targetILNS1_3genE4ELNS1_11target_archE910ELNS1_3gpuE8ELNS1_3repE0EEENS1_30default_config_static_selectorELNS0_4arch9wavefront6targetE0EEEvT1_.has_recursion, 0
	.set _ZN7rocprim17ROCPRIM_400000_NS6detail17trampoline_kernelINS0_14default_configENS1_35adjacent_difference_config_selectorILb1ElEEZNS1_24adjacent_difference_implIS3_Lb1ELb0EPlS7_ZN2at6native12_GLOBAL__N_124unique_dim_cuda_templateIN3c108BFloat16EEESt5tupleIJNS8_6TensorESF_SF_EERKSF_lbbbEUlllE1_EE10hipError_tPvRmT2_T3_mT4_P12ihipStream_tbEUlT_E_NS1_11comp_targetILNS1_3genE4ELNS1_11target_archE910ELNS1_3gpuE8ELNS1_3repE0EEENS1_30default_config_static_selectorELNS0_4arch9wavefront6targetE0EEEvT1_.has_indirect_call, 0
	.section	.AMDGPU.csdata,"",@progbits
; Kernel info:
; codeLenInByte = 0
; TotalNumSgprs: 0
; NumVgprs: 0
; ScratchSize: 0
; MemoryBound: 0
; FloatMode: 240
; IeeeMode: 1
; LDSByteSize: 0 bytes/workgroup (compile time only)
; SGPRBlocks: 0
; VGPRBlocks: 0
; NumSGPRsForWavesPerEU: 1
; NumVGPRsForWavesPerEU: 1
; NamedBarCnt: 0
; Occupancy: 16
; WaveLimiterHint : 0
; COMPUTE_PGM_RSRC2:SCRATCH_EN: 0
; COMPUTE_PGM_RSRC2:USER_SGPR: 2
; COMPUTE_PGM_RSRC2:TRAP_HANDLER: 0
; COMPUTE_PGM_RSRC2:TGID_X_EN: 1
; COMPUTE_PGM_RSRC2:TGID_Y_EN: 0
; COMPUTE_PGM_RSRC2:TGID_Z_EN: 0
; COMPUTE_PGM_RSRC2:TIDIG_COMP_CNT: 0
	.section	.text._ZN7rocprim17ROCPRIM_400000_NS6detail17trampoline_kernelINS0_14default_configENS1_35adjacent_difference_config_selectorILb1ElEEZNS1_24adjacent_difference_implIS3_Lb1ELb0EPlS7_ZN2at6native12_GLOBAL__N_124unique_dim_cuda_templateIN3c108BFloat16EEESt5tupleIJNS8_6TensorESF_SF_EERKSF_lbbbEUlllE1_EE10hipError_tPvRmT2_T3_mT4_P12ihipStream_tbEUlT_E_NS1_11comp_targetILNS1_3genE3ELNS1_11target_archE908ELNS1_3gpuE7ELNS1_3repE0EEENS1_30default_config_static_selectorELNS0_4arch9wavefront6targetE0EEEvT1_,"axG",@progbits,_ZN7rocprim17ROCPRIM_400000_NS6detail17trampoline_kernelINS0_14default_configENS1_35adjacent_difference_config_selectorILb1ElEEZNS1_24adjacent_difference_implIS3_Lb1ELb0EPlS7_ZN2at6native12_GLOBAL__N_124unique_dim_cuda_templateIN3c108BFloat16EEESt5tupleIJNS8_6TensorESF_SF_EERKSF_lbbbEUlllE1_EE10hipError_tPvRmT2_T3_mT4_P12ihipStream_tbEUlT_E_NS1_11comp_targetILNS1_3genE3ELNS1_11target_archE908ELNS1_3gpuE7ELNS1_3repE0EEENS1_30default_config_static_selectorELNS0_4arch9wavefront6targetE0EEEvT1_,comdat
	.globl	_ZN7rocprim17ROCPRIM_400000_NS6detail17trampoline_kernelINS0_14default_configENS1_35adjacent_difference_config_selectorILb1ElEEZNS1_24adjacent_difference_implIS3_Lb1ELb0EPlS7_ZN2at6native12_GLOBAL__N_124unique_dim_cuda_templateIN3c108BFloat16EEESt5tupleIJNS8_6TensorESF_SF_EERKSF_lbbbEUlllE1_EE10hipError_tPvRmT2_T3_mT4_P12ihipStream_tbEUlT_E_NS1_11comp_targetILNS1_3genE3ELNS1_11target_archE908ELNS1_3gpuE7ELNS1_3repE0EEENS1_30default_config_static_selectorELNS0_4arch9wavefront6targetE0EEEvT1_ ; -- Begin function _ZN7rocprim17ROCPRIM_400000_NS6detail17trampoline_kernelINS0_14default_configENS1_35adjacent_difference_config_selectorILb1ElEEZNS1_24adjacent_difference_implIS3_Lb1ELb0EPlS7_ZN2at6native12_GLOBAL__N_124unique_dim_cuda_templateIN3c108BFloat16EEESt5tupleIJNS8_6TensorESF_SF_EERKSF_lbbbEUlllE1_EE10hipError_tPvRmT2_T3_mT4_P12ihipStream_tbEUlT_E_NS1_11comp_targetILNS1_3genE3ELNS1_11target_archE908ELNS1_3gpuE7ELNS1_3repE0EEENS1_30default_config_static_selectorELNS0_4arch9wavefront6targetE0EEEvT1_
	.p2align	8
	.type	_ZN7rocprim17ROCPRIM_400000_NS6detail17trampoline_kernelINS0_14default_configENS1_35adjacent_difference_config_selectorILb1ElEEZNS1_24adjacent_difference_implIS3_Lb1ELb0EPlS7_ZN2at6native12_GLOBAL__N_124unique_dim_cuda_templateIN3c108BFloat16EEESt5tupleIJNS8_6TensorESF_SF_EERKSF_lbbbEUlllE1_EE10hipError_tPvRmT2_T3_mT4_P12ihipStream_tbEUlT_E_NS1_11comp_targetILNS1_3genE3ELNS1_11target_archE908ELNS1_3gpuE7ELNS1_3repE0EEENS1_30default_config_static_selectorELNS0_4arch9wavefront6targetE0EEEvT1_,@function
_ZN7rocprim17ROCPRIM_400000_NS6detail17trampoline_kernelINS0_14default_configENS1_35adjacent_difference_config_selectorILb1ElEEZNS1_24adjacent_difference_implIS3_Lb1ELb0EPlS7_ZN2at6native12_GLOBAL__N_124unique_dim_cuda_templateIN3c108BFloat16EEESt5tupleIJNS8_6TensorESF_SF_EERKSF_lbbbEUlllE1_EE10hipError_tPvRmT2_T3_mT4_P12ihipStream_tbEUlT_E_NS1_11comp_targetILNS1_3genE3ELNS1_11target_archE908ELNS1_3gpuE7ELNS1_3repE0EEENS1_30default_config_static_selectorELNS0_4arch9wavefront6targetE0EEEvT1_: ; @_ZN7rocprim17ROCPRIM_400000_NS6detail17trampoline_kernelINS0_14default_configENS1_35adjacent_difference_config_selectorILb1ElEEZNS1_24adjacent_difference_implIS3_Lb1ELb0EPlS7_ZN2at6native12_GLOBAL__N_124unique_dim_cuda_templateIN3c108BFloat16EEESt5tupleIJNS8_6TensorESF_SF_EERKSF_lbbbEUlllE1_EE10hipError_tPvRmT2_T3_mT4_P12ihipStream_tbEUlT_E_NS1_11comp_targetILNS1_3genE3ELNS1_11target_archE908ELNS1_3gpuE7ELNS1_3repE0EEENS1_30default_config_static_selectorELNS0_4arch9wavefront6targetE0EEEvT1_
; %bb.0:
	.section	.rodata,"a",@progbits
	.p2align	6, 0x0
	.amdhsa_kernel _ZN7rocprim17ROCPRIM_400000_NS6detail17trampoline_kernelINS0_14default_configENS1_35adjacent_difference_config_selectorILb1ElEEZNS1_24adjacent_difference_implIS3_Lb1ELb0EPlS7_ZN2at6native12_GLOBAL__N_124unique_dim_cuda_templateIN3c108BFloat16EEESt5tupleIJNS8_6TensorESF_SF_EERKSF_lbbbEUlllE1_EE10hipError_tPvRmT2_T3_mT4_P12ihipStream_tbEUlT_E_NS1_11comp_targetILNS1_3genE3ELNS1_11target_archE908ELNS1_3gpuE7ELNS1_3repE0EEENS1_30default_config_static_selectorELNS0_4arch9wavefront6targetE0EEEvT1_
		.amdhsa_group_segment_fixed_size 0
		.amdhsa_private_segment_fixed_size 0
		.amdhsa_kernarg_size 64
		.amdhsa_user_sgpr_count 2
		.amdhsa_user_sgpr_dispatch_ptr 0
		.amdhsa_user_sgpr_queue_ptr 0
		.amdhsa_user_sgpr_kernarg_segment_ptr 1
		.amdhsa_user_sgpr_dispatch_id 0
		.amdhsa_user_sgpr_kernarg_preload_length 0
		.amdhsa_user_sgpr_kernarg_preload_offset 0
		.amdhsa_user_sgpr_private_segment_size 0
		.amdhsa_wavefront_size32 1
		.amdhsa_uses_dynamic_stack 0
		.amdhsa_enable_private_segment 0
		.amdhsa_system_sgpr_workgroup_id_x 1
		.amdhsa_system_sgpr_workgroup_id_y 0
		.amdhsa_system_sgpr_workgroup_id_z 0
		.amdhsa_system_sgpr_workgroup_info 0
		.amdhsa_system_vgpr_workitem_id 0
		.amdhsa_next_free_vgpr 1
		.amdhsa_next_free_sgpr 1
		.amdhsa_named_barrier_count 0
		.amdhsa_reserve_vcc 0
		.amdhsa_float_round_mode_32 0
		.amdhsa_float_round_mode_16_64 0
		.amdhsa_float_denorm_mode_32 3
		.amdhsa_float_denorm_mode_16_64 3
		.amdhsa_fp16_overflow 0
		.amdhsa_memory_ordered 1
		.amdhsa_forward_progress 1
		.amdhsa_inst_pref_size 0
		.amdhsa_round_robin_scheduling 0
		.amdhsa_exception_fp_ieee_invalid_op 0
		.amdhsa_exception_fp_denorm_src 0
		.amdhsa_exception_fp_ieee_div_zero 0
		.amdhsa_exception_fp_ieee_overflow 0
		.amdhsa_exception_fp_ieee_underflow 0
		.amdhsa_exception_fp_ieee_inexact 0
		.amdhsa_exception_int_div_zero 0
	.end_amdhsa_kernel
	.section	.text._ZN7rocprim17ROCPRIM_400000_NS6detail17trampoline_kernelINS0_14default_configENS1_35adjacent_difference_config_selectorILb1ElEEZNS1_24adjacent_difference_implIS3_Lb1ELb0EPlS7_ZN2at6native12_GLOBAL__N_124unique_dim_cuda_templateIN3c108BFloat16EEESt5tupleIJNS8_6TensorESF_SF_EERKSF_lbbbEUlllE1_EE10hipError_tPvRmT2_T3_mT4_P12ihipStream_tbEUlT_E_NS1_11comp_targetILNS1_3genE3ELNS1_11target_archE908ELNS1_3gpuE7ELNS1_3repE0EEENS1_30default_config_static_selectorELNS0_4arch9wavefront6targetE0EEEvT1_,"axG",@progbits,_ZN7rocprim17ROCPRIM_400000_NS6detail17trampoline_kernelINS0_14default_configENS1_35adjacent_difference_config_selectorILb1ElEEZNS1_24adjacent_difference_implIS3_Lb1ELb0EPlS7_ZN2at6native12_GLOBAL__N_124unique_dim_cuda_templateIN3c108BFloat16EEESt5tupleIJNS8_6TensorESF_SF_EERKSF_lbbbEUlllE1_EE10hipError_tPvRmT2_T3_mT4_P12ihipStream_tbEUlT_E_NS1_11comp_targetILNS1_3genE3ELNS1_11target_archE908ELNS1_3gpuE7ELNS1_3repE0EEENS1_30default_config_static_selectorELNS0_4arch9wavefront6targetE0EEEvT1_,comdat
.Lfunc_end1170:
	.size	_ZN7rocprim17ROCPRIM_400000_NS6detail17trampoline_kernelINS0_14default_configENS1_35adjacent_difference_config_selectorILb1ElEEZNS1_24adjacent_difference_implIS3_Lb1ELb0EPlS7_ZN2at6native12_GLOBAL__N_124unique_dim_cuda_templateIN3c108BFloat16EEESt5tupleIJNS8_6TensorESF_SF_EERKSF_lbbbEUlllE1_EE10hipError_tPvRmT2_T3_mT4_P12ihipStream_tbEUlT_E_NS1_11comp_targetILNS1_3genE3ELNS1_11target_archE908ELNS1_3gpuE7ELNS1_3repE0EEENS1_30default_config_static_selectorELNS0_4arch9wavefront6targetE0EEEvT1_, .Lfunc_end1170-_ZN7rocprim17ROCPRIM_400000_NS6detail17trampoline_kernelINS0_14default_configENS1_35adjacent_difference_config_selectorILb1ElEEZNS1_24adjacent_difference_implIS3_Lb1ELb0EPlS7_ZN2at6native12_GLOBAL__N_124unique_dim_cuda_templateIN3c108BFloat16EEESt5tupleIJNS8_6TensorESF_SF_EERKSF_lbbbEUlllE1_EE10hipError_tPvRmT2_T3_mT4_P12ihipStream_tbEUlT_E_NS1_11comp_targetILNS1_3genE3ELNS1_11target_archE908ELNS1_3gpuE7ELNS1_3repE0EEENS1_30default_config_static_selectorELNS0_4arch9wavefront6targetE0EEEvT1_
                                        ; -- End function
	.set _ZN7rocprim17ROCPRIM_400000_NS6detail17trampoline_kernelINS0_14default_configENS1_35adjacent_difference_config_selectorILb1ElEEZNS1_24adjacent_difference_implIS3_Lb1ELb0EPlS7_ZN2at6native12_GLOBAL__N_124unique_dim_cuda_templateIN3c108BFloat16EEESt5tupleIJNS8_6TensorESF_SF_EERKSF_lbbbEUlllE1_EE10hipError_tPvRmT2_T3_mT4_P12ihipStream_tbEUlT_E_NS1_11comp_targetILNS1_3genE3ELNS1_11target_archE908ELNS1_3gpuE7ELNS1_3repE0EEENS1_30default_config_static_selectorELNS0_4arch9wavefront6targetE0EEEvT1_.num_vgpr, 0
	.set _ZN7rocprim17ROCPRIM_400000_NS6detail17trampoline_kernelINS0_14default_configENS1_35adjacent_difference_config_selectorILb1ElEEZNS1_24adjacent_difference_implIS3_Lb1ELb0EPlS7_ZN2at6native12_GLOBAL__N_124unique_dim_cuda_templateIN3c108BFloat16EEESt5tupleIJNS8_6TensorESF_SF_EERKSF_lbbbEUlllE1_EE10hipError_tPvRmT2_T3_mT4_P12ihipStream_tbEUlT_E_NS1_11comp_targetILNS1_3genE3ELNS1_11target_archE908ELNS1_3gpuE7ELNS1_3repE0EEENS1_30default_config_static_selectorELNS0_4arch9wavefront6targetE0EEEvT1_.num_agpr, 0
	.set _ZN7rocprim17ROCPRIM_400000_NS6detail17trampoline_kernelINS0_14default_configENS1_35adjacent_difference_config_selectorILb1ElEEZNS1_24adjacent_difference_implIS3_Lb1ELb0EPlS7_ZN2at6native12_GLOBAL__N_124unique_dim_cuda_templateIN3c108BFloat16EEESt5tupleIJNS8_6TensorESF_SF_EERKSF_lbbbEUlllE1_EE10hipError_tPvRmT2_T3_mT4_P12ihipStream_tbEUlT_E_NS1_11comp_targetILNS1_3genE3ELNS1_11target_archE908ELNS1_3gpuE7ELNS1_3repE0EEENS1_30default_config_static_selectorELNS0_4arch9wavefront6targetE0EEEvT1_.numbered_sgpr, 0
	.set _ZN7rocprim17ROCPRIM_400000_NS6detail17trampoline_kernelINS0_14default_configENS1_35adjacent_difference_config_selectorILb1ElEEZNS1_24adjacent_difference_implIS3_Lb1ELb0EPlS7_ZN2at6native12_GLOBAL__N_124unique_dim_cuda_templateIN3c108BFloat16EEESt5tupleIJNS8_6TensorESF_SF_EERKSF_lbbbEUlllE1_EE10hipError_tPvRmT2_T3_mT4_P12ihipStream_tbEUlT_E_NS1_11comp_targetILNS1_3genE3ELNS1_11target_archE908ELNS1_3gpuE7ELNS1_3repE0EEENS1_30default_config_static_selectorELNS0_4arch9wavefront6targetE0EEEvT1_.num_named_barrier, 0
	.set _ZN7rocprim17ROCPRIM_400000_NS6detail17trampoline_kernelINS0_14default_configENS1_35adjacent_difference_config_selectorILb1ElEEZNS1_24adjacent_difference_implIS3_Lb1ELb0EPlS7_ZN2at6native12_GLOBAL__N_124unique_dim_cuda_templateIN3c108BFloat16EEESt5tupleIJNS8_6TensorESF_SF_EERKSF_lbbbEUlllE1_EE10hipError_tPvRmT2_T3_mT4_P12ihipStream_tbEUlT_E_NS1_11comp_targetILNS1_3genE3ELNS1_11target_archE908ELNS1_3gpuE7ELNS1_3repE0EEENS1_30default_config_static_selectorELNS0_4arch9wavefront6targetE0EEEvT1_.private_seg_size, 0
	.set _ZN7rocprim17ROCPRIM_400000_NS6detail17trampoline_kernelINS0_14default_configENS1_35adjacent_difference_config_selectorILb1ElEEZNS1_24adjacent_difference_implIS3_Lb1ELb0EPlS7_ZN2at6native12_GLOBAL__N_124unique_dim_cuda_templateIN3c108BFloat16EEESt5tupleIJNS8_6TensorESF_SF_EERKSF_lbbbEUlllE1_EE10hipError_tPvRmT2_T3_mT4_P12ihipStream_tbEUlT_E_NS1_11comp_targetILNS1_3genE3ELNS1_11target_archE908ELNS1_3gpuE7ELNS1_3repE0EEENS1_30default_config_static_selectorELNS0_4arch9wavefront6targetE0EEEvT1_.uses_vcc, 0
	.set _ZN7rocprim17ROCPRIM_400000_NS6detail17trampoline_kernelINS0_14default_configENS1_35adjacent_difference_config_selectorILb1ElEEZNS1_24adjacent_difference_implIS3_Lb1ELb0EPlS7_ZN2at6native12_GLOBAL__N_124unique_dim_cuda_templateIN3c108BFloat16EEESt5tupleIJNS8_6TensorESF_SF_EERKSF_lbbbEUlllE1_EE10hipError_tPvRmT2_T3_mT4_P12ihipStream_tbEUlT_E_NS1_11comp_targetILNS1_3genE3ELNS1_11target_archE908ELNS1_3gpuE7ELNS1_3repE0EEENS1_30default_config_static_selectorELNS0_4arch9wavefront6targetE0EEEvT1_.uses_flat_scratch, 0
	.set _ZN7rocprim17ROCPRIM_400000_NS6detail17trampoline_kernelINS0_14default_configENS1_35adjacent_difference_config_selectorILb1ElEEZNS1_24adjacent_difference_implIS3_Lb1ELb0EPlS7_ZN2at6native12_GLOBAL__N_124unique_dim_cuda_templateIN3c108BFloat16EEESt5tupleIJNS8_6TensorESF_SF_EERKSF_lbbbEUlllE1_EE10hipError_tPvRmT2_T3_mT4_P12ihipStream_tbEUlT_E_NS1_11comp_targetILNS1_3genE3ELNS1_11target_archE908ELNS1_3gpuE7ELNS1_3repE0EEENS1_30default_config_static_selectorELNS0_4arch9wavefront6targetE0EEEvT1_.has_dyn_sized_stack, 0
	.set _ZN7rocprim17ROCPRIM_400000_NS6detail17trampoline_kernelINS0_14default_configENS1_35adjacent_difference_config_selectorILb1ElEEZNS1_24adjacent_difference_implIS3_Lb1ELb0EPlS7_ZN2at6native12_GLOBAL__N_124unique_dim_cuda_templateIN3c108BFloat16EEESt5tupleIJNS8_6TensorESF_SF_EERKSF_lbbbEUlllE1_EE10hipError_tPvRmT2_T3_mT4_P12ihipStream_tbEUlT_E_NS1_11comp_targetILNS1_3genE3ELNS1_11target_archE908ELNS1_3gpuE7ELNS1_3repE0EEENS1_30default_config_static_selectorELNS0_4arch9wavefront6targetE0EEEvT1_.has_recursion, 0
	.set _ZN7rocprim17ROCPRIM_400000_NS6detail17trampoline_kernelINS0_14default_configENS1_35adjacent_difference_config_selectorILb1ElEEZNS1_24adjacent_difference_implIS3_Lb1ELb0EPlS7_ZN2at6native12_GLOBAL__N_124unique_dim_cuda_templateIN3c108BFloat16EEESt5tupleIJNS8_6TensorESF_SF_EERKSF_lbbbEUlllE1_EE10hipError_tPvRmT2_T3_mT4_P12ihipStream_tbEUlT_E_NS1_11comp_targetILNS1_3genE3ELNS1_11target_archE908ELNS1_3gpuE7ELNS1_3repE0EEENS1_30default_config_static_selectorELNS0_4arch9wavefront6targetE0EEEvT1_.has_indirect_call, 0
	.section	.AMDGPU.csdata,"",@progbits
; Kernel info:
; codeLenInByte = 0
; TotalNumSgprs: 0
; NumVgprs: 0
; ScratchSize: 0
; MemoryBound: 0
; FloatMode: 240
; IeeeMode: 1
; LDSByteSize: 0 bytes/workgroup (compile time only)
; SGPRBlocks: 0
; VGPRBlocks: 0
; NumSGPRsForWavesPerEU: 1
; NumVGPRsForWavesPerEU: 1
; NamedBarCnt: 0
; Occupancy: 16
; WaveLimiterHint : 0
; COMPUTE_PGM_RSRC2:SCRATCH_EN: 0
; COMPUTE_PGM_RSRC2:USER_SGPR: 2
; COMPUTE_PGM_RSRC2:TRAP_HANDLER: 0
; COMPUTE_PGM_RSRC2:TGID_X_EN: 1
; COMPUTE_PGM_RSRC2:TGID_Y_EN: 0
; COMPUTE_PGM_RSRC2:TGID_Z_EN: 0
; COMPUTE_PGM_RSRC2:TIDIG_COMP_CNT: 0
	.section	.text._ZN7rocprim17ROCPRIM_400000_NS6detail17trampoline_kernelINS0_14default_configENS1_35adjacent_difference_config_selectorILb1ElEEZNS1_24adjacent_difference_implIS3_Lb1ELb0EPlS7_ZN2at6native12_GLOBAL__N_124unique_dim_cuda_templateIN3c108BFloat16EEESt5tupleIJNS8_6TensorESF_SF_EERKSF_lbbbEUlllE1_EE10hipError_tPvRmT2_T3_mT4_P12ihipStream_tbEUlT_E_NS1_11comp_targetILNS1_3genE2ELNS1_11target_archE906ELNS1_3gpuE6ELNS1_3repE0EEENS1_30default_config_static_selectorELNS0_4arch9wavefront6targetE0EEEvT1_,"axG",@progbits,_ZN7rocprim17ROCPRIM_400000_NS6detail17trampoline_kernelINS0_14default_configENS1_35adjacent_difference_config_selectorILb1ElEEZNS1_24adjacent_difference_implIS3_Lb1ELb0EPlS7_ZN2at6native12_GLOBAL__N_124unique_dim_cuda_templateIN3c108BFloat16EEESt5tupleIJNS8_6TensorESF_SF_EERKSF_lbbbEUlllE1_EE10hipError_tPvRmT2_T3_mT4_P12ihipStream_tbEUlT_E_NS1_11comp_targetILNS1_3genE2ELNS1_11target_archE906ELNS1_3gpuE6ELNS1_3repE0EEENS1_30default_config_static_selectorELNS0_4arch9wavefront6targetE0EEEvT1_,comdat
	.globl	_ZN7rocprim17ROCPRIM_400000_NS6detail17trampoline_kernelINS0_14default_configENS1_35adjacent_difference_config_selectorILb1ElEEZNS1_24adjacent_difference_implIS3_Lb1ELb0EPlS7_ZN2at6native12_GLOBAL__N_124unique_dim_cuda_templateIN3c108BFloat16EEESt5tupleIJNS8_6TensorESF_SF_EERKSF_lbbbEUlllE1_EE10hipError_tPvRmT2_T3_mT4_P12ihipStream_tbEUlT_E_NS1_11comp_targetILNS1_3genE2ELNS1_11target_archE906ELNS1_3gpuE6ELNS1_3repE0EEENS1_30default_config_static_selectorELNS0_4arch9wavefront6targetE0EEEvT1_ ; -- Begin function _ZN7rocprim17ROCPRIM_400000_NS6detail17trampoline_kernelINS0_14default_configENS1_35adjacent_difference_config_selectorILb1ElEEZNS1_24adjacent_difference_implIS3_Lb1ELb0EPlS7_ZN2at6native12_GLOBAL__N_124unique_dim_cuda_templateIN3c108BFloat16EEESt5tupleIJNS8_6TensorESF_SF_EERKSF_lbbbEUlllE1_EE10hipError_tPvRmT2_T3_mT4_P12ihipStream_tbEUlT_E_NS1_11comp_targetILNS1_3genE2ELNS1_11target_archE906ELNS1_3gpuE6ELNS1_3repE0EEENS1_30default_config_static_selectorELNS0_4arch9wavefront6targetE0EEEvT1_
	.p2align	8
	.type	_ZN7rocprim17ROCPRIM_400000_NS6detail17trampoline_kernelINS0_14default_configENS1_35adjacent_difference_config_selectorILb1ElEEZNS1_24adjacent_difference_implIS3_Lb1ELb0EPlS7_ZN2at6native12_GLOBAL__N_124unique_dim_cuda_templateIN3c108BFloat16EEESt5tupleIJNS8_6TensorESF_SF_EERKSF_lbbbEUlllE1_EE10hipError_tPvRmT2_T3_mT4_P12ihipStream_tbEUlT_E_NS1_11comp_targetILNS1_3genE2ELNS1_11target_archE906ELNS1_3gpuE6ELNS1_3repE0EEENS1_30default_config_static_selectorELNS0_4arch9wavefront6targetE0EEEvT1_,@function
_ZN7rocprim17ROCPRIM_400000_NS6detail17trampoline_kernelINS0_14default_configENS1_35adjacent_difference_config_selectorILb1ElEEZNS1_24adjacent_difference_implIS3_Lb1ELb0EPlS7_ZN2at6native12_GLOBAL__N_124unique_dim_cuda_templateIN3c108BFloat16EEESt5tupleIJNS8_6TensorESF_SF_EERKSF_lbbbEUlllE1_EE10hipError_tPvRmT2_T3_mT4_P12ihipStream_tbEUlT_E_NS1_11comp_targetILNS1_3genE2ELNS1_11target_archE906ELNS1_3gpuE6ELNS1_3repE0EEENS1_30default_config_static_selectorELNS0_4arch9wavefront6targetE0EEEvT1_: ; @_ZN7rocprim17ROCPRIM_400000_NS6detail17trampoline_kernelINS0_14default_configENS1_35adjacent_difference_config_selectorILb1ElEEZNS1_24adjacent_difference_implIS3_Lb1ELb0EPlS7_ZN2at6native12_GLOBAL__N_124unique_dim_cuda_templateIN3c108BFloat16EEESt5tupleIJNS8_6TensorESF_SF_EERKSF_lbbbEUlllE1_EE10hipError_tPvRmT2_T3_mT4_P12ihipStream_tbEUlT_E_NS1_11comp_targetILNS1_3genE2ELNS1_11target_archE906ELNS1_3gpuE6ELNS1_3repE0EEENS1_30default_config_static_selectorELNS0_4arch9wavefront6targetE0EEEvT1_
; %bb.0:
	.section	.rodata,"a",@progbits
	.p2align	6, 0x0
	.amdhsa_kernel _ZN7rocprim17ROCPRIM_400000_NS6detail17trampoline_kernelINS0_14default_configENS1_35adjacent_difference_config_selectorILb1ElEEZNS1_24adjacent_difference_implIS3_Lb1ELb0EPlS7_ZN2at6native12_GLOBAL__N_124unique_dim_cuda_templateIN3c108BFloat16EEESt5tupleIJNS8_6TensorESF_SF_EERKSF_lbbbEUlllE1_EE10hipError_tPvRmT2_T3_mT4_P12ihipStream_tbEUlT_E_NS1_11comp_targetILNS1_3genE2ELNS1_11target_archE906ELNS1_3gpuE6ELNS1_3repE0EEENS1_30default_config_static_selectorELNS0_4arch9wavefront6targetE0EEEvT1_
		.amdhsa_group_segment_fixed_size 0
		.amdhsa_private_segment_fixed_size 0
		.amdhsa_kernarg_size 64
		.amdhsa_user_sgpr_count 2
		.amdhsa_user_sgpr_dispatch_ptr 0
		.amdhsa_user_sgpr_queue_ptr 0
		.amdhsa_user_sgpr_kernarg_segment_ptr 1
		.amdhsa_user_sgpr_dispatch_id 0
		.amdhsa_user_sgpr_kernarg_preload_length 0
		.amdhsa_user_sgpr_kernarg_preload_offset 0
		.amdhsa_user_sgpr_private_segment_size 0
		.amdhsa_wavefront_size32 1
		.amdhsa_uses_dynamic_stack 0
		.amdhsa_enable_private_segment 0
		.amdhsa_system_sgpr_workgroup_id_x 1
		.amdhsa_system_sgpr_workgroup_id_y 0
		.amdhsa_system_sgpr_workgroup_id_z 0
		.amdhsa_system_sgpr_workgroup_info 0
		.amdhsa_system_vgpr_workitem_id 0
		.amdhsa_next_free_vgpr 1
		.amdhsa_next_free_sgpr 1
		.amdhsa_named_barrier_count 0
		.amdhsa_reserve_vcc 0
		.amdhsa_float_round_mode_32 0
		.amdhsa_float_round_mode_16_64 0
		.amdhsa_float_denorm_mode_32 3
		.amdhsa_float_denorm_mode_16_64 3
		.amdhsa_fp16_overflow 0
		.amdhsa_memory_ordered 1
		.amdhsa_forward_progress 1
		.amdhsa_inst_pref_size 0
		.amdhsa_round_robin_scheduling 0
		.amdhsa_exception_fp_ieee_invalid_op 0
		.amdhsa_exception_fp_denorm_src 0
		.amdhsa_exception_fp_ieee_div_zero 0
		.amdhsa_exception_fp_ieee_overflow 0
		.amdhsa_exception_fp_ieee_underflow 0
		.amdhsa_exception_fp_ieee_inexact 0
		.amdhsa_exception_int_div_zero 0
	.end_amdhsa_kernel
	.section	.text._ZN7rocprim17ROCPRIM_400000_NS6detail17trampoline_kernelINS0_14default_configENS1_35adjacent_difference_config_selectorILb1ElEEZNS1_24adjacent_difference_implIS3_Lb1ELb0EPlS7_ZN2at6native12_GLOBAL__N_124unique_dim_cuda_templateIN3c108BFloat16EEESt5tupleIJNS8_6TensorESF_SF_EERKSF_lbbbEUlllE1_EE10hipError_tPvRmT2_T3_mT4_P12ihipStream_tbEUlT_E_NS1_11comp_targetILNS1_3genE2ELNS1_11target_archE906ELNS1_3gpuE6ELNS1_3repE0EEENS1_30default_config_static_selectorELNS0_4arch9wavefront6targetE0EEEvT1_,"axG",@progbits,_ZN7rocprim17ROCPRIM_400000_NS6detail17trampoline_kernelINS0_14default_configENS1_35adjacent_difference_config_selectorILb1ElEEZNS1_24adjacent_difference_implIS3_Lb1ELb0EPlS7_ZN2at6native12_GLOBAL__N_124unique_dim_cuda_templateIN3c108BFloat16EEESt5tupleIJNS8_6TensorESF_SF_EERKSF_lbbbEUlllE1_EE10hipError_tPvRmT2_T3_mT4_P12ihipStream_tbEUlT_E_NS1_11comp_targetILNS1_3genE2ELNS1_11target_archE906ELNS1_3gpuE6ELNS1_3repE0EEENS1_30default_config_static_selectorELNS0_4arch9wavefront6targetE0EEEvT1_,comdat
.Lfunc_end1171:
	.size	_ZN7rocprim17ROCPRIM_400000_NS6detail17trampoline_kernelINS0_14default_configENS1_35adjacent_difference_config_selectorILb1ElEEZNS1_24adjacent_difference_implIS3_Lb1ELb0EPlS7_ZN2at6native12_GLOBAL__N_124unique_dim_cuda_templateIN3c108BFloat16EEESt5tupleIJNS8_6TensorESF_SF_EERKSF_lbbbEUlllE1_EE10hipError_tPvRmT2_T3_mT4_P12ihipStream_tbEUlT_E_NS1_11comp_targetILNS1_3genE2ELNS1_11target_archE906ELNS1_3gpuE6ELNS1_3repE0EEENS1_30default_config_static_selectorELNS0_4arch9wavefront6targetE0EEEvT1_, .Lfunc_end1171-_ZN7rocprim17ROCPRIM_400000_NS6detail17trampoline_kernelINS0_14default_configENS1_35adjacent_difference_config_selectorILb1ElEEZNS1_24adjacent_difference_implIS3_Lb1ELb0EPlS7_ZN2at6native12_GLOBAL__N_124unique_dim_cuda_templateIN3c108BFloat16EEESt5tupleIJNS8_6TensorESF_SF_EERKSF_lbbbEUlllE1_EE10hipError_tPvRmT2_T3_mT4_P12ihipStream_tbEUlT_E_NS1_11comp_targetILNS1_3genE2ELNS1_11target_archE906ELNS1_3gpuE6ELNS1_3repE0EEENS1_30default_config_static_selectorELNS0_4arch9wavefront6targetE0EEEvT1_
                                        ; -- End function
	.set _ZN7rocprim17ROCPRIM_400000_NS6detail17trampoline_kernelINS0_14default_configENS1_35adjacent_difference_config_selectorILb1ElEEZNS1_24adjacent_difference_implIS3_Lb1ELb0EPlS7_ZN2at6native12_GLOBAL__N_124unique_dim_cuda_templateIN3c108BFloat16EEESt5tupleIJNS8_6TensorESF_SF_EERKSF_lbbbEUlllE1_EE10hipError_tPvRmT2_T3_mT4_P12ihipStream_tbEUlT_E_NS1_11comp_targetILNS1_3genE2ELNS1_11target_archE906ELNS1_3gpuE6ELNS1_3repE0EEENS1_30default_config_static_selectorELNS0_4arch9wavefront6targetE0EEEvT1_.num_vgpr, 0
	.set _ZN7rocprim17ROCPRIM_400000_NS6detail17trampoline_kernelINS0_14default_configENS1_35adjacent_difference_config_selectorILb1ElEEZNS1_24adjacent_difference_implIS3_Lb1ELb0EPlS7_ZN2at6native12_GLOBAL__N_124unique_dim_cuda_templateIN3c108BFloat16EEESt5tupleIJNS8_6TensorESF_SF_EERKSF_lbbbEUlllE1_EE10hipError_tPvRmT2_T3_mT4_P12ihipStream_tbEUlT_E_NS1_11comp_targetILNS1_3genE2ELNS1_11target_archE906ELNS1_3gpuE6ELNS1_3repE0EEENS1_30default_config_static_selectorELNS0_4arch9wavefront6targetE0EEEvT1_.num_agpr, 0
	.set _ZN7rocprim17ROCPRIM_400000_NS6detail17trampoline_kernelINS0_14default_configENS1_35adjacent_difference_config_selectorILb1ElEEZNS1_24adjacent_difference_implIS3_Lb1ELb0EPlS7_ZN2at6native12_GLOBAL__N_124unique_dim_cuda_templateIN3c108BFloat16EEESt5tupleIJNS8_6TensorESF_SF_EERKSF_lbbbEUlllE1_EE10hipError_tPvRmT2_T3_mT4_P12ihipStream_tbEUlT_E_NS1_11comp_targetILNS1_3genE2ELNS1_11target_archE906ELNS1_3gpuE6ELNS1_3repE0EEENS1_30default_config_static_selectorELNS0_4arch9wavefront6targetE0EEEvT1_.numbered_sgpr, 0
	.set _ZN7rocprim17ROCPRIM_400000_NS6detail17trampoline_kernelINS0_14default_configENS1_35adjacent_difference_config_selectorILb1ElEEZNS1_24adjacent_difference_implIS3_Lb1ELb0EPlS7_ZN2at6native12_GLOBAL__N_124unique_dim_cuda_templateIN3c108BFloat16EEESt5tupleIJNS8_6TensorESF_SF_EERKSF_lbbbEUlllE1_EE10hipError_tPvRmT2_T3_mT4_P12ihipStream_tbEUlT_E_NS1_11comp_targetILNS1_3genE2ELNS1_11target_archE906ELNS1_3gpuE6ELNS1_3repE0EEENS1_30default_config_static_selectorELNS0_4arch9wavefront6targetE0EEEvT1_.num_named_barrier, 0
	.set _ZN7rocprim17ROCPRIM_400000_NS6detail17trampoline_kernelINS0_14default_configENS1_35adjacent_difference_config_selectorILb1ElEEZNS1_24adjacent_difference_implIS3_Lb1ELb0EPlS7_ZN2at6native12_GLOBAL__N_124unique_dim_cuda_templateIN3c108BFloat16EEESt5tupleIJNS8_6TensorESF_SF_EERKSF_lbbbEUlllE1_EE10hipError_tPvRmT2_T3_mT4_P12ihipStream_tbEUlT_E_NS1_11comp_targetILNS1_3genE2ELNS1_11target_archE906ELNS1_3gpuE6ELNS1_3repE0EEENS1_30default_config_static_selectorELNS0_4arch9wavefront6targetE0EEEvT1_.private_seg_size, 0
	.set _ZN7rocprim17ROCPRIM_400000_NS6detail17trampoline_kernelINS0_14default_configENS1_35adjacent_difference_config_selectorILb1ElEEZNS1_24adjacent_difference_implIS3_Lb1ELb0EPlS7_ZN2at6native12_GLOBAL__N_124unique_dim_cuda_templateIN3c108BFloat16EEESt5tupleIJNS8_6TensorESF_SF_EERKSF_lbbbEUlllE1_EE10hipError_tPvRmT2_T3_mT4_P12ihipStream_tbEUlT_E_NS1_11comp_targetILNS1_3genE2ELNS1_11target_archE906ELNS1_3gpuE6ELNS1_3repE0EEENS1_30default_config_static_selectorELNS0_4arch9wavefront6targetE0EEEvT1_.uses_vcc, 0
	.set _ZN7rocprim17ROCPRIM_400000_NS6detail17trampoline_kernelINS0_14default_configENS1_35adjacent_difference_config_selectorILb1ElEEZNS1_24adjacent_difference_implIS3_Lb1ELb0EPlS7_ZN2at6native12_GLOBAL__N_124unique_dim_cuda_templateIN3c108BFloat16EEESt5tupleIJNS8_6TensorESF_SF_EERKSF_lbbbEUlllE1_EE10hipError_tPvRmT2_T3_mT4_P12ihipStream_tbEUlT_E_NS1_11comp_targetILNS1_3genE2ELNS1_11target_archE906ELNS1_3gpuE6ELNS1_3repE0EEENS1_30default_config_static_selectorELNS0_4arch9wavefront6targetE0EEEvT1_.uses_flat_scratch, 0
	.set _ZN7rocprim17ROCPRIM_400000_NS6detail17trampoline_kernelINS0_14default_configENS1_35adjacent_difference_config_selectorILb1ElEEZNS1_24adjacent_difference_implIS3_Lb1ELb0EPlS7_ZN2at6native12_GLOBAL__N_124unique_dim_cuda_templateIN3c108BFloat16EEESt5tupleIJNS8_6TensorESF_SF_EERKSF_lbbbEUlllE1_EE10hipError_tPvRmT2_T3_mT4_P12ihipStream_tbEUlT_E_NS1_11comp_targetILNS1_3genE2ELNS1_11target_archE906ELNS1_3gpuE6ELNS1_3repE0EEENS1_30default_config_static_selectorELNS0_4arch9wavefront6targetE0EEEvT1_.has_dyn_sized_stack, 0
	.set _ZN7rocprim17ROCPRIM_400000_NS6detail17trampoline_kernelINS0_14default_configENS1_35adjacent_difference_config_selectorILb1ElEEZNS1_24adjacent_difference_implIS3_Lb1ELb0EPlS7_ZN2at6native12_GLOBAL__N_124unique_dim_cuda_templateIN3c108BFloat16EEESt5tupleIJNS8_6TensorESF_SF_EERKSF_lbbbEUlllE1_EE10hipError_tPvRmT2_T3_mT4_P12ihipStream_tbEUlT_E_NS1_11comp_targetILNS1_3genE2ELNS1_11target_archE906ELNS1_3gpuE6ELNS1_3repE0EEENS1_30default_config_static_selectorELNS0_4arch9wavefront6targetE0EEEvT1_.has_recursion, 0
	.set _ZN7rocprim17ROCPRIM_400000_NS6detail17trampoline_kernelINS0_14default_configENS1_35adjacent_difference_config_selectorILb1ElEEZNS1_24adjacent_difference_implIS3_Lb1ELb0EPlS7_ZN2at6native12_GLOBAL__N_124unique_dim_cuda_templateIN3c108BFloat16EEESt5tupleIJNS8_6TensorESF_SF_EERKSF_lbbbEUlllE1_EE10hipError_tPvRmT2_T3_mT4_P12ihipStream_tbEUlT_E_NS1_11comp_targetILNS1_3genE2ELNS1_11target_archE906ELNS1_3gpuE6ELNS1_3repE0EEENS1_30default_config_static_selectorELNS0_4arch9wavefront6targetE0EEEvT1_.has_indirect_call, 0
	.section	.AMDGPU.csdata,"",@progbits
; Kernel info:
; codeLenInByte = 0
; TotalNumSgprs: 0
; NumVgprs: 0
; ScratchSize: 0
; MemoryBound: 0
; FloatMode: 240
; IeeeMode: 1
; LDSByteSize: 0 bytes/workgroup (compile time only)
; SGPRBlocks: 0
; VGPRBlocks: 0
; NumSGPRsForWavesPerEU: 1
; NumVGPRsForWavesPerEU: 1
; NamedBarCnt: 0
; Occupancy: 16
; WaveLimiterHint : 0
; COMPUTE_PGM_RSRC2:SCRATCH_EN: 0
; COMPUTE_PGM_RSRC2:USER_SGPR: 2
; COMPUTE_PGM_RSRC2:TRAP_HANDLER: 0
; COMPUTE_PGM_RSRC2:TGID_X_EN: 1
; COMPUTE_PGM_RSRC2:TGID_Y_EN: 0
; COMPUTE_PGM_RSRC2:TGID_Z_EN: 0
; COMPUTE_PGM_RSRC2:TIDIG_COMP_CNT: 0
	.section	.text._ZN7rocprim17ROCPRIM_400000_NS6detail17trampoline_kernelINS0_14default_configENS1_35adjacent_difference_config_selectorILb1ElEEZNS1_24adjacent_difference_implIS3_Lb1ELb0EPlS7_ZN2at6native12_GLOBAL__N_124unique_dim_cuda_templateIN3c108BFloat16EEESt5tupleIJNS8_6TensorESF_SF_EERKSF_lbbbEUlllE1_EE10hipError_tPvRmT2_T3_mT4_P12ihipStream_tbEUlT_E_NS1_11comp_targetILNS1_3genE9ELNS1_11target_archE1100ELNS1_3gpuE3ELNS1_3repE0EEENS1_30default_config_static_selectorELNS0_4arch9wavefront6targetE0EEEvT1_,"axG",@progbits,_ZN7rocprim17ROCPRIM_400000_NS6detail17trampoline_kernelINS0_14default_configENS1_35adjacent_difference_config_selectorILb1ElEEZNS1_24adjacent_difference_implIS3_Lb1ELb0EPlS7_ZN2at6native12_GLOBAL__N_124unique_dim_cuda_templateIN3c108BFloat16EEESt5tupleIJNS8_6TensorESF_SF_EERKSF_lbbbEUlllE1_EE10hipError_tPvRmT2_T3_mT4_P12ihipStream_tbEUlT_E_NS1_11comp_targetILNS1_3genE9ELNS1_11target_archE1100ELNS1_3gpuE3ELNS1_3repE0EEENS1_30default_config_static_selectorELNS0_4arch9wavefront6targetE0EEEvT1_,comdat
	.globl	_ZN7rocprim17ROCPRIM_400000_NS6detail17trampoline_kernelINS0_14default_configENS1_35adjacent_difference_config_selectorILb1ElEEZNS1_24adjacent_difference_implIS3_Lb1ELb0EPlS7_ZN2at6native12_GLOBAL__N_124unique_dim_cuda_templateIN3c108BFloat16EEESt5tupleIJNS8_6TensorESF_SF_EERKSF_lbbbEUlllE1_EE10hipError_tPvRmT2_T3_mT4_P12ihipStream_tbEUlT_E_NS1_11comp_targetILNS1_3genE9ELNS1_11target_archE1100ELNS1_3gpuE3ELNS1_3repE0EEENS1_30default_config_static_selectorELNS0_4arch9wavefront6targetE0EEEvT1_ ; -- Begin function _ZN7rocprim17ROCPRIM_400000_NS6detail17trampoline_kernelINS0_14default_configENS1_35adjacent_difference_config_selectorILb1ElEEZNS1_24adjacent_difference_implIS3_Lb1ELb0EPlS7_ZN2at6native12_GLOBAL__N_124unique_dim_cuda_templateIN3c108BFloat16EEESt5tupleIJNS8_6TensorESF_SF_EERKSF_lbbbEUlllE1_EE10hipError_tPvRmT2_T3_mT4_P12ihipStream_tbEUlT_E_NS1_11comp_targetILNS1_3genE9ELNS1_11target_archE1100ELNS1_3gpuE3ELNS1_3repE0EEENS1_30default_config_static_selectorELNS0_4arch9wavefront6targetE0EEEvT1_
	.p2align	8
	.type	_ZN7rocprim17ROCPRIM_400000_NS6detail17trampoline_kernelINS0_14default_configENS1_35adjacent_difference_config_selectorILb1ElEEZNS1_24adjacent_difference_implIS3_Lb1ELb0EPlS7_ZN2at6native12_GLOBAL__N_124unique_dim_cuda_templateIN3c108BFloat16EEESt5tupleIJNS8_6TensorESF_SF_EERKSF_lbbbEUlllE1_EE10hipError_tPvRmT2_T3_mT4_P12ihipStream_tbEUlT_E_NS1_11comp_targetILNS1_3genE9ELNS1_11target_archE1100ELNS1_3gpuE3ELNS1_3repE0EEENS1_30default_config_static_selectorELNS0_4arch9wavefront6targetE0EEEvT1_,@function
_ZN7rocprim17ROCPRIM_400000_NS6detail17trampoline_kernelINS0_14default_configENS1_35adjacent_difference_config_selectorILb1ElEEZNS1_24adjacent_difference_implIS3_Lb1ELb0EPlS7_ZN2at6native12_GLOBAL__N_124unique_dim_cuda_templateIN3c108BFloat16EEESt5tupleIJNS8_6TensorESF_SF_EERKSF_lbbbEUlllE1_EE10hipError_tPvRmT2_T3_mT4_P12ihipStream_tbEUlT_E_NS1_11comp_targetILNS1_3genE9ELNS1_11target_archE1100ELNS1_3gpuE3ELNS1_3repE0EEENS1_30default_config_static_selectorELNS0_4arch9wavefront6targetE0EEEvT1_: ; @_ZN7rocprim17ROCPRIM_400000_NS6detail17trampoline_kernelINS0_14default_configENS1_35adjacent_difference_config_selectorILb1ElEEZNS1_24adjacent_difference_implIS3_Lb1ELb0EPlS7_ZN2at6native12_GLOBAL__N_124unique_dim_cuda_templateIN3c108BFloat16EEESt5tupleIJNS8_6TensorESF_SF_EERKSF_lbbbEUlllE1_EE10hipError_tPvRmT2_T3_mT4_P12ihipStream_tbEUlT_E_NS1_11comp_targetILNS1_3genE9ELNS1_11target_archE1100ELNS1_3gpuE3ELNS1_3repE0EEENS1_30default_config_static_selectorELNS0_4arch9wavefront6targetE0EEEvT1_
; %bb.0:
	.section	.rodata,"a",@progbits
	.p2align	6, 0x0
	.amdhsa_kernel _ZN7rocprim17ROCPRIM_400000_NS6detail17trampoline_kernelINS0_14default_configENS1_35adjacent_difference_config_selectorILb1ElEEZNS1_24adjacent_difference_implIS3_Lb1ELb0EPlS7_ZN2at6native12_GLOBAL__N_124unique_dim_cuda_templateIN3c108BFloat16EEESt5tupleIJNS8_6TensorESF_SF_EERKSF_lbbbEUlllE1_EE10hipError_tPvRmT2_T3_mT4_P12ihipStream_tbEUlT_E_NS1_11comp_targetILNS1_3genE9ELNS1_11target_archE1100ELNS1_3gpuE3ELNS1_3repE0EEENS1_30default_config_static_selectorELNS0_4arch9wavefront6targetE0EEEvT1_
		.amdhsa_group_segment_fixed_size 0
		.amdhsa_private_segment_fixed_size 0
		.amdhsa_kernarg_size 64
		.amdhsa_user_sgpr_count 2
		.amdhsa_user_sgpr_dispatch_ptr 0
		.amdhsa_user_sgpr_queue_ptr 0
		.amdhsa_user_sgpr_kernarg_segment_ptr 1
		.amdhsa_user_sgpr_dispatch_id 0
		.amdhsa_user_sgpr_kernarg_preload_length 0
		.amdhsa_user_sgpr_kernarg_preload_offset 0
		.amdhsa_user_sgpr_private_segment_size 0
		.amdhsa_wavefront_size32 1
		.amdhsa_uses_dynamic_stack 0
		.amdhsa_enable_private_segment 0
		.amdhsa_system_sgpr_workgroup_id_x 1
		.amdhsa_system_sgpr_workgroup_id_y 0
		.amdhsa_system_sgpr_workgroup_id_z 0
		.amdhsa_system_sgpr_workgroup_info 0
		.amdhsa_system_vgpr_workitem_id 0
		.amdhsa_next_free_vgpr 1
		.amdhsa_next_free_sgpr 1
		.amdhsa_named_barrier_count 0
		.amdhsa_reserve_vcc 0
		.amdhsa_float_round_mode_32 0
		.amdhsa_float_round_mode_16_64 0
		.amdhsa_float_denorm_mode_32 3
		.amdhsa_float_denorm_mode_16_64 3
		.amdhsa_fp16_overflow 0
		.amdhsa_memory_ordered 1
		.amdhsa_forward_progress 1
		.amdhsa_inst_pref_size 0
		.amdhsa_round_robin_scheduling 0
		.amdhsa_exception_fp_ieee_invalid_op 0
		.amdhsa_exception_fp_denorm_src 0
		.amdhsa_exception_fp_ieee_div_zero 0
		.amdhsa_exception_fp_ieee_overflow 0
		.amdhsa_exception_fp_ieee_underflow 0
		.amdhsa_exception_fp_ieee_inexact 0
		.amdhsa_exception_int_div_zero 0
	.end_amdhsa_kernel
	.section	.text._ZN7rocprim17ROCPRIM_400000_NS6detail17trampoline_kernelINS0_14default_configENS1_35adjacent_difference_config_selectorILb1ElEEZNS1_24adjacent_difference_implIS3_Lb1ELb0EPlS7_ZN2at6native12_GLOBAL__N_124unique_dim_cuda_templateIN3c108BFloat16EEESt5tupleIJNS8_6TensorESF_SF_EERKSF_lbbbEUlllE1_EE10hipError_tPvRmT2_T3_mT4_P12ihipStream_tbEUlT_E_NS1_11comp_targetILNS1_3genE9ELNS1_11target_archE1100ELNS1_3gpuE3ELNS1_3repE0EEENS1_30default_config_static_selectorELNS0_4arch9wavefront6targetE0EEEvT1_,"axG",@progbits,_ZN7rocprim17ROCPRIM_400000_NS6detail17trampoline_kernelINS0_14default_configENS1_35adjacent_difference_config_selectorILb1ElEEZNS1_24adjacent_difference_implIS3_Lb1ELb0EPlS7_ZN2at6native12_GLOBAL__N_124unique_dim_cuda_templateIN3c108BFloat16EEESt5tupleIJNS8_6TensorESF_SF_EERKSF_lbbbEUlllE1_EE10hipError_tPvRmT2_T3_mT4_P12ihipStream_tbEUlT_E_NS1_11comp_targetILNS1_3genE9ELNS1_11target_archE1100ELNS1_3gpuE3ELNS1_3repE0EEENS1_30default_config_static_selectorELNS0_4arch9wavefront6targetE0EEEvT1_,comdat
.Lfunc_end1172:
	.size	_ZN7rocprim17ROCPRIM_400000_NS6detail17trampoline_kernelINS0_14default_configENS1_35adjacent_difference_config_selectorILb1ElEEZNS1_24adjacent_difference_implIS3_Lb1ELb0EPlS7_ZN2at6native12_GLOBAL__N_124unique_dim_cuda_templateIN3c108BFloat16EEESt5tupleIJNS8_6TensorESF_SF_EERKSF_lbbbEUlllE1_EE10hipError_tPvRmT2_T3_mT4_P12ihipStream_tbEUlT_E_NS1_11comp_targetILNS1_3genE9ELNS1_11target_archE1100ELNS1_3gpuE3ELNS1_3repE0EEENS1_30default_config_static_selectorELNS0_4arch9wavefront6targetE0EEEvT1_, .Lfunc_end1172-_ZN7rocprim17ROCPRIM_400000_NS6detail17trampoline_kernelINS0_14default_configENS1_35adjacent_difference_config_selectorILb1ElEEZNS1_24adjacent_difference_implIS3_Lb1ELb0EPlS7_ZN2at6native12_GLOBAL__N_124unique_dim_cuda_templateIN3c108BFloat16EEESt5tupleIJNS8_6TensorESF_SF_EERKSF_lbbbEUlllE1_EE10hipError_tPvRmT2_T3_mT4_P12ihipStream_tbEUlT_E_NS1_11comp_targetILNS1_3genE9ELNS1_11target_archE1100ELNS1_3gpuE3ELNS1_3repE0EEENS1_30default_config_static_selectorELNS0_4arch9wavefront6targetE0EEEvT1_
                                        ; -- End function
	.set _ZN7rocprim17ROCPRIM_400000_NS6detail17trampoline_kernelINS0_14default_configENS1_35adjacent_difference_config_selectorILb1ElEEZNS1_24adjacent_difference_implIS3_Lb1ELb0EPlS7_ZN2at6native12_GLOBAL__N_124unique_dim_cuda_templateIN3c108BFloat16EEESt5tupleIJNS8_6TensorESF_SF_EERKSF_lbbbEUlllE1_EE10hipError_tPvRmT2_T3_mT4_P12ihipStream_tbEUlT_E_NS1_11comp_targetILNS1_3genE9ELNS1_11target_archE1100ELNS1_3gpuE3ELNS1_3repE0EEENS1_30default_config_static_selectorELNS0_4arch9wavefront6targetE0EEEvT1_.num_vgpr, 0
	.set _ZN7rocprim17ROCPRIM_400000_NS6detail17trampoline_kernelINS0_14default_configENS1_35adjacent_difference_config_selectorILb1ElEEZNS1_24adjacent_difference_implIS3_Lb1ELb0EPlS7_ZN2at6native12_GLOBAL__N_124unique_dim_cuda_templateIN3c108BFloat16EEESt5tupleIJNS8_6TensorESF_SF_EERKSF_lbbbEUlllE1_EE10hipError_tPvRmT2_T3_mT4_P12ihipStream_tbEUlT_E_NS1_11comp_targetILNS1_3genE9ELNS1_11target_archE1100ELNS1_3gpuE3ELNS1_3repE0EEENS1_30default_config_static_selectorELNS0_4arch9wavefront6targetE0EEEvT1_.num_agpr, 0
	.set _ZN7rocprim17ROCPRIM_400000_NS6detail17trampoline_kernelINS0_14default_configENS1_35adjacent_difference_config_selectorILb1ElEEZNS1_24adjacent_difference_implIS3_Lb1ELb0EPlS7_ZN2at6native12_GLOBAL__N_124unique_dim_cuda_templateIN3c108BFloat16EEESt5tupleIJNS8_6TensorESF_SF_EERKSF_lbbbEUlllE1_EE10hipError_tPvRmT2_T3_mT4_P12ihipStream_tbEUlT_E_NS1_11comp_targetILNS1_3genE9ELNS1_11target_archE1100ELNS1_3gpuE3ELNS1_3repE0EEENS1_30default_config_static_selectorELNS0_4arch9wavefront6targetE0EEEvT1_.numbered_sgpr, 0
	.set _ZN7rocprim17ROCPRIM_400000_NS6detail17trampoline_kernelINS0_14default_configENS1_35adjacent_difference_config_selectorILb1ElEEZNS1_24adjacent_difference_implIS3_Lb1ELb0EPlS7_ZN2at6native12_GLOBAL__N_124unique_dim_cuda_templateIN3c108BFloat16EEESt5tupleIJNS8_6TensorESF_SF_EERKSF_lbbbEUlllE1_EE10hipError_tPvRmT2_T3_mT4_P12ihipStream_tbEUlT_E_NS1_11comp_targetILNS1_3genE9ELNS1_11target_archE1100ELNS1_3gpuE3ELNS1_3repE0EEENS1_30default_config_static_selectorELNS0_4arch9wavefront6targetE0EEEvT1_.num_named_barrier, 0
	.set _ZN7rocprim17ROCPRIM_400000_NS6detail17trampoline_kernelINS0_14default_configENS1_35adjacent_difference_config_selectorILb1ElEEZNS1_24adjacent_difference_implIS3_Lb1ELb0EPlS7_ZN2at6native12_GLOBAL__N_124unique_dim_cuda_templateIN3c108BFloat16EEESt5tupleIJNS8_6TensorESF_SF_EERKSF_lbbbEUlllE1_EE10hipError_tPvRmT2_T3_mT4_P12ihipStream_tbEUlT_E_NS1_11comp_targetILNS1_3genE9ELNS1_11target_archE1100ELNS1_3gpuE3ELNS1_3repE0EEENS1_30default_config_static_selectorELNS0_4arch9wavefront6targetE0EEEvT1_.private_seg_size, 0
	.set _ZN7rocprim17ROCPRIM_400000_NS6detail17trampoline_kernelINS0_14default_configENS1_35adjacent_difference_config_selectorILb1ElEEZNS1_24adjacent_difference_implIS3_Lb1ELb0EPlS7_ZN2at6native12_GLOBAL__N_124unique_dim_cuda_templateIN3c108BFloat16EEESt5tupleIJNS8_6TensorESF_SF_EERKSF_lbbbEUlllE1_EE10hipError_tPvRmT2_T3_mT4_P12ihipStream_tbEUlT_E_NS1_11comp_targetILNS1_3genE9ELNS1_11target_archE1100ELNS1_3gpuE3ELNS1_3repE0EEENS1_30default_config_static_selectorELNS0_4arch9wavefront6targetE0EEEvT1_.uses_vcc, 0
	.set _ZN7rocprim17ROCPRIM_400000_NS6detail17trampoline_kernelINS0_14default_configENS1_35adjacent_difference_config_selectorILb1ElEEZNS1_24adjacent_difference_implIS3_Lb1ELb0EPlS7_ZN2at6native12_GLOBAL__N_124unique_dim_cuda_templateIN3c108BFloat16EEESt5tupleIJNS8_6TensorESF_SF_EERKSF_lbbbEUlllE1_EE10hipError_tPvRmT2_T3_mT4_P12ihipStream_tbEUlT_E_NS1_11comp_targetILNS1_3genE9ELNS1_11target_archE1100ELNS1_3gpuE3ELNS1_3repE0EEENS1_30default_config_static_selectorELNS0_4arch9wavefront6targetE0EEEvT1_.uses_flat_scratch, 0
	.set _ZN7rocprim17ROCPRIM_400000_NS6detail17trampoline_kernelINS0_14default_configENS1_35adjacent_difference_config_selectorILb1ElEEZNS1_24adjacent_difference_implIS3_Lb1ELb0EPlS7_ZN2at6native12_GLOBAL__N_124unique_dim_cuda_templateIN3c108BFloat16EEESt5tupleIJNS8_6TensorESF_SF_EERKSF_lbbbEUlllE1_EE10hipError_tPvRmT2_T3_mT4_P12ihipStream_tbEUlT_E_NS1_11comp_targetILNS1_3genE9ELNS1_11target_archE1100ELNS1_3gpuE3ELNS1_3repE0EEENS1_30default_config_static_selectorELNS0_4arch9wavefront6targetE0EEEvT1_.has_dyn_sized_stack, 0
	.set _ZN7rocprim17ROCPRIM_400000_NS6detail17trampoline_kernelINS0_14default_configENS1_35adjacent_difference_config_selectorILb1ElEEZNS1_24adjacent_difference_implIS3_Lb1ELb0EPlS7_ZN2at6native12_GLOBAL__N_124unique_dim_cuda_templateIN3c108BFloat16EEESt5tupleIJNS8_6TensorESF_SF_EERKSF_lbbbEUlllE1_EE10hipError_tPvRmT2_T3_mT4_P12ihipStream_tbEUlT_E_NS1_11comp_targetILNS1_3genE9ELNS1_11target_archE1100ELNS1_3gpuE3ELNS1_3repE0EEENS1_30default_config_static_selectorELNS0_4arch9wavefront6targetE0EEEvT1_.has_recursion, 0
	.set _ZN7rocprim17ROCPRIM_400000_NS6detail17trampoline_kernelINS0_14default_configENS1_35adjacent_difference_config_selectorILb1ElEEZNS1_24adjacent_difference_implIS3_Lb1ELb0EPlS7_ZN2at6native12_GLOBAL__N_124unique_dim_cuda_templateIN3c108BFloat16EEESt5tupleIJNS8_6TensorESF_SF_EERKSF_lbbbEUlllE1_EE10hipError_tPvRmT2_T3_mT4_P12ihipStream_tbEUlT_E_NS1_11comp_targetILNS1_3genE9ELNS1_11target_archE1100ELNS1_3gpuE3ELNS1_3repE0EEENS1_30default_config_static_selectorELNS0_4arch9wavefront6targetE0EEEvT1_.has_indirect_call, 0
	.section	.AMDGPU.csdata,"",@progbits
; Kernel info:
; codeLenInByte = 0
; TotalNumSgprs: 0
; NumVgprs: 0
; ScratchSize: 0
; MemoryBound: 0
; FloatMode: 240
; IeeeMode: 1
; LDSByteSize: 0 bytes/workgroup (compile time only)
; SGPRBlocks: 0
; VGPRBlocks: 0
; NumSGPRsForWavesPerEU: 1
; NumVGPRsForWavesPerEU: 1
; NamedBarCnt: 0
; Occupancy: 16
; WaveLimiterHint : 0
; COMPUTE_PGM_RSRC2:SCRATCH_EN: 0
; COMPUTE_PGM_RSRC2:USER_SGPR: 2
; COMPUTE_PGM_RSRC2:TRAP_HANDLER: 0
; COMPUTE_PGM_RSRC2:TGID_X_EN: 1
; COMPUTE_PGM_RSRC2:TGID_Y_EN: 0
; COMPUTE_PGM_RSRC2:TGID_Z_EN: 0
; COMPUTE_PGM_RSRC2:TIDIG_COMP_CNT: 0
	.section	.text._ZN7rocprim17ROCPRIM_400000_NS6detail17trampoline_kernelINS0_14default_configENS1_35adjacent_difference_config_selectorILb1ElEEZNS1_24adjacent_difference_implIS3_Lb1ELb0EPlS7_ZN2at6native12_GLOBAL__N_124unique_dim_cuda_templateIN3c108BFloat16EEESt5tupleIJNS8_6TensorESF_SF_EERKSF_lbbbEUlllE1_EE10hipError_tPvRmT2_T3_mT4_P12ihipStream_tbEUlT_E_NS1_11comp_targetILNS1_3genE8ELNS1_11target_archE1030ELNS1_3gpuE2ELNS1_3repE0EEENS1_30default_config_static_selectorELNS0_4arch9wavefront6targetE0EEEvT1_,"axG",@progbits,_ZN7rocprim17ROCPRIM_400000_NS6detail17trampoline_kernelINS0_14default_configENS1_35adjacent_difference_config_selectorILb1ElEEZNS1_24adjacent_difference_implIS3_Lb1ELb0EPlS7_ZN2at6native12_GLOBAL__N_124unique_dim_cuda_templateIN3c108BFloat16EEESt5tupleIJNS8_6TensorESF_SF_EERKSF_lbbbEUlllE1_EE10hipError_tPvRmT2_T3_mT4_P12ihipStream_tbEUlT_E_NS1_11comp_targetILNS1_3genE8ELNS1_11target_archE1030ELNS1_3gpuE2ELNS1_3repE0EEENS1_30default_config_static_selectorELNS0_4arch9wavefront6targetE0EEEvT1_,comdat
	.globl	_ZN7rocprim17ROCPRIM_400000_NS6detail17trampoline_kernelINS0_14default_configENS1_35adjacent_difference_config_selectorILb1ElEEZNS1_24adjacent_difference_implIS3_Lb1ELb0EPlS7_ZN2at6native12_GLOBAL__N_124unique_dim_cuda_templateIN3c108BFloat16EEESt5tupleIJNS8_6TensorESF_SF_EERKSF_lbbbEUlllE1_EE10hipError_tPvRmT2_T3_mT4_P12ihipStream_tbEUlT_E_NS1_11comp_targetILNS1_3genE8ELNS1_11target_archE1030ELNS1_3gpuE2ELNS1_3repE0EEENS1_30default_config_static_selectorELNS0_4arch9wavefront6targetE0EEEvT1_ ; -- Begin function _ZN7rocprim17ROCPRIM_400000_NS6detail17trampoline_kernelINS0_14default_configENS1_35adjacent_difference_config_selectorILb1ElEEZNS1_24adjacent_difference_implIS3_Lb1ELb0EPlS7_ZN2at6native12_GLOBAL__N_124unique_dim_cuda_templateIN3c108BFloat16EEESt5tupleIJNS8_6TensorESF_SF_EERKSF_lbbbEUlllE1_EE10hipError_tPvRmT2_T3_mT4_P12ihipStream_tbEUlT_E_NS1_11comp_targetILNS1_3genE8ELNS1_11target_archE1030ELNS1_3gpuE2ELNS1_3repE0EEENS1_30default_config_static_selectorELNS0_4arch9wavefront6targetE0EEEvT1_
	.p2align	8
	.type	_ZN7rocprim17ROCPRIM_400000_NS6detail17trampoline_kernelINS0_14default_configENS1_35adjacent_difference_config_selectorILb1ElEEZNS1_24adjacent_difference_implIS3_Lb1ELb0EPlS7_ZN2at6native12_GLOBAL__N_124unique_dim_cuda_templateIN3c108BFloat16EEESt5tupleIJNS8_6TensorESF_SF_EERKSF_lbbbEUlllE1_EE10hipError_tPvRmT2_T3_mT4_P12ihipStream_tbEUlT_E_NS1_11comp_targetILNS1_3genE8ELNS1_11target_archE1030ELNS1_3gpuE2ELNS1_3repE0EEENS1_30default_config_static_selectorELNS0_4arch9wavefront6targetE0EEEvT1_,@function
_ZN7rocprim17ROCPRIM_400000_NS6detail17trampoline_kernelINS0_14default_configENS1_35adjacent_difference_config_selectorILb1ElEEZNS1_24adjacent_difference_implIS3_Lb1ELb0EPlS7_ZN2at6native12_GLOBAL__N_124unique_dim_cuda_templateIN3c108BFloat16EEESt5tupleIJNS8_6TensorESF_SF_EERKSF_lbbbEUlllE1_EE10hipError_tPvRmT2_T3_mT4_P12ihipStream_tbEUlT_E_NS1_11comp_targetILNS1_3genE8ELNS1_11target_archE1030ELNS1_3gpuE2ELNS1_3repE0EEENS1_30default_config_static_selectorELNS0_4arch9wavefront6targetE0EEEvT1_: ; @_ZN7rocprim17ROCPRIM_400000_NS6detail17trampoline_kernelINS0_14default_configENS1_35adjacent_difference_config_selectorILb1ElEEZNS1_24adjacent_difference_implIS3_Lb1ELb0EPlS7_ZN2at6native12_GLOBAL__N_124unique_dim_cuda_templateIN3c108BFloat16EEESt5tupleIJNS8_6TensorESF_SF_EERKSF_lbbbEUlllE1_EE10hipError_tPvRmT2_T3_mT4_P12ihipStream_tbEUlT_E_NS1_11comp_targetILNS1_3genE8ELNS1_11target_archE1030ELNS1_3gpuE2ELNS1_3repE0EEENS1_30default_config_static_selectorELNS0_4arch9wavefront6targetE0EEEvT1_
; %bb.0:
	.section	.rodata,"a",@progbits
	.p2align	6, 0x0
	.amdhsa_kernel _ZN7rocprim17ROCPRIM_400000_NS6detail17trampoline_kernelINS0_14default_configENS1_35adjacent_difference_config_selectorILb1ElEEZNS1_24adjacent_difference_implIS3_Lb1ELb0EPlS7_ZN2at6native12_GLOBAL__N_124unique_dim_cuda_templateIN3c108BFloat16EEESt5tupleIJNS8_6TensorESF_SF_EERKSF_lbbbEUlllE1_EE10hipError_tPvRmT2_T3_mT4_P12ihipStream_tbEUlT_E_NS1_11comp_targetILNS1_3genE8ELNS1_11target_archE1030ELNS1_3gpuE2ELNS1_3repE0EEENS1_30default_config_static_selectorELNS0_4arch9wavefront6targetE0EEEvT1_
		.amdhsa_group_segment_fixed_size 0
		.amdhsa_private_segment_fixed_size 0
		.amdhsa_kernarg_size 64
		.amdhsa_user_sgpr_count 2
		.amdhsa_user_sgpr_dispatch_ptr 0
		.amdhsa_user_sgpr_queue_ptr 0
		.amdhsa_user_sgpr_kernarg_segment_ptr 1
		.amdhsa_user_sgpr_dispatch_id 0
		.amdhsa_user_sgpr_kernarg_preload_length 0
		.amdhsa_user_sgpr_kernarg_preload_offset 0
		.amdhsa_user_sgpr_private_segment_size 0
		.amdhsa_wavefront_size32 1
		.amdhsa_uses_dynamic_stack 0
		.amdhsa_enable_private_segment 0
		.amdhsa_system_sgpr_workgroup_id_x 1
		.amdhsa_system_sgpr_workgroup_id_y 0
		.amdhsa_system_sgpr_workgroup_id_z 0
		.amdhsa_system_sgpr_workgroup_info 0
		.amdhsa_system_vgpr_workitem_id 0
		.amdhsa_next_free_vgpr 1
		.amdhsa_next_free_sgpr 1
		.amdhsa_named_barrier_count 0
		.amdhsa_reserve_vcc 0
		.amdhsa_float_round_mode_32 0
		.amdhsa_float_round_mode_16_64 0
		.amdhsa_float_denorm_mode_32 3
		.amdhsa_float_denorm_mode_16_64 3
		.amdhsa_fp16_overflow 0
		.amdhsa_memory_ordered 1
		.amdhsa_forward_progress 1
		.amdhsa_inst_pref_size 0
		.amdhsa_round_robin_scheduling 0
		.amdhsa_exception_fp_ieee_invalid_op 0
		.amdhsa_exception_fp_denorm_src 0
		.amdhsa_exception_fp_ieee_div_zero 0
		.amdhsa_exception_fp_ieee_overflow 0
		.amdhsa_exception_fp_ieee_underflow 0
		.amdhsa_exception_fp_ieee_inexact 0
		.amdhsa_exception_int_div_zero 0
	.end_amdhsa_kernel
	.section	.text._ZN7rocprim17ROCPRIM_400000_NS6detail17trampoline_kernelINS0_14default_configENS1_35adjacent_difference_config_selectorILb1ElEEZNS1_24adjacent_difference_implIS3_Lb1ELb0EPlS7_ZN2at6native12_GLOBAL__N_124unique_dim_cuda_templateIN3c108BFloat16EEESt5tupleIJNS8_6TensorESF_SF_EERKSF_lbbbEUlllE1_EE10hipError_tPvRmT2_T3_mT4_P12ihipStream_tbEUlT_E_NS1_11comp_targetILNS1_3genE8ELNS1_11target_archE1030ELNS1_3gpuE2ELNS1_3repE0EEENS1_30default_config_static_selectorELNS0_4arch9wavefront6targetE0EEEvT1_,"axG",@progbits,_ZN7rocprim17ROCPRIM_400000_NS6detail17trampoline_kernelINS0_14default_configENS1_35adjacent_difference_config_selectorILb1ElEEZNS1_24adjacent_difference_implIS3_Lb1ELb0EPlS7_ZN2at6native12_GLOBAL__N_124unique_dim_cuda_templateIN3c108BFloat16EEESt5tupleIJNS8_6TensorESF_SF_EERKSF_lbbbEUlllE1_EE10hipError_tPvRmT2_T3_mT4_P12ihipStream_tbEUlT_E_NS1_11comp_targetILNS1_3genE8ELNS1_11target_archE1030ELNS1_3gpuE2ELNS1_3repE0EEENS1_30default_config_static_selectorELNS0_4arch9wavefront6targetE0EEEvT1_,comdat
.Lfunc_end1173:
	.size	_ZN7rocprim17ROCPRIM_400000_NS6detail17trampoline_kernelINS0_14default_configENS1_35adjacent_difference_config_selectorILb1ElEEZNS1_24adjacent_difference_implIS3_Lb1ELb0EPlS7_ZN2at6native12_GLOBAL__N_124unique_dim_cuda_templateIN3c108BFloat16EEESt5tupleIJNS8_6TensorESF_SF_EERKSF_lbbbEUlllE1_EE10hipError_tPvRmT2_T3_mT4_P12ihipStream_tbEUlT_E_NS1_11comp_targetILNS1_3genE8ELNS1_11target_archE1030ELNS1_3gpuE2ELNS1_3repE0EEENS1_30default_config_static_selectorELNS0_4arch9wavefront6targetE0EEEvT1_, .Lfunc_end1173-_ZN7rocprim17ROCPRIM_400000_NS6detail17trampoline_kernelINS0_14default_configENS1_35adjacent_difference_config_selectorILb1ElEEZNS1_24adjacent_difference_implIS3_Lb1ELb0EPlS7_ZN2at6native12_GLOBAL__N_124unique_dim_cuda_templateIN3c108BFloat16EEESt5tupleIJNS8_6TensorESF_SF_EERKSF_lbbbEUlllE1_EE10hipError_tPvRmT2_T3_mT4_P12ihipStream_tbEUlT_E_NS1_11comp_targetILNS1_3genE8ELNS1_11target_archE1030ELNS1_3gpuE2ELNS1_3repE0EEENS1_30default_config_static_selectorELNS0_4arch9wavefront6targetE0EEEvT1_
                                        ; -- End function
	.set _ZN7rocprim17ROCPRIM_400000_NS6detail17trampoline_kernelINS0_14default_configENS1_35adjacent_difference_config_selectorILb1ElEEZNS1_24adjacent_difference_implIS3_Lb1ELb0EPlS7_ZN2at6native12_GLOBAL__N_124unique_dim_cuda_templateIN3c108BFloat16EEESt5tupleIJNS8_6TensorESF_SF_EERKSF_lbbbEUlllE1_EE10hipError_tPvRmT2_T3_mT4_P12ihipStream_tbEUlT_E_NS1_11comp_targetILNS1_3genE8ELNS1_11target_archE1030ELNS1_3gpuE2ELNS1_3repE0EEENS1_30default_config_static_selectorELNS0_4arch9wavefront6targetE0EEEvT1_.num_vgpr, 0
	.set _ZN7rocprim17ROCPRIM_400000_NS6detail17trampoline_kernelINS0_14default_configENS1_35adjacent_difference_config_selectorILb1ElEEZNS1_24adjacent_difference_implIS3_Lb1ELb0EPlS7_ZN2at6native12_GLOBAL__N_124unique_dim_cuda_templateIN3c108BFloat16EEESt5tupleIJNS8_6TensorESF_SF_EERKSF_lbbbEUlllE1_EE10hipError_tPvRmT2_T3_mT4_P12ihipStream_tbEUlT_E_NS1_11comp_targetILNS1_3genE8ELNS1_11target_archE1030ELNS1_3gpuE2ELNS1_3repE0EEENS1_30default_config_static_selectorELNS0_4arch9wavefront6targetE0EEEvT1_.num_agpr, 0
	.set _ZN7rocprim17ROCPRIM_400000_NS6detail17trampoline_kernelINS0_14default_configENS1_35adjacent_difference_config_selectorILb1ElEEZNS1_24adjacent_difference_implIS3_Lb1ELb0EPlS7_ZN2at6native12_GLOBAL__N_124unique_dim_cuda_templateIN3c108BFloat16EEESt5tupleIJNS8_6TensorESF_SF_EERKSF_lbbbEUlllE1_EE10hipError_tPvRmT2_T3_mT4_P12ihipStream_tbEUlT_E_NS1_11comp_targetILNS1_3genE8ELNS1_11target_archE1030ELNS1_3gpuE2ELNS1_3repE0EEENS1_30default_config_static_selectorELNS0_4arch9wavefront6targetE0EEEvT1_.numbered_sgpr, 0
	.set _ZN7rocprim17ROCPRIM_400000_NS6detail17trampoline_kernelINS0_14default_configENS1_35adjacent_difference_config_selectorILb1ElEEZNS1_24adjacent_difference_implIS3_Lb1ELb0EPlS7_ZN2at6native12_GLOBAL__N_124unique_dim_cuda_templateIN3c108BFloat16EEESt5tupleIJNS8_6TensorESF_SF_EERKSF_lbbbEUlllE1_EE10hipError_tPvRmT2_T3_mT4_P12ihipStream_tbEUlT_E_NS1_11comp_targetILNS1_3genE8ELNS1_11target_archE1030ELNS1_3gpuE2ELNS1_3repE0EEENS1_30default_config_static_selectorELNS0_4arch9wavefront6targetE0EEEvT1_.num_named_barrier, 0
	.set _ZN7rocprim17ROCPRIM_400000_NS6detail17trampoline_kernelINS0_14default_configENS1_35adjacent_difference_config_selectorILb1ElEEZNS1_24adjacent_difference_implIS3_Lb1ELb0EPlS7_ZN2at6native12_GLOBAL__N_124unique_dim_cuda_templateIN3c108BFloat16EEESt5tupleIJNS8_6TensorESF_SF_EERKSF_lbbbEUlllE1_EE10hipError_tPvRmT2_T3_mT4_P12ihipStream_tbEUlT_E_NS1_11comp_targetILNS1_3genE8ELNS1_11target_archE1030ELNS1_3gpuE2ELNS1_3repE0EEENS1_30default_config_static_selectorELNS0_4arch9wavefront6targetE0EEEvT1_.private_seg_size, 0
	.set _ZN7rocprim17ROCPRIM_400000_NS6detail17trampoline_kernelINS0_14default_configENS1_35adjacent_difference_config_selectorILb1ElEEZNS1_24adjacent_difference_implIS3_Lb1ELb0EPlS7_ZN2at6native12_GLOBAL__N_124unique_dim_cuda_templateIN3c108BFloat16EEESt5tupleIJNS8_6TensorESF_SF_EERKSF_lbbbEUlllE1_EE10hipError_tPvRmT2_T3_mT4_P12ihipStream_tbEUlT_E_NS1_11comp_targetILNS1_3genE8ELNS1_11target_archE1030ELNS1_3gpuE2ELNS1_3repE0EEENS1_30default_config_static_selectorELNS0_4arch9wavefront6targetE0EEEvT1_.uses_vcc, 0
	.set _ZN7rocprim17ROCPRIM_400000_NS6detail17trampoline_kernelINS0_14default_configENS1_35adjacent_difference_config_selectorILb1ElEEZNS1_24adjacent_difference_implIS3_Lb1ELb0EPlS7_ZN2at6native12_GLOBAL__N_124unique_dim_cuda_templateIN3c108BFloat16EEESt5tupleIJNS8_6TensorESF_SF_EERKSF_lbbbEUlllE1_EE10hipError_tPvRmT2_T3_mT4_P12ihipStream_tbEUlT_E_NS1_11comp_targetILNS1_3genE8ELNS1_11target_archE1030ELNS1_3gpuE2ELNS1_3repE0EEENS1_30default_config_static_selectorELNS0_4arch9wavefront6targetE0EEEvT1_.uses_flat_scratch, 0
	.set _ZN7rocprim17ROCPRIM_400000_NS6detail17trampoline_kernelINS0_14default_configENS1_35adjacent_difference_config_selectorILb1ElEEZNS1_24adjacent_difference_implIS3_Lb1ELb0EPlS7_ZN2at6native12_GLOBAL__N_124unique_dim_cuda_templateIN3c108BFloat16EEESt5tupleIJNS8_6TensorESF_SF_EERKSF_lbbbEUlllE1_EE10hipError_tPvRmT2_T3_mT4_P12ihipStream_tbEUlT_E_NS1_11comp_targetILNS1_3genE8ELNS1_11target_archE1030ELNS1_3gpuE2ELNS1_3repE0EEENS1_30default_config_static_selectorELNS0_4arch9wavefront6targetE0EEEvT1_.has_dyn_sized_stack, 0
	.set _ZN7rocprim17ROCPRIM_400000_NS6detail17trampoline_kernelINS0_14default_configENS1_35adjacent_difference_config_selectorILb1ElEEZNS1_24adjacent_difference_implIS3_Lb1ELb0EPlS7_ZN2at6native12_GLOBAL__N_124unique_dim_cuda_templateIN3c108BFloat16EEESt5tupleIJNS8_6TensorESF_SF_EERKSF_lbbbEUlllE1_EE10hipError_tPvRmT2_T3_mT4_P12ihipStream_tbEUlT_E_NS1_11comp_targetILNS1_3genE8ELNS1_11target_archE1030ELNS1_3gpuE2ELNS1_3repE0EEENS1_30default_config_static_selectorELNS0_4arch9wavefront6targetE0EEEvT1_.has_recursion, 0
	.set _ZN7rocprim17ROCPRIM_400000_NS6detail17trampoline_kernelINS0_14default_configENS1_35adjacent_difference_config_selectorILb1ElEEZNS1_24adjacent_difference_implIS3_Lb1ELb0EPlS7_ZN2at6native12_GLOBAL__N_124unique_dim_cuda_templateIN3c108BFloat16EEESt5tupleIJNS8_6TensorESF_SF_EERKSF_lbbbEUlllE1_EE10hipError_tPvRmT2_T3_mT4_P12ihipStream_tbEUlT_E_NS1_11comp_targetILNS1_3genE8ELNS1_11target_archE1030ELNS1_3gpuE2ELNS1_3repE0EEENS1_30default_config_static_selectorELNS0_4arch9wavefront6targetE0EEEvT1_.has_indirect_call, 0
	.section	.AMDGPU.csdata,"",@progbits
; Kernel info:
; codeLenInByte = 0
; TotalNumSgprs: 0
; NumVgprs: 0
; ScratchSize: 0
; MemoryBound: 0
; FloatMode: 240
; IeeeMode: 1
; LDSByteSize: 0 bytes/workgroup (compile time only)
; SGPRBlocks: 0
; VGPRBlocks: 0
; NumSGPRsForWavesPerEU: 1
; NumVGPRsForWavesPerEU: 1
; NamedBarCnt: 0
; Occupancy: 16
; WaveLimiterHint : 0
; COMPUTE_PGM_RSRC2:SCRATCH_EN: 0
; COMPUTE_PGM_RSRC2:USER_SGPR: 2
; COMPUTE_PGM_RSRC2:TRAP_HANDLER: 0
; COMPUTE_PGM_RSRC2:TGID_X_EN: 1
; COMPUTE_PGM_RSRC2:TGID_Y_EN: 0
; COMPUTE_PGM_RSRC2:TGID_Z_EN: 0
; COMPUTE_PGM_RSRC2:TIDIG_COMP_CNT: 0
	.section	.text._ZN7rocprim17ROCPRIM_400000_NS6detail17trampoline_kernelINS0_14default_configENS1_25partition_config_selectorILNS1_17partition_subalgoE8ElNS0_10empty_typeEbEEZZNS1_14partition_implILS5_8ELb0ES3_jPlPS6_PKS6_NS0_5tupleIJS9_S6_EEENSD_IJSA_SA_EEENS0_18inequality_wrapperIZN2at6native12_GLOBAL__N_124unique_dim_cuda_templateIN3c108BFloat16EEESt5tupleIJNSH_6TensorESO_SO_EERKSO_lbbbEUlllE0_EEPmJS6_EEE10hipError_tPvRmT3_T4_T5_T6_T7_T9_mT8_P12ihipStream_tbDpT10_ENKUlT_T0_E_clISt17integral_constantIbLb0EES1E_EEDaS19_S1A_EUlS19_E_NS1_11comp_targetILNS1_3genE0ELNS1_11target_archE4294967295ELNS1_3gpuE0ELNS1_3repE0EEENS1_30default_config_static_selectorELNS0_4arch9wavefront6targetE0EEEvT1_,"axG",@progbits,_ZN7rocprim17ROCPRIM_400000_NS6detail17trampoline_kernelINS0_14default_configENS1_25partition_config_selectorILNS1_17partition_subalgoE8ElNS0_10empty_typeEbEEZZNS1_14partition_implILS5_8ELb0ES3_jPlPS6_PKS6_NS0_5tupleIJS9_S6_EEENSD_IJSA_SA_EEENS0_18inequality_wrapperIZN2at6native12_GLOBAL__N_124unique_dim_cuda_templateIN3c108BFloat16EEESt5tupleIJNSH_6TensorESO_SO_EERKSO_lbbbEUlllE0_EEPmJS6_EEE10hipError_tPvRmT3_T4_T5_T6_T7_T9_mT8_P12ihipStream_tbDpT10_ENKUlT_T0_E_clISt17integral_constantIbLb0EES1E_EEDaS19_S1A_EUlS19_E_NS1_11comp_targetILNS1_3genE0ELNS1_11target_archE4294967295ELNS1_3gpuE0ELNS1_3repE0EEENS1_30default_config_static_selectorELNS0_4arch9wavefront6targetE0EEEvT1_,comdat
	.globl	_ZN7rocprim17ROCPRIM_400000_NS6detail17trampoline_kernelINS0_14default_configENS1_25partition_config_selectorILNS1_17partition_subalgoE8ElNS0_10empty_typeEbEEZZNS1_14partition_implILS5_8ELb0ES3_jPlPS6_PKS6_NS0_5tupleIJS9_S6_EEENSD_IJSA_SA_EEENS0_18inequality_wrapperIZN2at6native12_GLOBAL__N_124unique_dim_cuda_templateIN3c108BFloat16EEESt5tupleIJNSH_6TensorESO_SO_EERKSO_lbbbEUlllE0_EEPmJS6_EEE10hipError_tPvRmT3_T4_T5_T6_T7_T9_mT8_P12ihipStream_tbDpT10_ENKUlT_T0_E_clISt17integral_constantIbLb0EES1E_EEDaS19_S1A_EUlS19_E_NS1_11comp_targetILNS1_3genE0ELNS1_11target_archE4294967295ELNS1_3gpuE0ELNS1_3repE0EEENS1_30default_config_static_selectorELNS0_4arch9wavefront6targetE0EEEvT1_ ; -- Begin function _ZN7rocprim17ROCPRIM_400000_NS6detail17trampoline_kernelINS0_14default_configENS1_25partition_config_selectorILNS1_17partition_subalgoE8ElNS0_10empty_typeEbEEZZNS1_14partition_implILS5_8ELb0ES3_jPlPS6_PKS6_NS0_5tupleIJS9_S6_EEENSD_IJSA_SA_EEENS0_18inequality_wrapperIZN2at6native12_GLOBAL__N_124unique_dim_cuda_templateIN3c108BFloat16EEESt5tupleIJNSH_6TensorESO_SO_EERKSO_lbbbEUlllE0_EEPmJS6_EEE10hipError_tPvRmT3_T4_T5_T6_T7_T9_mT8_P12ihipStream_tbDpT10_ENKUlT_T0_E_clISt17integral_constantIbLb0EES1E_EEDaS19_S1A_EUlS19_E_NS1_11comp_targetILNS1_3genE0ELNS1_11target_archE4294967295ELNS1_3gpuE0ELNS1_3repE0EEENS1_30default_config_static_selectorELNS0_4arch9wavefront6targetE0EEEvT1_
	.p2align	8
	.type	_ZN7rocprim17ROCPRIM_400000_NS6detail17trampoline_kernelINS0_14default_configENS1_25partition_config_selectorILNS1_17partition_subalgoE8ElNS0_10empty_typeEbEEZZNS1_14partition_implILS5_8ELb0ES3_jPlPS6_PKS6_NS0_5tupleIJS9_S6_EEENSD_IJSA_SA_EEENS0_18inequality_wrapperIZN2at6native12_GLOBAL__N_124unique_dim_cuda_templateIN3c108BFloat16EEESt5tupleIJNSH_6TensorESO_SO_EERKSO_lbbbEUlllE0_EEPmJS6_EEE10hipError_tPvRmT3_T4_T5_T6_T7_T9_mT8_P12ihipStream_tbDpT10_ENKUlT_T0_E_clISt17integral_constantIbLb0EES1E_EEDaS19_S1A_EUlS19_E_NS1_11comp_targetILNS1_3genE0ELNS1_11target_archE4294967295ELNS1_3gpuE0ELNS1_3repE0EEENS1_30default_config_static_selectorELNS0_4arch9wavefront6targetE0EEEvT1_,@function
_ZN7rocprim17ROCPRIM_400000_NS6detail17trampoline_kernelINS0_14default_configENS1_25partition_config_selectorILNS1_17partition_subalgoE8ElNS0_10empty_typeEbEEZZNS1_14partition_implILS5_8ELb0ES3_jPlPS6_PKS6_NS0_5tupleIJS9_S6_EEENSD_IJSA_SA_EEENS0_18inequality_wrapperIZN2at6native12_GLOBAL__N_124unique_dim_cuda_templateIN3c108BFloat16EEESt5tupleIJNSH_6TensorESO_SO_EERKSO_lbbbEUlllE0_EEPmJS6_EEE10hipError_tPvRmT3_T4_T5_T6_T7_T9_mT8_P12ihipStream_tbDpT10_ENKUlT_T0_E_clISt17integral_constantIbLb0EES1E_EEDaS19_S1A_EUlS19_E_NS1_11comp_targetILNS1_3genE0ELNS1_11target_archE4294967295ELNS1_3gpuE0ELNS1_3repE0EEENS1_30default_config_static_selectorELNS0_4arch9wavefront6targetE0EEEvT1_: ; @_ZN7rocprim17ROCPRIM_400000_NS6detail17trampoline_kernelINS0_14default_configENS1_25partition_config_selectorILNS1_17partition_subalgoE8ElNS0_10empty_typeEbEEZZNS1_14partition_implILS5_8ELb0ES3_jPlPS6_PKS6_NS0_5tupleIJS9_S6_EEENSD_IJSA_SA_EEENS0_18inequality_wrapperIZN2at6native12_GLOBAL__N_124unique_dim_cuda_templateIN3c108BFloat16EEESt5tupleIJNSH_6TensorESO_SO_EERKSO_lbbbEUlllE0_EEPmJS6_EEE10hipError_tPvRmT3_T4_T5_T6_T7_T9_mT8_P12ihipStream_tbDpT10_ENKUlT_T0_E_clISt17integral_constantIbLb0EES1E_EEDaS19_S1A_EUlS19_E_NS1_11comp_targetILNS1_3genE0ELNS1_11target_archE4294967295ELNS1_3gpuE0ELNS1_3repE0EEENS1_30default_config_static_selectorELNS0_4arch9wavefront6targetE0EEEvT1_
; %bb.0:
	s_clause 0x3
	s_load_b128 s[4:7], s[0:1], 0x8
	s_load_b256 s[12:19], s[0:1], 0x40
	s_load_b32 s24, s[0:1], 0x70
	s_load_b128 s[8:11], s[0:1], 0x60
	s_bfe_u32 s20, ttmp6, 0x4000c
	s_and_b32 s2, ttmp6, 15
	s_add_co_i32 s20, s20, 1
	s_mov_b32 s3, 0
	s_mul_i32 s20, ttmp9, s20
	s_getreg_b32 s22, hwreg(HW_REG_IB_STS2, 6, 4)
	s_add_co_i32 s20, s2, s20
	s_mov_b32 s25, s3
	v_dual_mov_b32 v1, v0 :: v_dual_lshlrev_b32 v18, 3, v0
	s_mov_b32 s21, -1
	s_wait_kmcnt 0x0
	s_lshl_b64 s[26:27], s[6:7], 3
	s_load_b64 s[14:15], s[14:15], 0x0
	s_mul_i32 s2, s24, 0xe00
	s_cmp_eq_u32 s22, 0
	s_add_nc_u64 s[22:23], s[6:7], s[2:3]
	s_cselect_b32 s20, ttmp9, s20
	s_add_co_i32 s2, s2, s6
	v_cmp_le_u64_e64 s17, s[16:17], s[22:23]
	s_add_co_i32 s24, s24, -1
	s_sub_co_i32 s23, s16, s2
	s_cmp_eq_u32 s20, s24
	s_mul_i32 s24, s20, 0xe00
	s_cselect_b32 s16, -1, 0
	s_add_nc_u64 s[2:3], s[4:5], s[26:27]
	s_and_b32 s22, s16, s17
	s_lshl_b64 s[4:5], s[24:25], 3
	s_xor_b32 s17, s22, -1
	s_add_nc_u64 s[2:3], s[2:3], s[4:5]
	s_and_b32 vcc_lo, exec_lo, s17
	s_cbranch_vccz .LBB1174_2
; %bb.1:
	s_clause 0x6
	global_load_b64 v[2:3], v0, s[2:3] scale_offset
	global_load_b64 v[4:5], v0, s[2:3] offset:4096 scale_offset
	global_load_b64 v[6:7], v0, s[2:3] offset:8192 scale_offset
	global_load_b64 v[8:9], v0, s[2:3] offset:12288 scale_offset
	global_load_b64 v[10:11], v0, s[2:3] offset:16384 scale_offset
	global_load_b64 v[12:13], v0, s[2:3] offset:20480 scale_offset
	global_load_b64 v[14:15], v0, s[2:3] offset:24576 scale_offset
	v_lshlrev_b32_e32 v16, 3, v0
	s_mov_b32 s21, 0
	s_wait_loadcnt 0x5
	ds_store_2addr_stride64_b64 v16, v[2:3], v[4:5] offset1:8
	s_wait_loadcnt 0x3
	ds_store_2addr_stride64_b64 v16, v[6:7], v[8:9] offset0:16 offset1:24
	s_wait_loadcnt 0x1
	ds_store_2addr_stride64_b64 v16, v[10:11], v[12:13] offset0:32 offset1:40
	s_wait_loadcnt 0x0
	ds_store_b64 v16, v[14:15] offset:24576
	s_wait_dscnt 0x0
	s_barrier_signal -1
	s_barrier_wait -1
.LBB1174_2:
	s_and_not1_b32 vcc_lo, exec_lo, s21
	s_add_co_i32 s21, s23, 0xe00
	s_cbranch_vccnz .LBB1174_18
; %bb.3:
	v_mov_b32_e32 v2, 0
	s_mov_b32 s4, exec_lo
	s_delay_alu instid0(VALU_DEP_1)
	v_dual_mov_b32 v3, v2 :: v_dual_mov_b32 v4, v2
	v_dual_mov_b32 v5, v2 :: v_dual_mov_b32 v6, v2
	;; [unrolled: 1-line block ×6, first 2 shown]
	v_mov_b32_e32 v15, v2
	v_cmpx_gt_u32_e64 s21, v0
	s_cbranch_execz .LBB1174_5
; %bb.4:
	global_load_b64 v[4:5], v0, s[2:3] scale_offset
	v_dual_mov_b32 v6, v2 :: v_dual_mov_b32 v7, v2
	v_dual_mov_b32 v8, v2 :: v_dual_mov_b32 v9, v2
	;; [unrolled: 1-line block ×6, first 2 shown]
	s_wait_loadcnt 0x0
	v_mov_b64_e32 v[2:3], v[4:5]
	v_mov_b64_e32 v[4:5], v[6:7]
	;; [unrolled: 1-line block ×8, first 2 shown]
.LBB1174_5:
	s_or_b32 exec_lo, exec_lo, s4
	v_or_b32_e32 v16, 0x200, v0
	s_mov_b32 s4, exec_lo
	s_delay_alu instid0(VALU_DEP_1)
	v_cmpx_gt_u32_e64 s21, v16
	s_cbranch_execz .LBB1174_7
; %bb.6:
	global_load_b64 v[4:5], v0, s[2:3] offset:4096 scale_offset
.LBB1174_7:
	s_wait_xcnt 0x0
	s_or_b32 exec_lo, exec_lo, s4
	v_or_b32_e32 v16, 0x400, v0
	s_mov_b32 s4, exec_lo
	s_delay_alu instid0(VALU_DEP_1)
	v_cmpx_gt_u32_e64 s21, v16
	s_cbranch_execz .LBB1174_9
; %bb.8:
	global_load_b64 v[6:7], v0, s[2:3] offset:8192 scale_offset
.LBB1174_9:
	s_wait_xcnt 0x0
	;; [unrolled: 10-line block ×6, first 2 shown]
	s_or_b32 exec_lo, exec_lo, s4
	v_lshlrev_b32_e32 v16, 3, v0
	s_wait_loadcnt 0x0
	ds_store_2addr_stride64_b64 v16, v[2:3], v[4:5] offset1:8
	ds_store_2addr_stride64_b64 v16, v[6:7], v[8:9] offset0:16 offset1:24
	ds_store_2addr_stride64_b64 v16, v[10:11], v[12:13] offset0:32 offset1:40
	ds_store_b64 v16, v[14:15] offset:24576
	s_wait_dscnt 0x0
	s_barrier_signal -1
	s_barrier_wait -1
.LBB1174_18:
	v_mul_u32_u24_e32 v19, 7, v0
	s_cmp_lg_u32 s20, 0
	v_cmp_gt_i64_e64 s24, s[18:19], 0
	s_cselect_b32 s23, -1, 0
	v_lshlrev_b32_e32 v24, 3, v19
	s_cmp_lg_u64 s[6:7], 0
	s_mov_b32 s6, 0
	s_cselect_b32 s4, -1, 0
	ds_load_2addr_b64 v[10:13], v24 offset1:1
	ds_load_2addr_b64 v[6:9], v24 offset0:2 offset1:3
	ds_load_2addr_b64 v[2:5], v24 offset0:4 offset1:5
	ds_load_b64 v[14:15], v24 offset:48
	s_or_b32 s4, s23, s4
	s_wait_dscnt 0x0
	s_and_b32 vcc_lo, exec_lo, s4
	s_barrier_signal -1
	s_barrier_wait -1
	s_cbranch_vccz .LBB1174_34
; %bb.19:
	s_add_nc_u64 s[2:3], s[2:3], -8
	v_cndmask_b32_e64 v25, 0, 1, s24
	s_load_b64 s[4:5], s[2:3], 0x0
	v_lshlrev_b32_e32 v26, 3, v0
	s_and_b32 vcc_lo, exec_lo, s17
	s_wait_xcnt 0x0
	v_cmp_ne_u32_e64 s2, 1, v25
	ds_store_b64 v26, v[14:15]
	s_cbranch_vccz .LBB1174_36
; %bb.20:
	s_and_b32 vcc_lo, exec_lo, s2
	s_cbranch_vccnz .LBB1174_37
; %bb.21:
	v_mul_u64_e32 v[16:17], s[18:19], v[4:5]
	v_mul_u64_e32 v[20:21], s[18:19], v[14:15]
	s_add_nc_u64 s[6:7], s[18:19], -1
	s_mov_b32 s26, 0
	s_mov_b64 s[2:3], s[6:7]
                                        ; implicit-def: $sgpr25
	s_delay_alu instid0(VALU_DEP_2) | instskip(NEXT) | instid1(VALU_DEP_2)
	v_lshl_add_u64 v[16:17], v[16:17], 1, s[8:9]
	v_lshl_add_u64 v[20:21], v[20:21], 1, s[8:9]
	s_delay_alu instid0(VALU_DEP_2)
	v_mov_b64_e32 v[22:23], v[16:17]
.LBB1174_22:                            ; =>This Inner Loop Header: Depth=1
	global_load_u16 v27, v[20:21], off
	global_load_u16 v28, v[22:23], off
	s_cmp_eq_u64 s[2:3], 0
	s_add_nc_u64 s[28:29], s[2:3], -1
	s_cselect_b32 s3, -1, 0
	s_wait_xcnt 0x0
	v_add_nc_u64_e32 v[22:23], 2, v[22:23]
	v_add_nc_u64_e32 v[20:21], 2, v[20:21]
	s_wait_loadcnt 0x0
	v_dual_lshlrev_b32 v27, 16, v27 :: v_dual_lshlrev_b32 v28, 16, v28
	s_delay_alu instid0(VALU_DEP_1) | instskip(SKIP_2) | instid1(SALU_CYCLE_1)
	v_cmp_neq_f32_e32 vcc_lo, v28, v27
	v_cmp_eq_f32_e64 s2, v28, v27
	s_or_b32 s3, vcc_lo, s3
	s_and_b32 s3, exec_lo, s3
	s_delay_alu instid0(SALU_CYCLE_1)
	s_or_b32 s26, s3, s26
	s_and_not1_b32 s25, s25, exec_lo
	s_and_b32 s27, s2, exec_lo
	s_mov_b64 s[2:3], s[28:29]
	s_or_b32 s25, s25, s27
	s_and_not1_b32 exec_lo, exec_lo, s26
	s_cbranch_execnz .LBB1174_22
; %bb.23:
	s_or_b32 exec_lo, exec_lo, s26
	v_mul_u64_e32 v[20:21], s[18:19], v[2:3]
	s_mov_b32 s27, 0
	s_mov_b64 s[2:3], s[6:7]
                                        ; implicit-def: $sgpr26
	s_delay_alu instid0(VALU_DEP_1) | instskip(NEXT) | instid1(VALU_DEP_1)
	v_lshl_add_u64 v[20:21], v[20:21], 1, s[8:9]
	v_mov_b64_e32 v[22:23], v[20:21]
.LBB1174_24:                            ; =>This Inner Loop Header: Depth=1
	global_load_u16 v27, v[16:17], off
	global_load_u16 v28, v[22:23], off
	s_cmp_eq_u64 s[2:3], 0
	s_add_nc_u64 s[28:29], s[2:3], -1
	s_cselect_b32 s3, -1, 0
	s_wait_xcnt 0x0
	v_add_nc_u64_e32 v[22:23], 2, v[22:23]
	v_add_nc_u64_e32 v[16:17], 2, v[16:17]
	s_wait_loadcnt 0x0
	v_dual_lshlrev_b32 v27, 16, v27 :: v_dual_lshlrev_b32 v28, 16, v28
	s_delay_alu instid0(VALU_DEP_1) | instskip(SKIP_2) | instid1(SALU_CYCLE_1)
	v_cmp_neq_f32_e32 vcc_lo, v28, v27
	v_cmp_eq_f32_e64 s2, v28, v27
	s_or_b32 s3, vcc_lo, s3
	s_and_b32 s3, exec_lo, s3
	s_delay_alu instid0(SALU_CYCLE_1)
	s_or_b32 s27, s3, s27
	s_and_not1_b32 s26, s26, exec_lo
	s_and_b32 s30, s2, exec_lo
	s_mov_b64 s[2:3], s[28:29]
	s_or_b32 s26, s26, s30
	s_and_not1_b32 exec_lo, exec_lo, s27
	s_cbranch_execnz .LBB1174_24
; %bb.25:
	s_or_b32 exec_lo, exec_lo, s27
	v_mul_u64_e32 v[16:17], s[18:19], v[8:9]
	s_mov_b32 s28, 0
	s_mov_b64 s[2:3], s[6:7]
                                        ; implicit-def: $sgpr27
	s_delay_alu instid0(VALU_DEP_1) | instskip(NEXT) | instid1(VALU_DEP_1)
	v_lshl_add_u64 v[16:17], v[16:17], 1, s[8:9]
	v_mov_b64_e32 v[22:23], v[16:17]
.LBB1174_26:                            ; =>This Inner Loop Header: Depth=1
	global_load_u16 v27, v[20:21], off
	global_load_u16 v28, v[22:23], off
	s_cmp_eq_u64 s[2:3], 0
	s_add_nc_u64 s[30:31], s[2:3], -1
	s_cselect_b32 s3, -1, 0
	s_wait_xcnt 0x0
	v_add_nc_u64_e32 v[22:23], 2, v[22:23]
	v_add_nc_u64_e32 v[20:21], 2, v[20:21]
	s_wait_loadcnt 0x0
	v_dual_lshlrev_b32 v27, 16, v27 :: v_dual_lshlrev_b32 v28, 16, v28
	s_delay_alu instid0(VALU_DEP_1) | instskip(SKIP_2) | instid1(SALU_CYCLE_1)
	v_cmp_neq_f32_e32 vcc_lo, v28, v27
	v_cmp_eq_f32_e64 s2, v28, v27
	s_or_b32 s3, vcc_lo, s3
	s_and_b32 s3, exec_lo, s3
	s_delay_alu instid0(SALU_CYCLE_1)
	s_or_b32 s28, s3, s28
	s_and_not1_b32 s27, s27, exec_lo
	s_and_b32 s29, s2, exec_lo
	s_mov_b64 s[2:3], s[30:31]
	s_or_b32 s27, s27, s29
	s_and_not1_b32 exec_lo, exec_lo, s28
	s_cbranch_execnz .LBB1174_26
; %bb.27:
	s_or_b32 exec_lo, exec_lo, s28
	v_mul_u64_e32 v[20:21], s[18:19], v[6:7]
	s_mov_b32 s29, 0
	s_mov_b64 s[2:3], s[6:7]
                                        ; implicit-def: $sgpr28
	s_delay_alu instid0(VALU_DEP_1) | instskip(NEXT) | instid1(VALU_DEP_1)
	v_lshl_add_u64 v[20:21], v[20:21], 1, s[8:9]
	v_mov_b64_e32 v[22:23], v[20:21]
.LBB1174_28:                            ; =>This Inner Loop Header: Depth=1
	global_load_u16 v27, v[16:17], off
	global_load_u16 v28, v[22:23], off
	s_cmp_eq_u64 s[2:3], 0
	s_add_nc_u64 s[30:31], s[2:3], -1
	s_cselect_b32 s3, -1, 0
	s_wait_xcnt 0x0
	v_add_nc_u64_e32 v[22:23], 2, v[22:23]
	v_add_nc_u64_e32 v[16:17], 2, v[16:17]
	s_wait_loadcnt 0x0
	v_dual_lshlrev_b32 v27, 16, v27 :: v_dual_lshlrev_b32 v28, 16, v28
	s_delay_alu instid0(VALU_DEP_1) | instskip(SKIP_2) | instid1(SALU_CYCLE_1)
	v_cmp_neq_f32_e32 vcc_lo, v28, v27
	v_cmp_eq_f32_e64 s2, v28, v27
	s_or_b32 s3, vcc_lo, s3
	s_and_b32 s3, exec_lo, s3
	s_delay_alu instid0(SALU_CYCLE_1)
	s_or_b32 s29, s3, s29
	s_and_not1_b32 s28, s28, exec_lo
	s_and_b32 s33, s2, exec_lo
	s_mov_b64 s[2:3], s[30:31]
	s_or_b32 s28, s28, s33
	s_and_not1_b32 exec_lo, exec_lo, s29
	s_cbranch_execnz .LBB1174_28
; %bb.29:
	s_or_b32 exec_lo, exec_lo, s29
	v_mul_u64_e32 v[16:17], s[18:19], v[12:13]
	s_mov_b32 s30, 0
	s_mov_b64 s[2:3], s[6:7]
                                        ; implicit-def: $sgpr29
	s_delay_alu instid0(VALU_DEP_1) | instskip(NEXT) | instid1(VALU_DEP_1)
	v_lshl_add_u64 v[16:17], v[16:17], 1, s[8:9]
	v_mov_b64_e32 v[22:23], v[16:17]
.LBB1174_30:                            ; =>This Inner Loop Header: Depth=1
	global_load_u16 v27, v[20:21], off
	global_load_u16 v28, v[22:23], off
	s_cmp_eq_u64 s[2:3], 0
	s_add_nc_u64 s[34:35], s[2:3], -1
	s_cselect_b32 s3, -1, 0
	s_wait_xcnt 0x0
	v_add_nc_u64_e32 v[22:23], 2, v[22:23]
	v_add_nc_u64_e32 v[20:21], 2, v[20:21]
	s_wait_loadcnt 0x0
	v_dual_lshlrev_b32 v27, 16, v27 :: v_dual_lshlrev_b32 v28, 16, v28
	s_delay_alu instid0(VALU_DEP_1) | instskip(SKIP_2) | instid1(SALU_CYCLE_1)
	v_cmp_neq_f32_e32 vcc_lo, v28, v27
	v_cmp_eq_f32_e64 s2, v28, v27
	s_or_b32 s3, vcc_lo, s3
	s_and_b32 s3, exec_lo, s3
	s_delay_alu instid0(SALU_CYCLE_1)
	s_or_b32 s30, s3, s30
	s_and_not1_b32 s29, s29, exec_lo
	s_and_b32 s31, s2, exec_lo
	s_mov_b64 s[2:3], s[34:35]
	s_or_b32 s29, s29, s31
	s_and_not1_b32 exec_lo, exec_lo, s30
	s_cbranch_execnz .LBB1174_30
; %bb.31:
	s_or_b32 exec_lo, exec_lo, s30
	v_mul_u64_e32 v[20:21], s[18:19], v[10:11]
	s_mov_b32 s30, 0
                                        ; implicit-def: $sgpr3
	s_delay_alu instid0(VALU_DEP_1)
	v_lshl_add_u64 v[20:21], v[20:21], 1, s[8:9]
.LBB1174_32:                            ; =>This Inner Loop Header: Depth=1
	global_load_u16 v22, v[16:17], off
	global_load_u16 v23, v[20:21], off
	s_cmp_eq_u64 s[6:7], 0
	s_add_nc_u64 s[34:35], s[6:7], -1
	s_cselect_b32 s6, -1, 0
	s_wait_xcnt 0x0
	v_add_nc_u64_e32 v[20:21], 2, v[20:21]
	v_add_nc_u64_e32 v[16:17], 2, v[16:17]
	s_wait_loadcnt 0x0
	v_dual_lshlrev_b32 v22, 16, v22 :: v_dual_lshlrev_b32 v23, 16, v23
	s_delay_alu instid0(VALU_DEP_1) | instskip(SKIP_2) | instid1(SALU_CYCLE_1)
	v_cmp_neq_f32_e32 vcc_lo, v23, v22
	v_cmp_eq_f32_e64 s2, v23, v22
	s_or_b32 s6, vcc_lo, s6
	s_and_b32 s6, exec_lo, s6
	s_delay_alu instid0(SALU_CYCLE_1)
	s_or_b32 s30, s6, s30
	s_and_not1_b32 s3, s3, exec_lo
	s_and_b32 s2, s2, exec_lo
	s_mov_b64 s[6:7], s[34:35]
	s_or_b32 s3, s3, s2
	s_and_not1_b32 exec_lo, exec_lo, s30
	s_cbranch_execnz .LBB1174_32
; %bb.33:
	s_or_b32 exec_lo, exec_lo, s30
	s_xor_b32 s2, s28, -1
	s_xor_b32 s3, s3, -1
	v_cndmask_b32_e64 v16, 0, 1, s2
	s_xor_b32 s2, s29, -1
	s_delay_alu instid0(SALU_CYCLE_1) | instskip(SKIP_1) | instid1(VALU_DEP_2)
	v_cndmask_b32_e64 v17, 0, 1, s2
	s_xor_b32 s2, s26, -1
	v_lshlrev_b16 v16, 8, v16
	v_cndmask_b32_e64 v31, 0, 1, s2
	s_xor_b32 s2, s25, -1
	s_delay_alu instid0(SALU_CYCLE_1) | instskip(NEXT) | instid1(VALU_DEP_3)
	v_cndmask_b32_e64 v30, 0, 1, s2
	v_lshrrev_b32_e32 v16, 8, v16
	s_xor_b32 s2, s27, -1
	s_delay_alu instid0(VALU_DEP_1) | instskip(NEXT) | instid1(VALU_DEP_1)
	v_and_b32_e32 v16, 1, v16
	v_lshlrev_b16 v16, 8, v16
	s_delay_alu instid0(VALU_DEP_1) | instskip(SKIP_1) | instid1(VALU_DEP_2)
	v_or_b32_e32 v16, v17, v16
	v_cndmask_b32_e64 v17, 0, 1, s2
	v_lshlrev_b32_e32 v16, 16, v16
	s_branch .LBB1174_38
.LBB1174_34:
                                        ; implicit-def: $sgpr2
                                        ; implicit-def: $vgpr30
                                        ; implicit-def: $vgpr31
                                        ; implicit-def: $vgpr17
                                        ; implicit-def: $vgpr21
	s_branch .LBB1174_91
.LBB1174_35:
                                        ; implicit-def: $vgpr33
                                        ; implicit-def: $vgpr32
                                        ; implicit-def: $vgpr20
	s_branch .LBB1174_160
.LBB1174_36:
                                        ; implicit-def: $sgpr2
                                        ; implicit-def: $vgpr30
                                        ; implicit-def: $vgpr31
                                        ; implicit-def: $vgpr17
                                        ; implicit-def: $vgpr21
	s_cbranch_execnz .LBB1174_45
	s_branch .LBB1174_90
.LBB1174_37:
	v_dual_mov_b32 v16, 0 :: v_dual_mov_b32 v30, 0
	v_dual_mov_b32 v31, 0 :: v_dual_mov_b32 v17, 0
	s_mov_b32 s3, 0
.LBB1174_38:
	s_wait_kmcnt 0x0
	v_mov_b64_e32 v[20:21], s[4:5]
	s_mov_b32 s2, 0
	s_mov_b32 s6, exec_lo
	s_wait_dscnt 0x0
	s_barrier_signal -1
	s_barrier_wait -1
	v_cmpx_ne_u32_e32 0, v0
; %bb.39:
	v_add_nc_u32_e32 v20, -8, v26
	ds_load_b64 v[20:21], v20
; %bb.40:
	s_or_b32 exec_lo, exec_lo, s6
	v_cndmask_b32_e64 v22, 0, 1, s3
	v_lshrrev_b32_e32 v23, 16, v16
	s_and_not1_b32 vcc_lo, exec_lo, s24
	s_delay_alu instid0(VALU_DEP_2) | instskip(NEXT) | instid1(VALU_DEP_1)
	v_lshlrev_b16 v22, 8, v22
	v_bitop3_b16 v22, v16, v22, 0xff bitop3:0xec
	s_delay_alu instid0(VALU_DEP_3) | instskip(NEXT) | instid1(VALU_DEP_2)
	v_perm_b32 v16, v23, v16, 0xc0c0304
	v_and_b32_e32 v27, 0xffff, v22
	s_cbranch_vccnz .LBB1174_44
; %bb.41:
	s_wait_dscnt 0x0
	v_mul_u64_e32 v[20:21], s[18:19], v[20:21]
	v_mul_u64_e32 v[22:23], s[18:19], v[10:11]
	s_add_nc_u64 s[2:3], s[18:19], -1
	s_mov_b32 s6, 0
                                        ; implicit-def: $sgpr7
	s_delay_alu instid0(VALU_DEP_2) | instskip(NEXT) | instid1(VALU_DEP_2)
	v_lshl_add_u64 v[20:21], v[20:21], 1, s[8:9]
	v_lshl_add_u64 v[22:23], v[22:23], 1, s[8:9]
.LBB1174_42:                            ; =>This Inner Loop Header: Depth=1
	global_load_u16 v28, v[22:23], off
	global_load_u16 v29, v[20:21], off
	s_cmp_eq_u64 s[2:3], 0
	s_add_nc_u64 s[26:27], s[2:3], -1
	s_cselect_b32 s3, -1, 0
	s_wait_xcnt 0x0
	v_add_nc_u64_e32 v[20:21], 2, v[20:21]
	v_add_nc_u64_e32 v[22:23], 2, v[22:23]
	s_wait_loadcnt 0x0
	v_dual_lshlrev_b32 v28, 16, v28 :: v_dual_lshlrev_b32 v29, 16, v29
	s_delay_alu instid0(VALU_DEP_1) | instskip(SKIP_2) | instid1(SALU_CYCLE_1)
	v_cmp_neq_f32_e32 vcc_lo, v29, v28
	v_cmp_eq_f32_e64 s2, v29, v28
	s_or_b32 s3, vcc_lo, s3
	s_and_b32 s3, exec_lo, s3
	s_delay_alu instid0(SALU_CYCLE_1)
	s_or_b32 s6, s3, s6
	s_and_not1_b32 s7, s7, exec_lo
	s_and_b32 s25, s2, exec_lo
	s_mov_b64 s[2:3], s[26:27]
	s_or_b32 s7, s7, s25
	s_and_not1_b32 exec_lo, exec_lo, s6
	s_cbranch_execnz .LBB1174_42
; %bb.43:
	s_or_b32 exec_lo, exec_lo, s6
	s_xor_b32 s2, s7, -1
.LBB1174_44:
	s_wait_dscnt 0x0
	s_delay_alu instid0(VALU_DEP_1)
	v_lshl_or_b32 v21, v16, 16, v27
	s_branch .LBB1174_90
.LBB1174_45:
	v_add_nc_u32_e32 v16, 6, v19
	s_mov_b32 s7, 0
	s_mov_b32 s6, 0
	s_mov_b32 s25, exec_lo
	s_delay_alu instid0(VALU_DEP_1)
	v_cmpx_gt_u32_e64 s21, v16
	s_cbranch_execz .LBB1174_51
; %bb.46:
	s_and_not1_b32 vcc_lo, exec_lo, s24
	s_mov_b32 s2, 0
	s_cbranch_vccnz .LBB1174_50
; %bb.47:
	v_mul_u64_e32 v[16:17], s[18:19], v[4:5]
	v_mul_u64_e32 v[20:21], s[18:19], v[14:15]
	s_add_nc_u64 s[2:3], s[18:19], -1
                                        ; implicit-def: $sgpr24
	s_delay_alu instid0(VALU_DEP_2) | instskip(NEXT) | instid1(VALU_DEP_2)
	v_lshl_add_u64 v[16:17], v[16:17], 1, s[8:9]
	v_lshl_add_u64 v[20:21], v[20:21], 1, s[8:9]
.LBB1174_48:                            ; =>This Inner Loop Header: Depth=1
	global_load_u16 v22, v[20:21], off
	global_load_u16 v23, v[16:17], off
	s_cmp_eq_u64 s[2:3], 0
	s_add_nc_u64 s[26:27], s[2:3], -1
	s_cselect_b32 s3, -1, 0
	s_wait_xcnt 0x0
	v_add_nc_u64_e32 v[16:17], 2, v[16:17]
	v_add_nc_u64_e32 v[20:21], 2, v[20:21]
	s_wait_loadcnt 0x0
	v_dual_lshlrev_b32 v22, 16, v22 :: v_dual_lshlrev_b32 v23, 16, v23
	s_delay_alu instid0(VALU_DEP_1) | instskip(SKIP_2) | instid1(SALU_CYCLE_1)
	v_cmp_neq_f32_e32 vcc_lo, v23, v22
	v_cmp_eq_f32_e64 s2, v23, v22
	s_or_b32 s3, vcc_lo, s3
	s_and_b32 s3, exec_lo, s3
	s_delay_alu instid0(SALU_CYCLE_1)
	s_or_b32 s6, s3, s6
	s_and_not1_b32 s24, s24, exec_lo
	s_and_b32 s28, s2, exec_lo
	s_mov_b64 s[2:3], s[26:27]
	s_or_b32 s24, s24, s28
	s_and_not1_b32 exec_lo, exec_lo, s6
	s_cbranch_execnz .LBB1174_48
; %bb.49:
	s_or_b32 exec_lo, exec_lo, s6
	s_xor_b32 s2, s24, -1
.LBB1174_50:
	s_delay_alu instid0(SALU_CYCLE_1)
	s_and_b32 s6, s2, exec_lo
.LBB1174_51:
	s_or_b32 exec_lo, exec_lo, s25
	v_add_nc_u32_e32 v16, 5, v19
	s_mov_b32 s24, exec_lo
	s_delay_alu instid0(VALU_DEP_1)
	v_cmpx_gt_u32_e64 s21, v16
	s_cbranch_execz .LBB1174_57
; %bb.52:
	v_cmp_ne_u32_e32 vcc_lo, 1, v25
	s_mov_b32 s2, 0
	s_cbranch_vccnz .LBB1174_56
; %bb.53:
	v_mul_u64_e32 v[16:17], s[18:19], v[2:3]
	v_mul_u64_e32 v[20:21], s[18:19], v[4:5]
	s_add_nc_u64 s[2:3], s[18:19], -1
	s_mov_b32 s7, 0
                                        ; implicit-def: $sgpr25
	s_delay_alu instid0(VALU_DEP_2) | instskip(NEXT) | instid1(VALU_DEP_2)
	v_lshl_add_u64 v[16:17], v[16:17], 1, s[8:9]
	v_lshl_add_u64 v[20:21], v[20:21], 1, s[8:9]
.LBB1174_54:                            ; =>This Inner Loop Header: Depth=1
	global_load_u16 v22, v[20:21], off
	global_load_u16 v23, v[16:17], off
	s_cmp_eq_u64 s[2:3], 0
	s_add_nc_u64 s[26:27], s[2:3], -1
	s_cselect_b32 s3, -1, 0
	s_wait_xcnt 0x0
	v_add_nc_u64_e32 v[16:17], 2, v[16:17]
	v_add_nc_u64_e32 v[20:21], 2, v[20:21]
	s_wait_loadcnt 0x0
	v_dual_lshlrev_b32 v22, 16, v22 :: v_dual_lshlrev_b32 v23, 16, v23
	s_delay_alu instid0(VALU_DEP_1) | instskip(SKIP_2) | instid1(SALU_CYCLE_1)
	v_cmp_neq_f32_e32 vcc_lo, v23, v22
	v_cmp_eq_f32_e64 s2, v23, v22
	s_or_b32 s3, vcc_lo, s3
	s_and_b32 s3, exec_lo, s3
	s_delay_alu instid0(SALU_CYCLE_1)
	s_or_b32 s7, s3, s7
	s_and_not1_b32 s25, s25, exec_lo
	s_and_b32 s28, s2, exec_lo
	s_mov_b64 s[2:3], s[26:27]
	s_or_b32 s25, s25, s28
	s_and_not1_b32 exec_lo, exec_lo, s7
	s_cbranch_execnz .LBB1174_54
; %bb.55:
	s_or_b32 exec_lo, exec_lo, s7
	s_xor_b32 s2, s25, -1
.LBB1174_56:
	s_delay_alu instid0(SALU_CYCLE_1)
	s_and_b32 s7, s2, exec_lo
.LBB1174_57:
	s_or_b32 exec_lo, exec_lo, s24
	v_add_nc_u32_e32 v16, 4, v19
	s_mov_b32 s25, 0
	s_mov_b32 s24, 0
	s_mov_b32 s26, exec_lo
	s_delay_alu instid0(VALU_DEP_1)
	v_cmpx_gt_u32_e64 s21, v16
	s_cbranch_execz .LBB1174_63
; %bb.58:
	v_cmp_ne_u32_e32 vcc_lo, 1, v25
	s_mov_b32 s2, 0
	s_cbranch_vccnz .LBB1174_62
; %bb.59:
	v_mul_u64_e32 v[16:17], s[18:19], v[8:9]
	v_mul_u64_e32 v[20:21], s[18:19], v[2:3]
	s_add_nc_u64 s[2:3], s[18:19], -1
                                        ; implicit-def: $sgpr27
	s_delay_alu instid0(VALU_DEP_2) | instskip(NEXT) | instid1(VALU_DEP_2)
	v_lshl_add_u64 v[16:17], v[16:17], 1, s[8:9]
	v_lshl_add_u64 v[20:21], v[20:21], 1, s[8:9]
.LBB1174_60:                            ; =>This Inner Loop Header: Depth=1
	global_load_u16 v22, v[20:21], off
	global_load_u16 v23, v[16:17], off
	s_cmp_eq_u64 s[2:3], 0
	s_add_nc_u64 s[28:29], s[2:3], -1
	s_cselect_b32 s3, -1, 0
	s_wait_xcnt 0x0
	v_add_nc_u64_e32 v[16:17], 2, v[16:17]
	v_add_nc_u64_e32 v[20:21], 2, v[20:21]
	s_wait_loadcnt 0x0
	v_dual_lshlrev_b32 v22, 16, v22 :: v_dual_lshlrev_b32 v23, 16, v23
	s_delay_alu instid0(VALU_DEP_1) | instskip(SKIP_2) | instid1(SALU_CYCLE_1)
	v_cmp_neq_f32_e32 vcc_lo, v23, v22
	v_cmp_eq_f32_e64 s2, v23, v22
	s_or_b32 s3, vcc_lo, s3
	s_and_b32 s3, exec_lo, s3
	s_delay_alu instid0(SALU_CYCLE_1)
	s_or_b32 s24, s3, s24
	s_and_not1_b32 s27, s27, exec_lo
	s_and_b32 s30, s2, exec_lo
	s_mov_b64 s[2:3], s[28:29]
	s_or_b32 s27, s27, s30
	s_and_not1_b32 exec_lo, exec_lo, s24
	s_cbranch_execnz .LBB1174_60
; %bb.61:
	s_or_b32 exec_lo, exec_lo, s24
	s_xor_b32 s2, s27, -1
.LBB1174_62:
	s_delay_alu instid0(SALU_CYCLE_1)
	s_and_b32 s24, s2, exec_lo
.LBB1174_63:
	s_or_b32 exec_lo, exec_lo, s26
	v_add_nc_u32_e32 v16, 3, v19
	s_mov_b32 s26, exec_lo
	s_delay_alu instid0(VALU_DEP_1)
	v_cmpx_gt_u32_e64 s21, v16
	s_cbranch_execz .LBB1174_69
; %bb.64:
	v_cmp_ne_u32_e32 vcc_lo, 1, v25
	s_mov_b32 s2, 0
	s_cbranch_vccnz .LBB1174_68
; %bb.65:
	v_mul_u64_e32 v[16:17], s[18:19], v[6:7]
	v_mul_u64_e32 v[20:21], s[18:19], v[8:9]
	s_add_nc_u64 s[2:3], s[18:19], -1
	s_mov_b32 s25, 0
                                        ; implicit-def: $sgpr27
	s_delay_alu instid0(VALU_DEP_2) | instskip(NEXT) | instid1(VALU_DEP_2)
	v_lshl_add_u64 v[16:17], v[16:17], 1, s[8:9]
	v_lshl_add_u64 v[20:21], v[20:21], 1, s[8:9]
.LBB1174_66:                            ; =>This Inner Loop Header: Depth=1
	global_load_u16 v22, v[20:21], off
	global_load_u16 v23, v[16:17], off
	s_cmp_eq_u64 s[2:3], 0
	s_add_nc_u64 s[28:29], s[2:3], -1
	s_cselect_b32 s3, -1, 0
	s_wait_xcnt 0x0
	v_add_nc_u64_e32 v[16:17], 2, v[16:17]
	v_add_nc_u64_e32 v[20:21], 2, v[20:21]
	s_wait_loadcnt 0x0
	v_dual_lshlrev_b32 v22, 16, v22 :: v_dual_lshlrev_b32 v23, 16, v23
	s_delay_alu instid0(VALU_DEP_1) | instskip(SKIP_2) | instid1(SALU_CYCLE_1)
	v_cmp_neq_f32_e32 vcc_lo, v23, v22
	v_cmp_eq_f32_e64 s2, v23, v22
	s_or_b32 s3, vcc_lo, s3
	s_and_b32 s3, exec_lo, s3
	s_delay_alu instid0(SALU_CYCLE_1)
	s_or_b32 s25, s3, s25
	s_and_not1_b32 s27, s27, exec_lo
	s_and_b32 s30, s2, exec_lo
	s_mov_b64 s[2:3], s[28:29]
	s_or_b32 s27, s27, s30
	s_and_not1_b32 exec_lo, exec_lo, s25
	s_cbranch_execnz .LBB1174_66
; %bb.67:
	s_or_b32 exec_lo, exec_lo, s25
	s_xor_b32 s2, s27, -1
.LBB1174_68:
	s_delay_alu instid0(SALU_CYCLE_1)
	s_and_b32 s25, s2, exec_lo
.LBB1174_69:
	s_or_b32 exec_lo, exec_lo, s26
	v_add_nc_u32_e32 v16, 2, v19
	s_mov_b32 s26, 0
	s_mov_b32 s27, 0
	s_mov_b32 s28, exec_lo
	s_delay_alu instid0(VALU_DEP_1)
	v_cmpx_gt_u32_e64 s21, v16
	s_cbranch_execz .LBB1174_75
; %bb.70:
	v_cmp_ne_u32_e32 vcc_lo, 1, v25
	s_mov_b32 s2, 0
	s_cbranch_vccnz .LBB1174_74
; %bb.71:
	v_mul_u64_e32 v[16:17], s[18:19], v[12:13]
	v_mul_u64_e32 v[20:21], s[18:19], v[6:7]
	s_add_nc_u64 s[2:3], s[18:19], -1
                                        ; implicit-def: $sgpr29
	s_delay_alu instid0(VALU_DEP_2) | instskip(NEXT) | instid1(VALU_DEP_2)
	v_lshl_add_u64 v[16:17], v[16:17], 1, s[8:9]
	v_lshl_add_u64 v[20:21], v[20:21], 1, s[8:9]
.LBB1174_72:                            ; =>This Inner Loop Header: Depth=1
	global_load_u16 v22, v[20:21], off
	global_load_u16 v23, v[16:17], off
	s_cmp_eq_u64 s[2:3], 0
	s_add_nc_u64 s[30:31], s[2:3], -1
	s_cselect_b32 s3, -1, 0
	s_wait_xcnt 0x0
	v_add_nc_u64_e32 v[16:17], 2, v[16:17]
	v_add_nc_u64_e32 v[20:21], 2, v[20:21]
	s_wait_loadcnt 0x0
	v_dual_lshlrev_b32 v22, 16, v22 :: v_dual_lshlrev_b32 v23, 16, v23
	s_delay_alu instid0(VALU_DEP_1) | instskip(SKIP_2) | instid1(SALU_CYCLE_1)
	v_cmp_neq_f32_e32 vcc_lo, v23, v22
	v_cmp_eq_f32_e64 s2, v23, v22
	s_or_b32 s3, vcc_lo, s3
	s_and_b32 s3, exec_lo, s3
	s_delay_alu instid0(SALU_CYCLE_1)
	s_or_b32 s27, s3, s27
	s_and_not1_b32 s29, s29, exec_lo
	s_and_b32 s33, s2, exec_lo
	s_mov_b64 s[2:3], s[30:31]
	s_or_b32 s29, s29, s33
	s_and_not1_b32 exec_lo, exec_lo, s27
	s_cbranch_execnz .LBB1174_72
; %bb.73:
	s_or_b32 exec_lo, exec_lo, s27
	s_xor_b32 s2, s29, -1
.LBB1174_74:
	s_delay_alu instid0(SALU_CYCLE_1)
	s_and_b32 s27, s2, exec_lo
.LBB1174_75:
	s_or_b32 exec_lo, exec_lo, s28
	v_add_nc_u32_e32 v16, 1, v19
	s_mov_b32 s28, exec_lo
	s_delay_alu instid0(VALU_DEP_1)
	v_cmpx_gt_u32_e64 s21, v16
	s_cbranch_execz .LBB1174_81
; %bb.76:
	v_cmp_ne_u32_e32 vcc_lo, 1, v25
	s_mov_b32 s2, 0
	s_cbranch_vccnz .LBB1174_80
; %bb.77:
	v_mul_u64_e32 v[16:17], s[18:19], v[10:11]
	v_mul_u64_e32 v[20:21], s[18:19], v[12:13]
	s_add_nc_u64 s[2:3], s[18:19], -1
	s_mov_b32 s26, 0
                                        ; implicit-def: $sgpr29
	s_delay_alu instid0(VALU_DEP_2) | instskip(NEXT) | instid1(VALU_DEP_2)
	v_lshl_add_u64 v[16:17], v[16:17], 1, s[8:9]
	v_lshl_add_u64 v[20:21], v[20:21], 1, s[8:9]
.LBB1174_78:                            ; =>This Inner Loop Header: Depth=1
	global_load_u16 v22, v[20:21], off
	global_load_u16 v23, v[16:17], off
	s_cmp_eq_u64 s[2:3], 0
	s_add_nc_u64 s[30:31], s[2:3], -1
	s_cselect_b32 s3, -1, 0
	s_wait_xcnt 0x0
	v_add_nc_u64_e32 v[16:17], 2, v[16:17]
	v_add_nc_u64_e32 v[20:21], 2, v[20:21]
	s_wait_loadcnt 0x0
	v_dual_lshlrev_b32 v22, 16, v22 :: v_dual_lshlrev_b32 v23, 16, v23
	s_delay_alu instid0(VALU_DEP_1) | instskip(SKIP_2) | instid1(SALU_CYCLE_1)
	v_cmp_neq_f32_e32 vcc_lo, v23, v22
	v_cmp_eq_f32_e64 s2, v23, v22
	s_or_b32 s3, vcc_lo, s3
	s_and_b32 s3, exec_lo, s3
	s_delay_alu instid0(SALU_CYCLE_1)
	s_or_b32 s26, s3, s26
	s_and_not1_b32 s29, s29, exec_lo
	s_and_b32 s33, s2, exec_lo
	s_mov_b64 s[2:3], s[30:31]
	s_or_b32 s29, s29, s33
	s_and_not1_b32 exec_lo, exec_lo, s26
	s_cbranch_execnz .LBB1174_78
; %bb.79:
	s_or_b32 exec_lo, exec_lo, s26
	s_xor_b32 s2, s29, -1
.LBB1174_80:
	s_delay_alu instid0(SALU_CYCLE_1)
	s_and_b32 s26, s2, exec_lo
.LBB1174_81:
	s_or_b32 exec_lo, exec_lo, s28
	s_wait_kmcnt 0x0
	v_mov_b64_e32 v[16:17], s[4:5]
	s_mov_b32 s2, 0
	s_mov_b32 s3, exec_lo
	s_wait_dscnt 0x0
	s_barrier_signal -1
	s_barrier_wait -1
	v_cmpx_ne_u32_e32 0, v0
; %bb.82:
	v_add_nc_u32_e32 v16, -8, v26
	ds_load_b64 v[16:17], v16
; %bb.83:
	s_or_b32 exec_lo, exec_lo, s3
	v_cndmask_b32_e64 v20, 0, 1, s25
	v_cndmask_b32_e64 v21, 0, 1, s27
	;; [unrolled: 1-line block ×3, first 2 shown]
	s_mov_b32 s4, exec_lo
	s_delay_alu instid0(VALU_DEP_3) | instskip(NEXT) | instid1(VALU_DEP_2)
	v_lshlrev_b16 v20, 8, v20
	v_lshlrev_b16 v22, 8, v22
	s_delay_alu instid0(VALU_DEP_2) | instskip(NEXT) | instid1(VALU_DEP_2)
	v_or_b32_e32 v20, v21, v20
	v_and_b32_e32 v22, 0xffff, v22
	s_delay_alu instid0(VALU_DEP_2)
	v_lshlrev_b32_e32 v23, 16, v20
	v_cmpx_gt_u32_e64 s21, v19
	s_cbranch_execz .LBB1174_89
; %bb.84:
	v_cmp_ne_u32_e32 vcc_lo, 1, v25
	s_cbranch_vccnz .LBB1174_88
; %bb.85:
	s_wait_dscnt 0x0
	v_mul_u64_e32 v[16:17], s[18:19], v[16:17]
	v_mul_u64_e32 v[20:21], s[18:19], v[10:11]
	s_add_nc_u64 s[2:3], s[18:19], -1
	s_mov_b32 s5, 0
                                        ; implicit-def: $sgpr25
	s_delay_alu instid0(VALU_DEP_2) | instskip(NEXT) | instid1(VALU_DEP_2)
	v_lshl_add_u64 v[16:17], v[16:17], 1, s[8:9]
	v_lshl_add_u64 v[20:21], v[20:21], 1, s[8:9]
.LBB1174_86:                            ; =>This Inner Loop Header: Depth=1
	global_load_u16 v25, v[20:21], off
	global_load_u16 v26, v[16:17], off
	s_cmp_eq_u64 s[2:3], 0
	s_add_nc_u64 s[26:27], s[2:3], -1
	s_cselect_b32 s3, -1, 0
	s_wait_xcnt 0x0
	v_add_nc_u64_e32 v[16:17], 2, v[16:17]
	v_add_nc_u64_e32 v[20:21], 2, v[20:21]
	s_wait_loadcnt 0x0
	v_dual_lshlrev_b32 v25, 16, v25 :: v_dual_lshlrev_b32 v26, 16, v26
	s_delay_alu instid0(VALU_DEP_1) | instskip(SKIP_2) | instid1(SALU_CYCLE_1)
	v_cmp_neq_f32_e32 vcc_lo, v26, v25
	v_cmp_eq_f32_e64 s2, v26, v25
	s_or_b32 s3, vcc_lo, s3
	s_and_b32 s3, exec_lo, s3
	s_delay_alu instid0(SALU_CYCLE_1)
	s_or_b32 s5, s3, s5
	s_and_not1_b32 s25, s25, exec_lo
	s_and_b32 s28, s2, exec_lo
	s_mov_b64 s[2:3], s[26:27]
	s_or_b32 s25, s25, s28
	s_and_not1_b32 exec_lo, exec_lo, s5
	s_cbranch_execnz .LBB1174_86
; %bb.87:
	s_or_b32 exec_lo, exec_lo, s5
	s_xor_b32 s2, s25, -1
.LBB1174_88:
	s_delay_alu instid0(SALU_CYCLE_1)
	s_and_b32 s2, s2, exec_lo
.LBB1174_89:
	s_or_b32 exec_lo, exec_lo, s4
	s_wait_dscnt 0x0
	v_cndmask_b32_e64 v17, 0, 1, s24
	v_cndmask_b32_e64 v31, 0, 1, s7
	;; [unrolled: 1-line block ×3, first 2 shown]
	v_or_b32_e32 v21, v22, v23
.LBB1174_90:
	s_mov_b32 s6, -1
	s_cbranch_execnz .LBB1174_35
.LBB1174_91:
	v_cmp_gt_i64_e64 s7, s[18:19], 0
	v_mad_i32_i24 v26, 0xffffffd0, v0, v24
	s_and_b32 vcc_lo, exec_lo, s17
	ds_store_b64 v26, v[14:15]
	s_cbranch_vccz .LBB1174_106
; %bb.92:
	s_and_not1_b32 vcc_lo, exec_lo, s7
	s_cbranch_vccnz .LBB1174_107
; %bb.93:
	v_mul_u64_e32 v[16:17], s[18:19], v[4:5]
	v_mul_u64_e32 v[20:21], s[18:19], v[14:15]
	s_wait_kmcnt 0x0
	s_add_nc_u64 s[4:5], s[18:19], -1
	s_mov_b32 s25, 0
	s_mov_b64 s[2:3], s[4:5]
                                        ; implicit-def: $sgpr24
	s_delay_alu instid0(VALU_DEP_2) | instskip(NEXT) | instid1(VALU_DEP_2)
	v_lshl_add_u64 v[16:17], v[16:17], 1, s[8:9]
	v_lshl_add_u64 v[20:21], v[20:21], 1, s[8:9]
	s_delay_alu instid0(VALU_DEP_2)
	v_mov_b64_e32 v[22:23], v[16:17]
.LBB1174_94:                            ; =>This Inner Loop Header: Depth=1
	global_load_u16 v24, v[20:21], off
	global_load_u16 v25, v[22:23], off
	s_cmp_eq_u64 s[2:3], 0
	s_add_nc_u64 s[26:27], s[2:3], -1
	s_cselect_b32 s3, -1, 0
	s_wait_xcnt 0x0
	v_add_nc_u64_e32 v[22:23], 2, v[22:23]
	v_add_nc_u64_e32 v[20:21], 2, v[20:21]
	s_wait_loadcnt 0x0
	v_dual_lshlrev_b32 v24, 16, v24 :: v_dual_lshlrev_b32 v25, 16, v25
	s_delay_alu instid0(VALU_DEP_1) | instskip(SKIP_2) | instid1(SALU_CYCLE_1)
	v_cmp_neq_f32_e32 vcc_lo, v25, v24
	v_cmp_eq_f32_e64 s2, v25, v24
	s_or_b32 s3, vcc_lo, s3
	s_and_b32 s3, exec_lo, s3
	s_delay_alu instid0(SALU_CYCLE_1)
	s_or_b32 s25, s3, s25
	s_and_not1_b32 s24, s24, exec_lo
	s_and_b32 s28, s2, exec_lo
	s_mov_b64 s[2:3], s[26:27]
	s_or_b32 s24, s24, s28
	s_and_not1_b32 exec_lo, exec_lo, s25
	s_cbranch_execnz .LBB1174_94
; %bb.95:
	s_or_b32 exec_lo, exec_lo, s25
	v_mul_u64_e32 v[20:21], s[18:19], v[2:3]
	s_mov_b32 s26, 0
	s_mov_b64 s[2:3], s[4:5]
                                        ; implicit-def: $sgpr25
	s_delay_alu instid0(VALU_DEP_1) | instskip(NEXT) | instid1(VALU_DEP_1)
	v_lshl_add_u64 v[20:21], v[20:21], 1, s[8:9]
	v_mov_b64_e32 v[22:23], v[20:21]
.LBB1174_96:                            ; =>This Inner Loop Header: Depth=1
	global_load_u16 v24, v[16:17], off
	global_load_u16 v25, v[22:23], off
	s_cmp_eq_u64 s[2:3], 0
	s_add_nc_u64 s[28:29], s[2:3], -1
	s_cselect_b32 s3, -1, 0
	s_wait_xcnt 0x0
	v_add_nc_u64_e32 v[22:23], 2, v[22:23]
	v_add_nc_u64_e32 v[16:17], 2, v[16:17]
	s_wait_loadcnt 0x0
	v_dual_lshlrev_b32 v24, 16, v24 :: v_dual_lshlrev_b32 v25, 16, v25
	s_delay_alu instid0(VALU_DEP_1) | instskip(SKIP_2) | instid1(SALU_CYCLE_1)
	v_cmp_neq_f32_e32 vcc_lo, v25, v24
	v_cmp_eq_f32_e64 s2, v25, v24
	s_or_b32 s3, vcc_lo, s3
	s_and_b32 s3, exec_lo, s3
	s_delay_alu instid0(SALU_CYCLE_1)
	s_or_b32 s26, s3, s26
	s_and_not1_b32 s25, s25, exec_lo
	s_and_b32 s27, s2, exec_lo
	s_mov_b64 s[2:3], s[28:29]
	s_or_b32 s25, s25, s27
	s_and_not1_b32 exec_lo, exec_lo, s26
	s_cbranch_execnz .LBB1174_96
; %bb.97:
	s_or_b32 exec_lo, exec_lo, s26
	v_mul_u64_e32 v[16:17], s[18:19], v[8:9]
	s_mov_b32 s27, 0
	s_mov_b64 s[2:3], s[4:5]
                                        ; implicit-def: $sgpr26
	s_delay_alu instid0(VALU_DEP_1) | instskip(NEXT) | instid1(VALU_DEP_1)
	v_lshl_add_u64 v[16:17], v[16:17], 1, s[8:9]
	v_mov_b64_e32 v[22:23], v[16:17]
.LBB1174_98:                            ; =>This Inner Loop Header: Depth=1
	global_load_u16 v24, v[20:21], off
	global_load_u16 v25, v[22:23], off
	s_cmp_eq_u64 s[2:3], 0
	s_add_nc_u64 s[28:29], s[2:3], -1
	s_cselect_b32 s3, -1, 0
	s_wait_xcnt 0x0
	v_add_nc_u64_e32 v[22:23], 2, v[22:23]
	v_add_nc_u64_e32 v[20:21], 2, v[20:21]
	s_wait_loadcnt 0x0
	v_dual_lshlrev_b32 v24, 16, v24 :: v_dual_lshlrev_b32 v25, 16, v25
	s_delay_alu instid0(VALU_DEP_1) | instskip(SKIP_2) | instid1(SALU_CYCLE_1)
	v_cmp_neq_f32_e32 vcc_lo, v25, v24
	v_cmp_eq_f32_e64 s2, v25, v24
	s_or_b32 s3, vcc_lo, s3
	s_and_b32 s3, exec_lo, s3
	s_delay_alu instid0(SALU_CYCLE_1)
	s_or_b32 s27, s3, s27
	s_and_not1_b32 s26, s26, exec_lo
	s_and_b32 s30, s2, exec_lo
	s_mov_b64 s[2:3], s[28:29]
	s_or_b32 s26, s26, s30
	s_and_not1_b32 exec_lo, exec_lo, s27
	s_cbranch_execnz .LBB1174_98
; %bb.99:
	s_or_b32 exec_lo, exec_lo, s27
	v_mul_u64_e32 v[20:21], s[18:19], v[6:7]
	s_mov_b32 s28, 0
	s_mov_b64 s[2:3], s[4:5]
                                        ; implicit-def: $sgpr27
	s_delay_alu instid0(VALU_DEP_1) | instskip(NEXT) | instid1(VALU_DEP_1)
	v_lshl_add_u64 v[20:21], v[20:21], 1, s[8:9]
	v_mov_b64_e32 v[22:23], v[20:21]
.LBB1174_100:                           ; =>This Inner Loop Header: Depth=1
	global_load_u16 v24, v[16:17], off
	global_load_u16 v25, v[22:23], off
	s_cmp_eq_u64 s[2:3], 0
	s_add_nc_u64 s[30:31], s[2:3], -1
	s_cselect_b32 s3, -1, 0
	s_wait_xcnt 0x0
	v_add_nc_u64_e32 v[22:23], 2, v[22:23]
	v_add_nc_u64_e32 v[16:17], 2, v[16:17]
	s_wait_loadcnt 0x0
	v_dual_lshlrev_b32 v24, 16, v24 :: v_dual_lshlrev_b32 v25, 16, v25
	s_delay_alu instid0(VALU_DEP_1) | instskip(SKIP_2) | instid1(SALU_CYCLE_1)
	v_cmp_neq_f32_e32 vcc_lo, v25, v24
	v_cmp_eq_f32_e64 s2, v25, v24
	s_or_b32 s3, vcc_lo, s3
	s_and_b32 s3, exec_lo, s3
	s_delay_alu instid0(SALU_CYCLE_1)
	s_or_b32 s28, s3, s28
	s_and_not1_b32 s27, s27, exec_lo
	s_and_b32 s29, s2, exec_lo
	s_mov_b64 s[2:3], s[30:31]
	s_or_b32 s27, s27, s29
	s_and_not1_b32 exec_lo, exec_lo, s28
	s_cbranch_execnz .LBB1174_100
; %bb.101:
	s_or_b32 exec_lo, exec_lo, s28
	v_mul_u64_e32 v[16:17], s[18:19], v[12:13]
	s_mov_b32 s29, 0
	s_mov_b64 s[2:3], s[4:5]
                                        ; implicit-def: $sgpr28
	s_delay_alu instid0(VALU_DEP_1) | instskip(NEXT) | instid1(VALU_DEP_1)
	v_lshl_add_u64 v[16:17], v[16:17], 1, s[8:9]
	v_mov_b64_e32 v[22:23], v[16:17]
.LBB1174_102:                           ; =>This Inner Loop Header: Depth=1
	global_load_u16 v24, v[20:21], off
	global_load_u16 v25, v[22:23], off
	s_cmp_eq_u64 s[2:3], 0
	s_add_nc_u64 s[30:31], s[2:3], -1
	s_cselect_b32 s3, -1, 0
	s_wait_xcnt 0x0
	v_add_nc_u64_e32 v[22:23], 2, v[22:23]
	v_add_nc_u64_e32 v[20:21], 2, v[20:21]
	s_wait_loadcnt 0x0
	v_dual_lshlrev_b32 v24, 16, v24 :: v_dual_lshlrev_b32 v25, 16, v25
	s_delay_alu instid0(VALU_DEP_1) | instskip(SKIP_2) | instid1(SALU_CYCLE_1)
	v_cmp_neq_f32_e32 vcc_lo, v25, v24
	v_cmp_eq_f32_e64 s2, v25, v24
	s_or_b32 s3, vcc_lo, s3
	s_and_b32 s3, exec_lo, s3
	s_delay_alu instid0(SALU_CYCLE_1)
	s_or_b32 s29, s3, s29
	s_and_not1_b32 s28, s28, exec_lo
	s_and_b32 s33, s2, exec_lo
	s_mov_b64 s[2:3], s[30:31]
	s_or_b32 s28, s28, s33
	s_and_not1_b32 exec_lo, exec_lo, s29
	s_cbranch_execnz .LBB1174_102
; %bb.103:
	s_or_b32 exec_lo, exec_lo, s29
	v_mul_u64_e32 v[20:21], s[18:19], v[10:11]
	s_mov_b32 s29, 0
                                        ; implicit-def: $sgpr3
	s_delay_alu instid0(VALU_DEP_1)
	v_lshl_add_u64 v[20:21], v[20:21], 1, s[8:9]
.LBB1174_104:                           ; =>This Inner Loop Header: Depth=1
	global_load_u16 v22, v[16:17], off
	global_load_u16 v23, v[20:21], off
	s_cmp_eq_u64 s[4:5], 0
	s_add_nc_u64 s[30:31], s[4:5], -1
	s_cselect_b32 s4, -1, 0
	s_wait_xcnt 0x0
	v_add_nc_u64_e32 v[20:21], 2, v[20:21]
	v_add_nc_u64_e32 v[16:17], 2, v[16:17]
	s_wait_loadcnt 0x0
	v_dual_lshlrev_b32 v22, 16, v22 :: v_dual_lshlrev_b32 v23, 16, v23
	s_delay_alu instid0(VALU_DEP_1) | instskip(SKIP_2) | instid1(SALU_CYCLE_1)
	v_cmp_neq_f32_e32 vcc_lo, v23, v22
	v_cmp_eq_f32_e64 s2, v23, v22
	s_or_b32 s4, vcc_lo, s4
	s_and_b32 s4, exec_lo, s4
	s_delay_alu instid0(SALU_CYCLE_1)
	s_or_b32 s29, s4, s29
	s_and_not1_b32 s3, s3, exec_lo
	s_and_b32 s2, s2, exec_lo
	s_mov_b64 s[4:5], s[30:31]
	s_or_b32 s3, s3, s2
	s_and_not1_b32 exec_lo, exec_lo, s29
	s_cbranch_execnz .LBB1174_104
; %bb.105:
	s_or_b32 exec_lo, exec_lo, s29
	s_xor_b32 s2, s27, -1
	s_delay_alu instid0(SALU_CYCLE_1) | instskip(SKIP_1) | instid1(SALU_CYCLE_1)
	v_cndmask_b32_e64 v16, 0, 1, s2
	s_xor_b32 s2, s28, -1
	v_cndmask_b32_e64 v17, 0, 1, s2
	s_xor_b32 s2, s25, -1
	s_delay_alu instid0(VALU_DEP_2) | instskip(SKIP_2) | instid1(SALU_CYCLE_1)
	v_lshlrev_b16 v16, 8, v16
	v_cndmask_b32_e64 v31, 0, 1, s2
	s_xor_b32 s2, s24, -1
	v_cndmask_b32_e64 v30, 0, 1, s2
	s_delay_alu instid0(VALU_DEP_3) | instskip(SKIP_1) | instid1(VALU_DEP_1)
	v_lshrrev_b32_e32 v16, 8, v16
	s_xor_b32 s2, s26, -1
	v_and_b32_e32 v16, 1, v16
	s_delay_alu instid0(VALU_DEP_1) | instskip(NEXT) | instid1(VALU_DEP_1)
	v_lshlrev_b16 v16, 8, v16
	v_or_b32_e32 v16, v17, v16
	v_cndmask_b32_e64 v17, 0, 1, s2
	s_xor_b32 s2, s3, -1
	s_delay_alu instid0(VALU_DEP_2)
	v_lshlrev_b32_e32 v16, 16, v16
	s_branch .LBB1174_108
.LBB1174_106:
	s_wait_kmcnt 0x0
                                        ; implicit-def: $sgpr2
                                        ; implicit-def: $vgpr30
                                        ; implicit-def: $vgpr31
                                        ; implicit-def: $vgpr17
                                        ; implicit-def: $vgpr21
                                        ; implicit-def: $vgpr33
                                        ; implicit-def: $vgpr32
                                        ; implicit-def: $vgpr20
	s_cbranch_execnz .LBB1174_115
	s_branch .LBB1174_160
.LBB1174_107:
	v_dual_mov_b32 v16, 0 :: v_dual_mov_b32 v30, 0
	v_dual_mov_b32 v31, 0 :: v_dual_mov_b32 v17, 0
	s_mov_b32 s2, 0
.LBB1174_108:
	s_delay_alu instid0(VALU_DEP_1)
	v_dual_lshrrev_b32 v32, 16, v16 :: v_dual_lshrrev_b32 v20, 24, v16
	v_cndmask_b32_e64 v33, 0, 1, s2
	v_mov_b32_e32 v16, 1
	s_wait_kmcnt 0x0
	s_mov_b32 s4, 0
	s_wait_dscnt 0x0
	s_barrier_signal -1
	s_barrier_wait -1
                                        ; implicit-def: $sgpr2
                                        ; implicit-def: $vgpr21
	s_mov_b32 s3, exec_lo
	v_cmpx_ne_u32_e32 0, v0
	s_xor_b32 s5, exec_lo, s3
	s_cbranch_execz .LBB1174_114
; %bb.109:
	v_lshlrev_b16 v21, 8, v20
	v_lshlrev_b16 v22, 8, v33
	s_and_not1_b32 vcc_lo, exec_lo, s7
	s_mov_b32 s2, 0
	s_delay_alu instid0(VALU_DEP_2) | instskip(NEXT) | instid1(VALU_DEP_1)
	v_bitop3_b16 v21, v32, v21, 0xff bitop3:0xec
	v_dual_lshlrev_b32 v21, 16, v21 :: v_dual_bitop2_b32 v22, 1, v22 bitop3:0x54
	s_delay_alu instid0(VALU_DEP_1) | instskip(NEXT) | instid1(VALU_DEP_1)
	v_and_b32_e32 v22, 0xffff, v22
	v_or_b32_e32 v21, v22, v21
	s_cbranch_vccnz .LBB1174_113
; %bb.110:
	v_add_nc_u32_e32 v22, -8, v26
	v_mul_u64_e32 v[24:25], s[18:19], v[10:11]
	s_add_nc_u64 s[2:3], s[18:19], -1
	s_mov_b32 s24, 0
                                        ; implicit-def: $sgpr25
	ds_load_b64 v[22:23], v22
	s_wait_dscnt 0x0
	v_mul_u64_e32 v[22:23], s[18:19], v[22:23]
	v_lshl_add_u64 v[24:25], v[24:25], 1, s[8:9]
	s_delay_alu instid0(VALU_DEP_2)
	v_lshl_add_u64 v[22:23], v[22:23], 1, s[8:9]
.LBB1174_111:                           ; =>This Inner Loop Header: Depth=1
	global_load_u16 v27, v[24:25], off
	global_load_u16 v28, v[22:23], off
	s_cmp_eq_u64 s[2:3], 0
	s_add_nc_u64 s[26:27], s[2:3], -1
	s_cselect_b32 s3, -1, 0
	s_wait_xcnt 0x0
	v_add_nc_u64_e32 v[22:23], 2, v[22:23]
	v_add_nc_u64_e32 v[24:25], 2, v[24:25]
	s_wait_loadcnt 0x0
	v_dual_lshlrev_b32 v27, 16, v27 :: v_dual_lshlrev_b32 v28, 16, v28
	s_delay_alu instid0(VALU_DEP_1) | instskip(SKIP_2) | instid1(SALU_CYCLE_1)
	v_cmp_neq_f32_e32 vcc_lo, v28, v27
	v_cmp_eq_f32_e64 s2, v28, v27
	s_or_b32 s3, vcc_lo, s3
	s_and_b32 s3, exec_lo, s3
	s_delay_alu instid0(SALU_CYCLE_1)
	s_or_b32 s24, s3, s24
	s_and_not1_b32 s25, s25, exec_lo
	s_and_b32 s28, s2, exec_lo
	s_mov_b64 s[2:3], s[26:27]
	s_or_b32 s25, s25, s28
	s_and_not1_b32 exec_lo, exec_lo, s24
	s_cbranch_execnz .LBB1174_111
; %bb.112:
	s_or_b32 exec_lo, exec_lo, s24
	s_xor_b32 s2, s25, -1
.LBB1174_113:
	s_delay_alu instid0(VALU_DEP_1)
	v_perm_b32 v21, v21, v21, 0x3020104
	s_or_b32 s6, s6, exec_lo
.LBB1174_114:
	s_or_b32 exec_lo, exec_lo, s5
	s_delay_alu instid0(SALU_CYCLE_1)
	s_and_b32 vcc_lo, exec_lo, s4
	s_cbranch_vccz .LBB1174_160
.LBB1174_115:
	v_add_nc_u32_e32 v16, 6, v19
	s_mov_b32 s5, 0
	s_mov_b32 s4, 0
	s_mov_b32 s24, exec_lo
	s_delay_alu instid0(VALU_DEP_1)
	v_cmpx_gt_u32_e64 s21, v16
	s_cbranch_execz .LBB1174_121
; %bb.116:
	s_and_not1_b32 vcc_lo, exec_lo, s7
	s_mov_b32 s2, 0
	s_cbranch_vccnz .LBB1174_120
; %bb.117:
	v_mul_u64_e32 v[16:17], s[18:19], v[4:5]
	v_mul_u64_e32 v[20:21], s[18:19], v[14:15]
	s_add_nc_u64 s[2:3], s[18:19], -1
                                        ; implicit-def: $sgpr25
	s_delay_alu instid0(VALU_DEP_2) | instskip(NEXT) | instid1(VALU_DEP_2)
	v_lshl_add_u64 v[16:17], v[16:17], 1, s[8:9]
	v_lshl_add_u64 v[20:21], v[20:21], 1, s[8:9]
.LBB1174_118:                           ; =>This Inner Loop Header: Depth=1
	global_load_u16 v22, v[20:21], off
	global_load_u16 v23, v[16:17], off
	s_cmp_eq_u64 s[2:3], 0
	s_add_nc_u64 s[26:27], s[2:3], -1
	s_cselect_b32 s3, -1, 0
	s_wait_xcnt 0x0
	v_add_nc_u64_e32 v[16:17], 2, v[16:17]
	v_add_nc_u64_e32 v[20:21], 2, v[20:21]
	s_wait_loadcnt 0x0
	v_dual_lshlrev_b32 v22, 16, v22 :: v_dual_lshlrev_b32 v23, 16, v23
	s_delay_alu instid0(VALU_DEP_1) | instskip(SKIP_2) | instid1(SALU_CYCLE_1)
	v_cmp_neq_f32_e32 vcc_lo, v23, v22
	v_cmp_eq_f32_e64 s2, v23, v22
	s_or_b32 s3, vcc_lo, s3
	s_and_b32 s3, exec_lo, s3
	s_delay_alu instid0(SALU_CYCLE_1)
	s_or_b32 s4, s3, s4
	s_and_not1_b32 s25, s25, exec_lo
	s_and_b32 s28, s2, exec_lo
	s_mov_b64 s[2:3], s[26:27]
	s_or_b32 s25, s25, s28
	s_and_not1_b32 exec_lo, exec_lo, s4
	s_cbranch_execnz .LBB1174_118
; %bb.119:
	s_or_b32 exec_lo, exec_lo, s4
	s_xor_b32 s2, s25, -1
.LBB1174_120:
	s_delay_alu instid0(SALU_CYCLE_1)
	s_and_b32 s4, s2, exec_lo
.LBB1174_121:
	s_or_b32 exec_lo, exec_lo, s24
	v_add_nc_u32_e32 v16, 5, v19
	s_mov_b32 s24, exec_lo
	s_delay_alu instid0(VALU_DEP_1)
	v_cmpx_gt_u32_e64 s21, v16
	s_cbranch_execz .LBB1174_127
; %bb.122:
	s_and_not1_b32 vcc_lo, exec_lo, s7
	s_mov_b32 s2, 0
	s_cbranch_vccnz .LBB1174_126
; %bb.123:
	v_mul_u64_e32 v[16:17], s[18:19], v[2:3]
	v_mul_u64_e32 v[20:21], s[18:19], v[4:5]
	s_add_nc_u64 s[2:3], s[18:19], -1
	s_mov_b32 s5, 0
                                        ; implicit-def: $sgpr25
	s_delay_alu instid0(VALU_DEP_2) | instskip(NEXT) | instid1(VALU_DEP_2)
	v_lshl_add_u64 v[16:17], v[16:17], 1, s[8:9]
	v_lshl_add_u64 v[20:21], v[20:21], 1, s[8:9]
.LBB1174_124:                           ; =>This Inner Loop Header: Depth=1
	global_load_u16 v22, v[20:21], off
	global_load_u16 v23, v[16:17], off
	s_cmp_eq_u64 s[2:3], 0
	s_add_nc_u64 s[26:27], s[2:3], -1
	s_cselect_b32 s3, -1, 0
	s_wait_xcnt 0x0
	v_add_nc_u64_e32 v[16:17], 2, v[16:17]
	v_add_nc_u64_e32 v[20:21], 2, v[20:21]
	s_wait_loadcnt 0x0
	v_dual_lshlrev_b32 v22, 16, v22 :: v_dual_lshlrev_b32 v23, 16, v23
	s_delay_alu instid0(VALU_DEP_1) | instskip(SKIP_2) | instid1(SALU_CYCLE_1)
	v_cmp_neq_f32_e32 vcc_lo, v23, v22
	v_cmp_eq_f32_e64 s2, v23, v22
	s_or_b32 s3, vcc_lo, s3
	s_and_b32 s3, exec_lo, s3
	s_delay_alu instid0(SALU_CYCLE_1)
	s_or_b32 s5, s3, s5
	s_and_not1_b32 s25, s25, exec_lo
	s_and_b32 s28, s2, exec_lo
	s_mov_b64 s[2:3], s[26:27]
	s_or_b32 s25, s25, s28
	s_and_not1_b32 exec_lo, exec_lo, s5
	s_cbranch_execnz .LBB1174_124
; %bb.125:
	s_or_b32 exec_lo, exec_lo, s5
	s_xor_b32 s2, s25, -1
.LBB1174_126:
	s_delay_alu instid0(SALU_CYCLE_1)
	s_and_b32 s5, s2, exec_lo
.LBB1174_127:
	s_or_b32 exec_lo, exec_lo, s24
	v_add_nc_u32_e32 v16, 4, v19
	s_mov_b32 s24, 0
	s_mov_b32 s25, 0
	s_mov_b32 s26, exec_lo
	s_delay_alu instid0(VALU_DEP_1)
	v_cmpx_gt_u32_e64 s21, v16
	s_cbranch_execz .LBB1174_133
; %bb.128:
	s_and_not1_b32 vcc_lo, exec_lo, s7
	s_mov_b32 s2, 0
	s_cbranch_vccnz .LBB1174_132
; %bb.129:
	v_mul_u64_e32 v[16:17], s[18:19], v[8:9]
	v_mul_u64_e32 v[20:21], s[18:19], v[2:3]
	s_add_nc_u64 s[2:3], s[18:19], -1
                                        ; implicit-def: $sgpr27
	s_delay_alu instid0(VALU_DEP_2) | instskip(NEXT) | instid1(VALU_DEP_2)
	v_lshl_add_u64 v[16:17], v[16:17], 1, s[8:9]
	v_lshl_add_u64 v[20:21], v[20:21], 1, s[8:9]
.LBB1174_130:                           ; =>This Inner Loop Header: Depth=1
	global_load_u16 v22, v[20:21], off
	global_load_u16 v23, v[16:17], off
	s_cmp_eq_u64 s[2:3], 0
	s_add_nc_u64 s[28:29], s[2:3], -1
	s_cselect_b32 s3, -1, 0
	s_wait_xcnt 0x0
	v_add_nc_u64_e32 v[16:17], 2, v[16:17]
	v_add_nc_u64_e32 v[20:21], 2, v[20:21]
	s_wait_loadcnt 0x0
	v_dual_lshlrev_b32 v22, 16, v22 :: v_dual_lshlrev_b32 v23, 16, v23
	s_delay_alu instid0(VALU_DEP_1) | instskip(SKIP_2) | instid1(SALU_CYCLE_1)
	v_cmp_neq_f32_e32 vcc_lo, v23, v22
	v_cmp_eq_f32_e64 s2, v23, v22
	s_or_b32 s3, vcc_lo, s3
	s_and_b32 s3, exec_lo, s3
	s_delay_alu instid0(SALU_CYCLE_1)
	s_or_b32 s25, s3, s25
	s_and_not1_b32 s27, s27, exec_lo
	s_and_b32 s30, s2, exec_lo
	s_mov_b64 s[2:3], s[28:29]
	s_or_b32 s27, s27, s30
	s_and_not1_b32 exec_lo, exec_lo, s25
	s_cbranch_execnz .LBB1174_130
; %bb.131:
	s_or_b32 exec_lo, exec_lo, s25
	s_xor_b32 s2, s27, -1
.LBB1174_132:
	s_delay_alu instid0(SALU_CYCLE_1)
	s_and_b32 s25, s2, exec_lo
.LBB1174_133:
	s_or_b32 exec_lo, exec_lo, s26
	v_add_nc_u32_e32 v16, 3, v19
	s_mov_b32 s26, exec_lo
	s_delay_alu instid0(VALU_DEP_1)
	v_cmpx_gt_u32_e64 s21, v16
	s_cbranch_execz .LBB1174_139
; %bb.134:
	s_and_not1_b32 vcc_lo, exec_lo, s7
	s_mov_b32 s2, 0
	s_cbranch_vccnz .LBB1174_138
; %bb.135:
	v_mul_u64_e32 v[16:17], s[18:19], v[6:7]
	v_mul_u64_e32 v[20:21], s[18:19], v[8:9]
	s_add_nc_u64 s[2:3], s[18:19], -1
	s_mov_b32 s24, 0
                                        ; implicit-def: $sgpr27
	s_delay_alu instid0(VALU_DEP_2) | instskip(NEXT) | instid1(VALU_DEP_2)
	v_lshl_add_u64 v[16:17], v[16:17], 1, s[8:9]
	v_lshl_add_u64 v[20:21], v[20:21], 1, s[8:9]
.LBB1174_136:                           ; =>This Inner Loop Header: Depth=1
	global_load_u16 v22, v[20:21], off
	global_load_u16 v23, v[16:17], off
	s_cmp_eq_u64 s[2:3], 0
	s_add_nc_u64 s[28:29], s[2:3], -1
	s_cselect_b32 s3, -1, 0
	s_wait_xcnt 0x0
	v_add_nc_u64_e32 v[16:17], 2, v[16:17]
	v_add_nc_u64_e32 v[20:21], 2, v[20:21]
	s_wait_loadcnt 0x0
	v_dual_lshlrev_b32 v22, 16, v22 :: v_dual_lshlrev_b32 v23, 16, v23
	s_delay_alu instid0(VALU_DEP_1) | instskip(SKIP_2) | instid1(SALU_CYCLE_1)
	v_cmp_neq_f32_e32 vcc_lo, v23, v22
	v_cmp_eq_f32_e64 s2, v23, v22
	s_or_b32 s3, vcc_lo, s3
	s_and_b32 s3, exec_lo, s3
	s_delay_alu instid0(SALU_CYCLE_1)
	s_or_b32 s24, s3, s24
	s_and_not1_b32 s27, s27, exec_lo
	s_and_b32 s30, s2, exec_lo
	s_mov_b64 s[2:3], s[28:29]
	s_or_b32 s27, s27, s30
	s_and_not1_b32 exec_lo, exec_lo, s24
	s_cbranch_execnz .LBB1174_136
; %bb.137:
	s_or_b32 exec_lo, exec_lo, s24
	s_xor_b32 s2, s27, -1
.LBB1174_138:
	s_delay_alu instid0(SALU_CYCLE_1)
	s_and_b32 s24, s2, exec_lo
.LBB1174_139:
	s_or_b32 exec_lo, exec_lo, s26
	v_add_nc_u32_e32 v16, 2, v19
	s_mov_b32 s26, 0
	s_mov_b32 s27, 0
	s_mov_b32 s28, exec_lo
	s_delay_alu instid0(VALU_DEP_1)
	v_cmpx_gt_u32_e64 s21, v16
	s_cbranch_execz .LBB1174_145
; %bb.140:
	s_and_not1_b32 vcc_lo, exec_lo, s7
	s_mov_b32 s2, 0
	s_cbranch_vccnz .LBB1174_144
; %bb.141:
	v_mul_u64_e32 v[16:17], s[18:19], v[12:13]
	v_mul_u64_e32 v[20:21], s[18:19], v[6:7]
	s_add_nc_u64 s[2:3], s[18:19], -1
                                        ; implicit-def: $sgpr29
	s_delay_alu instid0(VALU_DEP_2) | instskip(NEXT) | instid1(VALU_DEP_2)
	v_lshl_add_u64 v[16:17], v[16:17], 1, s[8:9]
	v_lshl_add_u64 v[20:21], v[20:21], 1, s[8:9]
.LBB1174_142:                           ; =>This Inner Loop Header: Depth=1
	global_load_u16 v22, v[20:21], off
	global_load_u16 v23, v[16:17], off
	s_cmp_eq_u64 s[2:3], 0
	s_add_nc_u64 s[30:31], s[2:3], -1
	s_cselect_b32 s3, -1, 0
	s_wait_xcnt 0x0
	v_add_nc_u64_e32 v[16:17], 2, v[16:17]
	v_add_nc_u64_e32 v[20:21], 2, v[20:21]
	s_wait_loadcnt 0x0
	v_dual_lshlrev_b32 v22, 16, v22 :: v_dual_lshlrev_b32 v23, 16, v23
	s_delay_alu instid0(VALU_DEP_1) | instskip(SKIP_2) | instid1(SALU_CYCLE_1)
	v_cmp_neq_f32_e32 vcc_lo, v23, v22
	v_cmp_eq_f32_e64 s2, v23, v22
	s_or_b32 s3, vcc_lo, s3
	s_and_b32 s3, exec_lo, s3
	s_delay_alu instid0(SALU_CYCLE_1)
	s_or_b32 s27, s3, s27
	s_and_not1_b32 s29, s29, exec_lo
	s_and_b32 s33, s2, exec_lo
	s_mov_b64 s[2:3], s[30:31]
	s_or_b32 s29, s29, s33
	s_and_not1_b32 exec_lo, exec_lo, s27
	s_cbranch_execnz .LBB1174_142
; %bb.143:
	s_or_b32 exec_lo, exec_lo, s27
	s_xor_b32 s2, s29, -1
.LBB1174_144:
	s_delay_alu instid0(SALU_CYCLE_1)
	s_and_b32 s27, s2, exec_lo
.LBB1174_145:
	s_or_b32 exec_lo, exec_lo, s28
	v_add_nc_u32_e32 v16, 1, v19
	s_mov_b32 s28, exec_lo
	s_delay_alu instid0(VALU_DEP_1)
	v_cmpx_gt_u32_e64 s21, v16
	s_cbranch_execz .LBB1174_151
; %bb.146:
	s_and_not1_b32 vcc_lo, exec_lo, s7
	s_mov_b32 s2, 0
	s_cbranch_vccnz .LBB1174_150
; %bb.147:
	v_mul_u64_e32 v[16:17], s[18:19], v[10:11]
	v_mul_u64_e32 v[20:21], s[18:19], v[12:13]
	s_add_nc_u64 s[2:3], s[18:19], -1
	s_mov_b32 s26, 0
                                        ; implicit-def: $sgpr29
	s_delay_alu instid0(VALU_DEP_2) | instskip(NEXT) | instid1(VALU_DEP_2)
	v_lshl_add_u64 v[16:17], v[16:17], 1, s[8:9]
	v_lshl_add_u64 v[20:21], v[20:21], 1, s[8:9]
.LBB1174_148:                           ; =>This Inner Loop Header: Depth=1
	global_load_u16 v22, v[20:21], off
	global_load_u16 v23, v[16:17], off
	s_cmp_eq_u64 s[2:3], 0
	s_add_nc_u64 s[30:31], s[2:3], -1
	s_cselect_b32 s3, -1, 0
	s_wait_xcnt 0x0
	v_add_nc_u64_e32 v[16:17], 2, v[16:17]
	v_add_nc_u64_e32 v[20:21], 2, v[20:21]
	s_wait_loadcnt 0x0
	v_dual_lshlrev_b32 v22, 16, v22 :: v_dual_lshlrev_b32 v23, 16, v23
	s_delay_alu instid0(VALU_DEP_1) | instskip(SKIP_2) | instid1(SALU_CYCLE_1)
	v_cmp_neq_f32_e32 vcc_lo, v23, v22
	v_cmp_eq_f32_e64 s2, v23, v22
	s_or_b32 s3, vcc_lo, s3
	s_and_b32 s3, exec_lo, s3
	s_delay_alu instid0(SALU_CYCLE_1)
	s_or_b32 s26, s3, s26
	s_and_not1_b32 s29, s29, exec_lo
	s_and_b32 s33, s2, exec_lo
	s_mov_b64 s[2:3], s[30:31]
	s_or_b32 s29, s29, s33
	s_and_not1_b32 exec_lo, exec_lo, s26
	s_cbranch_execnz .LBB1174_148
; %bb.149:
	s_or_b32 exec_lo, exec_lo, s26
	s_xor_b32 s2, s29, -1
.LBB1174_150:
	s_delay_alu instid0(SALU_CYCLE_1)
	s_and_b32 s26, s2, exec_lo
.LBB1174_151:
	s_or_b32 exec_lo, exec_lo, s28
	v_cndmask_b32_e64 v17, 0, 1, s25
	v_cndmask_b32_e64 v31, 0, 1, s5
	;; [unrolled: 1-line block ×6, first 2 shown]
	v_mov_b32_e32 v16, 1
	s_mov_b32 s2, 0
	s_mov_b32 s4, exec_lo
	s_wait_dscnt 0x0
	s_barrier_signal -1
	s_barrier_wait -1
                                        ; implicit-def: $vgpr21
	v_cmpx_ne_u32_e32 0, v0
	s_cbranch_execz .LBB1174_159
; %bb.152:
	v_lshlrev_b16 v21, 8, v33
	v_lshlrev_b16 v22, 8, v20
	s_mov_b32 s5, exec_lo
	s_delay_alu instid0(VALU_DEP_1) | instskip(NEXT) | instid1(VALU_DEP_1)
	v_or_b32_e32 v22, v32, v22
	v_dual_lshlrev_b32 v22, 16, v22 :: v_dual_bitop2_b32 v21, 1, v21 bitop3:0x54
	s_delay_alu instid0(VALU_DEP_1) | instskip(NEXT) | instid1(VALU_DEP_1)
	v_and_b32_e32 v21, 0xffff, v21
	v_or_b32_e32 v21, v21, v22
	v_cmpx_gt_u32_e64 s21, v19
	s_cbranch_execz .LBB1174_158
; %bb.153:
	s_and_not1_b32 vcc_lo, exec_lo, s7
	s_cbranch_vccnz .LBB1174_157
; %bb.154:
	v_add_nc_u32_e32 v22, -8, v26
	v_mul_u64_e32 v[24:25], s[18:19], v[10:11]
	s_add_nc_u64 s[2:3], s[18:19], -1
	s_mov_b32 s7, 0
	ds_load_b64 v[22:23], v22
	s_wait_dscnt 0x0
	v_mul_u64_e32 v[22:23], s[18:19], v[22:23]
	v_lshl_add_u64 v[24:25], v[24:25], 1, s[8:9]
	s_delay_alu instid0(VALU_DEP_2)
	v_lshl_add_u64 v[22:23], v[22:23], 1, s[8:9]
                                        ; implicit-def: $sgpr8
.LBB1174_155:                           ; =>This Inner Loop Header: Depth=1
	global_load_u16 v26, v[24:25], off
	global_load_u16 v27, v[22:23], off
	s_cmp_eq_u64 s[2:3], 0
	s_add_nc_u64 s[18:19], s[2:3], -1
	s_cselect_b32 s3, -1, 0
	s_wait_xcnt 0x0
	v_add_nc_u64_e32 v[22:23], 2, v[22:23]
	v_add_nc_u64_e32 v[24:25], 2, v[24:25]
	s_wait_loadcnt 0x0
	v_dual_lshlrev_b32 v26, 16, v26 :: v_dual_lshlrev_b32 v27, 16, v27
	s_delay_alu instid0(VALU_DEP_1) | instskip(SKIP_2) | instid1(SALU_CYCLE_1)
	v_cmp_neq_f32_e32 vcc_lo, v27, v26
	v_cmp_eq_f32_e64 s2, v27, v26
	s_or_b32 s3, vcc_lo, s3
	s_and_b32 s3, exec_lo, s3
	s_delay_alu instid0(SALU_CYCLE_1)
	s_or_b32 s7, s3, s7
	s_and_not1_b32 s8, s8, exec_lo
	s_and_b32 s9, s2, exec_lo
	s_mov_b64 s[2:3], s[18:19]
	s_or_b32 s8, s8, s9
	s_and_not1_b32 exec_lo, exec_lo, s7
	s_cbranch_execnz .LBB1174_155
; %bb.156:
	s_or_b32 exec_lo, exec_lo, s7
	s_xor_b32 s2, s8, -1
.LBB1174_157:
	s_delay_alu instid0(SALU_CYCLE_1)
	s_and_b32 s2, s2, exec_lo
.LBB1174_158:
	s_or_b32 exec_lo, exec_lo, s5
	s_delay_alu instid0(VALU_DEP_2)
	v_perm_b32 v21, v21, v21, 0x3020104
	s_or_b32 s6, s6, exec_lo
.LBB1174_159:
	s_or_b32 exec_lo, exec_lo, s4
.LBB1174_160:
	s_and_saveexec_b32 s3, s6
; %bb.161:
	s_delay_alu instid0(VALU_DEP_1)
	v_dual_lshrrev_b32 v20, 24, v21 :: v_dual_lshrrev_b32 v32, 16, v21
	v_lshrrev_b32_e32 v33, 8, v21
	v_cndmask_b32_e64 v16, 0, 1, s2
; %bb.162:
	s_or_b32 exec_lo, exec_lo, s3
	s_delay_alu instid0(SALU_CYCLE_1)
	s_and_not1_b32 vcc_lo, exec_lo, s22
	s_cbranch_vccnz .LBB1174_166
; %bb.163:
	s_delay_alu instid0(VALU_DEP_1)
	v_perm_b32 v16, v16, v33, 0xc0c0004
	v_perm_b32 v20, v32, v20, 0xc0c0004
	v_cmp_gt_u32_e32 vcc_lo, s21, v19
	v_and_b32_e32 v22, 0xff, v30
	v_perm_b32 v17, v17, v31, 0xc0c0004
	v_add_nc_u32_e32 v21, 1, v19
	v_lshl_or_b32 v16, v20, 16, v16
	s_delay_alu instid0(VALU_DEP_1) | instskip(NEXT) | instid1(VALU_DEP_3)
	v_dual_cndmask_b32 v20, 0, v16 :: v_dual_add_nc_u32 v23, 4, v19
	v_cmp_gt_u32_e32 vcc_lo, s21, v21
	v_dual_lshlrev_b32 v21, 16, v22 :: v_dual_add_nc_u32 v22, 2, v19
	s_delay_alu instid0(VALU_DEP_3) | instskip(NEXT) | instid1(VALU_DEP_1)
	v_and_b32_e32 v20, 0xff, v20
	v_cndmask_b32_e32 v20, v20, v16, vcc_lo
	s_delay_alu instid0(VALU_DEP_3) | instskip(NEXT) | instid1(VALU_DEP_2)
	v_cmp_gt_u32_e32 vcc_lo, s21, v22
	v_and_b32_e32 v20, 0xffff, v20
	v_or_b32_e32 v24, v17, v21
	v_bitop3_b32 v17, v17, 0xffff00, v21 bitop3:0xc8
	s_delay_alu instid0(VALU_DEP_3) | instskip(SKIP_1) | instid1(VALU_DEP_2)
	v_dual_cndmask_b32 v20, v20, v16 :: v_dual_add_nc_u32 v21, 5, v19
	v_cmp_gt_u32_e32 vcc_lo, s21, v23
	v_cmp_gt_u32_e64 s2, s21, v21
	s_delay_alu instid0(VALU_DEP_3) | instskip(SKIP_3) | instid1(VALU_DEP_2)
	v_and_b32_e32 v20, 0xffffff, v20
	v_dual_cndmask_b32 v17, v17, v24 :: v_dual_add_nc_u32 v22, 3, v19
	s_or_b32 vcc_lo, s2, vcc_lo
	v_add_nc_u32_e32 v19, 6, v19
	v_cmp_gt_u32_e64 s3, s21, v22
	s_delay_alu instid0(VALU_DEP_3) | instskip(NEXT) | instid1(VALU_DEP_2)
	v_and_b32_e32 v17, 0xffff00ff, v17
	v_cndmask_b32_e64 v20, v20, v16, s3
	s_delay_alu instid0(VALU_DEP_2) | instskip(SKIP_1) | instid1(VALU_DEP_1)
	v_cndmask_b32_e64 v17, v17, v24, s2
	s_mov_b32 s2, exec_lo
	v_dual_cndmask_b32 v16, v20, v16, vcc_lo :: v_dual_lshrrev_b32 v30, 16, v17
	v_lshrrev_b32_e32 v31, 8, v17
	s_delay_alu instid0(VALU_DEP_2)
	v_lshrrev_b64 v[20:21], 24, v[16:17]
	v_dual_lshrrev_b32 v32, 16, v16 :: v_dual_lshrrev_b32 v33, 8, v16
	v_cmpx_le_u32_e64 s21, v19
; %bb.164:
	v_mov_b32_e32 v30, 0
; %bb.165:
	s_or_b32 exec_lo, exec_lo, s2
.LBB1174_166:
	s_delay_alu instid0(VALU_DEP_1)
	v_and_b32_e32 v19, 0xff, v16
	v_and_b32_e32 v21, 0xff, v33
	;; [unrolled: 1-line block ×5, first 2 shown]
	v_mbcnt_lo_u32_b32 v38, -1, 0
	v_and_b32_e32 v37, 0xff, v31
	v_add3_u32 v22, v21, v19, v34
	v_and_b32_e32 v23, 0xff, v30
	s_delay_alu instid0(VALU_DEP_4) | instskip(SKIP_1) | instid1(VALU_DEP_3)
	v_dual_lshrrev_b32 v39, 5, v0 :: v_dual_bitop2_b32 v24, 15, v38 bitop3:0x40
	s_and_b32 vcc_lo, exec_lo, s23
	v_add3_u32 v22, v22, v35, v36
	s_mov_b32 s8, -1
	s_wait_dscnt 0x0
	v_cmp_eq_u32_e64 s2, 0, v24
	s_wait_kmcnt 0x0
	v_cmp_lt_u32_e64 s4, 1, v24
	v_add3_u32 v40, v22, v37, v23
	v_and_b32_e32 v22, 16, v38
	v_or_b32_e32 v23, 31, v0
	v_cmp_lt_u32_e64 s5, 3, v24
	v_cmp_lt_u32_e64 s3, 7, v24
	s_barrier_signal -1
	v_cmp_eq_u32_e64 s7, 0, v22
	v_cmp_eq_u32_e64 s6, v0, v23
	s_barrier_wait -1
                                        ; implicit-def: $vgpr25
                                        ; implicit-def: $vgpr26
                                        ; implicit-def: $vgpr27
                                        ; implicit-def: $vgpr28
                                        ; implicit-def: $vgpr29
                                        ; implicit-def: $vgpr41
                                        ; implicit-def: $vgpr42
                                        ; implicit-def: $vgpr24
                                        ; implicit-def: $vgpr22
	s_cbranch_vccz .LBB1174_193
; %bb.167:
	v_mov_b32_dpp v22, v40 row_shr:1 row_mask:0xf bank_mask:0xf
	s_delay_alu instid0(VALU_DEP_1) | instskip(NEXT) | instid1(VALU_DEP_1)
	v_cndmask_b32_e64 v22, v22, 0, s2
	v_add_nc_u32_e32 v22, v22, v40
	s_delay_alu instid0(VALU_DEP_1) | instskip(NEXT) | instid1(VALU_DEP_1)
	v_mov_b32_dpp v23, v22 row_shr:2 row_mask:0xf bank_mask:0xf
	v_cndmask_b32_e64 v23, 0, v23, s4
	s_delay_alu instid0(VALU_DEP_1) | instskip(NEXT) | instid1(VALU_DEP_1)
	v_add_nc_u32_e32 v22, v22, v23
	v_mov_b32_dpp v23, v22 row_shr:4 row_mask:0xf bank_mask:0xf
	s_delay_alu instid0(VALU_DEP_1) | instskip(NEXT) | instid1(VALU_DEP_1)
	v_cndmask_b32_e64 v23, 0, v23, s5
	v_add_nc_u32_e32 v22, v22, v23
	s_delay_alu instid0(VALU_DEP_1) | instskip(NEXT) | instid1(VALU_DEP_1)
	v_mov_b32_dpp v23, v22 row_shr:8 row_mask:0xf bank_mask:0xf
	v_cndmask_b32_e64 v23, 0, v23, s3
	s_delay_alu instid0(VALU_DEP_1) | instskip(SKIP_3) | instid1(VALU_DEP_1)
	v_add_nc_u32_e32 v22, v22, v23
	ds_swizzle_b32 v23, v22 offset:swizzle(BROADCAST,32,15)
	s_wait_dscnt 0x0
	v_cndmask_b32_e64 v23, v23, 0, s7
	v_add_nc_u32_e32 v22, v22, v23
	s_and_saveexec_b32 s8, s6
; %bb.168:
	v_lshlrev_b32_e32 v23, 2, v39
	ds_store_b32 v23, v22
; %bb.169:
	s_or_b32 exec_lo, exec_lo, s8
	s_delay_alu instid0(SALU_CYCLE_1)
	s_mov_b32 s8, exec_lo
	s_wait_dscnt 0x0
	s_barrier_signal -1
	s_barrier_wait -1
	v_cmpx_gt_u32_e32 16, v0
	s_cbranch_execz .LBB1174_171
; %bb.170:
	v_lshlrev_b32_e32 v23, 2, v0
	ds_load_b32 v24, v23
	s_wait_dscnt 0x0
	v_mov_b32_dpp v25, v24 row_shr:1 row_mask:0xf bank_mask:0xf
	s_delay_alu instid0(VALU_DEP_1) | instskip(NEXT) | instid1(VALU_DEP_1)
	v_cndmask_b32_e64 v25, v25, 0, s2
	v_add_nc_u32_e32 v24, v25, v24
	s_delay_alu instid0(VALU_DEP_1) | instskip(NEXT) | instid1(VALU_DEP_1)
	v_mov_b32_dpp v25, v24 row_shr:2 row_mask:0xf bank_mask:0xf
	v_cndmask_b32_e64 v25, 0, v25, s4
	s_delay_alu instid0(VALU_DEP_1) | instskip(NEXT) | instid1(VALU_DEP_1)
	v_add_nc_u32_e32 v24, v24, v25
	v_mov_b32_dpp v25, v24 row_shr:4 row_mask:0xf bank_mask:0xf
	s_delay_alu instid0(VALU_DEP_1) | instskip(NEXT) | instid1(VALU_DEP_1)
	v_cndmask_b32_e64 v25, 0, v25, s5
	v_add_nc_u32_e32 v24, v24, v25
	s_delay_alu instid0(VALU_DEP_1) | instskip(NEXT) | instid1(VALU_DEP_1)
	v_mov_b32_dpp v25, v24 row_shr:8 row_mask:0xf bank_mask:0xf
	v_cndmask_b32_e64 v25, 0, v25, s3
	s_delay_alu instid0(VALU_DEP_1)
	v_add_nc_u32_e32 v24, v24, v25
	ds_store_b32 v23, v24
.LBB1174_171:
	s_or_b32 exec_lo, exec_lo, s8
	s_delay_alu instid0(SALU_CYCLE_1)
	s_mov_b32 s9, exec_lo
	v_cmp_gt_u32_e32 vcc_lo, 32, v0
	s_wait_dscnt 0x0
	s_barrier_signal -1
	s_barrier_wait -1
                                        ; implicit-def: $vgpr41
	v_cmpx_lt_u32_e32 31, v0
	s_cbranch_execz .LBB1174_173
; %bb.172:
	v_lshl_add_u32 v23, v39, 2, -4
	ds_load_b32 v41, v23
	s_wait_dscnt 0x0
	v_add_nc_u32_e32 v22, v41, v22
.LBB1174_173:
	s_or_b32 exec_lo, exec_lo, s9
	v_sub_co_u32 v23, s8, v38, 1
	s_delay_alu instid0(VALU_DEP_1) | instskip(NEXT) | instid1(VALU_DEP_1)
	v_cmp_gt_i32_e64 s9, 0, v23
	v_cndmask_b32_e64 v23, v23, v38, s9
	s_delay_alu instid0(VALU_DEP_1)
	v_lshlrev_b32_e32 v23, 2, v23
	ds_bpermute_b32 v42, v23, v22
	s_and_saveexec_b32 s9, vcc_lo
	s_cbranch_execz .LBB1174_192
; %bb.174:
	v_mov_b32_e32 v29, 0
	ds_load_b32 v22, v29 offset:60
	s_and_saveexec_b32 s18, s8
	s_cbranch_execz .LBB1174_176
; %bb.175:
	s_add_co_i32 s19, s20, 32
	s_delay_alu instid0(SALU_CYCLE_1)
	v_dual_mov_b32 v23, 1 :: v_dual_mov_b32 v24, s19
	s_wait_dscnt 0x0
	global_store_b64 v24, v[22:23], s[10:11] scale_offset scope:SCOPE_DEV
.LBB1174_176:
	s_wait_xcnt 0x0
	s_or_b32 exec_lo, exec_lo, s18
	v_xad_u32 v24, v38, -1, s20
	s_mov_b32 s19, 0
	s_mov_b32 s18, exec_lo
	s_delay_alu instid0(VALU_DEP_1) | instskip(SKIP_4) | instid1(VALU_DEP_1)
	v_add_nc_u32_e32 v28, 32, v24
	global_load_b64 v[26:27], v28, s[10:11] scale_offset scope:SCOPE_DEV
	s_wait_loadcnt 0x0
	v_and_b32_e32 v23, 0xff, v27
	s_wait_xcnt 0x0
	v_cmpx_eq_u16_e32 0, v23
	s_cbranch_execz .LBB1174_180
; %bb.177:
	v_lshl_add_u64 v[28:29], v[28:29], 3, s[10:11]
.LBB1174_178:                           ; =>This Inner Loop Header: Depth=1
	global_load_b64 v[26:27], v[28:29], off scope:SCOPE_DEV
	s_wait_loadcnt 0x0
	v_and_b32_e32 v23, 0xff, v27
	s_delay_alu instid0(VALU_DEP_1)
	v_cmp_ne_u16_e32 vcc_lo, 0, v23
	s_or_b32 s19, vcc_lo, s19
	s_wait_xcnt 0x0
	s_and_not1_b32 exec_lo, exec_lo, s19
	s_cbranch_execnz .LBB1174_178
; %bb.179:
	s_or_b32 exec_lo, exec_lo, s19
.LBB1174_180:
	s_delay_alu instid0(SALU_CYCLE_1)
	s_or_b32 exec_lo, exec_lo, s18
	v_cmp_ne_u32_e32 vcc_lo, 31, v38
	v_lshlrev_b32_e64 v44, v38, -1
	v_dual_add_nc_u32 v46, 2, v38 :: v_dual_add_nc_u32 v48, 4, v38
	v_dual_add_nc_u32 v50, 8, v38 :: v_dual_add_nc_u32 v52, 16, v38
	v_add_co_ci_u32_e64 v23, null, 0, v38, vcc_lo
	v_lshl_or_b32 v51, v38, 2, 64
	s_delay_alu instid0(VALU_DEP_2)
	v_lshlrev_b32_e32 v43, 2, v23
	v_and_b32_e32 v23, 0xff, v27
	ds_bpermute_b32 v25, v43, v26
	v_cmp_eq_u16_e32 vcc_lo, 2, v23
	v_and_or_b32 v23, vcc_lo, v44, 0x80000000
	v_cmp_gt_u32_e32 vcc_lo, 30, v38
	s_delay_alu instid0(VALU_DEP_2) | instskip(SKIP_1) | instid1(VALU_DEP_2)
	v_ctz_i32_b32_e32 v23, v23
	v_cndmask_b32_e64 v28, 0, 2, vcc_lo
	v_cmp_lt_u32_e32 vcc_lo, v38, v23
	s_delay_alu instid0(VALU_DEP_2)
	v_add_lshl_u32 v45, v28, v38, 2
	s_wait_dscnt 0x0
	v_cndmask_b32_e32 v25, 0, v25, vcc_lo
	v_cmp_gt_u32_e32 vcc_lo, 28, v38
	v_cndmask_b32_e64 v28, 0, 4, vcc_lo
	v_cmp_le_u32_e32 vcc_lo, v46, v23
	s_delay_alu instid0(VALU_DEP_4) | instskip(NEXT) | instid1(VALU_DEP_3)
	v_add_nc_u32_e32 v25, v25, v26
	v_add_lshl_u32 v47, v28, v38, 2
	ds_bpermute_b32 v26, v45, v25
	s_wait_dscnt 0x0
	v_cndmask_b32_e32 v26, 0, v26, vcc_lo
	v_cmp_gt_u32_e32 vcc_lo, 24, v38
	v_cndmask_b32_e64 v28, 0, 8, vcc_lo
	v_cmp_le_u32_e32 vcc_lo, v48, v23
	s_delay_alu instid0(VALU_DEP_4) | instskip(NEXT) | instid1(VALU_DEP_3)
	v_add_nc_u32_e32 v25, v25, v26
	v_add_lshl_u32 v49, v28, v38, 2
	ds_bpermute_b32 v26, v47, v25
	s_wait_dscnt 0x0
	v_cndmask_b32_e32 v26, 0, v26, vcc_lo
	v_cmp_le_u32_e32 vcc_lo, v50, v23
	s_delay_alu instid0(VALU_DEP_2) | instskip(SKIP_4) | instid1(VALU_DEP_2)
	v_add_nc_u32_e32 v25, v25, v26
	ds_bpermute_b32 v26, v49, v25
	s_wait_dscnt 0x0
	v_cndmask_b32_e32 v26, 0, v26, vcc_lo
	v_cmp_le_u32_e32 vcc_lo, v52, v23
	v_add_nc_u32_e32 v25, v25, v26
	ds_bpermute_b32 v26, v51, v25
	s_wait_dscnt 0x0
	v_cndmask_b32_e32 v23, 0, v26, vcc_lo
	s_delay_alu instid0(VALU_DEP_1)
	v_dual_mov_b32 v25, 0 :: v_dual_add_nc_u32 v26, v25, v23
	s_branch .LBB1174_183
.LBB1174_181:                           ;   in Loop: Header=BB1174_183 Depth=1
	s_or_b32 exec_lo, exec_lo, s18
	v_and_b32_e32 v28, 0xff, v27
	ds_bpermute_b32 v29, v43, v26
	v_subrev_nc_u32_e32 v24, 32, v24
	s_mov_b32 s18, 0
	v_cmp_eq_u16_e32 vcc_lo, 2, v28
	v_and_or_b32 v28, vcc_lo, v44, 0x80000000
	s_delay_alu instid0(VALU_DEP_1) | instskip(NEXT) | instid1(VALU_DEP_1)
	v_ctz_i32_b32_e32 v28, v28
	v_cmp_lt_u32_e32 vcc_lo, v38, v28
	s_wait_dscnt 0x0
	v_cndmask_b32_e32 v29, 0, v29, vcc_lo
	v_cmp_le_u32_e32 vcc_lo, v46, v28
	s_delay_alu instid0(VALU_DEP_2) | instskip(SKIP_4) | instid1(VALU_DEP_2)
	v_add_nc_u32_e32 v26, v29, v26
	ds_bpermute_b32 v29, v45, v26
	s_wait_dscnt 0x0
	v_cndmask_b32_e32 v29, 0, v29, vcc_lo
	v_cmp_le_u32_e32 vcc_lo, v48, v28
	v_add_nc_u32_e32 v26, v26, v29
	ds_bpermute_b32 v29, v47, v26
	s_wait_dscnt 0x0
	v_cndmask_b32_e32 v29, 0, v29, vcc_lo
	v_cmp_le_u32_e32 vcc_lo, v50, v28
	s_delay_alu instid0(VALU_DEP_2) | instskip(SKIP_4) | instid1(VALU_DEP_2)
	v_add_nc_u32_e32 v26, v26, v29
	ds_bpermute_b32 v29, v49, v26
	s_wait_dscnt 0x0
	v_cndmask_b32_e32 v29, 0, v29, vcc_lo
	v_cmp_le_u32_e32 vcc_lo, v52, v28
	v_add_nc_u32_e32 v26, v26, v29
	ds_bpermute_b32 v29, v51, v26
	s_wait_dscnt 0x0
	v_cndmask_b32_e32 v28, 0, v29, vcc_lo
	s_delay_alu instid0(VALU_DEP_1)
	v_add3_u32 v26, v28, v23, v26
.LBB1174_182:                           ;   in Loop: Header=BB1174_183 Depth=1
	s_and_b32 vcc_lo, exec_lo, s18
	s_cbranch_vccnz .LBB1174_188
.LBB1174_183:                           ; =>This Loop Header: Depth=1
                                        ;     Child Loop BB1174_186 Depth 2
	v_and_b32_e32 v23, 0xff, v27
	s_mov_b32 s18, -1
                                        ; implicit-def: $vgpr27
	s_delay_alu instid0(VALU_DEP_1)
	v_cmp_ne_u16_e32 vcc_lo, 2, v23
	v_mov_b32_e32 v23, v26
                                        ; implicit-def: $vgpr26
	s_cmp_lg_u32 vcc_lo, exec_lo
	s_cbranch_scc1 .LBB1174_182
; %bb.184:                              ;   in Loop: Header=BB1174_183 Depth=1
	global_load_b64 v[26:27], v24, s[10:11] scale_offset scope:SCOPE_DEV
	s_mov_b32 s18, exec_lo
	s_wait_loadcnt 0x0
	v_and_b32_e32 v28, 0xff, v27
	s_wait_xcnt 0x0
	s_delay_alu instid0(VALU_DEP_1)
	v_cmpx_eq_u16_e32 0, v28
	s_cbranch_execz .LBB1174_181
; %bb.185:                              ;   in Loop: Header=BB1174_183 Depth=1
	v_lshl_add_u64 v[28:29], v[24:25], 3, s[10:11]
	s_mov_b32 s19, 0
.LBB1174_186:                           ;   Parent Loop BB1174_183 Depth=1
                                        ; =>  This Inner Loop Header: Depth=2
	global_load_b64 v[26:27], v[28:29], off scope:SCOPE_DEV
	s_wait_loadcnt 0x0
	v_and_b32_e32 v53, 0xff, v27
	s_delay_alu instid0(VALU_DEP_1)
	v_cmp_ne_u16_e32 vcc_lo, 0, v53
	s_or_b32 s19, vcc_lo, s19
	s_wait_xcnt 0x0
	s_and_not1_b32 exec_lo, exec_lo, s19
	s_cbranch_execnz .LBB1174_186
; %bb.187:                              ;   in Loop: Header=BB1174_183 Depth=1
	s_or_b32 exec_lo, exec_lo, s19
	s_branch .LBB1174_181
.LBB1174_188:
	s_and_saveexec_b32 s18, s8
	s_cbranch_execz .LBB1174_190
; %bb.189:
	s_add_co_i32 s19, s20, 32
	v_dual_mov_b32 v25, 2 :: v_dual_add_nc_u32 v24, v23, v22
	v_dual_mov_b32 v26, s19 :: v_dual_mov_b32 v27, 0
	global_store_b64 v26, v[24:25], s[10:11] scale_offset scope:SCOPE_DEV
	ds_store_b64 v27, v[22:23] offset:28672
.LBB1174_190:
	s_wait_xcnt 0x0
	s_or_b32 exec_lo, exec_lo, s18
	v_cmp_eq_u32_e32 vcc_lo, 0, v0
	s_and_b32 exec_lo, exec_lo, vcc_lo
; %bb.191:
	v_mov_b32_e32 v22, 0
	ds_store_b32 v22, v23 offset:60
.LBB1174_192:
	s_or_b32 exec_lo, exec_lo, s9
	s_wait_dscnt 0x0
	v_dual_mov_b32 v22, 0 :: v_dual_cndmask_b32 v24, v42, v41, s8
	s_wait_storecnt 0x0
	s_barrier_signal -1
	s_barrier_wait -1
	ds_load_b32 v23, v22 offset:60
	v_cmp_ne_u32_e32 vcc_lo, 0, v0
	s_wait_dscnt 0x0
	s_barrier_signal -1
	s_barrier_wait -1
	v_cndmask_b32_e32 v24, 0, v24, vcc_lo
	s_mov_b32 s8, 0
	s_delay_alu instid0(VALU_DEP_1) | instskip(SKIP_2) | instid1(VALU_DEP_1)
	v_add_nc_u32_e32 v42, v23, v24
	ds_load_b64 v[22:23], v22 offset:28672
	v_add_nc_u32_e32 v41, v42, v19
	v_add_nc_u32_e32 v29, v41, v21
	s_delay_alu instid0(VALU_DEP_1) | instskip(SKIP_1) | instid1(VALU_DEP_1)
	v_add_nc_u32_e32 v28, v29, v34
	s_wait_dscnt 0x0
	v_dual_mov_b32 v24, v23 :: v_dual_add_nc_u32 v27, v28, v35
	s_delay_alu instid0(VALU_DEP_1) | instskip(NEXT) | instid1(VALU_DEP_1)
	v_add_nc_u32_e32 v26, v27, v36
	v_add_nc_u32_e32 v25, v26, v37
.LBB1174_193:
	s_and_b32 vcc_lo, exec_lo, s8
	s_cbranch_vccz .LBB1174_203
; %bb.194:
	v_mov_b32_dpp v22, v40 row_shr:1 row_mask:0xf bank_mask:0xf
	s_delay_alu instid0(VALU_DEP_1) | instskip(NEXT) | instid1(VALU_DEP_1)
	v_cndmask_b32_e64 v22, v22, 0, s2
	v_add_nc_u32_e32 v22, v22, v40
	s_delay_alu instid0(VALU_DEP_1) | instskip(NEXT) | instid1(VALU_DEP_1)
	v_mov_b32_dpp v23, v22 row_shr:2 row_mask:0xf bank_mask:0xf
	v_cndmask_b32_e64 v23, 0, v23, s4
	s_delay_alu instid0(VALU_DEP_1) | instskip(NEXT) | instid1(VALU_DEP_1)
	v_add_nc_u32_e32 v22, v22, v23
	v_mov_b32_dpp v23, v22 row_shr:4 row_mask:0xf bank_mask:0xf
	s_delay_alu instid0(VALU_DEP_1) | instskip(NEXT) | instid1(VALU_DEP_1)
	v_cndmask_b32_e64 v23, 0, v23, s5
	v_add_nc_u32_e32 v22, v22, v23
	s_delay_alu instid0(VALU_DEP_1) | instskip(NEXT) | instid1(VALU_DEP_1)
	v_mov_b32_dpp v23, v22 row_shr:8 row_mask:0xf bank_mask:0xf
	v_cndmask_b32_e64 v23, 0, v23, s3
	s_delay_alu instid0(VALU_DEP_1) | instskip(SKIP_3) | instid1(VALU_DEP_1)
	v_add_nc_u32_e32 v22, v22, v23
	ds_swizzle_b32 v23, v22 offset:swizzle(BROADCAST,32,15)
	s_wait_dscnt 0x0
	v_cndmask_b32_e64 v23, v23, 0, s7
	v_add_nc_u32_e32 v22, v22, v23
	s_and_saveexec_b32 s7, s6
; %bb.195:
	v_lshlrev_b32_e32 v23, 2, v39
	ds_store_b32 v23, v22
; %bb.196:
	s_or_b32 exec_lo, exec_lo, s7
	s_delay_alu instid0(SALU_CYCLE_1)
	s_mov_b32 s6, exec_lo
	s_wait_dscnt 0x0
	s_barrier_signal -1
	s_barrier_wait -1
	v_cmpx_gt_u32_e32 16, v0
	s_cbranch_execz .LBB1174_198
; %bb.197:
	v_lshlrev_b32_e32 v23, 2, v0
	ds_load_b32 v24, v23
	s_wait_dscnt 0x0
	v_mov_b32_dpp v25, v24 row_shr:1 row_mask:0xf bank_mask:0xf
	s_delay_alu instid0(VALU_DEP_1) | instskip(NEXT) | instid1(VALU_DEP_1)
	v_cndmask_b32_e64 v25, v25, 0, s2
	v_add_nc_u32_e32 v24, v25, v24
	s_delay_alu instid0(VALU_DEP_1) | instskip(NEXT) | instid1(VALU_DEP_1)
	v_mov_b32_dpp v25, v24 row_shr:2 row_mask:0xf bank_mask:0xf
	v_cndmask_b32_e64 v25, 0, v25, s4
	s_delay_alu instid0(VALU_DEP_1) | instskip(NEXT) | instid1(VALU_DEP_1)
	v_add_nc_u32_e32 v24, v24, v25
	v_mov_b32_dpp v25, v24 row_shr:4 row_mask:0xf bank_mask:0xf
	s_delay_alu instid0(VALU_DEP_1) | instskip(NEXT) | instid1(VALU_DEP_1)
	v_cndmask_b32_e64 v25, 0, v25, s5
	v_add_nc_u32_e32 v24, v24, v25
	s_delay_alu instid0(VALU_DEP_1) | instskip(NEXT) | instid1(VALU_DEP_1)
	v_mov_b32_dpp v25, v24 row_shr:8 row_mask:0xf bank_mask:0xf
	v_cndmask_b32_e64 v25, 0, v25, s3
	s_delay_alu instid0(VALU_DEP_1)
	v_add_nc_u32_e32 v24, v24, v25
	ds_store_b32 v23, v24
.LBB1174_198:
	s_or_b32 exec_lo, exec_lo, s6
	v_dual_mov_b32 v23, 0 :: v_dual_mov_b32 v24, 0
	s_mov_b32 s2, exec_lo
	s_wait_dscnt 0x0
	s_barrier_signal -1
	s_barrier_wait -1
	v_cmpx_lt_u32_e32 31, v0
; %bb.199:
	v_lshl_add_u32 v24, v39, 2, -4
	ds_load_b32 v24, v24
; %bb.200:
	s_or_b32 exec_lo, exec_lo, s2
	v_sub_co_u32 v25, vcc_lo, v38, 1
	s_delay_alu instid0(VALU_DEP_1) | instskip(NEXT) | instid1(VALU_DEP_1)
	v_cmp_gt_i32_e64 s2, 0, v25
	v_cndmask_b32_e64 v25, v25, v38, s2
	s_wait_dscnt 0x0
	v_add_nc_u32_e32 v22, v24, v22
	v_cmp_eq_u32_e64 s2, 0, v0
	s_delay_alu instid0(VALU_DEP_3)
	v_lshlrev_b32_e32 v25, 2, v25
	ds_bpermute_b32 v25, v25, v22
	ds_load_b32 v22, v23 offset:60
	s_and_saveexec_b32 s3, s2
	s_cbranch_execz .LBB1174_202
; %bb.201:
	v_dual_mov_b32 v26, 0 :: v_dual_mov_b32 v23, 2
	s_wait_dscnt 0x0
	global_store_b64 v26, v[22:23], s[10:11] offset:256 scope:SCOPE_DEV
.LBB1174_202:
	s_wait_xcnt 0x0
	s_or_b32 exec_lo, exec_lo, s3
	s_wait_dscnt 0x1
	v_cndmask_b32_e32 v23, v25, v24, vcc_lo
	s_wait_storecnt_dscnt 0x0
	s_barrier_signal -1
	s_barrier_wait -1
	s_delay_alu instid0(VALU_DEP_1) | instskip(NEXT) | instid1(VALU_DEP_1)
	v_cndmask_b32_e64 v42, v23, 0, s2
	v_dual_mov_b32 v24, 0 :: v_dual_add_nc_u32 v41, v42, v19
	s_delay_alu instid0(VALU_DEP_1) | instskip(NEXT) | instid1(VALU_DEP_1)
	v_add_nc_u32_e32 v29, v41, v21
	v_add_nc_u32_e32 v28, v29, v34
	s_delay_alu instid0(VALU_DEP_1) | instskip(NEXT) | instid1(VALU_DEP_1)
	v_add_nc_u32_e32 v27, v28, v35
	v_add_nc_u32_e32 v26, v27, v36
	s_delay_alu instid0(VALU_DEP_1)
	v_add_nc_u32_e32 v25, v26, v37
.LBB1174_203:
	s_load_b64 s[2:3], s[0:1], 0x28
	v_and_b32_e32 v16, 1, v16
	v_cmp_gt_u32_e32 vcc_lo, 0x201, v22
	s_wait_xcnt 0x0
	s_mov_b32 s1, -1
	s_delay_alu instid0(VALU_DEP_2)
	v_cmp_eq_u32_e64 s0, 1, v16
	s_cbranch_vccnz .LBB1174_207
; %bb.204:
	s_and_b32 vcc_lo, exec_lo, s1
	s_cbranch_vccnz .LBB1174_222
.LBB1174_205:
	v_cmp_eq_u32_e32 vcc_lo, 0, v0
	s_and_b32 s0, vcc_lo, s16
	s_delay_alu instid0(SALU_CYCLE_1)
	s_and_saveexec_b32 s1, s0
	s_cbranch_execnz .LBB1174_239
.LBB1174_206:
	s_endpgm
.LBB1174_207:
	v_add_nc_u32_e32 v19, v24, v22
	s_delay_alu instid0(VALU_DEP_1) | instskip(SKIP_1) | instid1(SALU_CYCLE_1)
	v_cmp_lt_u32_e32 vcc_lo, v42, v19
	s_or_b32 s1, s17, vcc_lo
	s_and_b32 s1, s1, s0
	s_delay_alu instid0(SALU_CYCLE_1)
	s_and_saveexec_b32 s0, s1
	s_cbranch_execz .LBB1174_209
; %bb.208:
	s_lshl_b64 s[4:5], s[14:15], 3
	s_wait_kmcnt 0x0
	s_add_nc_u64 s[4:5], s[2:3], s[4:5]
	global_store_b64 v42, v[10:11], s[4:5] scale_offset
.LBB1174_209:
	s_wait_xcnt 0x0
	s_or_b32 exec_lo, exec_lo, s0
	v_and_b32_e32 v21, 1, v33
	v_cmp_lt_u32_e32 vcc_lo, v41, v19
	s_delay_alu instid0(VALU_DEP_2) | instskip(SKIP_1) | instid1(SALU_CYCLE_1)
	v_cmp_eq_u32_e64 s0, 1, v21
	s_or_b32 s1, s17, vcc_lo
	s_and_b32 s1, s1, s0
	s_delay_alu instid0(SALU_CYCLE_1)
	s_and_saveexec_b32 s0, s1
	s_cbranch_execz .LBB1174_211
; %bb.210:
	s_lshl_b64 s[4:5], s[14:15], 3
	s_wait_kmcnt 0x0
	s_add_nc_u64 s[4:5], s[2:3], s[4:5]
	global_store_b64 v41, v[12:13], s[4:5] scale_offset
.LBB1174_211:
	s_wait_xcnt 0x0
	s_or_b32 exec_lo, exec_lo, s0
	v_and_b32_e32 v21, 1, v32
	v_cmp_lt_u32_e32 vcc_lo, v29, v19
	s_delay_alu instid0(VALU_DEP_2) | instskip(SKIP_1) | instid1(SALU_CYCLE_1)
	v_cmp_eq_u32_e64 s0, 1, v21
	;; [unrolled: 17-line block ×6, first 2 shown]
	s_or_b32 s1, s17, vcc_lo
	s_and_b32 s1, s1, s0
	s_delay_alu instid0(SALU_CYCLE_1)
	s_and_saveexec_b32 s0, s1
	s_cbranch_execz .LBB1174_221
; %bb.220:
	s_lshl_b64 s[4:5], s[14:15], 3
	s_wait_kmcnt 0x0
	s_add_nc_u64 s[4:5], s[2:3], s[4:5]
	global_store_b64 v25, v[14:15], s[4:5] scale_offset
.LBB1174_221:
	s_wait_xcnt 0x0
	s_or_b32 exec_lo, exec_lo, s0
	s_branch .LBB1174_205
.LBB1174_222:
	s_mov_b32 s0, exec_lo
	v_cmpx_eq_u32_e32 1, v16
; %bb.223:
	v_sub_nc_u32_e32 v16, v42, v24
	s_delay_alu instid0(VALU_DEP_1)
	v_lshlrev_b32_e32 v16, 3, v16
	ds_store_b64 v16, v[10:11]
; %bb.224:
	s_or_b32 exec_lo, exec_lo, s0
	v_and_b32_e32 v10, 1, v33
	s_mov_b32 s0, exec_lo
	s_delay_alu instid0(VALU_DEP_1)
	v_cmpx_eq_u32_e32 1, v10
; %bb.225:
	v_sub_nc_u32_e32 v10, v41, v24
	s_delay_alu instid0(VALU_DEP_1)
	v_lshlrev_b32_e32 v10, 3, v10
	ds_store_b64 v10, v[12:13]
; %bb.226:
	s_or_b32 exec_lo, exec_lo, s0
	v_and_b32_e32 v10, 1, v32
	s_mov_b32 s0, exec_lo
	s_delay_alu instid0(VALU_DEP_1)
	;; [unrolled: 11-line block ×6, first 2 shown]
	v_cmpx_eq_u32_e32 1, v2
; %bb.235:
	v_sub_nc_u32_e32 v2, v25, v24
	s_delay_alu instid0(VALU_DEP_1)
	v_lshlrev_b32_e32 v2, 3, v2
	ds_store_b64 v2, v[14:15]
; %bb.236:
	s_or_b32 exec_lo, exec_lo, s0
	v_mov_b32_e32 v25, 0
	s_lshl_b64 s[0:1], s[14:15], 3
	s_wait_storecnt_dscnt 0x0
	s_barrier_signal -1
	s_barrier_wait -1
	v_lshlrev_b64_e32 v[2:3], 3, v[24:25]
	v_mov_b32_e32 v19, v25
	s_delay_alu instid0(VALU_DEP_2) | instskip(SKIP_2) | instid1(VALU_DEP_1)
	v_add_nc_u64_e32 v[2:3], s[0:1], v[2:3]
	s_mov_b32 s0, 0
	s_wait_kmcnt 0x0
	v_add_nc_u64_e32 v[2:3], s[2:3], v[2:3]
	s_delay_alu instid0(VALU_DEP_1)
	v_add_nc_u64_e32 v[2:3], v[2:3], v[18:19]
.LBB1174_237:                           ; =>This Inner Loop Header: Depth=1
	ds_load_b64 v[4:5], v18
	v_add_nc_u32_e32 v1, 0x200, v1
	v_add_nc_u32_e32 v18, 0x1000, v18
	s_delay_alu instid0(VALU_DEP_2)
	v_cmp_ge_u32_e32 vcc_lo, v1, v22
	s_or_b32 s0, vcc_lo, s0
	s_wait_dscnt 0x0
	global_store_b64 v[2:3], v[4:5], off
	s_wait_xcnt 0x0
	v_add_nc_u64_e32 v[2:3], 0x1000, v[2:3]
	s_and_not1_b32 exec_lo, exec_lo, s0
	s_cbranch_execnz .LBB1174_237
; %bb.238:
	s_or_b32 exec_lo, exec_lo, s0
	v_cmp_eq_u32_e32 vcc_lo, 0, v0
	s_and_b32 s0, vcc_lo, s16
	s_delay_alu instid0(SALU_CYCLE_1)
	s_and_saveexec_b32 s1, s0
	s_cbranch_execz .LBB1174_206
.LBB1174_239:
	v_mov_b32_e32 v23, 0
	s_delay_alu instid0(VALU_DEP_1) | instskip(SKIP_1) | instid1(VALU_DEP_1)
	v_add_nc_u64_e32 v[0:1], s[14:15], v[22:23]
	v_mov_b32_e32 v25, v23
	v_add_nc_u64_e32 v[0:1], v[0:1], v[24:25]
	global_store_b64 v23, v[0:1], s[12:13]
	s_endpgm
	.section	.rodata,"a",@progbits
	.p2align	6, 0x0
	.amdhsa_kernel _ZN7rocprim17ROCPRIM_400000_NS6detail17trampoline_kernelINS0_14default_configENS1_25partition_config_selectorILNS1_17partition_subalgoE8ElNS0_10empty_typeEbEEZZNS1_14partition_implILS5_8ELb0ES3_jPlPS6_PKS6_NS0_5tupleIJS9_S6_EEENSD_IJSA_SA_EEENS0_18inequality_wrapperIZN2at6native12_GLOBAL__N_124unique_dim_cuda_templateIN3c108BFloat16EEESt5tupleIJNSH_6TensorESO_SO_EERKSO_lbbbEUlllE0_EEPmJS6_EEE10hipError_tPvRmT3_T4_T5_T6_T7_T9_mT8_P12ihipStream_tbDpT10_ENKUlT_T0_E_clISt17integral_constantIbLb0EES1E_EEDaS19_S1A_EUlS19_E_NS1_11comp_targetILNS1_3genE0ELNS1_11target_archE4294967295ELNS1_3gpuE0ELNS1_3repE0EEENS1_30default_config_static_selectorELNS0_4arch9wavefront6targetE0EEEvT1_
		.amdhsa_group_segment_fixed_size 28680
		.amdhsa_private_segment_fixed_size 0
		.amdhsa_kernarg_size 120
		.amdhsa_user_sgpr_count 2
		.amdhsa_user_sgpr_dispatch_ptr 0
		.amdhsa_user_sgpr_queue_ptr 0
		.amdhsa_user_sgpr_kernarg_segment_ptr 1
		.amdhsa_user_sgpr_dispatch_id 0
		.amdhsa_user_sgpr_kernarg_preload_length 0
		.amdhsa_user_sgpr_kernarg_preload_offset 0
		.amdhsa_user_sgpr_private_segment_size 0
		.amdhsa_wavefront_size32 1
		.amdhsa_uses_dynamic_stack 0
		.amdhsa_enable_private_segment 0
		.amdhsa_system_sgpr_workgroup_id_x 1
		.amdhsa_system_sgpr_workgroup_id_y 0
		.amdhsa_system_sgpr_workgroup_id_z 0
		.amdhsa_system_sgpr_workgroup_info 0
		.amdhsa_system_vgpr_workitem_id 0
		.amdhsa_next_free_vgpr 54
		.amdhsa_next_free_sgpr 36
		.amdhsa_named_barrier_count 0
		.amdhsa_reserve_vcc 1
		.amdhsa_float_round_mode_32 0
		.amdhsa_float_round_mode_16_64 0
		.amdhsa_float_denorm_mode_32 3
		.amdhsa_float_denorm_mode_16_64 3
		.amdhsa_fp16_overflow 0
		.amdhsa_memory_ordered 1
		.amdhsa_forward_progress 1
		.amdhsa_inst_pref_size 84
		.amdhsa_round_robin_scheduling 0
		.amdhsa_exception_fp_ieee_invalid_op 0
		.amdhsa_exception_fp_denorm_src 0
		.amdhsa_exception_fp_ieee_div_zero 0
		.amdhsa_exception_fp_ieee_overflow 0
		.amdhsa_exception_fp_ieee_underflow 0
		.amdhsa_exception_fp_ieee_inexact 0
		.amdhsa_exception_int_div_zero 0
	.end_amdhsa_kernel
	.section	.text._ZN7rocprim17ROCPRIM_400000_NS6detail17trampoline_kernelINS0_14default_configENS1_25partition_config_selectorILNS1_17partition_subalgoE8ElNS0_10empty_typeEbEEZZNS1_14partition_implILS5_8ELb0ES3_jPlPS6_PKS6_NS0_5tupleIJS9_S6_EEENSD_IJSA_SA_EEENS0_18inequality_wrapperIZN2at6native12_GLOBAL__N_124unique_dim_cuda_templateIN3c108BFloat16EEESt5tupleIJNSH_6TensorESO_SO_EERKSO_lbbbEUlllE0_EEPmJS6_EEE10hipError_tPvRmT3_T4_T5_T6_T7_T9_mT8_P12ihipStream_tbDpT10_ENKUlT_T0_E_clISt17integral_constantIbLb0EES1E_EEDaS19_S1A_EUlS19_E_NS1_11comp_targetILNS1_3genE0ELNS1_11target_archE4294967295ELNS1_3gpuE0ELNS1_3repE0EEENS1_30default_config_static_selectorELNS0_4arch9wavefront6targetE0EEEvT1_,"axG",@progbits,_ZN7rocprim17ROCPRIM_400000_NS6detail17trampoline_kernelINS0_14default_configENS1_25partition_config_selectorILNS1_17partition_subalgoE8ElNS0_10empty_typeEbEEZZNS1_14partition_implILS5_8ELb0ES3_jPlPS6_PKS6_NS0_5tupleIJS9_S6_EEENSD_IJSA_SA_EEENS0_18inequality_wrapperIZN2at6native12_GLOBAL__N_124unique_dim_cuda_templateIN3c108BFloat16EEESt5tupleIJNSH_6TensorESO_SO_EERKSO_lbbbEUlllE0_EEPmJS6_EEE10hipError_tPvRmT3_T4_T5_T6_T7_T9_mT8_P12ihipStream_tbDpT10_ENKUlT_T0_E_clISt17integral_constantIbLb0EES1E_EEDaS19_S1A_EUlS19_E_NS1_11comp_targetILNS1_3genE0ELNS1_11target_archE4294967295ELNS1_3gpuE0ELNS1_3repE0EEENS1_30default_config_static_selectorELNS0_4arch9wavefront6targetE0EEEvT1_,comdat
.Lfunc_end1174:
	.size	_ZN7rocprim17ROCPRIM_400000_NS6detail17trampoline_kernelINS0_14default_configENS1_25partition_config_selectorILNS1_17partition_subalgoE8ElNS0_10empty_typeEbEEZZNS1_14partition_implILS5_8ELb0ES3_jPlPS6_PKS6_NS0_5tupleIJS9_S6_EEENSD_IJSA_SA_EEENS0_18inequality_wrapperIZN2at6native12_GLOBAL__N_124unique_dim_cuda_templateIN3c108BFloat16EEESt5tupleIJNSH_6TensorESO_SO_EERKSO_lbbbEUlllE0_EEPmJS6_EEE10hipError_tPvRmT3_T4_T5_T6_T7_T9_mT8_P12ihipStream_tbDpT10_ENKUlT_T0_E_clISt17integral_constantIbLb0EES1E_EEDaS19_S1A_EUlS19_E_NS1_11comp_targetILNS1_3genE0ELNS1_11target_archE4294967295ELNS1_3gpuE0ELNS1_3repE0EEENS1_30default_config_static_selectorELNS0_4arch9wavefront6targetE0EEEvT1_, .Lfunc_end1174-_ZN7rocprim17ROCPRIM_400000_NS6detail17trampoline_kernelINS0_14default_configENS1_25partition_config_selectorILNS1_17partition_subalgoE8ElNS0_10empty_typeEbEEZZNS1_14partition_implILS5_8ELb0ES3_jPlPS6_PKS6_NS0_5tupleIJS9_S6_EEENSD_IJSA_SA_EEENS0_18inequality_wrapperIZN2at6native12_GLOBAL__N_124unique_dim_cuda_templateIN3c108BFloat16EEESt5tupleIJNSH_6TensorESO_SO_EERKSO_lbbbEUlllE0_EEPmJS6_EEE10hipError_tPvRmT3_T4_T5_T6_T7_T9_mT8_P12ihipStream_tbDpT10_ENKUlT_T0_E_clISt17integral_constantIbLb0EES1E_EEDaS19_S1A_EUlS19_E_NS1_11comp_targetILNS1_3genE0ELNS1_11target_archE4294967295ELNS1_3gpuE0ELNS1_3repE0EEENS1_30default_config_static_selectorELNS0_4arch9wavefront6targetE0EEEvT1_
                                        ; -- End function
	.set _ZN7rocprim17ROCPRIM_400000_NS6detail17trampoline_kernelINS0_14default_configENS1_25partition_config_selectorILNS1_17partition_subalgoE8ElNS0_10empty_typeEbEEZZNS1_14partition_implILS5_8ELb0ES3_jPlPS6_PKS6_NS0_5tupleIJS9_S6_EEENSD_IJSA_SA_EEENS0_18inequality_wrapperIZN2at6native12_GLOBAL__N_124unique_dim_cuda_templateIN3c108BFloat16EEESt5tupleIJNSH_6TensorESO_SO_EERKSO_lbbbEUlllE0_EEPmJS6_EEE10hipError_tPvRmT3_T4_T5_T6_T7_T9_mT8_P12ihipStream_tbDpT10_ENKUlT_T0_E_clISt17integral_constantIbLb0EES1E_EEDaS19_S1A_EUlS19_E_NS1_11comp_targetILNS1_3genE0ELNS1_11target_archE4294967295ELNS1_3gpuE0ELNS1_3repE0EEENS1_30default_config_static_selectorELNS0_4arch9wavefront6targetE0EEEvT1_.num_vgpr, 54
	.set _ZN7rocprim17ROCPRIM_400000_NS6detail17trampoline_kernelINS0_14default_configENS1_25partition_config_selectorILNS1_17partition_subalgoE8ElNS0_10empty_typeEbEEZZNS1_14partition_implILS5_8ELb0ES3_jPlPS6_PKS6_NS0_5tupleIJS9_S6_EEENSD_IJSA_SA_EEENS0_18inequality_wrapperIZN2at6native12_GLOBAL__N_124unique_dim_cuda_templateIN3c108BFloat16EEESt5tupleIJNSH_6TensorESO_SO_EERKSO_lbbbEUlllE0_EEPmJS6_EEE10hipError_tPvRmT3_T4_T5_T6_T7_T9_mT8_P12ihipStream_tbDpT10_ENKUlT_T0_E_clISt17integral_constantIbLb0EES1E_EEDaS19_S1A_EUlS19_E_NS1_11comp_targetILNS1_3genE0ELNS1_11target_archE4294967295ELNS1_3gpuE0ELNS1_3repE0EEENS1_30default_config_static_selectorELNS0_4arch9wavefront6targetE0EEEvT1_.num_agpr, 0
	.set _ZN7rocprim17ROCPRIM_400000_NS6detail17trampoline_kernelINS0_14default_configENS1_25partition_config_selectorILNS1_17partition_subalgoE8ElNS0_10empty_typeEbEEZZNS1_14partition_implILS5_8ELb0ES3_jPlPS6_PKS6_NS0_5tupleIJS9_S6_EEENSD_IJSA_SA_EEENS0_18inequality_wrapperIZN2at6native12_GLOBAL__N_124unique_dim_cuda_templateIN3c108BFloat16EEESt5tupleIJNSH_6TensorESO_SO_EERKSO_lbbbEUlllE0_EEPmJS6_EEE10hipError_tPvRmT3_T4_T5_T6_T7_T9_mT8_P12ihipStream_tbDpT10_ENKUlT_T0_E_clISt17integral_constantIbLb0EES1E_EEDaS19_S1A_EUlS19_E_NS1_11comp_targetILNS1_3genE0ELNS1_11target_archE4294967295ELNS1_3gpuE0ELNS1_3repE0EEENS1_30default_config_static_selectorELNS0_4arch9wavefront6targetE0EEEvT1_.numbered_sgpr, 36
	.set _ZN7rocprim17ROCPRIM_400000_NS6detail17trampoline_kernelINS0_14default_configENS1_25partition_config_selectorILNS1_17partition_subalgoE8ElNS0_10empty_typeEbEEZZNS1_14partition_implILS5_8ELb0ES3_jPlPS6_PKS6_NS0_5tupleIJS9_S6_EEENSD_IJSA_SA_EEENS0_18inequality_wrapperIZN2at6native12_GLOBAL__N_124unique_dim_cuda_templateIN3c108BFloat16EEESt5tupleIJNSH_6TensorESO_SO_EERKSO_lbbbEUlllE0_EEPmJS6_EEE10hipError_tPvRmT3_T4_T5_T6_T7_T9_mT8_P12ihipStream_tbDpT10_ENKUlT_T0_E_clISt17integral_constantIbLb0EES1E_EEDaS19_S1A_EUlS19_E_NS1_11comp_targetILNS1_3genE0ELNS1_11target_archE4294967295ELNS1_3gpuE0ELNS1_3repE0EEENS1_30default_config_static_selectorELNS0_4arch9wavefront6targetE0EEEvT1_.num_named_barrier, 0
	.set _ZN7rocprim17ROCPRIM_400000_NS6detail17trampoline_kernelINS0_14default_configENS1_25partition_config_selectorILNS1_17partition_subalgoE8ElNS0_10empty_typeEbEEZZNS1_14partition_implILS5_8ELb0ES3_jPlPS6_PKS6_NS0_5tupleIJS9_S6_EEENSD_IJSA_SA_EEENS0_18inequality_wrapperIZN2at6native12_GLOBAL__N_124unique_dim_cuda_templateIN3c108BFloat16EEESt5tupleIJNSH_6TensorESO_SO_EERKSO_lbbbEUlllE0_EEPmJS6_EEE10hipError_tPvRmT3_T4_T5_T6_T7_T9_mT8_P12ihipStream_tbDpT10_ENKUlT_T0_E_clISt17integral_constantIbLb0EES1E_EEDaS19_S1A_EUlS19_E_NS1_11comp_targetILNS1_3genE0ELNS1_11target_archE4294967295ELNS1_3gpuE0ELNS1_3repE0EEENS1_30default_config_static_selectorELNS0_4arch9wavefront6targetE0EEEvT1_.private_seg_size, 0
	.set _ZN7rocprim17ROCPRIM_400000_NS6detail17trampoline_kernelINS0_14default_configENS1_25partition_config_selectorILNS1_17partition_subalgoE8ElNS0_10empty_typeEbEEZZNS1_14partition_implILS5_8ELb0ES3_jPlPS6_PKS6_NS0_5tupleIJS9_S6_EEENSD_IJSA_SA_EEENS0_18inequality_wrapperIZN2at6native12_GLOBAL__N_124unique_dim_cuda_templateIN3c108BFloat16EEESt5tupleIJNSH_6TensorESO_SO_EERKSO_lbbbEUlllE0_EEPmJS6_EEE10hipError_tPvRmT3_T4_T5_T6_T7_T9_mT8_P12ihipStream_tbDpT10_ENKUlT_T0_E_clISt17integral_constantIbLb0EES1E_EEDaS19_S1A_EUlS19_E_NS1_11comp_targetILNS1_3genE0ELNS1_11target_archE4294967295ELNS1_3gpuE0ELNS1_3repE0EEENS1_30default_config_static_selectorELNS0_4arch9wavefront6targetE0EEEvT1_.uses_vcc, 1
	.set _ZN7rocprim17ROCPRIM_400000_NS6detail17trampoline_kernelINS0_14default_configENS1_25partition_config_selectorILNS1_17partition_subalgoE8ElNS0_10empty_typeEbEEZZNS1_14partition_implILS5_8ELb0ES3_jPlPS6_PKS6_NS0_5tupleIJS9_S6_EEENSD_IJSA_SA_EEENS0_18inequality_wrapperIZN2at6native12_GLOBAL__N_124unique_dim_cuda_templateIN3c108BFloat16EEESt5tupleIJNSH_6TensorESO_SO_EERKSO_lbbbEUlllE0_EEPmJS6_EEE10hipError_tPvRmT3_T4_T5_T6_T7_T9_mT8_P12ihipStream_tbDpT10_ENKUlT_T0_E_clISt17integral_constantIbLb0EES1E_EEDaS19_S1A_EUlS19_E_NS1_11comp_targetILNS1_3genE0ELNS1_11target_archE4294967295ELNS1_3gpuE0ELNS1_3repE0EEENS1_30default_config_static_selectorELNS0_4arch9wavefront6targetE0EEEvT1_.uses_flat_scratch, 0
	.set _ZN7rocprim17ROCPRIM_400000_NS6detail17trampoline_kernelINS0_14default_configENS1_25partition_config_selectorILNS1_17partition_subalgoE8ElNS0_10empty_typeEbEEZZNS1_14partition_implILS5_8ELb0ES3_jPlPS6_PKS6_NS0_5tupleIJS9_S6_EEENSD_IJSA_SA_EEENS0_18inequality_wrapperIZN2at6native12_GLOBAL__N_124unique_dim_cuda_templateIN3c108BFloat16EEESt5tupleIJNSH_6TensorESO_SO_EERKSO_lbbbEUlllE0_EEPmJS6_EEE10hipError_tPvRmT3_T4_T5_T6_T7_T9_mT8_P12ihipStream_tbDpT10_ENKUlT_T0_E_clISt17integral_constantIbLb0EES1E_EEDaS19_S1A_EUlS19_E_NS1_11comp_targetILNS1_3genE0ELNS1_11target_archE4294967295ELNS1_3gpuE0ELNS1_3repE0EEENS1_30default_config_static_selectorELNS0_4arch9wavefront6targetE0EEEvT1_.has_dyn_sized_stack, 0
	.set _ZN7rocprim17ROCPRIM_400000_NS6detail17trampoline_kernelINS0_14default_configENS1_25partition_config_selectorILNS1_17partition_subalgoE8ElNS0_10empty_typeEbEEZZNS1_14partition_implILS5_8ELb0ES3_jPlPS6_PKS6_NS0_5tupleIJS9_S6_EEENSD_IJSA_SA_EEENS0_18inequality_wrapperIZN2at6native12_GLOBAL__N_124unique_dim_cuda_templateIN3c108BFloat16EEESt5tupleIJNSH_6TensorESO_SO_EERKSO_lbbbEUlllE0_EEPmJS6_EEE10hipError_tPvRmT3_T4_T5_T6_T7_T9_mT8_P12ihipStream_tbDpT10_ENKUlT_T0_E_clISt17integral_constantIbLb0EES1E_EEDaS19_S1A_EUlS19_E_NS1_11comp_targetILNS1_3genE0ELNS1_11target_archE4294967295ELNS1_3gpuE0ELNS1_3repE0EEENS1_30default_config_static_selectorELNS0_4arch9wavefront6targetE0EEEvT1_.has_recursion, 0
	.set _ZN7rocprim17ROCPRIM_400000_NS6detail17trampoline_kernelINS0_14default_configENS1_25partition_config_selectorILNS1_17partition_subalgoE8ElNS0_10empty_typeEbEEZZNS1_14partition_implILS5_8ELb0ES3_jPlPS6_PKS6_NS0_5tupleIJS9_S6_EEENSD_IJSA_SA_EEENS0_18inequality_wrapperIZN2at6native12_GLOBAL__N_124unique_dim_cuda_templateIN3c108BFloat16EEESt5tupleIJNSH_6TensorESO_SO_EERKSO_lbbbEUlllE0_EEPmJS6_EEE10hipError_tPvRmT3_T4_T5_T6_T7_T9_mT8_P12ihipStream_tbDpT10_ENKUlT_T0_E_clISt17integral_constantIbLb0EES1E_EEDaS19_S1A_EUlS19_E_NS1_11comp_targetILNS1_3genE0ELNS1_11target_archE4294967295ELNS1_3gpuE0ELNS1_3repE0EEENS1_30default_config_static_selectorELNS0_4arch9wavefront6targetE0EEEvT1_.has_indirect_call, 0
	.section	.AMDGPU.csdata,"",@progbits
; Kernel info:
; codeLenInByte = 10744
; TotalNumSgprs: 38
; NumVgprs: 54
; ScratchSize: 0
; MemoryBound: 0
; FloatMode: 240
; IeeeMode: 1
; LDSByteSize: 28680 bytes/workgroup (compile time only)
; SGPRBlocks: 0
; VGPRBlocks: 3
; NumSGPRsForWavesPerEU: 38
; NumVGPRsForWavesPerEU: 54
; NamedBarCnt: 0
; Occupancy: 16
; WaveLimiterHint : 1
; COMPUTE_PGM_RSRC2:SCRATCH_EN: 0
; COMPUTE_PGM_RSRC2:USER_SGPR: 2
; COMPUTE_PGM_RSRC2:TRAP_HANDLER: 0
; COMPUTE_PGM_RSRC2:TGID_X_EN: 1
; COMPUTE_PGM_RSRC2:TGID_Y_EN: 0
; COMPUTE_PGM_RSRC2:TGID_Z_EN: 0
; COMPUTE_PGM_RSRC2:TIDIG_COMP_CNT: 0
	.section	.text._ZN7rocprim17ROCPRIM_400000_NS6detail17trampoline_kernelINS0_14default_configENS1_25partition_config_selectorILNS1_17partition_subalgoE8ElNS0_10empty_typeEbEEZZNS1_14partition_implILS5_8ELb0ES3_jPlPS6_PKS6_NS0_5tupleIJS9_S6_EEENSD_IJSA_SA_EEENS0_18inequality_wrapperIZN2at6native12_GLOBAL__N_124unique_dim_cuda_templateIN3c108BFloat16EEESt5tupleIJNSH_6TensorESO_SO_EERKSO_lbbbEUlllE0_EEPmJS6_EEE10hipError_tPvRmT3_T4_T5_T6_T7_T9_mT8_P12ihipStream_tbDpT10_ENKUlT_T0_E_clISt17integral_constantIbLb0EES1E_EEDaS19_S1A_EUlS19_E_NS1_11comp_targetILNS1_3genE5ELNS1_11target_archE942ELNS1_3gpuE9ELNS1_3repE0EEENS1_30default_config_static_selectorELNS0_4arch9wavefront6targetE0EEEvT1_,"axG",@progbits,_ZN7rocprim17ROCPRIM_400000_NS6detail17trampoline_kernelINS0_14default_configENS1_25partition_config_selectorILNS1_17partition_subalgoE8ElNS0_10empty_typeEbEEZZNS1_14partition_implILS5_8ELb0ES3_jPlPS6_PKS6_NS0_5tupleIJS9_S6_EEENSD_IJSA_SA_EEENS0_18inequality_wrapperIZN2at6native12_GLOBAL__N_124unique_dim_cuda_templateIN3c108BFloat16EEESt5tupleIJNSH_6TensorESO_SO_EERKSO_lbbbEUlllE0_EEPmJS6_EEE10hipError_tPvRmT3_T4_T5_T6_T7_T9_mT8_P12ihipStream_tbDpT10_ENKUlT_T0_E_clISt17integral_constantIbLb0EES1E_EEDaS19_S1A_EUlS19_E_NS1_11comp_targetILNS1_3genE5ELNS1_11target_archE942ELNS1_3gpuE9ELNS1_3repE0EEENS1_30default_config_static_selectorELNS0_4arch9wavefront6targetE0EEEvT1_,comdat
	.globl	_ZN7rocprim17ROCPRIM_400000_NS6detail17trampoline_kernelINS0_14default_configENS1_25partition_config_selectorILNS1_17partition_subalgoE8ElNS0_10empty_typeEbEEZZNS1_14partition_implILS5_8ELb0ES3_jPlPS6_PKS6_NS0_5tupleIJS9_S6_EEENSD_IJSA_SA_EEENS0_18inequality_wrapperIZN2at6native12_GLOBAL__N_124unique_dim_cuda_templateIN3c108BFloat16EEESt5tupleIJNSH_6TensorESO_SO_EERKSO_lbbbEUlllE0_EEPmJS6_EEE10hipError_tPvRmT3_T4_T5_T6_T7_T9_mT8_P12ihipStream_tbDpT10_ENKUlT_T0_E_clISt17integral_constantIbLb0EES1E_EEDaS19_S1A_EUlS19_E_NS1_11comp_targetILNS1_3genE5ELNS1_11target_archE942ELNS1_3gpuE9ELNS1_3repE0EEENS1_30default_config_static_selectorELNS0_4arch9wavefront6targetE0EEEvT1_ ; -- Begin function _ZN7rocprim17ROCPRIM_400000_NS6detail17trampoline_kernelINS0_14default_configENS1_25partition_config_selectorILNS1_17partition_subalgoE8ElNS0_10empty_typeEbEEZZNS1_14partition_implILS5_8ELb0ES3_jPlPS6_PKS6_NS0_5tupleIJS9_S6_EEENSD_IJSA_SA_EEENS0_18inequality_wrapperIZN2at6native12_GLOBAL__N_124unique_dim_cuda_templateIN3c108BFloat16EEESt5tupleIJNSH_6TensorESO_SO_EERKSO_lbbbEUlllE0_EEPmJS6_EEE10hipError_tPvRmT3_T4_T5_T6_T7_T9_mT8_P12ihipStream_tbDpT10_ENKUlT_T0_E_clISt17integral_constantIbLb0EES1E_EEDaS19_S1A_EUlS19_E_NS1_11comp_targetILNS1_3genE5ELNS1_11target_archE942ELNS1_3gpuE9ELNS1_3repE0EEENS1_30default_config_static_selectorELNS0_4arch9wavefront6targetE0EEEvT1_
	.p2align	8
	.type	_ZN7rocprim17ROCPRIM_400000_NS6detail17trampoline_kernelINS0_14default_configENS1_25partition_config_selectorILNS1_17partition_subalgoE8ElNS0_10empty_typeEbEEZZNS1_14partition_implILS5_8ELb0ES3_jPlPS6_PKS6_NS0_5tupleIJS9_S6_EEENSD_IJSA_SA_EEENS0_18inequality_wrapperIZN2at6native12_GLOBAL__N_124unique_dim_cuda_templateIN3c108BFloat16EEESt5tupleIJNSH_6TensorESO_SO_EERKSO_lbbbEUlllE0_EEPmJS6_EEE10hipError_tPvRmT3_T4_T5_T6_T7_T9_mT8_P12ihipStream_tbDpT10_ENKUlT_T0_E_clISt17integral_constantIbLb0EES1E_EEDaS19_S1A_EUlS19_E_NS1_11comp_targetILNS1_3genE5ELNS1_11target_archE942ELNS1_3gpuE9ELNS1_3repE0EEENS1_30default_config_static_selectorELNS0_4arch9wavefront6targetE0EEEvT1_,@function
_ZN7rocprim17ROCPRIM_400000_NS6detail17trampoline_kernelINS0_14default_configENS1_25partition_config_selectorILNS1_17partition_subalgoE8ElNS0_10empty_typeEbEEZZNS1_14partition_implILS5_8ELb0ES3_jPlPS6_PKS6_NS0_5tupleIJS9_S6_EEENSD_IJSA_SA_EEENS0_18inequality_wrapperIZN2at6native12_GLOBAL__N_124unique_dim_cuda_templateIN3c108BFloat16EEESt5tupleIJNSH_6TensorESO_SO_EERKSO_lbbbEUlllE0_EEPmJS6_EEE10hipError_tPvRmT3_T4_T5_T6_T7_T9_mT8_P12ihipStream_tbDpT10_ENKUlT_T0_E_clISt17integral_constantIbLb0EES1E_EEDaS19_S1A_EUlS19_E_NS1_11comp_targetILNS1_3genE5ELNS1_11target_archE942ELNS1_3gpuE9ELNS1_3repE0EEENS1_30default_config_static_selectorELNS0_4arch9wavefront6targetE0EEEvT1_: ; @_ZN7rocprim17ROCPRIM_400000_NS6detail17trampoline_kernelINS0_14default_configENS1_25partition_config_selectorILNS1_17partition_subalgoE8ElNS0_10empty_typeEbEEZZNS1_14partition_implILS5_8ELb0ES3_jPlPS6_PKS6_NS0_5tupleIJS9_S6_EEENSD_IJSA_SA_EEENS0_18inequality_wrapperIZN2at6native12_GLOBAL__N_124unique_dim_cuda_templateIN3c108BFloat16EEESt5tupleIJNSH_6TensorESO_SO_EERKSO_lbbbEUlllE0_EEPmJS6_EEE10hipError_tPvRmT3_T4_T5_T6_T7_T9_mT8_P12ihipStream_tbDpT10_ENKUlT_T0_E_clISt17integral_constantIbLb0EES1E_EEDaS19_S1A_EUlS19_E_NS1_11comp_targetILNS1_3genE5ELNS1_11target_archE942ELNS1_3gpuE9ELNS1_3repE0EEENS1_30default_config_static_selectorELNS0_4arch9wavefront6targetE0EEEvT1_
; %bb.0:
	.section	.rodata,"a",@progbits
	.p2align	6, 0x0
	.amdhsa_kernel _ZN7rocprim17ROCPRIM_400000_NS6detail17trampoline_kernelINS0_14default_configENS1_25partition_config_selectorILNS1_17partition_subalgoE8ElNS0_10empty_typeEbEEZZNS1_14partition_implILS5_8ELb0ES3_jPlPS6_PKS6_NS0_5tupleIJS9_S6_EEENSD_IJSA_SA_EEENS0_18inequality_wrapperIZN2at6native12_GLOBAL__N_124unique_dim_cuda_templateIN3c108BFloat16EEESt5tupleIJNSH_6TensorESO_SO_EERKSO_lbbbEUlllE0_EEPmJS6_EEE10hipError_tPvRmT3_T4_T5_T6_T7_T9_mT8_P12ihipStream_tbDpT10_ENKUlT_T0_E_clISt17integral_constantIbLb0EES1E_EEDaS19_S1A_EUlS19_E_NS1_11comp_targetILNS1_3genE5ELNS1_11target_archE942ELNS1_3gpuE9ELNS1_3repE0EEENS1_30default_config_static_selectorELNS0_4arch9wavefront6targetE0EEEvT1_
		.amdhsa_group_segment_fixed_size 0
		.amdhsa_private_segment_fixed_size 0
		.amdhsa_kernarg_size 120
		.amdhsa_user_sgpr_count 2
		.amdhsa_user_sgpr_dispatch_ptr 0
		.amdhsa_user_sgpr_queue_ptr 0
		.amdhsa_user_sgpr_kernarg_segment_ptr 1
		.amdhsa_user_sgpr_dispatch_id 0
		.amdhsa_user_sgpr_kernarg_preload_length 0
		.amdhsa_user_sgpr_kernarg_preload_offset 0
		.amdhsa_user_sgpr_private_segment_size 0
		.amdhsa_wavefront_size32 1
		.amdhsa_uses_dynamic_stack 0
		.amdhsa_enable_private_segment 0
		.amdhsa_system_sgpr_workgroup_id_x 1
		.amdhsa_system_sgpr_workgroup_id_y 0
		.amdhsa_system_sgpr_workgroup_id_z 0
		.amdhsa_system_sgpr_workgroup_info 0
		.amdhsa_system_vgpr_workitem_id 0
		.amdhsa_next_free_vgpr 1
		.amdhsa_next_free_sgpr 1
		.amdhsa_named_barrier_count 0
		.amdhsa_reserve_vcc 0
		.amdhsa_float_round_mode_32 0
		.amdhsa_float_round_mode_16_64 0
		.amdhsa_float_denorm_mode_32 3
		.amdhsa_float_denorm_mode_16_64 3
		.amdhsa_fp16_overflow 0
		.amdhsa_memory_ordered 1
		.amdhsa_forward_progress 1
		.amdhsa_inst_pref_size 0
		.amdhsa_round_robin_scheduling 0
		.amdhsa_exception_fp_ieee_invalid_op 0
		.amdhsa_exception_fp_denorm_src 0
		.amdhsa_exception_fp_ieee_div_zero 0
		.amdhsa_exception_fp_ieee_overflow 0
		.amdhsa_exception_fp_ieee_underflow 0
		.amdhsa_exception_fp_ieee_inexact 0
		.amdhsa_exception_int_div_zero 0
	.end_amdhsa_kernel
	.section	.text._ZN7rocprim17ROCPRIM_400000_NS6detail17trampoline_kernelINS0_14default_configENS1_25partition_config_selectorILNS1_17partition_subalgoE8ElNS0_10empty_typeEbEEZZNS1_14partition_implILS5_8ELb0ES3_jPlPS6_PKS6_NS0_5tupleIJS9_S6_EEENSD_IJSA_SA_EEENS0_18inequality_wrapperIZN2at6native12_GLOBAL__N_124unique_dim_cuda_templateIN3c108BFloat16EEESt5tupleIJNSH_6TensorESO_SO_EERKSO_lbbbEUlllE0_EEPmJS6_EEE10hipError_tPvRmT3_T4_T5_T6_T7_T9_mT8_P12ihipStream_tbDpT10_ENKUlT_T0_E_clISt17integral_constantIbLb0EES1E_EEDaS19_S1A_EUlS19_E_NS1_11comp_targetILNS1_3genE5ELNS1_11target_archE942ELNS1_3gpuE9ELNS1_3repE0EEENS1_30default_config_static_selectorELNS0_4arch9wavefront6targetE0EEEvT1_,"axG",@progbits,_ZN7rocprim17ROCPRIM_400000_NS6detail17trampoline_kernelINS0_14default_configENS1_25partition_config_selectorILNS1_17partition_subalgoE8ElNS0_10empty_typeEbEEZZNS1_14partition_implILS5_8ELb0ES3_jPlPS6_PKS6_NS0_5tupleIJS9_S6_EEENSD_IJSA_SA_EEENS0_18inequality_wrapperIZN2at6native12_GLOBAL__N_124unique_dim_cuda_templateIN3c108BFloat16EEESt5tupleIJNSH_6TensorESO_SO_EERKSO_lbbbEUlllE0_EEPmJS6_EEE10hipError_tPvRmT3_T4_T5_T6_T7_T9_mT8_P12ihipStream_tbDpT10_ENKUlT_T0_E_clISt17integral_constantIbLb0EES1E_EEDaS19_S1A_EUlS19_E_NS1_11comp_targetILNS1_3genE5ELNS1_11target_archE942ELNS1_3gpuE9ELNS1_3repE0EEENS1_30default_config_static_selectorELNS0_4arch9wavefront6targetE0EEEvT1_,comdat
.Lfunc_end1175:
	.size	_ZN7rocprim17ROCPRIM_400000_NS6detail17trampoline_kernelINS0_14default_configENS1_25partition_config_selectorILNS1_17partition_subalgoE8ElNS0_10empty_typeEbEEZZNS1_14partition_implILS5_8ELb0ES3_jPlPS6_PKS6_NS0_5tupleIJS9_S6_EEENSD_IJSA_SA_EEENS0_18inequality_wrapperIZN2at6native12_GLOBAL__N_124unique_dim_cuda_templateIN3c108BFloat16EEESt5tupleIJNSH_6TensorESO_SO_EERKSO_lbbbEUlllE0_EEPmJS6_EEE10hipError_tPvRmT3_T4_T5_T6_T7_T9_mT8_P12ihipStream_tbDpT10_ENKUlT_T0_E_clISt17integral_constantIbLb0EES1E_EEDaS19_S1A_EUlS19_E_NS1_11comp_targetILNS1_3genE5ELNS1_11target_archE942ELNS1_3gpuE9ELNS1_3repE0EEENS1_30default_config_static_selectorELNS0_4arch9wavefront6targetE0EEEvT1_, .Lfunc_end1175-_ZN7rocprim17ROCPRIM_400000_NS6detail17trampoline_kernelINS0_14default_configENS1_25partition_config_selectorILNS1_17partition_subalgoE8ElNS0_10empty_typeEbEEZZNS1_14partition_implILS5_8ELb0ES3_jPlPS6_PKS6_NS0_5tupleIJS9_S6_EEENSD_IJSA_SA_EEENS0_18inequality_wrapperIZN2at6native12_GLOBAL__N_124unique_dim_cuda_templateIN3c108BFloat16EEESt5tupleIJNSH_6TensorESO_SO_EERKSO_lbbbEUlllE0_EEPmJS6_EEE10hipError_tPvRmT3_T4_T5_T6_T7_T9_mT8_P12ihipStream_tbDpT10_ENKUlT_T0_E_clISt17integral_constantIbLb0EES1E_EEDaS19_S1A_EUlS19_E_NS1_11comp_targetILNS1_3genE5ELNS1_11target_archE942ELNS1_3gpuE9ELNS1_3repE0EEENS1_30default_config_static_selectorELNS0_4arch9wavefront6targetE0EEEvT1_
                                        ; -- End function
	.set _ZN7rocprim17ROCPRIM_400000_NS6detail17trampoline_kernelINS0_14default_configENS1_25partition_config_selectorILNS1_17partition_subalgoE8ElNS0_10empty_typeEbEEZZNS1_14partition_implILS5_8ELb0ES3_jPlPS6_PKS6_NS0_5tupleIJS9_S6_EEENSD_IJSA_SA_EEENS0_18inequality_wrapperIZN2at6native12_GLOBAL__N_124unique_dim_cuda_templateIN3c108BFloat16EEESt5tupleIJNSH_6TensorESO_SO_EERKSO_lbbbEUlllE0_EEPmJS6_EEE10hipError_tPvRmT3_T4_T5_T6_T7_T9_mT8_P12ihipStream_tbDpT10_ENKUlT_T0_E_clISt17integral_constantIbLb0EES1E_EEDaS19_S1A_EUlS19_E_NS1_11comp_targetILNS1_3genE5ELNS1_11target_archE942ELNS1_3gpuE9ELNS1_3repE0EEENS1_30default_config_static_selectorELNS0_4arch9wavefront6targetE0EEEvT1_.num_vgpr, 0
	.set _ZN7rocprim17ROCPRIM_400000_NS6detail17trampoline_kernelINS0_14default_configENS1_25partition_config_selectorILNS1_17partition_subalgoE8ElNS0_10empty_typeEbEEZZNS1_14partition_implILS5_8ELb0ES3_jPlPS6_PKS6_NS0_5tupleIJS9_S6_EEENSD_IJSA_SA_EEENS0_18inequality_wrapperIZN2at6native12_GLOBAL__N_124unique_dim_cuda_templateIN3c108BFloat16EEESt5tupleIJNSH_6TensorESO_SO_EERKSO_lbbbEUlllE0_EEPmJS6_EEE10hipError_tPvRmT3_T4_T5_T6_T7_T9_mT8_P12ihipStream_tbDpT10_ENKUlT_T0_E_clISt17integral_constantIbLb0EES1E_EEDaS19_S1A_EUlS19_E_NS1_11comp_targetILNS1_3genE5ELNS1_11target_archE942ELNS1_3gpuE9ELNS1_3repE0EEENS1_30default_config_static_selectorELNS0_4arch9wavefront6targetE0EEEvT1_.num_agpr, 0
	.set _ZN7rocprim17ROCPRIM_400000_NS6detail17trampoline_kernelINS0_14default_configENS1_25partition_config_selectorILNS1_17partition_subalgoE8ElNS0_10empty_typeEbEEZZNS1_14partition_implILS5_8ELb0ES3_jPlPS6_PKS6_NS0_5tupleIJS9_S6_EEENSD_IJSA_SA_EEENS0_18inequality_wrapperIZN2at6native12_GLOBAL__N_124unique_dim_cuda_templateIN3c108BFloat16EEESt5tupleIJNSH_6TensorESO_SO_EERKSO_lbbbEUlllE0_EEPmJS6_EEE10hipError_tPvRmT3_T4_T5_T6_T7_T9_mT8_P12ihipStream_tbDpT10_ENKUlT_T0_E_clISt17integral_constantIbLb0EES1E_EEDaS19_S1A_EUlS19_E_NS1_11comp_targetILNS1_3genE5ELNS1_11target_archE942ELNS1_3gpuE9ELNS1_3repE0EEENS1_30default_config_static_selectorELNS0_4arch9wavefront6targetE0EEEvT1_.numbered_sgpr, 0
	.set _ZN7rocprim17ROCPRIM_400000_NS6detail17trampoline_kernelINS0_14default_configENS1_25partition_config_selectorILNS1_17partition_subalgoE8ElNS0_10empty_typeEbEEZZNS1_14partition_implILS5_8ELb0ES3_jPlPS6_PKS6_NS0_5tupleIJS9_S6_EEENSD_IJSA_SA_EEENS0_18inequality_wrapperIZN2at6native12_GLOBAL__N_124unique_dim_cuda_templateIN3c108BFloat16EEESt5tupleIJNSH_6TensorESO_SO_EERKSO_lbbbEUlllE0_EEPmJS6_EEE10hipError_tPvRmT3_T4_T5_T6_T7_T9_mT8_P12ihipStream_tbDpT10_ENKUlT_T0_E_clISt17integral_constantIbLb0EES1E_EEDaS19_S1A_EUlS19_E_NS1_11comp_targetILNS1_3genE5ELNS1_11target_archE942ELNS1_3gpuE9ELNS1_3repE0EEENS1_30default_config_static_selectorELNS0_4arch9wavefront6targetE0EEEvT1_.num_named_barrier, 0
	.set _ZN7rocprim17ROCPRIM_400000_NS6detail17trampoline_kernelINS0_14default_configENS1_25partition_config_selectorILNS1_17partition_subalgoE8ElNS0_10empty_typeEbEEZZNS1_14partition_implILS5_8ELb0ES3_jPlPS6_PKS6_NS0_5tupleIJS9_S6_EEENSD_IJSA_SA_EEENS0_18inequality_wrapperIZN2at6native12_GLOBAL__N_124unique_dim_cuda_templateIN3c108BFloat16EEESt5tupleIJNSH_6TensorESO_SO_EERKSO_lbbbEUlllE0_EEPmJS6_EEE10hipError_tPvRmT3_T4_T5_T6_T7_T9_mT8_P12ihipStream_tbDpT10_ENKUlT_T0_E_clISt17integral_constantIbLb0EES1E_EEDaS19_S1A_EUlS19_E_NS1_11comp_targetILNS1_3genE5ELNS1_11target_archE942ELNS1_3gpuE9ELNS1_3repE0EEENS1_30default_config_static_selectorELNS0_4arch9wavefront6targetE0EEEvT1_.private_seg_size, 0
	.set _ZN7rocprim17ROCPRIM_400000_NS6detail17trampoline_kernelINS0_14default_configENS1_25partition_config_selectorILNS1_17partition_subalgoE8ElNS0_10empty_typeEbEEZZNS1_14partition_implILS5_8ELb0ES3_jPlPS6_PKS6_NS0_5tupleIJS9_S6_EEENSD_IJSA_SA_EEENS0_18inequality_wrapperIZN2at6native12_GLOBAL__N_124unique_dim_cuda_templateIN3c108BFloat16EEESt5tupleIJNSH_6TensorESO_SO_EERKSO_lbbbEUlllE0_EEPmJS6_EEE10hipError_tPvRmT3_T4_T5_T6_T7_T9_mT8_P12ihipStream_tbDpT10_ENKUlT_T0_E_clISt17integral_constantIbLb0EES1E_EEDaS19_S1A_EUlS19_E_NS1_11comp_targetILNS1_3genE5ELNS1_11target_archE942ELNS1_3gpuE9ELNS1_3repE0EEENS1_30default_config_static_selectorELNS0_4arch9wavefront6targetE0EEEvT1_.uses_vcc, 0
	.set _ZN7rocprim17ROCPRIM_400000_NS6detail17trampoline_kernelINS0_14default_configENS1_25partition_config_selectorILNS1_17partition_subalgoE8ElNS0_10empty_typeEbEEZZNS1_14partition_implILS5_8ELb0ES3_jPlPS6_PKS6_NS0_5tupleIJS9_S6_EEENSD_IJSA_SA_EEENS0_18inequality_wrapperIZN2at6native12_GLOBAL__N_124unique_dim_cuda_templateIN3c108BFloat16EEESt5tupleIJNSH_6TensorESO_SO_EERKSO_lbbbEUlllE0_EEPmJS6_EEE10hipError_tPvRmT3_T4_T5_T6_T7_T9_mT8_P12ihipStream_tbDpT10_ENKUlT_T0_E_clISt17integral_constantIbLb0EES1E_EEDaS19_S1A_EUlS19_E_NS1_11comp_targetILNS1_3genE5ELNS1_11target_archE942ELNS1_3gpuE9ELNS1_3repE0EEENS1_30default_config_static_selectorELNS0_4arch9wavefront6targetE0EEEvT1_.uses_flat_scratch, 0
	.set _ZN7rocprim17ROCPRIM_400000_NS6detail17trampoline_kernelINS0_14default_configENS1_25partition_config_selectorILNS1_17partition_subalgoE8ElNS0_10empty_typeEbEEZZNS1_14partition_implILS5_8ELb0ES3_jPlPS6_PKS6_NS0_5tupleIJS9_S6_EEENSD_IJSA_SA_EEENS0_18inequality_wrapperIZN2at6native12_GLOBAL__N_124unique_dim_cuda_templateIN3c108BFloat16EEESt5tupleIJNSH_6TensorESO_SO_EERKSO_lbbbEUlllE0_EEPmJS6_EEE10hipError_tPvRmT3_T4_T5_T6_T7_T9_mT8_P12ihipStream_tbDpT10_ENKUlT_T0_E_clISt17integral_constantIbLb0EES1E_EEDaS19_S1A_EUlS19_E_NS1_11comp_targetILNS1_3genE5ELNS1_11target_archE942ELNS1_3gpuE9ELNS1_3repE0EEENS1_30default_config_static_selectorELNS0_4arch9wavefront6targetE0EEEvT1_.has_dyn_sized_stack, 0
	.set _ZN7rocprim17ROCPRIM_400000_NS6detail17trampoline_kernelINS0_14default_configENS1_25partition_config_selectorILNS1_17partition_subalgoE8ElNS0_10empty_typeEbEEZZNS1_14partition_implILS5_8ELb0ES3_jPlPS6_PKS6_NS0_5tupleIJS9_S6_EEENSD_IJSA_SA_EEENS0_18inequality_wrapperIZN2at6native12_GLOBAL__N_124unique_dim_cuda_templateIN3c108BFloat16EEESt5tupleIJNSH_6TensorESO_SO_EERKSO_lbbbEUlllE0_EEPmJS6_EEE10hipError_tPvRmT3_T4_T5_T6_T7_T9_mT8_P12ihipStream_tbDpT10_ENKUlT_T0_E_clISt17integral_constantIbLb0EES1E_EEDaS19_S1A_EUlS19_E_NS1_11comp_targetILNS1_3genE5ELNS1_11target_archE942ELNS1_3gpuE9ELNS1_3repE0EEENS1_30default_config_static_selectorELNS0_4arch9wavefront6targetE0EEEvT1_.has_recursion, 0
	.set _ZN7rocprim17ROCPRIM_400000_NS6detail17trampoline_kernelINS0_14default_configENS1_25partition_config_selectorILNS1_17partition_subalgoE8ElNS0_10empty_typeEbEEZZNS1_14partition_implILS5_8ELb0ES3_jPlPS6_PKS6_NS0_5tupleIJS9_S6_EEENSD_IJSA_SA_EEENS0_18inequality_wrapperIZN2at6native12_GLOBAL__N_124unique_dim_cuda_templateIN3c108BFloat16EEESt5tupleIJNSH_6TensorESO_SO_EERKSO_lbbbEUlllE0_EEPmJS6_EEE10hipError_tPvRmT3_T4_T5_T6_T7_T9_mT8_P12ihipStream_tbDpT10_ENKUlT_T0_E_clISt17integral_constantIbLb0EES1E_EEDaS19_S1A_EUlS19_E_NS1_11comp_targetILNS1_3genE5ELNS1_11target_archE942ELNS1_3gpuE9ELNS1_3repE0EEENS1_30default_config_static_selectorELNS0_4arch9wavefront6targetE0EEEvT1_.has_indirect_call, 0
	.section	.AMDGPU.csdata,"",@progbits
; Kernel info:
; codeLenInByte = 0
; TotalNumSgprs: 0
; NumVgprs: 0
; ScratchSize: 0
; MemoryBound: 0
; FloatMode: 240
; IeeeMode: 1
; LDSByteSize: 0 bytes/workgroup (compile time only)
; SGPRBlocks: 0
; VGPRBlocks: 0
; NumSGPRsForWavesPerEU: 1
; NumVGPRsForWavesPerEU: 1
; NamedBarCnt: 0
; Occupancy: 16
; WaveLimiterHint : 0
; COMPUTE_PGM_RSRC2:SCRATCH_EN: 0
; COMPUTE_PGM_RSRC2:USER_SGPR: 2
; COMPUTE_PGM_RSRC2:TRAP_HANDLER: 0
; COMPUTE_PGM_RSRC2:TGID_X_EN: 1
; COMPUTE_PGM_RSRC2:TGID_Y_EN: 0
; COMPUTE_PGM_RSRC2:TGID_Z_EN: 0
; COMPUTE_PGM_RSRC2:TIDIG_COMP_CNT: 0
	.section	.text._ZN7rocprim17ROCPRIM_400000_NS6detail17trampoline_kernelINS0_14default_configENS1_25partition_config_selectorILNS1_17partition_subalgoE8ElNS0_10empty_typeEbEEZZNS1_14partition_implILS5_8ELb0ES3_jPlPS6_PKS6_NS0_5tupleIJS9_S6_EEENSD_IJSA_SA_EEENS0_18inequality_wrapperIZN2at6native12_GLOBAL__N_124unique_dim_cuda_templateIN3c108BFloat16EEESt5tupleIJNSH_6TensorESO_SO_EERKSO_lbbbEUlllE0_EEPmJS6_EEE10hipError_tPvRmT3_T4_T5_T6_T7_T9_mT8_P12ihipStream_tbDpT10_ENKUlT_T0_E_clISt17integral_constantIbLb0EES1E_EEDaS19_S1A_EUlS19_E_NS1_11comp_targetILNS1_3genE4ELNS1_11target_archE910ELNS1_3gpuE8ELNS1_3repE0EEENS1_30default_config_static_selectorELNS0_4arch9wavefront6targetE0EEEvT1_,"axG",@progbits,_ZN7rocprim17ROCPRIM_400000_NS6detail17trampoline_kernelINS0_14default_configENS1_25partition_config_selectorILNS1_17partition_subalgoE8ElNS0_10empty_typeEbEEZZNS1_14partition_implILS5_8ELb0ES3_jPlPS6_PKS6_NS0_5tupleIJS9_S6_EEENSD_IJSA_SA_EEENS0_18inequality_wrapperIZN2at6native12_GLOBAL__N_124unique_dim_cuda_templateIN3c108BFloat16EEESt5tupleIJNSH_6TensorESO_SO_EERKSO_lbbbEUlllE0_EEPmJS6_EEE10hipError_tPvRmT3_T4_T5_T6_T7_T9_mT8_P12ihipStream_tbDpT10_ENKUlT_T0_E_clISt17integral_constantIbLb0EES1E_EEDaS19_S1A_EUlS19_E_NS1_11comp_targetILNS1_3genE4ELNS1_11target_archE910ELNS1_3gpuE8ELNS1_3repE0EEENS1_30default_config_static_selectorELNS0_4arch9wavefront6targetE0EEEvT1_,comdat
	.globl	_ZN7rocprim17ROCPRIM_400000_NS6detail17trampoline_kernelINS0_14default_configENS1_25partition_config_selectorILNS1_17partition_subalgoE8ElNS0_10empty_typeEbEEZZNS1_14partition_implILS5_8ELb0ES3_jPlPS6_PKS6_NS0_5tupleIJS9_S6_EEENSD_IJSA_SA_EEENS0_18inequality_wrapperIZN2at6native12_GLOBAL__N_124unique_dim_cuda_templateIN3c108BFloat16EEESt5tupleIJNSH_6TensorESO_SO_EERKSO_lbbbEUlllE0_EEPmJS6_EEE10hipError_tPvRmT3_T4_T5_T6_T7_T9_mT8_P12ihipStream_tbDpT10_ENKUlT_T0_E_clISt17integral_constantIbLb0EES1E_EEDaS19_S1A_EUlS19_E_NS1_11comp_targetILNS1_3genE4ELNS1_11target_archE910ELNS1_3gpuE8ELNS1_3repE0EEENS1_30default_config_static_selectorELNS0_4arch9wavefront6targetE0EEEvT1_ ; -- Begin function _ZN7rocprim17ROCPRIM_400000_NS6detail17trampoline_kernelINS0_14default_configENS1_25partition_config_selectorILNS1_17partition_subalgoE8ElNS0_10empty_typeEbEEZZNS1_14partition_implILS5_8ELb0ES3_jPlPS6_PKS6_NS0_5tupleIJS9_S6_EEENSD_IJSA_SA_EEENS0_18inequality_wrapperIZN2at6native12_GLOBAL__N_124unique_dim_cuda_templateIN3c108BFloat16EEESt5tupleIJNSH_6TensorESO_SO_EERKSO_lbbbEUlllE0_EEPmJS6_EEE10hipError_tPvRmT3_T4_T5_T6_T7_T9_mT8_P12ihipStream_tbDpT10_ENKUlT_T0_E_clISt17integral_constantIbLb0EES1E_EEDaS19_S1A_EUlS19_E_NS1_11comp_targetILNS1_3genE4ELNS1_11target_archE910ELNS1_3gpuE8ELNS1_3repE0EEENS1_30default_config_static_selectorELNS0_4arch9wavefront6targetE0EEEvT1_
	.p2align	8
	.type	_ZN7rocprim17ROCPRIM_400000_NS6detail17trampoline_kernelINS0_14default_configENS1_25partition_config_selectorILNS1_17partition_subalgoE8ElNS0_10empty_typeEbEEZZNS1_14partition_implILS5_8ELb0ES3_jPlPS6_PKS6_NS0_5tupleIJS9_S6_EEENSD_IJSA_SA_EEENS0_18inequality_wrapperIZN2at6native12_GLOBAL__N_124unique_dim_cuda_templateIN3c108BFloat16EEESt5tupleIJNSH_6TensorESO_SO_EERKSO_lbbbEUlllE0_EEPmJS6_EEE10hipError_tPvRmT3_T4_T5_T6_T7_T9_mT8_P12ihipStream_tbDpT10_ENKUlT_T0_E_clISt17integral_constantIbLb0EES1E_EEDaS19_S1A_EUlS19_E_NS1_11comp_targetILNS1_3genE4ELNS1_11target_archE910ELNS1_3gpuE8ELNS1_3repE0EEENS1_30default_config_static_selectorELNS0_4arch9wavefront6targetE0EEEvT1_,@function
_ZN7rocprim17ROCPRIM_400000_NS6detail17trampoline_kernelINS0_14default_configENS1_25partition_config_selectorILNS1_17partition_subalgoE8ElNS0_10empty_typeEbEEZZNS1_14partition_implILS5_8ELb0ES3_jPlPS6_PKS6_NS0_5tupleIJS9_S6_EEENSD_IJSA_SA_EEENS0_18inequality_wrapperIZN2at6native12_GLOBAL__N_124unique_dim_cuda_templateIN3c108BFloat16EEESt5tupleIJNSH_6TensorESO_SO_EERKSO_lbbbEUlllE0_EEPmJS6_EEE10hipError_tPvRmT3_T4_T5_T6_T7_T9_mT8_P12ihipStream_tbDpT10_ENKUlT_T0_E_clISt17integral_constantIbLb0EES1E_EEDaS19_S1A_EUlS19_E_NS1_11comp_targetILNS1_3genE4ELNS1_11target_archE910ELNS1_3gpuE8ELNS1_3repE0EEENS1_30default_config_static_selectorELNS0_4arch9wavefront6targetE0EEEvT1_: ; @_ZN7rocprim17ROCPRIM_400000_NS6detail17trampoline_kernelINS0_14default_configENS1_25partition_config_selectorILNS1_17partition_subalgoE8ElNS0_10empty_typeEbEEZZNS1_14partition_implILS5_8ELb0ES3_jPlPS6_PKS6_NS0_5tupleIJS9_S6_EEENSD_IJSA_SA_EEENS0_18inequality_wrapperIZN2at6native12_GLOBAL__N_124unique_dim_cuda_templateIN3c108BFloat16EEESt5tupleIJNSH_6TensorESO_SO_EERKSO_lbbbEUlllE0_EEPmJS6_EEE10hipError_tPvRmT3_T4_T5_T6_T7_T9_mT8_P12ihipStream_tbDpT10_ENKUlT_T0_E_clISt17integral_constantIbLb0EES1E_EEDaS19_S1A_EUlS19_E_NS1_11comp_targetILNS1_3genE4ELNS1_11target_archE910ELNS1_3gpuE8ELNS1_3repE0EEENS1_30default_config_static_selectorELNS0_4arch9wavefront6targetE0EEEvT1_
; %bb.0:
	.section	.rodata,"a",@progbits
	.p2align	6, 0x0
	.amdhsa_kernel _ZN7rocprim17ROCPRIM_400000_NS6detail17trampoline_kernelINS0_14default_configENS1_25partition_config_selectorILNS1_17partition_subalgoE8ElNS0_10empty_typeEbEEZZNS1_14partition_implILS5_8ELb0ES3_jPlPS6_PKS6_NS0_5tupleIJS9_S6_EEENSD_IJSA_SA_EEENS0_18inequality_wrapperIZN2at6native12_GLOBAL__N_124unique_dim_cuda_templateIN3c108BFloat16EEESt5tupleIJNSH_6TensorESO_SO_EERKSO_lbbbEUlllE0_EEPmJS6_EEE10hipError_tPvRmT3_T4_T5_T6_T7_T9_mT8_P12ihipStream_tbDpT10_ENKUlT_T0_E_clISt17integral_constantIbLb0EES1E_EEDaS19_S1A_EUlS19_E_NS1_11comp_targetILNS1_3genE4ELNS1_11target_archE910ELNS1_3gpuE8ELNS1_3repE0EEENS1_30default_config_static_selectorELNS0_4arch9wavefront6targetE0EEEvT1_
		.amdhsa_group_segment_fixed_size 0
		.amdhsa_private_segment_fixed_size 0
		.amdhsa_kernarg_size 120
		.amdhsa_user_sgpr_count 2
		.amdhsa_user_sgpr_dispatch_ptr 0
		.amdhsa_user_sgpr_queue_ptr 0
		.amdhsa_user_sgpr_kernarg_segment_ptr 1
		.amdhsa_user_sgpr_dispatch_id 0
		.amdhsa_user_sgpr_kernarg_preload_length 0
		.amdhsa_user_sgpr_kernarg_preload_offset 0
		.amdhsa_user_sgpr_private_segment_size 0
		.amdhsa_wavefront_size32 1
		.amdhsa_uses_dynamic_stack 0
		.amdhsa_enable_private_segment 0
		.amdhsa_system_sgpr_workgroup_id_x 1
		.amdhsa_system_sgpr_workgroup_id_y 0
		.amdhsa_system_sgpr_workgroup_id_z 0
		.amdhsa_system_sgpr_workgroup_info 0
		.amdhsa_system_vgpr_workitem_id 0
		.amdhsa_next_free_vgpr 1
		.amdhsa_next_free_sgpr 1
		.amdhsa_named_barrier_count 0
		.amdhsa_reserve_vcc 0
		.amdhsa_float_round_mode_32 0
		.amdhsa_float_round_mode_16_64 0
		.amdhsa_float_denorm_mode_32 3
		.amdhsa_float_denorm_mode_16_64 3
		.amdhsa_fp16_overflow 0
		.amdhsa_memory_ordered 1
		.amdhsa_forward_progress 1
		.amdhsa_inst_pref_size 0
		.amdhsa_round_robin_scheduling 0
		.amdhsa_exception_fp_ieee_invalid_op 0
		.amdhsa_exception_fp_denorm_src 0
		.amdhsa_exception_fp_ieee_div_zero 0
		.amdhsa_exception_fp_ieee_overflow 0
		.amdhsa_exception_fp_ieee_underflow 0
		.amdhsa_exception_fp_ieee_inexact 0
		.amdhsa_exception_int_div_zero 0
	.end_amdhsa_kernel
	.section	.text._ZN7rocprim17ROCPRIM_400000_NS6detail17trampoline_kernelINS0_14default_configENS1_25partition_config_selectorILNS1_17partition_subalgoE8ElNS0_10empty_typeEbEEZZNS1_14partition_implILS5_8ELb0ES3_jPlPS6_PKS6_NS0_5tupleIJS9_S6_EEENSD_IJSA_SA_EEENS0_18inequality_wrapperIZN2at6native12_GLOBAL__N_124unique_dim_cuda_templateIN3c108BFloat16EEESt5tupleIJNSH_6TensorESO_SO_EERKSO_lbbbEUlllE0_EEPmJS6_EEE10hipError_tPvRmT3_T4_T5_T6_T7_T9_mT8_P12ihipStream_tbDpT10_ENKUlT_T0_E_clISt17integral_constantIbLb0EES1E_EEDaS19_S1A_EUlS19_E_NS1_11comp_targetILNS1_3genE4ELNS1_11target_archE910ELNS1_3gpuE8ELNS1_3repE0EEENS1_30default_config_static_selectorELNS0_4arch9wavefront6targetE0EEEvT1_,"axG",@progbits,_ZN7rocprim17ROCPRIM_400000_NS6detail17trampoline_kernelINS0_14default_configENS1_25partition_config_selectorILNS1_17partition_subalgoE8ElNS0_10empty_typeEbEEZZNS1_14partition_implILS5_8ELb0ES3_jPlPS6_PKS6_NS0_5tupleIJS9_S6_EEENSD_IJSA_SA_EEENS0_18inequality_wrapperIZN2at6native12_GLOBAL__N_124unique_dim_cuda_templateIN3c108BFloat16EEESt5tupleIJNSH_6TensorESO_SO_EERKSO_lbbbEUlllE0_EEPmJS6_EEE10hipError_tPvRmT3_T4_T5_T6_T7_T9_mT8_P12ihipStream_tbDpT10_ENKUlT_T0_E_clISt17integral_constantIbLb0EES1E_EEDaS19_S1A_EUlS19_E_NS1_11comp_targetILNS1_3genE4ELNS1_11target_archE910ELNS1_3gpuE8ELNS1_3repE0EEENS1_30default_config_static_selectorELNS0_4arch9wavefront6targetE0EEEvT1_,comdat
.Lfunc_end1176:
	.size	_ZN7rocprim17ROCPRIM_400000_NS6detail17trampoline_kernelINS0_14default_configENS1_25partition_config_selectorILNS1_17partition_subalgoE8ElNS0_10empty_typeEbEEZZNS1_14partition_implILS5_8ELb0ES3_jPlPS6_PKS6_NS0_5tupleIJS9_S6_EEENSD_IJSA_SA_EEENS0_18inequality_wrapperIZN2at6native12_GLOBAL__N_124unique_dim_cuda_templateIN3c108BFloat16EEESt5tupleIJNSH_6TensorESO_SO_EERKSO_lbbbEUlllE0_EEPmJS6_EEE10hipError_tPvRmT3_T4_T5_T6_T7_T9_mT8_P12ihipStream_tbDpT10_ENKUlT_T0_E_clISt17integral_constantIbLb0EES1E_EEDaS19_S1A_EUlS19_E_NS1_11comp_targetILNS1_3genE4ELNS1_11target_archE910ELNS1_3gpuE8ELNS1_3repE0EEENS1_30default_config_static_selectorELNS0_4arch9wavefront6targetE0EEEvT1_, .Lfunc_end1176-_ZN7rocprim17ROCPRIM_400000_NS6detail17trampoline_kernelINS0_14default_configENS1_25partition_config_selectorILNS1_17partition_subalgoE8ElNS0_10empty_typeEbEEZZNS1_14partition_implILS5_8ELb0ES3_jPlPS6_PKS6_NS0_5tupleIJS9_S6_EEENSD_IJSA_SA_EEENS0_18inequality_wrapperIZN2at6native12_GLOBAL__N_124unique_dim_cuda_templateIN3c108BFloat16EEESt5tupleIJNSH_6TensorESO_SO_EERKSO_lbbbEUlllE0_EEPmJS6_EEE10hipError_tPvRmT3_T4_T5_T6_T7_T9_mT8_P12ihipStream_tbDpT10_ENKUlT_T0_E_clISt17integral_constantIbLb0EES1E_EEDaS19_S1A_EUlS19_E_NS1_11comp_targetILNS1_3genE4ELNS1_11target_archE910ELNS1_3gpuE8ELNS1_3repE0EEENS1_30default_config_static_selectorELNS0_4arch9wavefront6targetE0EEEvT1_
                                        ; -- End function
	.set _ZN7rocprim17ROCPRIM_400000_NS6detail17trampoline_kernelINS0_14default_configENS1_25partition_config_selectorILNS1_17partition_subalgoE8ElNS0_10empty_typeEbEEZZNS1_14partition_implILS5_8ELb0ES3_jPlPS6_PKS6_NS0_5tupleIJS9_S6_EEENSD_IJSA_SA_EEENS0_18inequality_wrapperIZN2at6native12_GLOBAL__N_124unique_dim_cuda_templateIN3c108BFloat16EEESt5tupleIJNSH_6TensorESO_SO_EERKSO_lbbbEUlllE0_EEPmJS6_EEE10hipError_tPvRmT3_T4_T5_T6_T7_T9_mT8_P12ihipStream_tbDpT10_ENKUlT_T0_E_clISt17integral_constantIbLb0EES1E_EEDaS19_S1A_EUlS19_E_NS1_11comp_targetILNS1_3genE4ELNS1_11target_archE910ELNS1_3gpuE8ELNS1_3repE0EEENS1_30default_config_static_selectorELNS0_4arch9wavefront6targetE0EEEvT1_.num_vgpr, 0
	.set _ZN7rocprim17ROCPRIM_400000_NS6detail17trampoline_kernelINS0_14default_configENS1_25partition_config_selectorILNS1_17partition_subalgoE8ElNS0_10empty_typeEbEEZZNS1_14partition_implILS5_8ELb0ES3_jPlPS6_PKS6_NS0_5tupleIJS9_S6_EEENSD_IJSA_SA_EEENS0_18inequality_wrapperIZN2at6native12_GLOBAL__N_124unique_dim_cuda_templateIN3c108BFloat16EEESt5tupleIJNSH_6TensorESO_SO_EERKSO_lbbbEUlllE0_EEPmJS6_EEE10hipError_tPvRmT3_T4_T5_T6_T7_T9_mT8_P12ihipStream_tbDpT10_ENKUlT_T0_E_clISt17integral_constantIbLb0EES1E_EEDaS19_S1A_EUlS19_E_NS1_11comp_targetILNS1_3genE4ELNS1_11target_archE910ELNS1_3gpuE8ELNS1_3repE0EEENS1_30default_config_static_selectorELNS0_4arch9wavefront6targetE0EEEvT1_.num_agpr, 0
	.set _ZN7rocprim17ROCPRIM_400000_NS6detail17trampoline_kernelINS0_14default_configENS1_25partition_config_selectorILNS1_17partition_subalgoE8ElNS0_10empty_typeEbEEZZNS1_14partition_implILS5_8ELb0ES3_jPlPS6_PKS6_NS0_5tupleIJS9_S6_EEENSD_IJSA_SA_EEENS0_18inequality_wrapperIZN2at6native12_GLOBAL__N_124unique_dim_cuda_templateIN3c108BFloat16EEESt5tupleIJNSH_6TensorESO_SO_EERKSO_lbbbEUlllE0_EEPmJS6_EEE10hipError_tPvRmT3_T4_T5_T6_T7_T9_mT8_P12ihipStream_tbDpT10_ENKUlT_T0_E_clISt17integral_constantIbLb0EES1E_EEDaS19_S1A_EUlS19_E_NS1_11comp_targetILNS1_3genE4ELNS1_11target_archE910ELNS1_3gpuE8ELNS1_3repE0EEENS1_30default_config_static_selectorELNS0_4arch9wavefront6targetE0EEEvT1_.numbered_sgpr, 0
	.set _ZN7rocprim17ROCPRIM_400000_NS6detail17trampoline_kernelINS0_14default_configENS1_25partition_config_selectorILNS1_17partition_subalgoE8ElNS0_10empty_typeEbEEZZNS1_14partition_implILS5_8ELb0ES3_jPlPS6_PKS6_NS0_5tupleIJS9_S6_EEENSD_IJSA_SA_EEENS0_18inequality_wrapperIZN2at6native12_GLOBAL__N_124unique_dim_cuda_templateIN3c108BFloat16EEESt5tupleIJNSH_6TensorESO_SO_EERKSO_lbbbEUlllE0_EEPmJS6_EEE10hipError_tPvRmT3_T4_T5_T6_T7_T9_mT8_P12ihipStream_tbDpT10_ENKUlT_T0_E_clISt17integral_constantIbLb0EES1E_EEDaS19_S1A_EUlS19_E_NS1_11comp_targetILNS1_3genE4ELNS1_11target_archE910ELNS1_3gpuE8ELNS1_3repE0EEENS1_30default_config_static_selectorELNS0_4arch9wavefront6targetE0EEEvT1_.num_named_barrier, 0
	.set _ZN7rocprim17ROCPRIM_400000_NS6detail17trampoline_kernelINS0_14default_configENS1_25partition_config_selectorILNS1_17partition_subalgoE8ElNS0_10empty_typeEbEEZZNS1_14partition_implILS5_8ELb0ES3_jPlPS6_PKS6_NS0_5tupleIJS9_S6_EEENSD_IJSA_SA_EEENS0_18inequality_wrapperIZN2at6native12_GLOBAL__N_124unique_dim_cuda_templateIN3c108BFloat16EEESt5tupleIJNSH_6TensorESO_SO_EERKSO_lbbbEUlllE0_EEPmJS6_EEE10hipError_tPvRmT3_T4_T5_T6_T7_T9_mT8_P12ihipStream_tbDpT10_ENKUlT_T0_E_clISt17integral_constantIbLb0EES1E_EEDaS19_S1A_EUlS19_E_NS1_11comp_targetILNS1_3genE4ELNS1_11target_archE910ELNS1_3gpuE8ELNS1_3repE0EEENS1_30default_config_static_selectorELNS0_4arch9wavefront6targetE0EEEvT1_.private_seg_size, 0
	.set _ZN7rocprim17ROCPRIM_400000_NS6detail17trampoline_kernelINS0_14default_configENS1_25partition_config_selectorILNS1_17partition_subalgoE8ElNS0_10empty_typeEbEEZZNS1_14partition_implILS5_8ELb0ES3_jPlPS6_PKS6_NS0_5tupleIJS9_S6_EEENSD_IJSA_SA_EEENS0_18inequality_wrapperIZN2at6native12_GLOBAL__N_124unique_dim_cuda_templateIN3c108BFloat16EEESt5tupleIJNSH_6TensorESO_SO_EERKSO_lbbbEUlllE0_EEPmJS6_EEE10hipError_tPvRmT3_T4_T5_T6_T7_T9_mT8_P12ihipStream_tbDpT10_ENKUlT_T0_E_clISt17integral_constantIbLb0EES1E_EEDaS19_S1A_EUlS19_E_NS1_11comp_targetILNS1_3genE4ELNS1_11target_archE910ELNS1_3gpuE8ELNS1_3repE0EEENS1_30default_config_static_selectorELNS0_4arch9wavefront6targetE0EEEvT1_.uses_vcc, 0
	.set _ZN7rocprim17ROCPRIM_400000_NS6detail17trampoline_kernelINS0_14default_configENS1_25partition_config_selectorILNS1_17partition_subalgoE8ElNS0_10empty_typeEbEEZZNS1_14partition_implILS5_8ELb0ES3_jPlPS6_PKS6_NS0_5tupleIJS9_S6_EEENSD_IJSA_SA_EEENS0_18inequality_wrapperIZN2at6native12_GLOBAL__N_124unique_dim_cuda_templateIN3c108BFloat16EEESt5tupleIJNSH_6TensorESO_SO_EERKSO_lbbbEUlllE0_EEPmJS6_EEE10hipError_tPvRmT3_T4_T5_T6_T7_T9_mT8_P12ihipStream_tbDpT10_ENKUlT_T0_E_clISt17integral_constantIbLb0EES1E_EEDaS19_S1A_EUlS19_E_NS1_11comp_targetILNS1_3genE4ELNS1_11target_archE910ELNS1_3gpuE8ELNS1_3repE0EEENS1_30default_config_static_selectorELNS0_4arch9wavefront6targetE0EEEvT1_.uses_flat_scratch, 0
	.set _ZN7rocprim17ROCPRIM_400000_NS6detail17trampoline_kernelINS0_14default_configENS1_25partition_config_selectorILNS1_17partition_subalgoE8ElNS0_10empty_typeEbEEZZNS1_14partition_implILS5_8ELb0ES3_jPlPS6_PKS6_NS0_5tupleIJS9_S6_EEENSD_IJSA_SA_EEENS0_18inequality_wrapperIZN2at6native12_GLOBAL__N_124unique_dim_cuda_templateIN3c108BFloat16EEESt5tupleIJNSH_6TensorESO_SO_EERKSO_lbbbEUlllE0_EEPmJS6_EEE10hipError_tPvRmT3_T4_T5_T6_T7_T9_mT8_P12ihipStream_tbDpT10_ENKUlT_T0_E_clISt17integral_constantIbLb0EES1E_EEDaS19_S1A_EUlS19_E_NS1_11comp_targetILNS1_3genE4ELNS1_11target_archE910ELNS1_3gpuE8ELNS1_3repE0EEENS1_30default_config_static_selectorELNS0_4arch9wavefront6targetE0EEEvT1_.has_dyn_sized_stack, 0
	.set _ZN7rocprim17ROCPRIM_400000_NS6detail17trampoline_kernelINS0_14default_configENS1_25partition_config_selectorILNS1_17partition_subalgoE8ElNS0_10empty_typeEbEEZZNS1_14partition_implILS5_8ELb0ES3_jPlPS6_PKS6_NS0_5tupleIJS9_S6_EEENSD_IJSA_SA_EEENS0_18inequality_wrapperIZN2at6native12_GLOBAL__N_124unique_dim_cuda_templateIN3c108BFloat16EEESt5tupleIJNSH_6TensorESO_SO_EERKSO_lbbbEUlllE0_EEPmJS6_EEE10hipError_tPvRmT3_T4_T5_T6_T7_T9_mT8_P12ihipStream_tbDpT10_ENKUlT_T0_E_clISt17integral_constantIbLb0EES1E_EEDaS19_S1A_EUlS19_E_NS1_11comp_targetILNS1_3genE4ELNS1_11target_archE910ELNS1_3gpuE8ELNS1_3repE0EEENS1_30default_config_static_selectorELNS0_4arch9wavefront6targetE0EEEvT1_.has_recursion, 0
	.set _ZN7rocprim17ROCPRIM_400000_NS6detail17trampoline_kernelINS0_14default_configENS1_25partition_config_selectorILNS1_17partition_subalgoE8ElNS0_10empty_typeEbEEZZNS1_14partition_implILS5_8ELb0ES3_jPlPS6_PKS6_NS0_5tupleIJS9_S6_EEENSD_IJSA_SA_EEENS0_18inequality_wrapperIZN2at6native12_GLOBAL__N_124unique_dim_cuda_templateIN3c108BFloat16EEESt5tupleIJNSH_6TensorESO_SO_EERKSO_lbbbEUlllE0_EEPmJS6_EEE10hipError_tPvRmT3_T4_T5_T6_T7_T9_mT8_P12ihipStream_tbDpT10_ENKUlT_T0_E_clISt17integral_constantIbLb0EES1E_EEDaS19_S1A_EUlS19_E_NS1_11comp_targetILNS1_3genE4ELNS1_11target_archE910ELNS1_3gpuE8ELNS1_3repE0EEENS1_30default_config_static_selectorELNS0_4arch9wavefront6targetE0EEEvT1_.has_indirect_call, 0
	.section	.AMDGPU.csdata,"",@progbits
; Kernel info:
; codeLenInByte = 0
; TotalNumSgprs: 0
; NumVgprs: 0
; ScratchSize: 0
; MemoryBound: 0
; FloatMode: 240
; IeeeMode: 1
; LDSByteSize: 0 bytes/workgroup (compile time only)
; SGPRBlocks: 0
; VGPRBlocks: 0
; NumSGPRsForWavesPerEU: 1
; NumVGPRsForWavesPerEU: 1
; NamedBarCnt: 0
; Occupancy: 16
; WaveLimiterHint : 0
; COMPUTE_PGM_RSRC2:SCRATCH_EN: 0
; COMPUTE_PGM_RSRC2:USER_SGPR: 2
; COMPUTE_PGM_RSRC2:TRAP_HANDLER: 0
; COMPUTE_PGM_RSRC2:TGID_X_EN: 1
; COMPUTE_PGM_RSRC2:TGID_Y_EN: 0
; COMPUTE_PGM_RSRC2:TGID_Z_EN: 0
; COMPUTE_PGM_RSRC2:TIDIG_COMP_CNT: 0
	.section	.text._ZN7rocprim17ROCPRIM_400000_NS6detail17trampoline_kernelINS0_14default_configENS1_25partition_config_selectorILNS1_17partition_subalgoE8ElNS0_10empty_typeEbEEZZNS1_14partition_implILS5_8ELb0ES3_jPlPS6_PKS6_NS0_5tupleIJS9_S6_EEENSD_IJSA_SA_EEENS0_18inequality_wrapperIZN2at6native12_GLOBAL__N_124unique_dim_cuda_templateIN3c108BFloat16EEESt5tupleIJNSH_6TensorESO_SO_EERKSO_lbbbEUlllE0_EEPmJS6_EEE10hipError_tPvRmT3_T4_T5_T6_T7_T9_mT8_P12ihipStream_tbDpT10_ENKUlT_T0_E_clISt17integral_constantIbLb0EES1E_EEDaS19_S1A_EUlS19_E_NS1_11comp_targetILNS1_3genE3ELNS1_11target_archE908ELNS1_3gpuE7ELNS1_3repE0EEENS1_30default_config_static_selectorELNS0_4arch9wavefront6targetE0EEEvT1_,"axG",@progbits,_ZN7rocprim17ROCPRIM_400000_NS6detail17trampoline_kernelINS0_14default_configENS1_25partition_config_selectorILNS1_17partition_subalgoE8ElNS0_10empty_typeEbEEZZNS1_14partition_implILS5_8ELb0ES3_jPlPS6_PKS6_NS0_5tupleIJS9_S6_EEENSD_IJSA_SA_EEENS0_18inequality_wrapperIZN2at6native12_GLOBAL__N_124unique_dim_cuda_templateIN3c108BFloat16EEESt5tupleIJNSH_6TensorESO_SO_EERKSO_lbbbEUlllE0_EEPmJS6_EEE10hipError_tPvRmT3_T4_T5_T6_T7_T9_mT8_P12ihipStream_tbDpT10_ENKUlT_T0_E_clISt17integral_constantIbLb0EES1E_EEDaS19_S1A_EUlS19_E_NS1_11comp_targetILNS1_3genE3ELNS1_11target_archE908ELNS1_3gpuE7ELNS1_3repE0EEENS1_30default_config_static_selectorELNS0_4arch9wavefront6targetE0EEEvT1_,comdat
	.globl	_ZN7rocprim17ROCPRIM_400000_NS6detail17trampoline_kernelINS0_14default_configENS1_25partition_config_selectorILNS1_17partition_subalgoE8ElNS0_10empty_typeEbEEZZNS1_14partition_implILS5_8ELb0ES3_jPlPS6_PKS6_NS0_5tupleIJS9_S6_EEENSD_IJSA_SA_EEENS0_18inequality_wrapperIZN2at6native12_GLOBAL__N_124unique_dim_cuda_templateIN3c108BFloat16EEESt5tupleIJNSH_6TensorESO_SO_EERKSO_lbbbEUlllE0_EEPmJS6_EEE10hipError_tPvRmT3_T4_T5_T6_T7_T9_mT8_P12ihipStream_tbDpT10_ENKUlT_T0_E_clISt17integral_constantIbLb0EES1E_EEDaS19_S1A_EUlS19_E_NS1_11comp_targetILNS1_3genE3ELNS1_11target_archE908ELNS1_3gpuE7ELNS1_3repE0EEENS1_30default_config_static_selectorELNS0_4arch9wavefront6targetE0EEEvT1_ ; -- Begin function _ZN7rocprim17ROCPRIM_400000_NS6detail17trampoline_kernelINS0_14default_configENS1_25partition_config_selectorILNS1_17partition_subalgoE8ElNS0_10empty_typeEbEEZZNS1_14partition_implILS5_8ELb0ES3_jPlPS6_PKS6_NS0_5tupleIJS9_S6_EEENSD_IJSA_SA_EEENS0_18inequality_wrapperIZN2at6native12_GLOBAL__N_124unique_dim_cuda_templateIN3c108BFloat16EEESt5tupleIJNSH_6TensorESO_SO_EERKSO_lbbbEUlllE0_EEPmJS6_EEE10hipError_tPvRmT3_T4_T5_T6_T7_T9_mT8_P12ihipStream_tbDpT10_ENKUlT_T0_E_clISt17integral_constantIbLb0EES1E_EEDaS19_S1A_EUlS19_E_NS1_11comp_targetILNS1_3genE3ELNS1_11target_archE908ELNS1_3gpuE7ELNS1_3repE0EEENS1_30default_config_static_selectorELNS0_4arch9wavefront6targetE0EEEvT1_
	.p2align	8
	.type	_ZN7rocprim17ROCPRIM_400000_NS6detail17trampoline_kernelINS0_14default_configENS1_25partition_config_selectorILNS1_17partition_subalgoE8ElNS0_10empty_typeEbEEZZNS1_14partition_implILS5_8ELb0ES3_jPlPS6_PKS6_NS0_5tupleIJS9_S6_EEENSD_IJSA_SA_EEENS0_18inequality_wrapperIZN2at6native12_GLOBAL__N_124unique_dim_cuda_templateIN3c108BFloat16EEESt5tupleIJNSH_6TensorESO_SO_EERKSO_lbbbEUlllE0_EEPmJS6_EEE10hipError_tPvRmT3_T4_T5_T6_T7_T9_mT8_P12ihipStream_tbDpT10_ENKUlT_T0_E_clISt17integral_constantIbLb0EES1E_EEDaS19_S1A_EUlS19_E_NS1_11comp_targetILNS1_3genE3ELNS1_11target_archE908ELNS1_3gpuE7ELNS1_3repE0EEENS1_30default_config_static_selectorELNS0_4arch9wavefront6targetE0EEEvT1_,@function
_ZN7rocprim17ROCPRIM_400000_NS6detail17trampoline_kernelINS0_14default_configENS1_25partition_config_selectorILNS1_17partition_subalgoE8ElNS0_10empty_typeEbEEZZNS1_14partition_implILS5_8ELb0ES3_jPlPS6_PKS6_NS0_5tupleIJS9_S6_EEENSD_IJSA_SA_EEENS0_18inequality_wrapperIZN2at6native12_GLOBAL__N_124unique_dim_cuda_templateIN3c108BFloat16EEESt5tupleIJNSH_6TensorESO_SO_EERKSO_lbbbEUlllE0_EEPmJS6_EEE10hipError_tPvRmT3_T4_T5_T6_T7_T9_mT8_P12ihipStream_tbDpT10_ENKUlT_T0_E_clISt17integral_constantIbLb0EES1E_EEDaS19_S1A_EUlS19_E_NS1_11comp_targetILNS1_3genE3ELNS1_11target_archE908ELNS1_3gpuE7ELNS1_3repE0EEENS1_30default_config_static_selectorELNS0_4arch9wavefront6targetE0EEEvT1_: ; @_ZN7rocprim17ROCPRIM_400000_NS6detail17trampoline_kernelINS0_14default_configENS1_25partition_config_selectorILNS1_17partition_subalgoE8ElNS0_10empty_typeEbEEZZNS1_14partition_implILS5_8ELb0ES3_jPlPS6_PKS6_NS0_5tupleIJS9_S6_EEENSD_IJSA_SA_EEENS0_18inequality_wrapperIZN2at6native12_GLOBAL__N_124unique_dim_cuda_templateIN3c108BFloat16EEESt5tupleIJNSH_6TensorESO_SO_EERKSO_lbbbEUlllE0_EEPmJS6_EEE10hipError_tPvRmT3_T4_T5_T6_T7_T9_mT8_P12ihipStream_tbDpT10_ENKUlT_T0_E_clISt17integral_constantIbLb0EES1E_EEDaS19_S1A_EUlS19_E_NS1_11comp_targetILNS1_3genE3ELNS1_11target_archE908ELNS1_3gpuE7ELNS1_3repE0EEENS1_30default_config_static_selectorELNS0_4arch9wavefront6targetE0EEEvT1_
; %bb.0:
	.section	.rodata,"a",@progbits
	.p2align	6, 0x0
	.amdhsa_kernel _ZN7rocprim17ROCPRIM_400000_NS6detail17trampoline_kernelINS0_14default_configENS1_25partition_config_selectorILNS1_17partition_subalgoE8ElNS0_10empty_typeEbEEZZNS1_14partition_implILS5_8ELb0ES3_jPlPS6_PKS6_NS0_5tupleIJS9_S6_EEENSD_IJSA_SA_EEENS0_18inequality_wrapperIZN2at6native12_GLOBAL__N_124unique_dim_cuda_templateIN3c108BFloat16EEESt5tupleIJNSH_6TensorESO_SO_EERKSO_lbbbEUlllE0_EEPmJS6_EEE10hipError_tPvRmT3_T4_T5_T6_T7_T9_mT8_P12ihipStream_tbDpT10_ENKUlT_T0_E_clISt17integral_constantIbLb0EES1E_EEDaS19_S1A_EUlS19_E_NS1_11comp_targetILNS1_3genE3ELNS1_11target_archE908ELNS1_3gpuE7ELNS1_3repE0EEENS1_30default_config_static_selectorELNS0_4arch9wavefront6targetE0EEEvT1_
		.amdhsa_group_segment_fixed_size 0
		.amdhsa_private_segment_fixed_size 0
		.amdhsa_kernarg_size 120
		.amdhsa_user_sgpr_count 2
		.amdhsa_user_sgpr_dispatch_ptr 0
		.amdhsa_user_sgpr_queue_ptr 0
		.amdhsa_user_sgpr_kernarg_segment_ptr 1
		.amdhsa_user_sgpr_dispatch_id 0
		.amdhsa_user_sgpr_kernarg_preload_length 0
		.amdhsa_user_sgpr_kernarg_preload_offset 0
		.amdhsa_user_sgpr_private_segment_size 0
		.amdhsa_wavefront_size32 1
		.amdhsa_uses_dynamic_stack 0
		.amdhsa_enable_private_segment 0
		.amdhsa_system_sgpr_workgroup_id_x 1
		.amdhsa_system_sgpr_workgroup_id_y 0
		.amdhsa_system_sgpr_workgroup_id_z 0
		.amdhsa_system_sgpr_workgroup_info 0
		.amdhsa_system_vgpr_workitem_id 0
		.amdhsa_next_free_vgpr 1
		.amdhsa_next_free_sgpr 1
		.amdhsa_named_barrier_count 0
		.amdhsa_reserve_vcc 0
		.amdhsa_float_round_mode_32 0
		.amdhsa_float_round_mode_16_64 0
		.amdhsa_float_denorm_mode_32 3
		.amdhsa_float_denorm_mode_16_64 3
		.amdhsa_fp16_overflow 0
		.amdhsa_memory_ordered 1
		.amdhsa_forward_progress 1
		.amdhsa_inst_pref_size 0
		.amdhsa_round_robin_scheduling 0
		.amdhsa_exception_fp_ieee_invalid_op 0
		.amdhsa_exception_fp_denorm_src 0
		.amdhsa_exception_fp_ieee_div_zero 0
		.amdhsa_exception_fp_ieee_overflow 0
		.amdhsa_exception_fp_ieee_underflow 0
		.amdhsa_exception_fp_ieee_inexact 0
		.amdhsa_exception_int_div_zero 0
	.end_amdhsa_kernel
	.section	.text._ZN7rocprim17ROCPRIM_400000_NS6detail17trampoline_kernelINS0_14default_configENS1_25partition_config_selectorILNS1_17partition_subalgoE8ElNS0_10empty_typeEbEEZZNS1_14partition_implILS5_8ELb0ES3_jPlPS6_PKS6_NS0_5tupleIJS9_S6_EEENSD_IJSA_SA_EEENS0_18inequality_wrapperIZN2at6native12_GLOBAL__N_124unique_dim_cuda_templateIN3c108BFloat16EEESt5tupleIJNSH_6TensorESO_SO_EERKSO_lbbbEUlllE0_EEPmJS6_EEE10hipError_tPvRmT3_T4_T5_T6_T7_T9_mT8_P12ihipStream_tbDpT10_ENKUlT_T0_E_clISt17integral_constantIbLb0EES1E_EEDaS19_S1A_EUlS19_E_NS1_11comp_targetILNS1_3genE3ELNS1_11target_archE908ELNS1_3gpuE7ELNS1_3repE0EEENS1_30default_config_static_selectorELNS0_4arch9wavefront6targetE0EEEvT1_,"axG",@progbits,_ZN7rocprim17ROCPRIM_400000_NS6detail17trampoline_kernelINS0_14default_configENS1_25partition_config_selectorILNS1_17partition_subalgoE8ElNS0_10empty_typeEbEEZZNS1_14partition_implILS5_8ELb0ES3_jPlPS6_PKS6_NS0_5tupleIJS9_S6_EEENSD_IJSA_SA_EEENS0_18inequality_wrapperIZN2at6native12_GLOBAL__N_124unique_dim_cuda_templateIN3c108BFloat16EEESt5tupleIJNSH_6TensorESO_SO_EERKSO_lbbbEUlllE0_EEPmJS6_EEE10hipError_tPvRmT3_T4_T5_T6_T7_T9_mT8_P12ihipStream_tbDpT10_ENKUlT_T0_E_clISt17integral_constantIbLb0EES1E_EEDaS19_S1A_EUlS19_E_NS1_11comp_targetILNS1_3genE3ELNS1_11target_archE908ELNS1_3gpuE7ELNS1_3repE0EEENS1_30default_config_static_selectorELNS0_4arch9wavefront6targetE0EEEvT1_,comdat
.Lfunc_end1177:
	.size	_ZN7rocprim17ROCPRIM_400000_NS6detail17trampoline_kernelINS0_14default_configENS1_25partition_config_selectorILNS1_17partition_subalgoE8ElNS0_10empty_typeEbEEZZNS1_14partition_implILS5_8ELb0ES3_jPlPS6_PKS6_NS0_5tupleIJS9_S6_EEENSD_IJSA_SA_EEENS0_18inequality_wrapperIZN2at6native12_GLOBAL__N_124unique_dim_cuda_templateIN3c108BFloat16EEESt5tupleIJNSH_6TensorESO_SO_EERKSO_lbbbEUlllE0_EEPmJS6_EEE10hipError_tPvRmT3_T4_T5_T6_T7_T9_mT8_P12ihipStream_tbDpT10_ENKUlT_T0_E_clISt17integral_constantIbLb0EES1E_EEDaS19_S1A_EUlS19_E_NS1_11comp_targetILNS1_3genE3ELNS1_11target_archE908ELNS1_3gpuE7ELNS1_3repE0EEENS1_30default_config_static_selectorELNS0_4arch9wavefront6targetE0EEEvT1_, .Lfunc_end1177-_ZN7rocprim17ROCPRIM_400000_NS6detail17trampoline_kernelINS0_14default_configENS1_25partition_config_selectorILNS1_17partition_subalgoE8ElNS0_10empty_typeEbEEZZNS1_14partition_implILS5_8ELb0ES3_jPlPS6_PKS6_NS0_5tupleIJS9_S6_EEENSD_IJSA_SA_EEENS0_18inequality_wrapperIZN2at6native12_GLOBAL__N_124unique_dim_cuda_templateIN3c108BFloat16EEESt5tupleIJNSH_6TensorESO_SO_EERKSO_lbbbEUlllE0_EEPmJS6_EEE10hipError_tPvRmT3_T4_T5_T6_T7_T9_mT8_P12ihipStream_tbDpT10_ENKUlT_T0_E_clISt17integral_constantIbLb0EES1E_EEDaS19_S1A_EUlS19_E_NS1_11comp_targetILNS1_3genE3ELNS1_11target_archE908ELNS1_3gpuE7ELNS1_3repE0EEENS1_30default_config_static_selectorELNS0_4arch9wavefront6targetE0EEEvT1_
                                        ; -- End function
	.set _ZN7rocprim17ROCPRIM_400000_NS6detail17trampoline_kernelINS0_14default_configENS1_25partition_config_selectorILNS1_17partition_subalgoE8ElNS0_10empty_typeEbEEZZNS1_14partition_implILS5_8ELb0ES3_jPlPS6_PKS6_NS0_5tupleIJS9_S6_EEENSD_IJSA_SA_EEENS0_18inequality_wrapperIZN2at6native12_GLOBAL__N_124unique_dim_cuda_templateIN3c108BFloat16EEESt5tupleIJNSH_6TensorESO_SO_EERKSO_lbbbEUlllE0_EEPmJS6_EEE10hipError_tPvRmT3_T4_T5_T6_T7_T9_mT8_P12ihipStream_tbDpT10_ENKUlT_T0_E_clISt17integral_constantIbLb0EES1E_EEDaS19_S1A_EUlS19_E_NS1_11comp_targetILNS1_3genE3ELNS1_11target_archE908ELNS1_3gpuE7ELNS1_3repE0EEENS1_30default_config_static_selectorELNS0_4arch9wavefront6targetE0EEEvT1_.num_vgpr, 0
	.set _ZN7rocprim17ROCPRIM_400000_NS6detail17trampoline_kernelINS0_14default_configENS1_25partition_config_selectorILNS1_17partition_subalgoE8ElNS0_10empty_typeEbEEZZNS1_14partition_implILS5_8ELb0ES3_jPlPS6_PKS6_NS0_5tupleIJS9_S6_EEENSD_IJSA_SA_EEENS0_18inequality_wrapperIZN2at6native12_GLOBAL__N_124unique_dim_cuda_templateIN3c108BFloat16EEESt5tupleIJNSH_6TensorESO_SO_EERKSO_lbbbEUlllE0_EEPmJS6_EEE10hipError_tPvRmT3_T4_T5_T6_T7_T9_mT8_P12ihipStream_tbDpT10_ENKUlT_T0_E_clISt17integral_constantIbLb0EES1E_EEDaS19_S1A_EUlS19_E_NS1_11comp_targetILNS1_3genE3ELNS1_11target_archE908ELNS1_3gpuE7ELNS1_3repE0EEENS1_30default_config_static_selectorELNS0_4arch9wavefront6targetE0EEEvT1_.num_agpr, 0
	.set _ZN7rocprim17ROCPRIM_400000_NS6detail17trampoline_kernelINS0_14default_configENS1_25partition_config_selectorILNS1_17partition_subalgoE8ElNS0_10empty_typeEbEEZZNS1_14partition_implILS5_8ELb0ES3_jPlPS6_PKS6_NS0_5tupleIJS9_S6_EEENSD_IJSA_SA_EEENS0_18inequality_wrapperIZN2at6native12_GLOBAL__N_124unique_dim_cuda_templateIN3c108BFloat16EEESt5tupleIJNSH_6TensorESO_SO_EERKSO_lbbbEUlllE0_EEPmJS6_EEE10hipError_tPvRmT3_T4_T5_T6_T7_T9_mT8_P12ihipStream_tbDpT10_ENKUlT_T0_E_clISt17integral_constantIbLb0EES1E_EEDaS19_S1A_EUlS19_E_NS1_11comp_targetILNS1_3genE3ELNS1_11target_archE908ELNS1_3gpuE7ELNS1_3repE0EEENS1_30default_config_static_selectorELNS0_4arch9wavefront6targetE0EEEvT1_.numbered_sgpr, 0
	.set _ZN7rocprim17ROCPRIM_400000_NS6detail17trampoline_kernelINS0_14default_configENS1_25partition_config_selectorILNS1_17partition_subalgoE8ElNS0_10empty_typeEbEEZZNS1_14partition_implILS5_8ELb0ES3_jPlPS6_PKS6_NS0_5tupleIJS9_S6_EEENSD_IJSA_SA_EEENS0_18inequality_wrapperIZN2at6native12_GLOBAL__N_124unique_dim_cuda_templateIN3c108BFloat16EEESt5tupleIJNSH_6TensorESO_SO_EERKSO_lbbbEUlllE0_EEPmJS6_EEE10hipError_tPvRmT3_T4_T5_T6_T7_T9_mT8_P12ihipStream_tbDpT10_ENKUlT_T0_E_clISt17integral_constantIbLb0EES1E_EEDaS19_S1A_EUlS19_E_NS1_11comp_targetILNS1_3genE3ELNS1_11target_archE908ELNS1_3gpuE7ELNS1_3repE0EEENS1_30default_config_static_selectorELNS0_4arch9wavefront6targetE0EEEvT1_.num_named_barrier, 0
	.set _ZN7rocprim17ROCPRIM_400000_NS6detail17trampoline_kernelINS0_14default_configENS1_25partition_config_selectorILNS1_17partition_subalgoE8ElNS0_10empty_typeEbEEZZNS1_14partition_implILS5_8ELb0ES3_jPlPS6_PKS6_NS0_5tupleIJS9_S6_EEENSD_IJSA_SA_EEENS0_18inequality_wrapperIZN2at6native12_GLOBAL__N_124unique_dim_cuda_templateIN3c108BFloat16EEESt5tupleIJNSH_6TensorESO_SO_EERKSO_lbbbEUlllE0_EEPmJS6_EEE10hipError_tPvRmT3_T4_T5_T6_T7_T9_mT8_P12ihipStream_tbDpT10_ENKUlT_T0_E_clISt17integral_constantIbLb0EES1E_EEDaS19_S1A_EUlS19_E_NS1_11comp_targetILNS1_3genE3ELNS1_11target_archE908ELNS1_3gpuE7ELNS1_3repE0EEENS1_30default_config_static_selectorELNS0_4arch9wavefront6targetE0EEEvT1_.private_seg_size, 0
	.set _ZN7rocprim17ROCPRIM_400000_NS6detail17trampoline_kernelINS0_14default_configENS1_25partition_config_selectorILNS1_17partition_subalgoE8ElNS0_10empty_typeEbEEZZNS1_14partition_implILS5_8ELb0ES3_jPlPS6_PKS6_NS0_5tupleIJS9_S6_EEENSD_IJSA_SA_EEENS0_18inequality_wrapperIZN2at6native12_GLOBAL__N_124unique_dim_cuda_templateIN3c108BFloat16EEESt5tupleIJNSH_6TensorESO_SO_EERKSO_lbbbEUlllE0_EEPmJS6_EEE10hipError_tPvRmT3_T4_T5_T6_T7_T9_mT8_P12ihipStream_tbDpT10_ENKUlT_T0_E_clISt17integral_constantIbLb0EES1E_EEDaS19_S1A_EUlS19_E_NS1_11comp_targetILNS1_3genE3ELNS1_11target_archE908ELNS1_3gpuE7ELNS1_3repE0EEENS1_30default_config_static_selectorELNS0_4arch9wavefront6targetE0EEEvT1_.uses_vcc, 0
	.set _ZN7rocprim17ROCPRIM_400000_NS6detail17trampoline_kernelINS0_14default_configENS1_25partition_config_selectorILNS1_17partition_subalgoE8ElNS0_10empty_typeEbEEZZNS1_14partition_implILS5_8ELb0ES3_jPlPS6_PKS6_NS0_5tupleIJS9_S6_EEENSD_IJSA_SA_EEENS0_18inequality_wrapperIZN2at6native12_GLOBAL__N_124unique_dim_cuda_templateIN3c108BFloat16EEESt5tupleIJNSH_6TensorESO_SO_EERKSO_lbbbEUlllE0_EEPmJS6_EEE10hipError_tPvRmT3_T4_T5_T6_T7_T9_mT8_P12ihipStream_tbDpT10_ENKUlT_T0_E_clISt17integral_constantIbLb0EES1E_EEDaS19_S1A_EUlS19_E_NS1_11comp_targetILNS1_3genE3ELNS1_11target_archE908ELNS1_3gpuE7ELNS1_3repE0EEENS1_30default_config_static_selectorELNS0_4arch9wavefront6targetE0EEEvT1_.uses_flat_scratch, 0
	.set _ZN7rocprim17ROCPRIM_400000_NS6detail17trampoline_kernelINS0_14default_configENS1_25partition_config_selectorILNS1_17partition_subalgoE8ElNS0_10empty_typeEbEEZZNS1_14partition_implILS5_8ELb0ES3_jPlPS6_PKS6_NS0_5tupleIJS9_S6_EEENSD_IJSA_SA_EEENS0_18inequality_wrapperIZN2at6native12_GLOBAL__N_124unique_dim_cuda_templateIN3c108BFloat16EEESt5tupleIJNSH_6TensorESO_SO_EERKSO_lbbbEUlllE0_EEPmJS6_EEE10hipError_tPvRmT3_T4_T5_T6_T7_T9_mT8_P12ihipStream_tbDpT10_ENKUlT_T0_E_clISt17integral_constantIbLb0EES1E_EEDaS19_S1A_EUlS19_E_NS1_11comp_targetILNS1_3genE3ELNS1_11target_archE908ELNS1_3gpuE7ELNS1_3repE0EEENS1_30default_config_static_selectorELNS0_4arch9wavefront6targetE0EEEvT1_.has_dyn_sized_stack, 0
	.set _ZN7rocprim17ROCPRIM_400000_NS6detail17trampoline_kernelINS0_14default_configENS1_25partition_config_selectorILNS1_17partition_subalgoE8ElNS0_10empty_typeEbEEZZNS1_14partition_implILS5_8ELb0ES3_jPlPS6_PKS6_NS0_5tupleIJS9_S6_EEENSD_IJSA_SA_EEENS0_18inequality_wrapperIZN2at6native12_GLOBAL__N_124unique_dim_cuda_templateIN3c108BFloat16EEESt5tupleIJNSH_6TensorESO_SO_EERKSO_lbbbEUlllE0_EEPmJS6_EEE10hipError_tPvRmT3_T4_T5_T6_T7_T9_mT8_P12ihipStream_tbDpT10_ENKUlT_T0_E_clISt17integral_constantIbLb0EES1E_EEDaS19_S1A_EUlS19_E_NS1_11comp_targetILNS1_3genE3ELNS1_11target_archE908ELNS1_3gpuE7ELNS1_3repE0EEENS1_30default_config_static_selectorELNS0_4arch9wavefront6targetE0EEEvT1_.has_recursion, 0
	.set _ZN7rocprim17ROCPRIM_400000_NS6detail17trampoline_kernelINS0_14default_configENS1_25partition_config_selectorILNS1_17partition_subalgoE8ElNS0_10empty_typeEbEEZZNS1_14partition_implILS5_8ELb0ES3_jPlPS6_PKS6_NS0_5tupleIJS9_S6_EEENSD_IJSA_SA_EEENS0_18inequality_wrapperIZN2at6native12_GLOBAL__N_124unique_dim_cuda_templateIN3c108BFloat16EEESt5tupleIJNSH_6TensorESO_SO_EERKSO_lbbbEUlllE0_EEPmJS6_EEE10hipError_tPvRmT3_T4_T5_T6_T7_T9_mT8_P12ihipStream_tbDpT10_ENKUlT_T0_E_clISt17integral_constantIbLb0EES1E_EEDaS19_S1A_EUlS19_E_NS1_11comp_targetILNS1_3genE3ELNS1_11target_archE908ELNS1_3gpuE7ELNS1_3repE0EEENS1_30default_config_static_selectorELNS0_4arch9wavefront6targetE0EEEvT1_.has_indirect_call, 0
	.section	.AMDGPU.csdata,"",@progbits
; Kernel info:
; codeLenInByte = 0
; TotalNumSgprs: 0
; NumVgprs: 0
; ScratchSize: 0
; MemoryBound: 0
; FloatMode: 240
; IeeeMode: 1
; LDSByteSize: 0 bytes/workgroup (compile time only)
; SGPRBlocks: 0
; VGPRBlocks: 0
; NumSGPRsForWavesPerEU: 1
; NumVGPRsForWavesPerEU: 1
; NamedBarCnt: 0
; Occupancy: 16
; WaveLimiterHint : 0
; COMPUTE_PGM_RSRC2:SCRATCH_EN: 0
; COMPUTE_PGM_RSRC2:USER_SGPR: 2
; COMPUTE_PGM_RSRC2:TRAP_HANDLER: 0
; COMPUTE_PGM_RSRC2:TGID_X_EN: 1
; COMPUTE_PGM_RSRC2:TGID_Y_EN: 0
; COMPUTE_PGM_RSRC2:TGID_Z_EN: 0
; COMPUTE_PGM_RSRC2:TIDIG_COMP_CNT: 0
	.section	.text._ZN7rocprim17ROCPRIM_400000_NS6detail17trampoline_kernelINS0_14default_configENS1_25partition_config_selectorILNS1_17partition_subalgoE8ElNS0_10empty_typeEbEEZZNS1_14partition_implILS5_8ELb0ES3_jPlPS6_PKS6_NS0_5tupleIJS9_S6_EEENSD_IJSA_SA_EEENS0_18inequality_wrapperIZN2at6native12_GLOBAL__N_124unique_dim_cuda_templateIN3c108BFloat16EEESt5tupleIJNSH_6TensorESO_SO_EERKSO_lbbbEUlllE0_EEPmJS6_EEE10hipError_tPvRmT3_T4_T5_T6_T7_T9_mT8_P12ihipStream_tbDpT10_ENKUlT_T0_E_clISt17integral_constantIbLb0EES1E_EEDaS19_S1A_EUlS19_E_NS1_11comp_targetILNS1_3genE2ELNS1_11target_archE906ELNS1_3gpuE6ELNS1_3repE0EEENS1_30default_config_static_selectorELNS0_4arch9wavefront6targetE0EEEvT1_,"axG",@progbits,_ZN7rocprim17ROCPRIM_400000_NS6detail17trampoline_kernelINS0_14default_configENS1_25partition_config_selectorILNS1_17partition_subalgoE8ElNS0_10empty_typeEbEEZZNS1_14partition_implILS5_8ELb0ES3_jPlPS6_PKS6_NS0_5tupleIJS9_S6_EEENSD_IJSA_SA_EEENS0_18inequality_wrapperIZN2at6native12_GLOBAL__N_124unique_dim_cuda_templateIN3c108BFloat16EEESt5tupleIJNSH_6TensorESO_SO_EERKSO_lbbbEUlllE0_EEPmJS6_EEE10hipError_tPvRmT3_T4_T5_T6_T7_T9_mT8_P12ihipStream_tbDpT10_ENKUlT_T0_E_clISt17integral_constantIbLb0EES1E_EEDaS19_S1A_EUlS19_E_NS1_11comp_targetILNS1_3genE2ELNS1_11target_archE906ELNS1_3gpuE6ELNS1_3repE0EEENS1_30default_config_static_selectorELNS0_4arch9wavefront6targetE0EEEvT1_,comdat
	.globl	_ZN7rocprim17ROCPRIM_400000_NS6detail17trampoline_kernelINS0_14default_configENS1_25partition_config_selectorILNS1_17partition_subalgoE8ElNS0_10empty_typeEbEEZZNS1_14partition_implILS5_8ELb0ES3_jPlPS6_PKS6_NS0_5tupleIJS9_S6_EEENSD_IJSA_SA_EEENS0_18inequality_wrapperIZN2at6native12_GLOBAL__N_124unique_dim_cuda_templateIN3c108BFloat16EEESt5tupleIJNSH_6TensorESO_SO_EERKSO_lbbbEUlllE0_EEPmJS6_EEE10hipError_tPvRmT3_T4_T5_T6_T7_T9_mT8_P12ihipStream_tbDpT10_ENKUlT_T0_E_clISt17integral_constantIbLb0EES1E_EEDaS19_S1A_EUlS19_E_NS1_11comp_targetILNS1_3genE2ELNS1_11target_archE906ELNS1_3gpuE6ELNS1_3repE0EEENS1_30default_config_static_selectorELNS0_4arch9wavefront6targetE0EEEvT1_ ; -- Begin function _ZN7rocprim17ROCPRIM_400000_NS6detail17trampoline_kernelINS0_14default_configENS1_25partition_config_selectorILNS1_17partition_subalgoE8ElNS0_10empty_typeEbEEZZNS1_14partition_implILS5_8ELb0ES3_jPlPS6_PKS6_NS0_5tupleIJS9_S6_EEENSD_IJSA_SA_EEENS0_18inequality_wrapperIZN2at6native12_GLOBAL__N_124unique_dim_cuda_templateIN3c108BFloat16EEESt5tupleIJNSH_6TensorESO_SO_EERKSO_lbbbEUlllE0_EEPmJS6_EEE10hipError_tPvRmT3_T4_T5_T6_T7_T9_mT8_P12ihipStream_tbDpT10_ENKUlT_T0_E_clISt17integral_constantIbLb0EES1E_EEDaS19_S1A_EUlS19_E_NS1_11comp_targetILNS1_3genE2ELNS1_11target_archE906ELNS1_3gpuE6ELNS1_3repE0EEENS1_30default_config_static_selectorELNS0_4arch9wavefront6targetE0EEEvT1_
	.p2align	8
	.type	_ZN7rocprim17ROCPRIM_400000_NS6detail17trampoline_kernelINS0_14default_configENS1_25partition_config_selectorILNS1_17partition_subalgoE8ElNS0_10empty_typeEbEEZZNS1_14partition_implILS5_8ELb0ES3_jPlPS6_PKS6_NS0_5tupleIJS9_S6_EEENSD_IJSA_SA_EEENS0_18inequality_wrapperIZN2at6native12_GLOBAL__N_124unique_dim_cuda_templateIN3c108BFloat16EEESt5tupleIJNSH_6TensorESO_SO_EERKSO_lbbbEUlllE0_EEPmJS6_EEE10hipError_tPvRmT3_T4_T5_T6_T7_T9_mT8_P12ihipStream_tbDpT10_ENKUlT_T0_E_clISt17integral_constantIbLb0EES1E_EEDaS19_S1A_EUlS19_E_NS1_11comp_targetILNS1_3genE2ELNS1_11target_archE906ELNS1_3gpuE6ELNS1_3repE0EEENS1_30default_config_static_selectorELNS0_4arch9wavefront6targetE0EEEvT1_,@function
_ZN7rocprim17ROCPRIM_400000_NS6detail17trampoline_kernelINS0_14default_configENS1_25partition_config_selectorILNS1_17partition_subalgoE8ElNS0_10empty_typeEbEEZZNS1_14partition_implILS5_8ELb0ES3_jPlPS6_PKS6_NS0_5tupleIJS9_S6_EEENSD_IJSA_SA_EEENS0_18inequality_wrapperIZN2at6native12_GLOBAL__N_124unique_dim_cuda_templateIN3c108BFloat16EEESt5tupleIJNSH_6TensorESO_SO_EERKSO_lbbbEUlllE0_EEPmJS6_EEE10hipError_tPvRmT3_T4_T5_T6_T7_T9_mT8_P12ihipStream_tbDpT10_ENKUlT_T0_E_clISt17integral_constantIbLb0EES1E_EEDaS19_S1A_EUlS19_E_NS1_11comp_targetILNS1_3genE2ELNS1_11target_archE906ELNS1_3gpuE6ELNS1_3repE0EEENS1_30default_config_static_selectorELNS0_4arch9wavefront6targetE0EEEvT1_: ; @_ZN7rocprim17ROCPRIM_400000_NS6detail17trampoline_kernelINS0_14default_configENS1_25partition_config_selectorILNS1_17partition_subalgoE8ElNS0_10empty_typeEbEEZZNS1_14partition_implILS5_8ELb0ES3_jPlPS6_PKS6_NS0_5tupleIJS9_S6_EEENSD_IJSA_SA_EEENS0_18inequality_wrapperIZN2at6native12_GLOBAL__N_124unique_dim_cuda_templateIN3c108BFloat16EEESt5tupleIJNSH_6TensorESO_SO_EERKSO_lbbbEUlllE0_EEPmJS6_EEE10hipError_tPvRmT3_T4_T5_T6_T7_T9_mT8_P12ihipStream_tbDpT10_ENKUlT_T0_E_clISt17integral_constantIbLb0EES1E_EEDaS19_S1A_EUlS19_E_NS1_11comp_targetILNS1_3genE2ELNS1_11target_archE906ELNS1_3gpuE6ELNS1_3repE0EEENS1_30default_config_static_selectorELNS0_4arch9wavefront6targetE0EEEvT1_
; %bb.0:
	.section	.rodata,"a",@progbits
	.p2align	6, 0x0
	.amdhsa_kernel _ZN7rocprim17ROCPRIM_400000_NS6detail17trampoline_kernelINS0_14default_configENS1_25partition_config_selectorILNS1_17partition_subalgoE8ElNS0_10empty_typeEbEEZZNS1_14partition_implILS5_8ELb0ES3_jPlPS6_PKS6_NS0_5tupleIJS9_S6_EEENSD_IJSA_SA_EEENS0_18inequality_wrapperIZN2at6native12_GLOBAL__N_124unique_dim_cuda_templateIN3c108BFloat16EEESt5tupleIJNSH_6TensorESO_SO_EERKSO_lbbbEUlllE0_EEPmJS6_EEE10hipError_tPvRmT3_T4_T5_T6_T7_T9_mT8_P12ihipStream_tbDpT10_ENKUlT_T0_E_clISt17integral_constantIbLb0EES1E_EEDaS19_S1A_EUlS19_E_NS1_11comp_targetILNS1_3genE2ELNS1_11target_archE906ELNS1_3gpuE6ELNS1_3repE0EEENS1_30default_config_static_selectorELNS0_4arch9wavefront6targetE0EEEvT1_
		.amdhsa_group_segment_fixed_size 0
		.amdhsa_private_segment_fixed_size 0
		.amdhsa_kernarg_size 120
		.amdhsa_user_sgpr_count 2
		.amdhsa_user_sgpr_dispatch_ptr 0
		.amdhsa_user_sgpr_queue_ptr 0
		.amdhsa_user_sgpr_kernarg_segment_ptr 1
		.amdhsa_user_sgpr_dispatch_id 0
		.amdhsa_user_sgpr_kernarg_preload_length 0
		.amdhsa_user_sgpr_kernarg_preload_offset 0
		.amdhsa_user_sgpr_private_segment_size 0
		.amdhsa_wavefront_size32 1
		.amdhsa_uses_dynamic_stack 0
		.amdhsa_enable_private_segment 0
		.amdhsa_system_sgpr_workgroup_id_x 1
		.amdhsa_system_sgpr_workgroup_id_y 0
		.amdhsa_system_sgpr_workgroup_id_z 0
		.amdhsa_system_sgpr_workgroup_info 0
		.amdhsa_system_vgpr_workitem_id 0
		.amdhsa_next_free_vgpr 1
		.amdhsa_next_free_sgpr 1
		.amdhsa_named_barrier_count 0
		.amdhsa_reserve_vcc 0
		.amdhsa_float_round_mode_32 0
		.amdhsa_float_round_mode_16_64 0
		.amdhsa_float_denorm_mode_32 3
		.amdhsa_float_denorm_mode_16_64 3
		.amdhsa_fp16_overflow 0
		.amdhsa_memory_ordered 1
		.amdhsa_forward_progress 1
		.amdhsa_inst_pref_size 0
		.amdhsa_round_robin_scheduling 0
		.amdhsa_exception_fp_ieee_invalid_op 0
		.amdhsa_exception_fp_denorm_src 0
		.amdhsa_exception_fp_ieee_div_zero 0
		.amdhsa_exception_fp_ieee_overflow 0
		.amdhsa_exception_fp_ieee_underflow 0
		.amdhsa_exception_fp_ieee_inexact 0
		.amdhsa_exception_int_div_zero 0
	.end_amdhsa_kernel
	.section	.text._ZN7rocprim17ROCPRIM_400000_NS6detail17trampoline_kernelINS0_14default_configENS1_25partition_config_selectorILNS1_17partition_subalgoE8ElNS0_10empty_typeEbEEZZNS1_14partition_implILS5_8ELb0ES3_jPlPS6_PKS6_NS0_5tupleIJS9_S6_EEENSD_IJSA_SA_EEENS0_18inequality_wrapperIZN2at6native12_GLOBAL__N_124unique_dim_cuda_templateIN3c108BFloat16EEESt5tupleIJNSH_6TensorESO_SO_EERKSO_lbbbEUlllE0_EEPmJS6_EEE10hipError_tPvRmT3_T4_T5_T6_T7_T9_mT8_P12ihipStream_tbDpT10_ENKUlT_T0_E_clISt17integral_constantIbLb0EES1E_EEDaS19_S1A_EUlS19_E_NS1_11comp_targetILNS1_3genE2ELNS1_11target_archE906ELNS1_3gpuE6ELNS1_3repE0EEENS1_30default_config_static_selectorELNS0_4arch9wavefront6targetE0EEEvT1_,"axG",@progbits,_ZN7rocprim17ROCPRIM_400000_NS6detail17trampoline_kernelINS0_14default_configENS1_25partition_config_selectorILNS1_17partition_subalgoE8ElNS0_10empty_typeEbEEZZNS1_14partition_implILS5_8ELb0ES3_jPlPS6_PKS6_NS0_5tupleIJS9_S6_EEENSD_IJSA_SA_EEENS0_18inequality_wrapperIZN2at6native12_GLOBAL__N_124unique_dim_cuda_templateIN3c108BFloat16EEESt5tupleIJNSH_6TensorESO_SO_EERKSO_lbbbEUlllE0_EEPmJS6_EEE10hipError_tPvRmT3_T4_T5_T6_T7_T9_mT8_P12ihipStream_tbDpT10_ENKUlT_T0_E_clISt17integral_constantIbLb0EES1E_EEDaS19_S1A_EUlS19_E_NS1_11comp_targetILNS1_3genE2ELNS1_11target_archE906ELNS1_3gpuE6ELNS1_3repE0EEENS1_30default_config_static_selectorELNS0_4arch9wavefront6targetE0EEEvT1_,comdat
.Lfunc_end1178:
	.size	_ZN7rocprim17ROCPRIM_400000_NS6detail17trampoline_kernelINS0_14default_configENS1_25partition_config_selectorILNS1_17partition_subalgoE8ElNS0_10empty_typeEbEEZZNS1_14partition_implILS5_8ELb0ES3_jPlPS6_PKS6_NS0_5tupleIJS9_S6_EEENSD_IJSA_SA_EEENS0_18inequality_wrapperIZN2at6native12_GLOBAL__N_124unique_dim_cuda_templateIN3c108BFloat16EEESt5tupleIJNSH_6TensorESO_SO_EERKSO_lbbbEUlllE0_EEPmJS6_EEE10hipError_tPvRmT3_T4_T5_T6_T7_T9_mT8_P12ihipStream_tbDpT10_ENKUlT_T0_E_clISt17integral_constantIbLb0EES1E_EEDaS19_S1A_EUlS19_E_NS1_11comp_targetILNS1_3genE2ELNS1_11target_archE906ELNS1_3gpuE6ELNS1_3repE0EEENS1_30default_config_static_selectorELNS0_4arch9wavefront6targetE0EEEvT1_, .Lfunc_end1178-_ZN7rocprim17ROCPRIM_400000_NS6detail17trampoline_kernelINS0_14default_configENS1_25partition_config_selectorILNS1_17partition_subalgoE8ElNS0_10empty_typeEbEEZZNS1_14partition_implILS5_8ELb0ES3_jPlPS6_PKS6_NS0_5tupleIJS9_S6_EEENSD_IJSA_SA_EEENS0_18inequality_wrapperIZN2at6native12_GLOBAL__N_124unique_dim_cuda_templateIN3c108BFloat16EEESt5tupleIJNSH_6TensorESO_SO_EERKSO_lbbbEUlllE0_EEPmJS6_EEE10hipError_tPvRmT3_T4_T5_T6_T7_T9_mT8_P12ihipStream_tbDpT10_ENKUlT_T0_E_clISt17integral_constantIbLb0EES1E_EEDaS19_S1A_EUlS19_E_NS1_11comp_targetILNS1_3genE2ELNS1_11target_archE906ELNS1_3gpuE6ELNS1_3repE0EEENS1_30default_config_static_selectorELNS0_4arch9wavefront6targetE0EEEvT1_
                                        ; -- End function
	.set _ZN7rocprim17ROCPRIM_400000_NS6detail17trampoline_kernelINS0_14default_configENS1_25partition_config_selectorILNS1_17partition_subalgoE8ElNS0_10empty_typeEbEEZZNS1_14partition_implILS5_8ELb0ES3_jPlPS6_PKS6_NS0_5tupleIJS9_S6_EEENSD_IJSA_SA_EEENS0_18inequality_wrapperIZN2at6native12_GLOBAL__N_124unique_dim_cuda_templateIN3c108BFloat16EEESt5tupleIJNSH_6TensorESO_SO_EERKSO_lbbbEUlllE0_EEPmJS6_EEE10hipError_tPvRmT3_T4_T5_T6_T7_T9_mT8_P12ihipStream_tbDpT10_ENKUlT_T0_E_clISt17integral_constantIbLb0EES1E_EEDaS19_S1A_EUlS19_E_NS1_11comp_targetILNS1_3genE2ELNS1_11target_archE906ELNS1_3gpuE6ELNS1_3repE0EEENS1_30default_config_static_selectorELNS0_4arch9wavefront6targetE0EEEvT1_.num_vgpr, 0
	.set _ZN7rocprim17ROCPRIM_400000_NS6detail17trampoline_kernelINS0_14default_configENS1_25partition_config_selectorILNS1_17partition_subalgoE8ElNS0_10empty_typeEbEEZZNS1_14partition_implILS5_8ELb0ES3_jPlPS6_PKS6_NS0_5tupleIJS9_S6_EEENSD_IJSA_SA_EEENS0_18inequality_wrapperIZN2at6native12_GLOBAL__N_124unique_dim_cuda_templateIN3c108BFloat16EEESt5tupleIJNSH_6TensorESO_SO_EERKSO_lbbbEUlllE0_EEPmJS6_EEE10hipError_tPvRmT3_T4_T5_T6_T7_T9_mT8_P12ihipStream_tbDpT10_ENKUlT_T0_E_clISt17integral_constantIbLb0EES1E_EEDaS19_S1A_EUlS19_E_NS1_11comp_targetILNS1_3genE2ELNS1_11target_archE906ELNS1_3gpuE6ELNS1_3repE0EEENS1_30default_config_static_selectorELNS0_4arch9wavefront6targetE0EEEvT1_.num_agpr, 0
	.set _ZN7rocprim17ROCPRIM_400000_NS6detail17trampoline_kernelINS0_14default_configENS1_25partition_config_selectorILNS1_17partition_subalgoE8ElNS0_10empty_typeEbEEZZNS1_14partition_implILS5_8ELb0ES3_jPlPS6_PKS6_NS0_5tupleIJS9_S6_EEENSD_IJSA_SA_EEENS0_18inequality_wrapperIZN2at6native12_GLOBAL__N_124unique_dim_cuda_templateIN3c108BFloat16EEESt5tupleIJNSH_6TensorESO_SO_EERKSO_lbbbEUlllE0_EEPmJS6_EEE10hipError_tPvRmT3_T4_T5_T6_T7_T9_mT8_P12ihipStream_tbDpT10_ENKUlT_T0_E_clISt17integral_constantIbLb0EES1E_EEDaS19_S1A_EUlS19_E_NS1_11comp_targetILNS1_3genE2ELNS1_11target_archE906ELNS1_3gpuE6ELNS1_3repE0EEENS1_30default_config_static_selectorELNS0_4arch9wavefront6targetE0EEEvT1_.numbered_sgpr, 0
	.set _ZN7rocprim17ROCPRIM_400000_NS6detail17trampoline_kernelINS0_14default_configENS1_25partition_config_selectorILNS1_17partition_subalgoE8ElNS0_10empty_typeEbEEZZNS1_14partition_implILS5_8ELb0ES3_jPlPS6_PKS6_NS0_5tupleIJS9_S6_EEENSD_IJSA_SA_EEENS0_18inequality_wrapperIZN2at6native12_GLOBAL__N_124unique_dim_cuda_templateIN3c108BFloat16EEESt5tupleIJNSH_6TensorESO_SO_EERKSO_lbbbEUlllE0_EEPmJS6_EEE10hipError_tPvRmT3_T4_T5_T6_T7_T9_mT8_P12ihipStream_tbDpT10_ENKUlT_T0_E_clISt17integral_constantIbLb0EES1E_EEDaS19_S1A_EUlS19_E_NS1_11comp_targetILNS1_3genE2ELNS1_11target_archE906ELNS1_3gpuE6ELNS1_3repE0EEENS1_30default_config_static_selectorELNS0_4arch9wavefront6targetE0EEEvT1_.num_named_barrier, 0
	.set _ZN7rocprim17ROCPRIM_400000_NS6detail17trampoline_kernelINS0_14default_configENS1_25partition_config_selectorILNS1_17partition_subalgoE8ElNS0_10empty_typeEbEEZZNS1_14partition_implILS5_8ELb0ES3_jPlPS6_PKS6_NS0_5tupleIJS9_S6_EEENSD_IJSA_SA_EEENS0_18inequality_wrapperIZN2at6native12_GLOBAL__N_124unique_dim_cuda_templateIN3c108BFloat16EEESt5tupleIJNSH_6TensorESO_SO_EERKSO_lbbbEUlllE0_EEPmJS6_EEE10hipError_tPvRmT3_T4_T5_T6_T7_T9_mT8_P12ihipStream_tbDpT10_ENKUlT_T0_E_clISt17integral_constantIbLb0EES1E_EEDaS19_S1A_EUlS19_E_NS1_11comp_targetILNS1_3genE2ELNS1_11target_archE906ELNS1_3gpuE6ELNS1_3repE0EEENS1_30default_config_static_selectorELNS0_4arch9wavefront6targetE0EEEvT1_.private_seg_size, 0
	.set _ZN7rocprim17ROCPRIM_400000_NS6detail17trampoline_kernelINS0_14default_configENS1_25partition_config_selectorILNS1_17partition_subalgoE8ElNS0_10empty_typeEbEEZZNS1_14partition_implILS5_8ELb0ES3_jPlPS6_PKS6_NS0_5tupleIJS9_S6_EEENSD_IJSA_SA_EEENS0_18inequality_wrapperIZN2at6native12_GLOBAL__N_124unique_dim_cuda_templateIN3c108BFloat16EEESt5tupleIJNSH_6TensorESO_SO_EERKSO_lbbbEUlllE0_EEPmJS6_EEE10hipError_tPvRmT3_T4_T5_T6_T7_T9_mT8_P12ihipStream_tbDpT10_ENKUlT_T0_E_clISt17integral_constantIbLb0EES1E_EEDaS19_S1A_EUlS19_E_NS1_11comp_targetILNS1_3genE2ELNS1_11target_archE906ELNS1_3gpuE6ELNS1_3repE0EEENS1_30default_config_static_selectorELNS0_4arch9wavefront6targetE0EEEvT1_.uses_vcc, 0
	.set _ZN7rocprim17ROCPRIM_400000_NS6detail17trampoline_kernelINS0_14default_configENS1_25partition_config_selectorILNS1_17partition_subalgoE8ElNS0_10empty_typeEbEEZZNS1_14partition_implILS5_8ELb0ES3_jPlPS6_PKS6_NS0_5tupleIJS9_S6_EEENSD_IJSA_SA_EEENS0_18inequality_wrapperIZN2at6native12_GLOBAL__N_124unique_dim_cuda_templateIN3c108BFloat16EEESt5tupleIJNSH_6TensorESO_SO_EERKSO_lbbbEUlllE0_EEPmJS6_EEE10hipError_tPvRmT3_T4_T5_T6_T7_T9_mT8_P12ihipStream_tbDpT10_ENKUlT_T0_E_clISt17integral_constantIbLb0EES1E_EEDaS19_S1A_EUlS19_E_NS1_11comp_targetILNS1_3genE2ELNS1_11target_archE906ELNS1_3gpuE6ELNS1_3repE0EEENS1_30default_config_static_selectorELNS0_4arch9wavefront6targetE0EEEvT1_.uses_flat_scratch, 0
	.set _ZN7rocprim17ROCPRIM_400000_NS6detail17trampoline_kernelINS0_14default_configENS1_25partition_config_selectorILNS1_17partition_subalgoE8ElNS0_10empty_typeEbEEZZNS1_14partition_implILS5_8ELb0ES3_jPlPS6_PKS6_NS0_5tupleIJS9_S6_EEENSD_IJSA_SA_EEENS0_18inequality_wrapperIZN2at6native12_GLOBAL__N_124unique_dim_cuda_templateIN3c108BFloat16EEESt5tupleIJNSH_6TensorESO_SO_EERKSO_lbbbEUlllE0_EEPmJS6_EEE10hipError_tPvRmT3_T4_T5_T6_T7_T9_mT8_P12ihipStream_tbDpT10_ENKUlT_T0_E_clISt17integral_constantIbLb0EES1E_EEDaS19_S1A_EUlS19_E_NS1_11comp_targetILNS1_3genE2ELNS1_11target_archE906ELNS1_3gpuE6ELNS1_3repE0EEENS1_30default_config_static_selectorELNS0_4arch9wavefront6targetE0EEEvT1_.has_dyn_sized_stack, 0
	.set _ZN7rocprim17ROCPRIM_400000_NS6detail17trampoline_kernelINS0_14default_configENS1_25partition_config_selectorILNS1_17partition_subalgoE8ElNS0_10empty_typeEbEEZZNS1_14partition_implILS5_8ELb0ES3_jPlPS6_PKS6_NS0_5tupleIJS9_S6_EEENSD_IJSA_SA_EEENS0_18inequality_wrapperIZN2at6native12_GLOBAL__N_124unique_dim_cuda_templateIN3c108BFloat16EEESt5tupleIJNSH_6TensorESO_SO_EERKSO_lbbbEUlllE0_EEPmJS6_EEE10hipError_tPvRmT3_T4_T5_T6_T7_T9_mT8_P12ihipStream_tbDpT10_ENKUlT_T0_E_clISt17integral_constantIbLb0EES1E_EEDaS19_S1A_EUlS19_E_NS1_11comp_targetILNS1_3genE2ELNS1_11target_archE906ELNS1_3gpuE6ELNS1_3repE0EEENS1_30default_config_static_selectorELNS0_4arch9wavefront6targetE0EEEvT1_.has_recursion, 0
	.set _ZN7rocprim17ROCPRIM_400000_NS6detail17trampoline_kernelINS0_14default_configENS1_25partition_config_selectorILNS1_17partition_subalgoE8ElNS0_10empty_typeEbEEZZNS1_14partition_implILS5_8ELb0ES3_jPlPS6_PKS6_NS0_5tupleIJS9_S6_EEENSD_IJSA_SA_EEENS0_18inequality_wrapperIZN2at6native12_GLOBAL__N_124unique_dim_cuda_templateIN3c108BFloat16EEESt5tupleIJNSH_6TensorESO_SO_EERKSO_lbbbEUlllE0_EEPmJS6_EEE10hipError_tPvRmT3_T4_T5_T6_T7_T9_mT8_P12ihipStream_tbDpT10_ENKUlT_T0_E_clISt17integral_constantIbLb0EES1E_EEDaS19_S1A_EUlS19_E_NS1_11comp_targetILNS1_3genE2ELNS1_11target_archE906ELNS1_3gpuE6ELNS1_3repE0EEENS1_30default_config_static_selectorELNS0_4arch9wavefront6targetE0EEEvT1_.has_indirect_call, 0
	.section	.AMDGPU.csdata,"",@progbits
; Kernel info:
; codeLenInByte = 0
; TotalNumSgprs: 0
; NumVgprs: 0
; ScratchSize: 0
; MemoryBound: 0
; FloatMode: 240
; IeeeMode: 1
; LDSByteSize: 0 bytes/workgroup (compile time only)
; SGPRBlocks: 0
; VGPRBlocks: 0
; NumSGPRsForWavesPerEU: 1
; NumVGPRsForWavesPerEU: 1
; NamedBarCnt: 0
; Occupancy: 16
; WaveLimiterHint : 0
; COMPUTE_PGM_RSRC2:SCRATCH_EN: 0
; COMPUTE_PGM_RSRC2:USER_SGPR: 2
; COMPUTE_PGM_RSRC2:TRAP_HANDLER: 0
; COMPUTE_PGM_RSRC2:TGID_X_EN: 1
; COMPUTE_PGM_RSRC2:TGID_Y_EN: 0
; COMPUTE_PGM_RSRC2:TGID_Z_EN: 0
; COMPUTE_PGM_RSRC2:TIDIG_COMP_CNT: 0
	.section	.text._ZN7rocprim17ROCPRIM_400000_NS6detail17trampoline_kernelINS0_14default_configENS1_25partition_config_selectorILNS1_17partition_subalgoE8ElNS0_10empty_typeEbEEZZNS1_14partition_implILS5_8ELb0ES3_jPlPS6_PKS6_NS0_5tupleIJS9_S6_EEENSD_IJSA_SA_EEENS0_18inequality_wrapperIZN2at6native12_GLOBAL__N_124unique_dim_cuda_templateIN3c108BFloat16EEESt5tupleIJNSH_6TensorESO_SO_EERKSO_lbbbEUlllE0_EEPmJS6_EEE10hipError_tPvRmT3_T4_T5_T6_T7_T9_mT8_P12ihipStream_tbDpT10_ENKUlT_T0_E_clISt17integral_constantIbLb0EES1E_EEDaS19_S1A_EUlS19_E_NS1_11comp_targetILNS1_3genE10ELNS1_11target_archE1200ELNS1_3gpuE4ELNS1_3repE0EEENS1_30default_config_static_selectorELNS0_4arch9wavefront6targetE0EEEvT1_,"axG",@progbits,_ZN7rocprim17ROCPRIM_400000_NS6detail17trampoline_kernelINS0_14default_configENS1_25partition_config_selectorILNS1_17partition_subalgoE8ElNS0_10empty_typeEbEEZZNS1_14partition_implILS5_8ELb0ES3_jPlPS6_PKS6_NS0_5tupleIJS9_S6_EEENSD_IJSA_SA_EEENS0_18inequality_wrapperIZN2at6native12_GLOBAL__N_124unique_dim_cuda_templateIN3c108BFloat16EEESt5tupleIJNSH_6TensorESO_SO_EERKSO_lbbbEUlllE0_EEPmJS6_EEE10hipError_tPvRmT3_T4_T5_T6_T7_T9_mT8_P12ihipStream_tbDpT10_ENKUlT_T0_E_clISt17integral_constantIbLb0EES1E_EEDaS19_S1A_EUlS19_E_NS1_11comp_targetILNS1_3genE10ELNS1_11target_archE1200ELNS1_3gpuE4ELNS1_3repE0EEENS1_30default_config_static_selectorELNS0_4arch9wavefront6targetE0EEEvT1_,comdat
	.globl	_ZN7rocprim17ROCPRIM_400000_NS6detail17trampoline_kernelINS0_14default_configENS1_25partition_config_selectorILNS1_17partition_subalgoE8ElNS0_10empty_typeEbEEZZNS1_14partition_implILS5_8ELb0ES3_jPlPS6_PKS6_NS0_5tupleIJS9_S6_EEENSD_IJSA_SA_EEENS0_18inequality_wrapperIZN2at6native12_GLOBAL__N_124unique_dim_cuda_templateIN3c108BFloat16EEESt5tupleIJNSH_6TensorESO_SO_EERKSO_lbbbEUlllE0_EEPmJS6_EEE10hipError_tPvRmT3_T4_T5_T6_T7_T9_mT8_P12ihipStream_tbDpT10_ENKUlT_T0_E_clISt17integral_constantIbLb0EES1E_EEDaS19_S1A_EUlS19_E_NS1_11comp_targetILNS1_3genE10ELNS1_11target_archE1200ELNS1_3gpuE4ELNS1_3repE0EEENS1_30default_config_static_selectorELNS0_4arch9wavefront6targetE0EEEvT1_ ; -- Begin function _ZN7rocprim17ROCPRIM_400000_NS6detail17trampoline_kernelINS0_14default_configENS1_25partition_config_selectorILNS1_17partition_subalgoE8ElNS0_10empty_typeEbEEZZNS1_14partition_implILS5_8ELb0ES3_jPlPS6_PKS6_NS0_5tupleIJS9_S6_EEENSD_IJSA_SA_EEENS0_18inequality_wrapperIZN2at6native12_GLOBAL__N_124unique_dim_cuda_templateIN3c108BFloat16EEESt5tupleIJNSH_6TensorESO_SO_EERKSO_lbbbEUlllE0_EEPmJS6_EEE10hipError_tPvRmT3_T4_T5_T6_T7_T9_mT8_P12ihipStream_tbDpT10_ENKUlT_T0_E_clISt17integral_constantIbLb0EES1E_EEDaS19_S1A_EUlS19_E_NS1_11comp_targetILNS1_3genE10ELNS1_11target_archE1200ELNS1_3gpuE4ELNS1_3repE0EEENS1_30default_config_static_selectorELNS0_4arch9wavefront6targetE0EEEvT1_
	.p2align	8
	.type	_ZN7rocprim17ROCPRIM_400000_NS6detail17trampoline_kernelINS0_14default_configENS1_25partition_config_selectorILNS1_17partition_subalgoE8ElNS0_10empty_typeEbEEZZNS1_14partition_implILS5_8ELb0ES3_jPlPS6_PKS6_NS0_5tupleIJS9_S6_EEENSD_IJSA_SA_EEENS0_18inequality_wrapperIZN2at6native12_GLOBAL__N_124unique_dim_cuda_templateIN3c108BFloat16EEESt5tupleIJNSH_6TensorESO_SO_EERKSO_lbbbEUlllE0_EEPmJS6_EEE10hipError_tPvRmT3_T4_T5_T6_T7_T9_mT8_P12ihipStream_tbDpT10_ENKUlT_T0_E_clISt17integral_constantIbLb0EES1E_EEDaS19_S1A_EUlS19_E_NS1_11comp_targetILNS1_3genE10ELNS1_11target_archE1200ELNS1_3gpuE4ELNS1_3repE0EEENS1_30default_config_static_selectorELNS0_4arch9wavefront6targetE0EEEvT1_,@function
_ZN7rocprim17ROCPRIM_400000_NS6detail17trampoline_kernelINS0_14default_configENS1_25partition_config_selectorILNS1_17partition_subalgoE8ElNS0_10empty_typeEbEEZZNS1_14partition_implILS5_8ELb0ES3_jPlPS6_PKS6_NS0_5tupleIJS9_S6_EEENSD_IJSA_SA_EEENS0_18inequality_wrapperIZN2at6native12_GLOBAL__N_124unique_dim_cuda_templateIN3c108BFloat16EEESt5tupleIJNSH_6TensorESO_SO_EERKSO_lbbbEUlllE0_EEPmJS6_EEE10hipError_tPvRmT3_T4_T5_T6_T7_T9_mT8_P12ihipStream_tbDpT10_ENKUlT_T0_E_clISt17integral_constantIbLb0EES1E_EEDaS19_S1A_EUlS19_E_NS1_11comp_targetILNS1_3genE10ELNS1_11target_archE1200ELNS1_3gpuE4ELNS1_3repE0EEENS1_30default_config_static_selectorELNS0_4arch9wavefront6targetE0EEEvT1_: ; @_ZN7rocprim17ROCPRIM_400000_NS6detail17trampoline_kernelINS0_14default_configENS1_25partition_config_selectorILNS1_17partition_subalgoE8ElNS0_10empty_typeEbEEZZNS1_14partition_implILS5_8ELb0ES3_jPlPS6_PKS6_NS0_5tupleIJS9_S6_EEENSD_IJSA_SA_EEENS0_18inequality_wrapperIZN2at6native12_GLOBAL__N_124unique_dim_cuda_templateIN3c108BFloat16EEESt5tupleIJNSH_6TensorESO_SO_EERKSO_lbbbEUlllE0_EEPmJS6_EEE10hipError_tPvRmT3_T4_T5_T6_T7_T9_mT8_P12ihipStream_tbDpT10_ENKUlT_T0_E_clISt17integral_constantIbLb0EES1E_EEDaS19_S1A_EUlS19_E_NS1_11comp_targetILNS1_3genE10ELNS1_11target_archE1200ELNS1_3gpuE4ELNS1_3repE0EEENS1_30default_config_static_selectorELNS0_4arch9wavefront6targetE0EEEvT1_
; %bb.0:
	.section	.rodata,"a",@progbits
	.p2align	6, 0x0
	.amdhsa_kernel _ZN7rocprim17ROCPRIM_400000_NS6detail17trampoline_kernelINS0_14default_configENS1_25partition_config_selectorILNS1_17partition_subalgoE8ElNS0_10empty_typeEbEEZZNS1_14partition_implILS5_8ELb0ES3_jPlPS6_PKS6_NS0_5tupleIJS9_S6_EEENSD_IJSA_SA_EEENS0_18inequality_wrapperIZN2at6native12_GLOBAL__N_124unique_dim_cuda_templateIN3c108BFloat16EEESt5tupleIJNSH_6TensorESO_SO_EERKSO_lbbbEUlllE0_EEPmJS6_EEE10hipError_tPvRmT3_T4_T5_T6_T7_T9_mT8_P12ihipStream_tbDpT10_ENKUlT_T0_E_clISt17integral_constantIbLb0EES1E_EEDaS19_S1A_EUlS19_E_NS1_11comp_targetILNS1_3genE10ELNS1_11target_archE1200ELNS1_3gpuE4ELNS1_3repE0EEENS1_30default_config_static_selectorELNS0_4arch9wavefront6targetE0EEEvT1_
		.amdhsa_group_segment_fixed_size 0
		.amdhsa_private_segment_fixed_size 0
		.amdhsa_kernarg_size 120
		.amdhsa_user_sgpr_count 2
		.amdhsa_user_sgpr_dispatch_ptr 0
		.amdhsa_user_sgpr_queue_ptr 0
		.amdhsa_user_sgpr_kernarg_segment_ptr 1
		.amdhsa_user_sgpr_dispatch_id 0
		.amdhsa_user_sgpr_kernarg_preload_length 0
		.amdhsa_user_sgpr_kernarg_preload_offset 0
		.amdhsa_user_sgpr_private_segment_size 0
		.amdhsa_wavefront_size32 1
		.amdhsa_uses_dynamic_stack 0
		.amdhsa_enable_private_segment 0
		.amdhsa_system_sgpr_workgroup_id_x 1
		.amdhsa_system_sgpr_workgroup_id_y 0
		.amdhsa_system_sgpr_workgroup_id_z 0
		.amdhsa_system_sgpr_workgroup_info 0
		.amdhsa_system_vgpr_workitem_id 0
		.amdhsa_next_free_vgpr 1
		.amdhsa_next_free_sgpr 1
		.amdhsa_named_barrier_count 0
		.amdhsa_reserve_vcc 0
		.amdhsa_float_round_mode_32 0
		.amdhsa_float_round_mode_16_64 0
		.amdhsa_float_denorm_mode_32 3
		.amdhsa_float_denorm_mode_16_64 3
		.amdhsa_fp16_overflow 0
		.amdhsa_memory_ordered 1
		.amdhsa_forward_progress 1
		.amdhsa_inst_pref_size 0
		.amdhsa_round_robin_scheduling 0
		.amdhsa_exception_fp_ieee_invalid_op 0
		.amdhsa_exception_fp_denorm_src 0
		.amdhsa_exception_fp_ieee_div_zero 0
		.amdhsa_exception_fp_ieee_overflow 0
		.amdhsa_exception_fp_ieee_underflow 0
		.amdhsa_exception_fp_ieee_inexact 0
		.amdhsa_exception_int_div_zero 0
	.end_amdhsa_kernel
	.section	.text._ZN7rocprim17ROCPRIM_400000_NS6detail17trampoline_kernelINS0_14default_configENS1_25partition_config_selectorILNS1_17partition_subalgoE8ElNS0_10empty_typeEbEEZZNS1_14partition_implILS5_8ELb0ES3_jPlPS6_PKS6_NS0_5tupleIJS9_S6_EEENSD_IJSA_SA_EEENS0_18inequality_wrapperIZN2at6native12_GLOBAL__N_124unique_dim_cuda_templateIN3c108BFloat16EEESt5tupleIJNSH_6TensorESO_SO_EERKSO_lbbbEUlllE0_EEPmJS6_EEE10hipError_tPvRmT3_T4_T5_T6_T7_T9_mT8_P12ihipStream_tbDpT10_ENKUlT_T0_E_clISt17integral_constantIbLb0EES1E_EEDaS19_S1A_EUlS19_E_NS1_11comp_targetILNS1_3genE10ELNS1_11target_archE1200ELNS1_3gpuE4ELNS1_3repE0EEENS1_30default_config_static_selectorELNS0_4arch9wavefront6targetE0EEEvT1_,"axG",@progbits,_ZN7rocprim17ROCPRIM_400000_NS6detail17trampoline_kernelINS0_14default_configENS1_25partition_config_selectorILNS1_17partition_subalgoE8ElNS0_10empty_typeEbEEZZNS1_14partition_implILS5_8ELb0ES3_jPlPS6_PKS6_NS0_5tupleIJS9_S6_EEENSD_IJSA_SA_EEENS0_18inequality_wrapperIZN2at6native12_GLOBAL__N_124unique_dim_cuda_templateIN3c108BFloat16EEESt5tupleIJNSH_6TensorESO_SO_EERKSO_lbbbEUlllE0_EEPmJS6_EEE10hipError_tPvRmT3_T4_T5_T6_T7_T9_mT8_P12ihipStream_tbDpT10_ENKUlT_T0_E_clISt17integral_constantIbLb0EES1E_EEDaS19_S1A_EUlS19_E_NS1_11comp_targetILNS1_3genE10ELNS1_11target_archE1200ELNS1_3gpuE4ELNS1_3repE0EEENS1_30default_config_static_selectorELNS0_4arch9wavefront6targetE0EEEvT1_,comdat
.Lfunc_end1179:
	.size	_ZN7rocprim17ROCPRIM_400000_NS6detail17trampoline_kernelINS0_14default_configENS1_25partition_config_selectorILNS1_17partition_subalgoE8ElNS0_10empty_typeEbEEZZNS1_14partition_implILS5_8ELb0ES3_jPlPS6_PKS6_NS0_5tupleIJS9_S6_EEENSD_IJSA_SA_EEENS0_18inequality_wrapperIZN2at6native12_GLOBAL__N_124unique_dim_cuda_templateIN3c108BFloat16EEESt5tupleIJNSH_6TensorESO_SO_EERKSO_lbbbEUlllE0_EEPmJS6_EEE10hipError_tPvRmT3_T4_T5_T6_T7_T9_mT8_P12ihipStream_tbDpT10_ENKUlT_T0_E_clISt17integral_constantIbLb0EES1E_EEDaS19_S1A_EUlS19_E_NS1_11comp_targetILNS1_3genE10ELNS1_11target_archE1200ELNS1_3gpuE4ELNS1_3repE0EEENS1_30default_config_static_selectorELNS0_4arch9wavefront6targetE0EEEvT1_, .Lfunc_end1179-_ZN7rocprim17ROCPRIM_400000_NS6detail17trampoline_kernelINS0_14default_configENS1_25partition_config_selectorILNS1_17partition_subalgoE8ElNS0_10empty_typeEbEEZZNS1_14partition_implILS5_8ELb0ES3_jPlPS6_PKS6_NS0_5tupleIJS9_S6_EEENSD_IJSA_SA_EEENS0_18inequality_wrapperIZN2at6native12_GLOBAL__N_124unique_dim_cuda_templateIN3c108BFloat16EEESt5tupleIJNSH_6TensorESO_SO_EERKSO_lbbbEUlllE0_EEPmJS6_EEE10hipError_tPvRmT3_T4_T5_T6_T7_T9_mT8_P12ihipStream_tbDpT10_ENKUlT_T0_E_clISt17integral_constantIbLb0EES1E_EEDaS19_S1A_EUlS19_E_NS1_11comp_targetILNS1_3genE10ELNS1_11target_archE1200ELNS1_3gpuE4ELNS1_3repE0EEENS1_30default_config_static_selectorELNS0_4arch9wavefront6targetE0EEEvT1_
                                        ; -- End function
	.set _ZN7rocprim17ROCPRIM_400000_NS6detail17trampoline_kernelINS0_14default_configENS1_25partition_config_selectorILNS1_17partition_subalgoE8ElNS0_10empty_typeEbEEZZNS1_14partition_implILS5_8ELb0ES3_jPlPS6_PKS6_NS0_5tupleIJS9_S6_EEENSD_IJSA_SA_EEENS0_18inequality_wrapperIZN2at6native12_GLOBAL__N_124unique_dim_cuda_templateIN3c108BFloat16EEESt5tupleIJNSH_6TensorESO_SO_EERKSO_lbbbEUlllE0_EEPmJS6_EEE10hipError_tPvRmT3_T4_T5_T6_T7_T9_mT8_P12ihipStream_tbDpT10_ENKUlT_T0_E_clISt17integral_constantIbLb0EES1E_EEDaS19_S1A_EUlS19_E_NS1_11comp_targetILNS1_3genE10ELNS1_11target_archE1200ELNS1_3gpuE4ELNS1_3repE0EEENS1_30default_config_static_selectorELNS0_4arch9wavefront6targetE0EEEvT1_.num_vgpr, 0
	.set _ZN7rocprim17ROCPRIM_400000_NS6detail17trampoline_kernelINS0_14default_configENS1_25partition_config_selectorILNS1_17partition_subalgoE8ElNS0_10empty_typeEbEEZZNS1_14partition_implILS5_8ELb0ES3_jPlPS6_PKS6_NS0_5tupleIJS9_S6_EEENSD_IJSA_SA_EEENS0_18inequality_wrapperIZN2at6native12_GLOBAL__N_124unique_dim_cuda_templateIN3c108BFloat16EEESt5tupleIJNSH_6TensorESO_SO_EERKSO_lbbbEUlllE0_EEPmJS6_EEE10hipError_tPvRmT3_T4_T5_T6_T7_T9_mT8_P12ihipStream_tbDpT10_ENKUlT_T0_E_clISt17integral_constantIbLb0EES1E_EEDaS19_S1A_EUlS19_E_NS1_11comp_targetILNS1_3genE10ELNS1_11target_archE1200ELNS1_3gpuE4ELNS1_3repE0EEENS1_30default_config_static_selectorELNS0_4arch9wavefront6targetE0EEEvT1_.num_agpr, 0
	.set _ZN7rocprim17ROCPRIM_400000_NS6detail17trampoline_kernelINS0_14default_configENS1_25partition_config_selectorILNS1_17partition_subalgoE8ElNS0_10empty_typeEbEEZZNS1_14partition_implILS5_8ELb0ES3_jPlPS6_PKS6_NS0_5tupleIJS9_S6_EEENSD_IJSA_SA_EEENS0_18inequality_wrapperIZN2at6native12_GLOBAL__N_124unique_dim_cuda_templateIN3c108BFloat16EEESt5tupleIJNSH_6TensorESO_SO_EERKSO_lbbbEUlllE0_EEPmJS6_EEE10hipError_tPvRmT3_T4_T5_T6_T7_T9_mT8_P12ihipStream_tbDpT10_ENKUlT_T0_E_clISt17integral_constantIbLb0EES1E_EEDaS19_S1A_EUlS19_E_NS1_11comp_targetILNS1_3genE10ELNS1_11target_archE1200ELNS1_3gpuE4ELNS1_3repE0EEENS1_30default_config_static_selectorELNS0_4arch9wavefront6targetE0EEEvT1_.numbered_sgpr, 0
	.set _ZN7rocprim17ROCPRIM_400000_NS6detail17trampoline_kernelINS0_14default_configENS1_25partition_config_selectorILNS1_17partition_subalgoE8ElNS0_10empty_typeEbEEZZNS1_14partition_implILS5_8ELb0ES3_jPlPS6_PKS6_NS0_5tupleIJS9_S6_EEENSD_IJSA_SA_EEENS0_18inequality_wrapperIZN2at6native12_GLOBAL__N_124unique_dim_cuda_templateIN3c108BFloat16EEESt5tupleIJNSH_6TensorESO_SO_EERKSO_lbbbEUlllE0_EEPmJS6_EEE10hipError_tPvRmT3_T4_T5_T6_T7_T9_mT8_P12ihipStream_tbDpT10_ENKUlT_T0_E_clISt17integral_constantIbLb0EES1E_EEDaS19_S1A_EUlS19_E_NS1_11comp_targetILNS1_3genE10ELNS1_11target_archE1200ELNS1_3gpuE4ELNS1_3repE0EEENS1_30default_config_static_selectorELNS0_4arch9wavefront6targetE0EEEvT1_.num_named_barrier, 0
	.set _ZN7rocprim17ROCPRIM_400000_NS6detail17trampoline_kernelINS0_14default_configENS1_25partition_config_selectorILNS1_17partition_subalgoE8ElNS0_10empty_typeEbEEZZNS1_14partition_implILS5_8ELb0ES3_jPlPS6_PKS6_NS0_5tupleIJS9_S6_EEENSD_IJSA_SA_EEENS0_18inequality_wrapperIZN2at6native12_GLOBAL__N_124unique_dim_cuda_templateIN3c108BFloat16EEESt5tupleIJNSH_6TensorESO_SO_EERKSO_lbbbEUlllE0_EEPmJS6_EEE10hipError_tPvRmT3_T4_T5_T6_T7_T9_mT8_P12ihipStream_tbDpT10_ENKUlT_T0_E_clISt17integral_constantIbLb0EES1E_EEDaS19_S1A_EUlS19_E_NS1_11comp_targetILNS1_3genE10ELNS1_11target_archE1200ELNS1_3gpuE4ELNS1_3repE0EEENS1_30default_config_static_selectorELNS0_4arch9wavefront6targetE0EEEvT1_.private_seg_size, 0
	.set _ZN7rocprim17ROCPRIM_400000_NS6detail17trampoline_kernelINS0_14default_configENS1_25partition_config_selectorILNS1_17partition_subalgoE8ElNS0_10empty_typeEbEEZZNS1_14partition_implILS5_8ELb0ES3_jPlPS6_PKS6_NS0_5tupleIJS9_S6_EEENSD_IJSA_SA_EEENS0_18inequality_wrapperIZN2at6native12_GLOBAL__N_124unique_dim_cuda_templateIN3c108BFloat16EEESt5tupleIJNSH_6TensorESO_SO_EERKSO_lbbbEUlllE0_EEPmJS6_EEE10hipError_tPvRmT3_T4_T5_T6_T7_T9_mT8_P12ihipStream_tbDpT10_ENKUlT_T0_E_clISt17integral_constantIbLb0EES1E_EEDaS19_S1A_EUlS19_E_NS1_11comp_targetILNS1_3genE10ELNS1_11target_archE1200ELNS1_3gpuE4ELNS1_3repE0EEENS1_30default_config_static_selectorELNS0_4arch9wavefront6targetE0EEEvT1_.uses_vcc, 0
	.set _ZN7rocprim17ROCPRIM_400000_NS6detail17trampoline_kernelINS0_14default_configENS1_25partition_config_selectorILNS1_17partition_subalgoE8ElNS0_10empty_typeEbEEZZNS1_14partition_implILS5_8ELb0ES3_jPlPS6_PKS6_NS0_5tupleIJS9_S6_EEENSD_IJSA_SA_EEENS0_18inequality_wrapperIZN2at6native12_GLOBAL__N_124unique_dim_cuda_templateIN3c108BFloat16EEESt5tupleIJNSH_6TensorESO_SO_EERKSO_lbbbEUlllE0_EEPmJS6_EEE10hipError_tPvRmT3_T4_T5_T6_T7_T9_mT8_P12ihipStream_tbDpT10_ENKUlT_T0_E_clISt17integral_constantIbLb0EES1E_EEDaS19_S1A_EUlS19_E_NS1_11comp_targetILNS1_3genE10ELNS1_11target_archE1200ELNS1_3gpuE4ELNS1_3repE0EEENS1_30default_config_static_selectorELNS0_4arch9wavefront6targetE0EEEvT1_.uses_flat_scratch, 0
	.set _ZN7rocprim17ROCPRIM_400000_NS6detail17trampoline_kernelINS0_14default_configENS1_25partition_config_selectorILNS1_17partition_subalgoE8ElNS0_10empty_typeEbEEZZNS1_14partition_implILS5_8ELb0ES3_jPlPS6_PKS6_NS0_5tupleIJS9_S6_EEENSD_IJSA_SA_EEENS0_18inequality_wrapperIZN2at6native12_GLOBAL__N_124unique_dim_cuda_templateIN3c108BFloat16EEESt5tupleIJNSH_6TensorESO_SO_EERKSO_lbbbEUlllE0_EEPmJS6_EEE10hipError_tPvRmT3_T4_T5_T6_T7_T9_mT8_P12ihipStream_tbDpT10_ENKUlT_T0_E_clISt17integral_constantIbLb0EES1E_EEDaS19_S1A_EUlS19_E_NS1_11comp_targetILNS1_3genE10ELNS1_11target_archE1200ELNS1_3gpuE4ELNS1_3repE0EEENS1_30default_config_static_selectorELNS0_4arch9wavefront6targetE0EEEvT1_.has_dyn_sized_stack, 0
	.set _ZN7rocprim17ROCPRIM_400000_NS6detail17trampoline_kernelINS0_14default_configENS1_25partition_config_selectorILNS1_17partition_subalgoE8ElNS0_10empty_typeEbEEZZNS1_14partition_implILS5_8ELb0ES3_jPlPS6_PKS6_NS0_5tupleIJS9_S6_EEENSD_IJSA_SA_EEENS0_18inequality_wrapperIZN2at6native12_GLOBAL__N_124unique_dim_cuda_templateIN3c108BFloat16EEESt5tupleIJNSH_6TensorESO_SO_EERKSO_lbbbEUlllE0_EEPmJS6_EEE10hipError_tPvRmT3_T4_T5_T6_T7_T9_mT8_P12ihipStream_tbDpT10_ENKUlT_T0_E_clISt17integral_constantIbLb0EES1E_EEDaS19_S1A_EUlS19_E_NS1_11comp_targetILNS1_3genE10ELNS1_11target_archE1200ELNS1_3gpuE4ELNS1_3repE0EEENS1_30default_config_static_selectorELNS0_4arch9wavefront6targetE0EEEvT1_.has_recursion, 0
	.set _ZN7rocprim17ROCPRIM_400000_NS6detail17trampoline_kernelINS0_14default_configENS1_25partition_config_selectorILNS1_17partition_subalgoE8ElNS0_10empty_typeEbEEZZNS1_14partition_implILS5_8ELb0ES3_jPlPS6_PKS6_NS0_5tupleIJS9_S6_EEENSD_IJSA_SA_EEENS0_18inequality_wrapperIZN2at6native12_GLOBAL__N_124unique_dim_cuda_templateIN3c108BFloat16EEESt5tupleIJNSH_6TensorESO_SO_EERKSO_lbbbEUlllE0_EEPmJS6_EEE10hipError_tPvRmT3_T4_T5_T6_T7_T9_mT8_P12ihipStream_tbDpT10_ENKUlT_T0_E_clISt17integral_constantIbLb0EES1E_EEDaS19_S1A_EUlS19_E_NS1_11comp_targetILNS1_3genE10ELNS1_11target_archE1200ELNS1_3gpuE4ELNS1_3repE0EEENS1_30default_config_static_selectorELNS0_4arch9wavefront6targetE0EEEvT1_.has_indirect_call, 0
	.section	.AMDGPU.csdata,"",@progbits
; Kernel info:
; codeLenInByte = 0
; TotalNumSgprs: 0
; NumVgprs: 0
; ScratchSize: 0
; MemoryBound: 0
; FloatMode: 240
; IeeeMode: 1
; LDSByteSize: 0 bytes/workgroup (compile time only)
; SGPRBlocks: 0
; VGPRBlocks: 0
; NumSGPRsForWavesPerEU: 1
; NumVGPRsForWavesPerEU: 1
; NamedBarCnt: 0
; Occupancy: 16
; WaveLimiterHint : 0
; COMPUTE_PGM_RSRC2:SCRATCH_EN: 0
; COMPUTE_PGM_RSRC2:USER_SGPR: 2
; COMPUTE_PGM_RSRC2:TRAP_HANDLER: 0
; COMPUTE_PGM_RSRC2:TGID_X_EN: 1
; COMPUTE_PGM_RSRC2:TGID_Y_EN: 0
; COMPUTE_PGM_RSRC2:TGID_Z_EN: 0
; COMPUTE_PGM_RSRC2:TIDIG_COMP_CNT: 0
	.section	.text._ZN7rocprim17ROCPRIM_400000_NS6detail17trampoline_kernelINS0_14default_configENS1_25partition_config_selectorILNS1_17partition_subalgoE8ElNS0_10empty_typeEbEEZZNS1_14partition_implILS5_8ELb0ES3_jPlPS6_PKS6_NS0_5tupleIJS9_S6_EEENSD_IJSA_SA_EEENS0_18inequality_wrapperIZN2at6native12_GLOBAL__N_124unique_dim_cuda_templateIN3c108BFloat16EEESt5tupleIJNSH_6TensorESO_SO_EERKSO_lbbbEUlllE0_EEPmJS6_EEE10hipError_tPvRmT3_T4_T5_T6_T7_T9_mT8_P12ihipStream_tbDpT10_ENKUlT_T0_E_clISt17integral_constantIbLb0EES1E_EEDaS19_S1A_EUlS19_E_NS1_11comp_targetILNS1_3genE9ELNS1_11target_archE1100ELNS1_3gpuE3ELNS1_3repE0EEENS1_30default_config_static_selectorELNS0_4arch9wavefront6targetE0EEEvT1_,"axG",@progbits,_ZN7rocprim17ROCPRIM_400000_NS6detail17trampoline_kernelINS0_14default_configENS1_25partition_config_selectorILNS1_17partition_subalgoE8ElNS0_10empty_typeEbEEZZNS1_14partition_implILS5_8ELb0ES3_jPlPS6_PKS6_NS0_5tupleIJS9_S6_EEENSD_IJSA_SA_EEENS0_18inequality_wrapperIZN2at6native12_GLOBAL__N_124unique_dim_cuda_templateIN3c108BFloat16EEESt5tupleIJNSH_6TensorESO_SO_EERKSO_lbbbEUlllE0_EEPmJS6_EEE10hipError_tPvRmT3_T4_T5_T6_T7_T9_mT8_P12ihipStream_tbDpT10_ENKUlT_T0_E_clISt17integral_constantIbLb0EES1E_EEDaS19_S1A_EUlS19_E_NS1_11comp_targetILNS1_3genE9ELNS1_11target_archE1100ELNS1_3gpuE3ELNS1_3repE0EEENS1_30default_config_static_selectorELNS0_4arch9wavefront6targetE0EEEvT1_,comdat
	.globl	_ZN7rocprim17ROCPRIM_400000_NS6detail17trampoline_kernelINS0_14default_configENS1_25partition_config_selectorILNS1_17partition_subalgoE8ElNS0_10empty_typeEbEEZZNS1_14partition_implILS5_8ELb0ES3_jPlPS6_PKS6_NS0_5tupleIJS9_S6_EEENSD_IJSA_SA_EEENS0_18inequality_wrapperIZN2at6native12_GLOBAL__N_124unique_dim_cuda_templateIN3c108BFloat16EEESt5tupleIJNSH_6TensorESO_SO_EERKSO_lbbbEUlllE0_EEPmJS6_EEE10hipError_tPvRmT3_T4_T5_T6_T7_T9_mT8_P12ihipStream_tbDpT10_ENKUlT_T0_E_clISt17integral_constantIbLb0EES1E_EEDaS19_S1A_EUlS19_E_NS1_11comp_targetILNS1_3genE9ELNS1_11target_archE1100ELNS1_3gpuE3ELNS1_3repE0EEENS1_30default_config_static_selectorELNS0_4arch9wavefront6targetE0EEEvT1_ ; -- Begin function _ZN7rocprim17ROCPRIM_400000_NS6detail17trampoline_kernelINS0_14default_configENS1_25partition_config_selectorILNS1_17partition_subalgoE8ElNS0_10empty_typeEbEEZZNS1_14partition_implILS5_8ELb0ES3_jPlPS6_PKS6_NS0_5tupleIJS9_S6_EEENSD_IJSA_SA_EEENS0_18inequality_wrapperIZN2at6native12_GLOBAL__N_124unique_dim_cuda_templateIN3c108BFloat16EEESt5tupleIJNSH_6TensorESO_SO_EERKSO_lbbbEUlllE0_EEPmJS6_EEE10hipError_tPvRmT3_T4_T5_T6_T7_T9_mT8_P12ihipStream_tbDpT10_ENKUlT_T0_E_clISt17integral_constantIbLb0EES1E_EEDaS19_S1A_EUlS19_E_NS1_11comp_targetILNS1_3genE9ELNS1_11target_archE1100ELNS1_3gpuE3ELNS1_3repE0EEENS1_30default_config_static_selectorELNS0_4arch9wavefront6targetE0EEEvT1_
	.p2align	8
	.type	_ZN7rocprim17ROCPRIM_400000_NS6detail17trampoline_kernelINS0_14default_configENS1_25partition_config_selectorILNS1_17partition_subalgoE8ElNS0_10empty_typeEbEEZZNS1_14partition_implILS5_8ELb0ES3_jPlPS6_PKS6_NS0_5tupleIJS9_S6_EEENSD_IJSA_SA_EEENS0_18inequality_wrapperIZN2at6native12_GLOBAL__N_124unique_dim_cuda_templateIN3c108BFloat16EEESt5tupleIJNSH_6TensorESO_SO_EERKSO_lbbbEUlllE0_EEPmJS6_EEE10hipError_tPvRmT3_T4_T5_T6_T7_T9_mT8_P12ihipStream_tbDpT10_ENKUlT_T0_E_clISt17integral_constantIbLb0EES1E_EEDaS19_S1A_EUlS19_E_NS1_11comp_targetILNS1_3genE9ELNS1_11target_archE1100ELNS1_3gpuE3ELNS1_3repE0EEENS1_30default_config_static_selectorELNS0_4arch9wavefront6targetE0EEEvT1_,@function
_ZN7rocprim17ROCPRIM_400000_NS6detail17trampoline_kernelINS0_14default_configENS1_25partition_config_selectorILNS1_17partition_subalgoE8ElNS0_10empty_typeEbEEZZNS1_14partition_implILS5_8ELb0ES3_jPlPS6_PKS6_NS0_5tupleIJS9_S6_EEENSD_IJSA_SA_EEENS0_18inequality_wrapperIZN2at6native12_GLOBAL__N_124unique_dim_cuda_templateIN3c108BFloat16EEESt5tupleIJNSH_6TensorESO_SO_EERKSO_lbbbEUlllE0_EEPmJS6_EEE10hipError_tPvRmT3_T4_T5_T6_T7_T9_mT8_P12ihipStream_tbDpT10_ENKUlT_T0_E_clISt17integral_constantIbLb0EES1E_EEDaS19_S1A_EUlS19_E_NS1_11comp_targetILNS1_3genE9ELNS1_11target_archE1100ELNS1_3gpuE3ELNS1_3repE0EEENS1_30default_config_static_selectorELNS0_4arch9wavefront6targetE0EEEvT1_: ; @_ZN7rocprim17ROCPRIM_400000_NS6detail17trampoline_kernelINS0_14default_configENS1_25partition_config_selectorILNS1_17partition_subalgoE8ElNS0_10empty_typeEbEEZZNS1_14partition_implILS5_8ELb0ES3_jPlPS6_PKS6_NS0_5tupleIJS9_S6_EEENSD_IJSA_SA_EEENS0_18inequality_wrapperIZN2at6native12_GLOBAL__N_124unique_dim_cuda_templateIN3c108BFloat16EEESt5tupleIJNSH_6TensorESO_SO_EERKSO_lbbbEUlllE0_EEPmJS6_EEE10hipError_tPvRmT3_T4_T5_T6_T7_T9_mT8_P12ihipStream_tbDpT10_ENKUlT_T0_E_clISt17integral_constantIbLb0EES1E_EEDaS19_S1A_EUlS19_E_NS1_11comp_targetILNS1_3genE9ELNS1_11target_archE1100ELNS1_3gpuE3ELNS1_3repE0EEENS1_30default_config_static_selectorELNS0_4arch9wavefront6targetE0EEEvT1_
; %bb.0:
	.section	.rodata,"a",@progbits
	.p2align	6, 0x0
	.amdhsa_kernel _ZN7rocprim17ROCPRIM_400000_NS6detail17trampoline_kernelINS0_14default_configENS1_25partition_config_selectorILNS1_17partition_subalgoE8ElNS0_10empty_typeEbEEZZNS1_14partition_implILS5_8ELb0ES3_jPlPS6_PKS6_NS0_5tupleIJS9_S6_EEENSD_IJSA_SA_EEENS0_18inequality_wrapperIZN2at6native12_GLOBAL__N_124unique_dim_cuda_templateIN3c108BFloat16EEESt5tupleIJNSH_6TensorESO_SO_EERKSO_lbbbEUlllE0_EEPmJS6_EEE10hipError_tPvRmT3_T4_T5_T6_T7_T9_mT8_P12ihipStream_tbDpT10_ENKUlT_T0_E_clISt17integral_constantIbLb0EES1E_EEDaS19_S1A_EUlS19_E_NS1_11comp_targetILNS1_3genE9ELNS1_11target_archE1100ELNS1_3gpuE3ELNS1_3repE0EEENS1_30default_config_static_selectorELNS0_4arch9wavefront6targetE0EEEvT1_
		.amdhsa_group_segment_fixed_size 0
		.amdhsa_private_segment_fixed_size 0
		.amdhsa_kernarg_size 120
		.amdhsa_user_sgpr_count 2
		.amdhsa_user_sgpr_dispatch_ptr 0
		.amdhsa_user_sgpr_queue_ptr 0
		.amdhsa_user_sgpr_kernarg_segment_ptr 1
		.amdhsa_user_sgpr_dispatch_id 0
		.amdhsa_user_sgpr_kernarg_preload_length 0
		.amdhsa_user_sgpr_kernarg_preload_offset 0
		.amdhsa_user_sgpr_private_segment_size 0
		.amdhsa_wavefront_size32 1
		.amdhsa_uses_dynamic_stack 0
		.amdhsa_enable_private_segment 0
		.amdhsa_system_sgpr_workgroup_id_x 1
		.amdhsa_system_sgpr_workgroup_id_y 0
		.amdhsa_system_sgpr_workgroup_id_z 0
		.amdhsa_system_sgpr_workgroup_info 0
		.amdhsa_system_vgpr_workitem_id 0
		.amdhsa_next_free_vgpr 1
		.amdhsa_next_free_sgpr 1
		.amdhsa_named_barrier_count 0
		.amdhsa_reserve_vcc 0
		.amdhsa_float_round_mode_32 0
		.amdhsa_float_round_mode_16_64 0
		.amdhsa_float_denorm_mode_32 3
		.amdhsa_float_denorm_mode_16_64 3
		.amdhsa_fp16_overflow 0
		.amdhsa_memory_ordered 1
		.amdhsa_forward_progress 1
		.amdhsa_inst_pref_size 0
		.amdhsa_round_robin_scheduling 0
		.amdhsa_exception_fp_ieee_invalid_op 0
		.amdhsa_exception_fp_denorm_src 0
		.amdhsa_exception_fp_ieee_div_zero 0
		.amdhsa_exception_fp_ieee_overflow 0
		.amdhsa_exception_fp_ieee_underflow 0
		.amdhsa_exception_fp_ieee_inexact 0
		.amdhsa_exception_int_div_zero 0
	.end_amdhsa_kernel
	.section	.text._ZN7rocprim17ROCPRIM_400000_NS6detail17trampoline_kernelINS0_14default_configENS1_25partition_config_selectorILNS1_17partition_subalgoE8ElNS0_10empty_typeEbEEZZNS1_14partition_implILS5_8ELb0ES3_jPlPS6_PKS6_NS0_5tupleIJS9_S6_EEENSD_IJSA_SA_EEENS0_18inequality_wrapperIZN2at6native12_GLOBAL__N_124unique_dim_cuda_templateIN3c108BFloat16EEESt5tupleIJNSH_6TensorESO_SO_EERKSO_lbbbEUlllE0_EEPmJS6_EEE10hipError_tPvRmT3_T4_T5_T6_T7_T9_mT8_P12ihipStream_tbDpT10_ENKUlT_T0_E_clISt17integral_constantIbLb0EES1E_EEDaS19_S1A_EUlS19_E_NS1_11comp_targetILNS1_3genE9ELNS1_11target_archE1100ELNS1_3gpuE3ELNS1_3repE0EEENS1_30default_config_static_selectorELNS0_4arch9wavefront6targetE0EEEvT1_,"axG",@progbits,_ZN7rocprim17ROCPRIM_400000_NS6detail17trampoline_kernelINS0_14default_configENS1_25partition_config_selectorILNS1_17partition_subalgoE8ElNS0_10empty_typeEbEEZZNS1_14partition_implILS5_8ELb0ES3_jPlPS6_PKS6_NS0_5tupleIJS9_S6_EEENSD_IJSA_SA_EEENS0_18inequality_wrapperIZN2at6native12_GLOBAL__N_124unique_dim_cuda_templateIN3c108BFloat16EEESt5tupleIJNSH_6TensorESO_SO_EERKSO_lbbbEUlllE0_EEPmJS6_EEE10hipError_tPvRmT3_T4_T5_T6_T7_T9_mT8_P12ihipStream_tbDpT10_ENKUlT_T0_E_clISt17integral_constantIbLb0EES1E_EEDaS19_S1A_EUlS19_E_NS1_11comp_targetILNS1_3genE9ELNS1_11target_archE1100ELNS1_3gpuE3ELNS1_3repE0EEENS1_30default_config_static_selectorELNS0_4arch9wavefront6targetE0EEEvT1_,comdat
.Lfunc_end1180:
	.size	_ZN7rocprim17ROCPRIM_400000_NS6detail17trampoline_kernelINS0_14default_configENS1_25partition_config_selectorILNS1_17partition_subalgoE8ElNS0_10empty_typeEbEEZZNS1_14partition_implILS5_8ELb0ES3_jPlPS6_PKS6_NS0_5tupleIJS9_S6_EEENSD_IJSA_SA_EEENS0_18inequality_wrapperIZN2at6native12_GLOBAL__N_124unique_dim_cuda_templateIN3c108BFloat16EEESt5tupleIJNSH_6TensorESO_SO_EERKSO_lbbbEUlllE0_EEPmJS6_EEE10hipError_tPvRmT3_T4_T5_T6_T7_T9_mT8_P12ihipStream_tbDpT10_ENKUlT_T0_E_clISt17integral_constantIbLb0EES1E_EEDaS19_S1A_EUlS19_E_NS1_11comp_targetILNS1_3genE9ELNS1_11target_archE1100ELNS1_3gpuE3ELNS1_3repE0EEENS1_30default_config_static_selectorELNS0_4arch9wavefront6targetE0EEEvT1_, .Lfunc_end1180-_ZN7rocprim17ROCPRIM_400000_NS6detail17trampoline_kernelINS0_14default_configENS1_25partition_config_selectorILNS1_17partition_subalgoE8ElNS0_10empty_typeEbEEZZNS1_14partition_implILS5_8ELb0ES3_jPlPS6_PKS6_NS0_5tupleIJS9_S6_EEENSD_IJSA_SA_EEENS0_18inequality_wrapperIZN2at6native12_GLOBAL__N_124unique_dim_cuda_templateIN3c108BFloat16EEESt5tupleIJNSH_6TensorESO_SO_EERKSO_lbbbEUlllE0_EEPmJS6_EEE10hipError_tPvRmT3_T4_T5_T6_T7_T9_mT8_P12ihipStream_tbDpT10_ENKUlT_T0_E_clISt17integral_constantIbLb0EES1E_EEDaS19_S1A_EUlS19_E_NS1_11comp_targetILNS1_3genE9ELNS1_11target_archE1100ELNS1_3gpuE3ELNS1_3repE0EEENS1_30default_config_static_selectorELNS0_4arch9wavefront6targetE0EEEvT1_
                                        ; -- End function
	.set _ZN7rocprim17ROCPRIM_400000_NS6detail17trampoline_kernelINS0_14default_configENS1_25partition_config_selectorILNS1_17partition_subalgoE8ElNS0_10empty_typeEbEEZZNS1_14partition_implILS5_8ELb0ES3_jPlPS6_PKS6_NS0_5tupleIJS9_S6_EEENSD_IJSA_SA_EEENS0_18inequality_wrapperIZN2at6native12_GLOBAL__N_124unique_dim_cuda_templateIN3c108BFloat16EEESt5tupleIJNSH_6TensorESO_SO_EERKSO_lbbbEUlllE0_EEPmJS6_EEE10hipError_tPvRmT3_T4_T5_T6_T7_T9_mT8_P12ihipStream_tbDpT10_ENKUlT_T0_E_clISt17integral_constantIbLb0EES1E_EEDaS19_S1A_EUlS19_E_NS1_11comp_targetILNS1_3genE9ELNS1_11target_archE1100ELNS1_3gpuE3ELNS1_3repE0EEENS1_30default_config_static_selectorELNS0_4arch9wavefront6targetE0EEEvT1_.num_vgpr, 0
	.set _ZN7rocprim17ROCPRIM_400000_NS6detail17trampoline_kernelINS0_14default_configENS1_25partition_config_selectorILNS1_17partition_subalgoE8ElNS0_10empty_typeEbEEZZNS1_14partition_implILS5_8ELb0ES3_jPlPS6_PKS6_NS0_5tupleIJS9_S6_EEENSD_IJSA_SA_EEENS0_18inequality_wrapperIZN2at6native12_GLOBAL__N_124unique_dim_cuda_templateIN3c108BFloat16EEESt5tupleIJNSH_6TensorESO_SO_EERKSO_lbbbEUlllE0_EEPmJS6_EEE10hipError_tPvRmT3_T4_T5_T6_T7_T9_mT8_P12ihipStream_tbDpT10_ENKUlT_T0_E_clISt17integral_constantIbLb0EES1E_EEDaS19_S1A_EUlS19_E_NS1_11comp_targetILNS1_3genE9ELNS1_11target_archE1100ELNS1_3gpuE3ELNS1_3repE0EEENS1_30default_config_static_selectorELNS0_4arch9wavefront6targetE0EEEvT1_.num_agpr, 0
	.set _ZN7rocprim17ROCPRIM_400000_NS6detail17trampoline_kernelINS0_14default_configENS1_25partition_config_selectorILNS1_17partition_subalgoE8ElNS0_10empty_typeEbEEZZNS1_14partition_implILS5_8ELb0ES3_jPlPS6_PKS6_NS0_5tupleIJS9_S6_EEENSD_IJSA_SA_EEENS0_18inequality_wrapperIZN2at6native12_GLOBAL__N_124unique_dim_cuda_templateIN3c108BFloat16EEESt5tupleIJNSH_6TensorESO_SO_EERKSO_lbbbEUlllE0_EEPmJS6_EEE10hipError_tPvRmT3_T4_T5_T6_T7_T9_mT8_P12ihipStream_tbDpT10_ENKUlT_T0_E_clISt17integral_constantIbLb0EES1E_EEDaS19_S1A_EUlS19_E_NS1_11comp_targetILNS1_3genE9ELNS1_11target_archE1100ELNS1_3gpuE3ELNS1_3repE0EEENS1_30default_config_static_selectorELNS0_4arch9wavefront6targetE0EEEvT1_.numbered_sgpr, 0
	.set _ZN7rocprim17ROCPRIM_400000_NS6detail17trampoline_kernelINS0_14default_configENS1_25partition_config_selectorILNS1_17partition_subalgoE8ElNS0_10empty_typeEbEEZZNS1_14partition_implILS5_8ELb0ES3_jPlPS6_PKS6_NS0_5tupleIJS9_S6_EEENSD_IJSA_SA_EEENS0_18inequality_wrapperIZN2at6native12_GLOBAL__N_124unique_dim_cuda_templateIN3c108BFloat16EEESt5tupleIJNSH_6TensorESO_SO_EERKSO_lbbbEUlllE0_EEPmJS6_EEE10hipError_tPvRmT3_T4_T5_T6_T7_T9_mT8_P12ihipStream_tbDpT10_ENKUlT_T0_E_clISt17integral_constantIbLb0EES1E_EEDaS19_S1A_EUlS19_E_NS1_11comp_targetILNS1_3genE9ELNS1_11target_archE1100ELNS1_3gpuE3ELNS1_3repE0EEENS1_30default_config_static_selectorELNS0_4arch9wavefront6targetE0EEEvT1_.num_named_barrier, 0
	.set _ZN7rocprim17ROCPRIM_400000_NS6detail17trampoline_kernelINS0_14default_configENS1_25partition_config_selectorILNS1_17partition_subalgoE8ElNS0_10empty_typeEbEEZZNS1_14partition_implILS5_8ELb0ES3_jPlPS6_PKS6_NS0_5tupleIJS9_S6_EEENSD_IJSA_SA_EEENS0_18inequality_wrapperIZN2at6native12_GLOBAL__N_124unique_dim_cuda_templateIN3c108BFloat16EEESt5tupleIJNSH_6TensorESO_SO_EERKSO_lbbbEUlllE0_EEPmJS6_EEE10hipError_tPvRmT3_T4_T5_T6_T7_T9_mT8_P12ihipStream_tbDpT10_ENKUlT_T0_E_clISt17integral_constantIbLb0EES1E_EEDaS19_S1A_EUlS19_E_NS1_11comp_targetILNS1_3genE9ELNS1_11target_archE1100ELNS1_3gpuE3ELNS1_3repE0EEENS1_30default_config_static_selectorELNS0_4arch9wavefront6targetE0EEEvT1_.private_seg_size, 0
	.set _ZN7rocprim17ROCPRIM_400000_NS6detail17trampoline_kernelINS0_14default_configENS1_25partition_config_selectorILNS1_17partition_subalgoE8ElNS0_10empty_typeEbEEZZNS1_14partition_implILS5_8ELb0ES3_jPlPS6_PKS6_NS0_5tupleIJS9_S6_EEENSD_IJSA_SA_EEENS0_18inequality_wrapperIZN2at6native12_GLOBAL__N_124unique_dim_cuda_templateIN3c108BFloat16EEESt5tupleIJNSH_6TensorESO_SO_EERKSO_lbbbEUlllE0_EEPmJS6_EEE10hipError_tPvRmT3_T4_T5_T6_T7_T9_mT8_P12ihipStream_tbDpT10_ENKUlT_T0_E_clISt17integral_constantIbLb0EES1E_EEDaS19_S1A_EUlS19_E_NS1_11comp_targetILNS1_3genE9ELNS1_11target_archE1100ELNS1_3gpuE3ELNS1_3repE0EEENS1_30default_config_static_selectorELNS0_4arch9wavefront6targetE0EEEvT1_.uses_vcc, 0
	.set _ZN7rocprim17ROCPRIM_400000_NS6detail17trampoline_kernelINS0_14default_configENS1_25partition_config_selectorILNS1_17partition_subalgoE8ElNS0_10empty_typeEbEEZZNS1_14partition_implILS5_8ELb0ES3_jPlPS6_PKS6_NS0_5tupleIJS9_S6_EEENSD_IJSA_SA_EEENS0_18inequality_wrapperIZN2at6native12_GLOBAL__N_124unique_dim_cuda_templateIN3c108BFloat16EEESt5tupleIJNSH_6TensorESO_SO_EERKSO_lbbbEUlllE0_EEPmJS6_EEE10hipError_tPvRmT3_T4_T5_T6_T7_T9_mT8_P12ihipStream_tbDpT10_ENKUlT_T0_E_clISt17integral_constantIbLb0EES1E_EEDaS19_S1A_EUlS19_E_NS1_11comp_targetILNS1_3genE9ELNS1_11target_archE1100ELNS1_3gpuE3ELNS1_3repE0EEENS1_30default_config_static_selectorELNS0_4arch9wavefront6targetE0EEEvT1_.uses_flat_scratch, 0
	.set _ZN7rocprim17ROCPRIM_400000_NS6detail17trampoline_kernelINS0_14default_configENS1_25partition_config_selectorILNS1_17partition_subalgoE8ElNS0_10empty_typeEbEEZZNS1_14partition_implILS5_8ELb0ES3_jPlPS6_PKS6_NS0_5tupleIJS9_S6_EEENSD_IJSA_SA_EEENS0_18inequality_wrapperIZN2at6native12_GLOBAL__N_124unique_dim_cuda_templateIN3c108BFloat16EEESt5tupleIJNSH_6TensorESO_SO_EERKSO_lbbbEUlllE0_EEPmJS6_EEE10hipError_tPvRmT3_T4_T5_T6_T7_T9_mT8_P12ihipStream_tbDpT10_ENKUlT_T0_E_clISt17integral_constantIbLb0EES1E_EEDaS19_S1A_EUlS19_E_NS1_11comp_targetILNS1_3genE9ELNS1_11target_archE1100ELNS1_3gpuE3ELNS1_3repE0EEENS1_30default_config_static_selectorELNS0_4arch9wavefront6targetE0EEEvT1_.has_dyn_sized_stack, 0
	.set _ZN7rocprim17ROCPRIM_400000_NS6detail17trampoline_kernelINS0_14default_configENS1_25partition_config_selectorILNS1_17partition_subalgoE8ElNS0_10empty_typeEbEEZZNS1_14partition_implILS5_8ELb0ES3_jPlPS6_PKS6_NS0_5tupleIJS9_S6_EEENSD_IJSA_SA_EEENS0_18inequality_wrapperIZN2at6native12_GLOBAL__N_124unique_dim_cuda_templateIN3c108BFloat16EEESt5tupleIJNSH_6TensorESO_SO_EERKSO_lbbbEUlllE0_EEPmJS6_EEE10hipError_tPvRmT3_T4_T5_T6_T7_T9_mT8_P12ihipStream_tbDpT10_ENKUlT_T0_E_clISt17integral_constantIbLb0EES1E_EEDaS19_S1A_EUlS19_E_NS1_11comp_targetILNS1_3genE9ELNS1_11target_archE1100ELNS1_3gpuE3ELNS1_3repE0EEENS1_30default_config_static_selectorELNS0_4arch9wavefront6targetE0EEEvT1_.has_recursion, 0
	.set _ZN7rocprim17ROCPRIM_400000_NS6detail17trampoline_kernelINS0_14default_configENS1_25partition_config_selectorILNS1_17partition_subalgoE8ElNS0_10empty_typeEbEEZZNS1_14partition_implILS5_8ELb0ES3_jPlPS6_PKS6_NS0_5tupleIJS9_S6_EEENSD_IJSA_SA_EEENS0_18inequality_wrapperIZN2at6native12_GLOBAL__N_124unique_dim_cuda_templateIN3c108BFloat16EEESt5tupleIJNSH_6TensorESO_SO_EERKSO_lbbbEUlllE0_EEPmJS6_EEE10hipError_tPvRmT3_T4_T5_T6_T7_T9_mT8_P12ihipStream_tbDpT10_ENKUlT_T0_E_clISt17integral_constantIbLb0EES1E_EEDaS19_S1A_EUlS19_E_NS1_11comp_targetILNS1_3genE9ELNS1_11target_archE1100ELNS1_3gpuE3ELNS1_3repE0EEENS1_30default_config_static_selectorELNS0_4arch9wavefront6targetE0EEEvT1_.has_indirect_call, 0
	.section	.AMDGPU.csdata,"",@progbits
; Kernel info:
; codeLenInByte = 0
; TotalNumSgprs: 0
; NumVgprs: 0
; ScratchSize: 0
; MemoryBound: 0
; FloatMode: 240
; IeeeMode: 1
; LDSByteSize: 0 bytes/workgroup (compile time only)
; SGPRBlocks: 0
; VGPRBlocks: 0
; NumSGPRsForWavesPerEU: 1
; NumVGPRsForWavesPerEU: 1
; NamedBarCnt: 0
; Occupancy: 16
; WaveLimiterHint : 0
; COMPUTE_PGM_RSRC2:SCRATCH_EN: 0
; COMPUTE_PGM_RSRC2:USER_SGPR: 2
; COMPUTE_PGM_RSRC2:TRAP_HANDLER: 0
; COMPUTE_PGM_RSRC2:TGID_X_EN: 1
; COMPUTE_PGM_RSRC2:TGID_Y_EN: 0
; COMPUTE_PGM_RSRC2:TGID_Z_EN: 0
; COMPUTE_PGM_RSRC2:TIDIG_COMP_CNT: 0
	.section	.text._ZN7rocprim17ROCPRIM_400000_NS6detail17trampoline_kernelINS0_14default_configENS1_25partition_config_selectorILNS1_17partition_subalgoE8ElNS0_10empty_typeEbEEZZNS1_14partition_implILS5_8ELb0ES3_jPlPS6_PKS6_NS0_5tupleIJS9_S6_EEENSD_IJSA_SA_EEENS0_18inequality_wrapperIZN2at6native12_GLOBAL__N_124unique_dim_cuda_templateIN3c108BFloat16EEESt5tupleIJNSH_6TensorESO_SO_EERKSO_lbbbEUlllE0_EEPmJS6_EEE10hipError_tPvRmT3_T4_T5_T6_T7_T9_mT8_P12ihipStream_tbDpT10_ENKUlT_T0_E_clISt17integral_constantIbLb0EES1E_EEDaS19_S1A_EUlS19_E_NS1_11comp_targetILNS1_3genE8ELNS1_11target_archE1030ELNS1_3gpuE2ELNS1_3repE0EEENS1_30default_config_static_selectorELNS0_4arch9wavefront6targetE0EEEvT1_,"axG",@progbits,_ZN7rocprim17ROCPRIM_400000_NS6detail17trampoline_kernelINS0_14default_configENS1_25partition_config_selectorILNS1_17partition_subalgoE8ElNS0_10empty_typeEbEEZZNS1_14partition_implILS5_8ELb0ES3_jPlPS6_PKS6_NS0_5tupleIJS9_S6_EEENSD_IJSA_SA_EEENS0_18inequality_wrapperIZN2at6native12_GLOBAL__N_124unique_dim_cuda_templateIN3c108BFloat16EEESt5tupleIJNSH_6TensorESO_SO_EERKSO_lbbbEUlllE0_EEPmJS6_EEE10hipError_tPvRmT3_T4_T5_T6_T7_T9_mT8_P12ihipStream_tbDpT10_ENKUlT_T0_E_clISt17integral_constantIbLb0EES1E_EEDaS19_S1A_EUlS19_E_NS1_11comp_targetILNS1_3genE8ELNS1_11target_archE1030ELNS1_3gpuE2ELNS1_3repE0EEENS1_30default_config_static_selectorELNS0_4arch9wavefront6targetE0EEEvT1_,comdat
	.globl	_ZN7rocprim17ROCPRIM_400000_NS6detail17trampoline_kernelINS0_14default_configENS1_25partition_config_selectorILNS1_17partition_subalgoE8ElNS0_10empty_typeEbEEZZNS1_14partition_implILS5_8ELb0ES3_jPlPS6_PKS6_NS0_5tupleIJS9_S6_EEENSD_IJSA_SA_EEENS0_18inequality_wrapperIZN2at6native12_GLOBAL__N_124unique_dim_cuda_templateIN3c108BFloat16EEESt5tupleIJNSH_6TensorESO_SO_EERKSO_lbbbEUlllE0_EEPmJS6_EEE10hipError_tPvRmT3_T4_T5_T6_T7_T9_mT8_P12ihipStream_tbDpT10_ENKUlT_T0_E_clISt17integral_constantIbLb0EES1E_EEDaS19_S1A_EUlS19_E_NS1_11comp_targetILNS1_3genE8ELNS1_11target_archE1030ELNS1_3gpuE2ELNS1_3repE0EEENS1_30default_config_static_selectorELNS0_4arch9wavefront6targetE0EEEvT1_ ; -- Begin function _ZN7rocprim17ROCPRIM_400000_NS6detail17trampoline_kernelINS0_14default_configENS1_25partition_config_selectorILNS1_17partition_subalgoE8ElNS0_10empty_typeEbEEZZNS1_14partition_implILS5_8ELb0ES3_jPlPS6_PKS6_NS0_5tupleIJS9_S6_EEENSD_IJSA_SA_EEENS0_18inequality_wrapperIZN2at6native12_GLOBAL__N_124unique_dim_cuda_templateIN3c108BFloat16EEESt5tupleIJNSH_6TensorESO_SO_EERKSO_lbbbEUlllE0_EEPmJS6_EEE10hipError_tPvRmT3_T4_T5_T6_T7_T9_mT8_P12ihipStream_tbDpT10_ENKUlT_T0_E_clISt17integral_constantIbLb0EES1E_EEDaS19_S1A_EUlS19_E_NS1_11comp_targetILNS1_3genE8ELNS1_11target_archE1030ELNS1_3gpuE2ELNS1_3repE0EEENS1_30default_config_static_selectorELNS0_4arch9wavefront6targetE0EEEvT1_
	.p2align	8
	.type	_ZN7rocprim17ROCPRIM_400000_NS6detail17trampoline_kernelINS0_14default_configENS1_25partition_config_selectorILNS1_17partition_subalgoE8ElNS0_10empty_typeEbEEZZNS1_14partition_implILS5_8ELb0ES3_jPlPS6_PKS6_NS0_5tupleIJS9_S6_EEENSD_IJSA_SA_EEENS0_18inequality_wrapperIZN2at6native12_GLOBAL__N_124unique_dim_cuda_templateIN3c108BFloat16EEESt5tupleIJNSH_6TensorESO_SO_EERKSO_lbbbEUlllE0_EEPmJS6_EEE10hipError_tPvRmT3_T4_T5_T6_T7_T9_mT8_P12ihipStream_tbDpT10_ENKUlT_T0_E_clISt17integral_constantIbLb0EES1E_EEDaS19_S1A_EUlS19_E_NS1_11comp_targetILNS1_3genE8ELNS1_11target_archE1030ELNS1_3gpuE2ELNS1_3repE0EEENS1_30default_config_static_selectorELNS0_4arch9wavefront6targetE0EEEvT1_,@function
_ZN7rocprim17ROCPRIM_400000_NS6detail17trampoline_kernelINS0_14default_configENS1_25partition_config_selectorILNS1_17partition_subalgoE8ElNS0_10empty_typeEbEEZZNS1_14partition_implILS5_8ELb0ES3_jPlPS6_PKS6_NS0_5tupleIJS9_S6_EEENSD_IJSA_SA_EEENS0_18inequality_wrapperIZN2at6native12_GLOBAL__N_124unique_dim_cuda_templateIN3c108BFloat16EEESt5tupleIJNSH_6TensorESO_SO_EERKSO_lbbbEUlllE0_EEPmJS6_EEE10hipError_tPvRmT3_T4_T5_T6_T7_T9_mT8_P12ihipStream_tbDpT10_ENKUlT_T0_E_clISt17integral_constantIbLb0EES1E_EEDaS19_S1A_EUlS19_E_NS1_11comp_targetILNS1_3genE8ELNS1_11target_archE1030ELNS1_3gpuE2ELNS1_3repE0EEENS1_30default_config_static_selectorELNS0_4arch9wavefront6targetE0EEEvT1_: ; @_ZN7rocprim17ROCPRIM_400000_NS6detail17trampoline_kernelINS0_14default_configENS1_25partition_config_selectorILNS1_17partition_subalgoE8ElNS0_10empty_typeEbEEZZNS1_14partition_implILS5_8ELb0ES3_jPlPS6_PKS6_NS0_5tupleIJS9_S6_EEENSD_IJSA_SA_EEENS0_18inequality_wrapperIZN2at6native12_GLOBAL__N_124unique_dim_cuda_templateIN3c108BFloat16EEESt5tupleIJNSH_6TensorESO_SO_EERKSO_lbbbEUlllE0_EEPmJS6_EEE10hipError_tPvRmT3_T4_T5_T6_T7_T9_mT8_P12ihipStream_tbDpT10_ENKUlT_T0_E_clISt17integral_constantIbLb0EES1E_EEDaS19_S1A_EUlS19_E_NS1_11comp_targetILNS1_3genE8ELNS1_11target_archE1030ELNS1_3gpuE2ELNS1_3repE0EEENS1_30default_config_static_selectorELNS0_4arch9wavefront6targetE0EEEvT1_
; %bb.0:
	.section	.rodata,"a",@progbits
	.p2align	6, 0x0
	.amdhsa_kernel _ZN7rocprim17ROCPRIM_400000_NS6detail17trampoline_kernelINS0_14default_configENS1_25partition_config_selectorILNS1_17partition_subalgoE8ElNS0_10empty_typeEbEEZZNS1_14partition_implILS5_8ELb0ES3_jPlPS6_PKS6_NS0_5tupleIJS9_S6_EEENSD_IJSA_SA_EEENS0_18inequality_wrapperIZN2at6native12_GLOBAL__N_124unique_dim_cuda_templateIN3c108BFloat16EEESt5tupleIJNSH_6TensorESO_SO_EERKSO_lbbbEUlllE0_EEPmJS6_EEE10hipError_tPvRmT3_T4_T5_T6_T7_T9_mT8_P12ihipStream_tbDpT10_ENKUlT_T0_E_clISt17integral_constantIbLb0EES1E_EEDaS19_S1A_EUlS19_E_NS1_11comp_targetILNS1_3genE8ELNS1_11target_archE1030ELNS1_3gpuE2ELNS1_3repE0EEENS1_30default_config_static_selectorELNS0_4arch9wavefront6targetE0EEEvT1_
		.amdhsa_group_segment_fixed_size 0
		.amdhsa_private_segment_fixed_size 0
		.amdhsa_kernarg_size 120
		.amdhsa_user_sgpr_count 2
		.amdhsa_user_sgpr_dispatch_ptr 0
		.amdhsa_user_sgpr_queue_ptr 0
		.amdhsa_user_sgpr_kernarg_segment_ptr 1
		.amdhsa_user_sgpr_dispatch_id 0
		.amdhsa_user_sgpr_kernarg_preload_length 0
		.amdhsa_user_sgpr_kernarg_preload_offset 0
		.amdhsa_user_sgpr_private_segment_size 0
		.amdhsa_wavefront_size32 1
		.amdhsa_uses_dynamic_stack 0
		.amdhsa_enable_private_segment 0
		.amdhsa_system_sgpr_workgroup_id_x 1
		.amdhsa_system_sgpr_workgroup_id_y 0
		.amdhsa_system_sgpr_workgroup_id_z 0
		.amdhsa_system_sgpr_workgroup_info 0
		.amdhsa_system_vgpr_workitem_id 0
		.amdhsa_next_free_vgpr 1
		.amdhsa_next_free_sgpr 1
		.amdhsa_named_barrier_count 0
		.amdhsa_reserve_vcc 0
		.amdhsa_float_round_mode_32 0
		.amdhsa_float_round_mode_16_64 0
		.amdhsa_float_denorm_mode_32 3
		.amdhsa_float_denorm_mode_16_64 3
		.amdhsa_fp16_overflow 0
		.amdhsa_memory_ordered 1
		.amdhsa_forward_progress 1
		.amdhsa_inst_pref_size 0
		.amdhsa_round_robin_scheduling 0
		.amdhsa_exception_fp_ieee_invalid_op 0
		.amdhsa_exception_fp_denorm_src 0
		.amdhsa_exception_fp_ieee_div_zero 0
		.amdhsa_exception_fp_ieee_overflow 0
		.amdhsa_exception_fp_ieee_underflow 0
		.amdhsa_exception_fp_ieee_inexact 0
		.amdhsa_exception_int_div_zero 0
	.end_amdhsa_kernel
	.section	.text._ZN7rocprim17ROCPRIM_400000_NS6detail17trampoline_kernelINS0_14default_configENS1_25partition_config_selectorILNS1_17partition_subalgoE8ElNS0_10empty_typeEbEEZZNS1_14partition_implILS5_8ELb0ES3_jPlPS6_PKS6_NS0_5tupleIJS9_S6_EEENSD_IJSA_SA_EEENS0_18inequality_wrapperIZN2at6native12_GLOBAL__N_124unique_dim_cuda_templateIN3c108BFloat16EEESt5tupleIJNSH_6TensorESO_SO_EERKSO_lbbbEUlllE0_EEPmJS6_EEE10hipError_tPvRmT3_T4_T5_T6_T7_T9_mT8_P12ihipStream_tbDpT10_ENKUlT_T0_E_clISt17integral_constantIbLb0EES1E_EEDaS19_S1A_EUlS19_E_NS1_11comp_targetILNS1_3genE8ELNS1_11target_archE1030ELNS1_3gpuE2ELNS1_3repE0EEENS1_30default_config_static_selectorELNS0_4arch9wavefront6targetE0EEEvT1_,"axG",@progbits,_ZN7rocprim17ROCPRIM_400000_NS6detail17trampoline_kernelINS0_14default_configENS1_25partition_config_selectorILNS1_17partition_subalgoE8ElNS0_10empty_typeEbEEZZNS1_14partition_implILS5_8ELb0ES3_jPlPS6_PKS6_NS0_5tupleIJS9_S6_EEENSD_IJSA_SA_EEENS0_18inequality_wrapperIZN2at6native12_GLOBAL__N_124unique_dim_cuda_templateIN3c108BFloat16EEESt5tupleIJNSH_6TensorESO_SO_EERKSO_lbbbEUlllE0_EEPmJS6_EEE10hipError_tPvRmT3_T4_T5_T6_T7_T9_mT8_P12ihipStream_tbDpT10_ENKUlT_T0_E_clISt17integral_constantIbLb0EES1E_EEDaS19_S1A_EUlS19_E_NS1_11comp_targetILNS1_3genE8ELNS1_11target_archE1030ELNS1_3gpuE2ELNS1_3repE0EEENS1_30default_config_static_selectorELNS0_4arch9wavefront6targetE0EEEvT1_,comdat
.Lfunc_end1181:
	.size	_ZN7rocprim17ROCPRIM_400000_NS6detail17trampoline_kernelINS0_14default_configENS1_25partition_config_selectorILNS1_17partition_subalgoE8ElNS0_10empty_typeEbEEZZNS1_14partition_implILS5_8ELb0ES3_jPlPS6_PKS6_NS0_5tupleIJS9_S6_EEENSD_IJSA_SA_EEENS0_18inequality_wrapperIZN2at6native12_GLOBAL__N_124unique_dim_cuda_templateIN3c108BFloat16EEESt5tupleIJNSH_6TensorESO_SO_EERKSO_lbbbEUlllE0_EEPmJS6_EEE10hipError_tPvRmT3_T4_T5_T6_T7_T9_mT8_P12ihipStream_tbDpT10_ENKUlT_T0_E_clISt17integral_constantIbLb0EES1E_EEDaS19_S1A_EUlS19_E_NS1_11comp_targetILNS1_3genE8ELNS1_11target_archE1030ELNS1_3gpuE2ELNS1_3repE0EEENS1_30default_config_static_selectorELNS0_4arch9wavefront6targetE0EEEvT1_, .Lfunc_end1181-_ZN7rocprim17ROCPRIM_400000_NS6detail17trampoline_kernelINS0_14default_configENS1_25partition_config_selectorILNS1_17partition_subalgoE8ElNS0_10empty_typeEbEEZZNS1_14partition_implILS5_8ELb0ES3_jPlPS6_PKS6_NS0_5tupleIJS9_S6_EEENSD_IJSA_SA_EEENS0_18inequality_wrapperIZN2at6native12_GLOBAL__N_124unique_dim_cuda_templateIN3c108BFloat16EEESt5tupleIJNSH_6TensorESO_SO_EERKSO_lbbbEUlllE0_EEPmJS6_EEE10hipError_tPvRmT3_T4_T5_T6_T7_T9_mT8_P12ihipStream_tbDpT10_ENKUlT_T0_E_clISt17integral_constantIbLb0EES1E_EEDaS19_S1A_EUlS19_E_NS1_11comp_targetILNS1_3genE8ELNS1_11target_archE1030ELNS1_3gpuE2ELNS1_3repE0EEENS1_30default_config_static_selectorELNS0_4arch9wavefront6targetE0EEEvT1_
                                        ; -- End function
	.set _ZN7rocprim17ROCPRIM_400000_NS6detail17trampoline_kernelINS0_14default_configENS1_25partition_config_selectorILNS1_17partition_subalgoE8ElNS0_10empty_typeEbEEZZNS1_14partition_implILS5_8ELb0ES3_jPlPS6_PKS6_NS0_5tupleIJS9_S6_EEENSD_IJSA_SA_EEENS0_18inequality_wrapperIZN2at6native12_GLOBAL__N_124unique_dim_cuda_templateIN3c108BFloat16EEESt5tupleIJNSH_6TensorESO_SO_EERKSO_lbbbEUlllE0_EEPmJS6_EEE10hipError_tPvRmT3_T4_T5_T6_T7_T9_mT8_P12ihipStream_tbDpT10_ENKUlT_T0_E_clISt17integral_constantIbLb0EES1E_EEDaS19_S1A_EUlS19_E_NS1_11comp_targetILNS1_3genE8ELNS1_11target_archE1030ELNS1_3gpuE2ELNS1_3repE0EEENS1_30default_config_static_selectorELNS0_4arch9wavefront6targetE0EEEvT1_.num_vgpr, 0
	.set _ZN7rocprim17ROCPRIM_400000_NS6detail17trampoline_kernelINS0_14default_configENS1_25partition_config_selectorILNS1_17partition_subalgoE8ElNS0_10empty_typeEbEEZZNS1_14partition_implILS5_8ELb0ES3_jPlPS6_PKS6_NS0_5tupleIJS9_S6_EEENSD_IJSA_SA_EEENS0_18inequality_wrapperIZN2at6native12_GLOBAL__N_124unique_dim_cuda_templateIN3c108BFloat16EEESt5tupleIJNSH_6TensorESO_SO_EERKSO_lbbbEUlllE0_EEPmJS6_EEE10hipError_tPvRmT3_T4_T5_T6_T7_T9_mT8_P12ihipStream_tbDpT10_ENKUlT_T0_E_clISt17integral_constantIbLb0EES1E_EEDaS19_S1A_EUlS19_E_NS1_11comp_targetILNS1_3genE8ELNS1_11target_archE1030ELNS1_3gpuE2ELNS1_3repE0EEENS1_30default_config_static_selectorELNS0_4arch9wavefront6targetE0EEEvT1_.num_agpr, 0
	.set _ZN7rocprim17ROCPRIM_400000_NS6detail17trampoline_kernelINS0_14default_configENS1_25partition_config_selectorILNS1_17partition_subalgoE8ElNS0_10empty_typeEbEEZZNS1_14partition_implILS5_8ELb0ES3_jPlPS6_PKS6_NS0_5tupleIJS9_S6_EEENSD_IJSA_SA_EEENS0_18inequality_wrapperIZN2at6native12_GLOBAL__N_124unique_dim_cuda_templateIN3c108BFloat16EEESt5tupleIJNSH_6TensorESO_SO_EERKSO_lbbbEUlllE0_EEPmJS6_EEE10hipError_tPvRmT3_T4_T5_T6_T7_T9_mT8_P12ihipStream_tbDpT10_ENKUlT_T0_E_clISt17integral_constantIbLb0EES1E_EEDaS19_S1A_EUlS19_E_NS1_11comp_targetILNS1_3genE8ELNS1_11target_archE1030ELNS1_3gpuE2ELNS1_3repE0EEENS1_30default_config_static_selectorELNS0_4arch9wavefront6targetE0EEEvT1_.numbered_sgpr, 0
	.set _ZN7rocprim17ROCPRIM_400000_NS6detail17trampoline_kernelINS0_14default_configENS1_25partition_config_selectorILNS1_17partition_subalgoE8ElNS0_10empty_typeEbEEZZNS1_14partition_implILS5_8ELb0ES3_jPlPS6_PKS6_NS0_5tupleIJS9_S6_EEENSD_IJSA_SA_EEENS0_18inequality_wrapperIZN2at6native12_GLOBAL__N_124unique_dim_cuda_templateIN3c108BFloat16EEESt5tupleIJNSH_6TensorESO_SO_EERKSO_lbbbEUlllE0_EEPmJS6_EEE10hipError_tPvRmT3_T4_T5_T6_T7_T9_mT8_P12ihipStream_tbDpT10_ENKUlT_T0_E_clISt17integral_constantIbLb0EES1E_EEDaS19_S1A_EUlS19_E_NS1_11comp_targetILNS1_3genE8ELNS1_11target_archE1030ELNS1_3gpuE2ELNS1_3repE0EEENS1_30default_config_static_selectorELNS0_4arch9wavefront6targetE0EEEvT1_.num_named_barrier, 0
	.set _ZN7rocprim17ROCPRIM_400000_NS6detail17trampoline_kernelINS0_14default_configENS1_25partition_config_selectorILNS1_17partition_subalgoE8ElNS0_10empty_typeEbEEZZNS1_14partition_implILS5_8ELb0ES3_jPlPS6_PKS6_NS0_5tupleIJS9_S6_EEENSD_IJSA_SA_EEENS0_18inequality_wrapperIZN2at6native12_GLOBAL__N_124unique_dim_cuda_templateIN3c108BFloat16EEESt5tupleIJNSH_6TensorESO_SO_EERKSO_lbbbEUlllE0_EEPmJS6_EEE10hipError_tPvRmT3_T4_T5_T6_T7_T9_mT8_P12ihipStream_tbDpT10_ENKUlT_T0_E_clISt17integral_constantIbLb0EES1E_EEDaS19_S1A_EUlS19_E_NS1_11comp_targetILNS1_3genE8ELNS1_11target_archE1030ELNS1_3gpuE2ELNS1_3repE0EEENS1_30default_config_static_selectorELNS0_4arch9wavefront6targetE0EEEvT1_.private_seg_size, 0
	.set _ZN7rocprim17ROCPRIM_400000_NS6detail17trampoline_kernelINS0_14default_configENS1_25partition_config_selectorILNS1_17partition_subalgoE8ElNS0_10empty_typeEbEEZZNS1_14partition_implILS5_8ELb0ES3_jPlPS6_PKS6_NS0_5tupleIJS9_S6_EEENSD_IJSA_SA_EEENS0_18inequality_wrapperIZN2at6native12_GLOBAL__N_124unique_dim_cuda_templateIN3c108BFloat16EEESt5tupleIJNSH_6TensorESO_SO_EERKSO_lbbbEUlllE0_EEPmJS6_EEE10hipError_tPvRmT3_T4_T5_T6_T7_T9_mT8_P12ihipStream_tbDpT10_ENKUlT_T0_E_clISt17integral_constantIbLb0EES1E_EEDaS19_S1A_EUlS19_E_NS1_11comp_targetILNS1_3genE8ELNS1_11target_archE1030ELNS1_3gpuE2ELNS1_3repE0EEENS1_30default_config_static_selectorELNS0_4arch9wavefront6targetE0EEEvT1_.uses_vcc, 0
	.set _ZN7rocprim17ROCPRIM_400000_NS6detail17trampoline_kernelINS0_14default_configENS1_25partition_config_selectorILNS1_17partition_subalgoE8ElNS0_10empty_typeEbEEZZNS1_14partition_implILS5_8ELb0ES3_jPlPS6_PKS6_NS0_5tupleIJS9_S6_EEENSD_IJSA_SA_EEENS0_18inequality_wrapperIZN2at6native12_GLOBAL__N_124unique_dim_cuda_templateIN3c108BFloat16EEESt5tupleIJNSH_6TensorESO_SO_EERKSO_lbbbEUlllE0_EEPmJS6_EEE10hipError_tPvRmT3_T4_T5_T6_T7_T9_mT8_P12ihipStream_tbDpT10_ENKUlT_T0_E_clISt17integral_constantIbLb0EES1E_EEDaS19_S1A_EUlS19_E_NS1_11comp_targetILNS1_3genE8ELNS1_11target_archE1030ELNS1_3gpuE2ELNS1_3repE0EEENS1_30default_config_static_selectorELNS0_4arch9wavefront6targetE0EEEvT1_.uses_flat_scratch, 0
	.set _ZN7rocprim17ROCPRIM_400000_NS6detail17trampoline_kernelINS0_14default_configENS1_25partition_config_selectorILNS1_17partition_subalgoE8ElNS0_10empty_typeEbEEZZNS1_14partition_implILS5_8ELb0ES3_jPlPS6_PKS6_NS0_5tupleIJS9_S6_EEENSD_IJSA_SA_EEENS0_18inequality_wrapperIZN2at6native12_GLOBAL__N_124unique_dim_cuda_templateIN3c108BFloat16EEESt5tupleIJNSH_6TensorESO_SO_EERKSO_lbbbEUlllE0_EEPmJS6_EEE10hipError_tPvRmT3_T4_T5_T6_T7_T9_mT8_P12ihipStream_tbDpT10_ENKUlT_T0_E_clISt17integral_constantIbLb0EES1E_EEDaS19_S1A_EUlS19_E_NS1_11comp_targetILNS1_3genE8ELNS1_11target_archE1030ELNS1_3gpuE2ELNS1_3repE0EEENS1_30default_config_static_selectorELNS0_4arch9wavefront6targetE0EEEvT1_.has_dyn_sized_stack, 0
	.set _ZN7rocprim17ROCPRIM_400000_NS6detail17trampoline_kernelINS0_14default_configENS1_25partition_config_selectorILNS1_17partition_subalgoE8ElNS0_10empty_typeEbEEZZNS1_14partition_implILS5_8ELb0ES3_jPlPS6_PKS6_NS0_5tupleIJS9_S6_EEENSD_IJSA_SA_EEENS0_18inequality_wrapperIZN2at6native12_GLOBAL__N_124unique_dim_cuda_templateIN3c108BFloat16EEESt5tupleIJNSH_6TensorESO_SO_EERKSO_lbbbEUlllE0_EEPmJS6_EEE10hipError_tPvRmT3_T4_T5_T6_T7_T9_mT8_P12ihipStream_tbDpT10_ENKUlT_T0_E_clISt17integral_constantIbLb0EES1E_EEDaS19_S1A_EUlS19_E_NS1_11comp_targetILNS1_3genE8ELNS1_11target_archE1030ELNS1_3gpuE2ELNS1_3repE0EEENS1_30default_config_static_selectorELNS0_4arch9wavefront6targetE0EEEvT1_.has_recursion, 0
	.set _ZN7rocprim17ROCPRIM_400000_NS6detail17trampoline_kernelINS0_14default_configENS1_25partition_config_selectorILNS1_17partition_subalgoE8ElNS0_10empty_typeEbEEZZNS1_14partition_implILS5_8ELb0ES3_jPlPS6_PKS6_NS0_5tupleIJS9_S6_EEENSD_IJSA_SA_EEENS0_18inequality_wrapperIZN2at6native12_GLOBAL__N_124unique_dim_cuda_templateIN3c108BFloat16EEESt5tupleIJNSH_6TensorESO_SO_EERKSO_lbbbEUlllE0_EEPmJS6_EEE10hipError_tPvRmT3_T4_T5_T6_T7_T9_mT8_P12ihipStream_tbDpT10_ENKUlT_T0_E_clISt17integral_constantIbLb0EES1E_EEDaS19_S1A_EUlS19_E_NS1_11comp_targetILNS1_3genE8ELNS1_11target_archE1030ELNS1_3gpuE2ELNS1_3repE0EEENS1_30default_config_static_selectorELNS0_4arch9wavefront6targetE0EEEvT1_.has_indirect_call, 0
	.section	.AMDGPU.csdata,"",@progbits
; Kernel info:
; codeLenInByte = 0
; TotalNumSgprs: 0
; NumVgprs: 0
; ScratchSize: 0
; MemoryBound: 0
; FloatMode: 240
; IeeeMode: 1
; LDSByteSize: 0 bytes/workgroup (compile time only)
; SGPRBlocks: 0
; VGPRBlocks: 0
; NumSGPRsForWavesPerEU: 1
; NumVGPRsForWavesPerEU: 1
; NamedBarCnt: 0
; Occupancy: 16
; WaveLimiterHint : 0
; COMPUTE_PGM_RSRC2:SCRATCH_EN: 0
; COMPUTE_PGM_RSRC2:USER_SGPR: 2
; COMPUTE_PGM_RSRC2:TRAP_HANDLER: 0
; COMPUTE_PGM_RSRC2:TGID_X_EN: 1
; COMPUTE_PGM_RSRC2:TGID_Y_EN: 0
; COMPUTE_PGM_RSRC2:TGID_Z_EN: 0
; COMPUTE_PGM_RSRC2:TIDIG_COMP_CNT: 0
	.section	.text._ZN7rocprim17ROCPRIM_400000_NS6detail17trampoline_kernelINS0_14default_configENS1_25partition_config_selectorILNS1_17partition_subalgoE8ElNS0_10empty_typeEbEEZZNS1_14partition_implILS5_8ELb0ES3_jPlPS6_PKS6_NS0_5tupleIJS9_S6_EEENSD_IJSA_SA_EEENS0_18inequality_wrapperIZN2at6native12_GLOBAL__N_124unique_dim_cuda_templateIN3c108BFloat16EEESt5tupleIJNSH_6TensorESO_SO_EERKSO_lbbbEUlllE0_EEPmJS6_EEE10hipError_tPvRmT3_T4_T5_T6_T7_T9_mT8_P12ihipStream_tbDpT10_ENKUlT_T0_E_clISt17integral_constantIbLb1EES1E_EEDaS19_S1A_EUlS19_E_NS1_11comp_targetILNS1_3genE0ELNS1_11target_archE4294967295ELNS1_3gpuE0ELNS1_3repE0EEENS1_30default_config_static_selectorELNS0_4arch9wavefront6targetE0EEEvT1_,"axG",@progbits,_ZN7rocprim17ROCPRIM_400000_NS6detail17trampoline_kernelINS0_14default_configENS1_25partition_config_selectorILNS1_17partition_subalgoE8ElNS0_10empty_typeEbEEZZNS1_14partition_implILS5_8ELb0ES3_jPlPS6_PKS6_NS0_5tupleIJS9_S6_EEENSD_IJSA_SA_EEENS0_18inequality_wrapperIZN2at6native12_GLOBAL__N_124unique_dim_cuda_templateIN3c108BFloat16EEESt5tupleIJNSH_6TensorESO_SO_EERKSO_lbbbEUlllE0_EEPmJS6_EEE10hipError_tPvRmT3_T4_T5_T6_T7_T9_mT8_P12ihipStream_tbDpT10_ENKUlT_T0_E_clISt17integral_constantIbLb1EES1E_EEDaS19_S1A_EUlS19_E_NS1_11comp_targetILNS1_3genE0ELNS1_11target_archE4294967295ELNS1_3gpuE0ELNS1_3repE0EEENS1_30default_config_static_selectorELNS0_4arch9wavefront6targetE0EEEvT1_,comdat
	.globl	_ZN7rocprim17ROCPRIM_400000_NS6detail17trampoline_kernelINS0_14default_configENS1_25partition_config_selectorILNS1_17partition_subalgoE8ElNS0_10empty_typeEbEEZZNS1_14partition_implILS5_8ELb0ES3_jPlPS6_PKS6_NS0_5tupleIJS9_S6_EEENSD_IJSA_SA_EEENS0_18inequality_wrapperIZN2at6native12_GLOBAL__N_124unique_dim_cuda_templateIN3c108BFloat16EEESt5tupleIJNSH_6TensorESO_SO_EERKSO_lbbbEUlllE0_EEPmJS6_EEE10hipError_tPvRmT3_T4_T5_T6_T7_T9_mT8_P12ihipStream_tbDpT10_ENKUlT_T0_E_clISt17integral_constantIbLb1EES1E_EEDaS19_S1A_EUlS19_E_NS1_11comp_targetILNS1_3genE0ELNS1_11target_archE4294967295ELNS1_3gpuE0ELNS1_3repE0EEENS1_30default_config_static_selectorELNS0_4arch9wavefront6targetE0EEEvT1_ ; -- Begin function _ZN7rocprim17ROCPRIM_400000_NS6detail17trampoline_kernelINS0_14default_configENS1_25partition_config_selectorILNS1_17partition_subalgoE8ElNS0_10empty_typeEbEEZZNS1_14partition_implILS5_8ELb0ES3_jPlPS6_PKS6_NS0_5tupleIJS9_S6_EEENSD_IJSA_SA_EEENS0_18inequality_wrapperIZN2at6native12_GLOBAL__N_124unique_dim_cuda_templateIN3c108BFloat16EEESt5tupleIJNSH_6TensorESO_SO_EERKSO_lbbbEUlllE0_EEPmJS6_EEE10hipError_tPvRmT3_T4_T5_T6_T7_T9_mT8_P12ihipStream_tbDpT10_ENKUlT_T0_E_clISt17integral_constantIbLb1EES1E_EEDaS19_S1A_EUlS19_E_NS1_11comp_targetILNS1_3genE0ELNS1_11target_archE4294967295ELNS1_3gpuE0ELNS1_3repE0EEENS1_30default_config_static_selectorELNS0_4arch9wavefront6targetE0EEEvT1_
	.p2align	8
	.type	_ZN7rocprim17ROCPRIM_400000_NS6detail17trampoline_kernelINS0_14default_configENS1_25partition_config_selectorILNS1_17partition_subalgoE8ElNS0_10empty_typeEbEEZZNS1_14partition_implILS5_8ELb0ES3_jPlPS6_PKS6_NS0_5tupleIJS9_S6_EEENSD_IJSA_SA_EEENS0_18inequality_wrapperIZN2at6native12_GLOBAL__N_124unique_dim_cuda_templateIN3c108BFloat16EEESt5tupleIJNSH_6TensorESO_SO_EERKSO_lbbbEUlllE0_EEPmJS6_EEE10hipError_tPvRmT3_T4_T5_T6_T7_T9_mT8_P12ihipStream_tbDpT10_ENKUlT_T0_E_clISt17integral_constantIbLb1EES1E_EEDaS19_S1A_EUlS19_E_NS1_11comp_targetILNS1_3genE0ELNS1_11target_archE4294967295ELNS1_3gpuE0ELNS1_3repE0EEENS1_30default_config_static_selectorELNS0_4arch9wavefront6targetE0EEEvT1_,@function
_ZN7rocprim17ROCPRIM_400000_NS6detail17trampoline_kernelINS0_14default_configENS1_25partition_config_selectorILNS1_17partition_subalgoE8ElNS0_10empty_typeEbEEZZNS1_14partition_implILS5_8ELb0ES3_jPlPS6_PKS6_NS0_5tupleIJS9_S6_EEENSD_IJSA_SA_EEENS0_18inequality_wrapperIZN2at6native12_GLOBAL__N_124unique_dim_cuda_templateIN3c108BFloat16EEESt5tupleIJNSH_6TensorESO_SO_EERKSO_lbbbEUlllE0_EEPmJS6_EEE10hipError_tPvRmT3_T4_T5_T6_T7_T9_mT8_P12ihipStream_tbDpT10_ENKUlT_T0_E_clISt17integral_constantIbLb1EES1E_EEDaS19_S1A_EUlS19_E_NS1_11comp_targetILNS1_3genE0ELNS1_11target_archE4294967295ELNS1_3gpuE0ELNS1_3repE0EEENS1_30default_config_static_selectorELNS0_4arch9wavefront6targetE0EEEvT1_: ; @_ZN7rocprim17ROCPRIM_400000_NS6detail17trampoline_kernelINS0_14default_configENS1_25partition_config_selectorILNS1_17partition_subalgoE8ElNS0_10empty_typeEbEEZZNS1_14partition_implILS5_8ELb0ES3_jPlPS6_PKS6_NS0_5tupleIJS9_S6_EEENSD_IJSA_SA_EEENS0_18inequality_wrapperIZN2at6native12_GLOBAL__N_124unique_dim_cuda_templateIN3c108BFloat16EEESt5tupleIJNSH_6TensorESO_SO_EERKSO_lbbbEUlllE0_EEPmJS6_EEE10hipError_tPvRmT3_T4_T5_T6_T7_T9_mT8_P12ihipStream_tbDpT10_ENKUlT_T0_E_clISt17integral_constantIbLb1EES1E_EEDaS19_S1A_EUlS19_E_NS1_11comp_targetILNS1_3genE0ELNS1_11target_archE4294967295ELNS1_3gpuE0ELNS1_3repE0EEENS1_30default_config_static_selectorELNS0_4arch9wavefront6targetE0EEEvT1_
; %bb.0:
	s_endpgm
	.section	.rodata,"a",@progbits
	.p2align	6, 0x0
	.amdhsa_kernel _ZN7rocprim17ROCPRIM_400000_NS6detail17trampoline_kernelINS0_14default_configENS1_25partition_config_selectorILNS1_17partition_subalgoE8ElNS0_10empty_typeEbEEZZNS1_14partition_implILS5_8ELb0ES3_jPlPS6_PKS6_NS0_5tupleIJS9_S6_EEENSD_IJSA_SA_EEENS0_18inequality_wrapperIZN2at6native12_GLOBAL__N_124unique_dim_cuda_templateIN3c108BFloat16EEESt5tupleIJNSH_6TensorESO_SO_EERKSO_lbbbEUlllE0_EEPmJS6_EEE10hipError_tPvRmT3_T4_T5_T6_T7_T9_mT8_P12ihipStream_tbDpT10_ENKUlT_T0_E_clISt17integral_constantIbLb1EES1E_EEDaS19_S1A_EUlS19_E_NS1_11comp_targetILNS1_3genE0ELNS1_11target_archE4294967295ELNS1_3gpuE0ELNS1_3repE0EEENS1_30default_config_static_selectorELNS0_4arch9wavefront6targetE0EEEvT1_
		.amdhsa_group_segment_fixed_size 0
		.amdhsa_private_segment_fixed_size 0
		.amdhsa_kernarg_size 136
		.amdhsa_user_sgpr_count 2
		.amdhsa_user_sgpr_dispatch_ptr 0
		.amdhsa_user_sgpr_queue_ptr 0
		.amdhsa_user_sgpr_kernarg_segment_ptr 1
		.amdhsa_user_sgpr_dispatch_id 0
		.amdhsa_user_sgpr_kernarg_preload_length 0
		.amdhsa_user_sgpr_kernarg_preload_offset 0
		.amdhsa_user_sgpr_private_segment_size 0
		.amdhsa_wavefront_size32 1
		.amdhsa_uses_dynamic_stack 0
		.amdhsa_enable_private_segment 0
		.amdhsa_system_sgpr_workgroup_id_x 1
		.amdhsa_system_sgpr_workgroup_id_y 0
		.amdhsa_system_sgpr_workgroup_id_z 0
		.amdhsa_system_sgpr_workgroup_info 0
		.amdhsa_system_vgpr_workitem_id 0
		.amdhsa_next_free_vgpr 1
		.amdhsa_next_free_sgpr 1
		.amdhsa_named_barrier_count 0
		.amdhsa_reserve_vcc 0
		.amdhsa_float_round_mode_32 0
		.amdhsa_float_round_mode_16_64 0
		.amdhsa_float_denorm_mode_32 3
		.amdhsa_float_denorm_mode_16_64 3
		.amdhsa_fp16_overflow 0
		.amdhsa_memory_ordered 1
		.amdhsa_forward_progress 1
		.amdhsa_inst_pref_size 1
		.amdhsa_round_robin_scheduling 0
		.amdhsa_exception_fp_ieee_invalid_op 0
		.amdhsa_exception_fp_denorm_src 0
		.amdhsa_exception_fp_ieee_div_zero 0
		.amdhsa_exception_fp_ieee_overflow 0
		.amdhsa_exception_fp_ieee_underflow 0
		.amdhsa_exception_fp_ieee_inexact 0
		.amdhsa_exception_int_div_zero 0
	.end_amdhsa_kernel
	.section	.text._ZN7rocprim17ROCPRIM_400000_NS6detail17trampoline_kernelINS0_14default_configENS1_25partition_config_selectorILNS1_17partition_subalgoE8ElNS0_10empty_typeEbEEZZNS1_14partition_implILS5_8ELb0ES3_jPlPS6_PKS6_NS0_5tupleIJS9_S6_EEENSD_IJSA_SA_EEENS0_18inequality_wrapperIZN2at6native12_GLOBAL__N_124unique_dim_cuda_templateIN3c108BFloat16EEESt5tupleIJNSH_6TensorESO_SO_EERKSO_lbbbEUlllE0_EEPmJS6_EEE10hipError_tPvRmT3_T4_T5_T6_T7_T9_mT8_P12ihipStream_tbDpT10_ENKUlT_T0_E_clISt17integral_constantIbLb1EES1E_EEDaS19_S1A_EUlS19_E_NS1_11comp_targetILNS1_3genE0ELNS1_11target_archE4294967295ELNS1_3gpuE0ELNS1_3repE0EEENS1_30default_config_static_selectorELNS0_4arch9wavefront6targetE0EEEvT1_,"axG",@progbits,_ZN7rocprim17ROCPRIM_400000_NS6detail17trampoline_kernelINS0_14default_configENS1_25partition_config_selectorILNS1_17partition_subalgoE8ElNS0_10empty_typeEbEEZZNS1_14partition_implILS5_8ELb0ES3_jPlPS6_PKS6_NS0_5tupleIJS9_S6_EEENSD_IJSA_SA_EEENS0_18inequality_wrapperIZN2at6native12_GLOBAL__N_124unique_dim_cuda_templateIN3c108BFloat16EEESt5tupleIJNSH_6TensorESO_SO_EERKSO_lbbbEUlllE0_EEPmJS6_EEE10hipError_tPvRmT3_T4_T5_T6_T7_T9_mT8_P12ihipStream_tbDpT10_ENKUlT_T0_E_clISt17integral_constantIbLb1EES1E_EEDaS19_S1A_EUlS19_E_NS1_11comp_targetILNS1_3genE0ELNS1_11target_archE4294967295ELNS1_3gpuE0ELNS1_3repE0EEENS1_30default_config_static_selectorELNS0_4arch9wavefront6targetE0EEEvT1_,comdat
.Lfunc_end1182:
	.size	_ZN7rocprim17ROCPRIM_400000_NS6detail17trampoline_kernelINS0_14default_configENS1_25partition_config_selectorILNS1_17partition_subalgoE8ElNS0_10empty_typeEbEEZZNS1_14partition_implILS5_8ELb0ES3_jPlPS6_PKS6_NS0_5tupleIJS9_S6_EEENSD_IJSA_SA_EEENS0_18inequality_wrapperIZN2at6native12_GLOBAL__N_124unique_dim_cuda_templateIN3c108BFloat16EEESt5tupleIJNSH_6TensorESO_SO_EERKSO_lbbbEUlllE0_EEPmJS6_EEE10hipError_tPvRmT3_T4_T5_T6_T7_T9_mT8_P12ihipStream_tbDpT10_ENKUlT_T0_E_clISt17integral_constantIbLb1EES1E_EEDaS19_S1A_EUlS19_E_NS1_11comp_targetILNS1_3genE0ELNS1_11target_archE4294967295ELNS1_3gpuE0ELNS1_3repE0EEENS1_30default_config_static_selectorELNS0_4arch9wavefront6targetE0EEEvT1_, .Lfunc_end1182-_ZN7rocprim17ROCPRIM_400000_NS6detail17trampoline_kernelINS0_14default_configENS1_25partition_config_selectorILNS1_17partition_subalgoE8ElNS0_10empty_typeEbEEZZNS1_14partition_implILS5_8ELb0ES3_jPlPS6_PKS6_NS0_5tupleIJS9_S6_EEENSD_IJSA_SA_EEENS0_18inequality_wrapperIZN2at6native12_GLOBAL__N_124unique_dim_cuda_templateIN3c108BFloat16EEESt5tupleIJNSH_6TensorESO_SO_EERKSO_lbbbEUlllE0_EEPmJS6_EEE10hipError_tPvRmT3_T4_T5_T6_T7_T9_mT8_P12ihipStream_tbDpT10_ENKUlT_T0_E_clISt17integral_constantIbLb1EES1E_EEDaS19_S1A_EUlS19_E_NS1_11comp_targetILNS1_3genE0ELNS1_11target_archE4294967295ELNS1_3gpuE0ELNS1_3repE0EEENS1_30default_config_static_selectorELNS0_4arch9wavefront6targetE0EEEvT1_
                                        ; -- End function
	.set _ZN7rocprim17ROCPRIM_400000_NS6detail17trampoline_kernelINS0_14default_configENS1_25partition_config_selectorILNS1_17partition_subalgoE8ElNS0_10empty_typeEbEEZZNS1_14partition_implILS5_8ELb0ES3_jPlPS6_PKS6_NS0_5tupleIJS9_S6_EEENSD_IJSA_SA_EEENS0_18inequality_wrapperIZN2at6native12_GLOBAL__N_124unique_dim_cuda_templateIN3c108BFloat16EEESt5tupleIJNSH_6TensorESO_SO_EERKSO_lbbbEUlllE0_EEPmJS6_EEE10hipError_tPvRmT3_T4_T5_T6_T7_T9_mT8_P12ihipStream_tbDpT10_ENKUlT_T0_E_clISt17integral_constantIbLb1EES1E_EEDaS19_S1A_EUlS19_E_NS1_11comp_targetILNS1_3genE0ELNS1_11target_archE4294967295ELNS1_3gpuE0ELNS1_3repE0EEENS1_30default_config_static_selectorELNS0_4arch9wavefront6targetE0EEEvT1_.num_vgpr, 0
	.set _ZN7rocprim17ROCPRIM_400000_NS6detail17trampoline_kernelINS0_14default_configENS1_25partition_config_selectorILNS1_17partition_subalgoE8ElNS0_10empty_typeEbEEZZNS1_14partition_implILS5_8ELb0ES3_jPlPS6_PKS6_NS0_5tupleIJS9_S6_EEENSD_IJSA_SA_EEENS0_18inequality_wrapperIZN2at6native12_GLOBAL__N_124unique_dim_cuda_templateIN3c108BFloat16EEESt5tupleIJNSH_6TensorESO_SO_EERKSO_lbbbEUlllE0_EEPmJS6_EEE10hipError_tPvRmT3_T4_T5_T6_T7_T9_mT8_P12ihipStream_tbDpT10_ENKUlT_T0_E_clISt17integral_constantIbLb1EES1E_EEDaS19_S1A_EUlS19_E_NS1_11comp_targetILNS1_3genE0ELNS1_11target_archE4294967295ELNS1_3gpuE0ELNS1_3repE0EEENS1_30default_config_static_selectorELNS0_4arch9wavefront6targetE0EEEvT1_.num_agpr, 0
	.set _ZN7rocprim17ROCPRIM_400000_NS6detail17trampoline_kernelINS0_14default_configENS1_25partition_config_selectorILNS1_17partition_subalgoE8ElNS0_10empty_typeEbEEZZNS1_14partition_implILS5_8ELb0ES3_jPlPS6_PKS6_NS0_5tupleIJS9_S6_EEENSD_IJSA_SA_EEENS0_18inequality_wrapperIZN2at6native12_GLOBAL__N_124unique_dim_cuda_templateIN3c108BFloat16EEESt5tupleIJNSH_6TensorESO_SO_EERKSO_lbbbEUlllE0_EEPmJS6_EEE10hipError_tPvRmT3_T4_T5_T6_T7_T9_mT8_P12ihipStream_tbDpT10_ENKUlT_T0_E_clISt17integral_constantIbLb1EES1E_EEDaS19_S1A_EUlS19_E_NS1_11comp_targetILNS1_3genE0ELNS1_11target_archE4294967295ELNS1_3gpuE0ELNS1_3repE0EEENS1_30default_config_static_selectorELNS0_4arch9wavefront6targetE0EEEvT1_.numbered_sgpr, 0
	.set _ZN7rocprim17ROCPRIM_400000_NS6detail17trampoline_kernelINS0_14default_configENS1_25partition_config_selectorILNS1_17partition_subalgoE8ElNS0_10empty_typeEbEEZZNS1_14partition_implILS5_8ELb0ES3_jPlPS6_PKS6_NS0_5tupleIJS9_S6_EEENSD_IJSA_SA_EEENS0_18inequality_wrapperIZN2at6native12_GLOBAL__N_124unique_dim_cuda_templateIN3c108BFloat16EEESt5tupleIJNSH_6TensorESO_SO_EERKSO_lbbbEUlllE0_EEPmJS6_EEE10hipError_tPvRmT3_T4_T5_T6_T7_T9_mT8_P12ihipStream_tbDpT10_ENKUlT_T0_E_clISt17integral_constantIbLb1EES1E_EEDaS19_S1A_EUlS19_E_NS1_11comp_targetILNS1_3genE0ELNS1_11target_archE4294967295ELNS1_3gpuE0ELNS1_3repE0EEENS1_30default_config_static_selectorELNS0_4arch9wavefront6targetE0EEEvT1_.num_named_barrier, 0
	.set _ZN7rocprim17ROCPRIM_400000_NS6detail17trampoline_kernelINS0_14default_configENS1_25partition_config_selectorILNS1_17partition_subalgoE8ElNS0_10empty_typeEbEEZZNS1_14partition_implILS5_8ELb0ES3_jPlPS6_PKS6_NS0_5tupleIJS9_S6_EEENSD_IJSA_SA_EEENS0_18inequality_wrapperIZN2at6native12_GLOBAL__N_124unique_dim_cuda_templateIN3c108BFloat16EEESt5tupleIJNSH_6TensorESO_SO_EERKSO_lbbbEUlllE0_EEPmJS6_EEE10hipError_tPvRmT3_T4_T5_T6_T7_T9_mT8_P12ihipStream_tbDpT10_ENKUlT_T0_E_clISt17integral_constantIbLb1EES1E_EEDaS19_S1A_EUlS19_E_NS1_11comp_targetILNS1_3genE0ELNS1_11target_archE4294967295ELNS1_3gpuE0ELNS1_3repE0EEENS1_30default_config_static_selectorELNS0_4arch9wavefront6targetE0EEEvT1_.private_seg_size, 0
	.set _ZN7rocprim17ROCPRIM_400000_NS6detail17trampoline_kernelINS0_14default_configENS1_25partition_config_selectorILNS1_17partition_subalgoE8ElNS0_10empty_typeEbEEZZNS1_14partition_implILS5_8ELb0ES3_jPlPS6_PKS6_NS0_5tupleIJS9_S6_EEENSD_IJSA_SA_EEENS0_18inequality_wrapperIZN2at6native12_GLOBAL__N_124unique_dim_cuda_templateIN3c108BFloat16EEESt5tupleIJNSH_6TensorESO_SO_EERKSO_lbbbEUlllE0_EEPmJS6_EEE10hipError_tPvRmT3_T4_T5_T6_T7_T9_mT8_P12ihipStream_tbDpT10_ENKUlT_T0_E_clISt17integral_constantIbLb1EES1E_EEDaS19_S1A_EUlS19_E_NS1_11comp_targetILNS1_3genE0ELNS1_11target_archE4294967295ELNS1_3gpuE0ELNS1_3repE0EEENS1_30default_config_static_selectorELNS0_4arch9wavefront6targetE0EEEvT1_.uses_vcc, 0
	.set _ZN7rocprim17ROCPRIM_400000_NS6detail17trampoline_kernelINS0_14default_configENS1_25partition_config_selectorILNS1_17partition_subalgoE8ElNS0_10empty_typeEbEEZZNS1_14partition_implILS5_8ELb0ES3_jPlPS6_PKS6_NS0_5tupleIJS9_S6_EEENSD_IJSA_SA_EEENS0_18inequality_wrapperIZN2at6native12_GLOBAL__N_124unique_dim_cuda_templateIN3c108BFloat16EEESt5tupleIJNSH_6TensorESO_SO_EERKSO_lbbbEUlllE0_EEPmJS6_EEE10hipError_tPvRmT3_T4_T5_T6_T7_T9_mT8_P12ihipStream_tbDpT10_ENKUlT_T0_E_clISt17integral_constantIbLb1EES1E_EEDaS19_S1A_EUlS19_E_NS1_11comp_targetILNS1_3genE0ELNS1_11target_archE4294967295ELNS1_3gpuE0ELNS1_3repE0EEENS1_30default_config_static_selectorELNS0_4arch9wavefront6targetE0EEEvT1_.uses_flat_scratch, 0
	.set _ZN7rocprim17ROCPRIM_400000_NS6detail17trampoline_kernelINS0_14default_configENS1_25partition_config_selectorILNS1_17partition_subalgoE8ElNS0_10empty_typeEbEEZZNS1_14partition_implILS5_8ELb0ES3_jPlPS6_PKS6_NS0_5tupleIJS9_S6_EEENSD_IJSA_SA_EEENS0_18inequality_wrapperIZN2at6native12_GLOBAL__N_124unique_dim_cuda_templateIN3c108BFloat16EEESt5tupleIJNSH_6TensorESO_SO_EERKSO_lbbbEUlllE0_EEPmJS6_EEE10hipError_tPvRmT3_T4_T5_T6_T7_T9_mT8_P12ihipStream_tbDpT10_ENKUlT_T0_E_clISt17integral_constantIbLb1EES1E_EEDaS19_S1A_EUlS19_E_NS1_11comp_targetILNS1_3genE0ELNS1_11target_archE4294967295ELNS1_3gpuE0ELNS1_3repE0EEENS1_30default_config_static_selectorELNS0_4arch9wavefront6targetE0EEEvT1_.has_dyn_sized_stack, 0
	.set _ZN7rocprim17ROCPRIM_400000_NS6detail17trampoline_kernelINS0_14default_configENS1_25partition_config_selectorILNS1_17partition_subalgoE8ElNS0_10empty_typeEbEEZZNS1_14partition_implILS5_8ELb0ES3_jPlPS6_PKS6_NS0_5tupleIJS9_S6_EEENSD_IJSA_SA_EEENS0_18inequality_wrapperIZN2at6native12_GLOBAL__N_124unique_dim_cuda_templateIN3c108BFloat16EEESt5tupleIJNSH_6TensorESO_SO_EERKSO_lbbbEUlllE0_EEPmJS6_EEE10hipError_tPvRmT3_T4_T5_T6_T7_T9_mT8_P12ihipStream_tbDpT10_ENKUlT_T0_E_clISt17integral_constantIbLb1EES1E_EEDaS19_S1A_EUlS19_E_NS1_11comp_targetILNS1_3genE0ELNS1_11target_archE4294967295ELNS1_3gpuE0ELNS1_3repE0EEENS1_30default_config_static_selectorELNS0_4arch9wavefront6targetE0EEEvT1_.has_recursion, 0
	.set _ZN7rocprim17ROCPRIM_400000_NS6detail17trampoline_kernelINS0_14default_configENS1_25partition_config_selectorILNS1_17partition_subalgoE8ElNS0_10empty_typeEbEEZZNS1_14partition_implILS5_8ELb0ES3_jPlPS6_PKS6_NS0_5tupleIJS9_S6_EEENSD_IJSA_SA_EEENS0_18inequality_wrapperIZN2at6native12_GLOBAL__N_124unique_dim_cuda_templateIN3c108BFloat16EEESt5tupleIJNSH_6TensorESO_SO_EERKSO_lbbbEUlllE0_EEPmJS6_EEE10hipError_tPvRmT3_T4_T5_T6_T7_T9_mT8_P12ihipStream_tbDpT10_ENKUlT_T0_E_clISt17integral_constantIbLb1EES1E_EEDaS19_S1A_EUlS19_E_NS1_11comp_targetILNS1_3genE0ELNS1_11target_archE4294967295ELNS1_3gpuE0ELNS1_3repE0EEENS1_30default_config_static_selectorELNS0_4arch9wavefront6targetE0EEEvT1_.has_indirect_call, 0
	.section	.AMDGPU.csdata,"",@progbits
; Kernel info:
; codeLenInByte = 4
; TotalNumSgprs: 0
; NumVgprs: 0
; ScratchSize: 0
; MemoryBound: 0
; FloatMode: 240
; IeeeMode: 1
; LDSByteSize: 0 bytes/workgroup (compile time only)
; SGPRBlocks: 0
; VGPRBlocks: 0
; NumSGPRsForWavesPerEU: 1
; NumVGPRsForWavesPerEU: 1
; NamedBarCnt: 0
; Occupancy: 16
; WaveLimiterHint : 0
; COMPUTE_PGM_RSRC2:SCRATCH_EN: 0
; COMPUTE_PGM_RSRC2:USER_SGPR: 2
; COMPUTE_PGM_RSRC2:TRAP_HANDLER: 0
; COMPUTE_PGM_RSRC2:TGID_X_EN: 1
; COMPUTE_PGM_RSRC2:TGID_Y_EN: 0
; COMPUTE_PGM_RSRC2:TGID_Z_EN: 0
; COMPUTE_PGM_RSRC2:TIDIG_COMP_CNT: 0
	.section	.text._ZN7rocprim17ROCPRIM_400000_NS6detail17trampoline_kernelINS0_14default_configENS1_25partition_config_selectorILNS1_17partition_subalgoE8ElNS0_10empty_typeEbEEZZNS1_14partition_implILS5_8ELb0ES3_jPlPS6_PKS6_NS0_5tupleIJS9_S6_EEENSD_IJSA_SA_EEENS0_18inequality_wrapperIZN2at6native12_GLOBAL__N_124unique_dim_cuda_templateIN3c108BFloat16EEESt5tupleIJNSH_6TensorESO_SO_EERKSO_lbbbEUlllE0_EEPmJS6_EEE10hipError_tPvRmT3_T4_T5_T6_T7_T9_mT8_P12ihipStream_tbDpT10_ENKUlT_T0_E_clISt17integral_constantIbLb1EES1E_EEDaS19_S1A_EUlS19_E_NS1_11comp_targetILNS1_3genE5ELNS1_11target_archE942ELNS1_3gpuE9ELNS1_3repE0EEENS1_30default_config_static_selectorELNS0_4arch9wavefront6targetE0EEEvT1_,"axG",@progbits,_ZN7rocprim17ROCPRIM_400000_NS6detail17trampoline_kernelINS0_14default_configENS1_25partition_config_selectorILNS1_17partition_subalgoE8ElNS0_10empty_typeEbEEZZNS1_14partition_implILS5_8ELb0ES3_jPlPS6_PKS6_NS0_5tupleIJS9_S6_EEENSD_IJSA_SA_EEENS0_18inequality_wrapperIZN2at6native12_GLOBAL__N_124unique_dim_cuda_templateIN3c108BFloat16EEESt5tupleIJNSH_6TensorESO_SO_EERKSO_lbbbEUlllE0_EEPmJS6_EEE10hipError_tPvRmT3_T4_T5_T6_T7_T9_mT8_P12ihipStream_tbDpT10_ENKUlT_T0_E_clISt17integral_constantIbLb1EES1E_EEDaS19_S1A_EUlS19_E_NS1_11comp_targetILNS1_3genE5ELNS1_11target_archE942ELNS1_3gpuE9ELNS1_3repE0EEENS1_30default_config_static_selectorELNS0_4arch9wavefront6targetE0EEEvT1_,comdat
	.globl	_ZN7rocprim17ROCPRIM_400000_NS6detail17trampoline_kernelINS0_14default_configENS1_25partition_config_selectorILNS1_17partition_subalgoE8ElNS0_10empty_typeEbEEZZNS1_14partition_implILS5_8ELb0ES3_jPlPS6_PKS6_NS0_5tupleIJS9_S6_EEENSD_IJSA_SA_EEENS0_18inequality_wrapperIZN2at6native12_GLOBAL__N_124unique_dim_cuda_templateIN3c108BFloat16EEESt5tupleIJNSH_6TensorESO_SO_EERKSO_lbbbEUlllE0_EEPmJS6_EEE10hipError_tPvRmT3_T4_T5_T6_T7_T9_mT8_P12ihipStream_tbDpT10_ENKUlT_T0_E_clISt17integral_constantIbLb1EES1E_EEDaS19_S1A_EUlS19_E_NS1_11comp_targetILNS1_3genE5ELNS1_11target_archE942ELNS1_3gpuE9ELNS1_3repE0EEENS1_30default_config_static_selectorELNS0_4arch9wavefront6targetE0EEEvT1_ ; -- Begin function _ZN7rocprim17ROCPRIM_400000_NS6detail17trampoline_kernelINS0_14default_configENS1_25partition_config_selectorILNS1_17partition_subalgoE8ElNS0_10empty_typeEbEEZZNS1_14partition_implILS5_8ELb0ES3_jPlPS6_PKS6_NS0_5tupleIJS9_S6_EEENSD_IJSA_SA_EEENS0_18inequality_wrapperIZN2at6native12_GLOBAL__N_124unique_dim_cuda_templateIN3c108BFloat16EEESt5tupleIJNSH_6TensorESO_SO_EERKSO_lbbbEUlllE0_EEPmJS6_EEE10hipError_tPvRmT3_T4_T5_T6_T7_T9_mT8_P12ihipStream_tbDpT10_ENKUlT_T0_E_clISt17integral_constantIbLb1EES1E_EEDaS19_S1A_EUlS19_E_NS1_11comp_targetILNS1_3genE5ELNS1_11target_archE942ELNS1_3gpuE9ELNS1_3repE0EEENS1_30default_config_static_selectorELNS0_4arch9wavefront6targetE0EEEvT1_
	.p2align	8
	.type	_ZN7rocprim17ROCPRIM_400000_NS6detail17trampoline_kernelINS0_14default_configENS1_25partition_config_selectorILNS1_17partition_subalgoE8ElNS0_10empty_typeEbEEZZNS1_14partition_implILS5_8ELb0ES3_jPlPS6_PKS6_NS0_5tupleIJS9_S6_EEENSD_IJSA_SA_EEENS0_18inequality_wrapperIZN2at6native12_GLOBAL__N_124unique_dim_cuda_templateIN3c108BFloat16EEESt5tupleIJNSH_6TensorESO_SO_EERKSO_lbbbEUlllE0_EEPmJS6_EEE10hipError_tPvRmT3_T4_T5_T6_T7_T9_mT8_P12ihipStream_tbDpT10_ENKUlT_T0_E_clISt17integral_constantIbLb1EES1E_EEDaS19_S1A_EUlS19_E_NS1_11comp_targetILNS1_3genE5ELNS1_11target_archE942ELNS1_3gpuE9ELNS1_3repE0EEENS1_30default_config_static_selectorELNS0_4arch9wavefront6targetE0EEEvT1_,@function
_ZN7rocprim17ROCPRIM_400000_NS6detail17trampoline_kernelINS0_14default_configENS1_25partition_config_selectorILNS1_17partition_subalgoE8ElNS0_10empty_typeEbEEZZNS1_14partition_implILS5_8ELb0ES3_jPlPS6_PKS6_NS0_5tupleIJS9_S6_EEENSD_IJSA_SA_EEENS0_18inequality_wrapperIZN2at6native12_GLOBAL__N_124unique_dim_cuda_templateIN3c108BFloat16EEESt5tupleIJNSH_6TensorESO_SO_EERKSO_lbbbEUlllE0_EEPmJS6_EEE10hipError_tPvRmT3_T4_T5_T6_T7_T9_mT8_P12ihipStream_tbDpT10_ENKUlT_T0_E_clISt17integral_constantIbLb1EES1E_EEDaS19_S1A_EUlS19_E_NS1_11comp_targetILNS1_3genE5ELNS1_11target_archE942ELNS1_3gpuE9ELNS1_3repE0EEENS1_30default_config_static_selectorELNS0_4arch9wavefront6targetE0EEEvT1_: ; @_ZN7rocprim17ROCPRIM_400000_NS6detail17trampoline_kernelINS0_14default_configENS1_25partition_config_selectorILNS1_17partition_subalgoE8ElNS0_10empty_typeEbEEZZNS1_14partition_implILS5_8ELb0ES3_jPlPS6_PKS6_NS0_5tupleIJS9_S6_EEENSD_IJSA_SA_EEENS0_18inequality_wrapperIZN2at6native12_GLOBAL__N_124unique_dim_cuda_templateIN3c108BFloat16EEESt5tupleIJNSH_6TensorESO_SO_EERKSO_lbbbEUlllE0_EEPmJS6_EEE10hipError_tPvRmT3_T4_T5_T6_T7_T9_mT8_P12ihipStream_tbDpT10_ENKUlT_T0_E_clISt17integral_constantIbLb1EES1E_EEDaS19_S1A_EUlS19_E_NS1_11comp_targetILNS1_3genE5ELNS1_11target_archE942ELNS1_3gpuE9ELNS1_3repE0EEENS1_30default_config_static_selectorELNS0_4arch9wavefront6targetE0EEEvT1_
; %bb.0:
	.section	.rodata,"a",@progbits
	.p2align	6, 0x0
	.amdhsa_kernel _ZN7rocprim17ROCPRIM_400000_NS6detail17trampoline_kernelINS0_14default_configENS1_25partition_config_selectorILNS1_17partition_subalgoE8ElNS0_10empty_typeEbEEZZNS1_14partition_implILS5_8ELb0ES3_jPlPS6_PKS6_NS0_5tupleIJS9_S6_EEENSD_IJSA_SA_EEENS0_18inequality_wrapperIZN2at6native12_GLOBAL__N_124unique_dim_cuda_templateIN3c108BFloat16EEESt5tupleIJNSH_6TensorESO_SO_EERKSO_lbbbEUlllE0_EEPmJS6_EEE10hipError_tPvRmT3_T4_T5_T6_T7_T9_mT8_P12ihipStream_tbDpT10_ENKUlT_T0_E_clISt17integral_constantIbLb1EES1E_EEDaS19_S1A_EUlS19_E_NS1_11comp_targetILNS1_3genE5ELNS1_11target_archE942ELNS1_3gpuE9ELNS1_3repE0EEENS1_30default_config_static_selectorELNS0_4arch9wavefront6targetE0EEEvT1_
		.amdhsa_group_segment_fixed_size 0
		.amdhsa_private_segment_fixed_size 0
		.amdhsa_kernarg_size 136
		.amdhsa_user_sgpr_count 2
		.amdhsa_user_sgpr_dispatch_ptr 0
		.amdhsa_user_sgpr_queue_ptr 0
		.amdhsa_user_sgpr_kernarg_segment_ptr 1
		.amdhsa_user_sgpr_dispatch_id 0
		.amdhsa_user_sgpr_kernarg_preload_length 0
		.amdhsa_user_sgpr_kernarg_preload_offset 0
		.amdhsa_user_sgpr_private_segment_size 0
		.amdhsa_wavefront_size32 1
		.amdhsa_uses_dynamic_stack 0
		.amdhsa_enable_private_segment 0
		.amdhsa_system_sgpr_workgroup_id_x 1
		.amdhsa_system_sgpr_workgroup_id_y 0
		.amdhsa_system_sgpr_workgroup_id_z 0
		.amdhsa_system_sgpr_workgroup_info 0
		.amdhsa_system_vgpr_workitem_id 0
		.amdhsa_next_free_vgpr 1
		.amdhsa_next_free_sgpr 1
		.amdhsa_named_barrier_count 0
		.amdhsa_reserve_vcc 0
		.amdhsa_float_round_mode_32 0
		.amdhsa_float_round_mode_16_64 0
		.amdhsa_float_denorm_mode_32 3
		.amdhsa_float_denorm_mode_16_64 3
		.amdhsa_fp16_overflow 0
		.amdhsa_memory_ordered 1
		.amdhsa_forward_progress 1
		.amdhsa_inst_pref_size 0
		.amdhsa_round_robin_scheduling 0
		.amdhsa_exception_fp_ieee_invalid_op 0
		.amdhsa_exception_fp_denorm_src 0
		.amdhsa_exception_fp_ieee_div_zero 0
		.amdhsa_exception_fp_ieee_overflow 0
		.amdhsa_exception_fp_ieee_underflow 0
		.amdhsa_exception_fp_ieee_inexact 0
		.amdhsa_exception_int_div_zero 0
	.end_amdhsa_kernel
	.section	.text._ZN7rocprim17ROCPRIM_400000_NS6detail17trampoline_kernelINS0_14default_configENS1_25partition_config_selectorILNS1_17partition_subalgoE8ElNS0_10empty_typeEbEEZZNS1_14partition_implILS5_8ELb0ES3_jPlPS6_PKS6_NS0_5tupleIJS9_S6_EEENSD_IJSA_SA_EEENS0_18inequality_wrapperIZN2at6native12_GLOBAL__N_124unique_dim_cuda_templateIN3c108BFloat16EEESt5tupleIJNSH_6TensorESO_SO_EERKSO_lbbbEUlllE0_EEPmJS6_EEE10hipError_tPvRmT3_T4_T5_T6_T7_T9_mT8_P12ihipStream_tbDpT10_ENKUlT_T0_E_clISt17integral_constantIbLb1EES1E_EEDaS19_S1A_EUlS19_E_NS1_11comp_targetILNS1_3genE5ELNS1_11target_archE942ELNS1_3gpuE9ELNS1_3repE0EEENS1_30default_config_static_selectorELNS0_4arch9wavefront6targetE0EEEvT1_,"axG",@progbits,_ZN7rocprim17ROCPRIM_400000_NS6detail17trampoline_kernelINS0_14default_configENS1_25partition_config_selectorILNS1_17partition_subalgoE8ElNS0_10empty_typeEbEEZZNS1_14partition_implILS5_8ELb0ES3_jPlPS6_PKS6_NS0_5tupleIJS9_S6_EEENSD_IJSA_SA_EEENS0_18inequality_wrapperIZN2at6native12_GLOBAL__N_124unique_dim_cuda_templateIN3c108BFloat16EEESt5tupleIJNSH_6TensorESO_SO_EERKSO_lbbbEUlllE0_EEPmJS6_EEE10hipError_tPvRmT3_T4_T5_T6_T7_T9_mT8_P12ihipStream_tbDpT10_ENKUlT_T0_E_clISt17integral_constantIbLb1EES1E_EEDaS19_S1A_EUlS19_E_NS1_11comp_targetILNS1_3genE5ELNS1_11target_archE942ELNS1_3gpuE9ELNS1_3repE0EEENS1_30default_config_static_selectorELNS0_4arch9wavefront6targetE0EEEvT1_,comdat
.Lfunc_end1183:
	.size	_ZN7rocprim17ROCPRIM_400000_NS6detail17trampoline_kernelINS0_14default_configENS1_25partition_config_selectorILNS1_17partition_subalgoE8ElNS0_10empty_typeEbEEZZNS1_14partition_implILS5_8ELb0ES3_jPlPS6_PKS6_NS0_5tupleIJS9_S6_EEENSD_IJSA_SA_EEENS0_18inequality_wrapperIZN2at6native12_GLOBAL__N_124unique_dim_cuda_templateIN3c108BFloat16EEESt5tupleIJNSH_6TensorESO_SO_EERKSO_lbbbEUlllE0_EEPmJS6_EEE10hipError_tPvRmT3_T4_T5_T6_T7_T9_mT8_P12ihipStream_tbDpT10_ENKUlT_T0_E_clISt17integral_constantIbLb1EES1E_EEDaS19_S1A_EUlS19_E_NS1_11comp_targetILNS1_3genE5ELNS1_11target_archE942ELNS1_3gpuE9ELNS1_3repE0EEENS1_30default_config_static_selectorELNS0_4arch9wavefront6targetE0EEEvT1_, .Lfunc_end1183-_ZN7rocprim17ROCPRIM_400000_NS6detail17trampoline_kernelINS0_14default_configENS1_25partition_config_selectorILNS1_17partition_subalgoE8ElNS0_10empty_typeEbEEZZNS1_14partition_implILS5_8ELb0ES3_jPlPS6_PKS6_NS0_5tupleIJS9_S6_EEENSD_IJSA_SA_EEENS0_18inequality_wrapperIZN2at6native12_GLOBAL__N_124unique_dim_cuda_templateIN3c108BFloat16EEESt5tupleIJNSH_6TensorESO_SO_EERKSO_lbbbEUlllE0_EEPmJS6_EEE10hipError_tPvRmT3_T4_T5_T6_T7_T9_mT8_P12ihipStream_tbDpT10_ENKUlT_T0_E_clISt17integral_constantIbLb1EES1E_EEDaS19_S1A_EUlS19_E_NS1_11comp_targetILNS1_3genE5ELNS1_11target_archE942ELNS1_3gpuE9ELNS1_3repE0EEENS1_30default_config_static_selectorELNS0_4arch9wavefront6targetE0EEEvT1_
                                        ; -- End function
	.set _ZN7rocprim17ROCPRIM_400000_NS6detail17trampoline_kernelINS0_14default_configENS1_25partition_config_selectorILNS1_17partition_subalgoE8ElNS0_10empty_typeEbEEZZNS1_14partition_implILS5_8ELb0ES3_jPlPS6_PKS6_NS0_5tupleIJS9_S6_EEENSD_IJSA_SA_EEENS0_18inequality_wrapperIZN2at6native12_GLOBAL__N_124unique_dim_cuda_templateIN3c108BFloat16EEESt5tupleIJNSH_6TensorESO_SO_EERKSO_lbbbEUlllE0_EEPmJS6_EEE10hipError_tPvRmT3_T4_T5_T6_T7_T9_mT8_P12ihipStream_tbDpT10_ENKUlT_T0_E_clISt17integral_constantIbLb1EES1E_EEDaS19_S1A_EUlS19_E_NS1_11comp_targetILNS1_3genE5ELNS1_11target_archE942ELNS1_3gpuE9ELNS1_3repE0EEENS1_30default_config_static_selectorELNS0_4arch9wavefront6targetE0EEEvT1_.num_vgpr, 0
	.set _ZN7rocprim17ROCPRIM_400000_NS6detail17trampoline_kernelINS0_14default_configENS1_25partition_config_selectorILNS1_17partition_subalgoE8ElNS0_10empty_typeEbEEZZNS1_14partition_implILS5_8ELb0ES3_jPlPS6_PKS6_NS0_5tupleIJS9_S6_EEENSD_IJSA_SA_EEENS0_18inequality_wrapperIZN2at6native12_GLOBAL__N_124unique_dim_cuda_templateIN3c108BFloat16EEESt5tupleIJNSH_6TensorESO_SO_EERKSO_lbbbEUlllE0_EEPmJS6_EEE10hipError_tPvRmT3_T4_T5_T6_T7_T9_mT8_P12ihipStream_tbDpT10_ENKUlT_T0_E_clISt17integral_constantIbLb1EES1E_EEDaS19_S1A_EUlS19_E_NS1_11comp_targetILNS1_3genE5ELNS1_11target_archE942ELNS1_3gpuE9ELNS1_3repE0EEENS1_30default_config_static_selectorELNS0_4arch9wavefront6targetE0EEEvT1_.num_agpr, 0
	.set _ZN7rocprim17ROCPRIM_400000_NS6detail17trampoline_kernelINS0_14default_configENS1_25partition_config_selectorILNS1_17partition_subalgoE8ElNS0_10empty_typeEbEEZZNS1_14partition_implILS5_8ELb0ES3_jPlPS6_PKS6_NS0_5tupleIJS9_S6_EEENSD_IJSA_SA_EEENS0_18inequality_wrapperIZN2at6native12_GLOBAL__N_124unique_dim_cuda_templateIN3c108BFloat16EEESt5tupleIJNSH_6TensorESO_SO_EERKSO_lbbbEUlllE0_EEPmJS6_EEE10hipError_tPvRmT3_T4_T5_T6_T7_T9_mT8_P12ihipStream_tbDpT10_ENKUlT_T0_E_clISt17integral_constantIbLb1EES1E_EEDaS19_S1A_EUlS19_E_NS1_11comp_targetILNS1_3genE5ELNS1_11target_archE942ELNS1_3gpuE9ELNS1_3repE0EEENS1_30default_config_static_selectorELNS0_4arch9wavefront6targetE0EEEvT1_.numbered_sgpr, 0
	.set _ZN7rocprim17ROCPRIM_400000_NS6detail17trampoline_kernelINS0_14default_configENS1_25partition_config_selectorILNS1_17partition_subalgoE8ElNS0_10empty_typeEbEEZZNS1_14partition_implILS5_8ELb0ES3_jPlPS6_PKS6_NS0_5tupleIJS9_S6_EEENSD_IJSA_SA_EEENS0_18inequality_wrapperIZN2at6native12_GLOBAL__N_124unique_dim_cuda_templateIN3c108BFloat16EEESt5tupleIJNSH_6TensorESO_SO_EERKSO_lbbbEUlllE0_EEPmJS6_EEE10hipError_tPvRmT3_T4_T5_T6_T7_T9_mT8_P12ihipStream_tbDpT10_ENKUlT_T0_E_clISt17integral_constantIbLb1EES1E_EEDaS19_S1A_EUlS19_E_NS1_11comp_targetILNS1_3genE5ELNS1_11target_archE942ELNS1_3gpuE9ELNS1_3repE0EEENS1_30default_config_static_selectorELNS0_4arch9wavefront6targetE0EEEvT1_.num_named_barrier, 0
	.set _ZN7rocprim17ROCPRIM_400000_NS6detail17trampoline_kernelINS0_14default_configENS1_25partition_config_selectorILNS1_17partition_subalgoE8ElNS0_10empty_typeEbEEZZNS1_14partition_implILS5_8ELb0ES3_jPlPS6_PKS6_NS0_5tupleIJS9_S6_EEENSD_IJSA_SA_EEENS0_18inequality_wrapperIZN2at6native12_GLOBAL__N_124unique_dim_cuda_templateIN3c108BFloat16EEESt5tupleIJNSH_6TensorESO_SO_EERKSO_lbbbEUlllE0_EEPmJS6_EEE10hipError_tPvRmT3_T4_T5_T6_T7_T9_mT8_P12ihipStream_tbDpT10_ENKUlT_T0_E_clISt17integral_constantIbLb1EES1E_EEDaS19_S1A_EUlS19_E_NS1_11comp_targetILNS1_3genE5ELNS1_11target_archE942ELNS1_3gpuE9ELNS1_3repE0EEENS1_30default_config_static_selectorELNS0_4arch9wavefront6targetE0EEEvT1_.private_seg_size, 0
	.set _ZN7rocprim17ROCPRIM_400000_NS6detail17trampoline_kernelINS0_14default_configENS1_25partition_config_selectorILNS1_17partition_subalgoE8ElNS0_10empty_typeEbEEZZNS1_14partition_implILS5_8ELb0ES3_jPlPS6_PKS6_NS0_5tupleIJS9_S6_EEENSD_IJSA_SA_EEENS0_18inequality_wrapperIZN2at6native12_GLOBAL__N_124unique_dim_cuda_templateIN3c108BFloat16EEESt5tupleIJNSH_6TensorESO_SO_EERKSO_lbbbEUlllE0_EEPmJS6_EEE10hipError_tPvRmT3_T4_T5_T6_T7_T9_mT8_P12ihipStream_tbDpT10_ENKUlT_T0_E_clISt17integral_constantIbLb1EES1E_EEDaS19_S1A_EUlS19_E_NS1_11comp_targetILNS1_3genE5ELNS1_11target_archE942ELNS1_3gpuE9ELNS1_3repE0EEENS1_30default_config_static_selectorELNS0_4arch9wavefront6targetE0EEEvT1_.uses_vcc, 0
	.set _ZN7rocprim17ROCPRIM_400000_NS6detail17trampoline_kernelINS0_14default_configENS1_25partition_config_selectorILNS1_17partition_subalgoE8ElNS0_10empty_typeEbEEZZNS1_14partition_implILS5_8ELb0ES3_jPlPS6_PKS6_NS0_5tupleIJS9_S6_EEENSD_IJSA_SA_EEENS0_18inequality_wrapperIZN2at6native12_GLOBAL__N_124unique_dim_cuda_templateIN3c108BFloat16EEESt5tupleIJNSH_6TensorESO_SO_EERKSO_lbbbEUlllE0_EEPmJS6_EEE10hipError_tPvRmT3_T4_T5_T6_T7_T9_mT8_P12ihipStream_tbDpT10_ENKUlT_T0_E_clISt17integral_constantIbLb1EES1E_EEDaS19_S1A_EUlS19_E_NS1_11comp_targetILNS1_3genE5ELNS1_11target_archE942ELNS1_3gpuE9ELNS1_3repE0EEENS1_30default_config_static_selectorELNS0_4arch9wavefront6targetE0EEEvT1_.uses_flat_scratch, 0
	.set _ZN7rocprim17ROCPRIM_400000_NS6detail17trampoline_kernelINS0_14default_configENS1_25partition_config_selectorILNS1_17partition_subalgoE8ElNS0_10empty_typeEbEEZZNS1_14partition_implILS5_8ELb0ES3_jPlPS6_PKS6_NS0_5tupleIJS9_S6_EEENSD_IJSA_SA_EEENS0_18inequality_wrapperIZN2at6native12_GLOBAL__N_124unique_dim_cuda_templateIN3c108BFloat16EEESt5tupleIJNSH_6TensorESO_SO_EERKSO_lbbbEUlllE0_EEPmJS6_EEE10hipError_tPvRmT3_T4_T5_T6_T7_T9_mT8_P12ihipStream_tbDpT10_ENKUlT_T0_E_clISt17integral_constantIbLb1EES1E_EEDaS19_S1A_EUlS19_E_NS1_11comp_targetILNS1_3genE5ELNS1_11target_archE942ELNS1_3gpuE9ELNS1_3repE0EEENS1_30default_config_static_selectorELNS0_4arch9wavefront6targetE0EEEvT1_.has_dyn_sized_stack, 0
	.set _ZN7rocprim17ROCPRIM_400000_NS6detail17trampoline_kernelINS0_14default_configENS1_25partition_config_selectorILNS1_17partition_subalgoE8ElNS0_10empty_typeEbEEZZNS1_14partition_implILS5_8ELb0ES3_jPlPS6_PKS6_NS0_5tupleIJS9_S6_EEENSD_IJSA_SA_EEENS0_18inequality_wrapperIZN2at6native12_GLOBAL__N_124unique_dim_cuda_templateIN3c108BFloat16EEESt5tupleIJNSH_6TensorESO_SO_EERKSO_lbbbEUlllE0_EEPmJS6_EEE10hipError_tPvRmT3_T4_T5_T6_T7_T9_mT8_P12ihipStream_tbDpT10_ENKUlT_T0_E_clISt17integral_constantIbLb1EES1E_EEDaS19_S1A_EUlS19_E_NS1_11comp_targetILNS1_3genE5ELNS1_11target_archE942ELNS1_3gpuE9ELNS1_3repE0EEENS1_30default_config_static_selectorELNS0_4arch9wavefront6targetE0EEEvT1_.has_recursion, 0
	.set _ZN7rocprim17ROCPRIM_400000_NS6detail17trampoline_kernelINS0_14default_configENS1_25partition_config_selectorILNS1_17partition_subalgoE8ElNS0_10empty_typeEbEEZZNS1_14partition_implILS5_8ELb0ES3_jPlPS6_PKS6_NS0_5tupleIJS9_S6_EEENSD_IJSA_SA_EEENS0_18inequality_wrapperIZN2at6native12_GLOBAL__N_124unique_dim_cuda_templateIN3c108BFloat16EEESt5tupleIJNSH_6TensorESO_SO_EERKSO_lbbbEUlllE0_EEPmJS6_EEE10hipError_tPvRmT3_T4_T5_T6_T7_T9_mT8_P12ihipStream_tbDpT10_ENKUlT_T0_E_clISt17integral_constantIbLb1EES1E_EEDaS19_S1A_EUlS19_E_NS1_11comp_targetILNS1_3genE5ELNS1_11target_archE942ELNS1_3gpuE9ELNS1_3repE0EEENS1_30default_config_static_selectorELNS0_4arch9wavefront6targetE0EEEvT1_.has_indirect_call, 0
	.section	.AMDGPU.csdata,"",@progbits
; Kernel info:
; codeLenInByte = 0
; TotalNumSgprs: 0
; NumVgprs: 0
; ScratchSize: 0
; MemoryBound: 0
; FloatMode: 240
; IeeeMode: 1
; LDSByteSize: 0 bytes/workgroup (compile time only)
; SGPRBlocks: 0
; VGPRBlocks: 0
; NumSGPRsForWavesPerEU: 1
; NumVGPRsForWavesPerEU: 1
; NamedBarCnt: 0
; Occupancy: 16
; WaveLimiterHint : 0
; COMPUTE_PGM_RSRC2:SCRATCH_EN: 0
; COMPUTE_PGM_RSRC2:USER_SGPR: 2
; COMPUTE_PGM_RSRC2:TRAP_HANDLER: 0
; COMPUTE_PGM_RSRC2:TGID_X_EN: 1
; COMPUTE_PGM_RSRC2:TGID_Y_EN: 0
; COMPUTE_PGM_RSRC2:TGID_Z_EN: 0
; COMPUTE_PGM_RSRC2:TIDIG_COMP_CNT: 0
	.section	.text._ZN7rocprim17ROCPRIM_400000_NS6detail17trampoline_kernelINS0_14default_configENS1_25partition_config_selectorILNS1_17partition_subalgoE8ElNS0_10empty_typeEbEEZZNS1_14partition_implILS5_8ELb0ES3_jPlPS6_PKS6_NS0_5tupleIJS9_S6_EEENSD_IJSA_SA_EEENS0_18inequality_wrapperIZN2at6native12_GLOBAL__N_124unique_dim_cuda_templateIN3c108BFloat16EEESt5tupleIJNSH_6TensorESO_SO_EERKSO_lbbbEUlllE0_EEPmJS6_EEE10hipError_tPvRmT3_T4_T5_T6_T7_T9_mT8_P12ihipStream_tbDpT10_ENKUlT_T0_E_clISt17integral_constantIbLb1EES1E_EEDaS19_S1A_EUlS19_E_NS1_11comp_targetILNS1_3genE4ELNS1_11target_archE910ELNS1_3gpuE8ELNS1_3repE0EEENS1_30default_config_static_selectorELNS0_4arch9wavefront6targetE0EEEvT1_,"axG",@progbits,_ZN7rocprim17ROCPRIM_400000_NS6detail17trampoline_kernelINS0_14default_configENS1_25partition_config_selectorILNS1_17partition_subalgoE8ElNS0_10empty_typeEbEEZZNS1_14partition_implILS5_8ELb0ES3_jPlPS6_PKS6_NS0_5tupleIJS9_S6_EEENSD_IJSA_SA_EEENS0_18inequality_wrapperIZN2at6native12_GLOBAL__N_124unique_dim_cuda_templateIN3c108BFloat16EEESt5tupleIJNSH_6TensorESO_SO_EERKSO_lbbbEUlllE0_EEPmJS6_EEE10hipError_tPvRmT3_T4_T5_T6_T7_T9_mT8_P12ihipStream_tbDpT10_ENKUlT_T0_E_clISt17integral_constantIbLb1EES1E_EEDaS19_S1A_EUlS19_E_NS1_11comp_targetILNS1_3genE4ELNS1_11target_archE910ELNS1_3gpuE8ELNS1_3repE0EEENS1_30default_config_static_selectorELNS0_4arch9wavefront6targetE0EEEvT1_,comdat
	.globl	_ZN7rocprim17ROCPRIM_400000_NS6detail17trampoline_kernelINS0_14default_configENS1_25partition_config_selectorILNS1_17partition_subalgoE8ElNS0_10empty_typeEbEEZZNS1_14partition_implILS5_8ELb0ES3_jPlPS6_PKS6_NS0_5tupleIJS9_S6_EEENSD_IJSA_SA_EEENS0_18inequality_wrapperIZN2at6native12_GLOBAL__N_124unique_dim_cuda_templateIN3c108BFloat16EEESt5tupleIJNSH_6TensorESO_SO_EERKSO_lbbbEUlllE0_EEPmJS6_EEE10hipError_tPvRmT3_T4_T5_T6_T7_T9_mT8_P12ihipStream_tbDpT10_ENKUlT_T0_E_clISt17integral_constantIbLb1EES1E_EEDaS19_S1A_EUlS19_E_NS1_11comp_targetILNS1_3genE4ELNS1_11target_archE910ELNS1_3gpuE8ELNS1_3repE0EEENS1_30default_config_static_selectorELNS0_4arch9wavefront6targetE0EEEvT1_ ; -- Begin function _ZN7rocprim17ROCPRIM_400000_NS6detail17trampoline_kernelINS0_14default_configENS1_25partition_config_selectorILNS1_17partition_subalgoE8ElNS0_10empty_typeEbEEZZNS1_14partition_implILS5_8ELb0ES3_jPlPS6_PKS6_NS0_5tupleIJS9_S6_EEENSD_IJSA_SA_EEENS0_18inequality_wrapperIZN2at6native12_GLOBAL__N_124unique_dim_cuda_templateIN3c108BFloat16EEESt5tupleIJNSH_6TensorESO_SO_EERKSO_lbbbEUlllE0_EEPmJS6_EEE10hipError_tPvRmT3_T4_T5_T6_T7_T9_mT8_P12ihipStream_tbDpT10_ENKUlT_T0_E_clISt17integral_constantIbLb1EES1E_EEDaS19_S1A_EUlS19_E_NS1_11comp_targetILNS1_3genE4ELNS1_11target_archE910ELNS1_3gpuE8ELNS1_3repE0EEENS1_30default_config_static_selectorELNS0_4arch9wavefront6targetE0EEEvT1_
	.p2align	8
	.type	_ZN7rocprim17ROCPRIM_400000_NS6detail17trampoline_kernelINS0_14default_configENS1_25partition_config_selectorILNS1_17partition_subalgoE8ElNS0_10empty_typeEbEEZZNS1_14partition_implILS5_8ELb0ES3_jPlPS6_PKS6_NS0_5tupleIJS9_S6_EEENSD_IJSA_SA_EEENS0_18inequality_wrapperIZN2at6native12_GLOBAL__N_124unique_dim_cuda_templateIN3c108BFloat16EEESt5tupleIJNSH_6TensorESO_SO_EERKSO_lbbbEUlllE0_EEPmJS6_EEE10hipError_tPvRmT3_T4_T5_T6_T7_T9_mT8_P12ihipStream_tbDpT10_ENKUlT_T0_E_clISt17integral_constantIbLb1EES1E_EEDaS19_S1A_EUlS19_E_NS1_11comp_targetILNS1_3genE4ELNS1_11target_archE910ELNS1_3gpuE8ELNS1_3repE0EEENS1_30default_config_static_selectorELNS0_4arch9wavefront6targetE0EEEvT1_,@function
_ZN7rocprim17ROCPRIM_400000_NS6detail17trampoline_kernelINS0_14default_configENS1_25partition_config_selectorILNS1_17partition_subalgoE8ElNS0_10empty_typeEbEEZZNS1_14partition_implILS5_8ELb0ES3_jPlPS6_PKS6_NS0_5tupleIJS9_S6_EEENSD_IJSA_SA_EEENS0_18inequality_wrapperIZN2at6native12_GLOBAL__N_124unique_dim_cuda_templateIN3c108BFloat16EEESt5tupleIJNSH_6TensorESO_SO_EERKSO_lbbbEUlllE0_EEPmJS6_EEE10hipError_tPvRmT3_T4_T5_T6_T7_T9_mT8_P12ihipStream_tbDpT10_ENKUlT_T0_E_clISt17integral_constantIbLb1EES1E_EEDaS19_S1A_EUlS19_E_NS1_11comp_targetILNS1_3genE4ELNS1_11target_archE910ELNS1_3gpuE8ELNS1_3repE0EEENS1_30default_config_static_selectorELNS0_4arch9wavefront6targetE0EEEvT1_: ; @_ZN7rocprim17ROCPRIM_400000_NS6detail17trampoline_kernelINS0_14default_configENS1_25partition_config_selectorILNS1_17partition_subalgoE8ElNS0_10empty_typeEbEEZZNS1_14partition_implILS5_8ELb0ES3_jPlPS6_PKS6_NS0_5tupleIJS9_S6_EEENSD_IJSA_SA_EEENS0_18inequality_wrapperIZN2at6native12_GLOBAL__N_124unique_dim_cuda_templateIN3c108BFloat16EEESt5tupleIJNSH_6TensorESO_SO_EERKSO_lbbbEUlllE0_EEPmJS6_EEE10hipError_tPvRmT3_T4_T5_T6_T7_T9_mT8_P12ihipStream_tbDpT10_ENKUlT_T0_E_clISt17integral_constantIbLb1EES1E_EEDaS19_S1A_EUlS19_E_NS1_11comp_targetILNS1_3genE4ELNS1_11target_archE910ELNS1_3gpuE8ELNS1_3repE0EEENS1_30default_config_static_selectorELNS0_4arch9wavefront6targetE0EEEvT1_
; %bb.0:
	.section	.rodata,"a",@progbits
	.p2align	6, 0x0
	.amdhsa_kernel _ZN7rocprim17ROCPRIM_400000_NS6detail17trampoline_kernelINS0_14default_configENS1_25partition_config_selectorILNS1_17partition_subalgoE8ElNS0_10empty_typeEbEEZZNS1_14partition_implILS5_8ELb0ES3_jPlPS6_PKS6_NS0_5tupleIJS9_S6_EEENSD_IJSA_SA_EEENS0_18inequality_wrapperIZN2at6native12_GLOBAL__N_124unique_dim_cuda_templateIN3c108BFloat16EEESt5tupleIJNSH_6TensorESO_SO_EERKSO_lbbbEUlllE0_EEPmJS6_EEE10hipError_tPvRmT3_T4_T5_T6_T7_T9_mT8_P12ihipStream_tbDpT10_ENKUlT_T0_E_clISt17integral_constantIbLb1EES1E_EEDaS19_S1A_EUlS19_E_NS1_11comp_targetILNS1_3genE4ELNS1_11target_archE910ELNS1_3gpuE8ELNS1_3repE0EEENS1_30default_config_static_selectorELNS0_4arch9wavefront6targetE0EEEvT1_
		.amdhsa_group_segment_fixed_size 0
		.amdhsa_private_segment_fixed_size 0
		.amdhsa_kernarg_size 136
		.amdhsa_user_sgpr_count 2
		.amdhsa_user_sgpr_dispatch_ptr 0
		.amdhsa_user_sgpr_queue_ptr 0
		.amdhsa_user_sgpr_kernarg_segment_ptr 1
		.amdhsa_user_sgpr_dispatch_id 0
		.amdhsa_user_sgpr_kernarg_preload_length 0
		.amdhsa_user_sgpr_kernarg_preload_offset 0
		.amdhsa_user_sgpr_private_segment_size 0
		.amdhsa_wavefront_size32 1
		.amdhsa_uses_dynamic_stack 0
		.amdhsa_enable_private_segment 0
		.amdhsa_system_sgpr_workgroup_id_x 1
		.amdhsa_system_sgpr_workgroup_id_y 0
		.amdhsa_system_sgpr_workgroup_id_z 0
		.amdhsa_system_sgpr_workgroup_info 0
		.amdhsa_system_vgpr_workitem_id 0
		.amdhsa_next_free_vgpr 1
		.amdhsa_next_free_sgpr 1
		.amdhsa_named_barrier_count 0
		.amdhsa_reserve_vcc 0
		.amdhsa_float_round_mode_32 0
		.amdhsa_float_round_mode_16_64 0
		.amdhsa_float_denorm_mode_32 3
		.amdhsa_float_denorm_mode_16_64 3
		.amdhsa_fp16_overflow 0
		.amdhsa_memory_ordered 1
		.amdhsa_forward_progress 1
		.amdhsa_inst_pref_size 0
		.amdhsa_round_robin_scheduling 0
		.amdhsa_exception_fp_ieee_invalid_op 0
		.amdhsa_exception_fp_denorm_src 0
		.amdhsa_exception_fp_ieee_div_zero 0
		.amdhsa_exception_fp_ieee_overflow 0
		.amdhsa_exception_fp_ieee_underflow 0
		.amdhsa_exception_fp_ieee_inexact 0
		.amdhsa_exception_int_div_zero 0
	.end_amdhsa_kernel
	.section	.text._ZN7rocprim17ROCPRIM_400000_NS6detail17trampoline_kernelINS0_14default_configENS1_25partition_config_selectorILNS1_17partition_subalgoE8ElNS0_10empty_typeEbEEZZNS1_14partition_implILS5_8ELb0ES3_jPlPS6_PKS6_NS0_5tupleIJS9_S6_EEENSD_IJSA_SA_EEENS0_18inequality_wrapperIZN2at6native12_GLOBAL__N_124unique_dim_cuda_templateIN3c108BFloat16EEESt5tupleIJNSH_6TensorESO_SO_EERKSO_lbbbEUlllE0_EEPmJS6_EEE10hipError_tPvRmT3_T4_T5_T6_T7_T9_mT8_P12ihipStream_tbDpT10_ENKUlT_T0_E_clISt17integral_constantIbLb1EES1E_EEDaS19_S1A_EUlS19_E_NS1_11comp_targetILNS1_3genE4ELNS1_11target_archE910ELNS1_3gpuE8ELNS1_3repE0EEENS1_30default_config_static_selectorELNS0_4arch9wavefront6targetE0EEEvT1_,"axG",@progbits,_ZN7rocprim17ROCPRIM_400000_NS6detail17trampoline_kernelINS0_14default_configENS1_25partition_config_selectorILNS1_17partition_subalgoE8ElNS0_10empty_typeEbEEZZNS1_14partition_implILS5_8ELb0ES3_jPlPS6_PKS6_NS0_5tupleIJS9_S6_EEENSD_IJSA_SA_EEENS0_18inequality_wrapperIZN2at6native12_GLOBAL__N_124unique_dim_cuda_templateIN3c108BFloat16EEESt5tupleIJNSH_6TensorESO_SO_EERKSO_lbbbEUlllE0_EEPmJS6_EEE10hipError_tPvRmT3_T4_T5_T6_T7_T9_mT8_P12ihipStream_tbDpT10_ENKUlT_T0_E_clISt17integral_constantIbLb1EES1E_EEDaS19_S1A_EUlS19_E_NS1_11comp_targetILNS1_3genE4ELNS1_11target_archE910ELNS1_3gpuE8ELNS1_3repE0EEENS1_30default_config_static_selectorELNS0_4arch9wavefront6targetE0EEEvT1_,comdat
.Lfunc_end1184:
	.size	_ZN7rocprim17ROCPRIM_400000_NS6detail17trampoline_kernelINS0_14default_configENS1_25partition_config_selectorILNS1_17partition_subalgoE8ElNS0_10empty_typeEbEEZZNS1_14partition_implILS5_8ELb0ES3_jPlPS6_PKS6_NS0_5tupleIJS9_S6_EEENSD_IJSA_SA_EEENS0_18inequality_wrapperIZN2at6native12_GLOBAL__N_124unique_dim_cuda_templateIN3c108BFloat16EEESt5tupleIJNSH_6TensorESO_SO_EERKSO_lbbbEUlllE0_EEPmJS6_EEE10hipError_tPvRmT3_T4_T5_T6_T7_T9_mT8_P12ihipStream_tbDpT10_ENKUlT_T0_E_clISt17integral_constantIbLb1EES1E_EEDaS19_S1A_EUlS19_E_NS1_11comp_targetILNS1_3genE4ELNS1_11target_archE910ELNS1_3gpuE8ELNS1_3repE0EEENS1_30default_config_static_selectorELNS0_4arch9wavefront6targetE0EEEvT1_, .Lfunc_end1184-_ZN7rocprim17ROCPRIM_400000_NS6detail17trampoline_kernelINS0_14default_configENS1_25partition_config_selectorILNS1_17partition_subalgoE8ElNS0_10empty_typeEbEEZZNS1_14partition_implILS5_8ELb0ES3_jPlPS6_PKS6_NS0_5tupleIJS9_S6_EEENSD_IJSA_SA_EEENS0_18inequality_wrapperIZN2at6native12_GLOBAL__N_124unique_dim_cuda_templateIN3c108BFloat16EEESt5tupleIJNSH_6TensorESO_SO_EERKSO_lbbbEUlllE0_EEPmJS6_EEE10hipError_tPvRmT3_T4_T5_T6_T7_T9_mT8_P12ihipStream_tbDpT10_ENKUlT_T0_E_clISt17integral_constantIbLb1EES1E_EEDaS19_S1A_EUlS19_E_NS1_11comp_targetILNS1_3genE4ELNS1_11target_archE910ELNS1_3gpuE8ELNS1_3repE0EEENS1_30default_config_static_selectorELNS0_4arch9wavefront6targetE0EEEvT1_
                                        ; -- End function
	.set _ZN7rocprim17ROCPRIM_400000_NS6detail17trampoline_kernelINS0_14default_configENS1_25partition_config_selectorILNS1_17partition_subalgoE8ElNS0_10empty_typeEbEEZZNS1_14partition_implILS5_8ELb0ES3_jPlPS6_PKS6_NS0_5tupleIJS9_S6_EEENSD_IJSA_SA_EEENS0_18inequality_wrapperIZN2at6native12_GLOBAL__N_124unique_dim_cuda_templateIN3c108BFloat16EEESt5tupleIJNSH_6TensorESO_SO_EERKSO_lbbbEUlllE0_EEPmJS6_EEE10hipError_tPvRmT3_T4_T5_T6_T7_T9_mT8_P12ihipStream_tbDpT10_ENKUlT_T0_E_clISt17integral_constantIbLb1EES1E_EEDaS19_S1A_EUlS19_E_NS1_11comp_targetILNS1_3genE4ELNS1_11target_archE910ELNS1_3gpuE8ELNS1_3repE0EEENS1_30default_config_static_selectorELNS0_4arch9wavefront6targetE0EEEvT1_.num_vgpr, 0
	.set _ZN7rocprim17ROCPRIM_400000_NS6detail17trampoline_kernelINS0_14default_configENS1_25partition_config_selectorILNS1_17partition_subalgoE8ElNS0_10empty_typeEbEEZZNS1_14partition_implILS5_8ELb0ES3_jPlPS6_PKS6_NS0_5tupleIJS9_S6_EEENSD_IJSA_SA_EEENS0_18inequality_wrapperIZN2at6native12_GLOBAL__N_124unique_dim_cuda_templateIN3c108BFloat16EEESt5tupleIJNSH_6TensorESO_SO_EERKSO_lbbbEUlllE0_EEPmJS6_EEE10hipError_tPvRmT3_T4_T5_T6_T7_T9_mT8_P12ihipStream_tbDpT10_ENKUlT_T0_E_clISt17integral_constantIbLb1EES1E_EEDaS19_S1A_EUlS19_E_NS1_11comp_targetILNS1_3genE4ELNS1_11target_archE910ELNS1_3gpuE8ELNS1_3repE0EEENS1_30default_config_static_selectorELNS0_4arch9wavefront6targetE0EEEvT1_.num_agpr, 0
	.set _ZN7rocprim17ROCPRIM_400000_NS6detail17trampoline_kernelINS0_14default_configENS1_25partition_config_selectorILNS1_17partition_subalgoE8ElNS0_10empty_typeEbEEZZNS1_14partition_implILS5_8ELb0ES3_jPlPS6_PKS6_NS0_5tupleIJS9_S6_EEENSD_IJSA_SA_EEENS0_18inequality_wrapperIZN2at6native12_GLOBAL__N_124unique_dim_cuda_templateIN3c108BFloat16EEESt5tupleIJNSH_6TensorESO_SO_EERKSO_lbbbEUlllE0_EEPmJS6_EEE10hipError_tPvRmT3_T4_T5_T6_T7_T9_mT8_P12ihipStream_tbDpT10_ENKUlT_T0_E_clISt17integral_constantIbLb1EES1E_EEDaS19_S1A_EUlS19_E_NS1_11comp_targetILNS1_3genE4ELNS1_11target_archE910ELNS1_3gpuE8ELNS1_3repE0EEENS1_30default_config_static_selectorELNS0_4arch9wavefront6targetE0EEEvT1_.numbered_sgpr, 0
	.set _ZN7rocprim17ROCPRIM_400000_NS6detail17trampoline_kernelINS0_14default_configENS1_25partition_config_selectorILNS1_17partition_subalgoE8ElNS0_10empty_typeEbEEZZNS1_14partition_implILS5_8ELb0ES3_jPlPS6_PKS6_NS0_5tupleIJS9_S6_EEENSD_IJSA_SA_EEENS0_18inequality_wrapperIZN2at6native12_GLOBAL__N_124unique_dim_cuda_templateIN3c108BFloat16EEESt5tupleIJNSH_6TensorESO_SO_EERKSO_lbbbEUlllE0_EEPmJS6_EEE10hipError_tPvRmT3_T4_T5_T6_T7_T9_mT8_P12ihipStream_tbDpT10_ENKUlT_T0_E_clISt17integral_constantIbLb1EES1E_EEDaS19_S1A_EUlS19_E_NS1_11comp_targetILNS1_3genE4ELNS1_11target_archE910ELNS1_3gpuE8ELNS1_3repE0EEENS1_30default_config_static_selectorELNS0_4arch9wavefront6targetE0EEEvT1_.num_named_barrier, 0
	.set _ZN7rocprim17ROCPRIM_400000_NS6detail17trampoline_kernelINS0_14default_configENS1_25partition_config_selectorILNS1_17partition_subalgoE8ElNS0_10empty_typeEbEEZZNS1_14partition_implILS5_8ELb0ES3_jPlPS6_PKS6_NS0_5tupleIJS9_S6_EEENSD_IJSA_SA_EEENS0_18inequality_wrapperIZN2at6native12_GLOBAL__N_124unique_dim_cuda_templateIN3c108BFloat16EEESt5tupleIJNSH_6TensorESO_SO_EERKSO_lbbbEUlllE0_EEPmJS6_EEE10hipError_tPvRmT3_T4_T5_T6_T7_T9_mT8_P12ihipStream_tbDpT10_ENKUlT_T0_E_clISt17integral_constantIbLb1EES1E_EEDaS19_S1A_EUlS19_E_NS1_11comp_targetILNS1_3genE4ELNS1_11target_archE910ELNS1_3gpuE8ELNS1_3repE0EEENS1_30default_config_static_selectorELNS0_4arch9wavefront6targetE0EEEvT1_.private_seg_size, 0
	.set _ZN7rocprim17ROCPRIM_400000_NS6detail17trampoline_kernelINS0_14default_configENS1_25partition_config_selectorILNS1_17partition_subalgoE8ElNS0_10empty_typeEbEEZZNS1_14partition_implILS5_8ELb0ES3_jPlPS6_PKS6_NS0_5tupleIJS9_S6_EEENSD_IJSA_SA_EEENS0_18inequality_wrapperIZN2at6native12_GLOBAL__N_124unique_dim_cuda_templateIN3c108BFloat16EEESt5tupleIJNSH_6TensorESO_SO_EERKSO_lbbbEUlllE0_EEPmJS6_EEE10hipError_tPvRmT3_T4_T5_T6_T7_T9_mT8_P12ihipStream_tbDpT10_ENKUlT_T0_E_clISt17integral_constantIbLb1EES1E_EEDaS19_S1A_EUlS19_E_NS1_11comp_targetILNS1_3genE4ELNS1_11target_archE910ELNS1_3gpuE8ELNS1_3repE0EEENS1_30default_config_static_selectorELNS0_4arch9wavefront6targetE0EEEvT1_.uses_vcc, 0
	.set _ZN7rocprim17ROCPRIM_400000_NS6detail17trampoline_kernelINS0_14default_configENS1_25partition_config_selectorILNS1_17partition_subalgoE8ElNS0_10empty_typeEbEEZZNS1_14partition_implILS5_8ELb0ES3_jPlPS6_PKS6_NS0_5tupleIJS9_S6_EEENSD_IJSA_SA_EEENS0_18inequality_wrapperIZN2at6native12_GLOBAL__N_124unique_dim_cuda_templateIN3c108BFloat16EEESt5tupleIJNSH_6TensorESO_SO_EERKSO_lbbbEUlllE0_EEPmJS6_EEE10hipError_tPvRmT3_T4_T5_T6_T7_T9_mT8_P12ihipStream_tbDpT10_ENKUlT_T0_E_clISt17integral_constantIbLb1EES1E_EEDaS19_S1A_EUlS19_E_NS1_11comp_targetILNS1_3genE4ELNS1_11target_archE910ELNS1_3gpuE8ELNS1_3repE0EEENS1_30default_config_static_selectorELNS0_4arch9wavefront6targetE0EEEvT1_.uses_flat_scratch, 0
	.set _ZN7rocprim17ROCPRIM_400000_NS6detail17trampoline_kernelINS0_14default_configENS1_25partition_config_selectorILNS1_17partition_subalgoE8ElNS0_10empty_typeEbEEZZNS1_14partition_implILS5_8ELb0ES3_jPlPS6_PKS6_NS0_5tupleIJS9_S6_EEENSD_IJSA_SA_EEENS0_18inequality_wrapperIZN2at6native12_GLOBAL__N_124unique_dim_cuda_templateIN3c108BFloat16EEESt5tupleIJNSH_6TensorESO_SO_EERKSO_lbbbEUlllE0_EEPmJS6_EEE10hipError_tPvRmT3_T4_T5_T6_T7_T9_mT8_P12ihipStream_tbDpT10_ENKUlT_T0_E_clISt17integral_constantIbLb1EES1E_EEDaS19_S1A_EUlS19_E_NS1_11comp_targetILNS1_3genE4ELNS1_11target_archE910ELNS1_3gpuE8ELNS1_3repE0EEENS1_30default_config_static_selectorELNS0_4arch9wavefront6targetE0EEEvT1_.has_dyn_sized_stack, 0
	.set _ZN7rocprim17ROCPRIM_400000_NS6detail17trampoline_kernelINS0_14default_configENS1_25partition_config_selectorILNS1_17partition_subalgoE8ElNS0_10empty_typeEbEEZZNS1_14partition_implILS5_8ELb0ES3_jPlPS6_PKS6_NS0_5tupleIJS9_S6_EEENSD_IJSA_SA_EEENS0_18inequality_wrapperIZN2at6native12_GLOBAL__N_124unique_dim_cuda_templateIN3c108BFloat16EEESt5tupleIJNSH_6TensorESO_SO_EERKSO_lbbbEUlllE0_EEPmJS6_EEE10hipError_tPvRmT3_T4_T5_T6_T7_T9_mT8_P12ihipStream_tbDpT10_ENKUlT_T0_E_clISt17integral_constantIbLb1EES1E_EEDaS19_S1A_EUlS19_E_NS1_11comp_targetILNS1_3genE4ELNS1_11target_archE910ELNS1_3gpuE8ELNS1_3repE0EEENS1_30default_config_static_selectorELNS0_4arch9wavefront6targetE0EEEvT1_.has_recursion, 0
	.set _ZN7rocprim17ROCPRIM_400000_NS6detail17trampoline_kernelINS0_14default_configENS1_25partition_config_selectorILNS1_17partition_subalgoE8ElNS0_10empty_typeEbEEZZNS1_14partition_implILS5_8ELb0ES3_jPlPS6_PKS6_NS0_5tupleIJS9_S6_EEENSD_IJSA_SA_EEENS0_18inequality_wrapperIZN2at6native12_GLOBAL__N_124unique_dim_cuda_templateIN3c108BFloat16EEESt5tupleIJNSH_6TensorESO_SO_EERKSO_lbbbEUlllE0_EEPmJS6_EEE10hipError_tPvRmT3_T4_T5_T6_T7_T9_mT8_P12ihipStream_tbDpT10_ENKUlT_T0_E_clISt17integral_constantIbLb1EES1E_EEDaS19_S1A_EUlS19_E_NS1_11comp_targetILNS1_3genE4ELNS1_11target_archE910ELNS1_3gpuE8ELNS1_3repE0EEENS1_30default_config_static_selectorELNS0_4arch9wavefront6targetE0EEEvT1_.has_indirect_call, 0
	.section	.AMDGPU.csdata,"",@progbits
; Kernel info:
; codeLenInByte = 0
; TotalNumSgprs: 0
; NumVgprs: 0
; ScratchSize: 0
; MemoryBound: 0
; FloatMode: 240
; IeeeMode: 1
; LDSByteSize: 0 bytes/workgroup (compile time only)
; SGPRBlocks: 0
; VGPRBlocks: 0
; NumSGPRsForWavesPerEU: 1
; NumVGPRsForWavesPerEU: 1
; NamedBarCnt: 0
; Occupancy: 16
; WaveLimiterHint : 0
; COMPUTE_PGM_RSRC2:SCRATCH_EN: 0
; COMPUTE_PGM_RSRC2:USER_SGPR: 2
; COMPUTE_PGM_RSRC2:TRAP_HANDLER: 0
; COMPUTE_PGM_RSRC2:TGID_X_EN: 1
; COMPUTE_PGM_RSRC2:TGID_Y_EN: 0
; COMPUTE_PGM_RSRC2:TGID_Z_EN: 0
; COMPUTE_PGM_RSRC2:TIDIG_COMP_CNT: 0
	.section	.text._ZN7rocprim17ROCPRIM_400000_NS6detail17trampoline_kernelINS0_14default_configENS1_25partition_config_selectorILNS1_17partition_subalgoE8ElNS0_10empty_typeEbEEZZNS1_14partition_implILS5_8ELb0ES3_jPlPS6_PKS6_NS0_5tupleIJS9_S6_EEENSD_IJSA_SA_EEENS0_18inequality_wrapperIZN2at6native12_GLOBAL__N_124unique_dim_cuda_templateIN3c108BFloat16EEESt5tupleIJNSH_6TensorESO_SO_EERKSO_lbbbEUlllE0_EEPmJS6_EEE10hipError_tPvRmT3_T4_T5_T6_T7_T9_mT8_P12ihipStream_tbDpT10_ENKUlT_T0_E_clISt17integral_constantIbLb1EES1E_EEDaS19_S1A_EUlS19_E_NS1_11comp_targetILNS1_3genE3ELNS1_11target_archE908ELNS1_3gpuE7ELNS1_3repE0EEENS1_30default_config_static_selectorELNS0_4arch9wavefront6targetE0EEEvT1_,"axG",@progbits,_ZN7rocprim17ROCPRIM_400000_NS6detail17trampoline_kernelINS0_14default_configENS1_25partition_config_selectorILNS1_17partition_subalgoE8ElNS0_10empty_typeEbEEZZNS1_14partition_implILS5_8ELb0ES3_jPlPS6_PKS6_NS0_5tupleIJS9_S6_EEENSD_IJSA_SA_EEENS0_18inequality_wrapperIZN2at6native12_GLOBAL__N_124unique_dim_cuda_templateIN3c108BFloat16EEESt5tupleIJNSH_6TensorESO_SO_EERKSO_lbbbEUlllE0_EEPmJS6_EEE10hipError_tPvRmT3_T4_T5_T6_T7_T9_mT8_P12ihipStream_tbDpT10_ENKUlT_T0_E_clISt17integral_constantIbLb1EES1E_EEDaS19_S1A_EUlS19_E_NS1_11comp_targetILNS1_3genE3ELNS1_11target_archE908ELNS1_3gpuE7ELNS1_3repE0EEENS1_30default_config_static_selectorELNS0_4arch9wavefront6targetE0EEEvT1_,comdat
	.globl	_ZN7rocprim17ROCPRIM_400000_NS6detail17trampoline_kernelINS0_14default_configENS1_25partition_config_selectorILNS1_17partition_subalgoE8ElNS0_10empty_typeEbEEZZNS1_14partition_implILS5_8ELb0ES3_jPlPS6_PKS6_NS0_5tupleIJS9_S6_EEENSD_IJSA_SA_EEENS0_18inequality_wrapperIZN2at6native12_GLOBAL__N_124unique_dim_cuda_templateIN3c108BFloat16EEESt5tupleIJNSH_6TensorESO_SO_EERKSO_lbbbEUlllE0_EEPmJS6_EEE10hipError_tPvRmT3_T4_T5_T6_T7_T9_mT8_P12ihipStream_tbDpT10_ENKUlT_T0_E_clISt17integral_constantIbLb1EES1E_EEDaS19_S1A_EUlS19_E_NS1_11comp_targetILNS1_3genE3ELNS1_11target_archE908ELNS1_3gpuE7ELNS1_3repE0EEENS1_30default_config_static_selectorELNS0_4arch9wavefront6targetE0EEEvT1_ ; -- Begin function _ZN7rocprim17ROCPRIM_400000_NS6detail17trampoline_kernelINS0_14default_configENS1_25partition_config_selectorILNS1_17partition_subalgoE8ElNS0_10empty_typeEbEEZZNS1_14partition_implILS5_8ELb0ES3_jPlPS6_PKS6_NS0_5tupleIJS9_S6_EEENSD_IJSA_SA_EEENS0_18inequality_wrapperIZN2at6native12_GLOBAL__N_124unique_dim_cuda_templateIN3c108BFloat16EEESt5tupleIJNSH_6TensorESO_SO_EERKSO_lbbbEUlllE0_EEPmJS6_EEE10hipError_tPvRmT3_T4_T5_T6_T7_T9_mT8_P12ihipStream_tbDpT10_ENKUlT_T0_E_clISt17integral_constantIbLb1EES1E_EEDaS19_S1A_EUlS19_E_NS1_11comp_targetILNS1_3genE3ELNS1_11target_archE908ELNS1_3gpuE7ELNS1_3repE0EEENS1_30default_config_static_selectorELNS0_4arch9wavefront6targetE0EEEvT1_
	.p2align	8
	.type	_ZN7rocprim17ROCPRIM_400000_NS6detail17trampoline_kernelINS0_14default_configENS1_25partition_config_selectorILNS1_17partition_subalgoE8ElNS0_10empty_typeEbEEZZNS1_14partition_implILS5_8ELb0ES3_jPlPS6_PKS6_NS0_5tupleIJS9_S6_EEENSD_IJSA_SA_EEENS0_18inequality_wrapperIZN2at6native12_GLOBAL__N_124unique_dim_cuda_templateIN3c108BFloat16EEESt5tupleIJNSH_6TensorESO_SO_EERKSO_lbbbEUlllE0_EEPmJS6_EEE10hipError_tPvRmT3_T4_T5_T6_T7_T9_mT8_P12ihipStream_tbDpT10_ENKUlT_T0_E_clISt17integral_constantIbLb1EES1E_EEDaS19_S1A_EUlS19_E_NS1_11comp_targetILNS1_3genE3ELNS1_11target_archE908ELNS1_3gpuE7ELNS1_3repE0EEENS1_30default_config_static_selectorELNS0_4arch9wavefront6targetE0EEEvT1_,@function
_ZN7rocprim17ROCPRIM_400000_NS6detail17trampoline_kernelINS0_14default_configENS1_25partition_config_selectorILNS1_17partition_subalgoE8ElNS0_10empty_typeEbEEZZNS1_14partition_implILS5_8ELb0ES3_jPlPS6_PKS6_NS0_5tupleIJS9_S6_EEENSD_IJSA_SA_EEENS0_18inequality_wrapperIZN2at6native12_GLOBAL__N_124unique_dim_cuda_templateIN3c108BFloat16EEESt5tupleIJNSH_6TensorESO_SO_EERKSO_lbbbEUlllE0_EEPmJS6_EEE10hipError_tPvRmT3_T4_T5_T6_T7_T9_mT8_P12ihipStream_tbDpT10_ENKUlT_T0_E_clISt17integral_constantIbLb1EES1E_EEDaS19_S1A_EUlS19_E_NS1_11comp_targetILNS1_3genE3ELNS1_11target_archE908ELNS1_3gpuE7ELNS1_3repE0EEENS1_30default_config_static_selectorELNS0_4arch9wavefront6targetE0EEEvT1_: ; @_ZN7rocprim17ROCPRIM_400000_NS6detail17trampoline_kernelINS0_14default_configENS1_25partition_config_selectorILNS1_17partition_subalgoE8ElNS0_10empty_typeEbEEZZNS1_14partition_implILS5_8ELb0ES3_jPlPS6_PKS6_NS0_5tupleIJS9_S6_EEENSD_IJSA_SA_EEENS0_18inequality_wrapperIZN2at6native12_GLOBAL__N_124unique_dim_cuda_templateIN3c108BFloat16EEESt5tupleIJNSH_6TensorESO_SO_EERKSO_lbbbEUlllE0_EEPmJS6_EEE10hipError_tPvRmT3_T4_T5_T6_T7_T9_mT8_P12ihipStream_tbDpT10_ENKUlT_T0_E_clISt17integral_constantIbLb1EES1E_EEDaS19_S1A_EUlS19_E_NS1_11comp_targetILNS1_3genE3ELNS1_11target_archE908ELNS1_3gpuE7ELNS1_3repE0EEENS1_30default_config_static_selectorELNS0_4arch9wavefront6targetE0EEEvT1_
; %bb.0:
	.section	.rodata,"a",@progbits
	.p2align	6, 0x0
	.amdhsa_kernel _ZN7rocprim17ROCPRIM_400000_NS6detail17trampoline_kernelINS0_14default_configENS1_25partition_config_selectorILNS1_17partition_subalgoE8ElNS0_10empty_typeEbEEZZNS1_14partition_implILS5_8ELb0ES3_jPlPS6_PKS6_NS0_5tupleIJS9_S6_EEENSD_IJSA_SA_EEENS0_18inequality_wrapperIZN2at6native12_GLOBAL__N_124unique_dim_cuda_templateIN3c108BFloat16EEESt5tupleIJNSH_6TensorESO_SO_EERKSO_lbbbEUlllE0_EEPmJS6_EEE10hipError_tPvRmT3_T4_T5_T6_T7_T9_mT8_P12ihipStream_tbDpT10_ENKUlT_T0_E_clISt17integral_constantIbLb1EES1E_EEDaS19_S1A_EUlS19_E_NS1_11comp_targetILNS1_3genE3ELNS1_11target_archE908ELNS1_3gpuE7ELNS1_3repE0EEENS1_30default_config_static_selectorELNS0_4arch9wavefront6targetE0EEEvT1_
		.amdhsa_group_segment_fixed_size 0
		.amdhsa_private_segment_fixed_size 0
		.amdhsa_kernarg_size 136
		.amdhsa_user_sgpr_count 2
		.amdhsa_user_sgpr_dispatch_ptr 0
		.amdhsa_user_sgpr_queue_ptr 0
		.amdhsa_user_sgpr_kernarg_segment_ptr 1
		.amdhsa_user_sgpr_dispatch_id 0
		.amdhsa_user_sgpr_kernarg_preload_length 0
		.amdhsa_user_sgpr_kernarg_preload_offset 0
		.amdhsa_user_sgpr_private_segment_size 0
		.amdhsa_wavefront_size32 1
		.amdhsa_uses_dynamic_stack 0
		.amdhsa_enable_private_segment 0
		.amdhsa_system_sgpr_workgroup_id_x 1
		.amdhsa_system_sgpr_workgroup_id_y 0
		.amdhsa_system_sgpr_workgroup_id_z 0
		.amdhsa_system_sgpr_workgroup_info 0
		.amdhsa_system_vgpr_workitem_id 0
		.amdhsa_next_free_vgpr 1
		.amdhsa_next_free_sgpr 1
		.amdhsa_named_barrier_count 0
		.amdhsa_reserve_vcc 0
		.amdhsa_float_round_mode_32 0
		.amdhsa_float_round_mode_16_64 0
		.amdhsa_float_denorm_mode_32 3
		.amdhsa_float_denorm_mode_16_64 3
		.amdhsa_fp16_overflow 0
		.amdhsa_memory_ordered 1
		.amdhsa_forward_progress 1
		.amdhsa_inst_pref_size 0
		.amdhsa_round_robin_scheduling 0
		.amdhsa_exception_fp_ieee_invalid_op 0
		.amdhsa_exception_fp_denorm_src 0
		.amdhsa_exception_fp_ieee_div_zero 0
		.amdhsa_exception_fp_ieee_overflow 0
		.amdhsa_exception_fp_ieee_underflow 0
		.amdhsa_exception_fp_ieee_inexact 0
		.amdhsa_exception_int_div_zero 0
	.end_amdhsa_kernel
	.section	.text._ZN7rocprim17ROCPRIM_400000_NS6detail17trampoline_kernelINS0_14default_configENS1_25partition_config_selectorILNS1_17partition_subalgoE8ElNS0_10empty_typeEbEEZZNS1_14partition_implILS5_8ELb0ES3_jPlPS6_PKS6_NS0_5tupleIJS9_S6_EEENSD_IJSA_SA_EEENS0_18inequality_wrapperIZN2at6native12_GLOBAL__N_124unique_dim_cuda_templateIN3c108BFloat16EEESt5tupleIJNSH_6TensorESO_SO_EERKSO_lbbbEUlllE0_EEPmJS6_EEE10hipError_tPvRmT3_T4_T5_T6_T7_T9_mT8_P12ihipStream_tbDpT10_ENKUlT_T0_E_clISt17integral_constantIbLb1EES1E_EEDaS19_S1A_EUlS19_E_NS1_11comp_targetILNS1_3genE3ELNS1_11target_archE908ELNS1_3gpuE7ELNS1_3repE0EEENS1_30default_config_static_selectorELNS0_4arch9wavefront6targetE0EEEvT1_,"axG",@progbits,_ZN7rocprim17ROCPRIM_400000_NS6detail17trampoline_kernelINS0_14default_configENS1_25partition_config_selectorILNS1_17partition_subalgoE8ElNS0_10empty_typeEbEEZZNS1_14partition_implILS5_8ELb0ES3_jPlPS6_PKS6_NS0_5tupleIJS9_S6_EEENSD_IJSA_SA_EEENS0_18inequality_wrapperIZN2at6native12_GLOBAL__N_124unique_dim_cuda_templateIN3c108BFloat16EEESt5tupleIJNSH_6TensorESO_SO_EERKSO_lbbbEUlllE0_EEPmJS6_EEE10hipError_tPvRmT3_T4_T5_T6_T7_T9_mT8_P12ihipStream_tbDpT10_ENKUlT_T0_E_clISt17integral_constantIbLb1EES1E_EEDaS19_S1A_EUlS19_E_NS1_11comp_targetILNS1_3genE3ELNS1_11target_archE908ELNS1_3gpuE7ELNS1_3repE0EEENS1_30default_config_static_selectorELNS0_4arch9wavefront6targetE0EEEvT1_,comdat
.Lfunc_end1185:
	.size	_ZN7rocprim17ROCPRIM_400000_NS6detail17trampoline_kernelINS0_14default_configENS1_25partition_config_selectorILNS1_17partition_subalgoE8ElNS0_10empty_typeEbEEZZNS1_14partition_implILS5_8ELb0ES3_jPlPS6_PKS6_NS0_5tupleIJS9_S6_EEENSD_IJSA_SA_EEENS0_18inequality_wrapperIZN2at6native12_GLOBAL__N_124unique_dim_cuda_templateIN3c108BFloat16EEESt5tupleIJNSH_6TensorESO_SO_EERKSO_lbbbEUlllE0_EEPmJS6_EEE10hipError_tPvRmT3_T4_T5_T6_T7_T9_mT8_P12ihipStream_tbDpT10_ENKUlT_T0_E_clISt17integral_constantIbLb1EES1E_EEDaS19_S1A_EUlS19_E_NS1_11comp_targetILNS1_3genE3ELNS1_11target_archE908ELNS1_3gpuE7ELNS1_3repE0EEENS1_30default_config_static_selectorELNS0_4arch9wavefront6targetE0EEEvT1_, .Lfunc_end1185-_ZN7rocprim17ROCPRIM_400000_NS6detail17trampoline_kernelINS0_14default_configENS1_25partition_config_selectorILNS1_17partition_subalgoE8ElNS0_10empty_typeEbEEZZNS1_14partition_implILS5_8ELb0ES3_jPlPS6_PKS6_NS0_5tupleIJS9_S6_EEENSD_IJSA_SA_EEENS0_18inequality_wrapperIZN2at6native12_GLOBAL__N_124unique_dim_cuda_templateIN3c108BFloat16EEESt5tupleIJNSH_6TensorESO_SO_EERKSO_lbbbEUlllE0_EEPmJS6_EEE10hipError_tPvRmT3_T4_T5_T6_T7_T9_mT8_P12ihipStream_tbDpT10_ENKUlT_T0_E_clISt17integral_constantIbLb1EES1E_EEDaS19_S1A_EUlS19_E_NS1_11comp_targetILNS1_3genE3ELNS1_11target_archE908ELNS1_3gpuE7ELNS1_3repE0EEENS1_30default_config_static_selectorELNS0_4arch9wavefront6targetE0EEEvT1_
                                        ; -- End function
	.set _ZN7rocprim17ROCPRIM_400000_NS6detail17trampoline_kernelINS0_14default_configENS1_25partition_config_selectorILNS1_17partition_subalgoE8ElNS0_10empty_typeEbEEZZNS1_14partition_implILS5_8ELb0ES3_jPlPS6_PKS6_NS0_5tupleIJS9_S6_EEENSD_IJSA_SA_EEENS0_18inequality_wrapperIZN2at6native12_GLOBAL__N_124unique_dim_cuda_templateIN3c108BFloat16EEESt5tupleIJNSH_6TensorESO_SO_EERKSO_lbbbEUlllE0_EEPmJS6_EEE10hipError_tPvRmT3_T4_T5_T6_T7_T9_mT8_P12ihipStream_tbDpT10_ENKUlT_T0_E_clISt17integral_constantIbLb1EES1E_EEDaS19_S1A_EUlS19_E_NS1_11comp_targetILNS1_3genE3ELNS1_11target_archE908ELNS1_3gpuE7ELNS1_3repE0EEENS1_30default_config_static_selectorELNS0_4arch9wavefront6targetE0EEEvT1_.num_vgpr, 0
	.set _ZN7rocprim17ROCPRIM_400000_NS6detail17trampoline_kernelINS0_14default_configENS1_25partition_config_selectorILNS1_17partition_subalgoE8ElNS0_10empty_typeEbEEZZNS1_14partition_implILS5_8ELb0ES3_jPlPS6_PKS6_NS0_5tupleIJS9_S6_EEENSD_IJSA_SA_EEENS0_18inequality_wrapperIZN2at6native12_GLOBAL__N_124unique_dim_cuda_templateIN3c108BFloat16EEESt5tupleIJNSH_6TensorESO_SO_EERKSO_lbbbEUlllE0_EEPmJS6_EEE10hipError_tPvRmT3_T4_T5_T6_T7_T9_mT8_P12ihipStream_tbDpT10_ENKUlT_T0_E_clISt17integral_constantIbLb1EES1E_EEDaS19_S1A_EUlS19_E_NS1_11comp_targetILNS1_3genE3ELNS1_11target_archE908ELNS1_3gpuE7ELNS1_3repE0EEENS1_30default_config_static_selectorELNS0_4arch9wavefront6targetE0EEEvT1_.num_agpr, 0
	.set _ZN7rocprim17ROCPRIM_400000_NS6detail17trampoline_kernelINS0_14default_configENS1_25partition_config_selectorILNS1_17partition_subalgoE8ElNS0_10empty_typeEbEEZZNS1_14partition_implILS5_8ELb0ES3_jPlPS6_PKS6_NS0_5tupleIJS9_S6_EEENSD_IJSA_SA_EEENS0_18inequality_wrapperIZN2at6native12_GLOBAL__N_124unique_dim_cuda_templateIN3c108BFloat16EEESt5tupleIJNSH_6TensorESO_SO_EERKSO_lbbbEUlllE0_EEPmJS6_EEE10hipError_tPvRmT3_T4_T5_T6_T7_T9_mT8_P12ihipStream_tbDpT10_ENKUlT_T0_E_clISt17integral_constantIbLb1EES1E_EEDaS19_S1A_EUlS19_E_NS1_11comp_targetILNS1_3genE3ELNS1_11target_archE908ELNS1_3gpuE7ELNS1_3repE0EEENS1_30default_config_static_selectorELNS0_4arch9wavefront6targetE0EEEvT1_.numbered_sgpr, 0
	.set _ZN7rocprim17ROCPRIM_400000_NS6detail17trampoline_kernelINS0_14default_configENS1_25partition_config_selectorILNS1_17partition_subalgoE8ElNS0_10empty_typeEbEEZZNS1_14partition_implILS5_8ELb0ES3_jPlPS6_PKS6_NS0_5tupleIJS9_S6_EEENSD_IJSA_SA_EEENS0_18inequality_wrapperIZN2at6native12_GLOBAL__N_124unique_dim_cuda_templateIN3c108BFloat16EEESt5tupleIJNSH_6TensorESO_SO_EERKSO_lbbbEUlllE0_EEPmJS6_EEE10hipError_tPvRmT3_T4_T5_T6_T7_T9_mT8_P12ihipStream_tbDpT10_ENKUlT_T0_E_clISt17integral_constantIbLb1EES1E_EEDaS19_S1A_EUlS19_E_NS1_11comp_targetILNS1_3genE3ELNS1_11target_archE908ELNS1_3gpuE7ELNS1_3repE0EEENS1_30default_config_static_selectorELNS0_4arch9wavefront6targetE0EEEvT1_.num_named_barrier, 0
	.set _ZN7rocprim17ROCPRIM_400000_NS6detail17trampoline_kernelINS0_14default_configENS1_25partition_config_selectorILNS1_17partition_subalgoE8ElNS0_10empty_typeEbEEZZNS1_14partition_implILS5_8ELb0ES3_jPlPS6_PKS6_NS0_5tupleIJS9_S6_EEENSD_IJSA_SA_EEENS0_18inequality_wrapperIZN2at6native12_GLOBAL__N_124unique_dim_cuda_templateIN3c108BFloat16EEESt5tupleIJNSH_6TensorESO_SO_EERKSO_lbbbEUlllE0_EEPmJS6_EEE10hipError_tPvRmT3_T4_T5_T6_T7_T9_mT8_P12ihipStream_tbDpT10_ENKUlT_T0_E_clISt17integral_constantIbLb1EES1E_EEDaS19_S1A_EUlS19_E_NS1_11comp_targetILNS1_3genE3ELNS1_11target_archE908ELNS1_3gpuE7ELNS1_3repE0EEENS1_30default_config_static_selectorELNS0_4arch9wavefront6targetE0EEEvT1_.private_seg_size, 0
	.set _ZN7rocprim17ROCPRIM_400000_NS6detail17trampoline_kernelINS0_14default_configENS1_25partition_config_selectorILNS1_17partition_subalgoE8ElNS0_10empty_typeEbEEZZNS1_14partition_implILS5_8ELb0ES3_jPlPS6_PKS6_NS0_5tupleIJS9_S6_EEENSD_IJSA_SA_EEENS0_18inequality_wrapperIZN2at6native12_GLOBAL__N_124unique_dim_cuda_templateIN3c108BFloat16EEESt5tupleIJNSH_6TensorESO_SO_EERKSO_lbbbEUlllE0_EEPmJS6_EEE10hipError_tPvRmT3_T4_T5_T6_T7_T9_mT8_P12ihipStream_tbDpT10_ENKUlT_T0_E_clISt17integral_constantIbLb1EES1E_EEDaS19_S1A_EUlS19_E_NS1_11comp_targetILNS1_3genE3ELNS1_11target_archE908ELNS1_3gpuE7ELNS1_3repE0EEENS1_30default_config_static_selectorELNS0_4arch9wavefront6targetE0EEEvT1_.uses_vcc, 0
	.set _ZN7rocprim17ROCPRIM_400000_NS6detail17trampoline_kernelINS0_14default_configENS1_25partition_config_selectorILNS1_17partition_subalgoE8ElNS0_10empty_typeEbEEZZNS1_14partition_implILS5_8ELb0ES3_jPlPS6_PKS6_NS0_5tupleIJS9_S6_EEENSD_IJSA_SA_EEENS0_18inequality_wrapperIZN2at6native12_GLOBAL__N_124unique_dim_cuda_templateIN3c108BFloat16EEESt5tupleIJNSH_6TensorESO_SO_EERKSO_lbbbEUlllE0_EEPmJS6_EEE10hipError_tPvRmT3_T4_T5_T6_T7_T9_mT8_P12ihipStream_tbDpT10_ENKUlT_T0_E_clISt17integral_constantIbLb1EES1E_EEDaS19_S1A_EUlS19_E_NS1_11comp_targetILNS1_3genE3ELNS1_11target_archE908ELNS1_3gpuE7ELNS1_3repE0EEENS1_30default_config_static_selectorELNS0_4arch9wavefront6targetE0EEEvT1_.uses_flat_scratch, 0
	.set _ZN7rocprim17ROCPRIM_400000_NS6detail17trampoline_kernelINS0_14default_configENS1_25partition_config_selectorILNS1_17partition_subalgoE8ElNS0_10empty_typeEbEEZZNS1_14partition_implILS5_8ELb0ES3_jPlPS6_PKS6_NS0_5tupleIJS9_S6_EEENSD_IJSA_SA_EEENS0_18inequality_wrapperIZN2at6native12_GLOBAL__N_124unique_dim_cuda_templateIN3c108BFloat16EEESt5tupleIJNSH_6TensorESO_SO_EERKSO_lbbbEUlllE0_EEPmJS6_EEE10hipError_tPvRmT3_T4_T5_T6_T7_T9_mT8_P12ihipStream_tbDpT10_ENKUlT_T0_E_clISt17integral_constantIbLb1EES1E_EEDaS19_S1A_EUlS19_E_NS1_11comp_targetILNS1_3genE3ELNS1_11target_archE908ELNS1_3gpuE7ELNS1_3repE0EEENS1_30default_config_static_selectorELNS0_4arch9wavefront6targetE0EEEvT1_.has_dyn_sized_stack, 0
	.set _ZN7rocprim17ROCPRIM_400000_NS6detail17trampoline_kernelINS0_14default_configENS1_25partition_config_selectorILNS1_17partition_subalgoE8ElNS0_10empty_typeEbEEZZNS1_14partition_implILS5_8ELb0ES3_jPlPS6_PKS6_NS0_5tupleIJS9_S6_EEENSD_IJSA_SA_EEENS0_18inequality_wrapperIZN2at6native12_GLOBAL__N_124unique_dim_cuda_templateIN3c108BFloat16EEESt5tupleIJNSH_6TensorESO_SO_EERKSO_lbbbEUlllE0_EEPmJS6_EEE10hipError_tPvRmT3_T4_T5_T6_T7_T9_mT8_P12ihipStream_tbDpT10_ENKUlT_T0_E_clISt17integral_constantIbLb1EES1E_EEDaS19_S1A_EUlS19_E_NS1_11comp_targetILNS1_3genE3ELNS1_11target_archE908ELNS1_3gpuE7ELNS1_3repE0EEENS1_30default_config_static_selectorELNS0_4arch9wavefront6targetE0EEEvT1_.has_recursion, 0
	.set _ZN7rocprim17ROCPRIM_400000_NS6detail17trampoline_kernelINS0_14default_configENS1_25partition_config_selectorILNS1_17partition_subalgoE8ElNS0_10empty_typeEbEEZZNS1_14partition_implILS5_8ELb0ES3_jPlPS6_PKS6_NS0_5tupleIJS9_S6_EEENSD_IJSA_SA_EEENS0_18inequality_wrapperIZN2at6native12_GLOBAL__N_124unique_dim_cuda_templateIN3c108BFloat16EEESt5tupleIJNSH_6TensorESO_SO_EERKSO_lbbbEUlllE0_EEPmJS6_EEE10hipError_tPvRmT3_T4_T5_T6_T7_T9_mT8_P12ihipStream_tbDpT10_ENKUlT_T0_E_clISt17integral_constantIbLb1EES1E_EEDaS19_S1A_EUlS19_E_NS1_11comp_targetILNS1_3genE3ELNS1_11target_archE908ELNS1_3gpuE7ELNS1_3repE0EEENS1_30default_config_static_selectorELNS0_4arch9wavefront6targetE0EEEvT1_.has_indirect_call, 0
	.section	.AMDGPU.csdata,"",@progbits
; Kernel info:
; codeLenInByte = 0
; TotalNumSgprs: 0
; NumVgprs: 0
; ScratchSize: 0
; MemoryBound: 0
; FloatMode: 240
; IeeeMode: 1
; LDSByteSize: 0 bytes/workgroup (compile time only)
; SGPRBlocks: 0
; VGPRBlocks: 0
; NumSGPRsForWavesPerEU: 1
; NumVGPRsForWavesPerEU: 1
; NamedBarCnt: 0
; Occupancy: 16
; WaveLimiterHint : 0
; COMPUTE_PGM_RSRC2:SCRATCH_EN: 0
; COMPUTE_PGM_RSRC2:USER_SGPR: 2
; COMPUTE_PGM_RSRC2:TRAP_HANDLER: 0
; COMPUTE_PGM_RSRC2:TGID_X_EN: 1
; COMPUTE_PGM_RSRC2:TGID_Y_EN: 0
; COMPUTE_PGM_RSRC2:TGID_Z_EN: 0
; COMPUTE_PGM_RSRC2:TIDIG_COMP_CNT: 0
	.section	.text._ZN7rocprim17ROCPRIM_400000_NS6detail17trampoline_kernelINS0_14default_configENS1_25partition_config_selectorILNS1_17partition_subalgoE8ElNS0_10empty_typeEbEEZZNS1_14partition_implILS5_8ELb0ES3_jPlPS6_PKS6_NS0_5tupleIJS9_S6_EEENSD_IJSA_SA_EEENS0_18inequality_wrapperIZN2at6native12_GLOBAL__N_124unique_dim_cuda_templateIN3c108BFloat16EEESt5tupleIJNSH_6TensorESO_SO_EERKSO_lbbbEUlllE0_EEPmJS6_EEE10hipError_tPvRmT3_T4_T5_T6_T7_T9_mT8_P12ihipStream_tbDpT10_ENKUlT_T0_E_clISt17integral_constantIbLb1EES1E_EEDaS19_S1A_EUlS19_E_NS1_11comp_targetILNS1_3genE2ELNS1_11target_archE906ELNS1_3gpuE6ELNS1_3repE0EEENS1_30default_config_static_selectorELNS0_4arch9wavefront6targetE0EEEvT1_,"axG",@progbits,_ZN7rocprim17ROCPRIM_400000_NS6detail17trampoline_kernelINS0_14default_configENS1_25partition_config_selectorILNS1_17partition_subalgoE8ElNS0_10empty_typeEbEEZZNS1_14partition_implILS5_8ELb0ES3_jPlPS6_PKS6_NS0_5tupleIJS9_S6_EEENSD_IJSA_SA_EEENS0_18inequality_wrapperIZN2at6native12_GLOBAL__N_124unique_dim_cuda_templateIN3c108BFloat16EEESt5tupleIJNSH_6TensorESO_SO_EERKSO_lbbbEUlllE0_EEPmJS6_EEE10hipError_tPvRmT3_T4_T5_T6_T7_T9_mT8_P12ihipStream_tbDpT10_ENKUlT_T0_E_clISt17integral_constantIbLb1EES1E_EEDaS19_S1A_EUlS19_E_NS1_11comp_targetILNS1_3genE2ELNS1_11target_archE906ELNS1_3gpuE6ELNS1_3repE0EEENS1_30default_config_static_selectorELNS0_4arch9wavefront6targetE0EEEvT1_,comdat
	.globl	_ZN7rocprim17ROCPRIM_400000_NS6detail17trampoline_kernelINS0_14default_configENS1_25partition_config_selectorILNS1_17partition_subalgoE8ElNS0_10empty_typeEbEEZZNS1_14partition_implILS5_8ELb0ES3_jPlPS6_PKS6_NS0_5tupleIJS9_S6_EEENSD_IJSA_SA_EEENS0_18inequality_wrapperIZN2at6native12_GLOBAL__N_124unique_dim_cuda_templateIN3c108BFloat16EEESt5tupleIJNSH_6TensorESO_SO_EERKSO_lbbbEUlllE0_EEPmJS6_EEE10hipError_tPvRmT3_T4_T5_T6_T7_T9_mT8_P12ihipStream_tbDpT10_ENKUlT_T0_E_clISt17integral_constantIbLb1EES1E_EEDaS19_S1A_EUlS19_E_NS1_11comp_targetILNS1_3genE2ELNS1_11target_archE906ELNS1_3gpuE6ELNS1_3repE0EEENS1_30default_config_static_selectorELNS0_4arch9wavefront6targetE0EEEvT1_ ; -- Begin function _ZN7rocprim17ROCPRIM_400000_NS6detail17trampoline_kernelINS0_14default_configENS1_25partition_config_selectorILNS1_17partition_subalgoE8ElNS0_10empty_typeEbEEZZNS1_14partition_implILS5_8ELb0ES3_jPlPS6_PKS6_NS0_5tupleIJS9_S6_EEENSD_IJSA_SA_EEENS0_18inequality_wrapperIZN2at6native12_GLOBAL__N_124unique_dim_cuda_templateIN3c108BFloat16EEESt5tupleIJNSH_6TensorESO_SO_EERKSO_lbbbEUlllE0_EEPmJS6_EEE10hipError_tPvRmT3_T4_T5_T6_T7_T9_mT8_P12ihipStream_tbDpT10_ENKUlT_T0_E_clISt17integral_constantIbLb1EES1E_EEDaS19_S1A_EUlS19_E_NS1_11comp_targetILNS1_3genE2ELNS1_11target_archE906ELNS1_3gpuE6ELNS1_3repE0EEENS1_30default_config_static_selectorELNS0_4arch9wavefront6targetE0EEEvT1_
	.p2align	8
	.type	_ZN7rocprim17ROCPRIM_400000_NS6detail17trampoline_kernelINS0_14default_configENS1_25partition_config_selectorILNS1_17partition_subalgoE8ElNS0_10empty_typeEbEEZZNS1_14partition_implILS5_8ELb0ES3_jPlPS6_PKS6_NS0_5tupleIJS9_S6_EEENSD_IJSA_SA_EEENS0_18inequality_wrapperIZN2at6native12_GLOBAL__N_124unique_dim_cuda_templateIN3c108BFloat16EEESt5tupleIJNSH_6TensorESO_SO_EERKSO_lbbbEUlllE0_EEPmJS6_EEE10hipError_tPvRmT3_T4_T5_T6_T7_T9_mT8_P12ihipStream_tbDpT10_ENKUlT_T0_E_clISt17integral_constantIbLb1EES1E_EEDaS19_S1A_EUlS19_E_NS1_11comp_targetILNS1_3genE2ELNS1_11target_archE906ELNS1_3gpuE6ELNS1_3repE0EEENS1_30default_config_static_selectorELNS0_4arch9wavefront6targetE0EEEvT1_,@function
_ZN7rocprim17ROCPRIM_400000_NS6detail17trampoline_kernelINS0_14default_configENS1_25partition_config_selectorILNS1_17partition_subalgoE8ElNS0_10empty_typeEbEEZZNS1_14partition_implILS5_8ELb0ES3_jPlPS6_PKS6_NS0_5tupleIJS9_S6_EEENSD_IJSA_SA_EEENS0_18inequality_wrapperIZN2at6native12_GLOBAL__N_124unique_dim_cuda_templateIN3c108BFloat16EEESt5tupleIJNSH_6TensorESO_SO_EERKSO_lbbbEUlllE0_EEPmJS6_EEE10hipError_tPvRmT3_T4_T5_T6_T7_T9_mT8_P12ihipStream_tbDpT10_ENKUlT_T0_E_clISt17integral_constantIbLb1EES1E_EEDaS19_S1A_EUlS19_E_NS1_11comp_targetILNS1_3genE2ELNS1_11target_archE906ELNS1_3gpuE6ELNS1_3repE0EEENS1_30default_config_static_selectorELNS0_4arch9wavefront6targetE0EEEvT1_: ; @_ZN7rocprim17ROCPRIM_400000_NS6detail17trampoline_kernelINS0_14default_configENS1_25partition_config_selectorILNS1_17partition_subalgoE8ElNS0_10empty_typeEbEEZZNS1_14partition_implILS5_8ELb0ES3_jPlPS6_PKS6_NS0_5tupleIJS9_S6_EEENSD_IJSA_SA_EEENS0_18inequality_wrapperIZN2at6native12_GLOBAL__N_124unique_dim_cuda_templateIN3c108BFloat16EEESt5tupleIJNSH_6TensorESO_SO_EERKSO_lbbbEUlllE0_EEPmJS6_EEE10hipError_tPvRmT3_T4_T5_T6_T7_T9_mT8_P12ihipStream_tbDpT10_ENKUlT_T0_E_clISt17integral_constantIbLb1EES1E_EEDaS19_S1A_EUlS19_E_NS1_11comp_targetILNS1_3genE2ELNS1_11target_archE906ELNS1_3gpuE6ELNS1_3repE0EEENS1_30default_config_static_selectorELNS0_4arch9wavefront6targetE0EEEvT1_
; %bb.0:
	.section	.rodata,"a",@progbits
	.p2align	6, 0x0
	.amdhsa_kernel _ZN7rocprim17ROCPRIM_400000_NS6detail17trampoline_kernelINS0_14default_configENS1_25partition_config_selectorILNS1_17partition_subalgoE8ElNS0_10empty_typeEbEEZZNS1_14partition_implILS5_8ELb0ES3_jPlPS6_PKS6_NS0_5tupleIJS9_S6_EEENSD_IJSA_SA_EEENS0_18inequality_wrapperIZN2at6native12_GLOBAL__N_124unique_dim_cuda_templateIN3c108BFloat16EEESt5tupleIJNSH_6TensorESO_SO_EERKSO_lbbbEUlllE0_EEPmJS6_EEE10hipError_tPvRmT3_T4_T5_T6_T7_T9_mT8_P12ihipStream_tbDpT10_ENKUlT_T0_E_clISt17integral_constantIbLb1EES1E_EEDaS19_S1A_EUlS19_E_NS1_11comp_targetILNS1_3genE2ELNS1_11target_archE906ELNS1_3gpuE6ELNS1_3repE0EEENS1_30default_config_static_selectorELNS0_4arch9wavefront6targetE0EEEvT1_
		.amdhsa_group_segment_fixed_size 0
		.amdhsa_private_segment_fixed_size 0
		.amdhsa_kernarg_size 136
		.amdhsa_user_sgpr_count 2
		.amdhsa_user_sgpr_dispatch_ptr 0
		.amdhsa_user_sgpr_queue_ptr 0
		.amdhsa_user_sgpr_kernarg_segment_ptr 1
		.amdhsa_user_sgpr_dispatch_id 0
		.amdhsa_user_sgpr_kernarg_preload_length 0
		.amdhsa_user_sgpr_kernarg_preload_offset 0
		.amdhsa_user_sgpr_private_segment_size 0
		.amdhsa_wavefront_size32 1
		.amdhsa_uses_dynamic_stack 0
		.amdhsa_enable_private_segment 0
		.amdhsa_system_sgpr_workgroup_id_x 1
		.amdhsa_system_sgpr_workgroup_id_y 0
		.amdhsa_system_sgpr_workgroup_id_z 0
		.amdhsa_system_sgpr_workgroup_info 0
		.amdhsa_system_vgpr_workitem_id 0
		.amdhsa_next_free_vgpr 1
		.amdhsa_next_free_sgpr 1
		.amdhsa_named_barrier_count 0
		.amdhsa_reserve_vcc 0
		.amdhsa_float_round_mode_32 0
		.amdhsa_float_round_mode_16_64 0
		.amdhsa_float_denorm_mode_32 3
		.amdhsa_float_denorm_mode_16_64 3
		.amdhsa_fp16_overflow 0
		.amdhsa_memory_ordered 1
		.amdhsa_forward_progress 1
		.amdhsa_inst_pref_size 0
		.amdhsa_round_robin_scheduling 0
		.amdhsa_exception_fp_ieee_invalid_op 0
		.amdhsa_exception_fp_denorm_src 0
		.amdhsa_exception_fp_ieee_div_zero 0
		.amdhsa_exception_fp_ieee_overflow 0
		.amdhsa_exception_fp_ieee_underflow 0
		.amdhsa_exception_fp_ieee_inexact 0
		.amdhsa_exception_int_div_zero 0
	.end_amdhsa_kernel
	.section	.text._ZN7rocprim17ROCPRIM_400000_NS6detail17trampoline_kernelINS0_14default_configENS1_25partition_config_selectorILNS1_17partition_subalgoE8ElNS0_10empty_typeEbEEZZNS1_14partition_implILS5_8ELb0ES3_jPlPS6_PKS6_NS0_5tupleIJS9_S6_EEENSD_IJSA_SA_EEENS0_18inequality_wrapperIZN2at6native12_GLOBAL__N_124unique_dim_cuda_templateIN3c108BFloat16EEESt5tupleIJNSH_6TensorESO_SO_EERKSO_lbbbEUlllE0_EEPmJS6_EEE10hipError_tPvRmT3_T4_T5_T6_T7_T9_mT8_P12ihipStream_tbDpT10_ENKUlT_T0_E_clISt17integral_constantIbLb1EES1E_EEDaS19_S1A_EUlS19_E_NS1_11comp_targetILNS1_3genE2ELNS1_11target_archE906ELNS1_3gpuE6ELNS1_3repE0EEENS1_30default_config_static_selectorELNS0_4arch9wavefront6targetE0EEEvT1_,"axG",@progbits,_ZN7rocprim17ROCPRIM_400000_NS6detail17trampoline_kernelINS0_14default_configENS1_25partition_config_selectorILNS1_17partition_subalgoE8ElNS0_10empty_typeEbEEZZNS1_14partition_implILS5_8ELb0ES3_jPlPS6_PKS6_NS0_5tupleIJS9_S6_EEENSD_IJSA_SA_EEENS0_18inequality_wrapperIZN2at6native12_GLOBAL__N_124unique_dim_cuda_templateIN3c108BFloat16EEESt5tupleIJNSH_6TensorESO_SO_EERKSO_lbbbEUlllE0_EEPmJS6_EEE10hipError_tPvRmT3_T4_T5_T6_T7_T9_mT8_P12ihipStream_tbDpT10_ENKUlT_T0_E_clISt17integral_constantIbLb1EES1E_EEDaS19_S1A_EUlS19_E_NS1_11comp_targetILNS1_3genE2ELNS1_11target_archE906ELNS1_3gpuE6ELNS1_3repE0EEENS1_30default_config_static_selectorELNS0_4arch9wavefront6targetE0EEEvT1_,comdat
.Lfunc_end1186:
	.size	_ZN7rocprim17ROCPRIM_400000_NS6detail17trampoline_kernelINS0_14default_configENS1_25partition_config_selectorILNS1_17partition_subalgoE8ElNS0_10empty_typeEbEEZZNS1_14partition_implILS5_8ELb0ES3_jPlPS6_PKS6_NS0_5tupleIJS9_S6_EEENSD_IJSA_SA_EEENS0_18inequality_wrapperIZN2at6native12_GLOBAL__N_124unique_dim_cuda_templateIN3c108BFloat16EEESt5tupleIJNSH_6TensorESO_SO_EERKSO_lbbbEUlllE0_EEPmJS6_EEE10hipError_tPvRmT3_T4_T5_T6_T7_T9_mT8_P12ihipStream_tbDpT10_ENKUlT_T0_E_clISt17integral_constantIbLb1EES1E_EEDaS19_S1A_EUlS19_E_NS1_11comp_targetILNS1_3genE2ELNS1_11target_archE906ELNS1_3gpuE6ELNS1_3repE0EEENS1_30default_config_static_selectorELNS0_4arch9wavefront6targetE0EEEvT1_, .Lfunc_end1186-_ZN7rocprim17ROCPRIM_400000_NS6detail17trampoline_kernelINS0_14default_configENS1_25partition_config_selectorILNS1_17partition_subalgoE8ElNS0_10empty_typeEbEEZZNS1_14partition_implILS5_8ELb0ES3_jPlPS6_PKS6_NS0_5tupleIJS9_S6_EEENSD_IJSA_SA_EEENS0_18inequality_wrapperIZN2at6native12_GLOBAL__N_124unique_dim_cuda_templateIN3c108BFloat16EEESt5tupleIJNSH_6TensorESO_SO_EERKSO_lbbbEUlllE0_EEPmJS6_EEE10hipError_tPvRmT3_T4_T5_T6_T7_T9_mT8_P12ihipStream_tbDpT10_ENKUlT_T0_E_clISt17integral_constantIbLb1EES1E_EEDaS19_S1A_EUlS19_E_NS1_11comp_targetILNS1_3genE2ELNS1_11target_archE906ELNS1_3gpuE6ELNS1_3repE0EEENS1_30default_config_static_selectorELNS0_4arch9wavefront6targetE0EEEvT1_
                                        ; -- End function
	.set _ZN7rocprim17ROCPRIM_400000_NS6detail17trampoline_kernelINS0_14default_configENS1_25partition_config_selectorILNS1_17partition_subalgoE8ElNS0_10empty_typeEbEEZZNS1_14partition_implILS5_8ELb0ES3_jPlPS6_PKS6_NS0_5tupleIJS9_S6_EEENSD_IJSA_SA_EEENS0_18inequality_wrapperIZN2at6native12_GLOBAL__N_124unique_dim_cuda_templateIN3c108BFloat16EEESt5tupleIJNSH_6TensorESO_SO_EERKSO_lbbbEUlllE0_EEPmJS6_EEE10hipError_tPvRmT3_T4_T5_T6_T7_T9_mT8_P12ihipStream_tbDpT10_ENKUlT_T0_E_clISt17integral_constantIbLb1EES1E_EEDaS19_S1A_EUlS19_E_NS1_11comp_targetILNS1_3genE2ELNS1_11target_archE906ELNS1_3gpuE6ELNS1_3repE0EEENS1_30default_config_static_selectorELNS0_4arch9wavefront6targetE0EEEvT1_.num_vgpr, 0
	.set _ZN7rocprim17ROCPRIM_400000_NS6detail17trampoline_kernelINS0_14default_configENS1_25partition_config_selectorILNS1_17partition_subalgoE8ElNS0_10empty_typeEbEEZZNS1_14partition_implILS5_8ELb0ES3_jPlPS6_PKS6_NS0_5tupleIJS9_S6_EEENSD_IJSA_SA_EEENS0_18inequality_wrapperIZN2at6native12_GLOBAL__N_124unique_dim_cuda_templateIN3c108BFloat16EEESt5tupleIJNSH_6TensorESO_SO_EERKSO_lbbbEUlllE0_EEPmJS6_EEE10hipError_tPvRmT3_T4_T5_T6_T7_T9_mT8_P12ihipStream_tbDpT10_ENKUlT_T0_E_clISt17integral_constantIbLb1EES1E_EEDaS19_S1A_EUlS19_E_NS1_11comp_targetILNS1_3genE2ELNS1_11target_archE906ELNS1_3gpuE6ELNS1_3repE0EEENS1_30default_config_static_selectorELNS0_4arch9wavefront6targetE0EEEvT1_.num_agpr, 0
	.set _ZN7rocprim17ROCPRIM_400000_NS6detail17trampoline_kernelINS0_14default_configENS1_25partition_config_selectorILNS1_17partition_subalgoE8ElNS0_10empty_typeEbEEZZNS1_14partition_implILS5_8ELb0ES3_jPlPS6_PKS6_NS0_5tupleIJS9_S6_EEENSD_IJSA_SA_EEENS0_18inequality_wrapperIZN2at6native12_GLOBAL__N_124unique_dim_cuda_templateIN3c108BFloat16EEESt5tupleIJNSH_6TensorESO_SO_EERKSO_lbbbEUlllE0_EEPmJS6_EEE10hipError_tPvRmT3_T4_T5_T6_T7_T9_mT8_P12ihipStream_tbDpT10_ENKUlT_T0_E_clISt17integral_constantIbLb1EES1E_EEDaS19_S1A_EUlS19_E_NS1_11comp_targetILNS1_3genE2ELNS1_11target_archE906ELNS1_3gpuE6ELNS1_3repE0EEENS1_30default_config_static_selectorELNS0_4arch9wavefront6targetE0EEEvT1_.numbered_sgpr, 0
	.set _ZN7rocprim17ROCPRIM_400000_NS6detail17trampoline_kernelINS0_14default_configENS1_25partition_config_selectorILNS1_17partition_subalgoE8ElNS0_10empty_typeEbEEZZNS1_14partition_implILS5_8ELb0ES3_jPlPS6_PKS6_NS0_5tupleIJS9_S6_EEENSD_IJSA_SA_EEENS0_18inequality_wrapperIZN2at6native12_GLOBAL__N_124unique_dim_cuda_templateIN3c108BFloat16EEESt5tupleIJNSH_6TensorESO_SO_EERKSO_lbbbEUlllE0_EEPmJS6_EEE10hipError_tPvRmT3_T4_T5_T6_T7_T9_mT8_P12ihipStream_tbDpT10_ENKUlT_T0_E_clISt17integral_constantIbLb1EES1E_EEDaS19_S1A_EUlS19_E_NS1_11comp_targetILNS1_3genE2ELNS1_11target_archE906ELNS1_3gpuE6ELNS1_3repE0EEENS1_30default_config_static_selectorELNS0_4arch9wavefront6targetE0EEEvT1_.num_named_barrier, 0
	.set _ZN7rocprim17ROCPRIM_400000_NS6detail17trampoline_kernelINS0_14default_configENS1_25partition_config_selectorILNS1_17partition_subalgoE8ElNS0_10empty_typeEbEEZZNS1_14partition_implILS5_8ELb0ES3_jPlPS6_PKS6_NS0_5tupleIJS9_S6_EEENSD_IJSA_SA_EEENS0_18inequality_wrapperIZN2at6native12_GLOBAL__N_124unique_dim_cuda_templateIN3c108BFloat16EEESt5tupleIJNSH_6TensorESO_SO_EERKSO_lbbbEUlllE0_EEPmJS6_EEE10hipError_tPvRmT3_T4_T5_T6_T7_T9_mT8_P12ihipStream_tbDpT10_ENKUlT_T0_E_clISt17integral_constantIbLb1EES1E_EEDaS19_S1A_EUlS19_E_NS1_11comp_targetILNS1_3genE2ELNS1_11target_archE906ELNS1_3gpuE6ELNS1_3repE0EEENS1_30default_config_static_selectorELNS0_4arch9wavefront6targetE0EEEvT1_.private_seg_size, 0
	.set _ZN7rocprim17ROCPRIM_400000_NS6detail17trampoline_kernelINS0_14default_configENS1_25partition_config_selectorILNS1_17partition_subalgoE8ElNS0_10empty_typeEbEEZZNS1_14partition_implILS5_8ELb0ES3_jPlPS6_PKS6_NS0_5tupleIJS9_S6_EEENSD_IJSA_SA_EEENS0_18inequality_wrapperIZN2at6native12_GLOBAL__N_124unique_dim_cuda_templateIN3c108BFloat16EEESt5tupleIJNSH_6TensorESO_SO_EERKSO_lbbbEUlllE0_EEPmJS6_EEE10hipError_tPvRmT3_T4_T5_T6_T7_T9_mT8_P12ihipStream_tbDpT10_ENKUlT_T0_E_clISt17integral_constantIbLb1EES1E_EEDaS19_S1A_EUlS19_E_NS1_11comp_targetILNS1_3genE2ELNS1_11target_archE906ELNS1_3gpuE6ELNS1_3repE0EEENS1_30default_config_static_selectorELNS0_4arch9wavefront6targetE0EEEvT1_.uses_vcc, 0
	.set _ZN7rocprim17ROCPRIM_400000_NS6detail17trampoline_kernelINS0_14default_configENS1_25partition_config_selectorILNS1_17partition_subalgoE8ElNS0_10empty_typeEbEEZZNS1_14partition_implILS5_8ELb0ES3_jPlPS6_PKS6_NS0_5tupleIJS9_S6_EEENSD_IJSA_SA_EEENS0_18inequality_wrapperIZN2at6native12_GLOBAL__N_124unique_dim_cuda_templateIN3c108BFloat16EEESt5tupleIJNSH_6TensorESO_SO_EERKSO_lbbbEUlllE0_EEPmJS6_EEE10hipError_tPvRmT3_T4_T5_T6_T7_T9_mT8_P12ihipStream_tbDpT10_ENKUlT_T0_E_clISt17integral_constantIbLb1EES1E_EEDaS19_S1A_EUlS19_E_NS1_11comp_targetILNS1_3genE2ELNS1_11target_archE906ELNS1_3gpuE6ELNS1_3repE0EEENS1_30default_config_static_selectorELNS0_4arch9wavefront6targetE0EEEvT1_.uses_flat_scratch, 0
	.set _ZN7rocprim17ROCPRIM_400000_NS6detail17trampoline_kernelINS0_14default_configENS1_25partition_config_selectorILNS1_17partition_subalgoE8ElNS0_10empty_typeEbEEZZNS1_14partition_implILS5_8ELb0ES3_jPlPS6_PKS6_NS0_5tupleIJS9_S6_EEENSD_IJSA_SA_EEENS0_18inequality_wrapperIZN2at6native12_GLOBAL__N_124unique_dim_cuda_templateIN3c108BFloat16EEESt5tupleIJNSH_6TensorESO_SO_EERKSO_lbbbEUlllE0_EEPmJS6_EEE10hipError_tPvRmT3_T4_T5_T6_T7_T9_mT8_P12ihipStream_tbDpT10_ENKUlT_T0_E_clISt17integral_constantIbLb1EES1E_EEDaS19_S1A_EUlS19_E_NS1_11comp_targetILNS1_3genE2ELNS1_11target_archE906ELNS1_3gpuE6ELNS1_3repE0EEENS1_30default_config_static_selectorELNS0_4arch9wavefront6targetE0EEEvT1_.has_dyn_sized_stack, 0
	.set _ZN7rocprim17ROCPRIM_400000_NS6detail17trampoline_kernelINS0_14default_configENS1_25partition_config_selectorILNS1_17partition_subalgoE8ElNS0_10empty_typeEbEEZZNS1_14partition_implILS5_8ELb0ES3_jPlPS6_PKS6_NS0_5tupleIJS9_S6_EEENSD_IJSA_SA_EEENS0_18inequality_wrapperIZN2at6native12_GLOBAL__N_124unique_dim_cuda_templateIN3c108BFloat16EEESt5tupleIJNSH_6TensorESO_SO_EERKSO_lbbbEUlllE0_EEPmJS6_EEE10hipError_tPvRmT3_T4_T5_T6_T7_T9_mT8_P12ihipStream_tbDpT10_ENKUlT_T0_E_clISt17integral_constantIbLb1EES1E_EEDaS19_S1A_EUlS19_E_NS1_11comp_targetILNS1_3genE2ELNS1_11target_archE906ELNS1_3gpuE6ELNS1_3repE0EEENS1_30default_config_static_selectorELNS0_4arch9wavefront6targetE0EEEvT1_.has_recursion, 0
	.set _ZN7rocprim17ROCPRIM_400000_NS6detail17trampoline_kernelINS0_14default_configENS1_25partition_config_selectorILNS1_17partition_subalgoE8ElNS0_10empty_typeEbEEZZNS1_14partition_implILS5_8ELb0ES3_jPlPS6_PKS6_NS0_5tupleIJS9_S6_EEENSD_IJSA_SA_EEENS0_18inequality_wrapperIZN2at6native12_GLOBAL__N_124unique_dim_cuda_templateIN3c108BFloat16EEESt5tupleIJNSH_6TensorESO_SO_EERKSO_lbbbEUlllE0_EEPmJS6_EEE10hipError_tPvRmT3_T4_T5_T6_T7_T9_mT8_P12ihipStream_tbDpT10_ENKUlT_T0_E_clISt17integral_constantIbLb1EES1E_EEDaS19_S1A_EUlS19_E_NS1_11comp_targetILNS1_3genE2ELNS1_11target_archE906ELNS1_3gpuE6ELNS1_3repE0EEENS1_30default_config_static_selectorELNS0_4arch9wavefront6targetE0EEEvT1_.has_indirect_call, 0
	.section	.AMDGPU.csdata,"",@progbits
; Kernel info:
; codeLenInByte = 0
; TotalNumSgprs: 0
; NumVgprs: 0
; ScratchSize: 0
; MemoryBound: 0
; FloatMode: 240
; IeeeMode: 1
; LDSByteSize: 0 bytes/workgroup (compile time only)
; SGPRBlocks: 0
; VGPRBlocks: 0
; NumSGPRsForWavesPerEU: 1
; NumVGPRsForWavesPerEU: 1
; NamedBarCnt: 0
; Occupancy: 16
; WaveLimiterHint : 0
; COMPUTE_PGM_RSRC2:SCRATCH_EN: 0
; COMPUTE_PGM_RSRC2:USER_SGPR: 2
; COMPUTE_PGM_RSRC2:TRAP_HANDLER: 0
; COMPUTE_PGM_RSRC2:TGID_X_EN: 1
; COMPUTE_PGM_RSRC2:TGID_Y_EN: 0
; COMPUTE_PGM_RSRC2:TGID_Z_EN: 0
; COMPUTE_PGM_RSRC2:TIDIG_COMP_CNT: 0
	.section	.text._ZN7rocprim17ROCPRIM_400000_NS6detail17trampoline_kernelINS0_14default_configENS1_25partition_config_selectorILNS1_17partition_subalgoE8ElNS0_10empty_typeEbEEZZNS1_14partition_implILS5_8ELb0ES3_jPlPS6_PKS6_NS0_5tupleIJS9_S6_EEENSD_IJSA_SA_EEENS0_18inequality_wrapperIZN2at6native12_GLOBAL__N_124unique_dim_cuda_templateIN3c108BFloat16EEESt5tupleIJNSH_6TensorESO_SO_EERKSO_lbbbEUlllE0_EEPmJS6_EEE10hipError_tPvRmT3_T4_T5_T6_T7_T9_mT8_P12ihipStream_tbDpT10_ENKUlT_T0_E_clISt17integral_constantIbLb1EES1E_EEDaS19_S1A_EUlS19_E_NS1_11comp_targetILNS1_3genE10ELNS1_11target_archE1200ELNS1_3gpuE4ELNS1_3repE0EEENS1_30default_config_static_selectorELNS0_4arch9wavefront6targetE0EEEvT1_,"axG",@progbits,_ZN7rocprim17ROCPRIM_400000_NS6detail17trampoline_kernelINS0_14default_configENS1_25partition_config_selectorILNS1_17partition_subalgoE8ElNS0_10empty_typeEbEEZZNS1_14partition_implILS5_8ELb0ES3_jPlPS6_PKS6_NS0_5tupleIJS9_S6_EEENSD_IJSA_SA_EEENS0_18inequality_wrapperIZN2at6native12_GLOBAL__N_124unique_dim_cuda_templateIN3c108BFloat16EEESt5tupleIJNSH_6TensorESO_SO_EERKSO_lbbbEUlllE0_EEPmJS6_EEE10hipError_tPvRmT3_T4_T5_T6_T7_T9_mT8_P12ihipStream_tbDpT10_ENKUlT_T0_E_clISt17integral_constantIbLb1EES1E_EEDaS19_S1A_EUlS19_E_NS1_11comp_targetILNS1_3genE10ELNS1_11target_archE1200ELNS1_3gpuE4ELNS1_3repE0EEENS1_30default_config_static_selectorELNS0_4arch9wavefront6targetE0EEEvT1_,comdat
	.globl	_ZN7rocprim17ROCPRIM_400000_NS6detail17trampoline_kernelINS0_14default_configENS1_25partition_config_selectorILNS1_17partition_subalgoE8ElNS0_10empty_typeEbEEZZNS1_14partition_implILS5_8ELb0ES3_jPlPS6_PKS6_NS0_5tupleIJS9_S6_EEENSD_IJSA_SA_EEENS0_18inequality_wrapperIZN2at6native12_GLOBAL__N_124unique_dim_cuda_templateIN3c108BFloat16EEESt5tupleIJNSH_6TensorESO_SO_EERKSO_lbbbEUlllE0_EEPmJS6_EEE10hipError_tPvRmT3_T4_T5_T6_T7_T9_mT8_P12ihipStream_tbDpT10_ENKUlT_T0_E_clISt17integral_constantIbLb1EES1E_EEDaS19_S1A_EUlS19_E_NS1_11comp_targetILNS1_3genE10ELNS1_11target_archE1200ELNS1_3gpuE4ELNS1_3repE0EEENS1_30default_config_static_selectorELNS0_4arch9wavefront6targetE0EEEvT1_ ; -- Begin function _ZN7rocprim17ROCPRIM_400000_NS6detail17trampoline_kernelINS0_14default_configENS1_25partition_config_selectorILNS1_17partition_subalgoE8ElNS0_10empty_typeEbEEZZNS1_14partition_implILS5_8ELb0ES3_jPlPS6_PKS6_NS0_5tupleIJS9_S6_EEENSD_IJSA_SA_EEENS0_18inequality_wrapperIZN2at6native12_GLOBAL__N_124unique_dim_cuda_templateIN3c108BFloat16EEESt5tupleIJNSH_6TensorESO_SO_EERKSO_lbbbEUlllE0_EEPmJS6_EEE10hipError_tPvRmT3_T4_T5_T6_T7_T9_mT8_P12ihipStream_tbDpT10_ENKUlT_T0_E_clISt17integral_constantIbLb1EES1E_EEDaS19_S1A_EUlS19_E_NS1_11comp_targetILNS1_3genE10ELNS1_11target_archE1200ELNS1_3gpuE4ELNS1_3repE0EEENS1_30default_config_static_selectorELNS0_4arch9wavefront6targetE0EEEvT1_
	.p2align	8
	.type	_ZN7rocprim17ROCPRIM_400000_NS6detail17trampoline_kernelINS0_14default_configENS1_25partition_config_selectorILNS1_17partition_subalgoE8ElNS0_10empty_typeEbEEZZNS1_14partition_implILS5_8ELb0ES3_jPlPS6_PKS6_NS0_5tupleIJS9_S6_EEENSD_IJSA_SA_EEENS0_18inequality_wrapperIZN2at6native12_GLOBAL__N_124unique_dim_cuda_templateIN3c108BFloat16EEESt5tupleIJNSH_6TensorESO_SO_EERKSO_lbbbEUlllE0_EEPmJS6_EEE10hipError_tPvRmT3_T4_T5_T6_T7_T9_mT8_P12ihipStream_tbDpT10_ENKUlT_T0_E_clISt17integral_constantIbLb1EES1E_EEDaS19_S1A_EUlS19_E_NS1_11comp_targetILNS1_3genE10ELNS1_11target_archE1200ELNS1_3gpuE4ELNS1_3repE0EEENS1_30default_config_static_selectorELNS0_4arch9wavefront6targetE0EEEvT1_,@function
_ZN7rocprim17ROCPRIM_400000_NS6detail17trampoline_kernelINS0_14default_configENS1_25partition_config_selectorILNS1_17partition_subalgoE8ElNS0_10empty_typeEbEEZZNS1_14partition_implILS5_8ELb0ES3_jPlPS6_PKS6_NS0_5tupleIJS9_S6_EEENSD_IJSA_SA_EEENS0_18inequality_wrapperIZN2at6native12_GLOBAL__N_124unique_dim_cuda_templateIN3c108BFloat16EEESt5tupleIJNSH_6TensorESO_SO_EERKSO_lbbbEUlllE0_EEPmJS6_EEE10hipError_tPvRmT3_T4_T5_T6_T7_T9_mT8_P12ihipStream_tbDpT10_ENKUlT_T0_E_clISt17integral_constantIbLb1EES1E_EEDaS19_S1A_EUlS19_E_NS1_11comp_targetILNS1_3genE10ELNS1_11target_archE1200ELNS1_3gpuE4ELNS1_3repE0EEENS1_30default_config_static_selectorELNS0_4arch9wavefront6targetE0EEEvT1_: ; @_ZN7rocprim17ROCPRIM_400000_NS6detail17trampoline_kernelINS0_14default_configENS1_25partition_config_selectorILNS1_17partition_subalgoE8ElNS0_10empty_typeEbEEZZNS1_14partition_implILS5_8ELb0ES3_jPlPS6_PKS6_NS0_5tupleIJS9_S6_EEENSD_IJSA_SA_EEENS0_18inequality_wrapperIZN2at6native12_GLOBAL__N_124unique_dim_cuda_templateIN3c108BFloat16EEESt5tupleIJNSH_6TensorESO_SO_EERKSO_lbbbEUlllE0_EEPmJS6_EEE10hipError_tPvRmT3_T4_T5_T6_T7_T9_mT8_P12ihipStream_tbDpT10_ENKUlT_T0_E_clISt17integral_constantIbLb1EES1E_EEDaS19_S1A_EUlS19_E_NS1_11comp_targetILNS1_3genE10ELNS1_11target_archE1200ELNS1_3gpuE4ELNS1_3repE0EEENS1_30default_config_static_selectorELNS0_4arch9wavefront6targetE0EEEvT1_
; %bb.0:
	.section	.rodata,"a",@progbits
	.p2align	6, 0x0
	.amdhsa_kernel _ZN7rocprim17ROCPRIM_400000_NS6detail17trampoline_kernelINS0_14default_configENS1_25partition_config_selectorILNS1_17partition_subalgoE8ElNS0_10empty_typeEbEEZZNS1_14partition_implILS5_8ELb0ES3_jPlPS6_PKS6_NS0_5tupleIJS9_S6_EEENSD_IJSA_SA_EEENS0_18inequality_wrapperIZN2at6native12_GLOBAL__N_124unique_dim_cuda_templateIN3c108BFloat16EEESt5tupleIJNSH_6TensorESO_SO_EERKSO_lbbbEUlllE0_EEPmJS6_EEE10hipError_tPvRmT3_T4_T5_T6_T7_T9_mT8_P12ihipStream_tbDpT10_ENKUlT_T0_E_clISt17integral_constantIbLb1EES1E_EEDaS19_S1A_EUlS19_E_NS1_11comp_targetILNS1_3genE10ELNS1_11target_archE1200ELNS1_3gpuE4ELNS1_3repE0EEENS1_30default_config_static_selectorELNS0_4arch9wavefront6targetE0EEEvT1_
		.amdhsa_group_segment_fixed_size 0
		.amdhsa_private_segment_fixed_size 0
		.amdhsa_kernarg_size 136
		.amdhsa_user_sgpr_count 2
		.amdhsa_user_sgpr_dispatch_ptr 0
		.amdhsa_user_sgpr_queue_ptr 0
		.amdhsa_user_sgpr_kernarg_segment_ptr 1
		.amdhsa_user_sgpr_dispatch_id 0
		.amdhsa_user_sgpr_kernarg_preload_length 0
		.amdhsa_user_sgpr_kernarg_preload_offset 0
		.amdhsa_user_sgpr_private_segment_size 0
		.amdhsa_wavefront_size32 1
		.amdhsa_uses_dynamic_stack 0
		.amdhsa_enable_private_segment 0
		.amdhsa_system_sgpr_workgroup_id_x 1
		.amdhsa_system_sgpr_workgroup_id_y 0
		.amdhsa_system_sgpr_workgroup_id_z 0
		.amdhsa_system_sgpr_workgroup_info 0
		.amdhsa_system_vgpr_workitem_id 0
		.amdhsa_next_free_vgpr 1
		.amdhsa_next_free_sgpr 1
		.amdhsa_named_barrier_count 0
		.amdhsa_reserve_vcc 0
		.amdhsa_float_round_mode_32 0
		.amdhsa_float_round_mode_16_64 0
		.amdhsa_float_denorm_mode_32 3
		.amdhsa_float_denorm_mode_16_64 3
		.amdhsa_fp16_overflow 0
		.amdhsa_memory_ordered 1
		.amdhsa_forward_progress 1
		.amdhsa_inst_pref_size 0
		.amdhsa_round_robin_scheduling 0
		.amdhsa_exception_fp_ieee_invalid_op 0
		.amdhsa_exception_fp_denorm_src 0
		.amdhsa_exception_fp_ieee_div_zero 0
		.amdhsa_exception_fp_ieee_overflow 0
		.amdhsa_exception_fp_ieee_underflow 0
		.amdhsa_exception_fp_ieee_inexact 0
		.amdhsa_exception_int_div_zero 0
	.end_amdhsa_kernel
	.section	.text._ZN7rocprim17ROCPRIM_400000_NS6detail17trampoline_kernelINS0_14default_configENS1_25partition_config_selectorILNS1_17partition_subalgoE8ElNS0_10empty_typeEbEEZZNS1_14partition_implILS5_8ELb0ES3_jPlPS6_PKS6_NS0_5tupleIJS9_S6_EEENSD_IJSA_SA_EEENS0_18inequality_wrapperIZN2at6native12_GLOBAL__N_124unique_dim_cuda_templateIN3c108BFloat16EEESt5tupleIJNSH_6TensorESO_SO_EERKSO_lbbbEUlllE0_EEPmJS6_EEE10hipError_tPvRmT3_T4_T5_T6_T7_T9_mT8_P12ihipStream_tbDpT10_ENKUlT_T0_E_clISt17integral_constantIbLb1EES1E_EEDaS19_S1A_EUlS19_E_NS1_11comp_targetILNS1_3genE10ELNS1_11target_archE1200ELNS1_3gpuE4ELNS1_3repE0EEENS1_30default_config_static_selectorELNS0_4arch9wavefront6targetE0EEEvT1_,"axG",@progbits,_ZN7rocprim17ROCPRIM_400000_NS6detail17trampoline_kernelINS0_14default_configENS1_25partition_config_selectorILNS1_17partition_subalgoE8ElNS0_10empty_typeEbEEZZNS1_14partition_implILS5_8ELb0ES3_jPlPS6_PKS6_NS0_5tupleIJS9_S6_EEENSD_IJSA_SA_EEENS0_18inequality_wrapperIZN2at6native12_GLOBAL__N_124unique_dim_cuda_templateIN3c108BFloat16EEESt5tupleIJNSH_6TensorESO_SO_EERKSO_lbbbEUlllE0_EEPmJS6_EEE10hipError_tPvRmT3_T4_T5_T6_T7_T9_mT8_P12ihipStream_tbDpT10_ENKUlT_T0_E_clISt17integral_constantIbLb1EES1E_EEDaS19_S1A_EUlS19_E_NS1_11comp_targetILNS1_3genE10ELNS1_11target_archE1200ELNS1_3gpuE4ELNS1_3repE0EEENS1_30default_config_static_selectorELNS0_4arch9wavefront6targetE0EEEvT1_,comdat
.Lfunc_end1187:
	.size	_ZN7rocprim17ROCPRIM_400000_NS6detail17trampoline_kernelINS0_14default_configENS1_25partition_config_selectorILNS1_17partition_subalgoE8ElNS0_10empty_typeEbEEZZNS1_14partition_implILS5_8ELb0ES3_jPlPS6_PKS6_NS0_5tupleIJS9_S6_EEENSD_IJSA_SA_EEENS0_18inequality_wrapperIZN2at6native12_GLOBAL__N_124unique_dim_cuda_templateIN3c108BFloat16EEESt5tupleIJNSH_6TensorESO_SO_EERKSO_lbbbEUlllE0_EEPmJS6_EEE10hipError_tPvRmT3_T4_T5_T6_T7_T9_mT8_P12ihipStream_tbDpT10_ENKUlT_T0_E_clISt17integral_constantIbLb1EES1E_EEDaS19_S1A_EUlS19_E_NS1_11comp_targetILNS1_3genE10ELNS1_11target_archE1200ELNS1_3gpuE4ELNS1_3repE0EEENS1_30default_config_static_selectorELNS0_4arch9wavefront6targetE0EEEvT1_, .Lfunc_end1187-_ZN7rocprim17ROCPRIM_400000_NS6detail17trampoline_kernelINS0_14default_configENS1_25partition_config_selectorILNS1_17partition_subalgoE8ElNS0_10empty_typeEbEEZZNS1_14partition_implILS5_8ELb0ES3_jPlPS6_PKS6_NS0_5tupleIJS9_S6_EEENSD_IJSA_SA_EEENS0_18inequality_wrapperIZN2at6native12_GLOBAL__N_124unique_dim_cuda_templateIN3c108BFloat16EEESt5tupleIJNSH_6TensorESO_SO_EERKSO_lbbbEUlllE0_EEPmJS6_EEE10hipError_tPvRmT3_T4_T5_T6_T7_T9_mT8_P12ihipStream_tbDpT10_ENKUlT_T0_E_clISt17integral_constantIbLb1EES1E_EEDaS19_S1A_EUlS19_E_NS1_11comp_targetILNS1_3genE10ELNS1_11target_archE1200ELNS1_3gpuE4ELNS1_3repE0EEENS1_30default_config_static_selectorELNS0_4arch9wavefront6targetE0EEEvT1_
                                        ; -- End function
	.set _ZN7rocprim17ROCPRIM_400000_NS6detail17trampoline_kernelINS0_14default_configENS1_25partition_config_selectorILNS1_17partition_subalgoE8ElNS0_10empty_typeEbEEZZNS1_14partition_implILS5_8ELb0ES3_jPlPS6_PKS6_NS0_5tupleIJS9_S6_EEENSD_IJSA_SA_EEENS0_18inequality_wrapperIZN2at6native12_GLOBAL__N_124unique_dim_cuda_templateIN3c108BFloat16EEESt5tupleIJNSH_6TensorESO_SO_EERKSO_lbbbEUlllE0_EEPmJS6_EEE10hipError_tPvRmT3_T4_T5_T6_T7_T9_mT8_P12ihipStream_tbDpT10_ENKUlT_T0_E_clISt17integral_constantIbLb1EES1E_EEDaS19_S1A_EUlS19_E_NS1_11comp_targetILNS1_3genE10ELNS1_11target_archE1200ELNS1_3gpuE4ELNS1_3repE0EEENS1_30default_config_static_selectorELNS0_4arch9wavefront6targetE0EEEvT1_.num_vgpr, 0
	.set _ZN7rocprim17ROCPRIM_400000_NS6detail17trampoline_kernelINS0_14default_configENS1_25partition_config_selectorILNS1_17partition_subalgoE8ElNS0_10empty_typeEbEEZZNS1_14partition_implILS5_8ELb0ES3_jPlPS6_PKS6_NS0_5tupleIJS9_S6_EEENSD_IJSA_SA_EEENS0_18inequality_wrapperIZN2at6native12_GLOBAL__N_124unique_dim_cuda_templateIN3c108BFloat16EEESt5tupleIJNSH_6TensorESO_SO_EERKSO_lbbbEUlllE0_EEPmJS6_EEE10hipError_tPvRmT3_T4_T5_T6_T7_T9_mT8_P12ihipStream_tbDpT10_ENKUlT_T0_E_clISt17integral_constantIbLb1EES1E_EEDaS19_S1A_EUlS19_E_NS1_11comp_targetILNS1_3genE10ELNS1_11target_archE1200ELNS1_3gpuE4ELNS1_3repE0EEENS1_30default_config_static_selectorELNS0_4arch9wavefront6targetE0EEEvT1_.num_agpr, 0
	.set _ZN7rocprim17ROCPRIM_400000_NS6detail17trampoline_kernelINS0_14default_configENS1_25partition_config_selectorILNS1_17partition_subalgoE8ElNS0_10empty_typeEbEEZZNS1_14partition_implILS5_8ELb0ES3_jPlPS6_PKS6_NS0_5tupleIJS9_S6_EEENSD_IJSA_SA_EEENS0_18inequality_wrapperIZN2at6native12_GLOBAL__N_124unique_dim_cuda_templateIN3c108BFloat16EEESt5tupleIJNSH_6TensorESO_SO_EERKSO_lbbbEUlllE0_EEPmJS6_EEE10hipError_tPvRmT3_T4_T5_T6_T7_T9_mT8_P12ihipStream_tbDpT10_ENKUlT_T0_E_clISt17integral_constantIbLb1EES1E_EEDaS19_S1A_EUlS19_E_NS1_11comp_targetILNS1_3genE10ELNS1_11target_archE1200ELNS1_3gpuE4ELNS1_3repE0EEENS1_30default_config_static_selectorELNS0_4arch9wavefront6targetE0EEEvT1_.numbered_sgpr, 0
	.set _ZN7rocprim17ROCPRIM_400000_NS6detail17trampoline_kernelINS0_14default_configENS1_25partition_config_selectorILNS1_17partition_subalgoE8ElNS0_10empty_typeEbEEZZNS1_14partition_implILS5_8ELb0ES3_jPlPS6_PKS6_NS0_5tupleIJS9_S6_EEENSD_IJSA_SA_EEENS0_18inequality_wrapperIZN2at6native12_GLOBAL__N_124unique_dim_cuda_templateIN3c108BFloat16EEESt5tupleIJNSH_6TensorESO_SO_EERKSO_lbbbEUlllE0_EEPmJS6_EEE10hipError_tPvRmT3_T4_T5_T6_T7_T9_mT8_P12ihipStream_tbDpT10_ENKUlT_T0_E_clISt17integral_constantIbLb1EES1E_EEDaS19_S1A_EUlS19_E_NS1_11comp_targetILNS1_3genE10ELNS1_11target_archE1200ELNS1_3gpuE4ELNS1_3repE0EEENS1_30default_config_static_selectorELNS0_4arch9wavefront6targetE0EEEvT1_.num_named_barrier, 0
	.set _ZN7rocprim17ROCPRIM_400000_NS6detail17trampoline_kernelINS0_14default_configENS1_25partition_config_selectorILNS1_17partition_subalgoE8ElNS0_10empty_typeEbEEZZNS1_14partition_implILS5_8ELb0ES3_jPlPS6_PKS6_NS0_5tupleIJS9_S6_EEENSD_IJSA_SA_EEENS0_18inequality_wrapperIZN2at6native12_GLOBAL__N_124unique_dim_cuda_templateIN3c108BFloat16EEESt5tupleIJNSH_6TensorESO_SO_EERKSO_lbbbEUlllE0_EEPmJS6_EEE10hipError_tPvRmT3_T4_T5_T6_T7_T9_mT8_P12ihipStream_tbDpT10_ENKUlT_T0_E_clISt17integral_constantIbLb1EES1E_EEDaS19_S1A_EUlS19_E_NS1_11comp_targetILNS1_3genE10ELNS1_11target_archE1200ELNS1_3gpuE4ELNS1_3repE0EEENS1_30default_config_static_selectorELNS0_4arch9wavefront6targetE0EEEvT1_.private_seg_size, 0
	.set _ZN7rocprim17ROCPRIM_400000_NS6detail17trampoline_kernelINS0_14default_configENS1_25partition_config_selectorILNS1_17partition_subalgoE8ElNS0_10empty_typeEbEEZZNS1_14partition_implILS5_8ELb0ES3_jPlPS6_PKS6_NS0_5tupleIJS9_S6_EEENSD_IJSA_SA_EEENS0_18inequality_wrapperIZN2at6native12_GLOBAL__N_124unique_dim_cuda_templateIN3c108BFloat16EEESt5tupleIJNSH_6TensorESO_SO_EERKSO_lbbbEUlllE0_EEPmJS6_EEE10hipError_tPvRmT3_T4_T5_T6_T7_T9_mT8_P12ihipStream_tbDpT10_ENKUlT_T0_E_clISt17integral_constantIbLb1EES1E_EEDaS19_S1A_EUlS19_E_NS1_11comp_targetILNS1_3genE10ELNS1_11target_archE1200ELNS1_3gpuE4ELNS1_3repE0EEENS1_30default_config_static_selectorELNS0_4arch9wavefront6targetE0EEEvT1_.uses_vcc, 0
	.set _ZN7rocprim17ROCPRIM_400000_NS6detail17trampoline_kernelINS0_14default_configENS1_25partition_config_selectorILNS1_17partition_subalgoE8ElNS0_10empty_typeEbEEZZNS1_14partition_implILS5_8ELb0ES3_jPlPS6_PKS6_NS0_5tupleIJS9_S6_EEENSD_IJSA_SA_EEENS0_18inequality_wrapperIZN2at6native12_GLOBAL__N_124unique_dim_cuda_templateIN3c108BFloat16EEESt5tupleIJNSH_6TensorESO_SO_EERKSO_lbbbEUlllE0_EEPmJS6_EEE10hipError_tPvRmT3_T4_T5_T6_T7_T9_mT8_P12ihipStream_tbDpT10_ENKUlT_T0_E_clISt17integral_constantIbLb1EES1E_EEDaS19_S1A_EUlS19_E_NS1_11comp_targetILNS1_3genE10ELNS1_11target_archE1200ELNS1_3gpuE4ELNS1_3repE0EEENS1_30default_config_static_selectorELNS0_4arch9wavefront6targetE0EEEvT1_.uses_flat_scratch, 0
	.set _ZN7rocprim17ROCPRIM_400000_NS6detail17trampoline_kernelINS0_14default_configENS1_25partition_config_selectorILNS1_17partition_subalgoE8ElNS0_10empty_typeEbEEZZNS1_14partition_implILS5_8ELb0ES3_jPlPS6_PKS6_NS0_5tupleIJS9_S6_EEENSD_IJSA_SA_EEENS0_18inequality_wrapperIZN2at6native12_GLOBAL__N_124unique_dim_cuda_templateIN3c108BFloat16EEESt5tupleIJNSH_6TensorESO_SO_EERKSO_lbbbEUlllE0_EEPmJS6_EEE10hipError_tPvRmT3_T4_T5_T6_T7_T9_mT8_P12ihipStream_tbDpT10_ENKUlT_T0_E_clISt17integral_constantIbLb1EES1E_EEDaS19_S1A_EUlS19_E_NS1_11comp_targetILNS1_3genE10ELNS1_11target_archE1200ELNS1_3gpuE4ELNS1_3repE0EEENS1_30default_config_static_selectorELNS0_4arch9wavefront6targetE0EEEvT1_.has_dyn_sized_stack, 0
	.set _ZN7rocprim17ROCPRIM_400000_NS6detail17trampoline_kernelINS0_14default_configENS1_25partition_config_selectorILNS1_17partition_subalgoE8ElNS0_10empty_typeEbEEZZNS1_14partition_implILS5_8ELb0ES3_jPlPS6_PKS6_NS0_5tupleIJS9_S6_EEENSD_IJSA_SA_EEENS0_18inequality_wrapperIZN2at6native12_GLOBAL__N_124unique_dim_cuda_templateIN3c108BFloat16EEESt5tupleIJNSH_6TensorESO_SO_EERKSO_lbbbEUlllE0_EEPmJS6_EEE10hipError_tPvRmT3_T4_T5_T6_T7_T9_mT8_P12ihipStream_tbDpT10_ENKUlT_T0_E_clISt17integral_constantIbLb1EES1E_EEDaS19_S1A_EUlS19_E_NS1_11comp_targetILNS1_3genE10ELNS1_11target_archE1200ELNS1_3gpuE4ELNS1_3repE0EEENS1_30default_config_static_selectorELNS0_4arch9wavefront6targetE0EEEvT1_.has_recursion, 0
	.set _ZN7rocprim17ROCPRIM_400000_NS6detail17trampoline_kernelINS0_14default_configENS1_25partition_config_selectorILNS1_17partition_subalgoE8ElNS0_10empty_typeEbEEZZNS1_14partition_implILS5_8ELb0ES3_jPlPS6_PKS6_NS0_5tupleIJS9_S6_EEENSD_IJSA_SA_EEENS0_18inequality_wrapperIZN2at6native12_GLOBAL__N_124unique_dim_cuda_templateIN3c108BFloat16EEESt5tupleIJNSH_6TensorESO_SO_EERKSO_lbbbEUlllE0_EEPmJS6_EEE10hipError_tPvRmT3_T4_T5_T6_T7_T9_mT8_P12ihipStream_tbDpT10_ENKUlT_T0_E_clISt17integral_constantIbLb1EES1E_EEDaS19_S1A_EUlS19_E_NS1_11comp_targetILNS1_3genE10ELNS1_11target_archE1200ELNS1_3gpuE4ELNS1_3repE0EEENS1_30default_config_static_selectorELNS0_4arch9wavefront6targetE0EEEvT1_.has_indirect_call, 0
	.section	.AMDGPU.csdata,"",@progbits
; Kernel info:
; codeLenInByte = 0
; TotalNumSgprs: 0
; NumVgprs: 0
; ScratchSize: 0
; MemoryBound: 0
; FloatMode: 240
; IeeeMode: 1
; LDSByteSize: 0 bytes/workgroup (compile time only)
; SGPRBlocks: 0
; VGPRBlocks: 0
; NumSGPRsForWavesPerEU: 1
; NumVGPRsForWavesPerEU: 1
; NamedBarCnt: 0
; Occupancy: 16
; WaveLimiterHint : 0
; COMPUTE_PGM_RSRC2:SCRATCH_EN: 0
; COMPUTE_PGM_RSRC2:USER_SGPR: 2
; COMPUTE_PGM_RSRC2:TRAP_HANDLER: 0
; COMPUTE_PGM_RSRC2:TGID_X_EN: 1
; COMPUTE_PGM_RSRC2:TGID_Y_EN: 0
; COMPUTE_PGM_RSRC2:TGID_Z_EN: 0
; COMPUTE_PGM_RSRC2:TIDIG_COMP_CNT: 0
	.section	.text._ZN7rocprim17ROCPRIM_400000_NS6detail17trampoline_kernelINS0_14default_configENS1_25partition_config_selectorILNS1_17partition_subalgoE8ElNS0_10empty_typeEbEEZZNS1_14partition_implILS5_8ELb0ES3_jPlPS6_PKS6_NS0_5tupleIJS9_S6_EEENSD_IJSA_SA_EEENS0_18inequality_wrapperIZN2at6native12_GLOBAL__N_124unique_dim_cuda_templateIN3c108BFloat16EEESt5tupleIJNSH_6TensorESO_SO_EERKSO_lbbbEUlllE0_EEPmJS6_EEE10hipError_tPvRmT3_T4_T5_T6_T7_T9_mT8_P12ihipStream_tbDpT10_ENKUlT_T0_E_clISt17integral_constantIbLb1EES1E_EEDaS19_S1A_EUlS19_E_NS1_11comp_targetILNS1_3genE9ELNS1_11target_archE1100ELNS1_3gpuE3ELNS1_3repE0EEENS1_30default_config_static_selectorELNS0_4arch9wavefront6targetE0EEEvT1_,"axG",@progbits,_ZN7rocprim17ROCPRIM_400000_NS6detail17trampoline_kernelINS0_14default_configENS1_25partition_config_selectorILNS1_17partition_subalgoE8ElNS0_10empty_typeEbEEZZNS1_14partition_implILS5_8ELb0ES3_jPlPS6_PKS6_NS0_5tupleIJS9_S6_EEENSD_IJSA_SA_EEENS0_18inequality_wrapperIZN2at6native12_GLOBAL__N_124unique_dim_cuda_templateIN3c108BFloat16EEESt5tupleIJNSH_6TensorESO_SO_EERKSO_lbbbEUlllE0_EEPmJS6_EEE10hipError_tPvRmT3_T4_T5_T6_T7_T9_mT8_P12ihipStream_tbDpT10_ENKUlT_T0_E_clISt17integral_constantIbLb1EES1E_EEDaS19_S1A_EUlS19_E_NS1_11comp_targetILNS1_3genE9ELNS1_11target_archE1100ELNS1_3gpuE3ELNS1_3repE0EEENS1_30default_config_static_selectorELNS0_4arch9wavefront6targetE0EEEvT1_,comdat
	.globl	_ZN7rocprim17ROCPRIM_400000_NS6detail17trampoline_kernelINS0_14default_configENS1_25partition_config_selectorILNS1_17partition_subalgoE8ElNS0_10empty_typeEbEEZZNS1_14partition_implILS5_8ELb0ES3_jPlPS6_PKS6_NS0_5tupleIJS9_S6_EEENSD_IJSA_SA_EEENS0_18inequality_wrapperIZN2at6native12_GLOBAL__N_124unique_dim_cuda_templateIN3c108BFloat16EEESt5tupleIJNSH_6TensorESO_SO_EERKSO_lbbbEUlllE0_EEPmJS6_EEE10hipError_tPvRmT3_T4_T5_T6_T7_T9_mT8_P12ihipStream_tbDpT10_ENKUlT_T0_E_clISt17integral_constantIbLb1EES1E_EEDaS19_S1A_EUlS19_E_NS1_11comp_targetILNS1_3genE9ELNS1_11target_archE1100ELNS1_3gpuE3ELNS1_3repE0EEENS1_30default_config_static_selectorELNS0_4arch9wavefront6targetE0EEEvT1_ ; -- Begin function _ZN7rocprim17ROCPRIM_400000_NS6detail17trampoline_kernelINS0_14default_configENS1_25partition_config_selectorILNS1_17partition_subalgoE8ElNS0_10empty_typeEbEEZZNS1_14partition_implILS5_8ELb0ES3_jPlPS6_PKS6_NS0_5tupleIJS9_S6_EEENSD_IJSA_SA_EEENS0_18inequality_wrapperIZN2at6native12_GLOBAL__N_124unique_dim_cuda_templateIN3c108BFloat16EEESt5tupleIJNSH_6TensorESO_SO_EERKSO_lbbbEUlllE0_EEPmJS6_EEE10hipError_tPvRmT3_T4_T5_T6_T7_T9_mT8_P12ihipStream_tbDpT10_ENKUlT_T0_E_clISt17integral_constantIbLb1EES1E_EEDaS19_S1A_EUlS19_E_NS1_11comp_targetILNS1_3genE9ELNS1_11target_archE1100ELNS1_3gpuE3ELNS1_3repE0EEENS1_30default_config_static_selectorELNS0_4arch9wavefront6targetE0EEEvT1_
	.p2align	8
	.type	_ZN7rocprim17ROCPRIM_400000_NS6detail17trampoline_kernelINS0_14default_configENS1_25partition_config_selectorILNS1_17partition_subalgoE8ElNS0_10empty_typeEbEEZZNS1_14partition_implILS5_8ELb0ES3_jPlPS6_PKS6_NS0_5tupleIJS9_S6_EEENSD_IJSA_SA_EEENS0_18inequality_wrapperIZN2at6native12_GLOBAL__N_124unique_dim_cuda_templateIN3c108BFloat16EEESt5tupleIJNSH_6TensorESO_SO_EERKSO_lbbbEUlllE0_EEPmJS6_EEE10hipError_tPvRmT3_T4_T5_T6_T7_T9_mT8_P12ihipStream_tbDpT10_ENKUlT_T0_E_clISt17integral_constantIbLb1EES1E_EEDaS19_S1A_EUlS19_E_NS1_11comp_targetILNS1_3genE9ELNS1_11target_archE1100ELNS1_3gpuE3ELNS1_3repE0EEENS1_30default_config_static_selectorELNS0_4arch9wavefront6targetE0EEEvT1_,@function
_ZN7rocprim17ROCPRIM_400000_NS6detail17trampoline_kernelINS0_14default_configENS1_25partition_config_selectorILNS1_17partition_subalgoE8ElNS0_10empty_typeEbEEZZNS1_14partition_implILS5_8ELb0ES3_jPlPS6_PKS6_NS0_5tupleIJS9_S6_EEENSD_IJSA_SA_EEENS0_18inequality_wrapperIZN2at6native12_GLOBAL__N_124unique_dim_cuda_templateIN3c108BFloat16EEESt5tupleIJNSH_6TensorESO_SO_EERKSO_lbbbEUlllE0_EEPmJS6_EEE10hipError_tPvRmT3_T4_T5_T6_T7_T9_mT8_P12ihipStream_tbDpT10_ENKUlT_T0_E_clISt17integral_constantIbLb1EES1E_EEDaS19_S1A_EUlS19_E_NS1_11comp_targetILNS1_3genE9ELNS1_11target_archE1100ELNS1_3gpuE3ELNS1_3repE0EEENS1_30default_config_static_selectorELNS0_4arch9wavefront6targetE0EEEvT1_: ; @_ZN7rocprim17ROCPRIM_400000_NS6detail17trampoline_kernelINS0_14default_configENS1_25partition_config_selectorILNS1_17partition_subalgoE8ElNS0_10empty_typeEbEEZZNS1_14partition_implILS5_8ELb0ES3_jPlPS6_PKS6_NS0_5tupleIJS9_S6_EEENSD_IJSA_SA_EEENS0_18inequality_wrapperIZN2at6native12_GLOBAL__N_124unique_dim_cuda_templateIN3c108BFloat16EEESt5tupleIJNSH_6TensorESO_SO_EERKSO_lbbbEUlllE0_EEPmJS6_EEE10hipError_tPvRmT3_T4_T5_T6_T7_T9_mT8_P12ihipStream_tbDpT10_ENKUlT_T0_E_clISt17integral_constantIbLb1EES1E_EEDaS19_S1A_EUlS19_E_NS1_11comp_targetILNS1_3genE9ELNS1_11target_archE1100ELNS1_3gpuE3ELNS1_3repE0EEENS1_30default_config_static_selectorELNS0_4arch9wavefront6targetE0EEEvT1_
; %bb.0:
	.section	.rodata,"a",@progbits
	.p2align	6, 0x0
	.amdhsa_kernel _ZN7rocprim17ROCPRIM_400000_NS6detail17trampoline_kernelINS0_14default_configENS1_25partition_config_selectorILNS1_17partition_subalgoE8ElNS0_10empty_typeEbEEZZNS1_14partition_implILS5_8ELb0ES3_jPlPS6_PKS6_NS0_5tupleIJS9_S6_EEENSD_IJSA_SA_EEENS0_18inequality_wrapperIZN2at6native12_GLOBAL__N_124unique_dim_cuda_templateIN3c108BFloat16EEESt5tupleIJNSH_6TensorESO_SO_EERKSO_lbbbEUlllE0_EEPmJS6_EEE10hipError_tPvRmT3_T4_T5_T6_T7_T9_mT8_P12ihipStream_tbDpT10_ENKUlT_T0_E_clISt17integral_constantIbLb1EES1E_EEDaS19_S1A_EUlS19_E_NS1_11comp_targetILNS1_3genE9ELNS1_11target_archE1100ELNS1_3gpuE3ELNS1_3repE0EEENS1_30default_config_static_selectorELNS0_4arch9wavefront6targetE0EEEvT1_
		.amdhsa_group_segment_fixed_size 0
		.amdhsa_private_segment_fixed_size 0
		.amdhsa_kernarg_size 136
		.amdhsa_user_sgpr_count 2
		.amdhsa_user_sgpr_dispatch_ptr 0
		.amdhsa_user_sgpr_queue_ptr 0
		.amdhsa_user_sgpr_kernarg_segment_ptr 1
		.amdhsa_user_sgpr_dispatch_id 0
		.amdhsa_user_sgpr_kernarg_preload_length 0
		.amdhsa_user_sgpr_kernarg_preload_offset 0
		.amdhsa_user_sgpr_private_segment_size 0
		.amdhsa_wavefront_size32 1
		.amdhsa_uses_dynamic_stack 0
		.amdhsa_enable_private_segment 0
		.amdhsa_system_sgpr_workgroup_id_x 1
		.amdhsa_system_sgpr_workgroup_id_y 0
		.amdhsa_system_sgpr_workgroup_id_z 0
		.amdhsa_system_sgpr_workgroup_info 0
		.amdhsa_system_vgpr_workitem_id 0
		.amdhsa_next_free_vgpr 1
		.amdhsa_next_free_sgpr 1
		.amdhsa_named_barrier_count 0
		.amdhsa_reserve_vcc 0
		.amdhsa_float_round_mode_32 0
		.amdhsa_float_round_mode_16_64 0
		.amdhsa_float_denorm_mode_32 3
		.amdhsa_float_denorm_mode_16_64 3
		.amdhsa_fp16_overflow 0
		.amdhsa_memory_ordered 1
		.amdhsa_forward_progress 1
		.amdhsa_inst_pref_size 0
		.amdhsa_round_robin_scheduling 0
		.amdhsa_exception_fp_ieee_invalid_op 0
		.amdhsa_exception_fp_denorm_src 0
		.amdhsa_exception_fp_ieee_div_zero 0
		.amdhsa_exception_fp_ieee_overflow 0
		.amdhsa_exception_fp_ieee_underflow 0
		.amdhsa_exception_fp_ieee_inexact 0
		.amdhsa_exception_int_div_zero 0
	.end_amdhsa_kernel
	.section	.text._ZN7rocprim17ROCPRIM_400000_NS6detail17trampoline_kernelINS0_14default_configENS1_25partition_config_selectorILNS1_17partition_subalgoE8ElNS0_10empty_typeEbEEZZNS1_14partition_implILS5_8ELb0ES3_jPlPS6_PKS6_NS0_5tupleIJS9_S6_EEENSD_IJSA_SA_EEENS0_18inequality_wrapperIZN2at6native12_GLOBAL__N_124unique_dim_cuda_templateIN3c108BFloat16EEESt5tupleIJNSH_6TensorESO_SO_EERKSO_lbbbEUlllE0_EEPmJS6_EEE10hipError_tPvRmT3_T4_T5_T6_T7_T9_mT8_P12ihipStream_tbDpT10_ENKUlT_T0_E_clISt17integral_constantIbLb1EES1E_EEDaS19_S1A_EUlS19_E_NS1_11comp_targetILNS1_3genE9ELNS1_11target_archE1100ELNS1_3gpuE3ELNS1_3repE0EEENS1_30default_config_static_selectorELNS0_4arch9wavefront6targetE0EEEvT1_,"axG",@progbits,_ZN7rocprim17ROCPRIM_400000_NS6detail17trampoline_kernelINS0_14default_configENS1_25partition_config_selectorILNS1_17partition_subalgoE8ElNS0_10empty_typeEbEEZZNS1_14partition_implILS5_8ELb0ES3_jPlPS6_PKS6_NS0_5tupleIJS9_S6_EEENSD_IJSA_SA_EEENS0_18inequality_wrapperIZN2at6native12_GLOBAL__N_124unique_dim_cuda_templateIN3c108BFloat16EEESt5tupleIJNSH_6TensorESO_SO_EERKSO_lbbbEUlllE0_EEPmJS6_EEE10hipError_tPvRmT3_T4_T5_T6_T7_T9_mT8_P12ihipStream_tbDpT10_ENKUlT_T0_E_clISt17integral_constantIbLb1EES1E_EEDaS19_S1A_EUlS19_E_NS1_11comp_targetILNS1_3genE9ELNS1_11target_archE1100ELNS1_3gpuE3ELNS1_3repE0EEENS1_30default_config_static_selectorELNS0_4arch9wavefront6targetE0EEEvT1_,comdat
.Lfunc_end1188:
	.size	_ZN7rocprim17ROCPRIM_400000_NS6detail17trampoline_kernelINS0_14default_configENS1_25partition_config_selectorILNS1_17partition_subalgoE8ElNS0_10empty_typeEbEEZZNS1_14partition_implILS5_8ELb0ES3_jPlPS6_PKS6_NS0_5tupleIJS9_S6_EEENSD_IJSA_SA_EEENS0_18inequality_wrapperIZN2at6native12_GLOBAL__N_124unique_dim_cuda_templateIN3c108BFloat16EEESt5tupleIJNSH_6TensorESO_SO_EERKSO_lbbbEUlllE0_EEPmJS6_EEE10hipError_tPvRmT3_T4_T5_T6_T7_T9_mT8_P12ihipStream_tbDpT10_ENKUlT_T0_E_clISt17integral_constantIbLb1EES1E_EEDaS19_S1A_EUlS19_E_NS1_11comp_targetILNS1_3genE9ELNS1_11target_archE1100ELNS1_3gpuE3ELNS1_3repE0EEENS1_30default_config_static_selectorELNS0_4arch9wavefront6targetE0EEEvT1_, .Lfunc_end1188-_ZN7rocprim17ROCPRIM_400000_NS6detail17trampoline_kernelINS0_14default_configENS1_25partition_config_selectorILNS1_17partition_subalgoE8ElNS0_10empty_typeEbEEZZNS1_14partition_implILS5_8ELb0ES3_jPlPS6_PKS6_NS0_5tupleIJS9_S6_EEENSD_IJSA_SA_EEENS0_18inequality_wrapperIZN2at6native12_GLOBAL__N_124unique_dim_cuda_templateIN3c108BFloat16EEESt5tupleIJNSH_6TensorESO_SO_EERKSO_lbbbEUlllE0_EEPmJS6_EEE10hipError_tPvRmT3_T4_T5_T6_T7_T9_mT8_P12ihipStream_tbDpT10_ENKUlT_T0_E_clISt17integral_constantIbLb1EES1E_EEDaS19_S1A_EUlS19_E_NS1_11comp_targetILNS1_3genE9ELNS1_11target_archE1100ELNS1_3gpuE3ELNS1_3repE0EEENS1_30default_config_static_selectorELNS0_4arch9wavefront6targetE0EEEvT1_
                                        ; -- End function
	.set _ZN7rocprim17ROCPRIM_400000_NS6detail17trampoline_kernelINS0_14default_configENS1_25partition_config_selectorILNS1_17partition_subalgoE8ElNS0_10empty_typeEbEEZZNS1_14partition_implILS5_8ELb0ES3_jPlPS6_PKS6_NS0_5tupleIJS9_S6_EEENSD_IJSA_SA_EEENS0_18inequality_wrapperIZN2at6native12_GLOBAL__N_124unique_dim_cuda_templateIN3c108BFloat16EEESt5tupleIJNSH_6TensorESO_SO_EERKSO_lbbbEUlllE0_EEPmJS6_EEE10hipError_tPvRmT3_T4_T5_T6_T7_T9_mT8_P12ihipStream_tbDpT10_ENKUlT_T0_E_clISt17integral_constantIbLb1EES1E_EEDaS19_S1A_EUlS19_E_NS1_11comp_targetILNS1_3genE9ELNS1_11target_archE1100ELNS1_3gpuE3ELNS1_3repE0EEENS1_30default_config_static_selectorELNS0_4arch9wavefront6targetE0EEEvT1_.num_vgpr, 0
	.set _ZN7rocprim17ROCPRIM_400000_NS6detail17trampoline_kernelINS0_14default_configENS1_25partition_config_selectorILNS1_17partition_subalgoE8ElNS0_10empty_typeEbEEZZNS1_14partition_implILS5_8ELb0ES3_jPlPS6_PKS6_NS0_5tupleIJS9_S6_EEENSD_IJSA_SA_EEENS0_18inequality_wrapperIZN2at6native12_GLOBAL__N_124unique_dim_cuda_templateIN3c108BFloat16EEESt5tupleIJNSH_6TensorESO_SO_EERKSO_lbbbEUlllE0_EEPmJS6_EEE10hipError_tPvRmT3_T4_T5_T6_T7_T9_mT8_P12ihipStream_tbDpT10_ENKUlT_T0_E_clISt17integral_constantIbLb1EES1E_EEDaS19_S1A_EUlS19_E_NS1_11comp_targetILNS1_3genE9ELNS1_11target_archE1100ELNS1_3gpuE3ELNS1_3repE0EEENS1_30default_config_static_selectorELNS0_4arch9wavefront6targetE0EEEvT1_.num_agpr, 0
	.set _ZN7rocprim17ROCPRIM_400000_NS6detail17trampoline_kernelINS0_14default_configENS1_25partition_config_selectorILNS1_17partition_subalgoE8ElNS0_10empty_typeEbEEZZNS1_14partition_implILS5_8ELb0ES3_jPlPS6_PKS6_NS0_5tupleIJS9_S6_EEENSD_IJSA_SA_EEENS0_18inequality_wrapperIZN2at6native12_GLOBAL__N_124unique_dim_cuda_templateIN3c108BFloat16EEESt5tupleIJNSH_6TensorESO_SO_EERKSO_lbbbEUlllE0_EEPmJS6_EEE10hipError_tPvRmT3_T4_T5_T6_T7_T9_mT8_P12ihipStream_tbDpT10_ENKUlT_T0_E_clISt17integral_constantIbLb1EES1E_EEDaS19_S1A_EUlS19_E_NS1_11comp_targetILNS1_3genE9ELNS1_11target_archE1100ELNS1_3gpuE3ELNS1_3repE0EEENS1_30default_config_static_selectorELNS0_4arch9wavefront6targetE0EEEvT1_.numbered_sgpr, 0
	.set _ZN7rocprim17ROCPRIM_400000_NS6detail17trampoline_kernelINS0_14default_configENS1_25partition_config_selectorILNS1_17partition_subalgoE8ElNS0_10empty_typeEbEEZZNS1_14partition_implILS5_8ELb0ES3_jPlPS6_PKS6_NS0_5tupleIJS9_S6_EEENSD_IJSA_SA_EEENS0_18inequality_wrapperIZN2at6native12_GLOBAL__N_124unique_dim_cuda_templateIN3c108BFloat16EEESt5tupleIJNSH_6TensorESO_SO_EERKSO_lbbbEUlllE0_EEPmJS6_EEE10hipError_tPvRmT3_T4_T5_T6_T7_T9_mT8_P12ihipStream_tbDpT10_ENKUlT_T0_E_clISt17integral_constantIbLb1EES1E_EEDaS19_S1A_EUlS19_E_NS1_11comp_targetILNS1_3genE9ELNS1_11target_archE1100ELNS1_3gpuE3ELNS1_3repE0EEENS1_30default_config_static_selectorELNS0_4arch9wavefront6targetE0EEEvT1_.num_named_barrier, 0
	.set _ZN7rocprim17ROCPRIM_400000_NS6detail17trampoline_kernelINS0_14default_configENS1_25partition_config_selectorILNS1_17partition_subalgoE8ElNS0_10empty_typeEbEEZZNS1_14partition_implILS5_8ELb0ES3_jPlPS6_PKS6_NS0_5tupleIJS9_S6_EEENSD_IJSA_SA_EEENS0_18inequality_wrapperIZN2at6native12_GLOBAL__N_124unique_dim_cuda_templateIN3c108BFloat16EEESt5tupleIJNSH_6TensorESO_SO_EERKSO_lbbbEUlllE0_EEPmJS6_EEE10hipError_tPvRmT3_T4_T5_T6_T7_T9_mT8_P12ihipStream_tbDpT10_ENKUlT_T0_E_clISt17integral_constantIbLb1EES1E_EEDaS19_S1A_EUlS19_E_NS1_11comp_targetILNS1_3genE9ELNS1_11target_archE1100ELNS1_3gpuE3ELNS1_3repE0EEENS1_30default_config_static_selectorELNS0_4arch9wavefront6targetE0EEEvT1_.private_seg_size, 0
	.set _ZN7rocprim17ROCPRIM_400000_NS6detail17trampoline_kernelINS0_14default_configENS1_25partition_config_selectorILNS1_17partition_subalgoE8ElNS0_10empty_typeEbEEZZNS1_14partition_implILS5_8ELb0ES3_jPlPS6_PKS6_NS0_5tupleIJS9_S6_EEENSD_IJSA_SA_EEENS0_18inequality_wrapperIZN2at6native12_GLOBAL__N_124unique_dim_cuda_templateIN3c108BFloat16EEESt5tupleIJNSH_6TensorESO_SO_EERKSO_lbbbEUlllE0_EEPmJS6_EEE10hipError_tPvRmT3_T4_T5_T6_T7_T9_mT8_P12ihipStream_tbDpT10_ENKUlT_T0_E_clISt17integral_constantIbLb1EES1E_EEDaS19_S1A_EUlS19_E_NS1_11comp_targetILNS1_3genE9ELNS1_11target_archE1100ELNS1_3gpuE3ELNS1_3repE0EEENS1_30default_config_static_selectorELNS0_4arch9wavefront6targetE0EEEvT1_.uses_vcc, 0
	.set _ZN7rocprim17ROCPRIM_400000_NS6detail17trampoline_kernelINS0_14default_configENS1_25partition_config_selectorILNS1_17partition_subalgoE8ElNS0_10empty_typeEbEEZZNS1_14partition_implILS5_8ELb0ES3_jPlPS6_PKS6_NS0_5tupleIJS9_S6_EEENSD_IJSA_SA_EEENS0_18inequality_wrapperIZN2at6native12_GLOBAL__N_124unique_dim_cuda_templateIN3c108BFloat16EEESt5tupleIJNSH_6TensorESO_SO_EERKSO_lbbbEUlllE0_EEPmJS6_EEE10hipError_tPvRmT3_T4_T5_T6_T7_T9_mT8_P12ihipStream_tbDpT10_ENKUlT_T0_E_clISt17integral_constantIbLb1EES1E_EEDaS19_S1A_EUlS19_E_NS1_11comp_targetILNS1_3genE9ELNS1_11target_archE1100ELNS1_3gpuE3ELNS1_3repE0EEENS1_30default_config_static_selectorELNS0_4arch9wavefront6targetE0EEEvT1_.uses_flat_scratch, 0
	.set _ZN7rocprim17ROCPRIM_400000_NS6detail17trampoline_kernelINS0_14default_configENS1_25partition_config_selectorILNS1_17partition_subalgoE8ElNS0_10empty_typeEbEEZZNS1_14partition_implILS5_8ELb0ES3_jPlPS6_PKS6_NS0_5tupleIJS9_S6_EEENSD_IJSA_SA_EEENS0_18inequality_wrapperIZN2at6native12_GLOBAL__N_124unique_dim_cuda_templateIN3c108BFloat16EEESt5tupleIJNSH_6TensorESO_SO_EERKSO_lbbbEUlllE0_EEPmJS6_EEE10hipError_tPvRmT3_T4_T5_T6_T7_T9_mT8_P12ihipStream_tbDpT10_ENKUlT_T0_E_clISt17integral_constantIbLb1EES1E_EEDaS19_S1A_EUlS19_E_NS1_11comp_targetILNS1_3genE9ELNS1_11target_archE1100ELNS1_3gpuE3ELNS1_3repE0EEENS1_30default_config_static_selectorELNS0_4arch9wavefront6targetE0EEEvT1_.has_dyn_sized_stack, 0
	.set _ZN7rocprim17ROCPRIM_400000_NS6detail17trampoline_kernelINS0_14default_configENS1_25partition_config_selectorILNS1_17partition_subalgoE8ElNS0_10empty_typeEbEEZZNS1_14partition_implILS5_8ELb0ES3_jPlPS6_PKS6_NS0_5tupleIJS9_S6_EEENSD_IJSA_SA_EEENS0_18inequality_wrapperIZN2at6native12_GLOBAL__N_124unique_dim_cuda_templateIN3c108BFloat16EEESt5tupleIJNSH_6TensorESO_SO_EERKSO_lbbbEUlllE0_EEPmJS6_EEE10hipError_tPvRmT3_T4_T5_T6_T7_T9_mT8_P12ihipStream_tbDpT10_ENKUlT_T0_E_clISt17integral_constantIbLb1EES1E_EEDaS19_S1A_EUlS19_E_NS1_11comp_targetILNS1_3genE9ELNS1_11target_archE1100ELNS1_3gpuE3ELNS1_3repE0EEENS1_30default_config_static_selectorELNS0_4arch9wavefront6targetE0EEEvT1_.has_recursion, 0
	.set _ZN7rocprim17ROCPRIM_400000_NS6detail17trampoline_kernelINS0_14default_configENS1_25partition_config_selectorILNS1_17partition_subalgoE8ElNS0_10empty_typeEbEEZZNS1_14partition_implILS5_8ELb0ES3_jPlPS6_PKS6_NS0_5tupleIJS9_S6_EEENSD_IJSA_SA_EEENS0_18inequality_wrapperIZN2at6native12_GLOBAL__N_124unique_dim_cuda_templateIN3c108BFloat16EEESt5tupleIJNSH_6TensorESO_SO_EERKSO_lbbbEUlllE0_EEPmJS6_EEE10hipError_tPvRmT3_T4_T5_T6_T7_T9_mT8_P12ihipStream_tbDpT10_ENKUlT_T0_E_clISt17integral_constantIbLb1EES1E_EEDaS19_S1A_EUlS19_E_NS1_11comp_targetILNS1_3genE9ELNS1_11target_archE1100ELNS1_3gpuE3ELNS1_3repE0EEENS1_30default_config_static_selectorELNS0_4arch9wavefront6targetE0EEEvT1_.has_indirect_call, 0
	.section	.AMDGPU.csdata,"",@progbits
; Kernel info:
; codeLenInByte = 0
; TotalNumSgprs: 0
; NumVgprs: 0
; ScratchSize: 0
; MemoryBound: 0
; FloatMode: 240
; IeeeMode: 1
; LDSByteSize: 0 bytes/workgroup (compile time only)
; SGPRBlocks: 0
; VGPRBlocks: 0
; NumSGPRsForWavesPerEU: 1
; NumVGPRsForWavesPerEU: 1
; NamedBarCnt: 0
; Occupancy: 16
; WaveLimiterHint : 0
; COMPUTE_PGM_RSRC2:SCRATCH_EN: 0
; COMPUTE_PGM_RSRC2:USER_SGPR: 2
; COMPUTE_PGM_RSRC2:TRAP_HANDLER: 0
; COMPUTE_PGM_RSRC2:TGID_X_EN: 1
; COMPUTE_PGM_RSRC2:TGID_Y_EN: 0
; COMPUTE_PGM_RSRC2:TGID_Z_EN: 0
; COMPUTE_PGM_RSRC2:TIDIG_COMP_CNT: 0
	.section	.text._ZN7rocprim17ROCPRIM_400000_NS6detail17trampoline_kernelINS0_14default_configENS1_25partition_config_selectorILNS1_17partition_subalgoE8ElNS0_10empty_typeEbEEZZNS1_14partition_implILS5_8ELb0ES3_jPlPS6_PKS6_NS0_5tupleIJS9_S6_EEENSD_IJSA_SA_EEENS0_18inequality_wrapperIZN2at6native12_GLOBAL__N_124unique_dim_cuda_templateIN3c108BFloat16EEESt5tupleIJNSH_6TensorESO_SO_EERKSO_lbbbEUlllE0_EEPmJS6_EEE10hipError_tPvRmT3_T4_T5_T6_T7_T9_mT8_P12ihipStream_tbDpT10_ENKUlT_T0_E_clISt17integral_constantIbLb1EES1E_EEDaS19_S1A_EUlS19_E_NS1_11comp_targetILNS1_3genE8ELNS1_11target_archE1030ELNS1_3gpuE2ELNS1_3repE0EEENS1_30default_config_static_selectorELNS0_4arch9wavefront6targetE0EEEvT1_,"axG",@progbits,_ZN7rocprim17ROCPRIM_400000_NS6detail17trampoline_kernelINS0_14default_configENS1_25partition_config_selectorILNS1_17partition_subalgoE8ElNS0_10empty_typeEbEEZZNS1_14partition_implILS5_8ELb0ES3_jPlPS6_PKS6_NS0_5tupleIJS9_S6_EEENSD_IJSA_SA_EEENS0_18inequality_wrapperIZN2at6native12_GLOBAL__N_124unique_dim_cuda_templateIN3c108BFloat16EEESt5tupleIJNSH_6TensorESO_SO_EERKSO_lbbbEUlllE0_EEPmJS6_EEE10hipError_tPvRmT3_T4_T5_T6_T7_T9_mT8_P12ihipStream_tbDpT10_ENKUlT_T0_E_clISt17integral_constantIbLb1EES1E_EEDaS19_S1A_EUlS19_E_NS1_11comp_targetILNS1_3genE8ELNS1_11target_archE1030ELNS1_3gpuE2ELNS1_3repE0EEENS1_30default_config_static_selectorELNS0_4arch9wavefront6targetE0EEEvT1_,comdat
	.globl	_ZN7rocprim17ROCPRIM_400000_NS6detail17trampoline_kernelINS0_14default_configENS1_25partition_config_selectorILNS1_17partition_subalgoE8ElNS0_10empty_typeEbEEZZNS1_14partition_implILS5_8ELb0ES3_jPlPS6_PKS6_NS0_5tupleIJS9_S6_EEENSD_IJSA_SA_EEENS0_18inequality_wrapperIZN2at6native12_GLOBAL__N_124unique_dim_cuda_templateIN3c108BFloat16EEESt5tupleIJNSH_6TensorESO_SO_EERKSO_lbbbEUlllE0_EEPmJS6_EEE10hipError_tPvRmT3_T4_T5_T6_T7_T9_mT8_P12ihipStream_tbDpT10_ENKUlT_T0_E_clISt17integral_constantIbLb1EES1E_EEDaS19_S1A_EUlS19_E_NS1_11comp_targetILNS1_3genE8ELNS1_11target_archE1030ELNS1_3gpuE2ELNS1_3repE0EEENS1_30default_config_static_selectorELNS0_4arch9wavefront6targetE0EEEvT1_ ; -- Begin function _ZN7rocprim17ROCPRIM_400000_NS6detail17trampoline_kernelINS0_14default_configENS1_25partition_config_selectorILNS1_17partition_subalgoE8ElNS0_10empty_typeEbEEZZNS1_14partition_implILS5_8ELb0ES3_jPlPS6_PKS6_NS0_5tupleIJS9_S6_EEENSD_IJSA_SA_EEENS0_18inequality_wrapperIZN2at6native12_GLOBAL__N_124unique_dim_cuda_templateIN3c108BFloat16EEESt5tupleIJNSH_6TensorESO_SO_EERKSO_lbbbEUlllE0_EEPmJS6_EEE10hipError_tPvRmT3_T4_T5_T6_T7_T9_mT8_P12ihipStream_tbDpT10_ENKUlT_T0_E_clISt17integral_constantIbLb1EES1E_EEDaS19_S1A_EUlS19_E_NS1_11comp_targetILNS1_3genE8ELNS1_11target_archE1030ELNS1_3gpuE2ELNS1_3repE0EEENS1_30default_config_static_selectorELNS0_4arch9wavefront6targetE0EEEvT1_
	.p2align	8
	.type	_ZN7rocprim17ROCPRIM_400000_NS6detail17trampoline_kernelINS0_14default_configENS1_25partition_config_selectorILNS1_17partition_subalgoE8ElNS0_10empty_typeEbEEZZNS1_14partition_implILS5_8ELb0ES3_jPlPS6_PKS6_NS0_5tupleIJS9_S6_EEENSD_IJSA_SA_EEENS0_18inequality_wrapperIZN2at6native12_GLOBAL__N_124unique_dim_cuda_templateIN3c108BFloat16EEESt5tupleIJNSH_6TensorESO_SO_EERKSO_lbbbEUlllE0_EEPmJS6_EEE10hipError_tPvRmT3_T4_T5_T6_T7_T9_mT8_P12ihipStream_tbDpT10_ENKUlT_T0_E_clISt17integral_constantIbLb1EES1E_EEDaS19_S1A_EUlS19_E_NS1_11comp_targetILNS1_3genE8ELNS1_11target_archE1030ELNS1_3gpuE2ELNS1_3repE0EEENS1_30default_config_static_selectorELNS0_4arch9wavefront6targetE0EEEvT1_,@function
_ZN7rocprim17ROCPRIM_400000_NS6detail17trampoline_kernelINS0_14default_configENS1_25partition_config_selectorILNS1_17partition_subalgoE8ElNS0_10empty_typeEbEEZZNS1_14partition_implILS5_8ELb0ES3_jPlPS6_PKS6_NS0_5tupleIJS9_S6_EEENSD_IJSA_SA_EEENS0_18inequality_wrapperIZN2at6native12_GLOBAL__N_124unique_dim_cuda_templateIN3c108BFloat16EEESt5tupleIJNSH_6TensorESO_SO_EERKSO_lbbbEUlllE0_EEPmJS6_EEE10hipError_tPvRmT3_T4_T5_T6_T7_T9_mT8_P12ihipStream_tbDpT10_ENKUlT_T0_E_clISt17integral_constantIbLb1EES1E_EEDaS19_S1A_EUlS19_E_NS1_11comp_targetILNS1_3genE8ELNS1_11target_archE1030ELNS1_3gpuE2ELNS1_3repE0EEENS1_30default_config_static_selectorELNS0_4arch9wavefront6targetE0EEEvT1_: ; @_ZN7rocprim17ROCPRIM_400000_NS6detail17trampoline_kernelINS0_14default_configENS1_25partition_config_selectorILNS1_17partition_subalgoE8ElNS0_10empty_typeEbEEZZNS1_14partition_implILS5_8ELb0ES3_jPlPS6_PKS6_NS0_5tupleIJS9_S6_EEENSD_IJSA_SA_EEENS0_18inequality_wrapperIZN2at6native12_GLOBAL__N_124unique_dim_cuda_templateIN3c108BFloat16EEESt5tupleIJNSH_6TensorESO_SO_EERKSO_lbbbEUlllE0_EEPmJS6_EEE10hipError_tPvRmT3_T4_T5_T6_T7_T9_mT8_P12ihipStream_tbDpT10_ENKUlT_T0_E_clISt17integral_constantIbLb1EES1E_EEDaS19_S1A_EUlS19_E_NS1_11comp_targetILNS1_3genE8ELNS1_11target_archE1030ELNS1_3gpuE2ELNS1_3repE0EEENS1_30default_config_static_selectorELNS0_4arch9wavefront6targetE0EEEvT1_
; %bb.0:
	.section	.rodata,"a",@progbits
	.p2align	6, 0x0
	.amdhsa_kernel _ZN7rocprim17ROCPRIM_400000_NS6detail17trampoline_kernelINS0_14default_configENS1_25partition_config_selectorILNS1_17partition_subalgoE8ElNS0_10empty_typeEbEEZZNS1_14partition_implILS5_8ELb0ES3_jPlPS6_PKS6_NS0_5tupleIJS9_S6_EEENSD_IJSA_SA_EEENS0_18inequality_wrapperIZN2at6native12_GLOBAL__N_124unique_dim_cuda_templateIN3c108BFloat16EEESt5tupleIJNSH_6TensorESO_SO_EERKSO_lbbbEUlllE0_EEPmJS6_EEE10hipError_tPvRmT3_T4_T5_T6_T7_T9_mT8_P12ihipStream_tbDpT10_ENKUlT_T0_E_clISt17integral_constantIbLb1EES1E_EEDaS19_S1A_EUlS19_E_NS1_11comp_targetILNS1_3genE8ELNS1_11target_archE1030ELNS1_3gpuE2ELNS1_3repE0EEENS1_30default_config_static_selectorELNS0_4arch9wavefront6targetE0EEEvT1_
		.amdhsa_group_segment_fixed_size 0
		.amdhsa_private_segment_fixed_size 0
		.amdhsa_kernarg_size 136
		.amdhsa_user_sgpr_count 2
		.amdhsa_user_sgpr_dispatch_ptr 0
		.amdhsa_user_sgpr_queue_ptr 0
		.amdhsa_user_sgpr_kernarg_segment_ptr 1
		.amdhsa_user_sgpr_dispatch_id 0
		.amdhsa_user_sgpr_kernarg_preload_length 0
		.amdhsa_user_sgpr_kernarg_preload_offset 0
		.amdhsa_user_sgpr_private_segment_size 0
		.amdhsa_wavefront_size32 1
		.amdhsa_uses_dynamic_stack 0
		.amdhsa_enable_private_segment 0
		.amdhsa_system_sgpr_workgroup_id_x 1
		.amdhsa_system_sgpr_workgroup_id_y 0
		.amdhsa_system_sgpr_workgroup_id_z 0
		.amdhsa_system_sgpr_workgroup_info 0
		.amdhsa_system_vgpr_workitem_id 0
		.amdhsa_next_free_vgpr 1
		.amdhsa_next_free_sgpr 1
		.amdhsa_named_barrier_count 0
		.amdhsa_reserve_vcc 0
		.amdhsa_float_round_mode_32 0
		.amdhsa_float_round_mode_16_64 0
		.amdhsa_float_denorm_mode_32 3
		.amdhsa_float_denorm_mode_16_64 3
		.amdhsa_fp16_overflow 0
		.amdhsa_memory_ordered 1
		.amdhsa_forward_progress 1
		.amdhsa_inst_pref_size 0
		.amdhsa_round_robin_scheduling 0
		.amdhsa_exception_fp_ieee_invalid_op 0
		.amdhsa_exception_fp_denorm_src 0
		.amdhsa_exception_fp_ieee_div_zero 0
		.amdhsa_exception_fp_ieee_overflow 0
		.amdhsa_exception_fp_ieee_underflow 0
		.amdhsa_exception_fp_ieee_inexact 0
		.amdhsa_exception_int_div_zero 0
	.end_amdhsa_kernel
	.section	.text._ZN7rocprim17ROCPRIM_400000_NS6detail17trampoline_kernelINS0_14default_configENS1_25partition_config_selectorILNS1_17partition_subalgoE8ElNS0_10empty_typeEbEEZZNS1_14partition_implILS5_8ELb0ES3_jPlPS6_PKS6_NS0_5tupleIJS9_S6_EEENSD_IJSA_SA_EEENS0_18inequality_wrapperIZN2at6native12_GLOBAL__N_124unique_dim_cuda_templateIN3c108BFloat16EEESt5tupleIJNSH_6TensorESO_SO_EERKSO_lbbbEUlllE0_EEPmJS6_EEE10hipError_tPvRmT3_T4_T5_T6_T7_T9_mT8_P12ihipStream_tbDpT10_ENKUlT_T0_E_clISt17integral_constantIbLb1EES1E_EEDaS19_S1A_EUlS19_E_NS1_11comp_targetILNS1_3genE8ELNS1_11target_archE1030ELNS1_3gpuE2ELNS1_3repE0EEENS1_30default_config_static_selectorELNS0_4arch9wavefront6targetE0EEEvT1_,"axG",@progbits,_ZN7rocprim17ROCPRIM_400000_NS6detail17trampoline_kernelINS0_14default_configENS1_25partition_config_selectorILNS1_17partition_subalgoE8ElNS0_10empty_typeEbEEZZNS1_14partition_implILS5_8ELb0ES3_jPlPS6_PKS6_NS0_5tupleIJS9_S6_EEENSD_IJSA_SA_EEENS0_18inequality_wrapperIZN2at6native12_GLOBAL__N_124unique_dim_cuda_templateIN3c108BFloat16EEESt5tupleIJNSH_6TensorESO_SO_EERKSO_lbbbEUlllE0_EEPmJS6_EEE10hipError_tPvRmT3_T4_T5_T6_T7_T9_mT8_P12ihipStream_tbDpT10_ENKUlT_T0_E_clISt17integral_constantIbLb1EES1E_EEDaS19_S1A_EUlS19_E_NS1_11comp_targetILNS1_3genE8ELNS1_11target_archE1030ELNS1_3gpuE2ELNS1_3repE0EEENS1_30default_config_static_selectorELNS0_4arch9wavefront6targetE0EEEvT1_,comdat
.Lfunc_end1189:
	.size	_ZN7rocprim17ROCPRIM_400000_NS6detail17trampoline_kernelINS0_14default_configENS1_25partition_config_selectorILNS1_17partition_subalgoE8ElNS0_10empty_typeEbEEZZNS1_14partition_implILS5_8ELb0ES3_jPlPS6_PKS6_NS0_5tupleIJS9_S6_EEENSD_IJSA_SA_EEENS0_18inequality_wrapperIZN2at6native12_GLOBAL__N_124unique_dim_cuda_templateIN3c108BFloat16EEESt5tupleIJNSH_6TensorESO_SO_EERKSO_lbbbEUlllE0_EEPmJS6_EEE10hipError_tPvRmT3_T4_T5_T6_T7_T9_mT8_P12ihipStream_tbDpT10_ENKUlT_T0_E_clISt17integral_constantIbLb1EES1E_EEDaS19_S1A_EUlS19_E_NS1_11comp_targetILNS1_3genE8ELNS1_11target_archE1030ELNS1_3gpuE2ELNS1_3repE0EEENS1_30default_config_static_selectorELNS0_4arch9wavefront6targetE0EEEvT1_, .Lfunc_end1189-_ZN7rocprim17ROCPRIM_400000_NS6detail17trampoline_kernelINS0_14default_configENS1_25partition_config_selectorILNS1_17partition_subalgoE8ElNS0_10empty_typeEbEEZZNS1_14partition_implILS5_8ELb0ES3_jPlPS6_PKS6_NS0_5tupleIJS9_S6_EEENSD_IJSA_SA_EEENS0_18inequality_wrapperIZN2at6native12_GLOBAL__N_124unique_dim_cuda_templateIN3c108BFloat16EEESt5tupleIJNSH_6TensorESO_SO_EERKSO_lbbbEUlllE0_EEPmJS6_EEE10hipError_tPvRmT3_T4_T5_T6_T7_T9_mT8_P12ihipStream_tbDpT10_ENKUlT_T0_E_clISt17integral_constantIbLb1EES1E_EEDaS19_S1A_EUlS19_E_NS1_11comp_targetILNS1_3genE8ELNS1_11target_archE1030ELNS1_3gpuE2ELNS1_3repE0EEENS1_30default_config_static_selectorELNS0_4arch9wavefront6targetE0EEEvT1_
                                        ; -- End function
	.set _ZN7rocprim17ROCPRIM_400000_NS6detail17trampoline_kernelINS0_14default_configENS1_25partition_config_selectorILNS1_17partition_subalgoE8ElNS0_10empty_typeEbEEZZNS1_14partition_implILS5_8ELb0ES3_jPlPS6_PKS6_NS0_5tupleIJS9_S6_EEENSD_IJSA_SA_EEENS0_18inequality_wrapperIZN2at6native12_GLOBAL__N_124unique_dim_cuda_templateIN3c108BFloat16EEESt5tupleIJNSH_6TensorESO_SO_EERKSO_lbbbEUlllE0_EEPmJS6_EEE10hipError_tPvRmT3_T4_T5_T6_T7_T9_mT8_P12ihipStream_tbDpT10_ENKUlT_T0_E_clISt17integral_constantIbLb1EES1E_EEDaS19_S1A_EUlS19_E_NS1_11comp_targetILNS1_3genE8ELNS1_11target_archE1030ELNS1_3gpuE2ELNS1_3repE0EEENS1_30default_config_static_selectorELNS0_4arch9wavefront6targetE0EEEvT1_.num_vgpr, 0
	.set _ZN7rocprim17ROCPRIM_400000_NS6detail17trampoline_kernelINS0_14default_configENS1_25partition_config_selectorILNS1_17partition_subalgoE8ElNS0_10empty_typeEbEEZZNS1_14partition_implILS5_8ELb0ES3_jPlPS6_PKS6_NS0_5tupleIJS9_S6_EEENSD_IJSA_SA_EEENS0_18inequality_wrapperIZN2at6native12_GLOBAL__N_124unique_dim_cuda_templateIN3c108BFloat16EEESt5tupleIJNSH_6TensorESO_SO_EERKSO_lbbbEUlllE0_EEPmJS6_EEE10hipError_tPvRmT3_T4_T5_T6_T7_T9_mT8_P12ihipStream_tbDpT10_ENKUlT_T0_E_clISt17integral_constantIbLb1EES1E_EEDaS19_S1A_EUlS19_E_NS1_11comp_targetILNS1_3genE8ELNS1_11target_archE1030ELNS1_3gpuE2ELNS1_3repE0EEENS1_30default_config_static_selectorELNS0_4arch9wavefront6targetE0EEEvT1_.num_agpr, 0
	.set _ZN7rocprim17ROCPRIM_400000_NS6detail17trampoline_kernelINS0_14default_configENS1_25partition_config_selectorILNS1_17partition_subalgoE8ElNS0_10empty_typeEbEEZZNS1_14partition_implILS5_8ELb0ES3_jPlPS6_PKS6_NS0_5tupleIJS9_S6_EEENSD_IJSA_SA_EEENS0_18inequality_wrapperIZN2at6native12_GLOBAL__N_124unique_dim_cuda_templateIN3c108BFloat16EEESt5tupleIJNSH_6TensorESO_SO_EERKSO_lbbbEUlllE0_EEPmJS6_EEE10hipError_tPvRmT3_T4_T5_T6_T7_T9_mT8_P12ihipStream_tbDpT10_ENKUlT_T0_E_clISt17integral_constantIbLb1EES1E_EEDaS19_S1A_EUlS19_E_NS1_11comp_targetILNS1_3genE8ELNS1_11target_archE1030ELNS1_3gpuE2ELNS1_3repE0EEENS1_30default_config_static_selectorELNS0_4arch9wavefront6targetE0EEEvT1_.numbered_sgpr, 0
	.set _ZN7rocprim17ROCPRIM_400000_NS6detail17trampoline_kernelINS0_14default_configENS1_25partition_config_selectorILNS1_17partition_subalgoE8ElNS0_10empty_typeEbEEZZNS1_14partition_implILS5_8ELb0ES3_jPlPS6_PKS6_NS0_5tupleIJS9_S6_EEENSD_IJSA_SA_EEENS0_18inequality_wrapperIZN2at6native12_GLOBAL__N_124unique_dim_cuda_templateIN3c108BFloat16EEESt5tupleIJNSH_6TensorESO_SO_EERKSO_lbbbEUlllE0_EEPmJS6_EEE10hipError_tPvRmT3_T4_T5_T6_T7_T9_mT8_P12ihipStream_tbDpT10_ENKUlT_T0_E_clISt17integral_constantIbLb1EES1E_EEDaS19_S1A_EUlS19_E_NS1_11comp_targetILNS1_3genE8ELNS1_11target_archE1030ELNS1_3gpuE2ELNS1_3repE0EEENS1_30default_config_static_selectorELNS0_4arch9wavefront6targetE0EEEvT1_.num_named_barrier, 0
	.set _ZN7rocprim17ROCPRIM_400000_NS6detail17trampoline_kernelINS0_14default_configENS1_25partition_config_selectorILNS1_17partition_subalgoE8ElNS0_10empty_typeEbEEZZNS1_14partition_implILS5_8ELb0ES3_jPlPS6_PKS6_NS0_5tupleIJS9_S6_EEENSD_IJSA_SA_EEENS0_18inequality_wrapperIZN2at6native12_GLOBAL__N_124unique_dim_cuda_templateIN3c108BFloat16EEESt5tupleIJNSH_6TensorESO_SO_EERKSO_lbbbEUlllE0_EEPmJS6_EEE10hipError_tPvRmT3_T4_T5_T6_T7_T9_mT8_P12ihipStream_tbDpT10_ENKUlT_T0_E_clISt17integral_constantIbLb1EES1E_EEDaS19_S1A_EUlS19_E_NS1_11comp_targetILNS1_3genE8ELNS1_11target_archE1030ELNS1_3gpuE2ELNS1_3repE0EEENS1_30default_config_static_selectorELNS0_4arch9wavefront6targetE0EEEvT1_.private_seg_size, 0
	.set _ZN7rocprim17ROCPRIM_400000_NS6detail17trampoline_kernelINS0_14default_configENS1_25partition_config_selectorILNS1_17partition_subalgoE8ElNS0_10empty_typeEbEEZZNS1_14partition_implILS5_8ELb0ES3_jPlPS6_PKS6_NS0_5tupleIJS9_S6_EEENSD_IJSA_SA_EEENS0_18inequality_wrapperIZN2at6native12_GLOBAL__N_124unique_dim_cuda_templateIN3c108BFloat16EEESt5tupleIJNSH_6TensorESO_SO_EERKSO_lbbbEUlllE0_EEPmJS6_EEE10hipError_tPvRmT3_T4_T5_T6_T7_T9_mT8_P12ihipStream_tbDpT10_ENKUlT_T0_E_clISt17integral_constantIbLb1EES1E_EEDaS19_S1A_EUlS19_E_NS1_11comp_targetILNS1_3genE8ELNS1_11target_archE1030ELNS1_3gpuE2ELNS1_3repE0EEENS1_30default_config_static_selectorELNS0_4arch9wavefront6targetE0EEEvT1_.uses_vcc, 0
	.set _ZN7rocprim17ROCPRIM_400000_NS6detail17trampoline_kernelINS0_14default_configENS1_25partition_config_selectorILNS1_17partition_subalgoE8ElNS0_10empty_typeEbEEZZNS1_14partition_implILS5_8ELb0ES3_jPlPS6_PKS6_NS0_5tupleIJS9_S6_EEENSD_IJSA_SA_EEENS0_18inequality_wrapperIZN2at6native12_GLOBAL__N_124unique_dim_cuda_templateIN3c108BFloat16EEESt5tupleIJNSH_6TensorESO_SO_EERKSO_lbbbEUlllE0_EEPmJS6_EEE10hipError_tPvRmT3_T4_T5_T6_T7_T9_mT8_P12ihipStream_tbDpT10_ENKUlT_T0_E_clISt17integral_constantIbLb1EES1E_EEDaS19_S1A_EUlS19_E_NS1_11comp_targetILNS1_3genE8ELNS1_11target_archE1030ELNS1_3gpuE2ELNS1_3repE0EEENS1_30default_config_static_selectorELNS0_4arch9wavefront6targetE0EEEvT1_.uses_flat_scratch, 0
	.set _ZN7rocprim17ROCPRIM_400000_NS6detail17trampoline_kernelINS0_14default_configENS1_25partition_config_selectorILNS1_17partition_subalgoE8ElNS0_10empty_typeEbEEZZNS1_14partition_implILS5_8ELb0ES3_jPlPS6_PKS6_NS0_5tupleIJS9_S6_EEENSD_IJSA_SA_EEENS0_18inequality_wrapperIZN2at6native12_GLOBAL__N_124unique_dim_cuda_templateIN3c108BFloat16EEESt5tupleIJNSH_6TensorESO_SO_EERKSO_lbbbEUlllE0_EEPmJS6_EEE10hipError_tPvRmT3_T4_T5_T6_T7_T9_mT8_P12ihipStream_tbDpT10_ENKUlT_T0_E_clISt17integral_constantIbLb1EES1E_EEDaS19_S1A_EUlS19_E_NS1_11comp_targetILNS1_3genE8ELNS1_11target_archE1030ELNS1_3gpuE2ELNS1_3repE0EEENS1_30default_config_static_selectorELNS0_4arch9wavefront6targetE0EEEvT1_.has_dyn_sized_stack, 0
	.set _ZN7rocprim17ROCPRIM_400000_NS6detail17trampoline_kernelINS0_14default_configENS1_25partition_config_selectorILNS1_17partition_subalgoE8ElNS0_10empty_typeEbEEZZNS1_14partition_implILS5_8ELb0ES3_jPlPS6_PKS6_NS0_5tupleIJS9_S6_EEENSD_IJSA_SA_EEENS0_18inequality_wrapperIZN2at6native12_GLOBAL__N_124unique_dim_cuda_templateIN3c108BFloat16EEESt5tupleIJNSH_6TensorESO_SO_EERKSO_lbbbEUlllE0_EEPmJS6_EEE10hipError_tPvRmT3_T4_T5_T6_T7_T9_mT8_P12ihipStream_tbDpT10_ENKUlT_T0_E_clISt17integral_constantIbLb1EES1E_EEDaS19_S1A_EUlS19_E_NS1_11comp_targetILNS1_3genE8ELNS1_11target_archE1030ELNS1_3gpuE2ELNS1_3repE0EEENS1_30default_config_static_selectorELNS0_4arch9wavefront6targetE0EEEvT1_.has_recursion, 0
	.set _ZN7rocprim17ROCPRIM_400000_NS6detail17trampoline_kernelINS0_14default_configENS1_25partition_config_selectorILNS1_17partition_subalgoE8ElNS0_10empty_typeEbEEZZNS1_14partition_implILS5_8ELb0ES3_jPlPS6_PKS6_NS0_5tupleIJS9_S6_EEENSD_IJSA_SA_EEENS0_18inequality_wrapperIZN2at6native12_GLOBAL__N_124unique_dim_cuda_templateIN3c108BFloat16EEESt5tupleIJNSH_6TensorESO_SO_EERKSO_lbbbEUlllE0_EEPmJS6_EEE10hipError_tPvRmT3_T4_T5_T6_T7_T9_mT8_P12ihipStream_tbDpT10_ENKUlT_T0_E_clISt17integral_constantIbLb1EES1E_EEDaS19_S1A_EUlS19_E_NS1_11comp_targetILNS1_3genE8ELNS1_11target_archE1030ELNS1_3gpuE2ELNS1_3repE0EEENS1_30default_config_static_selectorELNS0_4arch9wavefront6targetE0EEEvT1_.has_indirect_call, 0
	.section	.AMDGPU.csdata,"",@progbits
; Kernel info:
; codeLenInByte = 0
; TotalNumSgprs: 0
; NumVgprs: 0
; ScratchSize: 0
; MemoryBound: 0
; FloatMode: 240
; IeeeMode: 1
; LDSByteSize: 0 bytes/workgroup (compile time only)
; SGPRBlocks: 0
; VGPRBlocks: 0
; NumSGPRsForWavesPerEU: 1
; NumVGPRsForWavesPerEU: 1
; NamedBarCnt: 0
; Occupancy: 16
; WaveLimiterHint : 0
; COMPUTE_PGM_RSRC2:SCRATCH_EN: 0
; COMPUTE_PGM_RSRC2:USER_SGPR: 2
; COMPUTE_PGM_RSRC2:TRAP_HANDLER: 0
; COMPUTE_PGM_RSRC2:TGID_X_EN: 1
; COMPUTE_PGM_RSRC2:TGID_Y_EN: 0
; COMPUTE_PGM_RSRC2:TGID_Z_EN: 0
; COMPUTE_PGM_RSRC2:TIDIG_COMP_CNT: 0
	.section	.text._ZN7rocprim17ROCPRIM_400000_NS6detail17trampoline_kernelINS0_14default_configENS1_25partition_config_selectorILNS1_17partition_subalgoE8ElNS0_10empty_typeEbEEZZNS1_14partition_implILS5_8ELb0ES3_jPlPS6_PKS6_NS0_5tupleIJS9_S6_EEENSD_IJSA_SA_EEENS0_18inequality_wrapperIZN2at6native12_GLOBAL__N_124unique_dim_cuda_templateIN3c108BFloat16EEESt5tupleIJNSH_6TensorESO_SO_EERKSO_lbbbEUlllE0_EEPmJS6_EEE10hipError_tPvRmT3_T4_T5_T6_T7_T9_mT8_P12ihipStream_tbDpT10_ENKUlT_T0_E_clISt17integral_constantIbLb1EES1D_IbLb0EEEEDaS19_S1A_EUlS19_E_NS1_11comp_targetILNS1_3genE0ELNS1_11target_archE4294967295ELNS1_3gpuE0ELNS1_3repE0EEENS1_30default_config_static_selectorELNS0_4arch9wavefront6targetE0EEEvT1_,"axG",@progbits,_ZN7rocprim17ROCPRIM_400000_NS6detail17trampoline_kernelINS0_14default_configENS1_25partition_config_selectorILNS1_17partition_subalgoE8ElNS0_10empty_typeEbEEZZNS1_14partition_implILS5_8ELb0ES3_jPlPS6_PKS6_NS0_5tupleIJS9_S6_EEENSD_IJSA_SA_EEENS0_18inequality_wrapperIZN2at6native12_GLOBAL__N_124unique_dim_cuda_templateIN3c108BFloat16EEESt5tupleIJNSH_6TensorESO_SO_EERKSO_lbbbEUlllE0_EEPmJS6_EEE10hipError_tPvRmT3_T4_T5_T6_T7_T9_mT8_P12ihipStream_tbDpT10_ENKUlT_T0_E_clISt17integral_constantIbLb1EES1D_IbLb0EEEEDaS19_S1A_EUlS19_E_NS1_11comp_targetILNS1_3genE0ELNS1_11target_archE4294967295ELNS1_3gpuE0ELNS1_3repE0EEENS1_30default_config_static_selectorELNS0_4arch9wavefront6targetE0EEEvT1_,comdat
	.globl	_ZN7rocprim17ROCPRIM_400000_NS6detail17trampoline_kernelINS0_14default_configENS1_25partition_config_selectorILNS1_17partition_subalgoE8ElNS0_10empty_typeEbEEZZNS1_14partition_implILS5_8ELb0ES3_jPlPS6_PKS6_NS0_5tupleIJS9_S6_EEENSD_IJSA_SA_EEENS0_18inequality_wrapperIZN2at6native12_GLOBAL__N_124unique_dim_cuda_templateIN3c108BFloat16EEESt5tupleIJNSH_6TensorESO_SO_EERKSO_lbbbEUlllE0_EEPmJS6_EEE10hipError_tPvRmT3_T4_T5_T6_T7_T9_mT8_P12ihipStream_tbDpT10_ENKUlT_T0_E_clISt17integral_constantIbLb1EES1D_IbLb0EEEEDaS19_S1A_EUlS19_E_NS1_11comp_targetILNS1_3genE0ELNS1_11target_archE4294967295ELNS1_3gpuE0ELNS1_3repE0EEENS1_30default_config_static_selectorELNS0_4arch9wavefront6targetE0EEEvT1_ ; -- Begin function _ZN7rocprim17ROCPRIM_400000_NS6detail17trampoline_kernelINS0_14default_configENS1_25partition_config_selectorILNS1_17partition_subalgoE8ElNS0_10empty_typeEbEEZZNS1_14partition_implILS5_8ELb0ES3_jPlPS6_PKS6_NS0_5tupleIJS9_S6_EEENSD_IJSA_SA_EEENS0_18inequality_wrapperIZN2at6native12_GLOBAL__N_124unique_dim_cuda_templateIN3c108BFloat16EEESt5tupleIJNSH_6TensorESO_SO_EERKSO_lbbbEUlllE0_EEPmJS6_EEE10hipError_tPvRmT3_T4_T5_T6_T7_T9_mT8_P12ihipStream_tbDpT10_ENKUlT_T0_E_clISt17integral_constantIbLb1EES1D_IbLb0EEEEDaS19_S1A_EUlS19_E_NS1_11comp_targetILNS1_3genE0ELNS1_11target_archE4294967295ELNS1_3gpuE0ELNS1_3repE0EEENS1_30default_config_static_selectorELNS0_4arch9wavefront6targetE0EEEvT1_
	.p2align	8
	.type	_ZN7rocprim17ROCPRIM_400000_NS6detail17trampoline_kernelINS0_14default_configENS1_25partition_config_selectorILNS1_17partition_subalgoE8ElNS0_10empty_typeEbEEZZNS1_14partition_implILS5_8ELb0ES3_jPlPS6_PKS6_NS0_5tupleIJS9_S6_EEENSD_IJSA_SA_EEENS0_18inequality_wrapperIZN2at6native12_GLOBAL__N_124unique_dim_cuda_templateIN3c108BFloat16EEESt5tupleIJNSH_6TensorESO_SO_EERKSO_lbbbEUlllE0_EEPmJS6_EEE10hipError_tPvRmT3_T4_T5_T6_T7_T9_mT8_P12ihipStream_tbDpT10_ENKUlT_T0_E_clISt17integral_constantIbLb1EES1D_IbLb0EEEEDaS19_S1A_EUlS19_E_NS1_11comp_targetILNS1_3genE0ELNS1_11target_archE4294967295ELNS1_3gpuE0ELNS1_3repE0EEENS1_30default_config_static_selectorELNS0_4arch9wavefront6targetE0EEEvT1_,@function
_ZN7rocprim17ROCPRIM_400000_NS6detail17trampoline_kernelINS0_14default_configENS1_25partition_config_selectorILNS1_17partition_subalgoE8ElNS0_10empty_typeEbEEZZNS1_14partition_implILS5_8ELb0ES3_jPlPS6_PKS6_NS0_5tupleIJS9_S6_EEENSD_IJSA_SA_EEENS0_18inequality_wrapperIZN2at6native12_GLOBAL__N_124unique_dim_cuda_templateIN3c108BFloat16EEESt5tupleIJNSH_6TensorESO_SO_EERKSO_lbbbEUlllE0_EEPmJS6_EEE10hipError_tPvRmT3_T4_T5_T6_T7_T9_mT8_P12ihipStream_tbDpT10_ENKUlT_T0_E_clISt17integral_constantIbLb1EES1D_IbLb0EEEEDaS19_S1A_EUlS19_E_NS1_11comp_targetILNS1_3genE0ELNS1_11target_archE4294967295ELNS1_3gpuE0ELNS1_3repE0EEENS1_30default_config_static_selectorELNS0_4arch9wavefront6targetE0EEEvT1_: ; @_ZN7rocprim17ROCPRIM_400000_NS6detail17trampoline_kernelINS0_14default_configENS1_25partition_config_selectorILNS1_17partition_subalgoE8ElNS0_10empty_typeEbEEZZNS1_14partition_implILS5_8ELb0ES3_jPlPS6_PKS6_NS0_5tupleIJS9_S6_EEENSD_IJSA_SA_EEENS0_18inequality_wrapperIZN2at6native12_GLOBAL__N_124unique_dim_cuda_templateIN3c108BFloat16EEESt5tupleIJNSH_6TensorESO_SO_EERKSO_lbbbEUlllE0_EEPmJS6_EEE10hipError_tPvRmT3_T4_T5_T6_T7_T9_mT8_P12ihipStream_tbDpT10_ENKUlT_T0_E_clISt17integral_constantIbLb1EES1D_IbLb0EEEEDaS19_S1A_EUlS19_E_NS1_11comp_targetILNS1_3genE0ELNS1_11target_archE4294967295ELNS1_3gpuE0ELNS1_3repE0EEENS1_30default_config_static_selectorELNS0_4arch9wavefront6targetE0EEEvT1_
; %bb.0:
	s_endpgm
	.section	.rodata,"a",@progbits
	.p2align	6, 0x0
	.amdhsa_kernel _ZN7rocprim17ROCPRIM_400000_NS6detail17trampoline_kernelINS0_14default_configENS1_25partition_config_selectorILNS1_17partition_subalgoE8ElNS0_10empty_typeEbEEZZNS1_14partition_implILS5_8ELb0ES3_jPlPS6_PKS6_NS0_5tupleIJS9_S6_EEENSD_IJSA_SA_EEENS0_18inequality_wrapperIZN2at6native12_GLOBAL__N_124unique_dim_cuda_templateIN3c108BFloat16EEESt5tupleIJNSH_6TensorESO_SO_EERKSO_lbbbEUlllE0_EEPmJS6_EEE10hipError_tPvRmT3_T4_T5_T6_T7_T9_mT8_P12ihipStream_tbDpT10_ENKUlT_T0_E_clISt17integral_constantIbLb1EES1D_IbLb0EEEEDaS19_S1A_EUlS19_E_NS1_11comp_targetILNS1_3genE0ELNS1_11target_archE4294967295ELNS1_3gpuE0ELNS1_3repE0EEENS1_30default_config_static_selectorELNS0_4arch9wavefront6targetE0EEEvT1_
		.amdhsa_group_segment_fixed_size 0
		.amdhsa_private_segment_fixed_size 0
		.amdhsa_kernarg_size 120
		.amdhsa_user_sgpr_count 2
		.amdhsa_user_sgpr_dispatch_ptr 0
		.amdhsa_user_sgpr_queue_ptr 0
		.amdhsa_user_sgpr_kernarg_segment_ptr 1
		.amdhsa_user_sgpr_dispatch_id 0
		.amdhsa_user_sgpr_kernarg_preload_length 0
		.amdhsa_user_sgpr_kernarg_preload_offset 0
		.amdhsa_user_sgpr_private_segment_size 0
		.amdhsa_wavefront_size32 1
		.amdhsa_uses_dynamic_stack 0
		.amdhsa_enable_private_segment 0
		.amdhsa_system_sgpr_workgroup_id_x 1
		.amdhsa_system_sgpr_workgroup_id_y 0
		.amdhsa_system_sgpr_workgroup_id_z 0
		.amdhsa_system_sgpr_workgroup_info 0
		.amdhsa_system_vgpr_workitem_id 0
		.amdhsa_next_free_vgpr 1
		.amdhsa_next_free_sgpr 1
		.amdhsa_named_barrier_count 0
		.amdhsa_reserve_vcc 0
		.amdhsa_float_round_mode_32 0
		.amdhsa_float_round_mode_16_64 0
		.amdhsa_float_denorm_mode_32 3
		.amdhsa_float_denorm_mode_16_64 3
		.amdhsa_fp16_overflow 0
		.amdhsa_memory_ordered 1
		.amdhsa_forward_progress 1
		.amdhsa_inst_pref_size 1
		.amdhsa_round_robin_scheduling 0
		.amdhsa_exception_fp_ieee_invalid_op 0
		.amdhsa_exception_fp_denorm_src 0
		.amdhsa_exception_fp_ieee_div_zero 0
		.amdhsa_exception_fp_ieee_overflow 0
		.amdhsa_exception_fp_ieee_underflow 0
		.amdhsa_exception_fp_ieee_inexact 0
		.amdhsa_exception_int_div_zero 0
	.end_amdhsa_kernel
	.section	.text._ZN7rocprim17ROCPRIM_400000_NS6detail17trampoline_kernelINS0_14default_configENS1_25partition_config_selectorILNS1_17partition_subalgoE8ElNS0_10empty_typeEbEEZZNS1_14partition_implILS5_8ELb0ES3_jPlPS6_PKS6_NS0_5tupleIJS9_S6_EEENSD_IJSA_SA_EEENS0_18inequality_wrapperIZN2at6native12_GLOBAL__N_124unique_dim_cuda_templateIN3c108BFloat16EEESt5tupleIJNSH_6TensorESO_SO_EERKSO_lbbbEUlllE0_EEPmJS6_EEE10hipError_tPvRmT3_T4_T5_T6_T7_T9_mT8_P12ihipStream_tbDpT10_ENKUlT_T0_E_clISt17integral_constantIbLb1EES1D_IbLb0EEEEDaS19_S1A_EUlS19_E_NS1_11comp_targetILNS1_3genE0ELNS1_11target_archE4294967295ELNS1_3gpuE0ELNS1_3repE0EEENS1_30default_config_static_selectorELNS0_4arch9wavefront6targetE0EEEvT1_,"axG",@progbits,_ZN7rocprim17ROCPRIM_400000_NS6detail17trampoline_kernelINS0_14default_configENS1_25partition_config_selectorILNS1_17partition_subalgoE8ElNS0_10empty_typeEbEEZZNS1_14partition_implILS5_8ELb0ES3_jPlPS6_PKS6_NS0_5tupleIJS9_S6_EEENSD_IJSA_SA_EEENS0_18inequality_wrapperIZN2at6native12_GLOBAL__N_124unique_dim_cuda_templateIN3c108BFloat16EEESt5tupleIJNSH_6TensorESO_SO_EERKSO_lbbbEUlllE0_EEPmJS6_EEE10hipError_tPvRmT3_T4_T5_T6_T7_T9_mT8_P12ihipStream_tbDpT10_ENKUlT_T0_E_clISt17integral_constantIbLb1EES1D_IbLb0EEEEDaS19_S1A_EUlS19_E_NS1_11comp_targetILNS1_3genE0ELNS1_11target_archE4294967295ELNS1_3gpuE0ELNS1_3repE0EEENS1_30default_config_static_selectorELNS0_4arch9wavefront6targetE0EEEvT1_,comdat
.Lfunc_end1190:
	.size	_ZN7rocprim17ROCPRIM_400000_NS6detail17trampoline_kernelINS0_14default_configENS1_25partition_config_selectorILNS1_17partition_subalgoE8ElNS0_10empty_typeEbEEZZNS1_14partition_implILS5_8ELb0ES3_jPlPS6_PKS6_NS0_5tupleIJS9_S6_EEENSD_IJSA_SA_EEENS0_18inequality_wrapperIZN2at6native12_GLOBAL__N_124unique_dim_cuda_templateIN3c108BFloat16EEESt5tupleIJNSH_6TensorESO_SO_EERKSO_lbbbEUlllE0_EEPmJS6_EEE10hipError_tPvRmT3_T4_T5_T6_T7_T9_mT8_P12ihipStream_tbDpT10_ENKUlT_T0_E_clISt17integral_constantIbLb1EES1D_IbLb0EEEEDaS19_S1A_EUlS19_E_NS1_11comp_targetILNS1_3genE0ELNS1_11target_archE4294967295ELNS1_3gpuE0ELNS1_3repE0EEENS1_30default_config_static_selectorELNS0_4arch9wavefront6targetE0EEEvT1_, .Lfunc_end1190-_ZN7rocprim17ROCPRIM_400000_NS6detail17trampoline_kernelINS0_14default_configENS1_25partition_config_selectorILNS1_17partition_subalgoE8ElNS0_10empty_typeEbEEZZNS1_14partition_implILS5_8ELb0ES3_jPlPS6_PKS6_NS0_5tupleIJS9_S6_EEENSD_IJSA_SA_EEENS0_18inequality_wrapperIZN2at6native12_GLOBAL__N_124unique_dim_cuda_templateIN3c108BFloat16EEESt5tupleIJNSH_6TensorESO_SO_EERKSO_lbbbEUlllE0_EEPmJS6_EEE10hipError_tPvRmT3_T4_T5_T6_T7_T9_mT8_P12ihipStream_tbDpT10_ENKUlT_T0_E_clISt17integral_constantIbLb1EES1D_IbLb0EEEEDaS19_S1A_EUlS19_E_NS1_11comp_targetILNS1_3genE0ELNS1_11target_archE4294967295ELNS1_3gpuE0ELNS1_3repE0EEENS1_30default_config_static_selectorELNS0_4arch9wavefront6targetE0EEEvT1_
                                        ; -- End function
	.set _ZN7rocprim17ROCPRIM_400000_NS6detail17trampoline_kernelINS0_14default_configENS1_25partition_config_selectorILNS1_17partition_subalgoE8ElNS0_10empty_typeEbEEZZNS1_14partition_implILS5_8ELb0ES3_jPlPS6_PKS6_NS0_5tupleIJS9_S6_EEENSD_IJSA_SA_EEENS0_18inequality_wrapperIZN2at6native12_GLOBAL__N_124unique_dim_cuda_templateIN3c108BFloat16EEESt5tupleIJNSH_6TensorESO_SO_EERKSO_lbbbEUlllE0_EEPmJS6_EEE10hipError_tPvRmT3_T4_T5_T6_T7_T9_mT8_P12ihipStream_tbDpT10_ENKUlT_T0_E_clISt17integral_constantIbLb1EES1D_IbLb0EEEEDaS19_S1A_EUlS19_E_NS1_11comp_targetILNS1_3genE0ELNS1_11target_archE4294967295ELNS1_3gpuE0ELNS1_3repE0EEENS1_30default_config_static_selectorELNS0_4arch9wavefront6targetE0EEEvT1_.num_vgpr, 0
	.set _ZN7rocprim17ROCPRIM_400000_NS6detail17trampoline_kernelINS0_14default_configENS1_25partition_config_selectorILNS1_17partition_subalgoE8ElNS0_10empty_typeEbEEZZNS1_14partition_implILS5_8ELb0ES3_jPlPS6_PKS6_NS0_5tupleIJS9_S6_EEENSD_IJSA_SA_EEENS0_18inequality_wrapperIZN2at6native12_GLOBAL__N_124unique_dim_cuda_templateIN3c108BFloat16EEESt5tupleIJNSH_6TensorESO_SO_EERKSO_lbbbEUlllE0_EEPmJS6_EEE10hipError_tPvRmT3_T4_T5_T6_T7_T9_mT8_P12ihipStream_tbDpT10_ENKUlT_T0_E_clISt17integral_constantIbLb1EES1D_IbLb0EEEEDaS19_S1A_EUlS19_E_NS1_11comp_targetILNS1_3genE0ELNS1_11target_archE4294967295ELNS1_3gpuE0ELNS1_3repE0EEENS1_30default_config_static_selectorELNS0_4arch9wavefront6targetE0EEEvT1_.num_agpr, 0
	.set _ZN7rocprim17ROCPRIM_400000_NS6detail17trampoline_kernelINS0_14default_configENS1_25partition_config_selectorILNS1_17partition_subalgoE8ElNS0_10empty_typeEbEEZZNS1_14partition_implILS5_8ELb0ES3_jPlPS6_PKS6_NS0_5tupleIJS9_S6_EEENSD_IJSA_SA_EEENS0_18inequality_wrapperIZN2at6native12_GLOBAL__N_124unique_dim_cuda_templateIN3c108BFloat16EEESt5tupleIJNSH_6TensorESO_SO_EERKSO_lbbbEUlllE0_EEPmJS6_EEE10hipError_tPvRmT3_T4_T5_T6_T7_T9_mT8_P12ihipStream_tbDpT10_ENKUlT_T0_E_clISt17integral_constantIbLb1EES1D_IbLb0EEEEDaS19_S1A_EUlS19_E_NS1_11comp_targetILNS1_3genE0ELNS1_11target_archE4294967295ELNS1_3gpuE0ELNS1_3repE0EEENS1_30default_config_static_selectorELNS0_4arch9wavefront6targetE0EEEvT1_.numbered_sgpr, 0
	.set _ZN7rocprim17ROCPRIM_400000_NS6detail17trampoline_kernelINS0_14default_configENS1_25partition_config_selectorILNS1_17partition_subalgoE8ElNS0_10empty_typeEbEEZZNS1_14partition_implILS5_8ELb0ES3_jPlPS6_PKS6_NS0_5tupleIJS9_S6_EEENSD_IJSA_SA_EEENS0_18inequality_wrapperIZN2at6native12_GLOBAL__N_124unique_dim_cuda_templateIN3c108BFloat16EEESt5tupleIJNSH_6TensorESO_SO_EERKSO_lbbbEUlllE0_EEPmJS6_EEE10hipError_tPvRmT3_T4_T5_T6_T7_T9_mT8_P12ihipStream_tbDpT10_ENKUlT_T0_E_clISt17integral_constantIbLb1EES1D_IbLb0EEEEDaS19_S1A_EUlS19_E_NS1_11comp_targetILNS1_3genE0ELNS1_11target_archE4294967295ELNS1_3gpuE0ELNS1_3repE0EEENS1_30default_config_static_selectorELNS0_4arch9wavefront6targetE0EEEvT1_.num_named_barrier, 0
	.set _ZN7rocprim17ROCPRIM_400000_NS6detail17trampoline_kernelINS0_14default_configENS1_25partition_config_selectorILNS1_17partition_subalgoE8ElNS0_10empty_typeEbEEZZNS1_14partition_implILS5_8ELb0ES3_jPlPS6_PKS6_NS0_5tupleIJS9_S6_EEENSD_IJSA_SA_EEENS0_18inequality_wrapperIZN2at6native12_GLOBAL__N_124unique_dim_cuda_templateIN3c108BFloat16EEESt5tupleIJNSH_6TensorESO_SO_EERKSO_lbbbEUlllE0_EEPmJS6_EEE10hipError_tPvRmT3_T4_T5_T6_T7_T9_mT8_P12ihipStream_tbDpT10_ENKUlT_T0_E_clISt17integral_constantIbLb1EES1D_IbLb0EEEEDaS19_S1A_EUlS19_E_NS1_11comp_targetILNS1_3genE0ELNS1_11target_archE4294967295ELNS1_3gpuE0ELNS1_3repE0EEENS1_30default_config_static_selectorELNS0_4arch9wavefront6targetE0EEEvT1_.private_seg_size, 0
	.set _ZN7rocprim17ROCPRIM_400000_NS6detail17trampoline_kernelINS0_14default_configENS1_25partition_config_selectorILNS1_17partition_subalgoE8ElNS0_10empty_typeEbEEZZNS1_14partition_implILS5_8ELb0ES3_jPlPS6_PKS6_NS0_5tupleIJS9_S6_EEENSD_IJSA_SA_EEENS0_18inequality_wrapperIZN2at6native12_GLOBAL__N_124unique_dim_cuda_templateIN3c108BFloat16EEESt5tupleIJNSH_6TensorESO_SO_EERKSO_lbbbEUlllE0_EEPmJS6_EEE10hipError_tPvRmT3_T4_T5_T6_T7_T9_mT8_P12ihipStream_tbDpT10_ENKUlT_T0_E_clISt17integral_constantIbLb1EES1D_IbLb0EEEEDaS19_S1A_EUlS19_E_NS1_11comp_targetILNS1_3genE0ELNS1_11target_archE4294967295ELNS1_3gpuE0ELNS1_3repE0EEENS1_30default_config_static_selectorELNS0_4arch9wavefront6targetE0EEEvT1_.uses_vcc, 0
	.set _ZN7rocprim17ROCPRIM_400000_NS6detail17trampoline_kernelINS0_14default_configENS1_25partition_config_selectorILNS1_17partition_subalgoE8ElNS0_10empty_typeEbEEZZNS1_14partition_implILS5_8ELb0ES3_jPlPS6_PKS6_NS0_5tupleIJS9_S6_EEENSD_IJSA_SA_EEENS0_18inequality_wrapperIZN2at6native12_GLOBAL__N_124unique_dim_cuda_templateIN3c108BFloat16EEESt5tupleIJNSH_6TensorESO_SO_EERKSO_lbbbEUlllE0_EEPmJS6_EEE10hipError_tPvRmT3_T4_T5_T6_T7_T9_mT8_P12ihipStream_tbDpT10_ENKUlT_T0_E_clISt17integral_constantIbLb1EES1D_IbLb0EEEEDaS19_S1A_EUlS19_E_NS1_11comp_targetILNS1_3genE0ELNS1_11target_archE4294967295ELNS1_3gpuE0ELNS1_3repE0EEENS1_30default_config_static_selectorELNS0_4arch9wavefront6targetE0EEEvT1_.uses_flat_scratch, 0
	.set _ZN7rocprim17ROCPRIM_400000_NS6detail17trampoline_kernelINS0_14default_configENS1_25partition_config_selectorILNS1_17partition_subalgoE8ElNS0_10empty_typeEbEEZZNS1_14partition_implILS5_8ELb0ES3_jPlPS6_PKS6_NS0_5tupleIJS9_S6_EEENSD_IJSA_SA_EEENS0_18inequality_wrapperIZN2at6native12_GLOBAL__N_124unique_dim_cuda_templateIN3c108BFloat16EEESt5tupleIJNSH_6TensorESO_SO_EERKSO_lbbbEUlllE0_EEPmJS6_EEE10hipError_tPvRmT3_T4_T5_T6_T7_T9_mT8_P12ihipStream_tbDpT10_ENKUlT_T0_E_clISt17integral_constantIbLb1EES1D_IbLb0EEEEDaS19_S1A_EUlS19_E_NS1_11comp_targetILNS1_3genE0ELNS1_11target_archE4294967295ELNS1_3gpuE0ELNS1_3repE0EEENS1_30default_config_static_selectorELNS0_4arch9wavefront6targetE0EEEvT1_.has_dyn_sized_stack, 0
	.set _ZN7rocprim17ROCPRIM_400000_NS6detail17trampoline_kernelINS0_14default_configENS1_25partition_config_selectorILNS1_17partition_subalgoE8ElNS0_10empty_typeEbEEZZNS1_14partition_implILS5_8ELb0ES3_jPlPS6_PKS6_NS0_5tupleIJS9_S6_EEENSD_IJSA_SA_EEENS0_18inequality_wrapperIZN2at6native12_GLOBAL__N_124unique_dim_cuda_templateIN3c108BFloat16EEESt5tupleIJNSH_6TensorESO_SO_EERKSO_lbbbEUlllE0_EEPmJS6_EEE10hipError_tPvRmT3_T4_T5_T6_T7_T9_mT8_P12ihipStream_tbDpT10_ENKUlT_T0_E_clISt17integral_constantIbLb1EES1D_IbLb0EEEEDaS19_S1A_EUlS19_E_NS1_11comp_targetILNS1_3genE0ELNS1_11target_archE4294967295ELNS1_3gpuE0ELNS1_3repE0EEENS1_30default_config_static_selectorELNS0_4arch9wavefront6targetE0EEEvT1_.has_recursion, 0
	.set _ZN7rocprim17ROCPRIM_400000_NS6detail17trampoline_kernelINS0_14default_configENS1_25partition_config_selectorILNS1_17partition_subalgoE8ElNS0_10empty_typeEbEEZZNS1_14partition_implILS5_8ELb0ES3_jPlPS6_PKS6_NS0_5tupleIJS9_S6_EEENSD_IJSA_SA_EEENS0_18inequality_wrapperIZN2at6native12_GLOBAL__N_124unique_dim_cuda_templateIN3c108BFloat16EEESt5tupleIJNSH_6TensorESO_SO_EERKSO_lbbbEUlllE0_EEPmJS6_EEE10hipError_tPvRmT3_T4_T5_T6_T7_T9_mT8_P12ihipStream_tbDpT10_ENKUlT_T0_E_clISt17integral_constantIbLb1EES1D_IbLb0EEEEDaS19_S1A_EUlS19_E_NS1_11comp_targetILNS1_3genE0ELNS1_11target_archE4294967295ELNS1_3gpuE0ELNS1_3repE0EEENS1_30default_config_static_selectorELNS0_4arch9wavefront6targetE0EEEvT1_.has_indirect_call, 0
	.section	.AMDGPU.csdata,"",@progbits
; Kernel info:
; codeLenInByte = 4
; TotalNumSgprs: 0
; NumVgprs: 0
; ScratchSize: 0
; MemoryBound: 0
; FloatMode: 240
; IeeeMode: 1
; LDSByteSize: 0 bytes/workgroup (compile time only)
; SGPRBlocks: 0
; VGPRBlocks: 0
; NumSGPRsForWavesPerEU: 1
; NumVGPRsForWavesPerEU: 1
; NamedBarCnt: 0
; Occupancy: 16
; WaveLimiterHint : 0
; COMPUTE_PGM_RSRC2:SCRATCH_EN: 0
; COMPUTE_PGM_RSRC2:USER_SGPR: 2
; COMPUTE_PGM_RSRC2:TRAP_HANDLER: 0
; COMPUTE_PGM_RSRC2:TGID_X_EN: 1
; COMPUTE_PGM_RSRC2:TGID_Y_EN: 0
; COMPUTE_PGM_RSRC2:TGID_Z_EN: 0
; COMPUTE_PGM_RSRC2:TIDIG_COMP_CNT: 0
	.section	.text._ZN7rocprim17ROCPRIM_400000_NS6detail17trampoline_kernelINS0_14default_configENS1_25partition_config_selectorILNS1_17partition_subalgoE8ElNS0_10empty_typeEbEEZZNS1_14partition_implILS5_8ELb0ES3_jPlPS6_PKS6_NS0_5tupleIJS9_S6_EEENSD_IJSA_SA_EEENS0_18inequality_wrapperIZN2at6native12_GLOBAL__N_124unique_dim_cuda_templateIN3c108BFloat16EEESt5tupleIJNSH_6TensorESO_SO_EERKSO_lbbbEUlllE0_EEPmJS6_EEE10hipError_tPvRmT3_T4_T5_T6_T7_T9_mT8_P12ihipStream_tbDpT10_ENKUlT_T0_E_clISt17integral_constantIbLb1EES1D_IbLb0EEEEDaS19_S1A_EUlS19_E_NS1_11comp_targetILNS1_3genE5ELNS1_11target_archE942ELNS1_3gpuE9ELNS1_3repE0EEENS1_30default_config_static_selectorELNS0_4arch9wavefront6targetE0EEEvT1_,"axG",@progbits,_ZN7rocprim17ROCPRIM_400000_NS6detail17trampoline_kernelINS0_14default_configENS1_25partition_config_selectorILNS1_17partition_subalgoE8ElNS0_10empty_typeEbEEZZNS1_14partition_implILS5_8ELb0ES3_jPlPS6_PKS6_NS0_5tupleIJS9_S6_EEENSD_IJSA_SA_EEENS0_18inequality_wrapperIZN2at6native12_GLOBAL__N_124unique_dim_cuda_templateIN3c108BFloat16EEESt5tupleIJNSH_6TensorESO_SO_EERKSO_lbbbEUlllE0_EEPmJS6_EEE10hipError_tPvRmT3_T4_T5_T6_T7_T9_mT8_P12ihipStream_tbDpT10_ENKUlT_T0_E_clISt17integral_constantIbLb1EES1D_IbLb0EEEEDaS19_S1A_EUlS19_E_NS1_11comp_targetILNS1_3genE5ELNS1_11target_archE942ELNS1_3gpuE9ELNS1_3repE0EEENS1_30default_config_static_selectorELNS0_4arch9wavefront6targetE0EEEvT1_,comdat
	.globl	_ZN7rocprim17ROCPRIM_400000_NS6detail17trampoline_kernelINS0_14default_configENS1_25partition_config_selectorILNS1_17partition_subalgoE8ElNS0_10empty_typeEbEEZZNS1_14partition_implILS5_8ELb0ES3_jPlPS6_PKS6_NS0_5tupleIJS9_S6_EEENSD_IJSA_SA_EEENS0_18inequality_wrapperIZN2at6native12_GLOBAL__N_124unique_dim_cuda_templateIN3c108BFloat16EEESt5tupleIJNSH_6TensorESO_SO_EERKSO_lbbbEUlllE0_EEPmJS6_EEE10hipError_tPvRmT3_T4_T5_T6_T7_T9_mT8_P12ihipStream_tbDpT10_ENKUlT_T0_E_clISt17integral_constantIbLb1EES1D_IbLb0EEEEDaS19_S1A_EUlS19_E_NS1_11comp_targetILNS1_3genE5ELNS1_11target_archE942ELNS1_3gpuE9ELNS1_3repE0EEENS1_30default_config_static_selectorELNS0_4arch9wavefront6targetE0EEEvT1_ ; -- Begin function _ZN7rocprim17ROCPRIM_400000_NS6detail17trampoline_kernelINS0_14default_configENS1_25partition_config_selectorILNS1_17partition_subalgoE8ElNS0_10empty_typeEbEEZZNS1_14partition_implILS5_8ELb0ES3_jPlPS6_PKS6_NS0_5tupleIJS9_S6_EEENSD_IJSA_SA_EEENS0_18inequality_wrapperIZN2at6native12_GLOBAL__N_124unique_dim_cuda_templateIN3c108BFloat16EEESt5tupleIJNSH_6TensorESO_SO_EERKSO_lbbbEUlllE0_EEPmJS6_EEE10hipError_tPvRmT3_T4_T5_T6_T7_T9_mT8_P12ihipStream_tbDpT10_ENKUlT_T0_E_clISt17integral_constantIbLb1EES1D_IbLb0EEEEDaS19_S1A_EUlS19_E_NS1_11comp_targetILNS1_3genE5ELNS1_11target_archE942ELNS1_3gpuE9ELNS1_3repE0EEENS1_30default_config_static_selectorELNS0_4arch9wavefront6targetE0EEEvT1_
	.p2align	8
	.type	_ZN7rocprim17ROCPRIM_400000_NS6detail17trampoline_kernelINS0_14default_configENS1_25partition_config_selectorILNS1_17partition_subalgoE8ElNS0_10empty_typeEbEEZZNS1_14partition_implILS5_8ELb0ES3_jPlPS6_PKS6_NS0_5tupleIJS9_S6_EEENSD_IJSA_SA_EEENS0_18inequality_wrapperIZN2at6native12_GLOBAL__N_124unique_dim_cuda_templateIN3c108BFloat16EEESt5tupleIJNSH_6TensorESO_SO_EERKSO_lbbbEUlllE0_EEPmJS6_EEE10hipError_tPvRmT3_T4_T5_T6_T7_T9_mT8_P12ihipStream_tbDpT10_ENKUlT_T0_E_clISt17integral_constantIbLb1EES1D_IbLb0EEEEDaS19_S1A_EUlS19_E_NS1_11comp_targetILNS1_3genE5ELNS1_11target_archE942ELNS1_3gpuE9ELNS1_3repE0EEENS1_30default_config_static_selectorELNS0_4arch9wavefront6targetE0EEEvT1_,@function
_ZN7rocprim17ROCPRIM_400000_NS6detail17trampoline_kernelINS0_14default_configENS1_25partition_config_selectorILNS1_17partition_subalgoE8ElNS0_10empty_typeEbEEZZNS1_14partition_implILS5_8ELb0ES3_jPlPS6_PKS6_NS0_5tupleIJS9_S6_EEENSD_IJSA_SA_EEENS0_18inequality_wrapperIZN2at6native12_GLOBAL__N_124unique_dim_cuda_templateIN3c108BFloat16EEESt5tupleIJNSH_6TensorESO_SO_EERKSO_lbbbEUlllE0_EEPmJS6_EEE10hipError_tPvRmT3_T4_T5_T6_T7_T9_mT8_P12ihipStream_tbDpT10_ENKUlT_T0_E_clISt17integral_constantIbLb1EES1D_IbLb0EEEEDaS19_S1A_EUlS19_E_NS1_11comp_targetILNS1_3genE5ELNS1_11target_archE942ELNS1_3gpuE9ELNS1_3repE0EEENS1_30default_config_static_selectorELNS0_4arch9wavefront6targetE0EEEvT1_: ; @_ZN7rocprim17ROCPRIM_400000_NS6detail17trampoline_kernelINS0_14default_configENS1_25partition_config_selectorILNS1_17partition_subalgoE8ElNS0_10empty_typeEbEEZZNS1_14partition_implILS5_8ELb0ES3_jPlPS6_PKS6_NS0_5tupleIJS9_S6_EEENSD_IJSA_SA_EEENS0_18inequality_wrapperIZN2at6native12_GLOBAL__N_124unique_dim_cuda_templateIN3c108BFloat16EEESt5tupleIJNSH_6TensorESO_SO_EERKSO_lbbbEUlllE0_EEPmJS6_EEE10hipError_tPvRmT3_T4_T5_T6_T7_T9_mT8_P12ihipStream_tbDpT10_ENKUlT_T0_E_clISt17integral_constantIbLb1EES1D_IbLb0EEEEDaS19_S1A_EUlS19_E_NS1_11comp_targetILNS1_3genE5ELNS1_11target_archE942ELNS1_3gpuE9ELNS1_3repE0EEENS1_30default_config_static_selectorELNS0_4arch9wavefront6targetE0EEEvT1_
; %bb.0:
	.section	.rodata,"a",@progbits
	.p2align	6, 0x0
	.amdhsa_kernel _ZN7rocprim17ROCPRIM_400000_NS6detail17trampoline_kernelINS0_14default_configENS1_25partition_config_selectorILNS1_17partition_subalgoE8ElNS0_10empty_typeEbEEZZNS1_14partition_implILS5_8ELb0ES3_jPlPS6_PKS6_NS0_5tupleIJS9_S6_EEENSD_IJSA_SA_EEENS0_18inequality_wrapperIZN2at6native12_GLOBAL__N_124unique_dim_cuda_templateIN3c108BFloat16EEESt5tupleIJNSH_6TensorESO_SO_EERKSO_lbbbEUlllE0_EEPmJS6_EEE10hipError_tPvRmT3_T4_T5_T6_T7_T9_mT8_P12ihipStream_tbDpT10_ENKUlT_T0_E_clISt17integral_constantIbLb1EES1D_IbLb0EEEEDaS19_S1A_EUlS19_E_NS1_11comp_targetILNS1_3genE5ELNS1_11target_archE942ELNS1_3gpuE9ELNS1_3repE0EEENS1_30default_config_static_selectorELNS0_4arch9wavefront6targetE0EEEvT1_
		.amdhsa_group_segment_fixed_size 0
		.amdhsa_private_segment_fixed_size 0
		.amdhsa_kernarg_size 120
		.amdhsa_user_sgpr_count 2
		.amdhsa_user_sgpr_dispatch_ptr 0
		.amdhsa_user_sgpr_queue_ptr 0
		.amdhsa_user_sgpr_kernarg_segment_ptr 1
		.amdhsa_user_sgpr_dispatch_id 0
		.amdhsa_user_sgpr_kernarg_preload_length 0
		.amdhsa_user_sgpr_kernarg_preload_offset 0
		.amdhsa_user_sgpr_private_segment_size 0
		.amdhsa_wavefront_size32 1
		.amdhsa_uses_dynamic_stack 0
		.amdhsa_enable_private_segment 0
		.amdhsa_system_sgpr_workgroup_id_x 1
		.amdhsa_system_sgpr_workgroup_id_y 0
		.amdhsa_system_sgpr_workgroup_id_z 0
		.amdhsa_system_sgpr_workgroup_info 0
		.amdhsa_system_vgpr_workitem_id 0
		.amdhsa_next_free_vgpr 1
		.amdhsa_next_free_sgpr 1
		.amdhsa_named_barrier_count 0
		.amdhsa_reserve_vcc 0
		.amdhsa_float_round_mode_32 0
		.amdhsa_float_round_mode_16_64 0
		.amdhsa_float_denorm_mode_32 3
		.amdhsa_float_denorm_mode_16_64 3
		.amdhsa_fp16_overflow 0
		.amdhsa_memory_ordered 1
		.amdhsa_forward_progress 1
		.amdhsa_inst_pref_size 0
		.amdhsa_round_robin_scheduling 0
		.amdhsa_exception_fp_ieee_invalid_op 0
		.amdhsa_exception_fp_denorm_src 0
		.amdhsa_exception_fp_ieee_div_zero 0
		.amdhsa_exception_fp_ieee_overflow 0
		.amdhsa_exception_fp_ieee_underflow 0
		.amdhsa_exception_fp_ieee_inexact 0
		.amdhsa_exception_int_div_zero 0
	.end_amdhsa_kernel
	.section	.text._ZN7rocprim17ROCPRIM_400000_NS6detail17trampoline_kernelINS0_14default_configENS1_25partition_config_selectorILNS1_17partition_subalgoE8ElNS0_10empty_typeEbEEZZNS1_14partition_implILS5_8ELb0ES3_jPlPS6_PKS6_NS0_5tupleIJS9_S6_EEENSD_IJSA_SA_EEENS0_18inequality_wrapperIZN2at6native12_GLOBAL__N_124unique_dim_cuda_templateIN3c108BFloat16EEESt5tupleIJNSH_6TensorESO_SO_EERKSO_lbbbEUlllE0_EEPmJS6_EEE10hipError_tPvRmT3_T4_T5_T6_T7_T9_mT8_P12ihipStream_tbDpT10_ENKUlT_T0_E_clISt17integral_constantIbLb1EES1D_IbLb0EEEEDaS19_S1A_EUlS19_E_NS1_11comp_targetILNS1_3genE5ELNS1_11target_archE942ELNS1_3gpuE9ELNS1_3repE0EEENS1_30default_config_static_selectorELNS0_4arch9wavefront6targetE0EEEvT1_,"axG",@progbits,_ZN7rocprim17ROCPRIM_400000_NS6detail17trampoline_kernelINS0_14default_configENS1_25partition_config_selectorILNS1_17partition_subalgoE8ElNS0_10empty_typeEbEEZZNS1_14partition_implILS5_8ELb0ES3_jPlPS6_PKS6_NS0_5tupleIJS9_S6_EEENSD_IJSA_SA_EEENS0_18inequality_wrapperIZN2at6native12_GLOBAL__N_124unique_dim_cuda_templateIN3c108BFloat16EEESt5tupleIJNSH_6TensorESO_SO_EERKSO_lbbbEUlllE0_EEPmJS6_EEE10hipError_tPvRmT3_T4_T5_T6_T7_T9_mT8_P12ihipStream_tbDpT10_ENKUlT_T0_E_clISt17integral_constantIbLb1EES1D_IbLb0EEEEDaS19_S1A_EUlS19_E_NS1_11comp_targetILNS1_3genE5ELNS1_11target_archE942ELNS1_3gpuE9ELNS1_3repE0EEENS1_30default_config_static_selectorELNS0_4arch9wavefront6targetE0EEEvT1_,comdat
.Lfunc_end1191:
	.size	_ZN7rocprim17ROCPRIM_400000_NS6detail17trampoline_kernelINS0_14default_configENS1_25partition_config_selectorILNS1_17partition_subalgoE8ElNS0_10empty_typeEbEEZZNS1_14partition_implILS5_8ELb0ES3_jPlPS6_PKS6_NS0_5tupleIJS9_S6_EEENSD_IJSA_SA_EEENS0_18inequality_wrapperIZN2at6native12_GLOBAL__N_124unique_dim_cuda_templateIN3c108BFloat16EEESt5tupleIJNSH_6TensorESO_SO_EERKSO_lbbbEUlllE0_EEPmJS6_EEE10hipError_tPvRmT3_T4_T5_T6_T7_T9_mT8_P12ihipStream_tbDpT10_ENKUlT_T0_E_clISt17integral_constantIbLb1EES1D_IbLb0EEEEDaS19_S1A_EUlS19_E_NS1_11comp_targetILNS1_3genE5ELNS1_11target_archE942ELNS1_3gpuE9ELNS1_3repE0EEENS1_30default_config_static_selectorELNS0_4arch9wavefront6targetE0EEEvT1_, .Lfunc_end1191-_ZN7rocprim17ROCPRIM_400000_NS6detail17trampoline_kernelINS0_14default_configENS1_25partition_config_selectorILNS1_17partition_subalgoE8ElNS0_10empty_typeEbEEZZNS1_14partition_implILS5_8ELb0ES3_jPlPS6_PKS6_NS0_5tupleIJS9_S6_EEENSD_IJSA_SA_EEENS0_18inequality_wrapperIZN2at6native12_GLOBAL__N_124unique_dim_cuda_templateIN3c108BFloat16EEESt5tupleIJNSH_6TensorESO_SO_EERKSO_lbbbEUlllE0_EEPmJS6_EEE10hipError_tPvRmT3_T4_T5_T6_T7_T9_mT8_P12ihipStream_tbDpT10_ENKUlT_T0_E_clISt17integral_constantIbLb1EES1D_IbLb0EEEEDaS19_S1A_EUlS19_E_NS1_11comp_targetILNS1_3genE5ELNS1_11target_archE942ELNS1_3gpuE9ELNS1_3repE0EEENS1_30default_config_static_selectorELNS0_4arch9wavefront6targetE0EEEvT1_
                                        ; -- End function
	.set _ZN7rocprim17ROCPRIM_400000_NS6detail17trampoline_kernelINS0_14default_configENS1_25partition_config_selectorILNS1_17partition_subalgoE8ElNS0_10empty_typeEbEEZZNS1_14partition_implILS5_8ELb0ES3_jPlPS6_PKS6_NS0_5tupleIJS9_S6_EEENSD_IJSA_SA_EEENS0_18inequality_wrapperIZN2at6native12_GLOBAL__N_124unique_dim_cuda_templateIN3c108BFloat16EEESt5tupleIJNSH_6TensorESO_SO_EERKSO_lbbbEUlllE0_EEPmJS6_EEE10hipError_tPvRmT3_T4_T5_T6_T7_T9_mT8_P12ihipStream_tbDpT10_ENKUlT_T0_E_clISt17integral_constantIbLb1EES1D_IbLb0EEEEDaS19_S1A_EUlS19_E_NS1_11comp_targetILNS1_3genE5ELNS1_11target_archE942ELNS1_3gpuE9ELNS1_3repE0EEENS1_30default_config_static_selectorELNS0_4arch9wavefront6targetE0EEEvT1_.num_vgpr, 0
	.set _ZN7rocprim17ROCPRIM_400000_NS6detail17trampoline_kernelINS0_14default_configENS1_25partition_config_selectorILNS1_17partition_subalgoE8ElNS0_10empty_typeEbEEZZNS1_14partition_implILS5_8ELb0ES3_jPlPS6_PKS6_NS0_5tupleIJS9_S6_EEENSD_IJSA_SA_EEENS0_18inequality_wrapperIZN2at6native12_GLOBAL__N_124unique_dim_cuda_templateIN3c108BFloat16EEESt5tupleIJNSH_6TensorESO_SO_EERKSO_lbbbEUlllE0_EEPmJS6_EEE10hipError_tPvRmT3_T4_T5_T6_T7_T9_mT8_P12ihipStream_tbDpT10_ENKUlT_T0_E_clISt17integral_constantIbLb1EES1D_IbLb0EEEEDaS19_S1A_EUlS19_E_NS1_11comp_targetILNS1_3genE5ELNS1_11target_archE942ELNS1_3gpuE9ELNS1_3repE0EEENS1_30default_config_static_selectorELNS0_4arch9wavefront6targetE0EEEvT1_.num_agpr, 0
	.set _ZN7rocprim17ROCPRIM_400000_NS6detail17trampoline_kernelINS0_14default_configENS1_25partition_config_selectorILNS1_17partition_subalgoE8ElNS0_10empty_typeEbEEZZNS1_14partition_implILS5_8ELb0ES3_jPlPS6_PKS6_NS0_5tupleIJS9_S6_EEENSD_IJSA_SA_EEENS0_18inequality_wrapperIZN2at6native12_GLOBAL__N_124unique_dim_cuda_templateIN3c108BFloat16EEESt5tupleIJNSH_6TensorESO_SO_EERKSO_lbbbEUlllE0_EEPmJS6_EEE10hipError_tPvRmT3_T4_T5_T6_T7_T9_mT8_P12ihipStream_tbDpT10_ENKUlT_T0_E_clISt17integral_constantIbLb1EES1D_IbLb0EEEEDaS19_S1A_EUlS19_E_NS1_11comp_targetILNS1_3genE5ELNS1_11target_archE942ELNS1_3gpuE9ELNS1_3repE0EEENS1_30default_config_static_selectorELNS0_4arch9wavefront6targetE0EEEvT1_.numbered_sgpr, 0
	.set _ZN7rocprim17ROCPRIM_400000_NS6detail17trampoline_kernelINS0_14default_configENS1_25partition_config_selectorILNS1_17partition_subalgoE8ElNS0_10empty_typeEbEEZZNS1_14partition_implILS5_8ELb0ES3_jPlPS6_PKS6_NS0_5tupleIJS9_S6_EEENSD_IJSA_SA_EEENS0_18inequality_wrapperIZN2at6native12_GLOBAL__N_124unique_dim_cuda_templateIN3c108BFloat16EEESt5tupleIJNSH_6TensorESO_SO_EERKSO_lbbbEUlllE0_EEPmJS6_EEE10hipError_tPvRmT3_T4_T5_T6_T7_T9_mT8_P12ihipStream_tbDpT10_ENKUlT_T0_E_clISt17integral_constantIbLb1EES1D_IbLb0EEEEDaS19_S1A_EUlS19_E_NS1_11comp_targetILNS1_3genE5ELNS1_11target_archE942ELNS1_3gpuE9ELNS1_3repE0EEENS1_30default_config_static_selectorELNS0_4arch9wavefront6targetE0EEEvT1_.num_named_barrier, 0
	.set _ZN7rocprim17ROCPRIM_400000_NS6detail17trampoline_kernelINS0_14default_configENS1_25partition_config_selectorILNS1_17partition_subalgoE8ElNS0_10empty_typeEbEEZZNS1_14partition_implILS5_8ELb0ES3_jPlPS6_PKS6_NS0_5tupleIJS9_S6_EEENSD_IJSA_SA_EEENS0_18inequality_wrapperIZN2at6native12_GLOBAL__N_124unique_dim_cuda_templateIN3c108BFloat16EEESt5tupleIJNSH_6TensorESO_SO_EERKSO_lbbbEUlllE0_EEPmJS6_EEE10hipError_tPvRmT3_T4_T5_T6_T7_T9_mT8_P12ihipStream_tbDpT10_ENKUlT_T0_E_clISt17integral_constantIbLb1EES1D_IbLb0EEEEDaS19_S1A_EUlS19_E_NS1_11comp_targetILNS1_3genE5ELNS1_11target_archE942ELNS1_3gpuE9ELNS1_3repE0EEENS1_30default_config_static_selectorELNS0_4arch9wavefront6targetE0EEEvT1_.private_seg_size, 0
	.set _ZN7rocprim17ROCPRIM_400000_NS6detail17trampoline_kernelINS0_14default_configENS1_25partition_config_selectorILNS1_17partition_subalgoE8ElNS0_10empty_typeEbEEZZNS1_14partition_implILS5_8ELb0ES3_jPlPS6_PKS6_NS0_5tupleIJS9_S6_EEENSD_IJSA_SA_EEENS0_18inequality_wrapperIZN2at6native12_GLOBAL__N_124unique_dim_cuda_templateIN3c108BFloat16EEESt5tupleIJNSH_6TensorESO_SO_EERKSO_lbbbEUlllE0_EEPmJS6_EEE10hipError_tPvRmT3_T4_T5_T6_T7_T9_mT8_P12ihipStream_tbDpT10_ENKUlT_T0_E_clISt17integral_constantIbLb1EES1D_IbLb0EEEEDaS19_S1A_EUlS19_E_NS1_11comp_targetILNS1_3genE5ELNS1_11target_archE942ELNS1_3gpuE9ELNS1_3repE0EEENS1_30default_config_static_selectorELNS0_4arch9wavefront6targetE0EEEvT1_.uses_vcc, 0
	.set _ZN7rocprim17ROCPRIM_400000_NS6detail17trampoline_kernelINS0_14default_configENS1_25partition_config_selectorILNS1_17partition_subalgoE8ElNS0_10empty_typeEbEEZZNS1_14partition_implILS5_8ELb0ES3_jPlPS6_PKS6_NS0_5tupleIJS9_S6_EEENSD_IJSA_SA_EEENS0_18inequality_wrapperIZN2at6native12_GLOBAL__N_124unique_dim_cuda_templateIN3c108BFloat16EEESt5tupleIJNSH_6TensorESO_SO_EERKSO_lbbbEUlllE0_EEPmJS6_EEE10hipError_tPvRmT3_T4_T5_T6_T7_T9_mT8_P12ihipStream_tbDpT10_ENKUlT_T0_E_clISt17integral_constantIbLb1EES1D_IbLb0EEEEDaS19_S1A_EUlS19_E_NS1_11comp_targetILNS1_3genE5ELNS1_11target_archE942ELNS1_3gpuE9ELNS1_3repE0EEENS1_30default_config_static_selectorELNS0_4arch9wavefront6targetE0EEEvT1_.uses_flat_scratch, 0
	.set _ZN7rocprim17ROCPRIM_400000_NS6detail17trampoline_kernelINS0_14default_configENS1_25partition_config_selectorILNS1_17partition_subalgoE8ElNS0_10empty_typeEbEEZZNS1_14partition_implILS5_8ELb0ES3_jPlPS6_PKS6_NS0_5tupleIJS9_S6_EEENSD_IJSA_SA_EEENS0_18inequality_wrapperIZN2at6native12_GLOBAL__N_124unique_dim_cuda_templateIN3c108BFloat16EEESt5tupleIJNSH_6TensorESO_SO_EERKSO_lbbbEUlllE0_EEPmJS6_EEE10hipError_tPvRmT3_T4_T5_T6_T7_T9_mT8_P12ihipStream_tbDpT10_ENKUlT_T0_E_clISt17integral_constantIbLb1EES1D_IbLb0EEEEDaS19_S1A_EUlS19_E_NS1_11comp_targetILNS1_3genE5ELNS1_11target_archE942ELNS1_3gpuE9ELNS1_3repE0EEENS1_30default_config_static_selectorELNS0_4arch9wavefront6targetE0EEEvT1_.has_dyn_sized_stack, 0
	.set _ZN7rocprim17ROCPRIM_400000_NS6detail17trampoline_kernelINS0_14default_configENS1_25partition_config_selectorILNS1_17partition_subalgoE8ElNS0_10empty_typeEbEEZZNS1_14partition_implILS5_8ELb0ES3_jPlPS6_PKS6_NS0_5tupleIJS9_S6_EEENSD_IJSA_SA_EEENS0_18inequality_wrapperIZN2at6native12_GLOBAL__N_124unique_dim_cuda_templateIN3c108BFloat16EEESt5tupleIJNSH_6TensorESO_SO_EERKSO_lbbbEUlllE0_EEPmJS6_EEE10hipError_tPvRmT3_T4_T5_T6_T7_T9_mT8_P12ihipStream_tbDpT10_ENKUlT_T0_E_clISt17integral_constantIbLb1EES1D_IbLb0EEEEDaS19_S1A_EUlS19_E_NS1_11comp_targetILNS1_3genE5ELNS1_11target_archE942ELNS1_3gpuE9ELNS1_3repE0EEENS1_30default_config_static_selectorELNS0_4arch9wavefront6targetE0EEEvT1_.has_recursion, 0
	.set _ZN7rocprim17ROCPRIM_400000_NS6detail17trampoline_kernelINS0_14default_configENS1_25partition_config_selectorILNS1_17partition_subalgoE8ElNS0_10empty_typeEbEEZZNS1_14partition_implILS5_8ELb0ES3_jPlPS6_PKS6_NS0_5tupleIJS9_S6_EEENSD_IJSA_SA_EEENS0_18inequality_wrapperIZN2at6native12_GLOBAL__N_124unique_dim_cuda_templateIN3c108BFloat16EEESt5tupleIJNSH_6TensorESO_SO_EERKSO_lbbbEUlllE0_EEPmJS6_EEE10hipError_tPvRmT3_T4_T5_T6_T7_T9_mT8_P12ihipStream_tbDpT10_ENKUlT_T0_E_clISt17integral_constantIbLb1EES1D_IbLb0EEEEDaS19_S1A_EUlS19_E_NS1_11comp_targetILNS1_3genE5ELNS1_11target_archE942ELNS1_3gpuE9ELNS1_3repE0EEENS1_30default_config_static_selectorELNS0_4arch9wavefront6targetE0EEEvT1_.has_indirect_call, 0
	.section	.AMDGPU.csdata,"",@progbits
; Kernel info:
; codeLenInByte = 0
; TotalNumSgprs: 0
; NumVgprs: 0
; ScratchSize: 0
; MemoryBound: 0
; FloatMode: 240
; IeeeMode: 1
; LDSByteSize: 0 bytes/workgroup (compile time only)
; SGPRBlocks: 0
; VGPRBlocks: 0
; NumSGPRsForWavesPerEU: 1
; NumVGPRsForWavesPerEU: 1
; NamedBarCnt: 0
; Occupancy: 16
; WaveLimiterHint : 0
; COMPUTE_PGM_RSRC2:SCRATCH_EN: 0
; COMPUTE_PGM_RSRC2:USER_SGPR: 2
; COMPUTE_PGM_RSRC2:TRAP_HANDLER: 0
; COMPUTE_PGM_RSRC2:TGID_X_EN: 1
; COMPUTE_PGM_RSRC2:TGID_Y_EN: 0
; COMPUTE_PGM_RSRC2:TGID_Z_EN: 0
; COMPUTE_PGM_RSRC2:TIDIG_COMP_CNT: 0
	.section	.text._ZN7rocprim17ROCPRIM_400000_NS6detail17trampoline_kernelINS0_14default_configENS1_25partition_config_selectorILNS1_17partition_subalgoE8ElNS0_10empty_typeEbEEZZNS1_14partition_implILS5_8ELb0ES3_jPlPS6_PKS6_NS0_5tupleIJS9_S6_EEENSD_IJSA_SA_EEENS0_18inequality_wrapperIZN2at6native12_GLOBAL__N_124unique_dim_cuda_templateIN3c108BFloat16EEESt5tupleIJNSH_6TensorESO_SO_EERKSO_lbbbEUlllE0_EEPmJS6_EEE10hipError_tPvRmT3_T4_T5_T6_T7_T9_mT8_P12ihipStream_tbDpT10_ENKUlT_T0_E_clISt17integral_constantIbLb1EES1D_IbLb0EEEEDaS19_S1A_EUlS19_E_NS1_11comp_targetILNS1_3genE4ELNS1_11target_archE910ELNS1_3gpuE8ELNS1_3repE0EEENS1_30default_config_static_selectorELNS0_4arch9wavefront6targetE0EEEvT1_,"axG",@progbits,_ZN7rocprim17ROCPRIM_400000_NS6detail17trampoline_kernelINS0_14default_configENS1_25partition_config_selectorILNS1_17partition_subalgoE8ElNS0_10empty_typeEbEEZZNS1_14partition_implILS5_8ELb0ES3_jPlPS6_PKS6_NS0_5tupleIJS9_S6_EEENSD_IJSA_SA_EEENS0_18inequality_wrapperIZN2at6native12_GLOBAL__N_124unique_dim_cuda_templateIN3c108BFloat16EEESt5tupleIJNSH_6TensorESO_SO_EERKSO_lbbbEUlllE0_EEPmJS6_EEE10hipError_tPvRmT3_T4_T5_T6_T7_T9_mT8_P12ihipStream_tbDpT10_ENKUlT_T0_E_clISt17integral_constantIbLb1EES1D_IbLb0EEEEDaS19_S1A_EUlS19_E_NS1_11comp_targetILNS1_3genE4ELNS1_11target_archE910ELNS1_3gpuE8ELNS1_3repE0EEENS1_30default_config_static_selectorELNS0_4arch9wavefront6targetE0EEEvT1_,comdat
	.globl	_ZN7rocprim17ROCPRIM_400000_NS6detail17trampoline_kernelINS0_14default_configENS1_25partition_config_selectorILNS1_17partition_subalgoE8ElNS0_10empty_typeEbEEZZNS1_14partition_implILS5_8ELb0ES3_jPlPS6_PKS6_NS0_5tupleIJS9_S6_EEENSD_IJSA_SA_EEENS0_18inequality_wrapperIZN2at6native12_GLOBAL__N_124unique_dim_cuda_templateIN3c108BFloat16EEESt5tupleIJNSH_6TensorESO_SO_EERKSO_lbbbEUlllE0_EEPmJS6_EEE10hipError_tPvRmT3_T4_T5_T6_T7_T9_mT8_P12ihipStream_tbDpT10_ENKUlT_T0_E_clISt17integral_constantIbLb1EES1D_IbLb0EEEEDaS19_S1A_EUlS19_E_NS1_11comp_targetILNS1_3genE4ELNS1_11target_archE910ELNS1_3gpuE8ELNS1_3repE0EEENS1_30default_config_static_selectorELNS0_4arch9wavefront6targetE0EEEvT1_ ; -- Begin function _ZN7rocprim17ROCPRIM_400000_NS6detail17trampoline_kernelINS0_14default_configENS1_25partition_config_selectorILNS1_17partition_subalgoE8ElNS0_10empty_typeEbEEZZNS1_14partition_implILS5_8ELb0ES3_jPlPS6_PKS6_NS0_5tupleIJS9_S6_EEENSD_IJSA_SA_EEENS0_18inequality_wrapperIZN2at6native12_GLOBAL__N_124unique_dim_cuda_templateIN3c108BFloat16EEESt5tupleIJNSH_6TensorESO_SO_EERKSO_lbbbEUlllE0_EEPmJS6_EEE10hipError_tPvRmT3_T4_T5_T6_T7_T9_mT8_P12ihipStream_tbDpT10_ENKUlT_T0_E_clISt17integral_constantIbLb1EES1D_IbLb0EEEEDaS19_S1A_EUlS19_E_NS1_11comp_targetILNS1_3genE4ELNS1_11target_archE910ELNS1_3gpuE8ELNS1_3repE0EEENS1_30default_config_static_selectorELNS0_4arch9wavefront6targetE0EEEvT1_
	.p2align	8
	.type	_ZN7rocprim17ROCPRIM_400000_NS6detail17trampoline_kernelINS0_14default_configENS1_25partition_config_selectorILNS1_17partition_subalgoE8ElNS0_10empty_typeEbEEZZNS1_14partition_implILS5_8ELb0ES3_jPlPS6_PKS6_NS0_5tupleIJS9_S6_EEENSD_IJSA_SA_EEENS0_18inequality_wrapperIZN2at6native12_GLOBAL__N_124unique_dim_cuda_templateIN3c108BFloat16EEESt5tupleIJNSH_6TensorESO_SO_EERKSO_lbbbEUlllE0_EEPmJS6_EEE10hipError_tPvRmT3_T4_T5_T6_T7_T9_mT8_P12ihipStream_tbDpT10_ENKUlT_T0_E_clISt17integral_constantIbLb1EES1D_IbLb0EEEEDaS19_S1A_EUlS19_E_NS1_11comp_targetILNS1_3genE4ELNS1_11target_archE910ELNS1_3gpuE8ELNS1_3repE0EEENS1_30default_config_static_selectorELNS0_4arch9wavefront6targetE0EEEvT1_,@function
_ZN7rocprim17ROCPRIM_400000_NS6detail17trampoline_kernelINS0_14default_configENS1_25partition_config_selectorILNS1_17partition_subalgoE8ElNS0_10empty_typeEbEEZZNS1_14partition_implILS5_8ELb0ES3_jPlPS6_PKS6_NS0_5tupleIJS9_S6_EEENSD_IJSA_SA_EEENS0_18inequality_wrapperIZN2at6native12_GLOBAL__N_124unique_dim_cuda_templateIN3c108BFloat16EEESt5tupleIJNSH_6TensorESO_SO_EERKSO_lbbbEUlllE0_EEPmJS6_EEE10hipError_tPvRmT3_T4_T5_T6_T7_T9_mT8_P12ihipStream_tbDpT10_ENKUlT_T0_E_clISt17integral_constantIbLb1EES1D_IbLb0EEEEDaS19_S1A_EUlS19_E_NS1_11comp_targetILNS1_3genE4ELNS1_11target_archE910ELNS1_3gpuE8ELNS1_3repE0EEENS1_30default_config_static_selectorELNS0_4arch9wavefront6targetE0EEEvT1_: ; @_ZN7rocprim17ROCPRIM_400000_NS6detail17trampoline_kernelINS0_14default_configENS1_25partition_config_selectorILNS1_17partition_subalgoE8ElNS0_10empty_typeEbEEZZNS1_14partition_implILS5_8ELb0ES3_jPlPS6_PKS6_NS0_5tupleIJS9_S6_EEENSD_IJSA_SA_EEENS0_18inequality_wrapperIZN2at6native12_GLOBAL__N_124unique_dim_cuda_templateIN3c108BFloat16EEESt5tupleIJNSH_6TensorESO_SO_EERKSO_lbbbEUlllE0_EEPmJS6_EEE10hipError_tPvRmT3_T4_T5_T6_T7_T9_mT8_P12ihipStream_tbDpT10_ENKUlT_T0_E_clISt17integral_constantIbLb1EES1D_IbLb0EEEEDaS19_S1A_EUlS19_E_NS1_11comp_targetILNS1_3genE4ELNS1_11target_archE910ELNS1_3gpuE8ELNS1_3repE0EEENS1_30default_config_static_selectorELNS0_4arch9wavefront6targetE0EEEvT1_
; %bb.0:
	.section	.rodata,"a",@progbits
	.p2align	6, 0x0
	.amdhsa_kernel _ZN7rocprim17ROCPRIM_400000_NS6detail17trampoline_kernelINS0_14default_configENS1_25partition_config_selectorILNS1_17partition_subalgoE8ElNS0_10empty_typeEbEEZZNS1_14partition_implILS5_8ELb0ES3_jPlPS6_PKS6_NS0_5tupleIJS9_S6_EEENSD_IJSA_SA_EEENS0_18inequality_wrapperIZN2at6native12_GLOBAL__N_124unique_dim_cuda_templateIN3c108BFloat16EEESt5tupleIJNSH_6TensorESO_SO_EERKSO_lbbbEUlllE0_EEPmJS6_EEE10hipError_tPvRmT3_T4_T5_T6_T7_T9_mT8_P12ihipStream_tbDpT10_ENKUlT_T0_E_clISt17integral_constantIbLb1EES1D_IbLb0EEEEDaS19_S1A_EUlS19_E_NS1_11comp_targetILNS1_3genE4ELNS1_11target_archE910ELNS1_3gpuE8ELNS1_3repE0EEENS1_30default_config_static_selectorELNS0_4arch9wavefront6targetE0EEEvT1_
		.amdhsa_group_segment_fixed_size 0
		.amdhsa_private_segment_fixed_size 0
		.amdhsa_kernarg_size 120
		.amdhsa_user_sgpr_count 2
		.amdhsa_user_sgpr_dispatch_ptr 0
		.amdhsa_user_sgpr_queue_ptr 0
		.amdhsa_user_sgpr_kernarg_segment_ptr 1
		.amdhsa_user_sgpr_dispatch_id 0
		.amdhsa_user_sgpr_kernarg_preload_length 0
		.amdhsa_user_sgpr_kernarg_preload_offset 0
		.amdhsa_user_sgpr_private_segment_size 0
		.amdhsa_wavefront_size32 1
		.amdhsa_uses_dynamic_stack 0
		.amdhsa_enable_private_segment 0
		.amdhsa_system_sgpr_workgroup_id_x 1
		.amdhsa_system_sgpr_workgroup_id_y 0
		.amdhsa_system_sgpr_workgroup_id_z 0
		.amdhsa_system_sgpr_workgroup_info 0
		.amdhsa_system_vgpr_workitem_id 0
		.amdhsa_next_free_vgpr 1
		.amdhsa_next_free_sgpr 1
		.amdhsa_named_barrier_count 0
		.amdhsa_reserve_vcc 0
		.amdhsa_float_round_mode_32 0
		.amdhsa_float_round_mode_16_64 0
		.amdhsa_float_denorm_mode_32 3
		.amdhsa_float_denorm_mode_16_64 3
		.amdhsa_fp16_overflow 0
		.amdhsa_memory_ordered 1
		.amdhsa_forward_progress 1
		.amdhsa_inst_pref_size 0
		.amdhsa_round_robin_scheduling 0
		.amdhsa_exception_fp_ieee_invalid_op 0
		.amdhsa_exception_fp_denorm_src 0
		.amdhsa_exception_fp_ieee_div_zero 0
		.amdhsa_exception_fp_ieee_overflow 0
		.amdhsa_exception_fp_ieee_underflow 0
		.amdhsa_exception_fp_ieee_inexact 0
		.amdhsa_exception_int_div_zero 0
	.end_amdhsa_kernel
	.section	.text._ZN7rocprim17ROCPRIM_400000_NS6detail17trampoline_kernelINS0_14default_configENS1_25partition_config_selectorILNS1_17partition_subalgoE8ElNS0_10empty_typeEbEEZZNS1_14partition_implILS5_8ELb0ES3_jPlPS6_PKS6_NS0_5tupleIJS9_S6_EEENSD_IJSA_SA_EEENS0_18inequality_wrapperIZN2at6native12_GLOBAL__N_124unique_dim_cuda_templateIN3c108BFloat16EEESt5tupleIJNSH_6TensorESO_SO_EERKSO_lbbbEUlllE0_EEPmJS6_EEE10hipError_tPvRmT3_T4_T5_T6_T7_T9_mT8_P12ihipStream_tbDpT10_ENKUlT_T0_E_clISt17integral_constantIbLb1EES1D_IbLb0EEEEDaS19_S1A_EUlS19_E_NS1_11comp_targetILNS1_3genE4ELNS1_11target_archE910ELNS1_3gpuE8ELNS1_3repE0EEENS1_30default_config_static_selectorELNS0_4arch9wavefront6targetE0EEEvT1_,"axG",@progbits,_ZN7rocprim17ROCPRIM_400000_NS6detail17trampoline_kernelINS0_14default_configENS1_25partition_config_selectorILNS1_17partition_subalgoE8ElNS0_10empty_typeEbEEZZNS1_14partition_implILS5_8ELb0ES3_jPlPS6_PKS6_NS0_5tupleIJS9_S6_EEENSD_IJSA_SA_EEENS0_18inequality_wrapperIZN2at6native12_GLOBAL__N_124unique_dim_cuda_templateIN3c108BFloat16EEESt5tupleIJNSH_6TensorESO_SO_EERKSO_lbbbEUlllE0_EEPmJS6_EEE10hipError_tPvRmT3_T4_T5_T6_T7_T9_mT8_P12ihipStream_tbDpT10_ENKUlT_T0_E_clISt17integral_constantIbLb1EES1D_IbLb0EEEEDaS19_S1A_EUlS19_E_NS1_11comp_targetILNS1_3genE4ELNS1_11target_archE910ELNS1_3gpuE8ELNS1_3repE0EEENS1_30default_config_static_selectorELNS0_4arch9wavefront6targetE0EEEvT1_,comdat
.Lfunc_end1192:
	.size	_ZN7rocprim17ROCPRIM_400000_NS6detail17trampoline_kernelINS0_14default_configENS1_25partition_config_selectorILNS1_17partition_subalgoE8ElNS0_10empty_typeEbEEZZNS1_14partition_implILS5_8ELb0ES3_jPlPS6_PKS6_NS0_5tupleIJS9_S6_EEENSD_IJSA_SA_EEENS0_18inequality_wrapperIZN2at6native12_GLOBAL__N_124unique_dim_cuda_templateIN3c108BFloat16EEESt5tupleIJNSH_6TensorESO_SO_EERKSO_lbbbEUlllE0_EEPmJS6_EEE10hipError_tPvRmT3_T4_T5_T6_T7_T9_mT8_P12ihipStream_tbDpT10_ENKUlT_T0_E_clISt17integral_constantIbLb1EES1D_IbLb0EEEEDaS19_S1A_EUlS19_E_NS1_11comp_targetILNS1_3genE4ELNS1_11target_archE910ELNS1_3gpuE8ELNS1_3repE0EEENS1_30default_config_static_selectorELNS0_4arch9wavefront6targetE0EEEvT1_, .Lfunc_end1192-_ZN7rocprim17ROCPRIM_400000_NS6detail17trampoline_kernelINS0_14default_configENS1_25partition_config_selectorILNS1_17partition_subalgoE8ElNS0_10empty_typeEbEEZZNS1_14partition_implILS5_8ELb0ES3_jPlPS6_PKS6_NS0_5tupleIJS9_S6_EEENSD_IJSA_SA_EEENS0_18inequality_wrapperIZN2at6native12_GLOBAL__N_124unique_dim_cuda_templateIN3c108BFloat16EEESt5tupleIJNSH_6TensorESO_SO_EERKSO_lbbbEUlllE0_EEPmJS6_EEE10hipError_tPvRmT3_T4_T5_T6_T7_T9_mT8_P12ihipStream_tbDpT10_ENKUlT_T0_E_clISt17integral_constantIbLb1EES1D_IbLb0EEEEDaS19_S1A_EUlS19_E_NS1_11comp_targetILNS1_3genE4ELNS1_11target_archE910ELNS1_3gpuE8ELNS1_3repE0EEENS1_30default_config_static_selectorELNS0_4arch9wavefront6targetE0EEEvT1_
                                        ; -- End function
	.set _ZN7rocprim17ROCPRIM_400000_NS6detail17trampoline_kernelINS0_14default_configENS1_25partition_config_selectorILNS1_17partition_subalgoE8ElNS0_10empty_typeEbEEZZNS1_14partition_implILS5_8ELb0ES3_jPlPS6_PKS6_NS0_5tupleIJS9_S6_EEENSD_IJSA_SA_EEENS0_18inequality_wrapperIZN2at6native12_GLOBAL__N_124unique_dim_cuda_templateIN3c108BFloat16EEESt5tupleIJNSH_6TensorESO_SO_EERKSO_lbbbEUlllE0_EEPmJS6_EEE10hipError_tPvRmT3_T4_T5_T6_T7_T9_mT8_P12ihipStream_tbDpT10_ENKUlT_T0_E_clISt17integral_constantIbLb1EES1D_IbLb0EEEEDaS19_S1A_EUlS19_E_NS1_11comp_targetILNS1_3genE4ELNS1_11target_archE910ELNS1_3gpuE8ELNS1_3repE0EEENS1_30default_config_static_selectorELNS0_4arch9wavefront6targetE0EEEvT1_.num_vgpr, 0
	.set _ZN7rocprim17ROCPRIM_400000_NS6detail17trampoline_kernelINS0_14default_configENS1_25partition_config_selectorILNS1_17partition_subalgoE8ElNS0_10empty_typeEbEEZZNS1_14partition_implILS5_8ELb0ES3_jPlPS6_PKS6_NS0_5tupleIJS9_S6_EEENSD_IJSA_SA_EEENS0_18inequality_wrapperIZN2at6native12_GLOBAL__N_124unique_dim_cuda_templateIN3c108BFloat16EEESt5tupleIJNSH_6TensorESO_SO_EERKSO_lbbbEUlllE0_EEPmJS6_EEE10hipError_tPvRmT3_T4_T5_T6_T7_T9_mT8_P12ihipStream_tbDpT10_ENKUlT_T0_E_clISt17integral_constantIbLb1EES1D_IbLb0EEEEDaS19_S1A_EUlS19_E_NS1_11comp_targetILNS1_3genE4ELNS1_11target_archE910ELNS1_3gpuE8ELNS1_3repE0EEENS1_30default_config_static_selectorELNS0_4arch9wavefront6targetE0EEEvT1_.num_agpr, 0
	.set _ZN7rocprim17ROCPRIM_400000_NS6detail17trampoline_kernelINS0_14default_configENS1_25partition_config_selectorILNS1_17partition_subalgoE8ElNS0_10empty_typeEbEEZZNS1_14partition_implILS5_8ELb0ES3_jPlPS6_PKS6_NS0_5tupleIJS9_S6_EEENSD_IJSA_SA_EEENS0_18inequality_wrapperIZN2at6native12_GLOBAL__N_124unique_dim_cuda_templateIN3c108BFloat16EEESt5tupleIJNSH_6TensorESO_SO_EERKSO_lbbbEUlllE0_EEPmJS6_EEE10hipError_tPvRmT3_T4_T5_T6_T7_T9_mT8_P12ihipStream_tbDpT10_ENKUlT_T0_E_clISt17integral_constantIbLb1EES1D_IbLb0EEEEDaS19_S1A_EUlS19_E_NS1_11comp_targetILNS1_3genE4ELNS1_11target_archE910ELNS1_3gpuE8ELNS1_3repE0EEENS1_30default_config_static_selectorELNS0_4arch9wavefront6targetE0EEEvT1_.numbered_sgpr, 0
	.set _ZN7rocprim17ROCPRIM_400000_NS6detail17trampoline_kernelINS0_14default_configENS1_25partition_config_selectorILNS1_17partition_subalgoE8ElNS0_10empty_typeEbEEZZNS1_14partition_implILS5_8ELb0ES3_jPlPS6_PKS6_NS0_5tupleIJS9_S6_EEENSD_IJSA_SA_EEENS0_18inequality_wrapperIZN2at6native12_GLOBAL__N_124unique_dim_cuda_templateIN3c108BFloat16EEESt5tupleIJNSH_6TensorESO_SO_EERKSO_lbbbEUlllE0_EEPmJS6_EEE10hipError_tPvRmT3_T4_T5_T6_T7_T9_mT8_P12ihipStream_tbDpT10_ENKUlT_T0_E_clISt17integral_constantIbLb1EES1D_IbLb0EEEEDaS19_S1A_EUlS19_E_NS1_11comp_targetILNS1_3genE4ELNS1_11target_archE910ELNS1_3gpuE8ELNS1_3repE0EEENS1_30default_config_static_selectorELNS0_4arch9wavefront6targetE0EEEvT1_.num_named_barrier, 0
	.set _ZN7rocprim17ROCPRIM_400000_NS6detail17trampoline_kernelINS0_14default_configENS1_25partition_config_selectorILNS1_17partition_subalgoE8ElNS0_10empty_typeEbEEZZNS1_14partition_implILS5_8ELb0ES3_jPlPS6_PKS6_NS0_5tupleIJS9_S6_EEENSD_IJSA_SA_EEENS0_18inequality_wrapperIZN2at6native12_GLOBAL__N_124unique_dim_cuda_templateIN3c108BFloat16EEESt5tupleIJNSH_6TensorESO_SO_EERKSO_lbbbEUlllE0_EEPmJS6_EEE10hipError_tPvRmT3_T4_T5_T6_T7_T9_mT8_P12ihipStream_tbDpT10_ENKUlT_T0_E_clISt17integral_constantIbLb1EES1D_IbLb0EEEEDaS19_S1A_EUlS19_E_NS1_11comp_targetILNS1_3genE4ELNS1_11target_archE910ELNS1_3gpuE8ELNS1_3repE0EEENS1_30default_config_static_selectorELNS0_4arch9wavefront6targetE0EEEvT1_.private_seg_size, 0
	.set _ZN7rocprim17ROCPRIM_400000_NS6detail17trampoline_kernelINS0_14default_configENS1_25partition_config_selectorILNS1_17partition_subalgoE8ElNS0_10empty_typeEbEEZZNS1_14partition_implILS5_8ELb0ES3_jPlPS6_PKS6_NS0_5tupleIJS9_S6_EEENSD_IJSA_SA_EEENS0_18inequality_wrapperIZN2at6native12_GLOBAL__N_124unique_dim_cuda_templateIN3c108BFloat16EEESt5tupleIJNSH_6TensorESO_SO_EERKSO_lbbbEUlllE0_EEPmJS6_EEE10hipError_tPvRmT3_T4_T5_T6_T7_T9_mT8_P12ihipStream_tbDpT10_ENKUlT_T0_E_clISt17integral_constantIbLb1EES1D_IbLb0EEEEDaS19_S1A_EUlS19_E_NS1_11comp_targetILNS1_3genE4ELNS1_11target_archE910ELNS1_3gpuE8ELNS1_3repE0EEENS1_30default_config_static_selectorELNS0_4arch9wavefront6targetE0EEEvT1_.uses_vcc, 0
	.set _ZN7rocprim17ROCPRIM_400000_NS6detail17trampoline_kernelINS0_14default_configENS1_25partition_config_selectorILNS1_17partition_subalgoE8ElNS0_10empty_typeEbEEZZNS1_14partition_implILS5_8ELb0ES3_jPlPS6_PKS6_NS0_5tupleIJS9_S6_EEENSD_IJSA_SA_EEENS0_18inequality_wrapperIZN2at6native12_GLOBAL__N_124unique_dim_cuda_templateIN3c108BFloat16EEESt5tupleIJNSH_6TensorESO_SO_EERKSO_lbbbEUlllE0_EEPmJS6_EEE10hipError_tPvRmT3_T4_T5_T6_T7_T9_mT8_P12ihipStream_tbDpT10_ENKUlT_T0_E_clISt17integral_constantIbLb1EES1D_IbLb0EEEEDaS19_S1A_EUlS19_E_NS1_11comp_targetILNS1_3genE4ELNS1_11target_archE910ELNS1_3gpuE8ELNS1_3repE0EEENS1_30default_config_static_selectorELNS0_4arch9wavefront6targetE0EEEvT1_.uses_flat_scratch, 0
	.set _ZN7rocprim17ROCPRIM_400000_NS6detail17trampoline_kernelINS0_14default_configENS1_25partition_config_selectorILNS1_17partition_subalgoE8ElNS0_10empty_typeEbEEZZNS1_14partition_implILS5_8ELb0ES3_jPlPS6_PKS6_NS0_5tupleIJS9_S6_EEENSD_IJSA_SA_EEENS0_18inequality_wrapperIZN2at6native12_GLOBAL__N_124unique_dim_cuda_templateIN3c108BFloat16EEESt5tupleIJNSH_6TensorESO_SO_EERKSO_lbbbEUlllE0_EEPmJS6_EEE10hipError_tPvRmT3_T4_T5_T6_T7_T9_mT8_P12ihipStream_tbDpT10_ENKUlT_T0_E_clISt17integral_constantIbLb1EES1D_IbLb0EEEEDaS19_S1A_EUlS19_E_NS1_11comp_targetILNS1_3genE4ELNS1_11target_archE910ELNS1_3gpuE8ELNS1_3repE0EEENS1_30default_config_static_selectorELNS0_4arch9wavefront6targetE0EEEvT1_.has_dyn_sized_stack, 0
	.set _ZN7rocprim17ROCPRIM_400000_NS6detail17trampoline_kernelINS0_14default_configENS1_25partition_config_selectorILNS1_17partition_subalgoE8ElNS0_10empty_typeEbEEZZNS1_14partition_implILS5_8ELb0ES3_jPlPS6_PKS6_NS0_5tupleIJS9_S6_EEENSD_IJSA_SA_EEENS0_18inequality_wrapperIZN2at6native12_GLOBAL__N_124unique_dim_cuda_templateIN3c108BFloat16EEESt5tupleIJNSH_6TensorESO_SO_EERKSO_lbbbEUlllE0_EEPmJS6_EEE10hipError_tPvRmT3_T4_T5_T6_T7_T9_mT8_P12ihipStream_tbDpT10_ENKUlT_T0_E_clISt17integral_constantIbLb1EES1D_IbLb0EEEEDaS19_S1A_EUlS19_E_NS1_11comp_targetILNS1_3genE4ELNS1_11target_archE910ELNS1_3gpuE8ELNS1_3repE0EEENS1_30default_config_static_selectorELNS0_4arch9wavefront6targetE0EEEvT1_.has_recursion, 0
	.set _ZN7rocprim17ROCPRIM_400000_NS6detail17trampoline_kernelINS0_14default_configENS1_25partition_config_selectorILNS1_17partition_subalgoE8ElNS0_10empty_typeEbEEZZNS1_14partition_implILS5_8ELb0ES3_jPlPS6_PKS6_NS0_5tupleIJS9_S6_EEENSD_IJSA_SA_EEENS0_18inequality_wrapperIZN2at6native12_GLOBAL__N_124unique_dim_cuda_templateIN3c108BFloat16EEESt5tupleIJNSH_6TensorESO_SO_EERKSO_lbbbEUlllE0_EEPmJS6_EEE10hipError_tPvRmT3_T4_T5_T6_T7_T9_mT8_P12ihipStream_tbDpT10_ENKUlT_T0_E_clISt17integral_constantIbLb1EES1D_IbLb0EEEEDaS19_S1A_EUlS19_E_NS1_11comp_targetILNS1_3genE4ELNS1_11target_archE910ELNS1_3gpuE8ELNS1_3repE0EEENS1_30default_config_static_selectorELNS0_4arch9wavefront6targetE0EEEvT1_.has_indirect_call, 0
	.section	.AMDGPU.csdata,"",@progbits
; Kernel info:
; codeLenInByte = 0
; TotalNumSgprs: 0
; NumVgprs: 0
; ScratchSize: 0
; MemoryBound: 0
; FloatMode: 240
; IeeeMode: 1
; LDSByteSize: 0 bytes/workgroup (compile time only)
; SGPRBlocks: 0
; VGPRBlocks: 0
; NumSGPRsForWavesPerEU: 1
; NumVGPRsForWavesPerEU: 1
; NamedBarCnt: 0
; Occupancy: 16
; WaveLimiterHint : 0
; COMPUTE_PGM_RSRC2:SCRATCH_EN: 0
; COMPUTE_PGM_RSRC2:USER_SGPR: 2
; COMPUTE_PGM_RSRC2:TRAP_HANDLER: 0
; COMPUTE_PGM_RSRC2:TGID_X_EN: 1
; COMPUTE_PGM_RSRC2:TGID_Y_EN: 0
; COMPUTE_PGM_RSRC2:TGID_Z_EN: 0
; COMPUTE_PGM_RSRC2:TIDIG_COMP_CNT: 0
	.section	.text._ZN7rocprim17ROCPRIM_400000_NS6detail17trampoline_kernelINS0_14default_configENS1_25partition_config_selectorILNS1_17partition_subalgoE8ElNS0_10empty_typeEbEEZZNS1_14partition_implILS5_8ELb0ES3_jPlPS6_PKS6_NS0_5tupleIJS9_S6_EEENSD_IJSA_SA_EEENS0_18inequality_wrapperIZN2at6native12_GLOBAL__N_124unique_dim_cuda_templateIN3c108BFloat16EEESt5tupleIJNSH_6TensorESO_SO_EERKSO_lbbbEUlllE0_EEPmJS6_EEE10hipError_tPvRmT3_T4_T5_T6_T7_T9_mT8_P12ihipStream_tbDpT10_ENKUlT_T0_E_clISt17integral_constantIbLb1EES1D_IbLb0EEEEDaS19_S1A_EUlS19_E_NS1_11comp_targetILNS1_3genE3ELNS1_11target_archE908ELNS1_3gpuE7ELNS1_3repE0EEENS1_30default_config_static_selectorELNS0_4arch9wavefront6targetE0EEEvT1_,"axG",@progbits,_ZN7rocprim17ROCPRIM_400000_NS6detail17trampoline_kernelINS0_14default_configENS1_25partition_config_selectorILNS1_17partition_subalgoE8ElNS0_10empty_typeEbEEZZNS1_14partition_implILS5_8ELb0ES3_jPlPS6_PKS6_NS0_5tupleIJS9_S6_EEENSD_IJSA_SA_EEENS0_18inequality_wrapperIZN2at6native12_GLOBAL__N_124unique_dim_cuda_templateIN3c108BFloat16EEESt5tupleIJNSH_6TensorESO_SO_EERKSO_lbbbEUlllE0_EEPmJS6_EEE10hipError_tPvRmT3_T4_T5_T6_T7_T9_mT8_P12ihipStream_tbDpT10_ENKUlT_T0_E_clISt17integral_constantIbLb1EES1D_IbLb0EEEEDaS19_S1A_EUlS19_E_NS1_11comp_targetILNS1_3genE3ELNS1_11target_archE908ELNS1_3gpuE7ELNS1_3repE0EEENS1_30default_config_static_selectorELNS0_4arch9wavefront6targetE0EEEvT1_,comdat
	.globl	_ZN7rocprim17ROCPRIM_400000_NS6detail17trampoline_kernelINS0_14default_configENS1_25partition_config_selectorILNS1_17partition_subalgoE8ElNS0_10empty_typeEbEEZZNS1_14partition_implILS5_8ELb0ES3_jPlPS6_PKS6_NS0_5tupleIJS9_S6_EEENSD_IJSA_SA_EEENS0_18inequality_wrapperIZN2at6native12_GLOBAL__N_124unique_dim_cuda_templateIN3c108BFloat16EEESt5tupleIJNSH_6TensorESO_SO_EERKSO_lbbbEUlllE0_EEPmJS6_EEE10hipError_tPvRmT3_T4_T5_T6_T7_T9_mT8_P12ihipStream_tbDpT10_ENKUlT_T0_E_clISt17integral_constantIbLb1EES1D_IbLb0EEEEDaS19_S1A_EUlS19_E_NS1_11comp_targetILNS1_3genE3ELNS1_11target_archE908ELNS1_3gpuE7ELNS1_3repE0EEENS1_30default_config_static_selectorELNS0_4arch9wavefront6targetE0EEEvT1_ ; -- Begin function _ZN7rocprim17ROCPRIM_400000_NS6detail17trampoline_kernelINS0_14default_configENS1_25partition_config_selectorILNS1_17partition_subalgoE8ElNS0_10empty_typeEbEEZZNS1_14partition_implILS5_8ELb0ES3_jPlPS6_PKS6_NS0_5tupleIJS9_S6_EEENSD_IJSA_SA_EEENS0_18inequality_wrapperIZN2at6native12_GLOBAL__N_124unique_dim_cuda_templateIN3c108BFloat16EEESt5tupleIJNSH_6TensorESO_SO_EERKSO_lbbbEUlllE0_EEPmJS6_EEE10hipError_tPvRmT3_T4_T5_T6_T7_T9_mT8_P12ihipStream_tbDpT10_ENKUlT_T0_E_clISt17integral_constantIbLb1EES1D_IbLb0EEEEDaS19_S1A_EUlS19_E_NS1_11comp_targetILNS1_3genE3ELNS1_11target_archE908ELNS1_3gpuE7ELNS1_3repE0EEENS1_30default_config_static_selectorELNS0_4arch9wavefront6targetE0EEEvT1_
	.p2align	8
	.type	_ZN7rocprim17ROCPRIM_400000_NS6detail17trampoline_kernelINS0_14default_configENS1_25partition_config_selectorILNS1_17partition_subalgoE8ElNS0_10empty_typeEbEEZZNS1_14partition_implILS5_8ELb0ES3_jPlPS6_PKS6_NS0_5tupleIJS9_S6_EEENSD_IJSA_SA_EEENS0_18inequality_wrapperIZN2at6native12_GLOBAL__N_124unique_dim_cuda_templateIN3c108BFloat16EEESt5tupleIJNSH_6TensorESO_SO_EERKSO_lbbbEUlllE0_EEPmJS6_EEE10hipError_tPvRmT3_T4_T5_T6_T7_T9_mT8_P12ihipStream_tbDpT10_ENKUlT_T0_E_clISt17integral_constantIbLb1EES1D_IbLb0EEEEDaS19_S1A_EUlS19_E_NS1_11comp_targetILNS1_3genE3ELNS1_11target_archE908ELNS1_3gpuE7ELNS1_3repE0EEENS1_30default_config_static_selectorELNS0_4arch9wavefront6targetE0EEEvT1_,@function
_ZN7rocprim17ROCPRIM_400000_NS6detail17trampoline_kernelINS0_14default_configENS1_25partition_config_selectorILNS1_17partition_subalgoE8ElNS0_10empty_typeEbEEZZNS1_14partition_implILS5_8ELb0ES3_jPlPS6_PKS6_NS0_5tupleIJS9_S6_EEENSD_IJSA_SA_EEENS0_18inequality_wrapperIZN2at6native12_GLOBAL__N_124unique_dim_cuda_templateIN3c108BFloat16EEESt5tupleIJNSH_6TensorESO_SO_EERKSO_lbbbEUlllE0_EEPmJS6_EEE10hipError_tPvRmT3_T4_T5_T6_T7_T9_mT8_P12ihipStream_tbDpT10_ENKUlT_T0_E_clISt17integral_constantIbLb1EES1D_IbLb0EEEEDaS19_S1A_EUlS19_E_NS1_11comp_targetILNS1_3genE3ELNS1_11target_archE908ELNS1_3gpuE7ELNS1_3repE0EEENS1_30default_config_static_selectorELNS0_4arch9wavefront6targetE0EEEvT1_: ; @_ZN7rocprim17ROCPRIM_400000_NS6detail17trampoline_kernelINS0_14default_configENS1_25partition_config_selectorILNS1_17partition_subalgoE8ElNS0_10empty_typeEbEEZZNS1_14partition_implILS5_8ELb0ES3_jPlPS6_PKS6_NS0_5tupleIJS9_S6_EEENSD_IJSA_SA_EEENS0_18inequality_wrapperIZN2at6native12_GLOBAL__N_124unique_dim_cuda_templateIN3c108BFloat16EEESt5tupleIJNSH_6TensorESO_SO_EERKSO_lbbbEUlllE0_EEPmJS6_EEE10hipError_tPvRmT3_T4_T5_T6_T7_T9_mT8_P12ihipStream_tbDpT10_ENKUlT_T0_E_clISt17integral_constantIbLb1EES1D_IbLb0EEEEDaS19_S1A_EUlS19_E_NS1_11comp_targetILNS1_3genE3ELNS1_11target_archE908ELNS1_3gpuE7ELNS1_3repE0EEENS1_30default_config_static_selectorELNS0_4arch9wavefront6targetE0EEEvT1_
; %bb.0:
	.section	.rodata,"a",@progbits
	.p2align	6, 0x0
	.amdhsa_kernel _ZN7rocprim17ROCPRIM_400000_NS6detail17trampoline_kernelINS0_14default_configENS1_25partition_config_selectorILNS1_17partition_subalgoE8ElNS0_10empty_typeEbEEZZNS1_14partition_implILS5_8ELb0ES3_jPlPS6_PKS6_NS0_5tupleIJS9_S6_EEENSD_IJSA_SA_EEENS0_18inequality_wrapperIZN2at6native12_GLOBAL__N_124unique_dim_cuda_templateIN3c108BFloat16EEESt5tupleIJNSH_6TensorESO_SO_EERKSO_lbbbEUlllE0_EEPmJS6_EEE10hipError_tPvRmT3_T4_T5_T6_T7_T9_mT8_P12ihipStream_tbDpT10_ENKUlT_T0_E_clISt17integral_constantIbLb1EES1D_IbLb0EEEEDaS19_S1A_EUlS19_E_NS1_11comp_targetILNS1_3genE3ELNS1_11target_archE908ELNS1_3gpuE7ELNS1_3repE0EEENS1_30default_config_static_selectorELNS0_4arch9wavefront6targetE0EEEvT1_
		.amdhsa_group_segment_fixed_size 0
		.amdhsa_private_segment_fixed_size 0
		.amdhsa_kernarg_size 120
		.amdhsa_user_sgpr_count 2
		.amdhsa_user_sgpr_dispatch_ptr 0
		.amdhsa_user_sgpr_queue_ptr 0
		.amdhsa_user_sgpr_kernarg_segment_ptr 1
		.amdhsa_user_sgpr_dispatch_id 0
		.amdhsa_user_sgpr_kernarg_preload_length 0
		.amdhsa_user_sgpr_kernarg_preload_offset 0
		.amdhsa_user_sgpr_private_segment_size 0
		.amdhsa_wavefront_size32 1
		.amdhsa_uses_dynamic_stack 0
		.amdhsa_enable_private_segment 0
		.amdhsa_system_sgpr_workgroup_id_x 1
		.amdhsa_system_sgpr_workgroup_id_y 0
		.amdhsa_system_sgpr_workgroup_id_z 0
		.amdhsa_system_sgpr_workgroup_info 0
		.amdhsa_system_vgpr_workitem_id 0
		.amdhsa_next_free_vgpr 1
		.amdhsa_next_free_sgpr 1
		.amdhsa_named_barrier_count 0
		.amdhsa_reserve_vcc 0
		.amdhsa_float_round_mode_32 0
		.amdhsa_float_round_mode_16_64 0
		.amdhsa_float_denorm_mode_32 3
		.amdhsa_float_denorm_mode_16_64 3
		.amdhsa_fp16_overflow 0
		.amdhsa_memory_ordered 1
		.amdhsa_forward_progress 1
		.amdhsa_inst_pref_size 0
		.amdhsa_round_robin_scheduling 0
		.amdhsa_exception_fp_ieee_invalid_op 0
		.amdhsa_exception_fp_denorm_src 0
		.amdhsa_exception_fp_ieee_div_zero 0
		.amdhsa_exception_fp_ieee_overflow 0
		.amdhsa_exception_fp_ieee_underflow 0
		.amdhsa_exception_fp_ieee_inexact 0
		.amdhsa_exception_int_div_zero 0
	.end_amdhsa_kernel
	.section	.text._ZN7rocprim17ROCPRIM_400000_NS6detail17trampoline_kernelINS0_14default_configENS1_25partition_config_selectorILNS1_17partition_subalgoE8ElNS0_10empty_typeEbEEZZNS1_14partition_implILS5_8ELb0ES3_jPlPS6_PKS6_NS0_5tupleIJS9_S6_EEENSD_IJSA_SA_EEENS0_18inequality_wrapperIZN2at6native12_GLOBAL__N_124unique_dim_cuda_templateIN3c108BFloat16EEESt5tupleIJNSH_6TensorESO_SO_EERKSO_lbbbEUlllE0_EEPmJS6_EEE10hipError_tPvRmT3_T4_T5_T6_T7_T9_mT8_P12ihipStream_tbDpT10_ENKUlT_T0_E_clISt17integral_constantIbLb1EES1D_IbLb0EEEEDaS19_S1A_EUlS19_E_NS1_11comp_targetILNS1_3genE3ELNS1_11target_archE908ELNS1_3gpuE7ELNS1_3repE0EEENS1_30default_config_static_selectorELNS0_4arch9wavefront6targetE0EEEvT1_,"axG",@progbits,_ZN7rocprim17ROCPRIM_400000_NS6detail17trampoline_kernelINS0_14default_configENS1_25partition_config_selectorILNS1_17partition_subalgoE8ElNS0_10empty_typeEbEEZZNS1_14partition_implILS5_8ELb0ES3_jPlPS6_PKS6_NS0_5tupleIJS9_S6_EEENSD_IJSA_SA_EEENS0_18inequality_wrapperIZN2at6native12_GLOBAL__N_124unique_dim_cuda_templateIN3c108BFloat16EEESt5tupleIJNSH_6TensorESO_SO_EERKSO_lbbbEUlllE0_EEPmJS6_EEE10hipError_tPvRmT3_T4_T5_T6_T7_T9_mT8_P12ihipStream_tbDpT10_ENKUlT_T0_E_clISt17integral_constantIbLb1EES1D_IbLb0EEEEDaS19_S1A_EUlS19_E_NS1_11comp_targetILNS1_3genE3ELNS1_11target_archE908ELNS1_3gpuE7ELNS1_3repE0EEENS1_30default_config_static_selectorELNS0_4arch9wavefront6targetE0EEEvT1_,comdat
.Lfunc_end1193:
	.size	_ZN7rocprim17ROCPRIM_400000_NS6detail17trampoline_kernelINS0_14default_configENS1_25partition_config_selectorILNS1_17partition_subalgoE8ElNS0_10empty_typeEbEEZZNS1_14partition_implILS5_8ELb0ES3_jPlPS6_PKS6_NS0_5tupleIJS9_S6_EEENSD_IJSA_SA_EEENS0_18inequality_wrapperIZN2at6native12_GLOBAL__N_124unique_dim_cuda_templateIN3c108BFloat16EEESt5tupleIJNSH_6TensorESO_SO_EERKSO_lbbbEUlllE0_EEPmJS6_EEE10hipError_tPvRmT3_T4_T5_T6_T7_T9_mT8_P12ihipStream_tbDpT10_ENKUlT_T0_E_clISt17integral_constantIbLb1EES1D_IbLb0EEEEDaS19_S1A_EUlS19_E_NS1_11comp_targetILNS1_3genE3ELNS1_11target_archE908ELNS1_3gpuE7ELNS1_3repE0EEENS1_30default_config_static_selectorELNS0_4arch9wavefront6targetE0EEEvT1_, .Lfunc_end1193-_ZN7rocprim17ROCPRIM_400000_NS6detail17trampoline_kernelINS0_14default_configENS1_25partition_config_selectorILNS1_17partition_subalgoE8ElNS0_10empty_typeEbEEZZNS1_14partition_implILS5_8ELb0ES3_jPlPS6_PKS6_NS0_5tupleIJS9_S6_EEENSD_IJSA_SA_EEENS0_18inequality_wrapperIZN2at6native12_GLOBAL__N_124unique_dim_cuda_templateIN3c108BFloat16EEESt5tupleIJNSH_6TensorESO_SO_EERKSO_lbbbEUlllE0_EEPmJS6_EEE10hipError_tPvRmT3_T4_T5_T6_T7_T9_mT8_P12ihipStream_tbDpT10_ENKUlT_T0_E_clISt17integral_constantIbLb1EES1D_IbLb0EEEEDaS19_S1A_EUlS19_E_NS1_11comp_targetILNS1_3genE3ELNS1_11target_archE908ELNS1_3gpuE7ELNS1_3repE0EEENS1_30default_config_static_selectorELNS0_4arch9wavefront6targetE0EEEvT1_
                                        ; -- End function
	.set _ZN7rocprim17ROCPRIM_400000_NS6detail17trampoline_kernelINS0_14default_configENS1_25partition_config_selectorILNS1_17partition_subalgoE8ElNS0_10empty_typeEbEEZZNS1_14partition_implILS5_8ELb0ES3_jPlPS6_PKS6_NS0_5tupleIJS9_S6_EEENSD_IJSA_SA_EEENS0_18inequality_wrapperIZN2at6native12_GLOBAL__N_124unique_dim_cuda_templateIN3c108BFloat16EEESt5tupleIJNSH_6TensorESO_SO_EERKSO_lbbbEUlllE0_EEPmJS6_EEE10hipError_tPvRmT3_T4_T5_T6_T7_T9_mT8_P12ihipStream_tbDpT10_ENKUlT_T0_E_clISt17integral_constantIbLb1EES1D_IbLb0EEEEDaS19_S1A_EUlS19_E_NS1_11comp_targetILNS1_3genE3ELNS1_11target_archE908ELNS1_3gpuE7ELNS1_3repE0EEENS1_30default_config_static_selectorELNS0_4arch9wavefront6targetE0EEEvT1_.num_vgpr, 0
	.set _ZN7rocprim17ROCPRIM_400000_NS6detail17trampoline_kernelINS0_14default_configENS1_25partition_config_selectorILNS1_17partition_subalgoE8ElNS0_10empty_typeEbEEZZNS1_14partition_implILS5_8ELb0ES3_jPlPS6_PKS6_NS0_5tupleIJS9_S6_EEENSD_IJSA_SA_EEENS0_18inequality_wrapperIZN2at6native12_GLOBAL__N_124unique_dim_cuda_templateIN3c108BFloat16EEESt5tupleIJNSH_6TensorESO_SO_EERKSO_lbbbEUlllE0_EEPmJS6_EEE10hipError_tPvRmT3_T4_T5_T6_T7_T9_mT8_P12ihipStream_tbDpT10_ENKUlT_T0_E_clISt17integral_constantIbLb1EES1D_IbLb0EEEEDaS19_S1A_EUlS19_E_NS1_11comp_targetILNS1_3genE3ELNS1_11target_archE908ELNS1_3gpuE7ELNS1_3repE0EEENS1_30default_config_static_selectorELNS0_4arch9wavefront6targetE0EEEvT1_.num_agpr, 0
	.set _ZN7rocprim17ROCPRIM_400000_NS6detail17trampoline_kernelINS0_14default_configENS1_25partition_config_selectorILNS1_17partition_subalgoE8ElNS0_10empty_typeEbEEZZNS1_14partition_implILS5_8ELb0ES3_jPlPS6_PKS6_NS0_5tupleIJS9_S6_EEENSD_IJSA_SA_EEENS0_18inequality_wrapperIZN2at6native12_GLOBAL__N_124unique_dim_cuda_templateIN3c108BFloat16EEESt5tupleIJNSH_6TensorESO_SO_EERKSO_lbbbEUlllE0_EEPmJS6_EEE10hipError_tPvRmT3_T4_T5_T6_T7_T9_mT8_P12ihipStream_tbDpT10_ENKUlT_T0_E_clISt17integral_constantIbLb1EES1D_IbLb0EEEEDaS19_S1A_EUlS19_E_NS1_11comp_targetILNS1_3genE3ELNS1_11target_archE908ELNS1_3gpuE7ELNS1_3repE0EEENS1_30default_config_static_selectorELNS0_4arch9wavefront6targetE0EEEvT1_.numbered_sgpr, 0
	.set _ZN7rocprim17ROCPRIM_400000_NS6detail17trampoline_kernelINS0_14default_configENS1_25partition_config_selectorILNS1_17partition_subalgoE8ElNS0_10empty_typeEbEEZZNS1_14partition_implILS5_8ELb0ES3_jPlPS6_PKS6_NS0_5tupleIJS9_S6_EEENSD_IJSA_SA_EEENS0_18inequality_wrapperIZN2at6native12_GLOBAL__N_124unique_dim_cuda_templateIN3c108BFloat16EEESt5tupleIJNSH_6TensorESO_SO_EERKSO_lbbbEUlllE0_EEPmJS6_EEE10hipError_tPvRmT3_T4_T5_T6_T7_T9_mT8_P12ihipStream_tbDpT10_ENKUlT_T0_E_clISt17integral_constantIbLb1EES1D_IbLb0EEEEDaS19_S1A_EUlS19_E_NS1_11comp_targetILNS1_3genE3ELNS1_11target_archE908ELNS1_3gpuE7ELNS1_3repE0EEENS1_30default_config_static_selectorELNS0_4arch9wavefront6targetE0EEEvT1_.num_named_barrier, 0
	.set _ZN7rocprim17ROCPRIM_400000_NS6detail17trampoline_kernelINS0_14default_configENS1_25partition_config_selectorILNS1_17partition_subalgoE8ElNS0_10empty_typeEbEEZZNS1_14partition_implILS5_8ELb0ES3_jPlPS6_PKS6_NS0_5tupleIJS9_S6_EEENSD_IJSA_SA_EEENS0_18inequality_wrapperIZN2at6native12_GLOBAL__N_124unique_dim_cuda_templateIN3c108BFloat16EEESt5tupleIJNSH_6TensorESO_SO_EERKSO_lbbbEUlllE0_EEPmJS6_EEE10hipError_tPvRmT3_T4_T5_T6_T7_T9_mT8_P12ihipStream_tbDpT10_ENKUlT_T0_E_clISt17integral_constantIbLb1EES1D_IbLb0EEEEDaS19_S1A_EUlS19_E_NS1_11comp_targetILNS1_3genE3ELNS1_11target_archE908ELNS1_3gpuE7ELNS1_3repE0EEENS1_30default_config_static_selectorELNS0_4arch9wavefront6targetE0EEEvT1_.private_seg_size, 0
	.set _ZN7rocprim17ROCPRIM_400000_NS6detail17trampoline_kernelINS0_14default_configENS1_25partition_config_selectorILNS1_17partition_subalgoE8ElNS0_10empty_typeEbEEZZNS1_14partition_implILS5_8ELb0ES3_jPlPS6_PKS6_NS0_5tupleIJS9_S6_EEENSD_IJSA_SA_EEENS0_18inequality_wrapperIZN2at6native12_GLOBAL__N_124unique_dim_cuda_templateIN3c108BFloat16EEESt5tupleIJNSH_6TensorESO_SO_EERKSO_lbbbEUlllE0_EEPmJS6_EEE10hipError_tPvRmT3_T4_T5_T6_T7_T9_mT8_P12ihipStream_tbDpT10_ENKUlT_T0_E_clISt17integral_constantIbLb1EES1D_IbLb0EEEEDaS19_S1A_EUlS19_E_NS1_11comp_targetILNS1_3genE3ELNS1_11target_archE908ELNS1_3gpuE7ELNS1_3repE0EEENS1_30default_config_static_selectorELNS0_4arch9wavefront6targetE0EEEvT1_.uses_vcc, 0
	.set _ZN7rocprim17ROCPRIM_400000_NS6detail17trampoline_kernelINS0_14default_configENS1_25partition_config_selectorILNS1_17partition_subalgoE8ElNS0_10empty_typeEbEEZZNS1_14partition_implILS5_8ELb0ES3_jPlPS6_PKS6_NS0_5tupleIJS9_S6_EEENSD_IJSA_SA_EEENS0_18inequality_wrapperIZN2at6native12_GLOBAL__N_124unique_dim_cuda_templateIN3c108BFloat16EEESt5tupleIJNSH_6TensorESO_SO_EERKSO_lbbbEUlllE0_EEPmJS6_EEE10hipError_tPvRmT3_T4_T5_T6_T7_T9_mT8_P12ihipStream_tbDpT10_ENKUlT_T0_E_clISt17integral_constantIbLb1EES1D_IbLb0EEEEDaS19_S1A_EUlS19_E_NS1_11comp_targetILNS1_3genE3ELNS1_11target_archE908ELNS1_3gpuE7ELNS1_3repE0EEENS1_30default_config_static_selectorELNS0_4arch9wavefront6targetE0EEEvT1_.uses_flat_scratch, 0
	.set _ZN7rocprim17ROCPRIM_400000_NS6detail17trampoline_kernelINS0_14default_configENS1_25partition_config_selectorILNS1_17partition_subalgoE8ElNS0_10empty_typeEbEEZZNS1_14partition_implILS5_8ELb0ES3_jPlPS6_PKS6_NS0_5tupleIJS9_S6_EEENSD_IJSA_SA_EEENS0_18inequality_wrapperIZN2at6native12_GLOBAL__N_124unique_dim_cuda_templateIN3c108BFloat16EEESt5tupleIJNSH_6TensorESO_SO_EERKSO_lbbbEUlllE0_EEPmJS6_EEE10hipError_tPvRmT3_T4_T5_T6_T7_T9_mT8_P12ihipStream_tbDpT10_ENKUlT_T0_E_clISt17integral_constantIbLb1EES1D_IbLb0EEEEDaS19_S1A_EUlS19_E_NS1_11comp_targetILNS1_3genE3ELNS1_11target_archE908ELNS1_3gpuE7ELNS1_3repE0EEENS1_30default_config_static_selectorELNS0_4arch9wavefront6targetE0EEEvT1_.has_dyn_sized_stack, 0
	.set _ZN7rocprim17ROCPRIM_400000_NS6detail17trampoline_kernelINS0_14default_configENS1_25partition_config_selectorILNS1_17partition_subalgoE8ElNS0_10empty_typeEbEEZZNS1_14partition_implILS5_8ELb0ES3_jPlPS6_PKS6_NS0_5tupleIJS9_S6_EEENSD_IJSA_SA_EEENS0_18inequality_wrapperIZN2at6native12_GLOBAL__N_124unique_dim_cuda_templateIN3c108BFloat16EEESt5tupleIJNSH_6TensorESO_SO_EERKSO_lbbbEUlllE0_EEPmJS6_EEE10hipError_tPvRmT3_T4_T5_T6_T7_T9_mT8_P12ihipStream_tbDpT10_ENKUlT_T0_E_clISt17integral_constantIbLb1EES1D_IbLb0EEEEDaS19_S1A_EUlS19_E_NS1_11comp_targetILNS1_3genE3ELNS1_11target_archE908ELNS1_3gpuE7ELNS1_3repE0EEENS1_30default_config_static_selectorELNS0_4arch9wavefront6targetE0EEEvT1_.has_recursion, 0
	.set _ZN7rocprim17ROCPRIM_400000_NS6detail17trampoline_kernelINS0_14default_configENS1_25partition_config_selectorILNS1_17partition_subalgoE8ElNS0_10empty_typeEbEEZZNS1_14partition_implILS5_8ELb0ES3_jPlPS6_PKS6_NS0_5tupleIJS9_S6_EEENSD_IJSA_SA_EEENS0_18inequality_wrapperIZN2at6native12_GLOBAL__N_124unique_dim_cuda_templateIN3c108BFloat16EEESt5tupleIJNSH_6TensorESO_SO_EERKSO_lbbbEUlllE0_EEPmJS6_EEE10hipError_tPvRmT3_T4_T5_T6_T7_T9_mT8_P12ihipStream_tbDpT10_ENKUlT_T0_E_clISt17integral_constantIbLb1EES1D_IbLb0EEEEDaS19_S1A_EUlS19_E_NS1_11comp_targetILNS1_3genE3ELNS1_11target_archE908ELNS1_3gpuE7ELNS1_3repE0EEENS1_30default_config_static_selectorELNS0_4arch9wavefront6targetE0EEEvT1_.has_indirect_call, 0
	.section	.AMDGPU.csdata,"",@progbits
; Kernel info:
; codeLenInByte = 0
; TotalNumSgprs: 0
; NumVgprs: 0
; ScratchSize: 0
; MemoryBound: 0
; FloatMode: 240
; IeeeMode: 1
; LDSByteSize: 0 bytes/workgroup (compile time only)
; SGPRBlocks: 0
; VGPRBlocks: 0
; NumSGPRsForWavesPerEU: 1
; NumVGPRsForWavesPerEU: 1
; NamedBarCnt: 0
; Occupancy: 16
; WaveLimiterHint : 0
; COMPUTE_PGM_RSRC2:SCRATCH_EN: 0
; COMPUTE_PGM_RSRC2:USER_SGPR: 2
; COMPUTE_PGM_RSRC2:TRAP_HANDLER: 0
; COMPUTE_PGM_RSRC2:TGID_X_EN: 1
; COMPUTE_PGM_RSRC2:TGID_Y_EN: 0
; COMPUTE_PGM_RSRC2:TGID_Z_EN: 0
; COMPUTE_PGM_RSRC2:TIDIG_COMP_CNT: 0
	.section	.text._ZN7rocprim17ROCPRIM_400000_NS6detail17trampoline_kernelINS0_14default_configENS1_25partition_config_selectorILNS1_17partition_subalgoE8ElNS0_10empty_typeEbEEZZNS1_14partition_implILS5_8ELb0ES3_jPlPS6_PKS6_NS0_5tupleIJS9_S6_EEENSD_IJSA_SA_EEENS0_18inequality_wrapperIZN2at6native12_GLOBAL__N_124unique_dim_cuda_templateIN3c108BFloat16EEESt5tupleIJNSH_6TensorESO_SO_EERKSO_lbbbEUlllE0_EEPmJS6_EEE10hipError_tPvRmT3_T4_T5_T6_T7_T9_mT8_P12ihipStream_tbDpT10_ENKUlT_T0_E_clISt17integral_constantIbLb1EES1D_IbLb0EEEEDaS19_S1A_EUlS19_E_NS1_11comp_targetILNS1_3genE2ELNS1_11target_archE906ELNS1_3gpuE6ELNS1_3repE0EEENS1_30default_config_static_selectorELNS0_4arch9wavefront6targetE0EEEvT1_,"axG",@progbits,_ZN7rocprim17ROCPRIM_400000_NS6detail17trampoline_kernelINS0_14default_configENS1_25partition_config_selectorILNS1_17partition_subalgoE8ElNS0_10empty_typeEbEEZZNS1_14partition_implILS5_8ELb0ES3_jPlPS6_PKS6_NS0_5tupleIJS9_S6_EEENSD_IJSA_SA_EEENS0_18inequality_wrapperIZN2at6native12_GLOBAL__N_124unique_dim_cuda_templateIN3c108BFloat16EEESt5tupleIJNSH_6TensorESO_SO_EERKSO_lbbbEUlllE0_EEPmJS6_EEE10hipError_tPvRmT3_T4_T5_T6_T7_T9_mT8_P12ihipStream_tbDpT10_ENKUlT_T0_E_clISt17integral_constantIbLb1EES1D_IbLb0EEEEDaS19_S1A_EUlS19_E_NS1_11comp_targetILNS1_3genE2ELNS1_11target_archE906ELNS1_3gpuE6ELNS1_3repE0EEENS1_30default_config_static_selectorELNS0_4arch9wavefront6targetE0EEEvT1_,comdat
	.globl	_ZN7rocprim17ROCPRIM_400000_NS6detail17trampoline_kernelINS0_14default_configENS1_25partition_config_selectorILNS1_17partition_subalgoE8ElNS0_10empty_typeEbEEZZNS1_14partition_implILS5_8ELb0ES3_jPlPS6_PKS6_NS0_5tupleIJS9_S6_EEENSD_IJSA_SA_EEENS0_18inequality_wrapperIZN2at6native12_GLOBAL__N_124unique_dim_cuda_templateIN3c108BFloat16EEESt5tupleIJNSH_6TensorESO_SO_EERKSO_lbbbEUlllE0_EEPmJS6_EEE10hipError_tPvRmT3_T4_T5_T6_T7_T9_mT8_P12ihipStream_tbDpT10_ENKUlT_T0_E_clISt17integral_constantIbLb1EES1D_IbLb0EEEEDaS19_S1A_EUlS19_E_NS1_11comp_targetILNS1_3genE2ELNS1_11target_archE906ELNS1_3gpuE6ELNS1_3repE0EEENS1_30default_config_static_selectorELNS0_4arch9wavefront6targetE0EEEvT1_ ; -- Begin function _ZN7rocprim17ROCPRIM_400000_NS6detail17trampoline_kernelINS0_14default_configENS1_25partition_config_selectorILNS1_17partition_subalgoE8ElNS0_10empty_typeEbEEZZNS1_14partition_implILS5_8ELb0ES3_jPlPS6_PKS6_NS0_5tupleIJS9_S6_EEENSD_IJSA_SA_EEENS0_18inequality_wrapperIZN2at6native12_GLOBAL__N_124unique_dim_cuda_templateIN3c108BFloat16EEESt5tupleIJNSH_6TensorESO_SO_EERKSO_lbbbEUlllE0_EEPmJS6_EEE10hipError_tPvRmT3_T4_T5_T6_T7_T9_mT8_P12ihipStream_tbDpT10_ENKUlT_T0_E_clISt17integral_constantIbLb1EES1D_IbLb0EEEEDaS19_S1A_EUlS19_E_NS1_11comp_targetILNS1_3genE2ELNS1_11target_archE906ELNS1_3gpuE6ELNS1_3repE0EEENS1_30default_config_static_selectorELNS0_4arch9wavefront6targetE0EEEvT1_
	.p2align	8
	.type	_ZN7rocprim17ROCPRIM_400000_NS6detail17trampoline_kernelINS0_14default_configENS1_25partition_config_selectorILNS1_17partition_subalgoE8ElNS0_10empty_typeEbEEZZNS1_14partition_implILS5_8ELb0ES3_jPlPS6_PKS6_NS0_5tupleIJS9_S6_EEENSD_IJSA_SA_EEENS0_18inequality_wrapperIZN2at6native12_GLOBAL__N_124unique_dim_cuda_templateIN3c108BFloat16EEESt5tupleIJNSH_6TensorESO_SO_EERKSO_lbbbEUlllE0_EEPmJS6_EEE10hipError_tPvRmT3_T4_T5_T6_T7_T9_mT8_P12ihipStream_tbDpT10_ENKUlT_T0_E_clISt17integral_constantIbLb1EES1D_IbLb0EEEEDaS19_S1A_EUlS19_E_NS1_11comp_targetILNS1_3genE2ELNS1_11target_archE906ELNS1_3gpuE6ELNS1_3repE0EEENS1_30default_config_static_selectorELNS0_4arch9wavefront6targetE0EEEvT1_,@function
_ZN7rocprim17ROCPRIM_400000_NS6detail17trampoline_kernelINS0_14default_configENS1_25partition_config_selectorILNS1_17partition_subalgoE8ElNS0_10empty_typeEbEEZZNS1_14partition_implILS5_8ELb0ES3_jPlPS6_PKS6_NS0_5tupleIJS9_S6_EEENSD_IJSA_SA_EEENS0_18inequality_wrapperIZN2at6native12_GLOBAL__N_124unique_dim_cuda_templateIN3c108BFloat16EEESt5tupleIJNSH_6TensorESO_SO_EERKSO_lbbbEUlllE0_EEPmJS6_EEE10hipError_tPvRmT3_T4_T5_T6_T7_T9_mT8_P12ihipStream_tbDpT10_ENKUlT_T0_E_clISt17integral_constantIbLb1EES1D_IbLb0EEEEDaS19_S1A_EUlS19_E_NS1_11comp_targetILNS1_3genE2ELNS1_11target_archE906ELNS1_3gpuE6ELNS1_3repE0EEENS1_30default_config_static_selectorELNS0_4arch9wavefront6targetE0EEEvT1_: ; @_ZN7rocprim17ROCPRIM_400000_NS6detail17trampoline_kernelINS0_14default_configENS1_25partition_config_selectorILNS1_17partition_subalgoE8ElNS0_10empty_typeEbEEZZNS1_14partition_implILS5_8ELb0ES3_jPlPS6_PKS6_NS0_5tupleIJS9_S6_EEENSD_IJSA_SA_EEENS0_18inequality_wrapperIZN2at6native12_GLOBAL__N_124unique_dim_cuda_templateIN3c108BFloat16EEESt5tupleIJNSH_6TensorESO_SO_EERKSO_lbbbEUlllE0_EEPmJS6_EEE10hipError_tPvRmT3_T4_T5_T6_T7_T9_mT8_P12ihipStream_tbDpT10_ENKUlT_T0_E_clISt17integral_constantIbLb1EES1D_IbLb0EEEEDaS19_S1A_EUlS19_E_NS1_11comp_targetILNS1_3genE2ELNS1_11target_archE906ELNS1_3gpuE6ELNS1_3repE0EEENS1_30default_config_static_selectorELNS0_4arch9wavefront6targetE0EEEvT1_
; %bb.0:
	.section	.rodata,"a",@progbits
	.p2align	6, 0x0
	.amdhsa_kernel _ZN7rocprim17ROCPRIM_400000_NS6detail17trampoline_kernelINS0_14default_configENS1_25partition_config_selectorILNS1_17partition_subalgoE8ElNS0_10empty_typeEbEEZZNS1_14partition_implILS5_8ELb0ES3_jPlPS6_PKS6_NS0_5tupleIJS9_S6_EEENSD_IJSA_SA_EEENS0_18inequality_wrapperIZN2at6native12_GLOBAL__N_124unique_dim_cuda_templateIN3c108BFloat16EEESt5tupleIJNSH_6TensorESO_SO_EERKSO_lbbbEUlllE0_EEPmJS6_EEE10hipError_tPvRmT3_T4_T5_T6_T7_T9_mT8_P12ihipStream_tbDpT10_ENKUlT_T0_E_clISt17integral_constantIbLb1EES1D_IbLb0EEEEDaS19_S1A_EUlS19_E_NS1_11comp_targetILNS1_3genE2ELNS1_11target_archE906ELNS1_3gpuE6ELNS1_3repE0EEENS1_30default_config_static_selectorELNS0_4arch9wavefront6targetE0EEEvT1_
		.amdhsa_group_segment_fixed_size 0
		.amdhsa_private_segment_fixed_size 0
		.amdhsa_kernarg_size 120
		.amdhsa_user_sgpr_count 2
		.amdhsa_user_sgpr_dispatch_ptr 0
		.amdhsa_user_sgpr_queue_ptr 0
		.amdhsa_user_sgpr_kernarg_segment_ptr 1
		.amdhsa_user_sgpr_dispatch_id 0
		.amdhsa_user_sgpr_kernarg_preload_length 0
		.amdhsa_user_sgpr_kernarg_preload_offset 0
		.amdhsa_user_sgpr_private_segment_size 0
		.amdhsa_wavefront_size32 1
		.amdhsa_uses_dynamic_stack 0
		.amdhsa_enable_private_segment 0
		.amdhsa_system_sgpr_workgroup_id_x 1
		.amdhsa_system_sgpr_workgroup_id_y 0
		.amdhsa_system_sgpr_workgroup_id_z 0
		.amdhsa_system_sgpr_workgroup_info 0
		.amdhsa_system_vgpr_workitem_id 0
		.amdhsa_next_free_vgpr 1
		.amdhsa_next_free_sgpr 1
		.amdhsa_named_barrier_count 0
		.amdhsa_reserve_vcc 0
		.amdhsa_float_round_mode_32 0
		.amdhsa_float_round_mode_16_64 0
		.amdhsa_float_denorm_mode_32 3
		.amdhsa_float_denorm_mode_16_64 3
		.amdhsa_fp16_overflow 0
		.amdhsa_memory_ordered 1
		.amdhsa_forward_progress 1
		.amdhsa_inst_pref_size 0
		.amdhsa_round_robin_scheduling 0
		.amdhsa_exception_fp_ieee_invalid_op 0
		.amdhsa_exception_fp_denorm_src 0
		.amdhsa_exception_fp_ieee_div_zero 0
		.amdhsa_exception_fp_ieee_overflow 0
		.amdhsa_exception_fp_ieee_underflow 0
		.amdhsa_exception_fp_ieee_inexact 0
		.amdhsa_exception_int_div_zero 0
	.end_amdhsa_kernel
	.section	.text._ZN7rocprim17ROCPRIM_400000_NS6detail17trampoline_kernelINS0_14default_configENS1_25partition_config_selectorILNS1_17partition_subalgoE8ElNS0_10empty_typeEbEEZZNS1_14partition_implILS5_8ELb0ES3_jPlPS6_PKS6_NS0_5tupleIJS9_S6_EEENSD_IJSA_SA_EEENS0_18inequality_wrapperIZN2at6native12_GLOBAL__N_124unique_dim_cuda_templateIN3c108BFloat16EEESt5tupleIJNSH_6TensorESO_SO_EERKSO_lbbbEUlllE0_EEPmJS6_EEE10hipError_tPvRmT3_T4_T5_T6_T7_T9_mT8_P12ihipStream_tbDpT10_ENKUlT_T0_E_clISt17integral_constantIbLb1EES1D_IbLb0EEEEDaS19_S1A_EUlS19_E_NS1_11comp_targetILNS1_3genE2ELNS1_11target_archE906ELNS1_3gpuE6ELNS1_3repE0EEENS1_30default_config_static_selectorELNS0_4arch9wavefront6targetE0EEEvT1_,"axG",@progbits,_ZN7rocprim17ROCPRIM_400000_NS6detail17trampoline_kernelINS0_14default_configENS1_25partition_config_selectorILNS1_17partition_subalgoE8ElNS0_10empty_typeEbEEZZNS1_14partition_implILS5_8ELb0ES3_jPlPS6_PKS6_NS0_5tupleIJS9_S6_EEENSD_IJSA_SA_EEENS0_18inequality_wrapperIZN2at6native12_GLOBAL__N_124unique_dim_cuda_templateIN3c108BFloat16EEESt5tupleIJNSH_6TensorESO_SO_EERKSO_lbbbEUlllE0_EEPmJS6_EEE10hipError_tPvRmT3_T4_T5_T6_T7_T9_mT8_P12ihipStream_tbDpT10_ENKUlT_T0_E_clISt17integral_constantIbLb1EES1D_IbLb0EEEEDaS19_S1A_EUlS19_E_NS1_11comp_targetILNS1_3genE2ELNS1_11target_archE906ELNS1_3gpuE6ELNS1_3repE0EEENS1_30default_config_static_selectorELNS0_4arch9wavefront6targetE0EEEvT1_,comdat
.Lfunc_end1194:
	.size	_ZN7rocprim17ROCPRIM_400000_NS6detail17trampoline_kernelINS0_14default_configENS1_25partition_config_selectorILNS1_17partition_subalgoE8ElNS0_10empty_typeEbEEZZNS1_14partition_implILS5_8ELb0ES3_jPlPS6_PKS6_NS0_5tupleIJS9_S6_EEENSD_IJSA_SA_EEENS0_18inequality_wrapperIZN2at6native12_GLOBAL__N_124unique_dim_cuda_templateIN3c108BFloat16EEESt5tupleIJNSH_6TensorESO_SO_EERKSO_lbbbEUlllE0_EEPmJS6_EEE10hipError_tPvRmT3_T4_T5_T6_T7_T9_mT8_P12ihipStream_tbDpT10_ENKUlT_T0_E_clISt17integral_constantIbLb1EES1D_IbLb0EEEEDaS19_S1A_EUlS19_E_NS1_11comp_targetILNS1_3genE2ELNS1_11target_archE906ELNS1_3gpuE6ELNS1_3repE0EEENS1_30default_config_static_selectorELNS0_4arch9wavefront6targetE0EEEvT1_, .Lfunc_end1194-_ZN7rocprim17ROCPRIM_400000_NS6detail17trampoline_kernelINS0_14default_configENS1_25partition_config_selectorILNS1_17partition_subalgoE8ElNS0_10empty_typeEbEEZZNS1_14partition_implILS5_8ELb0ES3_jPlPS6_PKS6_NS0_5tupleIJS9_S6_EEENSD_IJSA_SA_EEENS0_18inequality_wrapperIZN2at6native12_GLOBAL__N_124unique_dim_cuda_templateIN3c108BFloat16EEESt5tupleIJNSH_6TensorESO_SO_EERKSO_lbbbEUlllE0_EEPmJS6_EEE10hipError_tPvRmT3_T4_T5_T6_T7_T9_mT8_P12ihipStream_tbDpT10_ENKUlT_T0_E_clISt17integral_constantIbLb1EES1D_IbLb0EEEEDaS19_S1A_EUlS19_E_NS1_11comp_targetILNS1_3genE2ELNS1_11target_archE906ELNS1_3gpuE6ELNS1_3repE0EEENS1_30default_config_static_selectorELNS0_4arch9wavefront6targetE0EEEvT1_
                                        ; -- End function
	.set _ZN7rocprim17ROCPRIM_400000_NS6detail17trampoline_kernelINS0_14default_configENS1_25partition_config_selectorILNS1_17partition_subalgoE8ElNS0_10empty_typeEbEEZZNS1_14partition_implILS5_8ELb0ES3_jPlPS6_PKS6_NS0_5tupleIJS9_S6_EEENSD_IJSA_SA_EEENS0_18inequality_wrapperIZN2at6native12_GLOBAL__N_124unique_dim_cuda_templateIN3c108BFloat16EEESt5tupleIJNSH_6TensorESO_SO_EERKSO_lbbbEUlllE0_EEPmJS6_EEE10hipError_tPvRmT3_T4_T5_T6_T7_T9_mT8_P12ihipStream_tbDpT10_ENKUlT_T0_E_clISt17integral_constantIbLb1EES1D_IbLb0EEEEDaS19_S1A_EUlS19_E_NS1_11comp_targetILNS1_3genE2ELNS1_11target_archE906ELNS1_3gpuE6ELNS1_3repE0EEENS1_30default_config_static_selectorELNS0_4arch9wavefront6targetE0EEEvT1_.num_vgpr, 0
	.set _ZN7rocprim17ROCPRIM_400000_NS6detail17trampoline_kernelINS0_14default_configENS1_25partition_config_selectorILNS1_17partition_subalgoE8ElNS0_10empty_typeEbEEZZNS1_14partition_implILS5_8ELb0ES3_jPlPS6_PKS6_NS0_5tupleIJS9_S6_EEENSD_IJSA_SA_EEENS0_18inequality_wrapperIZN2at6native12_GLOBAL__N_124unique_dim_cuda_templateIN3c108BFloat16EEESt5tupleIJNSH_6TensorESO_SO_EERKSO_lbbbEUlllE0_EEPmJS6_EEE10hipError_tPvRmT3_T4_T5_T6_T7_T9_mT8_P12ihipStream_tbDpT10_ENKUlT_T0_E_clISt17integral_constantIbLb1EES1D_IbLb0EEEEDaS19_S1A_EUlS19_E_NS1_11comp_targetILNS1_3genE2ELNS1_11target_archE906ELNS1_3gpuE6ELNS1_3repE0EEENS1_30default_config_static_selectorELNS0_4arch9wavefront6targetE0EEEvT1_.num_agpr, 0
	.set _ZN7rocprim17ROCPRIM_400000_NS6detail17trampoline_kernelINS0_14default_configENS1_25partition_config_selectorILNS1_17partition_subalgoE8ElNS0_10empty_typeEbEEZZNS1_14partition_implILS5_8ELb0ES3_jPlPS6_PKS6_NS0_5tupleIJS9_S6_EEENSD_IJSA_SA_EEENS0_18inequality_wrapperIZN2at6native12_GLOBAL__N_124unique_dim_cuda_templateIN3c108BFloat16EEESt5tupleIJNSH_6TensorESO_SO_EERKSO_lbbbEUlllE0_EEPmJS6_EEE10hipError_tPvRmT3_T4_T5_T6_T7_T9_mT8_P12ihipStream_tbDpT10_ENKUlT_T0_E_clISt17integral_constantIbLb1EES1D_IbLb0EEEEDaS19_S1A_EUlS19_E_NS1_11comp_targetILNS1_3genE2ELNS1_11target_archE906ELNS1_3gpuE6ELNS1_3repE0EEENS1_30default_config_static_selectorELNS0_4arch9wavefront6targetE0EEEvT1_.numbered_sgpr, 0
	.set _ZN7rocprim17ROCPRIM_400000_NS6detail17trampoline_kernelINS0_14default_configENS1_25partition_config_selectorILNS1_17partition_subalgoE8ElNS0_10empty_typeEbEEZZNS1_14partition_implILS5_8ELb0ES3_jPlPS6_PKS6_NS0_5tupleIJS9_S6_EEENSD_IJSA_SA_EEENS0_18inequality_wrapperIZN2at6native12_GLOBAL__N_124unique_dim_cuda_templateIN3c108BFloat16EEESt5tupleIJNSH_6TensorESO_SO_EERKSO_lbbbEUlllE0_EEPmJS6_EEE10hipError_tPvRmT3_T4_T5_T6_T7_T9_mT8_P12ihipStream_tbDpT10_ENKUlT_T0_E_clISt17integral_constantIbLb1EES1D_IbLb0EEEEDaS19_S1A_EUlS19_E_NS1_11comp_targetILNS1_3genE2ELNS1_11target_archE906ELNS1_3gpuE6ELNS1_3repE0EEENS1_30default_config_static_selectorELNS0_4arch9wavefront6targetE0EEEvT1_.num_named_barrier, 0
	.set _ZN7rocprim17ROCPRIM_400000_NS6detail17trampoline_kernelINS0_14default_configENS1_25partition_config_selectorILNS1_17partition_subalgoE8ElNS0_10empty_typeEbEEZZNS1_14partition_implILS5_8ELb0ES3_jPlPS6_PKS6_NS0_5tupleIJS9_S6_EEENSD_IJSA_SA_EEENS0_18inequality_wrapperIZN2at6native12_GLOBAL__N_124unique_dim_cuda_templateIN3c108BFloat16EEESt5tupleIJNSH_6TensorESO_SO_EERKSO_lbbbEUlllE0_EEPmJS6_EEE10hipError_tPvRmT3_T4_T5_T6_T7_T9_mT8_P12ihipStream_tbDpT10_ENKUlT_T0_E_clISt17integral_constantIbLb1EES1D_IbLb0EEEEDaS19_S1A_EUlS19_E_NS1_11comp_targetILNS1_3genE2ELNS1_11target_archE906ELNS1_3gpuE6ELNS1_3repE0EEENS1_30default_config_static_selectorELNS0_4arch9wavefront6targetE0EEEvT1_.private_seg_size, 0
	.set _ZN7rocprim17ROCPRIM_400000_NS6detail17trampoline_kernelINS0_14default_configENS1_25partition_config_selectorILNS1_17partition_subalgoE8ElNS0_10empty_typeEbEEZZNS1_14partition_implILS5_8ELb0ES3_jPlPS6_PKS6_NS0_5tupleIJS9_S6_EEENSD_IJSA_SA_EEENS0_18inequality_wrapperIZN2at6native12_GLOBAL__N_124unique_dim_cuda_templateIN3c108BFloat16EEESt5tupleIJNSH_6TensorESO_SO_EERKSO_lbbbEUlllE0_EEPmJS6_EEE10hipError_tPvRmT3_T4_T5_T6_T7_T9_mT8_P12ihipStream_tbDpT10_ENKUlT_T0_E_clISt17integral_constantIbLb1EES1D_IbLb0EEEEDaS19_S1A_EUlS19_E_NS1_11comp_targetILNS1_3genE2ELNS1_11target_archE906ELNS1_3gpuE6ELNS1_3repE0EEENS1_30default_config_static_selectorELNS0_4arch9wavefront6targetE0EEEvT1_.uses_vcc, 0
	.set _ZN7rocprim17ROCPRIM_400000_NS6detail17trampoline_kernelINS0_14default_configENS1_25partition_config_selectorILNS1_17partition_subalgoE8ElNS0_10empty_typeEbEEZZNS1_14partition_implILS5_8ELb0ES3_jPlPS6_PKS6_NS0_5tupleIJS9_S6_EEENSD_IJSA_SA_EEENS0_18inequality_wrapperIZN2at6native12_GLOBAL__N_124unique_dim_cuda_templateIN3c108BFloat16EEESt5tupleIJNSH_6TensorESO_SO_EERKSO_lbbbEUlllE0_EEPmJS6_EEE10hipError_tPvRmT3_T4_T5_T6_T7_T9_mT8_P12ihipStream_tbDpT10_ENKUlT_T0_E_clISt17integral_constantIbLb1EES1D_IbLb0EEEEDaS19_S1A_EUlS19_E_NS1_11comp_targetILNS1_3genE2ELNS1_11target_archE906ELNS1_3gpuE6ELNS1_3repE0EEENS1_30default_config_static_selectorELNS0_4arch9wavefront6targetE0EEEvT1_.uses_flat_scratch, 0
	.set _ZN7rocprim17ROCPRIM_400000_NS6detail17trampoline_kernelINS0_14default_configENS1_25partition_config_selectorILNS1_17partition_subalgoE8ElNS0_10empty_typeEbEEZZNS1_14partition_implILS5_8ELb0ES3_jPlPS6_PKS6_NS0_5tupleIJS9_S6_EEENSD_IJSA_SA_EEENS0_18inequality_wrapperIZN2at6native12_GLOBAL__N_124unique_dim_cuda_templateIN3c108BFloat16EEESt5tupleIJNSH_6TensorESO_SO_EERKSO_lbbbEUlllE0_EEPmJS6_EEE10hipError_tPvRmT3_T4_T5_T6_T7_T9_mT8_P12ihipStream_tbDpT10_ENKUlT_T0_E_clISt17integral_constantIbLb1EES1D_IbLb0EEEEDaS19_S1A_EUlS19_E_NS1_11comp_targetILNS1_3genE2ELNS1_11target_archE906ELNS1_3gpuE6ELNS1_3repE0EEENS1_30default_config_static_selectorELNS0_4arch9wavefront6targetE0EEEvT1_.has_dyn_sized_stack, 0
	.set _ZN7rocprim17ROCPRIM_400000_NS6detail17trampoline_kernelINS0_14default_configENS1_25partition_config_selectorILNS1_17partition_subalgoE8ElNS0_10empty_typeEbEEZZNS1_14partition_implILS5_8ELb0ES3_jPlPS6_PKS6_NS0_5tupleIJS9_S6_EEENSD_IJSA_SA_EEENS0_18inequality_wrapperIZN2at6native12_GLOBAL__N_124unique_dim_cuda_templateIN3c108BFloat16EEESt5tupleIJNSH_6TensorESO_SO_EERKSO_lbbbEUlllE0_EEPmJS6_EEE10hipError_tPvRmT3_T4_T5_T6_T7_T9_mT8_P12ihipStream_tbDpT10_ENKUlT_T0_E_clISt17integral_constantIbLb1EES1D_IbLb0EEEEDaS19_S1A_EUlS19_E_NS1_11comp_targetILNS1_3genE2ELNS1_11target_archE906ELNS1_3gpuE6ELNS1_3repE0EEENS1_30default_config_static_selectorELNS0_4arch9wavefront6targetE0EEEvT1_.has_recursion, 0
	.set _ZN7rocprim17ROCPRIM_400000_NS6detail17trampoline_kernelINS0_14default_configENS1_25partition_config_selectorILNS1_17partition_subalgoE8ElNS0_10empty_typeEbEEZZNS1_14partition_implILS5_8ELb0ES3_jPlPS6_PKS6_NS0_5tupleIJS9_S6_EEENSD_IJSA_SA_EEENS0_18inequality_wrapperIZN2at6native12_GLOBAL__N_124unique_dim_cuda_templateIN3c108BFloat16EEESt5tupleIJNSH_6TensorESO_SO_EERKSO_lbbbEUlllE0_EEPmJS6_EEE10hipError_tPvRmT3_T4_T5_T6_T7_T9_mT8_P12ihipStream_tbDpT10_ENKUlT_T0_E_clISt17integral_constantIbLb1EES1D_IbLb0EEEEDaS19_S1A_EUlS19_E_NS1_11comp_targetILNS1_3genE2ELNS1_11target_archE906ELNS1_3gpuE6ELNS1_3repE0EEENS1_30default_config_static_selectorELNS0_4arch9wavefront6targetE0EEEvT1_.has_indirect_call, 0
	.section	.AMDGPU.csdata,"",@progbits
; Kernel info:
; codeLenInByte = 0
; TotalNumSgprs: 0
; NumVgprs: 0
; ScratchSize: 0
; MemoryBound: 0
; FloatMode: 240
; IeeeMode: 1
; LDSByteSize: 0 bytes/workgroup (compile time only)
; SGPRBlocks: 0
; VGPRBlocks: 0
; NumSGPRsForWavesPerEU: 1
; NumVGPRsForWavesPerEU: 1
; NamedBarCnt: 0
; Occupancy: 16
; WaveLimiterHint : 0
; COMPUTE_PGM_RSRC2:SCRATCH_EN: 0
; COMPUTE_PGM_RSRC2:USER_SGPR: 2
; COMPUTE_PGM_RSRC2:TRAP_HANDLER: 0
; COMPUTE_PGM_RSRC2:TGID_X_EN: 1
; COMPUTE_PGM_RSRC2:TGID_Y_EN: 0
; COMPUTE_PGM_RSRC2:TGID_Z_EN: 0
; COMPUTE_PGM_RSRC2:TIDIG_COMP_CNT: 0
	.section	.text._ZN7rocprim17ROCPRIM_400000_NS6detail17trampoline_kernelINS0_14default_configENS1_25partition_config_selectorILNS1_17partition_subalgoE8ElNS0_10empty_typeEbEEZZNS1_14partition_implILS5_8ELb0ES3_jPlPS6_PKS6_NS0_5tupleIJS9_S6_EEENSD_IJSA_SA_EEENS0_18inequality_wrapperIZN2at6native12_GLOBAL__N_124unique_dim_cuda_templateIN3c108BFloat16EEESt5tupleIJNSH_6TensorESO_SO_EERKSO_lbbbEUlllE0_EEPmJS6_EEE10hipError_tPvRmT3_T4_T5_T6_T7_T9_mT8_P12ihipStream_tbDpT10_ENKUlT_T0_E_clISt17integral_constantIbLb1EES1D_IbLb0EEEEDaS19_S1A_EUlS19_E_NS1_11comp_targetILNS1_3genE10ELNS1_11target_archE1200ELNS1_3gpuE4ELNS1_3repE0EEENS1_30default_config_static_selectorELNS0_4arch9wavefront6targetE0EEEvT1_,"axG",@progbits,_ZN7rocprim17ROCPRIM_400000_NS6detail17trampoline_kernelINS0_14default_configENS1_25partition_config_selectorILNS1_17partition_subalgoE8ElNS0_10empty_typeEbEEZZNS1_14partition_implILS5_8ELb0ES3_jPlPS6_PKS6_NS0_5tupleIJS9_S6_EEENSD_IJSA_SA_EEENS0_18inequality_wrapperIZN2at6native12_GLOBAL__N_124unique_dim_cuda_templateIN3c108BFloat16EEESt5tupleIJNSH_6TensorESO_SO_EERKSO_lbbbEUlllE0_EEPmJS6_EEE10hipError_tPvRmT3_T4_T5_T6_T7_T9_mT8_P12ihipStream_tbDpT10_ENKUlT_T0_E_clISt17integral_constantIbLb1EES1D_IbLb0EEEEDaS19_S1A_EUlS19_E_NS1_11comp_targetILNS1_3genE10ELNS1_11target_archE1200ELNS1_3gpuE4ELNS1_3repE0EEENS1_30default_config_static_selectorELNS0_4arch9wavefront6targetE0EEEvT1_,comdat
	.globl	_ZN7rocprim17ROCPRIM_400000_NS6detail17trampoline_kernelINS0_14default_configENS1_25partition_config_selectorILNS1_17partition_subalgoE8ElNS0_10empty_typeEbEEZZNS1_14partition_implILS5_8ELb0ES3_jPlPS6_PKS6_NS0_5tupleIJS9_S6_EEENSD_IJSA_SA_EEENS0_18inequality_wrapperIZN2at6native12_GLOBAL__N_124unique_dim_cuda_templateIN3c108BFloat16EEESt5tupleIJNSH_6TensorESO_SO_EERKSO_lbbbEUlllE0_EEPmJS6_EEE10hipError_tPvRmT3_T4_T5_T6_T7_T9_mT8_P12ihipStream_tbDpT10_ENKUlT_T0_E_clISt17integral_constantIbLb1EES1D_IbLb0EEEEDaS19_S1A_EUlS19_E_NS1_11comp_targetILNS1_3genE10ELNS1_11target_archE1200ELNS1_3gpuE4ELNS1_3repE0EEENS1_30default_config_static_selectorELNS0_4arch9wavefront6targetE0EEEvT1_ ; -- Begin function _ZN7rocprim17ROCPRIM_400000_NS6detail17trampoline_kernelINS0_14default_configENS1_25partition_config_selectorILNS1_17partition_subalgoE8ElNS0_10empty_typeEbEEZZNS1_14partition_implILS5_8ELb0ES3_jPlPS6_PKS6_NS0_5tupleIJS9_S6_EEENSD_IJSA_SA_EEENS0_18inequality_wrapperIZN2at6native12_GLOBAL__N_124unique_dim_cuda_templateIN3c108BFloat16EEESt5tupleIJNSH_6TensorESO_SO_EERKSO_lbbbEUlllE0_EEPmJS6_EEE10hipError_tPvRmT3_T4_T5_T6_T7_T9_mT8_P12ihipStream_tbDpT10_ENKUlT_T0_E_clISt17integral_constantIbLb1EES1D_IbLb0EEEEDaS19_S1A_EUlS19_E_NS1_11comp_targetILNS1_3genE10ELNS1_11target_archE1200ELNS1_3gpuE4ELNS1_3repE0EEENS1_30default_config_static_selectorELNS0_4arch9wavefront6targetE0EEEvT1_
	.p2align	8
	.type	_ZN7rocprim17ROCPRIM_400000_NS6detail17trampoline_kernelINS0_14default_configENS1_25partition_config_selectorILNS1_17partition_subalgoE8ElNS0_10empty_typeEbEEZZNS1_14partition_implILS5_8ELb0ES3_jPlPS6_PKS6_NS0_5tupleIJS9_S6_EEENSD_IJSA_SA_EEENS0_18inequality_wrapperIZN2at6native12_GLOBAL__N_124unique_dim_cuda_templateIN3c108BFloat16EEESt5tupleIJNSH_6TensorESO_SO_EERKSO_lbbbEUlllE0_EEPmJS6_EEE10hipError_tPvRmT3_T4_T5_T6_T7_T9_mT8_P12ihipStream_tbDpT10_ENKUlT_T0_E_clISt17integral_constantIbLb1EES1D_IbLb0EEEEDaS19_S1A_EUlS19_E_NS1_11comp_targetILNS1_3genE10ELNS1_11target_archE1200ELNS1_3gpuE4ELNS1_3repE0EEENS1_30default_config_static_selectorELNS0_4arch9wavefront6targetE0EEEvT1_,@function
_ZN7rocprim17ROCPRIM_400000_NS6detail17trampoline_kernelINS0_14default_configENS1_25partition_config_selectorILNS1_17partition_subalgoE8ElNS0_10empty_typeEbEEZZNS1_14partition_implILS5_8ELb0ES3_jPlPS6_PKS6_NS0_5tupleIJS9_S6_EEENSD_IJSA_SA_EEENS0_18inequality_wrapperIZN2at6native12_GLOBAL__N_124unique_dim_cuda_templateIN3c108BFloat16EEESt5tupleIJNSH_6TensorESO_SO_EERKSO_lbbbEUlllE0_EEPmJS6_EEE10hipError_tPvRmT3_T4_T5_T6_T7_T9_mT8_P12ihipStream_tbDpT10_ENKUlT_T0_E_clISt17integral_constantIbLb1EES1D_IbLb0EEEEDaS19_S1A_EUlS19_E_NS1_11comp_targetILNS1_3genE10ELNS1_11target_archE1200ELNS1_3gpuE4ELNS1_3repE0EEENS1_30default_config_static_selectorELNS0_4arch9wavefront6targetE0EEEvT1_: ; @_ZN7rocprim17ROCPRIM_400000_NS6detail17trampoline_kernelINS0_14default_configENS1_25partition_config_selectorILNS1_17partition_subalgoE8ElNS0_10empty_typeEbEEZZNS1_14partition_implILS5_8ELb0ES3_jPlPS6_PKS6_NS0_5tupleIJS9_S6_EEENSD_IJSA_SA_EEENS0_18inequality_wrapperIZN2at6native12_GLOBAL__N_124unique_dim_cuda_templateIN3c108BFloat16EEESt5tupleIJNSH_6TensorESO_SO_EERKSO_lbbbEUlllE0_EEPmJS6_EEE10hipError_tPvRmT3_T4_T5_T6_T7_T9_mT8_P12ihipStream_tbDpT10_ENKUlT_T0_E_clISt17integral_constantIbLb1EES1D_IbLb0EEEEDaS19_S1A_EUlS19_E_NS1_11comp_targetILNS1_3genE10ELNS1_11target_archE1200ELNS1_3gpuE4ELNS1_3repE0EEENS1_30default_config_static_selectorELNS0_4arch9wavefront6targetE0EEEvT1_
; %bb.0:
	.section	.rodata,"a",@progbits
	.p2align	6, 0x0
	.amdhsa_kernel _ZN7rocprim17ROCPRIM_400000_NS6detail17trampoline_kernelINS0_14default_configENS1_25partition_config_selectorILNS1_17partition_subalgoE8ElNS0_10empty_typeEbEEZZNS1_14partition_implILS5_8ELb0ES3_jPlPS6_PKS6_NS0_5tupleIJS9_S6_EEENSD_IJSA_SA_EEENS0_18inequality_wrapperIZN2at6native12_GLOBAL__N_124unique_dim_cuda_templateIN3c108BFloat16EEESt5tupleIJNSH_6TensorESO_SO_EERKSO_lbbbEUlllE0_EEPmJS6_EEE10hipError_tPvRmT3_T4_T5_T6_T7_T9_mT8_P12ihipStream_tbDpT10_ENKUlT_T0_E_clISt17integral_constantIbLb1EES1D_IbLb0EEEEDaS19_S1A_EUlS19_E_NS1_11comp_targetILNS1_3genE10ELNS1_11target_archE1200ELNS1_3gpuE4ELNS1_3repE0EEENS1_30default_config_static_selectorELNS0_4arch9wavefront6targetE0EEEvT1_
		.amdhsa_group_segment_fixed_size 0
		.amdhsa_private_segment_fixed_size 0
		.amdhsa_kernarg_size 120
		.amdhsa_user_sgpr_count 2
		.amdhsa_user_sgpr_dispatch_ptr 0
		.amdhsa_user_sgpr_queue_ptr 0
		.amdhsa_user_sgpr_kernarg_segment_ptr 1
		.amdhsa_user_sgpr_dispatch_id 0
		.amdhsa_user_sgpr_kernarg_preload_length 0
		.amdhsa_user_sgpr_kernarg_preload_offset 0
		.amdhsa_user_sgpr_private_segment_size 0
		.amdhsa_wavefront_size32 1
		.amdhsa_uses_dynamic_stack 0
		.amdhsa_enable_private_segment 0
		.amdhsa_system_sgpr_workgroup_id_x 1
		.amdhsa_system_sgpr_workgroup_id_y 0
		.amdhsa_system_sgpr_workgroup_id_z 0
		.amdhsa_system_sgpr_workgroup_info 0
		.amdhsa_system_vgpr_workitem_id 0
		.amdhsa_next_free_vgpr 1
		.amdhsa_next_free_sgpr 1
		.amdhsa_named_barrier_count 0
		.amdhsa_reserve_vcc 0
		.amdhsa_float_round_mode_32 0
		.amdhsa_float_round_mode_16_64 0
		.amdhsa_float_denorm_mode_32 3
		.amdhsa_float_denorm_mode_16_64 3
		.amdhsa_fp16_overflow 0
		.amdhsa_memory_ordered 1
		.amdhsa_forward_progress 1
		.amdhsa_inst_pref_size 0
		.amdhsa_round_robin_scheduling 0
		.amdhsa_exception_fp_ieee_invalid_op 0
		.amdhsa_exception_fp_denorm_src 0
		.amdhsa_exception_fp_ieee_div_zero 0
		.amdhsa_exception_fp_ieee_overflow 0
		.amdhsa_exception_fp_ieee_underflow 0
		.amdhsa_exception_fp_ieee_inexact 0
		.amdhsa_exception_int_div_zero 0
	.end_amdhsa_kernel
	.section	.text._ZN7rocprim17ROCPRIM_400000_NS6detail17trampoline_kernelINS0_14default_configENS1_25partition_config_selectorILNS1_17partition_subalgoE8ElNS0_10empty_typeEbEEZZNS1_14partition_implILS5_8ELb0ES3_jPlPS6_PKS6_NS0_5tupleIJS9_S6_EEENSD_IJSA_SA_EEENS0_18inequality_wrapperIZN2at6native12_GLOBAL__N_124unique_dim_cuda_templateIN3c108BFloat16EEESt5tupleIJNSH_6TensorESO_SO_EERKSO_lbbbEUlllE0_EEPmJS6_EEE10hipError_tPvRmT3_T4_T5_T6_T7_T9_mT8_P12ihipStream_tbDpT10_ENKUlT_T0_E_clISt17integral_constantIbLb1EES1D_IbLb0EEEEDaS19_S1A_EUlS19_E_NS1_11comp_targetILNS1_3genE10ELNS1_11target_archE1200ELNS1_3gpuE4ELNS1_3repE0EEENS1_30default_config_static_selectorELNS0_4arch9wavefront6targetE0EEEvT1_,"axG",@progbits,_ZN7rocprim17ROCPRIM_400000_NS6detail17trampoline_kernelINS0_14default_configENS1_25partition_config_selectorILNS1_17partition_subalgoE8ElNS0_10empty_typeEbEEZZNS1_14partition_implILS5_8ELb0ES3_jPlPS6_PKS6_NS0_5tupleIJS9_S6_EEENSD_IJSA_SA_EEENS0_18inequality_wrapperIZN2at6native12_GLOBAL__N_124unique_dim_cuda_templateIN3c108BFloat16EEESt5tupleIJNSH_6TensorESO_SO_EERKSO_lbbbEUlllE0_EEPmJS6_EEE10hipError_tPvRmT3_T4_T5_T6_T7_T9_mT8_P12ihipStream_tbDpT10_ENKUlT_T0_E_clISt17integral_constantIbLb1EES1D_IbLb0EEEEDaS19_S1A_EUlS19_E_NS1_11comp_targetILNS1_3genE10ELNS1_11target_archE1200ELNS1_3gpuE4ELNS1_3repE0EEENS1_30default_config_static_selectorELNS0_4arch9wavefront6targetE0EEEvT1_,comdat
.Lfunc_end1195:
	.size	_ZN7rocprim17ROCPRIM_400000_NS6detail17trampoline_kernelINS0_14default_configENS1_25partition_config_selectorILNS1_17partition_subalgoE8ElNS0_10empty_typeEbEEZZNS1_14partition_implILS5_8ELb0ES3_jPlPS6_PKS6_NS0_5tupleIJS9_S6_EEENSD_IJSA_SA_EEENS0_18inequality_wrapperIZN2at6native12_GLOBAL__N_124unique_dim_cuda_templateIN3c108BFloat16EEESt5tupleIJNSH_6TensorESO_SO_EERKSO_lbbbEUlllE0_EEPmJS6_EEE10hipError_tPvRmT3_T4_T5_T6_T7_T9_mT8_P12ihipStream_tbDpT10_ENKUlT_T0_E_clISt17integral_constantIbLb1EES1D_IbLb0EEEEDaS19_S1A_EUlS19_E_NS1_11comp_targetILNS1_3genE10ELNS1_11target_archE1200ELNS1_3gpuE4ELNS1_3repE0EEENS1_30default_config_static_selectorELNS0_4arch9wavefront6targetE0EEEvT1_, .Lfunc_end1195-_ZN7rocprim17ROCPRIM_400000_NS6detail17trampoline_kernelINS0_14default_configENS1_25partition_config_selectorILNS1_17partition_subalgoE8ElNS0_10empty_typeEbEEZZNS1_14partition_implILS5_8ELb0ES3_jPlPS6_PKS6_NS0_5tupleIJS9_S6_EEENSD_IJSA_SA_EEENS0_18inequality_wrapperIZN2at6native12_GLOBAL__N_124unique_dim_cuda_templateIN3c108BFloat16EEESt5tupleIJNSH_6TensorESO_SO_EERKSO_lbbbEUlllE0_EEPmJS6_EEE10hipError_tPvRmT3_T4_T5_T6_T7_T9_mT8_P12ihipStream_tbDpT10_ENKUlT_T0_E_clISt17integral_constantIbLb1EES1D_IbLb0EEEEDaS19_S1A_EUlS19_E_NS1_11comp_targetILNS1_3genE10ELNS1_11target_archE1200ELNS1_3gpuE4ELNS1_3repE0EEENS1_30default_config_static_selectorELNS0_4arch9wavefront6targetE0EEEvT1_
                                        ; -- End function
	.set _ZN7rocprim17ROCPRIM_400000_NS6detail17trampoline_kernelINS0_14default_configENS1_25partition_config_selectorILNS1_17partition_subalgoE8ElNS0_10empty_typeEbEEZZNS1_14partition_implILS5_8ELb0ES3_jPlPS6_PKS6_NS0_5tupleIJS9_S6_EEENSD_IJSA_SA_EEENS0_18inequality_wrapperIZN2at6native12_GLOBAL__N_124unique_dim_cuda_templateIN3c108BFloat16EEESt5tupleIJNSH_6TensorESO_SO_EERKSO_lbbbEUlllE0_EEPmJS6_EEE10hipError_tPvRmT3_T4_T5_T6_T7_T9_mT8_P12ihipStream_tbDpT10_ENKUlT_T0_E_clISt17integral_constantIbLb1EES1D_IbLb0EEEEDaS19_S1A_EUlS19_E_NS1_11comp_targetILNS1_3genE10ELNS1_11target_archE1200ELNS1_3gpuE4ELNS1_3repE0EEENS1_30default_config_static_selectorELNS0_4arch9wavefront6targetE0EEEvT1_.num_vgpr, 0
	.set _ZN7rocprim17ROCPRIM_400000_NS6detail17trampoline_kernelINS0_14default_configENS1_25partition_config_selectorILNS1_17partition_subalgoE8ElNS0_10empty_typeEbEEZZNS1_14partition_implILS5_8ELb0ES3_jPlPS6_PKS6_NS0_5tupleIJS9_S6_EEENSD_IJSA_SA_EEENS0_18inequality_wrapperIZN2at6native12_GLOBAL__N_124unique_dim_cuda_templateIN3c108BFloat16EEESt5tupleIJNSH_6TensorESO_SO_EERKSO_lbbbEUlllE0_EEPmJS6_EEE10hipError_tPvRmT3_T4_T5_T6_T7_T9_mT8_P12ihipStream_tbDpT10_ENKUlT_T0_E_clISt17integral_constantIbLb1EES1D_IbLb0EEEEDaS19_S1A_EUlS19_E_NS1_11comp_targetILNS1_3genE10ELNS1_11target_archE1200ELNS1_3gpuE4ELNS1_3repE0EEENS1_30default_config_static_selectorELNS0_4arch9wavefront6targetE0EEEvT1_.num_agpr, 0
	.set _ZN7rocprim17ROCPRIM_400000_NS6detail17trampoline_kernelINS0_14default_configENS1_25partition_config_selectorILNS1_17partition_subalgoE8ElNS0_10empty_typeEbEEZZNS1_14partition_implILS5_8ELb0ES3_jPlPS6_PKS6_NS0_5tupleIJS9_S6_EEENSD_IJSA_SA_EEENS0_18inequality_wrapperIZN2at6native12_GLOBAL__N_124unique_dim_cuda_templateIN3c108BFloat16EEESt5tupleIJNSH_6TensorESO_SO_EERKSO_lbbbEUlllE0_EEPmJS6_EEE10hipError_tPvRmT3_T4_T5_T6_T7_T9_mT8_P12ihipStream_tbDpT10_ENKUlT_T0_E_clISt17integral_constantIbLb1EES1D_IbLb0EEEEDaS19_S1A_EUlS19_E_NS1_11comp_targetILNS1_3genE10ELNS1_11target_archE1200ELNS1_3gpuE4ELNS1_3repE0EEENS1_30default_config_static_selectorELNS0_4arch9wavefront6targetE0EEEvT1_.numbered_sgpr, 0
	.set _ZN7rocprim17ROCPRIM_400000_NS6detail17trampoline_kernelINS0_14default_configENS1_25partition_config_selectorILNS1_17partition_subalgoE8ElNS0_10empty_typeEbEEZZNS1_14partition_implILS5_8ELb0ES3_jPlPS6_PKS6_NS0_5tupleIJS9_S6_EEENSD_IJSA_SA_EEENS0_18inequality_wrapperIZN2at6native12_GLOBAL__N_124unique_dim_cuda_templateIN3c108BFloat16EEESt5tupleIJNSH_6TensorESO_SO_EERKSO_lbbbEUlllE0_EEPmJS6_EEE10hipError_tPvRmT3_T4_T5_T6_T7_T9_mT8_P12ihipStream_tbDpT10_ENKUlT_T0_E_clISt17integral_constantIbLb1EES1D_IbLb0EEEEDaS19_S1A_EUlS19_E_NS1_11comp_targetILNS1_3genE10ELNS1_11target_archE1200ELNS1_3gpuE4ELNS1_3repE0EEENS1_30default_config_static_selectorELNS0_4arch9wavefront6targetE0EEEvT1_.num_named_barrier, 0
	.set _ZN7rocprim17ROCPRIM_400000_NS6detail17trampoline_kernelINS0_14default_configENS1_25partition_config_selectorILNS1_17partition_subalgoE8ElNS0_10empty_typeEbEEZZNS1_14partition_implILS5_8ELb0ES3_jPlPS6_PKS6_NS0_5tupleIJS9_S6_EEENSD_IJSA_SA_EEENS0_18inequality_wrapperIZN2at6native12_GLOBAL__N_124unique_dim_cuda_templateIN3c108BFloat16EEESt5tupleIJNSH_6TensorESO_SO_EERKSO_lbbbEUlllE0_EEPmJS6_EEE10hipError_tPvRmT3_T4_T5_T6_T7_T9_mT8_P12ihipStream_tbDpT10_ENKUlT_T0_E_clISt17integral_constantIbLb1EES1D_IbLb0EEEEDaS19_S1A_EUlS19_E_NS1_11comp_targetILNS1_3genE10ELNS1_11target_archE1200ELNS1_3gpuE4ELNS1_3repE0EEENS1_30default_config_static_selectorELNS0_4arch9wavefront6targetE0EEEvT1_.private_seg_size, 0
	.set _ZN7rocprim17ROCPRIM_400000_NS6detail17trampoline_kernelINS0_14default_configENS1_25partition_config_selectorILNS1_17partition_subalgoE8ElNS0_10empty_typeEbEEZZNS1_14partition_implILS5_8ELb0ES3_jPlPS6_PKS6_NS0_5tupleIJS9_S6_EEENSD_IJSA_SA_EEENS0_18inequality_wrapperIZN2at6native12_GLOBAL__N_124unique_dim_cuda_templateIN3c108BFloat16EEESt5tupleIJNSH_6TensorESO_SO_EERKSO_lbbbEUlllE0_EEPmJS6_EEE10hipError_tPvRmT3_T4_T5_T6_T7_T9_mT8_P12ihipStream_tbDpT10_ENKUlT_T0_E_clISt17integral_constantIbLb1EES1D_IbLb0EEEEDaS19_S1A_EUlS19_E_NS1_11comp_targetILNS1_3genE10ELNS1_11target_archE1200ELNS1_3gpuE4ELNS1_3repE0EEENS1_30default_config_static_selectorELNS0_4arch9wavefront6targetE0EEEvT1_.uses_vcc, 0
	.set _ZN7rocprim17ROCPRIM_400000_NS6detail17trampoline_kernelINS0_14default_configENS1_25partition_config_selectorILNS1_17partition_subalgoE8ElNS0_10empty_typeEbEEZZNS1_14partition_implILS5_8ELb0ES3_jPlPS6_PKS6_NS0_5tupleIJS9_S6_EEENSD_IJSA_SA_EEENS0_18inequality_wrapperIZN2at6native12_GLOBAL__N_124unique_dim_cuda_templateIN3c108BFloat16EEESt5tupleIJNSH_6TensorESO_SO_EERKSO_lbbbEUlllE0_EEPmJS6_EEE10hipError_tPvRmT3_T4_T5_T6_T7_T9_mT8_P12ihipStream_tbDpT10_ENKUlT_T0_E_clISt17integral_constantIbLb1EES1D_IbLb0EEEEDaS19_S1A_EUlS19_E_NS1_11comp_targetILNS1_3genE10ELNS1_11target_archE1200ELNS1_3gpuE4ELNS1_3repE0EEENS1_30default_config_static_selectorELNS0_4arch9wavefront6targetE0EEEvT1_.uses_flat_scratch, 0
	.set _ZN7rocprim17ROCPRIM_400000_NS6detail17trampoline_kernelINS0_14default_configENS1_25partition_config_selectorILNS1_17partition_subalgoE8ElNS0_10empty_typeEbEEZZNS1_14partition_implILS5_8ELb0ES3_jPlPS6_PKS6_NS0_5tupleIJS9_S6_EEENSD_IJSA_SA_EEENS0_18inequality_wrapperIZN2at6native12_GLOBAL__N_124unique_dim_cuda_templateIN3c108BFloat16EEESt5tupleIJNSH_6TensorESO_SO_EERKSO_lbbbEUlllE0_EEPmJS6_EEE10hipError_tPvRmT3_T4_T5_T6_T7_T9_mT8_P12ihipStream_tbDpT10_ENKUlT_T0_E_clISt17integral_constantIbLb1EES1D_IbLb0EEEEDaS19_S1A_EUlS19_E_NS1_11comp_targetILNS1_3genE10ELNS1_11target_archE1200ELNS1_3gpuE4ELNS1_3repE0EEENS1_30default_config_static_selectorELNS0_4arch9wavefront6targetE0EEEvT1_.has_dyn_sized_stack, 0
	.set _ZN7rocprim17ROCPRIM_400000_NS6detail17trampoline_kernelINS0_14default_configENS1_25partition_config_selectorILNS1_17partition_subalgoE8ElNS0_10empty_typeEbEEZZNS1_14partition_implILS5_8ELb0ES3_jPlPS6_PKS6_NS0_5tupleIJS9_S6_EEENSD_IJSA_SA_EEENS0_18inequality_wrapperIZN2at6native12_GLOBAL__N_124unique_dim_cuda_templateIN3c108BFloat16EEESt5tupleIJNSH_6TensorESO_SO_EERKSO_lbbbEUlllE0_EEPmJS6_EEE10hipError_tPvRmT3_T4_T5_T6_T7_T9_mT8_P12ihipStream_tbDpT10_ENKUlT_T0_E_clISt17integral_constantIbLb1EES1D_IbLb0EEEEDaS19_S1A_EUlS19_E_NS1_11comp_targetILNS1_3genE10ELNS1_11target_archE1200ELNS1_3gpuE4ELNS1_3repE0EEENS1_30default_config_static_selectorELNS0_4arch9wavefront6targetE0EEEvT1_.has_recursion, 0
	.set _ZN7rocprim17ROCPRIM_400000_NS6detail17trampoline_kernelINS0_14default_configENS1_25partition_config_selectorILNS1_17partition_subalgoE8ElNS0_10empty_typeEbEEZZNS1_14partition_implILS5_8ELb0ES3_jPlPS6_PKS6_NS0_5tupleIJS9_S6_EEENSD_IJSA_SA_EEENS0_18inequality_wrapperIZN2at6native12_GLOBAL__N_124unique_dim_cuda_templateIN3c108BFloat16EEESt5tupleIJNSH_6TensorESO_SO_EERKSO_lbbbEUlllE0_EEPmJS6_EEE10hipError_tPvRmT3_T4_T5_T6_T7_T9_mT8_P12ihipStream_tbDpT10_ENKUlT_T0_E_clISt17integral_constantIbLb1EES1D_IbLb0EEEEDaS19_S1A_EUlS19_E_NS1_11comp_targetILNS1_3genE10ELNS1_11target_archE1200ELNS1_3gpuE4ELNS1_3repE0EEENS1_30default_config_static_selectorELNS0_4arch9wavefront6targetE0EEEvT1_.has_indirect_call, 0
	.section	.AMDGPU.csdata,"",@progbits
; Kernel info:
; codeLenInByte = 0
; TotalNumSgprs: 0
; NumVgprs: 0
; ScratchSize: 0
; MemoryBound: 0
; FloatMode: 240
; IeeeMode: 1
; LDSByteSize: 0 bytes/workgroup (compile time only)
; SGPRBlocks: 0
; VGPRBlocks: 0
; NumSGPRsForWavesPerEU: 1
; NumVGPRsForWavesPerEU: 1
; NamedBarCnt: 0
; Occupancy: 16
; WaveLimiterHint : 0
; COMPUTE_PGM_RSRC2:SCRATCH_EN: 0
; COMPUTE_PGM_RSRC2:USER_SGPR: 2
; COMPUTE_PGM_RSRC2:TRAP_HANDLER: 0
; COMPUTE_PGM_RSRC2:TGID_X_EN: 1
; COMPUTE_PGM_RSRC2:TGID_Y_EN: 0
; COMPUTE_PGM_RSRC2:TGID_Z_EN: 0
; COMPUTE_PGM_RSRC2:TIDIG_COMP_CNT: 0
	.section	.text._ZN7rocprim17ROCPRIM_400000_NS6detail17trampoline_kernelINS0_14default_configENS1_25partition_config_selectorILNS1_17partition_subalgoE8ElNS0_10empty_typeEbEEZZNS1_14partition_implILS5_8ELb0ES3_jPlPS6_PKS6_NS0_5tupleIJS9_S6_EEENSD_IJSA_SA_EEENS0_18inequality_wrapperIZN2at6native12_GLOBAL__N_124unique_dim_cuda_templateIN3c108BFloat16EEESt5tupleIJNSH_6TensorESO_SO_EERKSO_lbbbEUlllE0_EEPmJS6_EEE10hipError_tPvRmT3_T4_T5_T6_T7_T9_mT8_P12ihipStream_tbDpT10_ENKUlT_T0_E_clISt17integral_constantIbLb1EES1D_IbLb0EEEEDaS19_S1A_EUlS19_E_NS1_11comp_targetILNS1_3genE9ELNS1_11target_archE1100ELNS1_3gpuE3ELNS1_3repE0EEENS1_30default_config_static_selectorELNS0_4arch9wavefront6targetE0EEEvT1_,"axG",@progbits,_ZN7rocprim17ROCPRIM_400000_NS6detail17trampoline_kernelINS0_14default_configENS1_25partition_config_selectorILNS1_17partition_subalgoE8ElNS0_10empty_typeEbEEZZNS1_14partition_implILS5_8ELb0ES3_jPlPS6_PKS6_NS0_5tupleIJS9_S6_EEENSD_IJSA_SA_EEENS0_18inequality_wrapperIZN2at6native12_GLOBAL__N_124unique_dim_cuda_templateIN3c108BFloat16EEESt5tupleIJNSH_6TensorESO_SO_EERKSO_lbbbEUlllE0_EEPmJS6_EEE10hipError_tPvRmT3_T4_T5_T6_T7_T9_mT8_P12ihipStream_tbDpT10_ENKUlT_T0_E_clISt17integral_constantIbLb1EES1D_IbLb0EEEEDaS19_S1A_EUlS19_E_NS1_11comp_targetILNS1_3genE9ELNS1_11target_archE1100ELNS1_3gpuE3ELNS1_3repE0EEENS1_30default_config_static_selectorELNS0_4arch9wavefront6targetE0EEEvT1_,comdat
	.globl	_ZN7rocprim17ROCPRIM_400000_NS6detail17trampoline_kernelINS0_14default_configENS1_25partition_config_selectorILNS1_17partition_subalgoE8ElNS0_10empty_typeEbEEZZNS1_14partition_implILS5_8ELb0ES3_jPlPS6_PKS6_NS0_5tupleIJS9_S6_EEENSD_IJSA_SA_EEENS0_18inequality_wrapperIZN2at6native12_GLOBAL__N_124unique_dim_cuda_templateIN3c108BFloat16EEESt5tupleIJNSH_6TensorESO_SO_EERKSO_lbbbEUlllE0_EEPmJS6_EEE10hipError_tPvRmT3_T4_T5_T6_T7_T9_mT8_P12ihipStream_tbDpT10_ENKUlT_T0_E_clISt17integral_constantIbLb1EES1D_IbLb0EEEEDaS19_S1A_EUlS19_E_NS1_11comp_targetILNS1_3genE9ELNS1_11target_archE1100ELNS1_3gpuE3ELNS1_3repE0EEENS1_30default_config_static_selectorELNS0_4arch9wavefront6targetE0EEEvT1_ ; -- Begin function _ZN7rocprim17ROCPRIM_400000_NS6detail17trampoline_kernelINS0_14default_configENS1_25partition_config_selectorILNS1_17partition_subalgoE8ElNS0_10empty_typeEbEEZZNS1_14partition_implILS5_8ELb0ES3_jPlPS6_PKS6_NS0_5tupleIJS9_S6_EEENSD_IJSA_SA_EEENS0_18inequality_wrapperIZN2at6native12_GLOBAL__N_124unique_dim_cuda_templateIN3c108BFloat16EEESt5tupleIJNSH_6TensorESO_SO_EERKSO_lbbbEUlllE0_EEPmJS6_EEE10hipError_tPvRmT3_T4_T5_T6_T7_T9_mT8_P12ihipStream_tbDpT10_ENKUlT_T0_E_clISt17integral_constantIbLb1EES1D_IbLb0EEEEDaS19_S1A_EUlS19_E_NS1_11comp_targetILNS1_3genE9ELNS1_11target_archE1100ELNS1_3gpuE3ELNS1_3repE0EEENS1_30default_config_static_selectorELNS0_4arch9wavefront6targetE0EEEvT1_
	.p2align	8
	.type	_ZN7rocprim17ROCPRIM_400000_NS6detail17trampoline_kernelINS0_14default_configENS1_25partition_config_selectorILNS1_17partition_subalgoE8ElNS0_10empty_typeEbEEZZNS1_14partition_implILS5_8ELb0ES3_jPlPS6_PKS6_NS0_5tupleIJS9_S6_EEENSD_IJSA_SA_EEENS0_18inequality_wrapperIZN2at6native12_GLOBAL__N_124unique_dim_cuda_templateIN3c108BFloat16EEESt5tupleIJNSH_6TensorESO_SO_EERKSO_lbbbEUlllE0_EEPmJS6_EEE10hipError_tPvRmT3_T4_T5_T6_T7_T9_mT8_P12ihipStream_tbDpT10_ENKUlT_T0_E_clISt17integral_constantIbLb1EES1D_IbLb0EEEEDaS19_S1A_EUlS19_E_NS1_11comp_targetILNS1_3genE9ELNS1_11target_archE1100ELNS1_3gpuE3ELNS1_3repE0EEENS1_30default_config_static_selectorELNS0_4arch9wavefront6targetE0EEEvT1_,@function
_ZN7rocprim17ROCPRIM_400000_NS6detail17trampoline_kernelINS0_14default_configENS1_25partition_config_selectorILNS1_17partition_subalgoE8ElNS0_10empty_typeEbEEZZNS1_14partition_implILS5_8ELb0ES3_jPlPS6_PKS6_NS0_5tupleIJS9_S6_EEENSD_IJSA_SA_EEENS0_18inequality_wrapperIZN2at6native12_GLOBAL__N_124unique_dim_cuda_templateIN3c108BFloat16EEESt5tupleIJNSH_6TensorESO_SO_EERKSO_lbbbEUlllE0_EEPmJS6_EEE10hipError_tPvRmT3_T4_T5_T6_T7_T9_mT8_P12ihipStream_tbDpT10_ENKUlT_T0_E_clISt17integral_constantIbLb1EES1D_IbLb0EEEEDaS19_S1A_EUlS19_E_NS1_11comp_targetILNS1_3genE9ELNS1_11target_archE1100ELNS1_3gpuE3ELNS1_3repE0EEENS1_30default_config_static_selectorELNS0_4arch9wavefront6targetE0EEEvT1_: ; @_ZN7rocprim17ROCPRIM_400000_NS6detail17trampoline_kernelINS0_14default_configENS1_25partition_config_selectorILNS1_17partition_subalgoE8ElNS0_10empty_typeEbEEZZNS1_14partition_implILS5_8ELb0ES3_jPlPS6_PKS6_NS0_5tupleIJS9_S6_EEENSD_IJSA_SA_EEENS0_18inequality_wrapperIZN2at6native12_GLOBAL__N_124unique_dim_cuda_templateIN3c108BFloat16EEESt5tupleIJNSH_6TensorESO_SO_EERKSO_lbbbEUlllE0_EEPmJS6_EEE10hipError_tPvRmT3_T4_T5_T6_T7_T9_mT8_P12ihipStream_tbDpT10_ENKUlT_T0_E_clISt17integral_constantIbLb1EES1D_IbLb0EEEEDaS19_S1A_EUlS19_E_NS1_11comp_targetILNS1_3genE9ELNS1_11target_archE1100ELNS1_3gpuE3ELNS1_3repE0EEENS1_30default_config_static_selectorELNS0_4arch9wavefront6targetE0EEEvT1_
; %bb.0:
	.section	.rodata,"a",@progbits
	.p2align	6, 0x0
	.amdhsa_kernel _ZN7rocprim17ROCPRIM_400000_NS6detail17trampoline_kernelINS0_14default_configENS1_25partition_config_selectorILNS1_17partition_subalgoE8ElNS0_10empty_typeEbEEZZNS1_14partition_implILS5_8ELb0ES3_jPlPS6_PKS6_NS0_5tupleIJS9_S6_EEENSD_IJSA_SA_EEENS0_18inequality_wrapperIZN2at6native12_GLOBAL__N_124unique_dim_cuda_templateIN3c108BFloat16EEESt5tupleIJNSH_6TensorESO_SO_EERKSO_lbbbEUlllE0_EEPmJS6_EEE10hipError_tPvRmT3_T4_T5_T6_T7_T9_mT8_P12ihipStream_tbDpT10_ENKUlT_T0_E_clISt17integral_constantIbLb1EES1D_IbLb0EEEEDaS19_S1A_EUlS19_E_NS1_11comp_targetILNS1_3genE9ELNS1_11target_archE1100ELNS1_3gpuE3ELNS1_3repE0EEENS1_30default_config_static_selectorELNS0_4arch9wavefront6targetE0EEEvT1_
		.amdhsa_group_segment_fixed_size 0
		.amdhsa_private_segment_fixed_size 0
		.amdhsa_kernarg_size 120
		.amdhsa_user_sgpr_count 2
		.amdhsa_user_sgpr_dispatch_ptr 0
		.amdhsa_user_sgpr_queue_ptr 0
		.amdhsa_user_sgpr_kernarg_segment_ptr 1
		.amdhsa_user_sgpr_dispatch_id 0
		.amdhsa_user_sgpr_kernarg_preload_length 0
		.amdhsa_user_sgpr_kernarg_preload_offset 0
		.amdhsa_user_sgpr_private_segment_size 0
		.amdhsa_wavefront_size32 1
		.amdhsa_uses_dynamic_stack 0
		.amdhsa_enable_private_segment 0
		.amdhsa_system_sgpr_workgroup_id_x 1
		.amdhsa_system_sgpr_workgroup_id_y 0
		.amdhsa_system_sgpr_workgroup_id_z 0
		.amdhsa_system_sgpr_workgroup_info 0
		.amdhsa_system_vgpr_workitem_id 0
		.amdhsa_next_free_vgpr 1
		.amdhsa_next_free_sgpr 1
		.amdhsa_named_barrier_count 0
		.amdhsa_reserve_vcc 0
		.amdhsa_float_round_mode_32 0
		.amdhsa_float_round_mode_16_64 0
		.amdhsa_float_denorm_mode_32 3
		.amdhsa_float_denorm_mode_16_64 3
		.amdhsa_fp16_overflow 0
		.amdhsa_memory_ordered 1
		.amdhsa_forward_progress 1
		.amdhsa_inst_pref_size 0
		.amdhsa_round_robin_scheduling 0
		.amdhsa_exception_fp_ieee_invalid_op 0
		.amdhsa_exception_fp_denorm_src 0
		.amdhsa_exception_fp_ieee_div_zero 0
		.amdhsa_exception_fp_ieee_overflow 0
		.amdhsa_exception_fp_ieee_underflow 0
		.amdhsa_exception_fp_ieee_inexact 0
		.amdhsa_exception_int_div_zero 0
	.end_amdhsa_kernel
	.section	.text._ZN7rocprim17ROCPRIM_400000_NS6detail17trampoline_kernelINS0_14default_configENS1_25partition_config_selectorILNS1_17partition_subalgoE8ElNS0_10empty_typeEbEEZZNS1_14partition_implILS5_8ELb0ES3_jPlPS6_PKS6_NS0_5tupleIJS9_S6_EEENSD_IJSA_SA_EEENS0_18inequality_wrapperIZN2at6native12_GLOBAL__N_124unique_dim_cuda_templateIN3c108BFloat16EEESt5tupleIJNSH_6TensorESO_SO_EERKSO_lbbbEUlllE0_EEPmJS6_EEE10hipError_tPvRmT3_T4_T5_T6_T7_T9_mT8_P12ihipStream_tbDpT10_ENKUlT_T0_E_clISt17integral_constantIbLb1EES1D_IbLb0EEEEDaS19_S1A_EUlS19_E_NS1_11comp_targetILNS1_3genE9ELNS1_11target_archE1100ELNS1_3gpuE3ELNS1_3repE0EEENS1_30default_config_static_selectorELNS0_4arch9wavefront6targetE0EEEvT1_,"axG",@progbits,_ZN7rocprim17ROCPRIM_400000_NS6detail17trampoline_kernelINS0_14default_configENS1_25partition_config_selectorILNS1_17partition_subalgoE8ElNS0_10empty_typeEbEEZZNS1_14partition_implILS5_8ELb0ES3_jPlPS6_PKS6_NS0_5tupleIJS9_S6_EEENSD_IJSA_SA_EEENS0_18inequality_wrapperIZN2at6native12_GLOBAL__N_124unique_dim_cuda_templateIN3c108BFloat16EEESt5tupleIJNSH_6TensorESO_SO_EERKSO_lbbbEUlllE0_EEPmJS6_EEE10hipError_tPvRmT3_T4_T5_T6_T7_T9_mT8_P12ihipStream_tbDpT10_ENKUlT_T0_E_clISt17integral_constantIbLb1EES1D_IbLb0EEEEDaS19_S1A_EUlS19_E_NS1_11comp_targetILNS1_3genE9ELNS1_11target_archE1100ELNS1_3gpuE3ELNS1_3repE0EEENS1_30default_config_static_selectorELNS0_4arch9wavefront6targetE0EEEvT1_,comdat
.Lfunc_end1196:
	.size	_ZN7rocprim17ROCPRIM_400000_NS6detail17trampoline_kernelINS0_14default_configENS1_25partition_config_selectorILNS1_17partition_subalgoE8ElNS0_10empty_typeEbEEZZNS1_14partition_implILS5_8ELb0ES3_jPlPS6_PKS6_NS0_5tupleIJS9_S6_EEENSD_IJSA_SA_EEENS0_18inequality_wrapperIZN2at6native12_GLOBAL__N_124unique_dim_cuda_templateIN3c108BFloat16EEESt5tupleIJNSH_6TensorESO_SO_EERKSO_lbbbEUlllE0_EEPmJS6_EEE10hipError_tPvRmT3_T4_T5_T6_T7_T9_mT8_P12ihipStream_tbDpT10_ENKUlT_T0_E_clISt17integral_constantIbLb1EES1D_IbLb0EEEEDaS19_S1A_EUlS19_E_NS1_11comp_targetILNS1_3genE9ELNS1_11target_archE1100ELNS1_3gpuE3ELNS1_3repE0EEENS1_30default_config_static_selectorELNS0_4arch9wavefront6targetE0EEEvT1_, .Lfunc_end1196-_ZN7rocprim17ROCPRIM_400000_NS6detail17trampoline_kernelINS0_14default_configENS1_25partition_config_selectorILNS1_17partition_subalgoE8ElNS0_10empty_typeEbEEZZNS1_14partition_implILS5_8ELb0ES3_jPlPS6_PKS6_NS0_5tupleIJS9_S6_EEENSD_IJSA_SA_EEENS0_18inequality_wrapperIZN2at6native12_GLOBAL__N_124unique_dim_cuda_templateIN3c108BFloat16EEESt5tupleIJNSH_6TensorESO_SO_EERKSO_lbbbEUlllE0_EEPmJS6_EEE10hipError_tPvRmT3_T4_T5_T6_T7_T9_mT8_P12ihipStream_tbDpT10_ENKUlT_T0_E_clISt17integral_constantIbLb1EES1D_IbLb0EEEEDaS19_S1A_EUlS19_E_NS1_11comp_targetILNS1_3genE9ELNS1_11target_archE1100ELNS1_3gpuE3ELNS1_3repE0EEENS1_30default_config_static_selectorELNS0_4arch9wavefront6targetE0EEEvT1_
                                        ; -- End function
	.set _ZN7rocprim17ROCPRIM_400000_NS6detail17trampoline_kernelINS0_14default_configENS1_25partition_config_selectorILNS1_17partition_subalgoE8ElNS0_10empty_typeEbEEZZNS1_14partition_implILS5_8ELb0ES3_jPlPS6_PKS6_NS0_5tupleIJS9_S6_EEENSD_IJSA_SA_EEENS0_18inequality_wrapperIZN2at6native12_GLOBAL__N_124unique_dim_cuda_templateIN3c108BFloat16EEESt5tupleIJNSH_6TensorESO_SO_EERKSO_lbbbEUlllE0_EEPmJS6_EEE10hipError_tPvRmT3_T4_T5_T6_T7_T9_mT8_P12ihipStream_tbDpT10_ENKUlT_T0_E_clISt17integral_constantIbLb1EES1D_IbLb0EEEEDaS19_S1A_EUlS19_E_NS1_11comp_targetILNS1_3genE9ELNS1_11target_archE1100ELNS1_3gpuE3ELNS1_3repE0EEENS1_30default_config_static_selectorELNS0_4arch9wavefront6targetE0EEEvT1_.num_vgpr, 0
	.set _ZN7rocprim17ROCPRIM_400000_NS6detail17trampoline_kernelINS0_14default_configENS1_25partition_config_selectorILNS1_17partition_subalgoE8ElNS0_10empty_typeEbEEZZNS1_14partition_implILS5_8ELb0ES3_jPlPS6_PKS6_NS0_5tupleIJS9_S6_EEENSD_IJSA_SA_EEENS0_18inequality_wrapperIZN2at6native12_GLOBAL__N_124unique_dim_cuda_templateIN3c108BFloat16EEESt5tupleIJNSH_6TensorESO_SO_EERKSO_lbbbEUlllE0_EEPmJS6_EEE10hipError_tPvRmT3_T4_T5_T6_T7_T9_mT8_P12ihipStream_tbDpT10_ENKUlT_T0_E_clISt17integral_constantIbLb1EES1D_IbLb0EEEEDaS19_S1A_EUlS19_E_NS1_11comp_targetILNS1_3genE9ELNS1_11target_archE1100ELNS1_3gpuE3ELNS1_3repE0EEENS1_30default_config_static_selectorELNS0_4arch9wavefront6targetE0EEEvT1_.num_agpr, 0
	.set _ZN7rocprim17ROCPRIM_400000_NS6detail17trampoline_kernelINS0_14default_configENS1_25partition_config_selectorILNS1_17partition_subalgoE8ElNS0_10empty_typeEbEEZZNS1_14partition_implILS5_8ELb0ES3_jPlPS6_PKS6_NS0_5tupleIJS9_S6_EEENSD_IJSA_SA_EEENS0_18inequality_wrapperIZN2at6native12_GLOBAL__N_124unique_dim_cuda_templateIN3c108BFloat16EEESt5tupleIJNSH_6TensorESO_SO_EERKSO_lbbbEUlllE0_EEPmJS6_EEE10hipError_tPvRmT3_T4_T5_T6_T7_T9_mT8_P12ihipStream_tbDpT10_ENKUlT_T0_E_clISt17integral_constantIbLb1EES1D_IbLb0EEEEDaS19_S1A_EUlS19_E_NS1_11comp_targetILNS1_3genE9ELNS1_11target_archE1100ELNS1_3gpuE3ELNS1_3repE0EEENS1_30default_config_static_selectorELNS0_4arch9wavefront6targetE0EEEvT1_.numbered_sgpr, 0
	.set _ZN7rocprim17ROCPRIM_400000_NS6detail17trampoline_kernelINS0_14default_configENS1_25partition_config_selectorILNS1_17partition_subalgoE8ElNS0_10empty_typeEbEEZZNS1_14partition_implILS5_8ELb0ES3_jPlPS6_PKS6_NS0_5tupleIJS9_S6_EEENSD_IJSA_SA_EEENS0_18inequality_wrapperIZN2at6native12_GLOBAL__N_124unique_dim_cuda_templateIN3c108BFloat16EEESt5tupleIJNSH_6TensorESO_SO_EERKSO_lbbbEUlllE0_EEPmJS6_EEE10hipError_tPvRmT3_T4_T5_T6_T7_T9_mT8_P12ihipStream_tbDpT10_ENKUlT_T0_E_clISt17integral_constantIbLb1EES1D_IbLb0EEEEDaS19_S1A_EUlS19_E_NS1_11comp_targetILNS1_3genE9ELNS1_11target_archE1100ELNS1_3gpuE3ELNS1_3repE0EEENS1_30default_config_static_selectorELNS0_4arch9wavefront6targetE0EEEvT1_.num_named_barrier, 0
	.set _ZN7rocprim17ROCPRIM_400000_NS6detail17trampoline_kernelINS0_14default_configENS1_25partition_config_selectorILNS1_17partition_subalgoE8ElNS0_10empty_typeEbEEZZNS1_14partition_implILS5_8ELb0ES3_jPlPS6_PKS6_NS0_5tupleIJS9_S6_EEENSD_IJSA_SA_EEENS0_18inequality_wrapperIZN2at6native12_GLOBAL__N_124unique_dim_cuda_templateIN3c108BFloat16EEESt5tupleIJNSH_6TensorESO_SO_EERKSO_lbbbEUlllE0_EEPmJS6_EEE10hipError_tPvRmT3_T4_T5_T6_T7_T9_mT8_P12ihipStream_tbDpT10_ENKUlT_T0_E_clISt17integral_constantIbLb1EES1D_IbLb0EEEEDaS19_S1A_EUlS19_E_NS1_11comp_targetILNS1_3genE9ELNS1_11target_archE1100ELNS1_3gpuE3ELNS1_3repE0EEENS1_30default_config_static_selectorELNS0_4arch9wavefront6targetE0EEEvT1_.private_seg_size, 0
	.set _ZN7rocprim17ROCPRIM_400000_NS6detail17trampoline_kernelINS0_14default_configENS1_25partition_config_selectorILNS1_17partition_subalgoE8ElNS0_10empty_typeEbEEZZNS1_14partition_implILS5_8ELb0ES3_jPlPS6_PKS6_NS0_5tupleIJS9_S6_EEENSD_IJSA_SA_EEENS0_18inequality_wrapperIZN2at6native12_GLOBAL__N_124unique_dim_cuda_templateIN3c108BFloat16EEESt5tupleIJNSH_6TensorESO_SO_EERKSO_lbbbEUlllE0_EEPmJS6_EEE10hipError_tPvRmT3_T4_T5_T6_T7_T9_mT8_P12ihipStream_tbDpT10_ENKUlT_T0_E_clISt17integral_constantIbLb1EES1D_IbLb0EEEEDaS19_S1A_EUlS19_E_NS1_11comp_targetILNS1_3genE9ELNS1_11target_archE1100ELNS1_3gpuE3ELNS1_3repE0EEENS1_30default_config_static_selectorELNS0_4arch9wavefront6targetE0EEEvT1_.uses_vcc, 0
	.set _ZN7rocprim17ROCPRIM_400000_NS6detail17trampoline_kernelINS0_14default_configENS1_25partition_config_selectorILNS1_17partition_subalgoE8ElNS0_10empty_typeEbEEZZNS1_14partition_implILS5_8ELb0ES3_jPlPS6_PKS6_NS0_5tupleIJS9_S6_EEENSD_IJSA_SA_EEENS0_18inequality_wrapperIZN2at6native12_GLOBAL__N_124unique_dim_cuda_templateIN3c108BFloat16EEESt5tupleIJNSH_6TensorESO_SO_EERKSO_lbbbEUlllE0_EEPmJS6_EEE10hipError_tPvRmT3_T4_T5_T6_T7_T9_mT8_P12ihipStream_tbDpT10_ENKUlT_T0_E_clISt17integral_constantIbLb1EES1D_IbLb0EEEEDaS19_S1A_EUlS19_E_NS1_11comp_targetILNS1_3genE9ELNS1_11target_archE1100ELNS1_3gpuE3ELNS1_3repE0EEENS1_30default_config_static_selectorELNS0_4arch9wavefront6targetE0EEEvT1_.uses_flat_scratch, 0
	.set _ZN7rocprim17ROCPRIM_400000_NS6detail17trampoline_kernelINS0_14default_configENS1_25partition_config_selectorILNS1_17partition_subalgoE8ElNS0_10empty_typeEbEEZZNS1_14partition_implILS5_8ELb0ES3_jPlPS6_PKS6_NS0_5tupleIJS9_S6_EEENSD_IJSA_SA_EEENS0_18inequality_wrapperIZN2at6native12_GLOBAL__N_124unique_dim_cuda_templateIN3c108BFloat16EEESt5tupleIJNSH_6TensorESO_SO_EERKSO_lbbbEUlllE0_EEPmJS6_EEE10hipError_tPvRmT3_T4_T5_T6_T7_T9_mT8_P12ihipStream_tbDpT10_ENKUlT_T0_E_clISt17integral_constantIbLb1EES1D_IbLb0EEEEDaS19_S1A_EUlS19_E_NS1_11comp_targetILNS1_3genE9ELNS1_11target_archE1100ELNS1_3gpuE3ELNS1_3repE0EEENS1_30default_config_static_selectorELNS0_4arch9wavefront6targetE0EEEvT1_.has_dyn_sized_stack, 0
	.set _ZN7rocprim17ROCPRIM_400000_NS6detail17trampoline_kernelINS0_14default_configENS1_25partition_config_selectorILNS1_17partition_subalgoE8ElNS0_10empty_typeEbEEZZNS1_14partition_implILS5_8ELb0ES3_jPlPS6_PKS6_NS0_5tupleIJS9_S6_EEENSD_IJSA_SA_EEENS0_18inequality_wrapperIZN2at6native12_GLOBAL__N_124unique_dim_cuda_templateIN3c108BFloat16EEESt5tupleIJNSH_6TensorESO_SO_EERKSO_lbbbEUlllE0_EEPmJS6_EEE10hipError_tPvRmT3_T4_T5_T6_T7_T9_mT8_P12ihipStream_tbDpT10_ENKUlT_T0_E_clISt17integral_constantIbLb1EES1D_IbLb0EEEEDaS19_S1A_EUlS19_E_NS1_11comp_targetILNS1_3genE9ELNS1_11target_archE1100ELNS1_3gpuE3ELNS1_3repE0EEENS1_30default_config_static_selectorELNS0_4arch9wavefront6targetE0EEEvT1_.has_recursion, 0
	.set _ZN7rocprim17ROCPRIM_400000_NS6detail17trampoline_kernelINS0_14default_configENS1_25partition_config_selectorILNS1_17partition_subalgoE8ElNS0_10empty_typeEbEEZZNS1_14partition_implILS5_8ELb0ES3_jPlPS6_PKS6_NS0_5tupleIJS9_S6_EEENSD_IJSA_SA_EEENS0_18inequality_wrapperIZN2at6native12_GLOBAL__N_124unique_dim_cuda_templateIN3c108BFloat16EEESt5tupleIJNSH_6TensorESO_SO_EERKSO_lbbbEUlllE0_EEPmJS6_EEE10hipError_tPvRmT3_T4_T5_T6_T7_T9_mT8_P12ihipStream_tbDpT10_ENKUlT_T0_E_clISt17integral_constantIbLb1EES1D_IbLb0EEEEDaS19_S1A_EUlS19_E_NS1_11comp_targetILNS1_3genE9ELNS1_11target_archE1100ELNS1_3gpuE3ELNS1_3repE0EEENS1_30default_config_static_selectorELNS0_4arch9wavefront6targetE0EEEvT1_.has_indirect_call, 0
	.section	.AMDGPU.csdata,"",@progbits
; Kernel info:
; codeLenInByte = 0
; TotalNumSgprs: 0
; NumVgprs: 0
; ScratchSize: 0
; MemoryBound: 0
; FloatMode: 240
; IeeeMode: 1
; LDSByteSize: 0 bytes/workgroup (compile time only)
; SGPRBlocks: 0
; VGPRBlocks: 0
; NumSGPRsForWavesPerEU: 1
; NumVGPRsForWavesPerEU: 1
; NamedBarCnt: 0
; Occupancy: 16
; WaveLimiterHint : 0
; COMPUTE_PGM_RSRC2:SCRATCH_EN: 0
; COMPUTE_PGM_RSRC2:USER_SGPR: 2
; COMPUTE_PGM_RSRC2:TRAP_HANDLER: 0
; COMPUTE_PGM_RSRC2:TGID_X_EN: 1
; COMPUTE_PGM_RSRC2:TGID_Y_EN: 0
; COMPUTE_PGM_RSRC2:TGID_Z_EN: 0
; COMPUTE_PGM_RSRC2:TIDIG_COMP_CNT: 0
	.section	.text._ZN7rocprim17ROCPRIM_400000_NS6detail17trampoline_kernelINS0_14default_configENS1_25partition_config_selectorILNS1_17partition_subalgoE8ElNS0_10empty_typeEbEEZZNS1_14partition_implILS5_8ELb0ES3_jPlPS6_PKS6_NS0_5tupleIJS9_S6_EEENSD_IJSA_SA_EEENS0_18inequality_wrapperIZN2at6native12_GLOBAL__N_124unique_dim_cuda_templateIN3c108BFloat16EEESt5tupleIJNSH_6TensorESO_SO_EERKSO_lbbbEUlllE0_EEPmJS6_EEE10hipError_tPvRmT3_T4_T5_T6_T7_T9_mT8_P12ihipStream_tbDpT10_ENKUlT_T0_E_clISt17integral_constantIbLb1EES1D_IbLb0EEEEDaS19_S1A_EUlS19_E_NS1_11comp_targetILNS1_3genE8ELNS1_11target_archE1030ELNS1_3gpuE2ELNS1_3repE0EEENS1_30default_config_static_selectorELNS0_4arch9wavefront6targetE0EEEvT1_,"axG",@progbits,_ZN7rocprim17ROCPRIM_400000_NS6detail17trampoline_kernelINS0_14default_configENS1_25partition_config_selectorILNS1_17partition_subalgoE8ElNS0_10empty_typeEbEEZZNS1_14partition_implILS5_8ELb0ES3_jPlPS6_PKS6_NS0_5tupleIJS9_S6_EEENSD_IJSA_SA_EEENS0_18inequality_wrapperIZN2at6native12_GLOBAL__N_124unique_dim_cuda_templateIN3c108BFloat16EEESt5tupleIJNSH_6TensorESO_SO_EERKSO_lbbbEUlllE0_EEPmJS6_EEE10hipError_tPvRmT3_T4_T5_T6_T7_T9_mT8_P12ihipStream_tbDpT10_ENKUlT_T0_E_clISt17integral_constantIbLb1EES1D_IbLb0EEEEDaS19_S1A_EUlS19_E_NS1_11comp_targetILNS1_3genE8ELNS1_11target_archE1030ELNS1_3gpuE2ELNS1_3repE0EEENS1_30default_config_static_selectorELNS0_4arch9wavefront6targetE0EEEvT1_,comdat
	.globl	_ZN7rocprim17ROCPRIM_400000_NS6detail17trampoline_kernelINS0_14default_configENS1_25partition_config_selectorILNS1_17partition_subalgoE8ElNS0_10empty_typeEbEEZZNS1_14partition_implILS5_8ELb0ES3_jPlPS6_PKS6_NS0_5tupleIJS9_S6_EEENSD_IJSA_SA_EEENS0_18inequality_wrapperIZN2at6native12_GLOBAL__N_124unique_dim_cuda_templateIN3c108BFloat16EEESt5tupleIJNSH_6TensorESO_SO_EERKSO_lbbbEUlllE0_EEPmJS6_EEE10hipError_tPvRmT3_T4_T5_T6_T7_T9_mT8_P12ihipStream_tbDpT10_ENKUlT_T0_E_clISt17integral_constantIbLb1EES1D_IbLb0EEEEDaS19_S1A_EUlS19_E_NS1_11comp_targetILNS1_3genE8ELNS1_11target_archE1030ELNS1_3gpuE2ELNS1_3repE0EEENS1_30default_config_static_selectorELNS0_4arch9wavefront6targetE0EEEvT1_ ; -- Begin function _ZN7rocprim17ROCPRIM_400000_NS6detail17trampoline_kernelINS0_14default_configENS1_25partition_config_selectorILNS1_17partition_subalgoE8ElNS0_10empty_typeEbEEZZNS1_14partition_implILS5_8ELb0ES3_jPlPS6_PKS6_NS0_5tupleIJS9_S6_EEENSD_IJSA_SA_EEENS0_18inequality_wrapperIZN2at6native12_GLOBAL__N_124unique_dim_cuda_templateIN3c108BFloat16EEESt5tupleIJNSH_6TensorESO_SO_EERKSO_lbbbEUlllE0_EEPmJS6_EEE10hipError_tPvRmT3_T4_T5_T6_T7_T9_mT8_P12ihipStream_tbDpT10_ENKUlT_T0_E_clISt17integral_constantIbLb1EES1D_IbLb0EEEEDaS19_S1A_EUlS19_E_NS1_11comp_targetILNS1_3genE8ELNS1_11target_archE1030ELNS1_3gpuE2ELNS1_3repE0EEENS1_30default_config_static_selectorELNS0_4arch9wavefront6targetE0EEEvT1_
	.p2align	8
	.type	_ZN7rocprim17ROCPRIM_400000_NS6detail17trampoline_kernelINS0_14default_configENS1_25partition_config_selectorILNS1_17partition_subalgoE8ElNS0_10empty_typeEbEEZZNS1_14partition_implILS5_8ELb0ES3_jPlPS6_PKS6_NS0_5tupleIJS9_S6_EEENSD_IJSA_SA_EEENS0_18inequality_wrapperIZN2at6native12_GLOBAL__N_124unique_dim_cuda_templateIN3c108BFloat16EEESt5tupleIJNSH_6TensorESO_SO_EERKSO_lbbbEUlllE0_EEPmJS6_EEE10hipError_tPvRmT3_T4_T5_T6_T7_T9_mT8_P12ihipStream_tbDpT10_ENKUlT_T0_E_clISt17integral_constantIbLb1EES1D_IbLb0EEEEDaS19_S1A_EUlS19_E_NS1_11comp_targetILNS1_3genE8ELNS1_11target_archE1030ELNS1_3gpuE2ELNS1_3repE0EEENS1_30default_config_static_selectorELNS0_4arch9wavefront6targetE0EEEvT1_,@function
_ZN7rocprim17ROCPRIM_400000_NS6detail17trampoline_kernelINS0_14default_configENS1_25partition_config_selectorILNS1_17partition_subalgoE8ElNS0_10empty_typeEbEEZZNS1_14partition_implILS5_8ELb0ES3_jPlPS6_PKS6_NS0_5tupleIJS9_S6_EEENSD_IJSA_SA_EEENS0_18inequality_wrapperIZN2at6native12_GLOBAL__N_124unique_dim_cuda_templateIN3c108BFloat16EEESt5tupleIJNSH_6TensorESO_SO_EERKSO_lbbbEUlllE0_EEPmJS6_EEE10hipError_tPvRmT3_T4_T5_T6_T7_T9_mT8_P12ihipStream_tbDpT10_ENKUlT_T0_E_clISt17integral_constantIbLb1EES1D_IbLb0EEEEDaS19_S1A_EUlS19_E_NS1_11comp_targetILNS1_3genE8ELNS1_11target_archE1030ELNS1_3gpuE2ELNS1_3repE0EEENS1_30default_config_static_selectorELNS0_4arch9wavefront6targetE0EEEvT1_: ; @_ZN7rocprim17ROCPRIM_400000_NS6detail17trampoline_kernelINS0_14default_configENS1_25partition_config_selectorILNS1_17partition_subalgoE8ElNS0_10empty_typeEbEEZZNS1_14partition_implILS5_8ELb0ES3_jPlPS6_PKS6_NS0_5tupleIJS9_S6_EEENSD_IJSA_SA_EEENS0_18inequality_wrapperIZN2at6native12_GLOBAL__N_124unique_dim_cuda_templateIN3c108BFloat16EEESt5tupleIJNSH_6TensorESO_SO_EERKSO_lbbbEUlllE0_EEPmJS6_EEE10hipError_tPvRmT3_T4_T5_T6_T7_T9_mT8_P12ihipStream_tbDpT10_ENKUlT_T0_E_clISt17integral_constantIbLb1EES1D_IbLb0EEEEDaS19_S1A_EUlS19_E_NS1_11comp_targetILNS1_3genE8ELNS1_11target_archE1030ELNS1_3gpuE2ELNS1_3repE0EEENS1_30default_config_static_selectorELNS0_4arch9wavefront6targetE0EEEvT1_
; %bb.0:
	.section	.rodata,"a",@progbits
	.p2align	6, 0x0
	.amdhsa_kernel _ZN7rocprim17ROCPRIM_400000_NS6detail17trampoline_kernelINS0_14default_configENS1_25partition_config_selectorILNS1_17partition_subalgoE8ElNS0_10empty_typeEbEEZZNS1_14partition_implILS5_8ELb0ES3_jPlPS6_PKS6_NS0_5tupleIJS9_S6_EEENSD_IJSA_SA_EEENS0_18inequality_wrapperIZN2at6native12_GLOBAL__N_124unique_dim_cuda_templateIN3c108BFloat16EEESt5tupleIJNSH_6TensorESO_SO_EERKSO_lbbbEUlllE0_EEPmJS6_EEE10hipError_tPvRmT3_T4_T5_T6_T7_T9_mT8_P12ihipStream_tbDpT10_ENKUlT_T0_E_clISt17integral_constantIbLb1EES1D_IbLb0EEEEDaS19_S1A_EUlS19_E_NS1_11comp_targetILNS1_3genE8ELNS1_11target_archE1030ELNS1_3gpuE2ELNS1_3repE0EEENS1_30default_config_static_selectorELNS0_4arch9wavefront6targetE0EEEvT1_
		.amdhsa_group_segment_fixed_size 0
		.amdhsa_private_segment_fixed_size 0
		.amdhsa_kernarg_size 120
		.amdhsa_user_sgpr_count 2
		.amdhsa_user_sgpr_dispatch_ptr 0
		.amdhsa_user_sgpr_queue_ptr 0
		.amdhsa_user_sgpr_kernarg_segment_ptr 1
		.amdhsa_user_sgpr_dispatch_id 0
		.amdhsa_user_sgpr_kernarg_preload_length 0
		.amdhsa_user_sgpr_kernarg_preload_offset 0
		.amdhsa_user_sgpr_private_segment_size 0
		.amdhsa_wavefront_size32 1
		.amdhsa_uses_dynamic_stack 0
		.amdhsa_enable_private_segment 0
		.amdhsa_system_sgpr_workgroup_id_x 1
		.amdhsa_system_sgpr_workgroup_id_y 0
		.amdhsa_system_sgpr_workgroup_id_z 0
		.amdhsa_system_sgpr_workgroup_info 0
		.amdhsa_system_vgpr_workitem_id 0
		.amdhsa_next_free_vgpr 1
		.amdhsa_next_free_sgpr 1
		.amdhsa_named_barrier_count 0
		.amdhsa_reserve_vcc 0
		.amdhsa_float_round_mode_32 0
		.amdhsa_float_round_mode_16_64 0
		.amdhsa_float_denorm_mode_32 3
		.amdhsa_float_denorm_mode_16_64 3
		.amdhsa_fp16_overflow 0
		.amdhsa_memory_ordered 1
		.amdhsa_forward_progress 1
		.amdhsa_inst_pref_size 0
		.amdhsa_round_robin_scheduling 0
		.amdhsa_exception_fp_ieee_invalid_op 0
		.amdhsa_exception_fp_denorm_src 0
		.amdhsa_exception_fp_ieee_div_zero 0
		.amdhsa_exception_fp_ieee_overflow 0
		.amdhsa_exception_fp_ieee_underflow 0
		.amdhsa_exception_fp_ieee_inexact 0
		.amdhsa_exception_int_div_zero 0
	.end_amdhsa_kernel
	.section	.text._ZN7rocprim17ROCPRIM_400000_NS6detail17trampoline_kernelINS0_14default_configENS1_25partition_config_selectorILNS1_17partition_subalgoE8ElNS0_10empty_typeEbEEZZNS1_14partition_implILS5_8ELb0ES3_jPlPS6_PKS6_NS0_5tupleIJS9_S6_EEENSD_IJSA_SA_EEENS0_18inequality_wrapperIZN2at6native12_GLOBAL__N_124unique_dim_cuda_templateIN3c108BFloat16EEESt5tupleIJNSH_6TensorESO_SO_EERKSO_lbbbEUlllE0_EEPmJS6_EEE10hipError_tPvRmT3_T4_T5_T6_T7_T9_mT8_P12ihipStream_tbDpT10_ENKUlT_T0_E_clISt17integral_constantIbLb1EES1D_IbLb0EEEEDaS19_S1A_EUlS19_E_NS1_11comp_targetILNS1_3genE8ELNS1_11target_archE1030ELNS1_3gpuE2ELNS1_3repE0EEENS1_30default_config_static_selectorELNS0_4arch9wavefront6targetE0EEEvT1_,"axG",@progbits,_ZN7rocprim17ROCPRIM_400000_NS6detail17trampoline_kernelINS0_14default_configENS1_25partition_config_selectorILNS1_17partition_subalgoE8ElNS0_10empty_typeEbEEZZNS1_14partition_implILS5_8ELb0ES3_jPlPS6_PKS6_NS0_5tupleIJS9_S6_EEENSD_IJSA_SA_EEENS0_18inequality_wrapperIZN2at6native12_GLOBAL__N_124unique_dim_cuda_templateIN3c108BFloat16EEESt5tupleIJNSH_6TensorESO_SO_EERKSO_lbbbEUlllE0_EEPmJS6_EEE10hipError_tPvRmT3_T4_T5_T6_T7_T9_mT8_P12ihipStream_tbDpT10_ENKUlT_T0_E_clISt17integral_constantIbLb1EES1D_IbLb0EEEEDaS19_S1A_EUlS19_E_NS1_11comp_targetILNS1_3genE8ELNS1_11target_archE1030ELNS1_3gpuE2ELNS1_3repE0EEENS1_30default_config_static_selectorELNS0_4arch9wavefront6targetE0EEEvT1_,comdat
.Lfunc_end1197:
	.size	_ZN7rocprim17ROCPRIM_400000_NS6detail17trampoline_kernelINS0_14default_configENS1_25partition_config_selectorILNS1_17partition_subalgoE8ElNS0_10empty_typeEbEEZZNS1_14partition_implILS5_8ELb0ES3_jPlPS6_PKS6_NS0_5tupleIJS9_S6_EEENSD_IJSA_SA_EEENS0_18inequality_wrapperIZN2at6native12_GLOBAL__N_124unique_dim_cuda_templateIN3c108BFloat16EEESt5tupleIJNSH_6TensorESO_SO_EERKSO_lbbbEUlllE0_EEPmJS6_EEE10hipError_tPvRmT3_T4_T5_T6_T7_T9_mT8_P12ihipStream_tbDpT10_ENKUlT_T0_E_clISt17integral_constantIbLb1EES1D_IbLb0EEEEDaS19_S1A_EUlS19_E_NS1_11comp_targetILNS1_3genE8ELNS1_11target_archE1030ELNS1_3gpuE2ELNS1_3repE0EEENS1_30default_config_static_selectorELNS0_4arch9wavefront6targetE0EEEvT1_, .Lfunc_end1197-_ZN7rocprim17ROCPRIM_400000_NS6detail17trampoline_kernelINS0_14default_configENS1_25partition_config_selectorILNS1_17partition_subalgoE8ElNS0_10empty_typeEbEEZZNS1_14partition_implILS5_8ELb0ES3_jPlPS6_PKS6_NS0_5tupleIJS9_S6_EEENSD_IJSA_SA_EEENS0_18inequality_wrapperIZN2at6native12_GLOBAL__N_124unique_dim_cuda_templateIN3c108BFloat16EEESt5tupleIJNSH_6TensorESO_SO_EERKSO_lbbbEUlllE0_EEPmJS6_EEE10hipError_tPvRmT3_T4_T5_T6_T7_T9_mT8_P12ihipStream_tbDpT10_ENKUlT_T0_E_clISt17integral_constantIbLb1EES1D_IbLb0EEEEDaS19_S1A_EUlS19_E_NS1_11comp_targetILNS1_3genE8ELNS1_11target_archE1030ELNS1_3gpuE2ELNS1_3repE0EEENS1_30default_config_static_selectorELNS0_4arch9wavefront6targetE0EEEvT1_
                                        ; -- End function
	.set _ZN7rocprim17ROCPRIM_400000_NS6detail17trampoline_kernelINS0_14default_configENS1_25partition_config_selectorILNS1_17partition_subalgoE8ElNS0_10empty_typeEbEEZZNS1_14partition_implILS5_8ELb0ES3_jPlPS6_PKS6_NS0_5tupleIJS9_S6_EEENSD_IJSA_SA_EEENS0_18inequality_wrapperIZN2at6native12_GLOBAL__N_124unique_dim_cuda_templateIN3c108BFloat16EEESt5tupleIJNSH_6TensorESO_SO_EERKSO_lbbbEUlllE0_EEPmJS6_EEE10hipError_tPvRmT3_T4_T5_T6_T7_T9_mT8_P12ihipStream_tbDpT10_ENKUlT_T0_E_clISt17integral_constantIbLb1EES1D_IbLb0EEEEDaS19_S1A_EUlS19_E_NS1_11comp_targetILNS1_3genE8ELNS1_11target_archE1030ELNS1_3gpuE2ELNS1_3repE0EEENS1_30default_config_static_selectorELNS0_4arch9wavefront6targetE0EEEvT1_.num_vgpr, 0
	.set _ZN7rocprim17ROCPRIM_400000_NS6detail17trampoline_kernelINS0_14default_configENS1_25partition_config_selectorILNS1_17partition_subalgoE8ElNS0_10empty_typeEbEEZZNS1_14partition_implILS5_8ELb0ES3_jPlPS6_PKS6_NS0_5tupleIJS9_S6_EEENSD_IJSA_SA_EEENS0_18inequality_wrapperIZN2at6native12_GLOBAL__N_124unique_dim_cuda_templateIN3c108BFloat16EEESt5tupleIJNSH_6TensorESO_SO_EERKSO_lbbbEUlllE0_EEPmJS6_EEE10hipError_tPvRmT3_T4_T5_T6_T7_T9_mT8_P12ihipStream_tbDpT10_ENKUlT_T0_E_clISt17integral_constantIbLb1EES1D_IbLb0EEEEDaS19_S1A_EUlS19_E_NS1_11comp_targetILNS1_3genE8ELNS1_11target_archE1030ELNS1_3gpuE2ELNS1_3repE0EEENS1_30default_config_static_selectorELNS0_4arch9wavefront6targetE0EEEvT1_.num_agpr, 0
	.set _ZN7rocprim17ROCPRIM_400000_NS6detail17trampoline_kernelINS0_14default_configENS1_25partition_config_selectorILNS1_17partition_subalgoE8ElNS0_10empty_typeEbEEZZNS1_14partition_implILS5_8ELb0ES3_jPlPS6_PKS6_NS0_5tupleIJS9_S6_EEENSD_IJSA_SA_EEENS0_18inequality_wrapperIZN2at6native12_GLOBAL__N_124unique_dim_cuda_templateIN3c108BFloat16EEESt5tupleIJNSH_6TensorESO_SO_EERKSO_lbbbEUlllE0_EEPmJS6_EEE10hipError_tPvRmT3_T4_T5_T6_T7_T9_mT8_P12ihipStream_tbDpT10_ENKUlT_T0_E_clISt17integral_constantIbLb1EES1D_IbLb0EEEEDaS19_S1A_EUlS19_E_NS1_11comp_targetILNS1_3genE8ELNS1_11target_archE1030ELNS1_3gpuE2ELNS1_3repE0EEENS1_30default_config_static_selectorELNS0_4arch9wavefront6targetE0EEEvT1_.numbered_sgpr, 0
	.set _ZN7rocprim17ROCPRIM_400000_NS6detail17trampoline_kernelINS0_14default_configENS1_25partition_config_selectorILNS1_17partition_subalgoE8ElNS0_10empty_typeEbEEZZNS1_14partition_implILS5_8ELb0ES3_jPlPS6_PKS6_NS0_5tupleIJS9_S6_EEENSD_IJSA_SA_EEENS0_18inequality_wrapperIZN2at6native12_GLOBAL__N_124unique_dim_cuda_templateIN3c108BFloat16EEESt5tupleIJNSH_6TensorESO_SO_EERKSO_lbbbEUlllE0_EEPmJS6_EEE10hipError_tPvRmT3_T4_T5_T6_T7_T9_mT8_P12ihipStream_tbDpT10_ENKUlT_T0_E_clISt17integral_constantIbLb1EES1D_IbLb0EEEEDaS19_S1A_EUlS19_E_NS1_11comp_targetILNS1_3genE8ELNS1_11target_archE1030ELNS1_3gpuE2ELNS1_3repE0EEENS1_30default_config_static_selectorELNS0_4arch9wavefront6targetE0EEEvT1_.num_named_barrier, 0
	.set _ZN7rocprim17ROCPRIM_400000_NS6detail17trampoline_kernelINS0_14default_configENS1_25partition_config_selectorILNS1_17partition_subalgoE8ElNS0_10empty_typeEbEEZZNS1_14partition_implILS5_8ELb0ES3_jPlPS6_PKS6_NS0_5tupleIJS9_S6_EEENSD_IJSA_SA_EEENS0_18inequality_wrapperIZN2at6native12_GLOBAL__N_124unique_dim_cuda_templateIN3c108BFloat16EEESt5tupleIJNSH_6TensorESO_SO_EERKSO_lbbbEUlllE0_EEPmJS6_EEE10hipError_tPvRmT3_T4_T5_T6_T7_T9_mT8_P12ihipStream_tbDpT10_ENKUlT_T0_E_clISt17integral_constantIbLb1EES1D_IbLb0EEEEDaS19_S1A_EUlS19_E_NS1_11comp_targetILNS1_3genE8ELNS1_11target_archE1030ELNS1_3gpuE2ELNS1_3repE0EEENS1_30default_config_static_selectorELNS0_4arch9wavefront6targetE0EEEvT1_.private_seg_size, 0
	.set _ZN7rocprim17ROCPRIM_400000_NS6detail17trampoline_kernelINS0_14default_configENS1_25partition_config_selectorILNS1_17partition_subalgoE8ElNS0_10empty_typeEbEEZZNS1_14partition_implILS5_8ELb0ES3_jPlPS6_PKS6_NS0_5tupleIJS9_S6_EEENSD_IJSA_SA_EEENS0_18inequality_wrapperIZN2at6native12_GLOBAL__N_124unique_dim_cuda_templateIN3c108BFloat16EEESt5tupleIJNSH_6TensorESO_SO_EERKSO_lbbbEUlllE0_EEPmJS6_EEE10hipError_tPvRmT3_T4_T5_T6_T7_T9_mT8_P12ihipStream_tbDpT10_ENKUlT_T0_E_clISt17integral_constantIbLb1EES1D_IbLb0EEEEDaS19_S1A_EUlS19_E_NS1_11comp_targetILNS1_3genE8ELNS1_11target_archE1030ELNS1_3gpuE2ELNS1_3repE0EEENS1_30default_config_static_selectorELNS0_4arch9wavefront6targetE0EEEvT1_.uses_vcc, 0
	.set _ZN7rocprim17ROCPRIM_400000_NS6detail17trampoline_kernelINS0_14default_configENS1_25partition_config_selectorILNS1_17partition_subalgoE8ElNS0_10empty_typeEbEEZZNS1_14partition_implILS5_8ELb0ES3_jPlPS6_PKS6_NS0_5tupleIJS9_S6_EEENSD_IJSA_SA_EEENS0_18inequality_wrapperIZN2at6native12_GLOBAL__N_124unique_dim_cuda_templateIN3c108BFloat16EEESt5tupleIJNSH_6TensorESO_SO_EERKSO_lbbbEUlllE0_EEPmJS6_EEE10hipError_tPvRmT3_T4_T5_T6_T7_T9_mT8_P12ihipStream_tbDpT10_ENKUlT_T0_E_clISt17integral_constantIbLb1EES1D_IbLb0EEEEDaS19_S1A_EUlS19_E_NS1_11comp_targetILNS1_3genE8ELNS1_11target_archE1030ELNS1_3gpuE2ELNS1_3repE0EEENS1_30default_config_static_selectorELNS0_4arch9wavefront6targetE0EEEvT1_.uses_flat_scratch, 0
	.set _ZN7rocprim17ROCPRIM_400000_NS6detail17trampoline_kernelINS0_14default_configENS1_25partition_config_selectorILNS1_17partition_subalgoE8ElNS0_10empty_typeEbEEZZNS1_14partition_implILS5_8ELb0ES3_jPlPS6_PKS6_NS0_5tupleIJS9_S6_EEENSD_IJSA_SA_EEENS0_18inequality_wrapperIZN2at6native12_GLOBAL__N_124unique_dim_cuda_templateIN3c108BFloat16EEESt5tupleIJNSH_6TensorESO_SO_EERKSO_lbbbEUlllE0_EEPmJS6_EEE10hipError_tPvRmT3_T4_T5_T6_T7_T9_mT8_P12ihipStream_tbDpT10_ENKUlT_T0_E_clISt17integral_constantIbLb1EES1D_IbLb0EEEEDaS19_S1A_EUlS19_E_NS1_11comp_targetILNS1_3genE8ELNS1_11target_archE1030ELNS1_3gpuE2ELNS1_3repE0EEENS1_30default_config_static_selectorELNS0_4arch9wavefront6targetE0EEEvT1_.has_dyn_sized_stack, 0
	.set _ZN7rocprim17ROCPRIM_400000_NS6detail17trampoline_kernelINS0_14default_configENS1_25partition_config_selectorILNS1_17partition_subalgoE8ElNS0_10empty_typeEbEEZZNS1_14partition_implILS5_8ELb0ES3_jPlPS6_PKS6_NS0_5tupleIJS9_S6_EEENSD_IJSA_SA_EEENS0_18inequality_wrapperIZN2at6native12_GLOBAL__N_124unique_dim_cuda_templateIN3c108BFloat16EEESt5tupleIJNSH_6TensorESO_SO_EERKSO_lbbbEUlllE0_EEPmJS6_EEE10hipError_tPvRmT3_T4_T5_T6_T7_T9_mT8_P12ihipStream_tbDpT10_ENKUlT_T0_E_clISt17integral_constantIbLb1EES1D_IbLb0EEEEDaS19_S1A_EUlS19_E_NS1_11comp_targetILNS1_3genE8ELNS1_11target_archE1030ELNS1_3gpuE2ELNS1_3repE0EEENS1_30default_config_static_selectorELNS0_4arch9wavefront6targetE0EEEvT1_.has_recursion, 0
	.set _ZN7rocprim17ROCPRIM_400000_NS6detail17trampoline_kernelINS0_14default_configENS1_25partition_config_selectorILNS1_17partition_subalgoE8ElNS0_10empty_typeEbEEZZNS1_14partition_implILS5_8ELb0ES3_jPlPS6_PKS6_NS0_5tupleIJS9_S6_EEENSD_IJSA_SA_EEENS0_18inequality_wrapperIZN2at6native12_GLOBAL__N_124unique_dim_cuda_templateIN3c108BFloat16EEESt5tupleIJNSH_6TensorESO_SO_EERKSO_lbbbEUlllE0_EEPmJS6_EEE10hipError_tPvRmT3_T4_T5_T6_T7_T9_mT8_P12ihipStream_tbDpT10_ENKUlT_T0_E_clISt17integral_constantIbLb1EES1D_IbLb0EEEEDaS19_S1A_EUlS19_E_NS1_11comp_targetILNS1_3genE8ELNS1_11target_archE1030ELNS1_3gpuE2ELNS1_3repE0EEENS1_30default_config_static_selectorELNS0_4arch9wavefront6targetE0EEEvT1_.has_indirect_call, 0
	.section	.AMDGPU.csdata,"",@progbits
; Kernel info:
; codeLenInByte = 0
; TotalNumSgprs: 0
; NumVgprs: 0
; ScratchSize: 0
; MemoryBound: 0
; FloatMode: 240
; IeeeMode: 1
; LDSByteSize: 0 bytes/workgroup (compile time only)
; SGPRBlocks: 0
; VGPRBlocks: 0
; NumSGPRsForWavesPerEU: 1
; NumVGPRsForWavesPerEU: 1
; NamedBarCnt: 0
; Occupancy: 16
; WaveLimiterHint : 0
; COMPUTE_PGM_RSRC2:SCRATCH_EN: 0
; COMPUTE_PGM_RSRC2:USER_SGPR: 2
; COMPUTE_PGM_RSRC2:TRAP_HANDLER: 0
; COMPUTE_PGM_RSRC2:TGID_X_EN: 1
; COMPUTE_PGM_RSRC2:TGID_Y_EN: 0
; COMPUTE_PGM_RSRC2:TGID_Z_EN: 0
; COMPUTE_PGM_RSRC2:TIDIG_COMP_CNT: 0
	.section	.text._ZN7rocprim17ROCPRIM_400000_NS6detail17trampoline_kernelINS0_14default_configENS1_25partition_config_selectorILNS1_17partition_subalgoE8ElNS0_10empty_typeEbEEZZNS1_14partition_implILS5_8ELb0ES3_jPlPS6_PKS6_NS0_5tupleIJS9_S6_EEENSD_IJSA_SA_EEENS0_18inequality_wrapperIZN2at6native12_GLOBAL__N_124unique_dim_cuda_templateIN3c108BFloat16EEESt5tupleIJNSH_6TensorESO_SO_EERKSO_lbbbEUlllE0_EEPmJS6_EEE10hipError_tPvRmT3_T4_T5_T6_T7_T9_mT8_P12ihipStream_tbDpT10_ENKUlT_T0_E_clISt17integral_constantIbLb0EES1D_IbLb1EEEEDaS19_S1A_EUlS19_E_NS1_11comp_targetILNS1_3genE0ELNS1_11target_archE4294967295ELNS1_3gpuE0ELNS1_3repE0EEENS1_30default_config_static_selectorELNS0_4arch9wavefront6targetE0EEEvT1_,"axG",@progbits,_ZN7rocprim17ROCPRIM_400000_NS6detail17trampoline_kernelINS0_14default_configENS1_25partition_config_selectorILNS1_17partition_subalgoE8ElNS0_10empty_typeEbEEZZNS1_14partition_implILS5_8ELb0ES3_jPlPS6_PKS6_NS0_5tupleIJS9_S6_EEENSD_IJSA_SA_EEENS0_18inequality_wrapperIZN2at6native12_GLOBAL__N_124unique_dim_cuda_templateIN3c108BFloat16EEESt5tupleIJNSH_6TensorESO_SO_EERKSO_lbbbEUlllE0_EEPmJS6_EEE10hipError_tPvRmT3_T4_T5_T6_T7_T9_mT8_P12ihipStream_tbDpT10_ENKUlT_T0_E_clISt17integral_constantIbLb0EES1D_IbLb1EEEEDaS19_S1A_EUlS19_E_NS1_11comp_targetILNS1_3genE0ELNS1_11target_archE4294967295ELNS1_3gpuE0ELNS1_3repE0EEENS1_30default_config_static_selectorELNS0_4arch9wavefront6targetE0EEEvT1_,comdat
	.globl	_ZN7rocprim17ROCPRIM_400000_NS6detail17trampoline_kernelINS0_14default_configENS1_25partition_config_selectorILNS1_17partition_subalgoE8ElNS0_10empty_typeEbEEZZNS1_14partition_implILS5_8ELb0ES3_jPlPS6_PKS6_NS0_5tupleIJS9_S6_EEENSD_IJSA_SA_EEENS0_18inequality_wrapperIZN2at6native12_GLOBAL__N_124unique_dim_cuda_templateIN3c108BFloat16EEESt5tupleIJNSH_6TensorESO_SO_EERKSO_lbbbEUlllE0_EEPmJS6_EEE10hipError_tPvRmT3_T4_T5_T6_T7_T9_mT8_P12ihipStream_tbDpT10_ENKUlT_T0_E_clISt17integral_constantIbLb0EES1D_IbLb1EEEEDaS19_S1A_EUlS19_E_NS1_11comp_targetILNS1_3genE0ELNS1_11target_archE4294967295ELNS1_3gpuE0ELNS1_3repE0EEENS1_30default_config_static_selectorELNS0_4arch9wavefront6targetE0EEEvT1_ ; -- Begin function _ZN7rocprim17ROCPRIM_400000_NS6detail17trampoline_kernelINS0_14default_configENS1_25partition_config_selectorILNS1_17partition_subalgoE8ElNS0_10empty_typeEbEEZZNS1_14partition_implILS5_8ELb0ES3_jPlPS6_PKS6_NS0_5tupleIJS9_S6_EEENSD_IJSA_SA_EEENS0_18inequality_wrapperIZN2at6native12_GLOBAL__N_124unique_dim_cuda_templateIN3c108BFloat16EEESt5tupleIJNSH_6TensorESO_SO_EERKSO_lbbbEUlllE0_EEPmJS6_EEE10hipError_tPvRmT3_T4_T5_T6_T7_T9_mT8_P12ihipStream_tbDpT10_ENKUlT_T0_E_clISt17integral_constantIbLb0EES1D_IbLb1EEEEDaS19_S1A_EUlS19_E_NS1_11comp_targetILNS1_3genE0ELNS1_11target_archE4294967295ELNS1_3gpuE0ELNS1_3repE0EEENS1_30default_config_static_selectorELNS0_4arch9wavefront6targetE0EEEvT1_
	.p2align	8
	.type	_ZN7rocprim17ROCPRIM_400000_NS6detail17trampoline_kernelINS0_14default_configENS1_25partition_config_selectorILNS1_17partition_subalgoE8ElNS0_10empty_typeEbEEZZNS1_14partition_implILS5_8ELb0ES3_jPlPS6_PKS6_NS0_5tupleIJS9_S6_EEENSD_IJSA_SA_EEENS0_18inequality_wrapperIZN2at6native12_GLOBAL__N_124unique_dim_cuda_templateIN3c108BFloat16EEESt5tupleIJNSH_6TensorESO_SO_EERKSO_lbbbEUlllE0_EEPmJS6_EEE10hipError_tPvRmT3_T4_T5_T6_T7_T9_mT8_P12ihipStream_tbDpT10_ENKUlT_T0_E_clISt17integral_constantIbLb0EES1D_IbLb1EEEEDaS19_S1A_EUlS19_E_NS1_11comp_targetILNS1_3genE0ELNS1_11target_archE4294967295ELNS1_3gpuE0ELNS1_3repE0EEENS1_30default_config_static_selectorELNS0_4arch9wavefront6targetE0EEEvT1_,@function
_ZN7rocprim17ROCPRIM_400000_NS6detail17trampoline_kernelINS0_14default_configENS1_25partition_config_selectorILNS1_17partition_subalgoE8ElNS0_10empty_typeEbEEZZNS1_14partition_implILS5_8ELb0ES3_jPlPS6_PKS6_NS0_5tupleIJS9_S6_EEENSD_IJSA_SA_EEENS0_18inequality_wrapperIZN2at6native12_GLOBAL__N_124unique_dim_cuda_templateIN3c108BFloat16EEESt5tupleIJNSH_6TensorESO_SO_EERKSO_lbbbEUlllE0_EEPmJS6_EEE10hipError_tPvRmT3_T4_T5_T6_T7_T9_mT8_P12ihipStream_tbDpT10_ENKUlT_T0_E_clISt17integral_constantIbLb0EES1D_IbLb1EEEEDaS19_S1A_EUlS19_E_NS1_11comp_targetILNS1_3genE0ELNS1_11target_archE4294967295ELNS1_3gpuE0ELNS1_3repE0EEENS1_30default_config_static_selectorELNS0_4arch9wavefront6targetE0EEEvT1_: ; @_ZN7rocprim17ROCPRIM_400000_NS6detail17trampoline_kernelINS0_14default_configENS1_25partition_config_selectorILNS1_17partition_subalgoE8ElNS0_10empty_typeEbEEZZNS1_14partition_implILS5_8ELb0ES3_jPlPS6_PKS6_NS0_5tupleIJS9_S6_EEENSD_IJSA_SA_EEENS0_18inequality_wrapperIZN2at6native12_GLOBAL__N_124unique_dim_cuda_templateIN3c108BFloat16EEESt5tupleIJNSH_6TensorESO_SO_EERKSO_lbbbEUlllE0_EEPmJS6_EEE10hipError_tPvRmT3_T4_T5_T6_T7_T9_mT8_P12ihipStream_tbDpT10_ENKUlT_T0_E_clISt17integral_constantIbLb0EES1D_IbLb1EEEEDaS19_S1A_EUlS19_E_NS1_11comp_targetILNS1_3genE0ELNS1_11target_archE4294967295ELNS1_3gpuE0ELNS1_3repE0EEENS1_30default_config_static_selectorELNS0_4arch9wavefront6targetE0EEEvT1_
; %bb.0:
	s_clause 0x1
	s_load_b256 s[12:19], s[0:1], 0x40
	s_load_b128 s[8:11], s[0:1], 0x60
	v_cmp_ne_u32_e64 s3, 0, v0
	v_cmp_eq_u32_e64 s2, 0, v0
	s_and_saveexec_b32 s4, s2
	s_cbranch_execz .LBB1198_4
; %bb.1:
	s_mov_b32 s6, exec_lo
	s_mov_b32 s5, exec_lo
	v_mbcnt_lo_u32_b32 v1, s6, 0
                                        ; implicit-def: $vgpr2
	s_delay_alu instid0(VALU_DEP_1)
	v_cmpx_eq_u32_e32 0, v1
	s_cbranch_execz .LBB1198_3
; %bb.2:
	s_load_b64 s[20:21], s[0:1], 0x78
	s_bcnt1_i32_b32 s6, s6
	s_delay_alu instid0(SALU_CYCLE_1)
	v_dual_mov_b32 v2, 0 :: v_dual_mov_b32 v3, s6
	s_wait_xcnt 0x0
	s_wait_kmcnt 0x0
	global_atomic_add_u32 v2, v2, v3, s[20:21] th:TH_ATOMIC_RETURN scope:SCOPE_DEV
.LBB1198_3:
	s_wait_xcnt 0x0
	s_or_b32 exec_lo, exec_lo, s5
	s_wait_loadcnt 0x0
	v_readfirstlane_b32 s5, v2
	s_delay_alu instid0(VALU_DEP_1)
	v_dual_mov_b32 v2, 0 :: v_dual_add_nc_u32 v1, s5, v1
	ds_store_b32 v2, v1
.LBB1198_4:
	s_or_b32 exec_lo, exec_lo, s4
	v_dual_mov_b32 v3, 0 :: v_dual_lshlrev_b32 v18, 3, v0
	s_clause 0x2
	s_load_b128 s[4:7], s[0:1], 0x8
	s_load_b64 s[20:21], s[0:1], 0x28
	s_load_b32 s22, s[0:1], 0x70
	s_wait_dscnt 0x0
	s_barrier_signal -1
	s_barrier_wait -1
	ds_load_b32 v1, v3
	s_wait_dscnt 0x0
	s_barrier_signal -1
	s_barrier_wait -1
	s_wait_kmcnt 0x0
	global_load_b64 v[4:5], v3, s[14:15]
	s_wait_xcnt 0x0
	s_mov_b32 s15, 0
	s_lshl_b64 s[0:1], s[6:7], 3
	s_mul_i32 s14, s22, 0xe00
	s_add_co_i32 s26, s22, -1
	s_add_nc_u64 s[24:25], s[6:7], s[14:15]
	s_add_co_i32 s14, s14, s6
	v_cmp_le_u64_e64 s15, s[16:17], s[24:25]
	v_mul_lo_u32 v2, 0xe00, v1
	v_readfirstlane_b32 s22, v1
	s_sub_co_i32 s23, s16, s14
	s_add_nc_u64 s[0:1], s[4:5], s[0:1]
	s_cmp_eq_u32 s22, s26
	s_cselect_b32 s16, -1, 0
	s_delay_alu instid0(SALU_CYCLE_1) | instskip(SKIP_2) | instid1(SALU_CYCLE_1)
	s_and_b32 s24, s15, s16
	v_lshlrev_b64_e32 v[2:3], 3, v[2:3]
	s_xor_b32 s17, s24, -1
	s_and_b32 vcc_lo, exec_lo, s17
	s_delay_alu instid0(VALU_DEP_1)
	v_add_nc_u64_e32 v[20:21], s[0:1], v[2:3]
	s_mov_b32 s0, -1
	s_wait_loadcnt 0x0
	v_readfirstlane_b32 s14, v4
	v_readfirstlane_b32 s15, v5
	s_cbranch_vccz .LBB1198_6
; %bb.5:
	v_readfirstlane_b32 s0, v20
	v_readfirstlane_b32 s1, v21
	v_lshlrev_b32_e32 v1, 3, v0
	s_clause 0x6
	global_load_b64 v[2:3], v0, s[0:1] scale_offset
	global_load_b64 v[4:5], v0, s[0:1] offset:4096 scale_offset
	global_load_b64 v[6:7], v0, s[0:1] offset:8192 scale_offset
	;; [unrolled: 1-line block ×6, first 2 shown]
	s_wait_xcnt 0x0
	s_mov_b32 s0, 0
	s_wait_loadcnt 0x5
	ds_store_2addr_stride64_b64 v1, v[2:3], v[4:5] offset1:8
	s_wait_loadcnt 0x3
	ds_store_2addr_stride64_b64 v1, v[6:7], v[8:9] offset0:16 offset1:24
	s_wait_loadcnt 0x1
	ds_store_2addr_stride64_b64 v1, v[10:11], v[12:13] offset0:32 offset1:40
	s_wait_loadcnt 0x0
	ds_store_b64 v1, v[14:15] offset:24576
	s_wait_dscnt 0x0
	s_barrier_signal -1
	s_barrier_wait -1
.LBB1198_6:
	s_and_not1_b32 vcc_lo, exec_lo, s0
	s_addk_co_i32 s23, 0xe00
	s_cbranch_vccnz .LBB1198_22
; %bb.7:
	v_mov_b32_e32 v2, 0
	s_mov_b32 s0, exec_lo
	s_delay_alu instid0(VALU_DEP_1)
	v_dual_mov_b32 v3, v2 :: v_dual_mov_b32 v4, v2
	v_dual_mov_b32 v5, v2 :: v_dual_mov_b32 v6, v2
	;; [unrolled: 1-line block ×6, first 2 shown]
	v_mov_b32_e32 v15, v2
	v_cmpx_gt_u32_e64 s23, v0
	s_cbranch_execz .LBB1198_9
; %bb.8:
	v_readfirstlane_b32 s4, v20
	v_readfirstlane_b32 s5, v21
	v_dual_mov_b32 v6, v2 :: v_dual_mov_b32 v7, v2
	v_dual_mov_b32 v8, v2 :: v_dual_mov_b32 v9, v2
	global_load_b64 v[4:5], v0, s[4:5] scale_offset
	v_dual_mov_b32 v10, v2 :: v_dual_mov_b32 v11, v2
	v_dual_mov_b32 v12, v2 :: v_dual_mov_b32 v13, v2
	;; [unrolled: 1-line block ×4, first 2 shown]
	s_wait_loadcnt 0x0
	v_mov_b64_e32 v[2:3], v[4:5]
	v_mov_b64_e32 v[4:5], v[6:7]
	;; [unrolled: 1-line block ×8, first 2 shown]
.LBB1198_9:
	s_or_b32 exec_lo, exec_lo, s0
	v_or_b32_e32 v1, 0x200, v0
	s_mov_b32 s0, exec_lo
	s_delay_alu instid0(VALU_DEP_1)
	v_cmpx_gt_u32_e64 s23, v1
	s_cbranch_execz .LBB1198_11
; %bb.10:
	v_readfirstlane_b32 s4, v20
	v_readfirstlane_b32 s5, v21
	global_load_b64 v[4:5], v0, s[4:5] offset:4096 scale_offset
.LBB1198_11:
	s_wait_xcnt 0x0
	s_or_b32 exec_lo, exec_lo, s0
	v_or_b32_e32 v1, 0x400, v0
	s_mov_b32 s0, exec_lo
	s_delay_alu instid0(VALU_DEP_1)
	v_cmpx_gt_u32_e64 s23, v1
	s_cbranch_execz .LBB1198_13
; %bb.12:
	v_readfirstlane_b32 s4, v20
	v_readfirstlane_b32 s5, v21
	global_load_b64 v[6:7], v0, s[4:5] offset:8192 scale_offset
.LBB1198_13:
	s_wait_xcnt 0x0
	;; [unrolled: 12-line block ×6, first 2 shown]
	s_or_b32 exec_lo, exec_lo, s0
	v_lshlrev_b32_e32 v1, 3, v0
	s_wait_loadcnt 0x0
	ds_store_2addr_stride64_b64 v1, v[2:3], v[4:5] offset1:8
	ds_store_2addr_stride64_b64 v1, v[6:7], v[8:9] offset0:16 offset1:24
	ds_store_2addr_stride64_b64 v1, v[10:11], v[12:13] offset0:32 offset1:40
	ds_store_b64 v1, v[14:15] offset:24576
	s_wait_dscnt 0x0
	s_barrier_signal -1
	s_barrier_wait -1
.LBB1198_22:
	v_mul_u32_u24_e32 v1, 7, v0
	s_cmp_lg_u32 s22, 0
	s_cselect_b32 s25, -1, 0
	s_delay_alu instid0(VALU_DEP_1)
	v_lshlrev_b32_e32 v26, 3, v1
	s_cmp_lg_u64 s[6:7], 0
	v_cmp_gt_i64_e64 s7, s[18:19], 0
	s_cselect_b32 s0, -1, 0
	s_mov_b32 s6, 0
	ds_load_2addr_b64 v[10:13], v26 offset1:1
	ds_load_2addr_b64 v[6:9], v26 offset0:2 offset1:3
	ds_load_2addr_b64 v[2:5], v26 offset0:4 offset1:5
	ds_load_b64 v[14:15], v26 offset:48
	s_or_b32 s0, s0, s25
	s_wait_dscnt 0x0
	s_and_b32 vcc_lo, exec_lo, s0
	s_barrier_signal -1
	s_barrier_wait -1
	s_cbranch_vccz .LBB1198_38
; %bb.23:
	global_load_b64 v[20:21], v[20:21], off offset:-8
	v_cndmask_b32_e64 v27, 0, 1, s7
	v_lshlrev_b32_e32 v28, 3, v0
	s_and_b32 vcc_lo, exec_lo, s17
	s_delay_alu instid0(VALU_DEP_2)
	v_cmp_ne_u32_e64 s0, 1, v27
	ds_store_b64 v28, v[14:15]
	s_cbranch_vccz .LBB1198_40
; %bb.24:
	s_and_b32 vcc_lo, exec_lo, s0
	s_cbranch_vccnz .LBB1198_41
; %bb.25:
	v_mul_u64_e32 v[16:17], s[18:19], v[4:5]
	v_mul_u64_e32 v[22:23], s[18:19], v[14:15]
	s_add_nc_u64 s[4:5], s[18:19], -1
	s_mov_b32 s26, 0
	s_mov_b64 s[0:1], s[4:5]
                                        ; implicit-def: $sgpr6
	s_delay_alu instid0(VALU_DEP_2) | instskip(NEXT) | instid1(VALU_DEP_2)
	v_lshl_add_u64 v[16:17], v[16:17], 1, s[8:9]
	v_lshl_add_u64 v[22:23], v[22:23], 1, s[8:9]
	s_delay_alu instid0(VALU_DEP_2)
	v_mov_b64_e32 v[24:25], v[16:17]
.LBB1198_26:                            ; =>This Inner Loop Header: Depth=1
	global_load_u16 v19, v[22:23], off
	global_load_u16 v29, v[24:25], off
	s_cmp_eq_u64 s[0:1], 0
	s_add_nc_u64 s[28:29], s[0:1], -1
	s_cselect_b32 s1, -1, 0
	s_wait_xcnt 0x0
	v_add_nc_u64_e32 v[24:25], 2, v[24:25]
	v_add_nc_u64_e32 v[22:23], 2, v[22:23]
	s_wait_loadcnt 0x0
	v_dual_lshlrev_b32 v19, 16, v19 :: v_dual_lshlrev_b32 v29, 16, v29
	s_delay_alu instid0(VALU_DEP_1) | instskip(SKIP_2) | instid1(SALU_CYCLE_1)
	v_cmp_neq_f32_e32 vcc_lo, v29, v19
	v_cmp_eq_f32_e64 s0, v29, v19
	s_or_b32 s1, vcc_lo, s1
	s_and_b32 s1, exec_lo, s1
	s_delay_alu instid0(SALU_CYCLE_1)
	s_or_b32 s26, s1, s26
	s_and_not1_b32 s6, s6, exec_lo
	s_and_b32 s27, s0, exec_lo
	s_mov_b64 s[0:1], s[28:29]
	s_or_b32 s6, s6, s27
	s_and_not1_b32 exec_lo, exec_lo, s26
	s_cbranch_execnz .LBB1198_26
; %bb.27:
	s_or_b32 exec_lo, exec_lo, s26
	v_mul_u64_e32 v[22:23], s[18:19], v[2:3]
	s_mov_b32 s27, 0
	s_mov_b64 s[0:1], s[4:5]
                                        ; implicit-def: $sgpr26
	s_delay_alu instid0(VALU_DEP_1) | instskip(NEXT) | instid1(VALU_DEP_1)
	v_lshl_add_u64 v[22:23], v[22:23], 1, s[8:9]
	v_mov_b64_e32 v[24:25], v[22:23]
.LBB1198_28:                            ; =>This Inner Loop Header: Depth=1
	global_load_u16 v19, v[16:17], off
	global_load_u16 v29, v[24:25], off
	s_cmp_eq_u64 s[0:1], 0
	s_add_nc_u64 s[28:29], s[0:1], -1
	s_cselect_b32 s1, -1, 0
	s_wait_xcnt 0x0
	v_add_nc_u64_e32 v[24:25], 2, v[24:25]
	v_add_nc_u64_e32 v[16:17], 2, v[16:17]
	s_wait_loadcnt 0x0
	v_dual_lshlrev_b32 v19, 16, v19 :: v_dual_lshlrev_b32 v29, 16, v29
	s_delay_alu instid0(VALU_DEP_1) | instskip(SKIP_2) | instid1(SALU_CYCLE_1)
	v_cmp_neq_f32_e32 vcc_lo, v29, v19
	v_cmp_eq_f32_e64 s0, v29, v19
	s_or_b32 s1, vcc_lo, s1
	s_and_b32 s1, exec_lo, s1
	s_delay_alu instid0(SALU_CYCLE_1)
	s_or_b32 s27, s1, s27
	s_and_not1_b32 s26, s26, exec_lo
	s_and_b32 s30, s0, exec_lo
	s_mov_b64 s[0:1], s[28:29]
	s_or_b32 s26, s26, s30
	s_and_not1_b32 exec_lo, exec_lo, s27
	s_cbranch_execnz .LBB1198_28
; %bb.29:
	s_or_b32 exec_lo, exec_lo, s27
	v_mul_u64_e32 v[16:17], s[18:19], v[8:9]
	s_mov_b32 s28, 0
	s_mov_b64 s[0:1], s[4:5]
                                        ; implicit-def: $sgpr27
	s_delay_alu instid0(VALU_DEP_1) | instskip(NEXT) | instid1(VALU_DEP_1)
	v_lshl_add_u64 v[16:17], v[16:17], 1, s[8:9]
	v_mov_b64_e32 v[24:25], v[16:17]
.LBB1198_30:                            ; =>This Inner Loop Header: Depth=1
	global_load_u16 v19, v[22:23], off
	global_load_u16 v29, v[24:25], off
	s_cmp_eq_u64 s[0:1], 0
	s_add_nc_u64 s[30:31], s[0:1], -1
	s_cselect_b32 s1, -1, 0
	s_wait_xcnt 0x0
	v_add_nc_u64_e32 v[24:25], 2, v[24:25]
	v_add_nc_u64_e32 v[22:23], 2, v[22:23]
	s_wait_loadcnt 0x0
	v_dual_lshlrev_b32 v19, 16, v19 :: v_dual_lshlrev_b32 v29, 16, v29
	s_delay_alu instid0(VALU_DEP_1) | instskip(SKIP_2) | instid1(SALU_CYCLE_1)
	v_cmp_neq_f32_e32 vcc_lo, v29, v19
	v_cmp_eq_f32_e64 s0, v29, v19
	s_or_b32 s1, vcc_lo, s1
	s_and_b32 s1, exec_lo, s1
	s_delay_alu instid0(SALU_CYCLE_1)
	s_or_b32 s28, s1, s28
	s_and_not1_b32 s27, s27, exec_lo
	s_and_b32 s29, s0, exec_lo
	s_mov_b64 s[0:1], s[30:31]
	s_or_b32 s27, s27, s29
	s_and_not1_b32 exec_lo, exec_lo, s28
	s_cbranch_execnz .LBB1198_30
; %bb.31:
	s_or_b32 exec_lo, exec_lo, s28
	v_mul_u64_e32 v[22:23], s[18:19], v[6:7]
	s_mov_b32 s29, 0
	s_mov_b64 s[0:1], s[4:5]
                                        ; implicit-def: $sgpr28
	s_delay_alu instid0(VALU_DEP_1) | instskip(NEXT) | instid1(VALU_DEP_1)
	v_lshl_add_u64 v[22:23], v[22:23], 1, s[8:9]
	v_mov_b64_e32 v[24:25], v[22:23]
.LBB1198_32:                            ; =>This Inner Loop Header: Depth=1
	global_load_u16 v19, v[16:17], off
	global_load_u16 v29, v[24:25], off
	s_cmp_eq_u64 s[0:1], 0
	s_add_nc_u64 s[30:31], s[0:1], -1
	s_cselect_b32 s1, -1, 0
	s_wait_xcnt 0x0
	v_add_nc_u64_e32 v[24:25], 2, v[24:25]
	v_add_nc_u64_e32 v[16:17], 2, v[16:17]
	s_wait_loadcnt 0x0
	v_dual_lshlrev_b32 v19, 16, v19 :: v_dual_lshlrev_b32 v29, 16, v29
	s_delay_alu instid0(VALU_DEP_1) | instskip(SKIP_2) | instid1(SALU_CYCLE_1)
	v_cmp_neq_f32_e32 vcc_lo, v29, v19
	v_cmp_eq_f32_e64 s0, v29, v19
	s_or_b32 s1, vcc_lo, s1
	s_and_b32 s1, exec_lo, s1
	s_delay_alu instid0(SALU_CYCLE_1)
	s_or_b32 s29, s1, s29
	s_and_not1_b32 s28, s28, exec_lo
	s_and_b32 s33, s0, exec_lo
	s_mov_b64 s[0:1], s[30:31]
	s_or_b32 s28, s28, s33
	s_and_not1_b32 exec_lo, exec_lo, s29
	s_cbranch_execnz .LBB1198_32
; %bb.33:
	s_or_b32 exec_lo, exec_lo, s29
	v_mul_u64_e32 v[16:17], s[18:19], v[12:13]
	s_mov_b32 s30, 0
	s_mov_b64 s[0:1], s[4:5]
                                        ; implicit-def: $sgpr29
	s_delay_alu instid0(VALU_DEP_1) | instskip(NEXT) | instid1(VALU_DEP_1)
	v_lshl_add_u64 v[16:17], v[16:17], 1, s[8:9]
	v_mov_b64_e32 v[24:25], v[16:17]
.LBB1198_34:                            ; =>This Inner Loop Header: Depth=1
	global_load_u16 v19, v[22:23], off
	global_load_u16 v29, v[24:25], off
	s_cmp_eq_u64 s[0:1], 0
	s_add_nc_u64 s[34:35], s[0:1], -1
	s_cselect_b32 s1, -1, 0
	s_wait_xcnt 0x0
	v_add_nc_u64_e32 v[24:25], 2, v[24:25]
	v_add_nc_u64_e32 v[22:23], 2, v[22:23]
	s_wait_loadcnt 0x0
	v_dual_lshlrev_b32 v19, 16, v19 :: v_dual_lshlrev_b32 v29, 16, v29
	s_delay_alu instid0(VALU_DEP_1) | instskip(SKIP_2) | instid1(SALU_CYCLE_1)
	v_cmp_neq_f32_e32 vcc_lo, v29, v19
	v_cmp_eq_f32_e64 s0, v29, v19
	s_or_b32 s1, vcc_lo, s1
	s_and_b32 s1, exec_lo, s1
	s_delay_alu instid0(SALU_CYCLE_1)
	s_or_b32 s30, s1, s30
	s_and_not1_b32 s29, s29, exec_lo
	s_and_b32 s31, s0, exec_lo
	s_mov_b64 s[0:1], s[34:35]
	s_or_b32 s29, s29, s31
	s_and_not1_b32 exec_lo, exec_lo, s30
	s_cbranch_execnz .LBB1198_34
; %bb.35:
	s_or_b32 exec_lo, exec_lo, s30
	v_mul_u64_e32 v[22:23], s[18:19], v[10:11]
	s_mov_b32 s30, 0
                                        ; implicit-def: $sgpr1
	s_delay_alu instid0(VALU_DEP_1)
	v_lshl_add_u64 v[22:23], v[22:23], 1, s[8:9]
.LBB1198_36:                            ; =>This Inner Loop Header: Depth=1
	global_load_u16 v19, v[16:17], off
	global_load_u16 v24, v[22:23], off
	s_cmp_eq_u64 s[4:5], 0
	s_add_nc_u64 s[34:35], s[4:5], -1
	s_cselect_b32 s4, -1, 0
	s_wait_xcnt 0x0
	v_add_nc_u64_e32 v[22:23], 2, v[22:23]
	v_add_nc_u64_e32 v[16:17], 2, v[16:17]
	s_wait_loadcnt 0x0
	v_dual_lshlrev_b32 v19, 16, v19 :: v_dual_lshlrev_b32 v24, 16, v24
	s_delay_alu instid0(VALU_DEP_1) | instskip(SKIP_2) | instid1(SALU_CYCLE_1)
	v_cmp_neq_f32_e32 vcc_lo, v24, v19
	v_cmp_eq_f32_e64 s0, v24, v19
	s_or_b32 s4, vcc_lo, s4
	s_and_b32 s4, exec_lo, s4
	s_delay_alu instid0(SALU_CYCLE_1)
	s_or_b32 s30, s4, s30
	s_and_not1_b32 s1, s1, exec_lo
	s_and_b32 s0, s0, exec_lo
	s_mov_b64 s[4:5], s[34:35]
	s_or_b32 s1, s1, s0
	s_and_not1_b32 exec_lo, exec_lo, s30
	s_cbranch_execnz .LBB1198_36
; %bb.37:
	s_or_b32 exec_lo, exec_lo, s30
	s_xor_b32 s0, s28, -1
	s_delay_alu instid0(SALU_CYCLE_1) | instskip(SKIP_1) | instid1(SALU_CYCLE_1)
	v_cndmask_b32_e64 v16, 0, 1, s0
	s_xor_b32 s0, s29, -1
	v_cndmask_b32_e64 v17, 0, 1, s0
	s_xor_b32 s0, s26, -1
	s_delay_alu instid0(VALU_DEP_2) | instskip(SKIP_2) | instid1(SALU_CYCLE_1)
	v_lshlrev_b16 v16, 8, v16
	v_cndmask_b32_e64 v30, 0, 1, s0
	s_xor_b32 s0, s6, -1
	v_cndmask_b32_e64 v19, 0, 1, s0
	s_delay_alu instid0(VALU_DEP_3) | instskip(SKIP_1) | instid1(VALU_DEP_1)
	v_lshrrev_b32_e32 v16, 8, v16
	s_xor_b32 s0, s27, -1
	v_and_b32_e32 v16, 1, v16
	s_delay_alu instid0(VALU_DEP_1) | instskip(NEXT) | instid1(VALU_DEP_1)
	v_lshlrev_b16 v16, 8, v16
	v_or_b32_e32 v16, v17, v16
	v_cndmask_b32_e64 v17, 0, 1, s0
	s_xor_b32 s0, s1, -1
	s_delay_alu instid0(VALU_DEP_2)
	v_lshlrev_b32_e32 v16, 16, v16
	s_branch .LBB1198_42
.LBB1198_38:
                                        ; implicit-def: $sgpr0
                                        ; implicit-def: $vgpr19
                                        ; implicit-def: $vgpr30
                                        ; implicit-def: $vgpr17
                                        ; implicit-def: $vgpr22
	s_branch .LBB1198_95
.LBB1198_39:
                                        ; implicit-def: $vgpr32
                                        ; implicit-def: $vgpr31
                                        ; implicit-def: $vgpr20
	s_branch .LBB1198_164
.LBB1198_40:
                                        ; implicit-def: $sgpr0
                                        ; implicit-def: $vgpr19
                                        ; implicit-def: $vgpr30
                                        ; implicit-def: $vgpr17
                                        ; implicit-def: $vgpr22
	s_cbranch_execnz .LBB1198_49
	s_branch .LBB1198_94
.LBB1198_41:
	v_dual_mov_b32 v16, 0 :: v_dual_mov_b32 v19, 0
	v_dual_mov_b32 v30, 0 :: v_dual_mov_b32 v17, 0
	s_mov_b32 s0, 0
.LBB1198_42:
	s_wait_loadcnt 0x0
	v_mov_b64_e32 v[22:23], v[20:21]
	s_wait_dscnt 0x0
	s_barrier_signal -1
	s_barrier_wait -1
	s_and_saveexec_b32 s1, s3
; %bb.43:
	v_add_nc_u32_e32 v22, -8, v28
	ds_load_b64 v[22:23], v22
; %bb.44:
	s_or_b32 exec_lo, exec_lo, s1
	v_cndmask_b32_e64 v24, 0, 1, s0
	v_lshrrev_b32_e32 v25, 16, v16
	s_mov_b32 s4, 0
	s_and_not1_b32 vcc_lo, exec_lo, s7
	s_mov_b32 s0, 0
	v_lshlrev_b16 v24, 8, v24
	s_delay_alu instid0(VALU_DEP_1) | instskip(SKIP_1) | instid1(VALU_DEP_2)
	v_bitop3_b16 v24, v16, v24, 0xff bitop3:0xec
	v_perm_b32 v16, v25, v16, 0xc0c0304
	v_and_b32_e32 v29, 0xffff, v24
	s_cbranch_vccnz .LBB1198_48
; %bb.45:
	s_wait_dscnt 0x0
	v_mul_u64_e32 v[22:23], s[18:19], v[22:23]
	v_mul_u64_e32 v[24:25], s[18:19], v[10:11]
	s_add_nc_u64 s[0:1], s[18:19], -1
	s_mov_b32 s5, 0
                                        ; implicit-def: $sgpr6
	s_delay_alu instid0(VALU_DEP_2) | instskip(NEXT) | instid1(VALU_DEP_2)
	v_lshl_add_u64 v[22:23], v[22:23], 1, s[8:9]
	v_lshl_add_u64 v[24:25], v[24:25], 1, s[8:9]
.LBB1198_46:                            ; =>This Inner Loop Header: Depth=1
	global_load_u16 v31, v[24:25], off
	global_load_u16 v32, v[22:23], off
	s_cmp_eq_u64 s[0:1], 0
	s_add_nc_u64 s[26:27], s[0:1], -1
	s_cselect_b32 s1, -1, 0
	s_wait_xcnt 0x0
	v_add_nc_u64_e32 v[22:23], 2, v[22:23]
	v_add_nc_u64_e32 v[24:25], 2, v[24:25]
	s_wait_loadcnt 0x0
	v_dual_lshlrev_b32 v31, 16, v31 :: v_dual_lshlrev_b32 v32, 16, v32
	s_delay_alu instid0(VALU_DEP_1) | instskip(SKIP_2) | instid1(SALU_CYCLE_1)
	v_cmp_neq_f32_e32 vcc_lo, v32, v31
	v_cmp_eq_f32_e64 s0, v32, v31
	s_or_b32 s1, vcc_lo, s1
	s_and_b32 s1, exec_lo, s1
	s_delay_alu instid0(SALU_CYCLE_1)
	s_or_b32 s5, s1, s5
	s_and_not1_b32 s6, s6, exec_lo
	s_and_b32 s28, s0, exec_lo
	s_mov_b64 s[0:1], s[26:27]
	s_or_b32 s6, s6, s28
	s_and_not1_b32 exec_lo, exec_lo, s5
	s_cbranch_execnz .LBB1198_46
; %bb.47:
	s_or_b32 exec_lo, exec_lo, s5
	s_xor_b32 s0, s6, -1
.LBB1198_48:
	s_wait_dscnt 0x0
	s_delay_alu instid0(VALU_DEP_1)
	v_lshl_or_b32 v22, v16, 16, v29
	s_and_b32 vcc_lo, exec_lo, s4
	s_cbranch_vccz .LBB1198_94
.LBB1198_49:
	v_add_nc_u32_e32 v16, 6, v1
	s_mov_b32 s5, 0
	s_mov_b32 s4, 0
	s_mov_b32 s6, exec_lo
	s_wait_xcnt 0x0
	v_cmpx_gt_u32_e64 s23, v16
	s_cbranch_execz .LBB1198_55
; %bb.50:
	s_and_not1_b32 vcc_lo, exec_lo, s7
	s_mov_b32 s0, 0
	s_cbranch_vccnz .LBB1198_54
; %bb.51:
	v_mul_u64_e32 v[16:17], s[18:19], v[4:5]
	v_mul_u64_e32 v[22:23], s[18:19], v[14:15]
	s_add_nc_u64 s[0:1], s[18:19], -1
                                        ; implicit-def: $sgpr7
	s_delay_alu instid0(VALU_DEP_2) | instskip(NEXT) | instid1(VALU_DEP_2)
	v_lshl_add_u64 v[16:17], v[16:17], 1, s[8:9]
	v_lshl_add_u64 v[22:23], v[22:23], 1, s[8:9]
.LBB1198_52:                            ; =>This Inner Loop Header: Depth=1
	global_load_u16 v19, v[22:23], off
	global_load_u16 v24, v[16:17], off
	s_cmp_eq_u64 s[0:1], 0
	s_add_nc_u64 s[26:27], s[0:1], -1
	s_cselect_b32 s1, -1, 0
	s_wait_xcnt 0x0
	v_add_nc_u64_e32 v[16:17], 2, v[16:17]
	v_add_nc_u64_e32 v[22:23], 2, v[22:23]
	s_wait_loadcnt 0x0
	v_dual_lshlrev_b32 v19, 16, v19 :: v_dual_lshlrev_b32 v24, 16, v24
	s_delay_alu instid0(VALU_DEP_1) | instskip(SKIP_2) | instid1(SALU_CYCLE_1)
	v_cmp_neq_f32_e32 vcc_lo, v24, v19
	v_cmp_eq_f32_e64 s0, v24, v19
	s_or_b32 s1, vcc_lo, s1
	s_and_b32 s1, exec_lo, s1
	s_delay_alu instid0(SALU_CYCLE_1)
	s_or_b32 s4, s1, s4
	s_and_not1_b32 s7, s7, exec_lo
	s_and_b32 s28, s0, exec_lo
	s_mov_b64 s[0:1], s[26:27]
	s_or_b32 s7, s7, s28
	s_and_not1_b32 exec_lo, exec_lo, s4
	s_cbranch_execnz .LBB1198_52
; %bb.53:
	s_or_b32 exec_lo, exec_lo, s4
	s_xor_b32 s0, s7, -1
.LBB1198_54:
	s_delay_alu instid0(SALU_CYCLE_1)
	s_and_b32 s4, s0, exec_lo
.LBB1198_55:
	s_or_b32 exec_lo, exec_lo, s6
	v_add_nc_u32_e32 v16, 5, v1
	s_mov_b32 s6, exec_lo
	s_delay_alu instid0(VALU_DEP_1)
	v_cmpx_gt_u32_e64 s23, v16
	s_cbranch_execz .LBB1198_61
; %bb.56:
	v_cmp_ne_u32_e32 vcc_lo, 1, v27
	s_mov_b32 s0, 0
	s_cbranch_vccnz .LBB1198_60
; %bb.57:
	v_mul_u64_e32 v[16:17], s[18:19], v[2:3]
	v_mul_u64_e32 v[22:23], s[18:19], v[4:5]
	s_add_nc_u64 s[0:1], s[18:19], -1
	s_mov_b32 s5, 0
                                        ; implicit-def: $sgpr7
	s_delay_alu instid0(VALU_DEP_2) | instskip(NEXT) | instid1(VALU_DEP_2)
	v_lshl_add_u64 v[16:17], v[16:17], 1, s[8:9]
	v_lshl_add_u64 v[22:23], v[22:23], 1, s[8:9]
.LBB1198_58:                            ; =>This Inner Loop Header: Depth=1
	global_load_u16 v19, v[22:23], off
	global_load_u16 v24, v[16:17], off
	s_cmp_eq_u64 s[0:1], 0
	s_add_nc_u64 s[26:27], s[0:1], -1
	s_cselect_b32 s1, -1, 0
	s_wait_xcnt 0x0
	v_add_nc_u64_e32 v[16:17], 2, v[16:17]
	v_add_nc_u64_e32 v[22:23], 2, v[22:23]
	s_wait_loadcnt 0x0
	v_dual_lshlrev_b32 v19, 16, v19 :: v_dual_lshlrev_b32 v24, 16, v24
	s_delay_alu instid0(VALU_DEP_1) | instskip(SKIP_2) | instid1(SALU_CYCLE_1)
	v_cmp_neq_f32_e32 vcc_lo, v24, v19
	v_cmp_eq_f32_e64 s0, v24, v19
	s_or_b32 s1, vcc_lo, s1
	s_and_b32 s1, exec_lo, s1
	s_delay_alu instid0(SALU_CYCLE_1)
	s_or_b32 s5, s1, s5
	s_and_not1_b32 s7, s7, exec_lo
	s_and_b32 s28, s0, exec_lo
	s_mov_b64 s[0:1], s[26:27]
	s_or_b32 s7, s7, s28
	s_and_not1_b32 exec_lo, exec_lo, s5
	s_cbranch_execnz .LBB1198_58
; %bb.59:
	s_or_b32 exec_lo, exec_lo, s5
	s_xor_b32 s0, s7, -1
.LBB1198_60:
	s_delay_alu instid0(SALU_CYCLE_1)
	s_and_b32 s5, s0, exec_lo
.LBB1198_61:
	s_or_b32 exec_lo, exec_lo, s6
	v_add_nc_u32_e32 v16, 4, v1
	s_mov_b32 s7, 0
	s_mov_b32 s6, 0
	s_mov_b32 s26, exec_lo
	s_delay_alu instid0(VALU_DEP_1)
	v_cmpx_gt_u32_e64 s23, v16
	s_cbranch_execz .LBB1198_67
; %bb.62:
	v_cmp_ne_u32_e32 vcc_lo, 1, v27
	s_mov_b32 s0, 0
	s_cbranch_vccnz .LBB1198_66
; %bb.63:
	v_mul_u64_e32 v[16:17], s[18:19], v[8:9]
	v_mul_u64_e32 v[22:23], s[18:19], v[2:3]
	s_add_nc_u64 s[0:1], s[18:19], -1
                                        ; implicit-def: $sgpr27
	s_delay_alu instid0(VALU_DEP_2) | instskip(NEXT) | instid1(VALU_DEP_2)
	v_lshl_add_u64 v[16:17], v[16:17], 1, s[8:9]
	v_lshl_add_u64 v[22:23], v[22:23], 1, s[8:9]
.LBB1198_64:                            ; =>This Inner Loop Header: Depth=1
	global_load_u16 v19, v[22:23], off
	global_load_u16 v24, v[16:17], off
	s_cmp_eq_u64 s[0:1], 0
	s_add_nc_u64 s[28:29], s[0:1], -1
	s_cselect_b32 s1, -1, 0
	s_wait_xcnt 0x0
	v_add_nc_u64_e32 v[16:17], 2, v[16:17]
	v_add_nc_u64_e32 v[22:23], 2, v[22:23]
	s_wait_loadcnt 0x0
	v_dual_lshlrev_b32 v19, 16, v19 :: v_dual_lshlrev_b32 v24, 16, v24
	s_delay_alu instid0(VALU_DEP_1) | instskip(SKIP_2) | instid1(SALU_CYCLE_1)
	v_cmp_neq_f32_e32 vcc_lo, v24, v19
	v_cmp_eq_f32_e64 s0, v24, v19
	s_or_b32 s1, vcc_lo, s1
	s_and_b32 s1, exec_lo, s1
	s_delay_alu instid0(SALU_CYCLE_1)
	s_or_b32 s6, s1, s6
	s_and_not1_b32 s27, s27, exec_lo
	s_and_b32 s30, s0, exec_lo
	s_mov_b64 s[0:1], s[28:29]
	s_or_b32 s27, s27, s30
	s_and_not1_b32 exec_lo, exec_lo, s6
	s_cbranch_execnz .LBB1198_64
; %bb.65:
	s_or_b32 exec_lo, exec_lo, s6
	s_xor_b32 s0, s27, -1
.LBB1198_66:
	s_delay_alu instid0(SALU_CYCLE_1)
	s_and_b32 s6, s0, exec_lo
.LBB1198_67:
	s_or_b32 exec_lo, exec_lo, s26
	v_add_nc_u32_e32 v16, 3, v1
	s_mov_b32 s26, exec_lo
	s_delay_alu instid0(VALU_DEP_1)
	v_cmpx_gt_u32_e64 s23, v16
	s_cbranch_execz .LBB1198_73
; %bb.68:
	v_cmp_ne_u32_e32 vcc_lo, 1, v27
	s_mov_b32 s0, 0
	s_cbranch_vccnz .LBB1198_72
; %bb.69:
	v_mul_u64_e32 v[16:17], s[18:19], v[6:7]
	v_mul_u64_e32 v[22:23], s[18:19], v[8:9]
	s_add_nc_u64 s[0:1], s[18:19], -1
	s_mov_b32 s7, 0
                                        ; implicit-def: $sgpr27
	s_delay_alu instid0(VALU_DEP_2) | instskip(NEXT) | instid1(VALU_DEP_2)
	v_lshl_add_u64 v[16:17], v[16:17], 1, s[8:9]
	v_lshl_add_u64 v[22:23], v[22:23], 1, s[8:9]
.LBB1198_70:                            ; =>This Inner Loop Header: Depth=1
	global_load_u16 v19, v[22:23], off
	global_load_u16 v24, v[16:17], off
	s_cmp_eq_u64 s[0:1], 0
	s_add_nc_u64 s[28:29], s[0:1], -1
	s_cselect_b32 s1, -1, 0
	s_wait_xcnt 0x0
	v_add_nc_u64_e32 v[16:17], 2, v[16:17]
	v_add_nc_u64_e32 v[22:23], 2, v[22:23]
	s_wait_loadcnt 0x0
	v_dual_lshlrev_b32 v19, 16, v19 :: v_dual_lshlrev_b32 v24, 16, v24
	s_delay_alu instid0(VALU_DEP_1) | instskip(SKIP_2) | instid1(SALU_CYCLE_1)
	v_cmp_neq_f32_e32 vcc_lo, v24, v19
	v_cmp_eq_f32_e64 s0, v24, v19
	s_or_b32 s1, vcc_lo, s1
	s_and_b32 s1, exec_lo, s1
	s_delay_alu instid0(SALU_CYCLE_1)
	s_or_b32 s7, s1, s7
	s_and_not1_b32 s27, s27, exec_lo
	s_and_b32 s30, s0, exec_lo
	s_mov_b64 s[0:1], s[28:29]
	s_or_b32 s27, s27, s30
	s_and_not1_b32 exec_lo, exec_lo, s7
	s_cbranch_execnz .LBB1198_70
; %bb.71:
	s_or_b32 exec_lo, exec_lo, s7
	s_xor_b32 s0, s27, -1
.LBB1198_72:
	s_delay_alu instid0(SALU_CYCLE_1)
	s_and_b32 s7, s0, exec_lo
.LBB1198_73:
	s_or_b32 exec_lo, exec_lo, s26
	v_add_nc_u32_e32 v16, 2, v1
	s_mov_b32 s26, 0
	s_mov_b32 s27, 0
	s_mov_b32 s28, exec_lo
	s_delay_alu instid0(VALU_DEP_1)
	v_cmpx_gt_u32_e64 s23, v16
	s_cbranch_execz .LBB1198_79
; %bb.74:
	v_cmp_ne_u32_e32 vcc_lo, 1, v27
	s_mov_b32 s0, 0
	s_cbranch_vccnz .LBB1198_78
; %bb.75:
	v_mul_u64_e32 v[16:17], s[18:19], v[12:13]
	v_mul_u64_e32 v[22:23], s[18:19], v[6:7]
	s_add_nc_u64 s[0:1], s[18:19], -1
                                        ; implicit-def: $sgpr29
	s_delay_alu instid0(VALU_DEP_2) | instskip(NEXT) | instid1(VALU_DEP_2)
	v_lshl_add_u64 v[16:17], v[16:17], 1, s[8:9]
	v_lshl_add_u64 v[22:23], v[22:23], 1, s[8:9]
.LBB1198_76:                            ; =>This Inner Loop Header: Depth=1
	global_load_u16 v19, v[22:23], off
	global_load_u16 v24, v[16:17], off
	s_cmp_eq_u64 s[0:1], 0
	s_add_nc_u64 s[30:31], s[0:1], -1
	s_cselect_b32 s1, -1, 0
	s_wait_xcnt 0x0
	v_add_nc_u64_e32 v[16:17], 2, v[16:17]
	v_add_nc_u64_e32 v[22:23], 2, v[22:23]
	s_wait_loadcnt 0x0
	v_dual_lshlrev_b32 v19, 16, v19 :: v_dual_lshlrev_b32 v24, 16, v24
	s_delay_alu instid0(VALU_DEP_1) | instskip(SKIP_2) | instid1(SALU_CYCLE_1)
	v_cmp_neq_f32_e32 vcc_lo, v24, v19
	v_cmp_eq_f32_e64 s0, v24, v19
	s_or_b32 s1, vcc_lo, s1
	s_and_b32 s1, exec_lo, s1
	s_delay_alu instid0(SALU_CYCLE_1)
	s_or_b32 s27, s1, s27
	s_and_not1_b32 s29, s29, exec_lo
	s_and_b32 s33, s0, exec_lo
	s_mov_b64 s[0:1], s[30:31]
	s_or_b32 s29, s29, s33
	s_and_not1_b32 exec_lo, exec_lo, s27
	s_cbranch_execnz .LBB1198_76
; %bb.77:
	s_or_b32 exec_lo, exec_lo, s27
	s_xor_b32 s0, s29, -1
.LBB1198_78:
	s_delay_alu instid0(SALU_CYCLE_1)
	s_and_b32 s27, s0, exec_lo
.LBB1198_79:
	s_or_b32 exec_lo, exec_lo, s28
	v_add_nc_u32_e32 v16, 1, v1
	s_mov_b32 s28, exec_lo
	s_delay_alu instid0(VALU_DEP_1)
	v_cmpx_gt_u32_e64 s23, v16
	s_cbranch_execz .LBB1198_85
; %bb.80:
	v_cmp_ne_u32_e32 vcc_lo, 1, v27
	s_mov_b32 s0, 0
	s_cbranch_vccnz .LBB1198_84
; %bb.81:
	v_mul_u64_e32 v[16:17], s[18:19], v[10:11]
	v_mul_u64_e32 v[22:23], s[18:19], v[12:13]
	s_add_nc_u64 s[0:1], s[18:19], -1
	s_mov_b32 s26, 0
                                        ; implicit-def: $sgpr29
	s_delay_alu instid0(VALU_DEP_2) | instskip(NEXT) | instid1(VALU_DEP_2)
	v_lshl_add_u64 v[16:17], v[16:17], 1, s[8:9]
	v_lshl_add_u64 v[22:23], v[22:23], 1, s[8:9]
.LBB1198_82:                            ; =>This Inner Loop Header: Depth=1
	global_load_u16 v19, v[22:23], off
	global_load_u16 v24, v[16:17], off
	s_cmp_eq_u64 s[0:1], 0
	s_add_nc_u64 s[30:31], s[0:1], -1
	s_cselect_b32 s1, -1, 0
	s_wait_xcnt 0x0
	v_add_nc_u64_e32 v[16:17], 2, v[16:17]
	v_add_nc_u64_e32 v[22:23], 2, v[22:23]
	s_wait_loadcnt 0x0
	v_dual_lshlrev_b32 v19, 16, v19 :: v_dual_lshlrev_b32 v24, 16, v24
	s_delay_alu instid0(VALU_DEP_1) | instskip(SKIP_2) | instid1(SALU_CYCLE_1)
	v_cmp_neq_f32_e32 vcc_lo, v24, v19
	v_cmp_eq_f32_e64 s0, v24, v19
	s_or_b32 s1, vcc_lo, s1
	s_and_b32 s1, exec_lo, s1
	s_delay_alu instid0(SALU_CYCLE_1)
	s_or_b32 s26, s1, s26
	s_and_not1_b32 s29, s29, exec_lo
	s_and_b32 s33, s0, exec_lo
	s_mov_b64 s[0:1], s[30:31]
	s_or_b32 s29, s29, s33
	s_and_not1_b32 exec_lo, exec_lo, s26
	s_cbranch_execnz .LBB1198_82
; %bb.83:
	s_or_b32 exec_lo, exec_lo, s26
	s_xor_b32 s0, s29, -1
.LBB1198_84:
	s_delay_alu instid0(SALU_CYCLE_1)
	s_and_b32 s26, s0, exec_lo
.LBB1198_85:
	s_or_b32 exec_lo, exec_lo, s28
	s_wait_loadcnt_dscnt 0x0
	s_barrier_signal -1
	s_barrier_wait -1
	s_and_saveexec_b32 s0, s3
; %bb.86:
	v_add_nc_u32_e32 v16, -8, v28
	ds_load_b64 v[20:21], v16
; %bb.87:
	s_or_b32 exec_lo, exec_lo, s0
	v_cndmask_b32_e64 v16, 0, 1, s7
	v_cndmask_b32_e64 v17, 0, 1, s27
	;; [unrolled: 1-line block ×3, first 2 shown]
	s_mov_b32 s0, 0
	s_mov_b32 s7, exec_lo
	v_lshlrev_b16 v16, 8, v16
	s_delay_alu instid0(VALU_DEP_2) | instskip(NEXT) | instid1(VALU_DEP_2)
	v_lshlrev_b16 v19, 8, v19
	v_or_b32_e32 v16, v17, v16
	s_delay_alu instid0(VALU_DEP_2) | instskip(NEXT) | instid1(VALU_DEP_2)
	v_and_b32_e32 v22, 0xffff, v19
	v_lshlrev_b32_e32 v23, 16, v16
	v_cmpx_gt_u32_e64 s23, v1
	s_cbranch_execz .LBB1198_93
; %bb.88:
	v_cmp_ne_u32_e32 vcc_lo, 1, v27
	s_cbranch_vccnz .LBB1198_92
; %bb.89:
	s_wait_dscnt 0x0
	v_mul_u64_e32 v[16:17], s[18:19], v[20:21]
	v_mul_u64_e32 v[20:21], s[18:19], v[10:11]
	s_add_nc_u64 s[0:1], s[18:19], -1
	s_mov_b32 s26, 0
                                        ; implicit-def: $sgpr27
	s_delay_alu instid0(VALU_DEP_2) | instskip(NEXT) | instid1(VALU_DEP_2)
	v_lshl_add_u64 v[16:17], v[16:17], 1, s[8:9]
	v_lshl_add_u64 v[20:21], v[20:21], 1, s[8:9]
.LBB1198_90:                            ; =>This Inner Loop Header: Depth=1
	global_load_u16 v19, v[20:21], off
	global_load_u16 v24, v[16:17], off
	s_cmp_eq_u64 s[0:1], 0
	s_add_nc_u64 s[28:29], s[0:1], -1
	s_cselect_b32 s1, -1, 0
	s_wait_xcnt 0x0
	v_add_nc_u64_e32 v[16:17], 2, v[16:17]
	v_add_nc_u64_e32 v[20:21], 2, v[20:21]
	s_wait_loadcnt 0x0
	v_dual_lshlrev_b32 v19, 16, v19 :: v_dual_lshlrev_b32 v24, 16, v24
	s_delay_alu instid0(VALU_DEP_1) | instskip(SKIP_2) | instid1(SALU_CYCLE_1)
	v_cmp_neq_f32_e32 vcc_lo, v24, v19
	v_cmp_eq_f32_e64 s0, v24, v19
	s_or_b32 s1, vcc_lo, s1
	s_and_b32 s1, exec_lo, s1
	s_delay_alu instid0(SALU_CYCLE_1)
	s_or_b32 s26, s1, s26
	s_and_not1_b32 s27, s27, exec_lo
	s_and_b32 s30, s0, exec_lo
	s_mov_b64 s[0:1], s[28:29]
	s_or_b32 s27, s27, s30
	s_and_not1_b32 exec_lo, exec_lo, s26
	s_cbranch_execnz .LBB1198_90
; %bb.91:
	s_or_b32 exec_lo, exec_lo, s26
	s_xor_b32 s0, s27, -1
.LBB1198_92:
	s_delay_alu instid0(SALU_CYCLE_1)
	s_and_b32 s0, s0, exec_lo
.LBB1198_93:
	s_or_b32 exec_lo, exec_lo, s7
	v_cndmask_b32_e64 v17, 0, 1, s6
	v_cndmask_b32_e64 v30, 0, 1, s5
	;; [unrolled: 1-line block ×3, first 2 shown]
	v_or_b32_e32 v22, v22, v23
.LBB1198_94:
	s_mov_b32 s6, -1
	s_cbranch_execnz .LBB1198_39
.LBB1198_95:
	v_cmp_gt_i64_e64 s7, s[18:19], 0
	v_mad_i32_i24 v26, 0xffffffd0, v0, v26
	s_and_b32 vcc_lo, exec_lo, s17
	ds_store_b64 v26, v[14:15]
	s_cbranch_vccz .LBB1198_110
; %bb.96:
	s_and_not1_b32 vcc_lo, exec_lo, s7
	s_cbranch_vccnz .LBB1198_111
; %bb.97:
	v_mul_u64_e32 v[16:17], s[18:19], v[4:5]
	s_wait_loadcnt_dscnt 0x1
	v_mul_u64_e32 v[20:21], s[18:19], v[14:15]
	s_add_nc_u64 s[4:5], s[18:19], -1
	s_mov_b32 s27, 0
	s_mov_b64 s[0:1], s[4:5]
                                        ; implicit-def: $sgpr26
	s_delay_alu instid0(VALU_DEP_2) | instskip(NEXT) | instid1(VALU_DEP_2)
	v_lshl_add_u64 v[16:17], v[16:17], 1, s[8:9]
	v_lshl_add_u64 v[20:21], v[20:21], 1, s[8:9]
	s_delay_alu instid0(VALU_DEP_2)
	v_mov_b64_e32 v[22:23], v[16:17]
.LBB1198_98:                            ; =>This Inner Loop Header: Depth=1
	global_load_u16 v19, v[20:21], off
	global_load_u16 v24, v[22:23], off
	s_cmp_eq_u64 s[0:1], 0
	s_add_nc_u64 s[28:29], s[0:1], -1
	s_cselect_b32 s1, -1, 0
	s_wait_xcnt 0x0
	v_add_nc_u64_e32 v[22:23], 2, v[22:23]
	v_add_nc_u64_e32 v[20:21], 2, v[20:21]
	s_wait_loadcnt 0x0
	v_dual_lshlrev_b32 v19, 16, v19 :: v_dual_lshlrev_b32 v24, 16, v24
	s_delay_alu instid0(VALU_DEP_1) | instskip(SKIP_2) | instid1(SALU_CYCLE_1)
	v_cmp_neq_f32_e32 vcc_lo, v24, v19
	v_cmp_eq_f32_e64 s0, v24, v19
	s_or_b32 s1, vcc_lo, s1
	s_and_b32 s1, exec_lo, s1
	s_delay_alu instid0(SALU_CYCLE_1)
	s_or_b32 s27, s1, s27
	s_and_not1_b32 s26, s26, exec_lo
	s_and_b32 s30, s0, exec_lo
	s_mov_b64 s[0:1], s[28:29]
	s_or_b32 s26, s26, s30
	s_and_not1_b32 exec_lo, exec_lo, s27
	s_cbranch_execnz .LBB1198_98
; %bb.99:
	s_or_b32 exec_lo, exec_lo, s27
	v_mul_u64_e32 v[20:21], s[18:19], v[2:3]
	s_mov_b32 s28, 0
	s_mov_b64 s[0:1], s[4:5]
                                        ; implicit-def: $sgpr27
	s_delay_alu instid0(VALU_DEP_1) | instskip(NEXT) | instid1(VALU_DEP_1)
	v_lshl_add_u64 v[20:21], v[20:21], 1, s[8:9]
	v_mov_b64_e32 v[22:23], v[20:21]
.LBB1198_100:                           ; =>This Inner Loop Header: Depth=1
	global_load_u16 v19, v[16:17], off
	global_load_u16 v24, v[22:23], off
	s_cmp_eq_u64 s[0:1], 0
	s_add_nc_u64 s[30:31], s[0:1], -1
	s_cselect_b32 s1, -1, 0
	s_wait_xcnt 0x0
	v_add_nc_u64_e32 v[22:23], 2, v[22:23]
	v_add_nc_u64_e32 v[16:17], 2, v[16:17]
	s_wait_loadcnt 0x0
	v_dual_lshlrev_b32 v19, 16, v19 :: v_dual_lshlrev_b32 v24, 16, v24
	s_delay_alu instid0(VALU_DEP_1) | instskip(SKIP_2) | instid1(SALU_CYCLE_1)
	v_cmp_neq_f32_e32 vcc_lo, v24, v19
	v_cmp_eq_f32_e64 s0, v24, v19
	s_or_b32 s1, vcc_lo, s1
	s_and_b32 s1, exec_lo, s1
	s_delay_alu instid0(SALU_CYCLE_1)
	s_or_b32 s28, s1, s28
	s_and_not1_b32 s27, s27, exec_lo
	s_and_b32 s29, s0, exec_lo
	s_mov_b64 s[0:1], s[30:31]
	s_or_b32 s27, s27, s29
	s_and_not1_b32 exec_lo, exec_lo, s28
	s_cbranch_execnz .LBB1198_100
; %bb.101:
	s_or_b32 exec_lo, exec_lo, s28
	v_mul_u64_e32 v[16:17], s[18:19], v[8:9]
	s_mov_b32 s29, 0
	s_mov_b64 s[0:1], s[4:5]
                                        ; implicit-def: $sgpr28
	s_delay_alu instid0(VALU_DEP_1) | instskip(NEXT) | instid1(VALU_DEP_1)
	v_lshl_add_u64 v[16:17], v[16:17], 1, s[8:9]
	v_mov_b64_e32 v[22:23], v[16:17]
.LBB1198_102:                           ; =>This Inner Loop Header: Depth=1
	global_load_u16 v19, v[20:21], off
	global_load_u16 v24, v[22:23], off
	s_cmp_eq_u64 s[0:1], 0
	s_add_nc_u64 s[30:31], s[0:1], -1
	s_cselect_b32 s1, -1, 0
	s_wait_xcnt 0x0
	v_add_nc_u64_e32 v[22:23], 2, v[22:23]
	v_add_nc_u64_e32 v[20:21], 2, v[20:21]
	s_wait_loadcnt 0x0
	v_dual_lshlrev_b32 v19, 16, v19 :: v_dual_lshlrev_b32 v24, 16, v24
	s_delay_alu instid0(VALU_DEP_1) | instskip(SKIP_2) | instid1(SALU_CYCLE_1)
	v_cmp_neq_f32_e32 vcc_lo, v24, v19
	v_cmp_eq_f32_e64 s0, v24, v19
	s_or_b32 s1, vcc_lo, s1
	s_and_b32 s1, exec_lo, s1
	s_delay_alu instid0(SALU_CYCLE_1)
	s_or_b32 s29, s1, s29
	s_and_not1_b32 s28, s28, exec_lo
	s_and_b32 s33, s0, exec_lo
	s_mov_b64 s[0:1], s[30:31]
	s_or_b32 s28, s28, s33
	s_and_not1_b32 exec_lo, exec_lo, s29
	s_cbranch_execnz .LBB1198_102
; %bb.103:
	s_or_b32 exec_lo, exec_lo, s29
	v_mul_u64_e32 v[20:21], s[18:19], v[6:7]
	s_mov_b32 s30, 0
	s_mov_b64 s[0:1], s[4:5]
                                        ; implicit-def: $sgpr29
	s_delay_alu instid0(VALU_DEP_1) | instskip(NEXT) | instid1(VALU_DEP_1)
	v_lshl_add_u64 v[20:21], v[20:21], 1, s[8:9]
	v_mov_b64_e32 v[22:23], v[20:21]
.LBB1198_104:                           ; =>This Inner Loop Header: Depth=1
	global_load_u16 v19, v[16:17], off
	global_load_u16 v24, v[22:23], off
	s_cmp_eq_u64 s[0:1], 0
	s_add_nc_u64 s[34:35], s[0:1], -1
	s_cselect_b32 s1, -1, 0
	s_wait_xcnt 0x0
	v_add_nc_u64_e32 v[22:23], 2, v[22:23]
	v_add_nc_u64_e32 v[16:17], 2, v[16:17]
	s_wait_loadcnt 0x0
	v_dual_lshlrev_b32 v19, 16, v19 :: v_dual_lshlrev_b32 v24, 16, v24
	s_delay_alu instid0(VALU_DEP_1) | instskip(SKIP_2) | instid1(SALU_CYCLE_1)
	v_cmp_neq_f32_e32 vcc_lo, v24, v19
	v_cmp_eq_f32_e64 s0, v24, v19
	s_or_b32 s1, vcc_lo, s1
	s_and_b32 s1, exec_lo, s1
	s_delay_alu instid0(SALU_CYCLE_1)
	s_or_b32 s30, s1, s30
	s_and_not1_b32 s29, s29, exec_lo
	s_and_b32 s31, s0, exec_lo
	s_mov_b64 s[0:1], s[34:35]
	s_or_b32 s29, s29, s31
	s_and_not1_b32 exec_lo, exec_lo, s30
	s_cbranch_execnz .LBB1198_104
; %bb.105:
	s_or_b32 exec_lo, exec_lo, s30
	v_mul_u64_e32 v[16:17], s[18:19], v[12:13]
	s_mov_b32 s31, 0
	s_mov_b64 s[0:1], s[4:5]
                                        ; implicit-def: $sgpr30
	s_delay_alu instid0(VALU_DEP_1) | instskip(NEXT) | instid1(VALU_DEP_1)
	v_lshl_add_u64 v[16:17], v[16:17], 1, s[8:9]
	v_mov_b64_e32 v[22:23], v[16:17]
.LBB1198_106:                           ; =>This Inner Loop Header: Depth=1
	global_load_u16 v19, v[20:21], off
	global_load_u16 v24, v[22:23], off
	s_cmp_eq_u64 s[0:1], 0
	s_add_nc_u64 s[34:35], s[0:1], -1
	s_cselect_b32 s1, -1, 0
	s_wait_xcnt 0x0
	v_add_nc_u64_e32 v[22:23], 2, v[22:23]
	v_add_nc_u64_e32 v[20:21], 2, v[20:21]
	s_wait_loadcnt 0x0
	v_dual_lshlrev_b32 v19, 16, v19 :: v_dual_lshlrev_b32 v24, 16, v24
	s_delay_alu instid0(VALU_DEP_1) | instskip(SKIP_2) | instid1(SALU_CYCLE_1)
	v_cmp_neq_f32_e32 vcc_lo, v24, v19
	v_cmp_eq_f32_e64 s0, v24, v19
	s_or_b32 s1, vcc_lo, s1
	s_and_b32 s1, exec_lo, s1
	s_delay_alu instid0(SALU_CYCLE_1)
	s_or_b32 s31, s1, s31
	s_and_not1_b32 s30, s30, exec_lo
	s_and_b32 s33, s0, exec_lo
	s_mov_b64 s[0:1], s[34:35]
	s_or_b32 s30, s30, s33
	s_and_not1_b32 exec_lo, exec_lo, s31
	s_cbranch_execnz .LBB1198_106
; %bb.107:
	s_or_b32 exec_lo, exec_lo, s31
	v_mul_u64_e32 v[20:21], s[18:19], v[10:11]
	s_mov_b32 s31, 0
                                        ; implicit-def: $sgpr1
	s_delay_alu instid0(VALU_DEP_1)
	v_lshl_add_u64 v[20:21], v[20:21], 1, s[8:9]
.LBB1198_108:                           ; =>This Inner Loop Header: Depth=1
	global_load_u16 v19, v[16:17], off
	global_load_u16 v22, v[20:21], off
	s_cmp_eq_u64 s[4:5], 0
	s_add_nc_u64 s[34:35], s[4:5], -1
	s_cselect_b32 s4, -1, 0
	s_wait_xcnt 0x0
	v_add_nc_u64_e32 v[20:21], 2, v[20:21]
	v_add_nc_u64_e32 v[16:17], 2, v[16:17]
	s_wait_loadcnt 0x0
	v_dual_lshlrev_b32 v19, 16, v19 :: v_dual_lshlrev_b32 v22, 16, v22
	s_delay_alu instid0(VALU_DEP_1) | instskip(SKIP_2) | instid1(SALU_CYCLE_1)
	v_cmp_neq_f32_e32 vcc_lo, v22, v19
	v_cmp_eq_f32_e64 s0, v22, v19
	s_or_b32 s4, vcc_lo, s4
	s_and_b32 s4, exec_lo, s4
	s_delay_alu instid0(SALU_CYCLE_1)
	s_or_b32 s31, s4, s31
	s_and_not1_b32 s1, s1, exec_lo
	s_and_b32 s0, s0, exec_lo
	s_mov_b64 s[4:5], s[34:35]
	s_or_b32 s1, s1, s0
	s_and_not1_b32 exec_lo, exec_lo, s31
	s_cbranch_execnz .LBB1198_108
; %bb.109:
	s_or_b32 exec_lo, exec_lo, s31
	s_xor_b32 s0, s29, -1
	s_delay_alu instid0(SALU_CYCLE_1) | instskip(SKIP_1) | instid1(SALU_CYCLE_1)
	v_cndmask_b32_e64 v16, 0, 1, s0
	s_xor_b32 s0, s30, -1
	v_cndmask_b32_e64 v17, 0, 1, s0
	s_xor_b32 s0, s27, -1
	s_delay_alu instid0(VALU_DEP_2) | instskip(SKIP_2) | instid1(SALU_CYCLE_1)
	v_lshlrev_b16 v16, 8, v16
	v_cndmask_b32_e64 v30, 0, 1, s0
	s_xor_b32 s0, s26, -1
	v_cndmask_b32_e64 v19, 0, 1, s0
	s_delay_alu instid0(VALU_DEP_3) | instskip(SKIP_1) | instid1(VALU_DEP_1)
	v_lshrrev_b32_e32 v16, 8, v16
	s_xor_b32 s0, s28, -1
	v_and_b32_e32 v16, 1, v16
	s_delay_alu instid0(VALU_DEP_1) | instskip(NEXT) | instid1(VALU_DEP_1)
	v_lshlrev_b16 v16, 8, v16
	v_or_b32_e32 v16, v17, v16
	v_cndmask_b32_e64 v17, 0, 1, s0
	s_xor_b32 s0, s1, -1
	s_delay_alu instid0(VALU_DEP_2)
	v_lshlrev_b32_e32 v16, 16, v16
	s_branch .LBB1198_112
.LBB1198_110:
                                        ; implicit-def: $sgpr0
                                        ; implicit-def: $vgpr19
                                        ; implicit-def: $vgpr30
                                        ; implicit-def: $vgpr17
                                        ; implicit-def: $vgpr22
                                        ; implicit-def: $vgpr32
                                        ; implicit-def: $vgpr31
                                        ; implicit-def: $vgpr20
	s_cbranch_execnz .LBB1198_119
	s_branch .LBB1198_164
.LBB1198_111:
	v_dual_mov_b32 v16, 0 :: v_dual_mov_b32 v19, 0
	v_dual_mov_b32 v30, 0 :: v_dual_mov_b32 v17, 0
	s_mov_b32 s0, 0
.LBB1198_112:
	s_wait_loadcnt_dscnt 0x1
	s_delay_alu instid0(VALU_DEP_1)
	v_dual_lshrrev_b32 v31, 16, v16 :: v_dual_lshrrev_b32 v20, 24, v16
	v_cndmask_b32_e64 v32, 0, 1, s0
	v_mov_b32_e32 v16, 1
	s_wait_dscnt 0x0
	s_barrier_signal -1
	s_barrier_wait -1
                                        ; implicit-def: $sgpr0
                                        ; implicit-def: $vgpr22
	s_and_saveexec_b32 s1, s3
	s_delay_alu instid0(SALU_CYCLE_1)
	s_xor_b32 s4, exec_lo, s1
	s_cbranch_execz .LBB1198_118
; %bb.113:
	v_lshlrev_b16 v21, 8, v20
	v_lshlrev_b16 v22, 8, v32
	s_and_not1_b32 vcc_lo, exec_lo, s7
	s_mov_b32 s0, 0
	s_delay_alu instid0(VALU_DEP_2) | instskip(NEXT) | instid1(VALU_DEP_1)
	v_bitop3_b16 v21, v31, v21, 0xff bitop3:0xec
	v_dual_lshlrev_b32 v21, 16, v21 :: v_dual_bitop2_b32 v22, 1, v22 bitop3:0x54
	s_delay_alu instid0(VALU_DEP_1) | instskip(NEXT) | instid1(VALU_DEP_1)
	v_and_b32_e32 v22, 0xffff, v22
	v_or_b32_e32 v21, v22, v21
	s_cbranch_vccnz .LBB1198_117
; %bb.114:
	v_add_nc_u32_e32 v22, -8, v26
	v_mul_u64_e32 v[24:25], s[18:19], v[10:11]
	s_add_nc_u64 s[0:1], s[18:19], -1
	s_mov_b32 s5, 0
                                        ; implicit-def: $sgpr26
	ds_load_b64 v[22:23], v22
	s_wait_dscnt 0x0
	v_mul_u64_e32 v[22:23], s[18:19], v[22:23]
	v_lshl_add_u64 v[24:25], v[24:25], 1, s[8:9]
	s_delay_alu instid0(VALU_DEP_2)
	v_lshl_add_u64 v[22:23], v[22:23], 1, s[8:9]
.LBB1198_115:                           ; =>This Inner Loop Header: Depth=1
	global_load_u16 v27, v[24:25], off
	global_load_u16 v28, v[22:23], off
	s_cmp_eq_u64 s[0:1], 0
	s_add_nc_u64 s[28:29], s[0:1], -1
	s_cselect_b32 s1, -1, 0
	s_wait_xcnt 0x0
	v_add_nc_u64_e32 v[22:23], 2, v[22:23]
	v_add_nc_u64_e32 v[24:25], 2, v[24:25]
	s_wait_loadcnt 0x0
	v_dual_lshlrev_b32 v27, 16, v27 :: v_dual_lshlrev_b32 v28, 16, v28
	s_delay_alu instid0(VALU_DEP_1) | instskip(SKIP_2) | instid1(SALU_CYCLE_1)
	v_cmp_neq_f32_e32 vcc_lo, v28, v27
	v_cmp_eq_f32_e64 s0, v28, v27
	s_or_b32 s1, vcc_lo, s1
	s_and_b32 s1, exec_lo, s1
	s_delay_alu instid0(SALU_CYCLE_1)
	s_or_b32 s5, s1, s5
	s_and_not1_b32 s26, s26, exec_lo
	s_and_b32 s27, s0, exec_lo
	s_mov_b64 s[0:1], s[28:29]
	s_or_b32 s26, s26, s27
	s_and_not1_b32 exec_lo, exec_lo, s5
	s_cbranch_execnz .LBB1198_115
; %bb.116:
	s_or_b32 exec_lo, exec_lo, s5
	s_xor_b32 s0, s26, -1
.LBB1198_117:
	s_delay_alu instid0(VALU_DEP_1)
	v_perm_b32 v22, v21, v21, 0x3020104
	s_or_b32 s6, s6, exec_lo
.LBB1198_118:
	s_or_b32 exec_lo, exec_lo, s4
	s_branch .LBB1198_164
.LBB1198_119:
	v_add_nc_u32_e32 v16, 6, v1
	s_mov_b32 s5, 0
	s_mov_b32 s4, 0
	s_mov_b32 s26, exec_lo
	s_wait_xcnt 0x0
	v_cmpx_gt_u32_e64 s23, v16
	s_cbranch_execz .LBB1198_125
; %bb.120:
	s_and_not1_b32 vcc_lo, exec_lo, s7
	s_mov_b32 s0, 0
	s_cbranch_vccnz .LBB1198_124
; %bb.121:
	v_mul_u64_e32 v[16:17], s[18:19], v[4:5]
	s_wait_loadcnt_dscnt 0x1
	v_mul_u64_e32 v[20:21], s[18:19], v[14:15]
	s_add_nc_u64 s[0:1], s[18:19], -1
                                        ; implicit-def: $sgpr27
	s_delay_alu instid0(VALU_DEP_2) | instskip(NEXT) | instid1(VALU_DEP_2)
	v_lshl_add_u64 v[16:17], v[16:17], 1, s[8:9]
	v_lshl_add_u64 v[20:21], v[20:21], 1, s[8:9]
.LBB1198_122:                           ; =>This Inner Loop Header: Depth=1
	global_load_u16 v19, v[20:21], off
	global_load_u16 v22, v[16:17], off
	s_cmp_eq_u64 s[0:1], 0
	s_add_nc_u64 s[28:29], s[0:1], -1
	s_cselect_b32 s1, -1, 0
	s_wait_xcnt 0x0
	v_add_nc_u64_e32 v[16:17], 2, v[16:17]
	v_add_nc_u64_e32 v[20:21], 2, v[20:21]
	s_wait_loadcnt 0x0
	v_dual_lshlrev_b32 v19, 16, v19 :: v_dual_lshlrev_b32 v22, 16, v22
	s_delay_alu instid0(VALU_DEP_1) | instskip(SKIP_2) | instid1(SALU_CYCLE_1)
	v_cmp_neq_f32_e32 vcc_lo, v22, v19
	v_cmp_eq_f32_e64 s0, v22, v19
	s_or_b32 s1, vcc_lo, s1
	s_and_b32 s1, exec_lo, s1
	s_delay_alu instid0(SALU_CYCLE_1)
	s_or_b32 s4, s1, s4
	s_and_not1_b32 s27, s27, exec_lo
	s_and_b32 s30, s0, exec_lo
	s_mov_b64 s[0:1], s[28:29]
	s_or_b32 s27, s27, s30
	s_and_not1_b32 exec_lo, exec_lo, s4
	s_cbranch_execnz .LBB1198_122
; %bb.123:
	s_or_b32 exec_lo, exec_lo, s4
	s_xor_b32 s0, s27, -1
.LBB1198_124:
	s_delay_alu instid0(SALU_CYCLE_1)
	s_and_b32 s4, s0, exec_lo
.LBB1198_125:
	s_or_b32 exec_lo, exec_lo, s26
	v_add_nc_u32_e32 v16, 5, v1
	s_mov_b32 s26, exec_lo
	s_delay_alu instid0(VALU_DEP_1)
	v_cmpx_gt_u32_e64 s23, v16
	s_cbranch_execz .LBB1198_131
; %bb.126:
	s_and_not1_b32 vcc_lo, exec_lo, s7
	s_mov_b32 s0, 0
	s_cbranch_vccnz .LBB1198_130
; %bb.127:
	v_mul_u64_e32 v[16:17], s[18:19], v[2:3]
	s_wait_loadcnt_dscnt 0x1
	v_mul_u64_e32 v[20:21], s[18:19], v[4:5]
	s_add_nc_u64 s[0:1], s[18:19], -1
	s_mov_b32 s5, 0
                                        ; implicit-def: $sgpr27
	s_delay_alu instid0(VALU_DEP_2) | instskip(NEXT) | instid1(VALU_DEP_2)
	v_lshl_add_u64 v[16:17], v[16:17], 1, s[8:9]
	v_lshl_add_u64 v[20:21], v[20:21], 1, s[8:9]
.LBB1198_128:                           ; =>This Inner Loop Header: Depth=1
	global_load_u16 v19, v[20:21], off
	global_load_u16 v22, v[16:17], off
	s_cmp_eq_u64 s[0:1], 0
	s_add_nc_u64 s[28:29], s[0:1], -1
	s_cselect_b32 s1, -1, 0
	s_wait_xcnt 0x0
	v_add_nc_u64_e32 v[16:17], 2, v[16:17]
	v_add_nc_u64_e32 v[20:21], 2, v[20:21]
	s_wait_loadcnt 0x0
	v_dual_lshlrev_b32 v19, 16, v19 :: v_dual_lshlrev_b32 v22, 16, v22
	s_delay_alu instid0(VALU_DEP_1) | instskip(SKIP_2) | instid1(SALU_CYCLE_1)
	v_cmp_neq_f32_e32 vcc_lo, v22, v19
	v_cmp_eq_f32_e64 s0, v22, v19
	s_or_b32 s1, vcc_lo, s1
	s_and_b32 s1, exec_lo, s1
	s_delay_alu instid0(SALU_CYCLE_1)
	s_or_b32 s5, s1, s5
	s_and_not1_b32 s27, s27, exec_lo
	s_and_b32 s30, s0, exec_lo
	s_mov_b64 s[0:1], s[28:29]
	s_or_b32 s27, s27, s30
	s_and_not1_b32 exec_lo, exec_lo, s5
	s_cbranch_execnz .LBB1198_128
; %bb.129:
	s_or_b32 exec_lo, exec_lo, s5
	s_xor_b32 s0, s27, -1
.LBB1198_130:
	s_delay_alu instid0(SALU_CYCLE_1)
	s_and_b32 s5, s0, exec_lo
.LBB1198_131:
	s_or_b32 exec_lo, exec_lo, s26
	v_add_nc_u32_e32 v16, 4, v1
	s_mov_b32 s26, 0
	s_mov_b32 s27, 0
	s_mov_b32 s28, exec_lo
	s_delay_alu instid0(VALU_DEP_1)
	v_cmpx_gt_u32_e64 s23, v16
	s_cbranch_execz .LBB1198_137
; %bb.132:
	s_and_not1_b32 vcc_lo, exec_lo, s7
	s_mov_b32 s0, 0
	s_cbranch_vccnz .LBB1198_136
; %bb.133:
	v_mul_u64_e32 v[16:17], s[18:19], v[8:9]
	s_wait_loadcnt_dscnt 0x1
	v_mul_u64_e32 v[20:21], s[18:19], v[2:3]
	s_add_nc_u64 s[0:1], s[18:19], -1
                                        ; implicit-def: $sgpr29
	s_delay_alu instid0(VALU_DEP_2) | instskip(NEXT) | instid1(VALU_DEP_2)
	v_lshl_add_u64 v[16:17], v[16:17], 1, s[8:9]
	v_lshl_add_u64 v[20:21], v[20:21], 1, s[8:9]
.LBB1198_134:                           ; =>This Inner Loop Header: Depth=1
	global_load_u16 v19, v[20:21], off
	global_load_u16 v22, v[16:17], off
	s_cmp_eq_u64 s[0:1], 0
	s_add_nc_u64 s[30:31], s[0:1], -1
	s_cselect_b32 s1, -1, 0
	s_wait_xcnt 0x0
	v_add_nc_u64_e32 v[16:17], 2, v[16:17]
	v_add_nc_u64_e32 v[20:21], 2, v[20:21]
	s_wait_loadcnt 0x0
	v_dual_lshlrev_b32 v19, 16, v19 :: v_dual_lshlrev_b32 v22, 16, v22
	s_delay_alu instid0(VALU_DEP_1) | instskip(SKIP_2) | instid1(SALU_CYCLE_1)
	v_cmp_neq_f32_e32 vcc_lo, v22, v19
	v_cmp_eq_f32_e64 s0, v22, v19
	s_or_b32 s1, vcc_lo, s1
	s_and_b32 s1, exec_lo, s1
	s_delay_alu instid0(SALU_CYCLE_1)
	s_or_b32 s27, s1, s27
	s_and_not1_b32 s29, s29, exec_lo
	s_and_b32 s33, s0, exec_lo
	s_mov_b64 s[0:1], s[30:31]
	s_or_b32 s29, s29, s33
	s_and_not1_b32 exec_lo, exec_lo, s27
	s_cbranch_execnz .LBB1198_134
; %bb.135:
	s_or_b32 exec_lo, exec_lo, s27
	s_xor_b32 s0, s29, -1
.LBB1198_136:
	s_delay_alu instid0(SALU_CYCLE_1)
	s_and_b32 s27, s0, exec_lo
.LBB1198_137:
	s_or_b32 exec_lo, exec_lo, s28
	v_add_nc_u32_e32 v16, 3, v1
	s_mov_b32 s28, exec_lo
	s_delay_alu instid0(VALU_DEP_1)
	v_cmpx_gt_u32_e64 s23, v16
	s_cbranch_execz .LBB1198_143
; %bb.138:
	s_and_not1_b32 vcc_lo, exec_lo, s7
	s_mov_b32 s0, 0
	s_cbranch_vccnz .LBB1198_142
; %bb.139:
	v_mul_u64_e32 v[16:17], s[18:19], v[6:7]
	s_wait_loadcnt_dscnt 0x1
	v_mul_u64_e32 v[20:21], s[18:19], v[8:9]
	s_add_nc_u64 s[0:1], s[18:19], -1
	s_mov_b32 s26, 0
                                        ; implicit-def: $sgpr29
	s_delay_alu instid0(VALU_DEP_2) | instskip(NEXT) | instid1(VALU_DEP_2)
	v_lshl_add_u64 v[16:17], v[16:17], 1, s[8:9]
	v_lshl_add_u64 v[20:21], v[20:21], 1, s[8:9]
.LBB1198_140:                           ; =>This Inner Loop Header: Depth=1
	global_load_u16 v19, v[20:21], off
	global_load_u16 v22, v[16:17], off
	s_cmp_eq_u64 s[0:1], 0
	s_add_nc_u64 s[30:31], s[0:1], -1
	s_cselect_b32 s1, -1, 0
	s_wait_xcnt 0x0
	v_add_nc_u64_e32 v[16:17], 2, v[16:17]
	v_add_nc_u64_e32 v[20:21], 2, v[20:21]
	s_wait_loadcnt 0x0
	v_dual_lshlrev_b32 v19, 16, v19 :: v_dual_lshlrev_b32 v22, 16, v22
	s_delay_alu instid0(VALU_DEP_1) | instskip(SKIP_2) | instid1(SALU_CYCLE_1)
	v_cmp_neq_f32_e32 vcc_lo, v22, v19
	v_cmp_eq_f32_e64 s0, v22, v19
	s_or_b32 s1, vcc_lo, s1
	s_and_b32 s1, exec_lo, s1
	s_delay_alu instid0(SALU_CYCLE_1)
	s_or_b32 s26, s1, s26
	s_and_not1_b32 s29, s29, exec_lo
	s_and_b32 s33, s0, exec_lo
	s_mov_b64 s[0:1], s[30:31]
	s_or_b32 s29, s29, s33
	s_and_not1_b32 exec_lo, exec_lo, s26
	s_cbranch_execnz .LBB1198_140
; %bb.141:
	s_or_b32 exec_lo, exec_lo, s26
	s_xor_b32 s0, s29, -1
.LBB1198_142:
	s_delay_alu instid0(SALU_CYCLE_1)
	s_and_b32 s26, s0, exec_lo
.LBB1198_143:
	s_or_b32 exec_lo, exec_lo, s28
	v_add_nc_u32_e32 v16, 2, v1
	s_mov_b32 s28, 0
	s_mov_b32 s29, 0
	s_mov_b32 s30, exec_lo
	s_delay_alu instid0(VALU_DEP_1)
	v_cmpx_gt_u32_e64 s23, v16
	s_cbranch_execz .LBB1198_149
; %bb.144:
	s_and_not1_b32 vcc_lo, exec_lo, s7
	s_mov_b32 s0, 0
	s_cbranch_vccnz .LBB1198_148
; %bb.145:
	v_mul_u64_e32 v[16:17], s[18:19], v[12:13]
	s_wait_loadcnt_dscnt 0x1
	v_mul_u64_e32 v[20:21], s[18:19], v[6:7]
	s_add_nc_u64 s[0:1], s[18:19], -1
                                        ; implicit-def: $sgpr31
	s_delay_alu instid0(VALU_DEP_2) | instskip(NEXT) | instid1(VALU_DEP_2)
	v_lshl_add_u64 v[16:17], v[16:17], 1, s[8:9]
	v_lshl_add_u64 v[20:21], v[20:21], 1, s[8:9]
.LBB1198_146:                           ; =>This Inner Loop Header: Depth=1
	global_load_u16 v19, v[20:21], off
	global_load_u16 v22, v[16:17], off
	s_cmp_eq_u64 s[0:1], 0
	s_add_nc_u64 s[34:35], s[0:1], -1
	s_cselect_b32 s1, -1, 0
	s_wait_xcnt 0x0
	v_add_nc_u64_e32 v[16:17], 2, v[16:17]
	v_add_nc_u64_e32 v[20:21], 2, v[20:21]
	s_wait_loadcnt 0x0
	v_dual_lshlrev_b32 v19, 16, v19 :: v_dual_lshlrev_b32 v22, 16, v22
	s_delay_alu instid0(VALU_DEP_1) | instskip(SKIP_2) | instid1(SALU_CYCLE_1)
	v_cmp_neq_f32_e32 vcc_lo, v22, v19
	v_cmp_eq_f32_e64 s0, v22, v19
	s_or_b32 s1, vcc_lo, s1
	s_and_b32 s1, exec_lo, s1
	s_delay_alu instid0(SALU_CYCLE_1)
	s_or_b32 s29, s1, s29
	s_and_not1_b32 s31, s31, exec_lo
	s_and_b32 s33, s0, exec_lo
	s_mov_b64 s[0:1], s[34:35]
	s_or_b32 s31, s31, s33
	s_and_not1_b32 exec_lo, exec_lo, s29
	s_cbranch_execnz .LBB1198_146
; %bb.147:
	s_or_b32 exec_lo, exec_lo, s29
	s_xor_b32 s0, s31, -1
.LBB1198_148:
	s_delay_alu instid0(SALU_CYCLE_1)
	s_and_b32 s29, s0, exec_lo
.LBB1198_149:
	s_or_b32 exec_lo, exec_lo, s30
	v_add_nc_u32_e32 v16, 1, v1
	s_mov_b32 s30, exec_lo
	s_delay_alu instid0(VALU_DEP_1)
	v_cmpx_gt_u32_e64 s23, v16
	s_cbranch_execz .LBB1198_155
; %bb.150:
	s_and_not1_b32 vcc_lo, exec_lo, s7
	s_mov_b32 s0, 0
	s_cbranch_vccnz .LBB1198_154
; %bb.151:
	v_mul_u64_e32 v[16:17], s[18:19], v[10:11]
	s_wait_loadcnt_dscnt 0x1
	v_mul_u64_e32 v[20:21], s[18:19], v[12:13]
	s_add_nc_u64 s[0:1], s[18:19], -1
	s_mov_b32 s28, 0
                                        ; implicit-def: $sgpr31
	s_delay_alu instid0(VALU_DEP_2) | instskip(NEXT) | instid1(VALU_DEP_2)
	v_lshl_add_u64 v[16:17], v[16:17], 1, s[8:9]
	v_lshl_add_u64 v[20:21], v[20:21], 1, s[8:9]
.LBB1198_152:                           ; =>This Inner Loop Header: Depth=1
	global_load_u16 v19, v[20:21], off
	global_load_u16 v22, v[16:17], off
	s_cmp_eq_u64 s[0:1], 0
	s_add_nc_u64 s[34:35], s[0:1], -1
	s_cselect_b32 s1, -1, 0
	s_wait_xcnt 0x0
	v_add_nc_u64_e32 v[16:17], 2, v[16:17]
	v_add_nc_u64_e32 v[20:21], 2, v[20:21]
	s_wait_loadcnt 0x0
	v_dual_lshlrev_b32 v19, 16, v19 :: v_dual_lshlrev_b32 v22, 16, v22
	s_delay_alu instid0(VALU_DEP_1) | instskip(SKIP_2) | instid1(SALU_CYCLE_1)
	v_cmp_neq_f32_e32 vcc_lo, v22, v19
	v_cmp_eq_f32_e64 s0, v22, v19
	s_or_b32 s1, vcc_lo, s1
	s_and_b32 s1, exec_lo, s1
	s_delay_alu instid0(SALU_CYCLE_1)
	s_or_b32 s28, s1, s28
	s_and_not1_b32 s31, s31, exec_lo
	s_and_b32 s33, s0, exec_lo
	s_mov_b64 s[0:1], s[34:35]
	s_or_b32 s31, s31, s33
	s_and_not1_b32 exec_lo, exec_lo, s28
	s_cbranch_execnz .LBB1198_152
; %bb.153:
	s_or_b32 exec_lo, exec_lo, s28
	s_xor_b32 s0, s31, -1
.LBB1198_154:
	s_delay_alu instid0(SALU_CYCLE_1)
	s_and_b32 s28, s0, exec_lo
.LBB1198_155:
	s_or_b32 exec_lo, exec_lo, s30
	v_cndmask_b32_e64 v17, 0, 1, s27
	v_cndmask_b32_e64 v30, 0, 1, s5
	;; [unrolled: 1-line block ×4, first 2 shown]
	s_wait_loadcnt_dscnt 0x1
	v_cndmask_b32_e64 v20, 0, 1, s26
	v_cndmask_b32_e64 v32, 0, 1, s28
	v_mov_b32_e32 v16, 1
	s_wait_dscnt 0x0
	s_barrier_signal -1
	s_barrier_wait -1
                                        ; implicit-def: $sgpr0
                                        ; implicit-def: $vgpr22
	s_and_saveexec_b32 s4, s3
	s_cbranch_execz .LBB1198_163
; %bb.156:
	v_lshlrev_b16 v21, 8, v32
	v_lshlrev_b16 v22, 8, v20
	s_mov_b32 s0, 0
	s_mov_b32 s3, exec_lo
	s_delay_alu instid0(VALU_DEP_1) | instskip(NEXT) | instid1(VALU_DEP_1)
	v_or_b32_e32 v22, v31, v22
	v_dual_lshlrev_b32 v22, 16, v22 :: v_dual_bitop2_b32 v21, 1, v21 bitop3:0x54
	s_delay_alu instid0(VALU_DEP_1) | instskip(NEXT) | instid1(VALU_DEP_1)
	v_and_b32_e32 v21, 0xffff, v21
	v_or_b32_e32 v21, v21, v22
	v_cmpx_gt_u32_e64 s23, v1
	s_cbranch_execz .LBB1198_162
; %bb.157:
	s_and_not1_b32 vcc_lo, exec_lo, s7
	s_cbranch_vccnz .LBB1198_161
; %bb.158:
	v_add_nc_u32_e32 v22, -8, v26
	v_mul_u64_e32 v[24:25], s[18:19], v[10:11]
	s_add_nc_u64 s[0:1], s[18:19], -1
	s_mov_b32 s5, 0
                                        ; implicit-def: $sgpr7
	ds_load_b64 v[22:23], v22
	s_wait_dscnt 0x0
	v_mul_u64_e32 v[22:23], s[18:19], v[22:23]
	v_lshl_add_u64 v[24:25], v[24:25], 1, s[8:9]
	s_delay_alu instid0(VALU_DEP_2)
	v_lshl_add_u64 v[22:23], v[22:23], 1, s[8:9]
.LBB1198_159:                           ; =>This Inner Loop Header: Depth=1
	global_load_u16 v26, v[24:25], off
	global_load_u16 v27, v[22:23], off
	s_cmp_eq_u64 s[0:1], 0
	s_add_nc_u64 s[8:9], s[0:1], -1
	s_cselect_b32 s1, -1, 0
	s_wait_xcnt 0x0
	v_add_nc_u64_e32 v[22:23], 2, v[22:23]
	v_add_nc_u64_e32 v[24:25], 2, v[24:25]
	s_wait_loadcnt 0x0
	v_dual_lshlrev_b32 v26, 16, v26 :: v_dual_lshlrev_b32 v27, 16, v27
	s_delay_alu instid0(VALU_DEP_1) | instskip(SKIP_2) | instid1(SALU_CYCLE_1)
	v_cmp_neq_f32_e32 vcc_lo, v27, v26
	v_cmp_eq_f32_e64 s0, v27, v26
	s_or_b32 s1, vcc_lo, s1
	s_and_b32 s1, exec_lo, s1
	s_delay_alu instid0(SALU_CYCLE_1)
	s_or_b32 s5, s1, s5
	s_and_not1_b32 s7, s7, exec_lo
	s_and_b32 s18, s0, exec_lo
	s_mov_b64 s[0:1], s[8:9]
	s_or_b32 s7, s7, s18
	s_and_not1_b32 exec_lo, exec_lo, s5
	s_cbranch_execnz .LBB1198_159
; %bb.160:
	s_or_b32 exec_lo, exec_lo, s5
	s_xor_b32 s0, s7, -1
.LBB1198_161:
	s_delay_alu instid0(SALU_CYCLE_1)
	s_and_b32 s0, s0, exec_lo
.LBB1198_162:
	s_or_b32 exec_lo, exec_lo, s3
	s_delay_alu instid0(VALU_DEP_2)
	v_perm_b32 v22, v21, v21, 0x3020104
	s_or_b32 s6, s6, exec_lo
.LBB1198_163:
	s_or_b32 exec_lo, exec_lo, s4
.LBB1198_164:
	s_wait_xcnt 0x0
	s_and_saveexec_b32 s1, s6
	s_cbranch_execz .LBB1198_166
; %bb.165:
	s_wait_loadcnt_dscnt 0x0
	v_dual_lshrrev_b32 v20, 24, v22 :: v_dual_lshrrev_b32 v31, 16, v22
	v_lshrrev_b32_e32 v32, 8, v22
	v_cndmask_b32_e64 v16, 0, 1, s0
.LBB1198_166:
	s_or_b32 exec_lo, exec_lo, s1
	s_delay_alu instid0(SALU_CYCLE_1)
	s_and_not1_b32 vcc_lo, exec_lo, s24
	s_cbranch_vccnz .LBB1198_170
; %bb.167:
	s_delay_alu instid0(VALU_DEP_1)
	v_perm_b32 v16, v16, v32, 0xc0c0004
	s_wait_loadcnt_dscnt 0x0
	v_perm_b32 v20, v31, v20, 0xc0c0004
	v_cmp_gt_u32_e32 vcc_lo, s23, v1
	v_and_b32_e32 v19, 0xff, v19
	v_perm_b32 v17, v17, v30, 0xc0c0004
	v_add_nc_u32_e32 v21, 1, v1
	v_lshl_or_b32 v16, v20, 16, v16
	s_delay_alu instid0(VALU_DEP_4) | instskip(NEXT) | instid1(VALU_DEP_2)
	v_dual_add_nc_u32 v22, 4, v1 :: v_dual_lshlrev_b32 v19, 16, v19
	v_cndmask_b32_e32 v20, 0, v16, vcc_lo
	s_delay_alu instid0(VALU_DEP_4) | instskip(SKIP_1) | instid1(VALU_DEP_3)
	v_cmp_gt_u32_e32 vcc_lo, s23, v21
	v_add_nc_u32_e32 v21, 2, v1
	v_and_b32_e32 v20, 0xff, v20
	s_delay_alu instid0(VALU_DEP_1) | instskip(NEXT) | instid1(VALU_DEP_3)
	v_cndmask_b32_e32 v20, v20, v16, vcc_lo
	v_cmp_gt_u32_e32 vcc_lo, s23, v21
	s_delay_alu instid0(VALU_DEP_2) | instskip(SKIP_2) | instid1(VALU_DEP_3)
	v_and_b32_e32 v20, 0xffff, v20
	v_or_b32_e32 v23, v17, v19
	v_bitop3_b32 v17, v17, 0xffff00, v19 bitop3:0xc8
	v_cndmask_b32_e32 v19, v20, v16, vcc_lo
	v_cmp_gt_u32_e32 vcc_lo, s23, v22
	v_add_nc_u32_e32 v20, 5, v1
	s_delay_alu instid0(VALU_DEP_3) | instskip(SKIP_1) | instid1(VALU_DEP_3)
	v_and_b32_e32 v19, 0xffffff, v19
	v_dual_add_nc_u32 v21, 3, v1 :: v_dual_cndmask_b32 v17, v17, v23, vcc_lo
	v_cmp_gt_u32_e64 s0, s23, v20
	s_delay_alu instid0(VALU_DEP_2) | instskip(NEXT) | instid1(VALU_DEP_3)
	v_cmp_gt_u32_e64 s1, s23, v21
	v_and_b32_e32 v17, 0xffff00ff, v17
	s_or_b32 vcc_lo, s0, vcc_lo
	s_delay_alu instid0(VALU_DEP_1) | instskip(SKIP_1) | instid1(VALU_DEP_1)
	v_dual_cndmask_b32 v19, v19, v16, s1 :: v_dual_cndmask_b32 v17, v17, v23, s0
	s_mov_b32 s0, exec_lo
	v_dual_cndmask_b32 v16, v19, v16 :: v_dual_add_nc_u32 v1, 6, v1
	s_delay_alu instid0(VALU_DEP_2) | instskip(NEXT) | instid1(VALU_DEP_2)
	v_dual_lshrrev_b32 v30, 8, v17 :: v_dual_lshrrev_b32 v19, 16, v17
	v_lshrrev_b32_e32 v32, 8, v16
	v_lshrrev_b64 v[20:21], 24, v[16:17]
	v_lshrrev_b32_e32 v31, 16, v16
	v_cmpx_le_u32_e64 s23, v1
; %bb.168:
	v_mov_b32_e32 v19, 0
; %bb.169:
	s_or_b32 exec_lo, exec_lo, s0
.LBB1198_170:
	s_delay_alu instid0(VALU_DEP_1)
	v_and_b32_e32 v1, 0xff, v16
	s_wait_loadcnt_dscnt 0x0
	v_and_b32_e32 v21, 0xff, v32
	v_and_b32_e32 v33, 0xff, v31
	;; [unrolled: 1-line block ×4, first 2 shown]
	v_mbcnt_lo_u32_b32 v37, -1, 0
	v_and_b32_e32 v36, 0xff, v30
	v_add3_u32 v22, v21, v1, v33
	v_and_b32_e32 v23, 0xff, v19
	s_delay_alu instid0(VALU_DEP_4) | instskip(SKIP_1) | instid1(VALU_DEP_3)
	v_dual_lshrrev_b32 v38, 5, v0 :: v_dual_bitop2_b32 v24, 15, v37 bitop3:0x40
	s_and_b32 vcc_lo, exec_lo, s25
	v_add3_u32 v22, v22, v34, v35
	s_mov_b32 s7, -1
	s_delay_alu instid0(VALU_DEP_2) | instskip(SKIP_1) | instid1(VALU_DEP_3)
	v_cmp_eq_u32_e64 s0, 0, v24
	v_cmp_lt_u32_e64 s3, 1, v24
	v_add3_u32 v39, v22, v36, v23
	v_and_b32_e32 v22, 16, v37
	v_or_b32_e32 v23, 31, v0
	v_cmp_lt_u32_e64 s4, 3, v24
	v_cmp_lt_u32_e64 s1, 7, v24
	s_barrier_signal -1
	v_cmp_eq_u32_e64 s6, 0, v22
	v_cmp_eq_u32_e64 s5, v0, v23
	s_barrier_wait -1
                                        ; implicit-def: $vgpr25
                                        ; implicit-def: $vgpr26
                                        ; implicit-def: $vgpr27
                                        ; implicit-def: $vgpr28
                                        ; implicit-def: $vgpr29
                                        ; implicit-def: $vgpr40
                                        ; implicit-def: $vgpr41
                                        ; implicit-def: $vgpr24
                                        ; implicit-def: $vgpr22
	s_cbranch_vccz .LBB1198_197
; %bb.171:
	v_mov_b32_dpp v22, v39 row_shr:1 row_mask:0xf bank_mask:0xf
	s_delay_alu instid0(VALU_DEP_1) | instskip(NEXT) | instid1(VALU_DEP_1)
	v_cndmask_b32_e64 v22, v22, 0, s0
	v_add_nc_u32_e32 v22, v22, v39
	s_delay_alu instid0(VALU_DEP_1) | instskip(NEXT) | instid1(VALU_DEP_1)
	v_mov_b32_dpp v23, v22 row_shr:2 row_mask:0xf bank_mask:0xf
	v_cndmask_b32_e64 v23, 0, v23, s3
	s_delay_alu instid0(VALU_DEP_1) | instskip(NEXT) | instid1(VALU_DEP_1)
	v_add_nc_u32_e32 v22, v22, v23
	v_mov_b32_dpp v23, v22 row_shr:4 row_mask:0xf bank_mask:0xf
	s_delay_alu instid0(VALU_DEP_1) | instskip(NEXT) | instid1(VALU_DEP_1)
	v_cndmask_b32_e64 v23, 0, v23, s4
	v_add_nc_u32_e32 v22, v22, v23
	s_delay_alu instid0(VALU_DEP_1) | instskip(NEXT) | instid1(VALU_DEP_1)
	v_mov_b32_dpp v23, v22 row_shr:8 row_mask:0xf bank_mask:0xf
	v_cndmask_b32_e64 v23, 0, v23, s1
	s_delay_alu instid0(VALU_DEP_1) | instskip(SKIP_3) | instid1(VALU_DEP_1)
	v_add_nc_u32_e32 v22, v22, v23
	ds_swizzle_b32 v23, v22 offset:swizzle(BROADCAST,32,15)
	s_wait_dscnt 0x0
	v_cndmask_b32_e64 v23, v23, 0, s6
	v_add_nc_u32_e32 v22, v22, v23
	s_and_saveexec_b32 s7, s5
; %bb.172:
	v_lshlrev_b32_e32 v23, 2, v38
	ds_store_b32 v23, v22
; %bb.173:
	s_or_b32 exec_lo, exec_lo, s7
	s_delay_alu instid0(SALU_CYCLE_1)
	s_mov_b32 s7, exec_lo
	s_wait_dscnt 0x0
	s_barrier_signal -1
	s_barrier_wait -1
	v_cmpx_gt_u32_e32 16, v0
	s_cbranch_execz .LBB1198_175
; %bb.174:
	v_lshlrev_b32_e32 v23, 2, v0
	ds_load_b32 v24, v23
	s_wait_dscnt 0x0
	v_mov_b32_dpp v25, v24 row_shr:1 row_mask:0xf bank_mask:0xf
	s_delay_alu instid0(VALU_DEP_1) | instskip(NEXT) | instid1(VALU_DEP_1)
	v_cndmask_b32_e64 v25, v25, 0, s0
	v_add_nc_u32_e32 v24, v25, v24
	s_delay_alu instid0(VALU_DEP_1) | instskip(NEXT) | instid1(VALU_DEP_1)
	v_mov_b32_dpp v25, v24 row_shr:2 row_mask:0xf bank_mask:0xf
	v_cndmask_b32_e64 v25, 0, v25, s3
	s_delay_alu instid0(VALU_DEP_1) | instskip(NEXT) | instid1(VALU_DEP_1)
	v_add_nc_u32_e32 v24, v24, v25
	v_mov_b32_dpp v25, v24 row_shr:4 row_mask:0xf bank_mask:0xf
	s_delay_alu instid0(VALU_DEP_1) | instskip(NEXT) | instid1(VALU_DEP_1)
	v_cndmask_b32_e64 v25, 0, v25, s4
	v_add_nc_u32_e32 v24, v24, v25
	s_delay_alu instid0(VALU_DEP_1) | instskip(NEXT) | instid1(VALU_DEP_1)
	v_mov_b32_dpp v25, v24 row_shr:8 row_mask:0xf bank_mask:0xf
	v_cndmask_b32_e64 v25, 0, v25, s1
	s_delay_alu instid0(VALU_DEP_1)
	v_add_nc_u32_e32 v24, v24, v25
	ds_store_b32 v23, v24
.LBB1198_175:
	s_or_b32 exec_lo, exec_lo, s7
	s_delay_alu instid0(SALU_CYCLE_1)
	s_mov_b32 s8, exec_lo
	v_cmp_gt_u32_e32 vcc_lo, 32, v0
	s_wait_dscnt 0x0
	s_barrier_signal -1
	s_barrier_wait -1
                                        ; implicit-def: $vgpr40
	v_cmpx_lt_u32_e32 31, v0
	s_cbranch_execz .LBB1198_177
; %bb.176:
	v_lshl_add_u32 v23, v38, 2, -4
	ds_load_b32 v40, v23
	s_wait_dscnt 0x0
	v_add_nc_u32_e32 v22, v40, v22
.LBB1198_177:
	s_or_b32 exec_lo, exec_lo, s8
	v_sub_co_u32 v23, s7, v37, 1
	s_delay_alu instid0(VALU_DEP_1) | instskip(NEXT) | instid1(VALU_DEP_1)
	v_cmp_gt_i32_e64 s8, 0, v23
	v_cndmask_b32_e64 v23, v23, v37, s8
	s_delay_alu instid0(VALU_DEP_1)
	v_lshlrev_b32_e32 v23, 2, v23
	ds_bpermute_b32 v41, v23, v22
	s_and_saveexec_b32 s8, vcc_lo
	s_cbranch_execz .LBB1198_196
; %bb.178:
	v_mov_b32_e32 v29, 0
	ds_load_b32 v22, v29 offset:60
	s_and_saveexec_b32 s9, s7
	s_cbranch_execz .LBB1198_180
; %bb.179:
	s_add_co_i32 s18, s22, 32
	s_delay_alu instid0(SALU_CYCLE_1)
	v_dual_mov_b32 v23, 1 :: v_dual_mov_b32 v24, s18
	s_wait_dscnt 0x0
	global_store_b64 v24, v[22:23], s[10:11] scale_offset scope:SCOPE_DEV
.LBB1198_180:
	s_wait_xcnt 0x0
	s_or_b32 exec_lo, exec_lo, s9
	v_xad_u32 v24, v37, -1, s22
	s_mov_b32 s18, 0
	s_mov_b32 s9, exec_lo
	s_delay_alu instid0(VALU_DEP_1) | instskip(SKIP_4) | instid1(VALU_DEP_1)
	v_add_nc_u32_e32 v28, 32, v24
	global_load_b64 v[26:27], v28, s[10:11] scale_offset scope:SCOPE_DEV
	s_wait_loadcnt 0x0
	v_and_b32_e32 v23, 0xff, v27
	s_wait_xcnt 0x0
	v_cmpx_eq_u16_e32 0, v23
	s_cbranch_execz .LBB1198_184
; %bb.181:
	v_lshl_add_u64 v[28:29], v[28:29], 3, s[10:11]
.LBB1198_182:                           ; =>This Inner Loop Header: Depth=1
	global_load_b64 v[26:27], v[28:29], off scope:SCOPE_DEV
	s_wait_loadcnt 0x0
	v_and_b32_e32 v23, 0xff, v27
	s_delay_alu instid0(VALU_DEP_1)
	v_cmp_ne_u16_e32 vcc_lo, 0, v23
	s_or_b32 s18, vcc_lo, s18
	s_wait_xcnt 0x0
	s_and_not1_b32 exec_lo, exec_lo, s18
	s_cbranch_execnz .LBB1198_182
; %bb.183:
	s_or_b32 exec_lo, exec_lo, s18
.LBB1198_184:
	s_delay_alu instid0(SALU_CYCLE_1)
	s_or_b32 exec_lo, exec_lo, s9
	v_cmp_ne_u32_e32 vcc_lo, 31, v37
	v_lshlrev_b32_e64 v43, v37, -1
	v_lshl_or_b32 v50, v37, 2, 64
	v_dual_add_nc_u32 v45, 2, v37 :: v_dual_add_nc_u32 v47, 4, v37
	v_add_co_ci_u32_e64 v23, null, 0, v37, vcc_lo
	v_dual_add_nc_u32 v49, 8, v37 :: v_dual_add_nc_u32 v51, 16, v37
	s_delay_alu instid0(VALU_DEP_2)
	v_lshlrev_b32_e32 v42, 2, v23
	v_and_b32_e32 v23, 0xff, v27
	ds_bpermute_b32 v25, v42, v26
	v_cmp_eq_u16_e32 vcc_lo, 2, v23
	v_and_or_b32 v23, vcc_lo, v43, 0x80000000
	v_cmp_gt_u32_e32 vcc_lo, 30, v37
	s_delay_alu instid0(VALU_DEP_2) | instskip(SKIP_1) | instid1(VALU_DEP_2)
	v_ctz_i32_b32_e32 v23, v23
	v_cndmask_b32_e64 v28, 0, 2, vcc_lo
	v_cmp_lt_u32_e32 vcc_lo, v37, v23
	s_delay_alu instid0(VALU_DEP_2) | instskip(SKIP_3) | instid1(VALU_DEP_2)
	v_add_lshl_u32 v44, v28, v37, 2
	s_wait_dscnt 0x0
	v_cndmask_b32_e32 v25, 0, v25, vcc_lo
	v_cmp_gt_u32_e32 vcc_lo, 28, v37
	v_add_nc_u32_e32 v25, v25, v26
	v_cndmask_b32_e64 v28, 0, 4, vcc_lo
	v_cmp_le_u32_e32 vcc_lo, v45, v23
	ds_bpermute_b32 v26, v44, v25
	v_add_lshl_u32 v46, v28, v37, 2
	s_wait_dscnt 0x0
	v_cndmask_b32_e32 v26, 0, v26, vcc_lo
	v_cmp_gt_u32_e32 vcc_lo, 24, v37
	v_cndmask_b32_e64 v28, 0, 8, vcc_lo
	v_cmp_le_u32_e32 vcc_lo, v47, v23
	s_delay_alu instid0(VALU_DEP_4) | instskip(NEXT) | instid1(VALU_DEP_3)
	v_add_nc_u32_e32 v25, v25, v26
	v_add_lshl_u32 v48, v28, v37, 2
	ds_bpermute_b32 v26, v46, v25
	s_wait_dscnt 0x0
	v_cndmask_b32_e32 v26, 0, v26, vcc_lo
	v_cmp_le_u32_e32 vcc_lo, v49, v23
	s_delay_alu instid0(VALU_DEP_2) | instskip(SKIP_4) | instid1(VALU_DEP_2)
	v_add_nc_u32_e32 v25, v25, v26
	ds_bpermute_b32 v26, v48, v25
	s_wait_dscnt 0x0
	v_cndmask_b32_e32 v26, 0, v26, vcc_lo
	v_cmp_le_u32_e32 vcc_lo, v51, v23
	v_add_nc_u32_e32 v25, v25, v26
	ds_bpermute_b32 v26, v50, v25
	s_wait_dscnt 0x0
	v_cndmask_b32_e32 v23, 0, v26, vcc_lo
	s_delay_alu instid0(VALU_DEP_1)
	v_dual_mov_b32 v25, 0 :: v_dual_add_nc_u32 v26, v25, v23
	s_branch .LBB1198_187
.LBB1198_185:                           ;   in Loop: Header=BB1198_187 Depth=1
	s_or_b32 exec_lo, exec_lo, s9
	v_and_b32_e32 v28, 0xff, v27
	ds_bpermute_b32 v29, v42, v26
	v_subrev_nc_u32_e32 v24, 32, v24
	s_mov_b32 s9, 0
	v_cmp_eq_u16_e32 vcc_lo, 2, v28
	v_and_or_b32 v28, vcc_lo, v43, 0x80000000
	s_delay_alu instid0(VALU_DEP_1) | instskip(NEXT) | instid1(VALU_DEP_1)
	v_ctz_i32_b32_e32 v28, v28
	v_cmp_lt_u32_e32 vcc_lo, v37, v28
	s_wait_dscnt 0x0
	v_cndmask_b32_e32 v29, 0, v29, vcc_lo
	v_cmp_le_u32_e32 vcc_lo, v45, v28
	s_delay_alu instid0(VALU_DEP_2) | instskip(SKIP_4) | instid1(VALU_DEP_2)
	v_add_nc_u32_e32 v26, v29, v26
	ds_bpermute_b32 v29, v44, v26
	s_wait_dscnt 0x0
	v_cndmask_b32_e32 v29, 0, v29, vcc_lo
	v_cmp_le_u32_e32 vcc_lo, v47, v28
	v_add_nc_u32_e32 v26, v26, v29
	ds_bpermute_b32 v29, v46, v26
	s_wait_dscnt 0x0
	v_cndmask_b32_e32 v29, 0, v29, vcc_lo
	v_cmp_le_u32_e32 vcc_lo, v49, v28
	s_delay_alu instid0(VALU_DEP_2) | instskip(SKIP_4) | instid1(VALU_DEP_2)
	v_add_nc_u32_e32 v26, v26, v29
	ds_bpermute_b32 v29, v48, v26
	s_wait_dscnt 0x0
	v_cndmask_b32_e32 v29, 0, v29, vcc_lo
	v_cmp_le_u32_e32 vcc_lo, v51, v28
	v_add_nc_u32_e32 v26, v26, v29
	ds_bpermute_b32 v29, v50, v26
	s_wait_dscnt 0x0
	v_cndmask_b32_e32 v28, 0, v29, vcc_lo
	s_delay_alu instid0(VALU_DEP_1)
	v_add3_u32 v26, v28, v23, v26
.LBB1198_186:                           ;   in Loop: Header=BB1198_187 Depth=1
	s_and_b32 vcc_lo, exec_lo, s9
	s_cbranch_vccnz .LBB1198_192
.LBB1198_187:                           ; =>This Loop Header: Depth=1
                                        ;     Child Loop BB1198_190 Depth 2
	v_and_b32_e32 v23, 0xff, v27
	s_mov_b32 s9, -1
                                        ; implicit-def: $vgpr27
	s_delay_alu instid0(VALU_DEP_1)
	v_cmp_ne_u16_e32 vcc_lo, 2, v23
	v_mov_b32_e32 v23, v26
                                        ; implicit-def: $vgpr26
	s_cmp_lg_u32 vcc_lo, exec_lo
	s_cbranch_scc1 .LBB1198_186
; %bb.188:                              ;   in Loop: Header=BB1198_187 Depth=1
	global_load_b64 v[26:27], v24, s[10:11] scale_offset scope:SCOPE_DEV
	s_mov_b32 s9, exec_lo
	s_wait_loadcnt 0x0
	v_and_b32_e32 v28, 0xff, v27
	s_wait_xcnt 0x0
	s_delay_alu instid0(VALU_DEP_1)
	v_cmpx_eq_u16_e32 0, v28
	s_cbranch_execz .LBB1198_185
; %bb.189:                              ;   in Loop: Header=BB1198_187 Depth=1
	v_lshl_add_u64 v[28:29], v[24:25], 3, s[10:11]
	s_mov_b32 s18, 0
.LBB1198_190:                           ;   Parent Loop BB1198_187 Depth=1
                                        ; =>  This Inner Loop Header: Depth=2
	global_load_b64 v[26:27], v[28:29], off scope:SCOPE_DEV
	s_wait_loadcnt 0x0
	v_and_b32_e32 v52, 0xff, v27
	s_delay_alu instid0(VALU_DEP_1)
	v_cmp_ne_u16_e32 vcc_lo, 0, v52
	s_or_b32 s18, vcc_lo, s18
	s_wait_xcnt 0x0
	s_and_not1_b32 exec_lo, exec_lo, s18
	s_cbranch_execnz .LBB1198_190
; %bb.191:                              ;   in Loop: Header=BB1198_187 Depth=1
	s_or_b32 exec_lo, exec_lo, s18
	s_branch .LBB1198_185
.LBB1198_192:
	s_and_saveexec_b32 s9, s7
	s_cbranch_execz .LBB1198_194
; %bb.193:
	s_add_co_i32 s18, s22, 32
	v_dual_mov_b32 v25, 2 :: v_dual_add_nc_u32 v24, v23, v22
	v_dual_mov_b32 v26, s18 :: v_dual_mov_b32 v27, 0
	global_store_b64 v26, v[24:25], s[10:11] scale_offset scope:SCOPE_DEV
	ds_store_b64 v27, v[22:23] offset:28672
.LBB1198_194:
	s_wait_xcnt 0x0
	s_or_b32 exec_lo, exec_lo, s9
	s_delay_alu instid0(SALU_CYCLE_1)
	s_and_b32 exec_lo, exec_lo, s2
; %bb.195:
	v_mov_b32_e32 v22, 0
	ds_store_b32 v22, v23 offset:60
.LBB1198_196:
	s_or_b32 exec_lo, exec_lo, s8
	s_wait_dscnt 0x0
	v_dual_mov_b32 v22, 0 :: v_dual_cndmask_b32 v24, v41, v40, s7
	s_wait_storecnt 0x0
	s_barrier_signal -1
	s_barrier_wait -1
	ds_load_b32 v23, v22 offset:60
	v_cndmask_b32_e64 v24, v24, 0, s2
	s_wait_dscnt 0x0
	s_barrier_signal -1
	s_barrier_wait -1
	s_mov_b32 s7, 0
	v_add_nc_u32_e32 v41, v23, v24
	ds_load_b64 v[22:23], v22 offset:28672
	v_add_nc_u32_e32 v40, v41, v1
	s_delay_alu instid0(VALU_DEP_1) | instskip(NEXT) | instid1(VALU_DEP_1)
	v_add_nc_u32_e32 v29, v40, v21
	v_add_nc_u32_e32 v28, v29, v33
	s_wait_dscnt 0x0
	s_delay_alu instid0(VALU_DEP_1) | instskip(NEXT) | instid1(VALU_DEP_1)
	v_dual_mov_b32 v24, v23 :: v_dual_add_nc_u32 v27, v28, v34
	v_add_nc_u32_e32 v26, v27, v35
	s_delay_alu instid0(VALU_DEP_1)
	v_add_nc_u32_e32 v25, v26, v36
.LBB1198_197:
	s_and_b32 vcc_lo, exec_lo, s7
	s_cbranch_vccz .LBB1198_207
; %bb.198:
	v_mov_b32_dpp v22, v39 row_shr:1 row_mask:0xf bank_mask:0xf
	s_delay_alu instid0(VALU_DEP_1) | instskip(NEXT) | instid1(VALU_DEP_1)
	v_cndmask_b32_e64 v22, v22, 0, s0
	v_add_nc_u32_e32 v22, v22, v39
	s_delay_alu instid0(VALU_DEP_1) | instskip(NEXT) | instid1(VALU_DEP_1)
	v_mov_b32_dpp v23, v22 row_shr:2 row_mask:0xf bank_mask:0xf
	v_cndmask_b32_e64 v23, 0, v23, s3
	s_delay_alu instid0(VALU_DEP_1) | instskip(NEXT) | instid1(VALU_DEP_1)
	v_add_nc_u32_e32 v22, v22, v23
	v_mov_b32_dpp v23, v22 row_shr:4 row_mask:0xf bank_mask:0xf
	s_delay_alu instid0(VALU_DEP_1) | instskip(NEXT) | instid1(VALU_DEP_1)
	v_cndmask_b32_e64 v23, 0, v23, s4
	v_add_nc_u32_e32 v22, v22, v23
	s_delay_alu instid0(VALU_DEP_1) | instskip(NEXT) | instid1(VALU_DEP_1)
	v_mov_b32_dpp v23, v22 row_shr:8 row_mask:0xf bank_mask:0xf
	v_cndmask_b32_e64 v23, 0, v23, s1
	s_delay_alu instid0(VALU_DEP_1) | instskip(SKIP_3) | instid1(VALU_DEP_1)
	v_add_nc_u32_e32 v22, v22, v23
	ds_swizzle_b32 v23, v22 offset:swizzle(BROADCAST,32,15)
	s_wait_dscnt 0x0
	v_cndmask_b32_e64 v23, v23, 0, s6
	v_add_nc_u32_e32 v22, v22, v23
	s_and_saveexec_b32 s6, s5
; %bb.199:
	v_lshlrev_b32_e32 v23, 2, v38
	ds_store_b32 v23, v22
; %bb.200:
	s_or_b32 exec_lo, exec_lo, s6
	s_delay_alu instid0(SALU_CYCLE_1)
	s_mov_b32 s5, exec_lo
	s_wait_dscnt 0x0
	s_barrier_signal -1
	s_barrier_wait -1
	v_cmpx_gt_u32_e32 16, v0
	s_cbranch_execz .LBB1198_202
; %bb.201:
	v_lshlrev_b32_e32 v23, 2, v0
	ds_load_b32 v24, v23
	s_wait_dscnt 0x0
	v_mov_b32_dpp v25, v24 row_shr:1 row_mask:0xf bank_mask:0xf
	s_delay_alu instid0(VALU_DEP_1) | instskip(NEXT) | instid1(VALU_DEP_1)
	v_cndmask_b32_e64 v25, v25, 0, s0
	v_add_nc_u32_e32 v24, v25, v24
	s_delay_alu instid0(VALU_DEP_1) | instskip(NEXT) | instid1(VALU_DEP_1)
	v_mov_b32_dpp v25, v24 row_shr:2 row_mask:0xf bank_mask:0xf
	v_cndmask_b32_e64 v25, 0, v25, s3
	s_delay_alu instid0(VALU_DEP_1) | instskip(NEXT) | instid1(VALU_DEP_1)
	v_add_nc_u32_e32 v24, v24, v25
	v_mov_b32_dpp v25, v24 row_shr:4 row_mask:0xf bank_mask:0xf
	s_delay_alu instid0(VALU_DEP_1) | instskip(NEXT) | instid1(VALU_DEP_1)
	v_cndmask_b32_e64 v25, 0, v25, s4
	v_add_nc_u32_e32 v24, v24, v25
	s_delay_alu instid0(VALU_DEP_1) | instskip(NEXT) | instid1(VALU_DEP_1)
	v_mov_b32_dpp v25, v24 row_shr:8 row_mask:0xf bank_mask:0xf
	v_cndmask_b32_e64 v25, 0, v25, s1
	s_delay_alu instid0(VALU_DEP_1)
	v_add_nc_u32_e32 v24, v24, v25
	ds_store_b32 v23, v24
.LBB1198_202:
	s_or_b32 exec_lo, exec_lo, s5
	v_dual_mov_b32 v23, 0 :: v_dual_mov_b32 v24, 0
	s_mov_b32 s0, exec_lo
	s_wait_dscnt 0x0
	s_barrier_signal -1
	s_barrier_wait -1
	v_cmpx_lt_u32_e32 31, v0
; %bb.203:
	v_lshl_add_u32 v24, v38, 2, -4
	ds_load_b32 v24, v24
; %bb.204:
	s_or_b32 exec_lo, exec_lo, s0
	v_sub_co_u32 v25, vcc_lo, v37, 1
	s_wait_dscnt 0x0
	v_add_nc_u32_e32 v22, v24, v22
	s_delay_alu instid0(VALU_DEP_2) | instskip(NEXT) | instid1(VALU_DEP_1)
	v_cmp_gt_i32_e64 s0, 0, v25
	v_cndmask_b32_e64 v25, v25, v37, s0
	s_delay_alu instid0(VALU_DEP_1)
	v_lshlrev_b32_e32 v25, 2, v25
	ds_bpermute_b32 v25, v25, v22
	ds_load_b32 v22, v23 offset:60
	s_and_saveexec_b32 s0, s2
	s_cbranch_execz .LBB1198_206
; %bb.205:
	v_dual_mov_b32 v26, 0 :: v_dual_mov_b32 v23, 2
	s_wait_dscnt 0x0
	global_store_b64 v26, v[22:23], s[10:11] offset:256 scope:SCOPE_DEV
.LBB1198_206:
	s_wait_xcnt 0x0
	s_or_b32 exec_lo, exec_lo, s0
	s_wait_dscnt 0x1
	v_cndmask_b32_e32 v23, v25, v24, vcc_lo
	s_wait_storecnt_dscnt 0x0
	s_barrier_signal -1
	s_barrier_wait -1
	s_delay_alu instid0(VALU_DEP_1) | instskip(NEXT) | instid1(VALU_DEP_1)
	v_cndmask_b32_e64 v41, v23, 0, s2
	v_dual_mov_b32 v24, 0 :: v_dual_add_nc_u32 v40, v41, v1
	s_delay_alu instid0(VALU_DEP_1) | instskip(NEXT) | instid1(VALU_DEP_1)
	v_add_nc_u32_e32 v29, v40, v21
	v_add_nc_u32_e32 v28, v29, v33
	s_delay_alu instid0(VALU_DEP_1) | instskip(NEXT) | instid1(VALU_DEP_1)
	v_add_nc_u32_e32 v27, v28, v34
	v_add_nc_u32_e32 v26, v27, v35
	s_delay_alu instid0(VALU_DEP_1)
	v_add_nc_u32_e32 v25, v26, v36
.LBB1198_207:
	v_and_b32_e32 v1, 1, v16
	v_cmp_gt_u32_e32 vcc_lo, 0x201, v22
	s_mov_b32 s1, -1
	s_delay_alu instid0(VALU_DEP_2)
	v_cmp_eq_u32_e64 s0, 1, v1
	s_cbranch_vccnz .LBB1198_211
; %bb.208:
	s_and_b32 vcc_lo, exec_lo, s1
	s_cbranch_vccnz .LBB1198_226
.LBB1198_209:
	s_and_b32 s0, s2, s16
	s_delay_alu instid0(SALU_CYCLE_1)
	s_and_saveexec_b32 s1, s0
	s_cbranch_execnz .LBB1198_243
.LBB1198_210:
	s_endpgm
.LBB1198_211:
	v_add_nc_u32_e32 v16, v24, v22
	s_delay_alu instid0(VALU_DEP_1) | instskip(SKIP_1) | instid1(SALU_CYCLE_1)
	v_cmp_lt_u32_e32 vcc_lo, v41, v16
	s_or_b32 s1, s17, vcc_lo
	s_and_b32 s1, s1, s0
	s_delay_alu instid0(SALU_CYCLE_1)
	s_and_saveexec_b32 s0, s1
	s_cbranch_execz .LBB1198_213
; %bb.212:
	s_lshl_b64 s[4:5], s[14:15], 3
	s_delay_alu instid0(SALU_CYCLE_1)
	s_add_nc_u64 s[4:5], s[20:21], s[4:5]
	global_store_b64 v41, v[10:11], s[4:5] scale_offset
.LBB1198_213:
	s_wait_xcnt 0x0
	s_or_b32 exec_lo, exec_lo, s0
	v_and_b32_e32 v21, 1, v32
	v_cmp_lt_u32_e32 vcc_lo, v40, v16
	s_delay_alu instid0(VALU_DEP_2) | instskip(SKIP_1) | instid1(SALU_CYCLE_1)
	v_cmp_eq_u32_e64 s0, 1, v21
	s_or_b32 s1, s17, vcc_lo
	s_and_b32 s1, s1, s0
	s_delay_alu instid0(SALU_CYCLE_1)
	s_and_saveexec_b32 s0, s1
	s_cbranch_execz .LBB1198_215
; %bb.214:
	s_lshl_b64 s[4:5], s[14:15], 3
	s_delay_alu instid0(SALU_CYCLE_1)
	s_add_nc_u64 s[4:5], s[20:21], s[4:5]
	global_store_b64 v40, v[12:13], s[4:5] scale_offset
.LBB1198_215:
	s_wait_xcnt 0x0
	s_or_b32 exec_lo, exec_lo, s0
	v_and_b32_e32 v21, 1, v31
	v_cmp_lt_u32_e32 vcc_lo, v29, v16
	s_delay_alu instid0(VALU_DEP_2) | instskip(SKIP_1) | instid1(SALU_CYCLE_1)
	v_cmp_eq_u32_e64 s0, 1, v21
	;; [unrolled: 17-line block ×6, first 2 shown]
	s_or_b32 s1, s17, vcc_lo
	s_and_b32 s1, s1, s0
	s_delay_alu instid0(SALU_CYCLE_1)
	s_and_saveexec_b32 s0, s1
	s_cbranch_execz .LBB1198_225
; %bb.224:
	s_lshl_b64 s[4:5], s[14:15], 3
	s_delay_alu instid0(SALU_CYCLE_1)
	s_add_nc_u64 s[4:5], s[20:21], s[4:5]
	global_store_b64 v25, v[14:15], s[4:5] scale_offset
.LBB1198_225:
	s_wait_xcnt 0x0
	s_or_b32 exec_lo, exec_lo, s0
	s_branch .LBB1198_209
.LBB1198_226:
	s_mov_b32 s0, exec_lo
	v_cmpx_eq_u32_e32 1, v1
; %bb.227:
	v_sub_nc_u32_e32 v1, v41, v24
	s_delay_alu instid0(VALU_DEP_1)
	v_lshlrev_b32_e32 v1, 3, v1
	ds_store_b64 v1, v[10:11]
; %bb.228:
	s_or_b32 exec_lo, exec_lo, s0
	v_and_b32_e32 v1, 1, v32
	s_mov_b32 s0, exec_lo
	s_delay_alu instid0(VALU_DEP_1)
	v_cmpx_eq_u32_e32 1, v1
; %bb.229:
	v_sub_nc_u32_e32 v1, v40, v24
	s_delay_alu instid0(VALU_DEP_1)
	v_lshlrev_b32_e32 v1, 3, v1
	ds_store_b64 v1, v[12:13]
; %bb.230:
	s_or_b32 exec_lo, exec_lo, s0
	v_and_b32_e32 v1, 1, v31
	s_mov_b32 s0, exec_lo
	s_delay_alu instid0(VALU_DEP_1)
	;; [unrolled: 11-line block ×6, first 2 shown]
	v_cmpx_eq_u32_e32 1, v1
; %bb.239:
	v_sub_nc_u32_e32 v1, v25, v24
	s_delay_alu instid0(VALU_DEP_1)
	v_lshlrev_b32_e32 v1, 3, v1
	ds_store_b64 v1, v[14:15]
; %bb.240:
	s_or_b32 exec_lo, exec_lo, s0
	v_mov_b32_e32 v25, 0
	s_lshl_b64 s[0:1], s[14:15], 3
	s_wait_storecnt_dscnt 0x0
	s_barrier_signal -1
	s_barrier_wait -1
	v_lshlrev_b64_e32 v[2:3], 3, v[24:25]
	v_mov_b32_e32 v19, v25
	s_delay_alu instid0(VALU_DEP_2) | instskip(SKIP_1) | instid1(VALU_DEP_1)
	v_add_nc_u64_e32 v[2:3], s[0:1], v[2:3]
	s_mov_b32 s0, 0
	v_add_nc_u64_e32 v[2:3], s[20:21], v[2:3]
	s_delay_alu instid0(VALU_DEP_1)
	v_add_nc_u64_e32 v[2:3], v[2:3], v[18:19]
.LBB1198_241:                           ; =>This Inner Loop Header: Depth=1
	ds_load_b64 v[4:5], v18
	v_add_nc_u32_e32 v0, 0x200, v0
	v_add_nc_u32_e32 v18, 0x1000, v18
	s_delay_alu instid0(VALU_DEP_2)
	v_cmp_ge_u32_e32 vcc_lo, v0, v22
	s_or_b32 s0, vcc_lo, s0
	s_wait_dscnt 0x0
	global_store_b64 v[2:3], v[4:5], off
	s_wait_xcnt 0x0
	v_add_nc_u64_e32 v[2:3], 0x1000, v[2:3]
	s_and_not1_b32 exec_lo, exec_lo, s0
	s_cbranch_execnz .LBB1198_241
; %bb.242:
	s_or_b32 exec_lo, exec_lo, s0
	s_and_b32 s0, s2, s16
	s_delay_alu instid0(SALU_CYCLE_1)
	s_and_saveexec_b32 s1, s0
	s_cbranch_execz .LBB1198_210
.LBB1198_243:
	v_mov_b32_e32 v23, 0
	s_delay_alu instid0(VALU_DEP_1) | instskip(SKIP_1) | instid1(VALU_DEP_1)
	v_add_nc_u64_e32 v[0:1], s[14:15], v[22:23]
	v_mov_b32_e32 v25, v23
	v_add_nc_u64_e32 v[0:1], v[0:1], v[24:25]
	global_store_b64 v23, v[0:1], s[12:13]
	s_endpgm
	.section	.rodata,"a",@progbits
	.p2align	6, 0x0
	.amdhsa_kernel _ZN7rocprim17ROCPRIM_400000_NS6detail17trampoline_kernelINS0_14default_configENS1_25partition_config_selectorILNS1_17partition_subalgoE8ElNS0_10empty_typeEbEEZZNS1_14partition_implILS5_8ELb0ES3_jPlPS6_PKS6_NS0_5tupleIJS9_S6_EEENSD_IJSA_SA_EEENS0_18inequality_wrapperIZN2at6native12_GLOBAL__N_124unique_dim_cuda_templateIN3c108BFloat16EEESt5tupleIJNSH_6TensorESO_SO_EERKSO_lbbbEUlllE0_EEPmJS6_EEE10hipError_tPvRmT3_T4_T5_T6_T7_T9_mT8_P12ihipStream_tbDpT10_ENKUlT_T0_E_clISt17integral_constantIbLb0EES1D_IbLb1EEEEDaS19_S1A_EUlS19_E_NS1_11comp_targetILNS1_3genE0ELNS1_11target_archE4294967295ELNS1_3gpuE0ELNS1_3repE0EEENS1_30default_config_static_selectorELNS0_4arch9wavefront6targetE0EEEvT1_
		.amdhsa_group_segment_fixed_size 28680
		.amdhsa_private_segment_fixed_size 0
		.amdhsa_kernarg_size 136
		.amdhsa_user_sgpr_count 2
		.amdhsa_user_sgpr_dispatch_ptr 0
		.amdhsa_user_sgpr_queue_ptr 0
		.amdhsa_user_sgpr_kernarg_segment_ptr 1
		.amdhsa_user_sgpr_dispatch_id 0
		.amdhsa_user_sgpr_kernarg_preload_length 0
		.amdhsa_user_sgpr_kernarg_preload_offset 0
		.amdhsa_user_sgpr_private_segment_size 0
		.amdhsa_wavefront_size32 1
		.amdhsa_uses_dynamic_stack 0
		.amdhsa_enable_private_segment 0
		.amdhsa_system_sgpr_workgroup_id_x 1
		.amdhsa_system_sgpr_workgroup_id_y 0
		.amdhsa_system_sgpr_workgroup_id_z 0
		.amdhsa_system_sgpr_workgroup_info 0
		.amdhsa_system_vgpr_workitem_id 0
		.amdhsa_next_free_vgpr 53
		.amdhsa_next_free_sgpr 36
		.amdhsa_named_barrier_count 0
		.amdhsa_reserve_vcc 1
		.amdhsa_float_round_mode_32 0
		.amdhsa_float_round_mode_16_64 0
		.amdhsa_float_denorm_mode_32 3
		.amdhsa_float_denorm_mode_16_64 3
		.amdhsa_fp16_overflow 0
		.amdhsa_memory_ordered 1
		.amdhsa_forward_progress 1
		.amdhsa_inst_pref_size 86
		.amdhsa_round_robin_scheduling 0
		.amdhsa_exception_fp_ieee_invalid_op 0
		.amdhsa_exception_fp_denorm_src 0
		.amdhsa_exception_fp_ieee_div_zero 0
		.amdhsa_exception_fp_ieee_overflow 0
		.amdhsa_exception_fp_ieee_underflow 0
		.amdhsa_exception_fp_ieee_inexact 0
		.amdhsa_exception_int_div_zero 0
	.end_amdhsa_kernel
	.section	.text._ZN7rocprim17ROCPRIM_400000_NS6detail17trampoline_kernelINS0_14default_configENS1_25partition_config_selectorILNS1_17partition_subalgoE8ElNS0_10empty_typeEbEEZZNS1_14partition_implILS5_8ELb0ES3_jPlPS6_PKS6_NS0_5tupleIJS9_S6_EEENSD_IJSA_SA_EEENS0_18inequality_wrapperIZN2at6native12_GLOBAL__N_124unique_dim_cuda_templateIN3c108BFloat16EEESt5tupleIJNSH_6TensorESO_SO_EERKSO_lbbbEUlllE0_EEPmJS6_EEE10hipError_tPvRmT3_T4_T5_T6_T7_T9_mT8_P12ihipStream_tbDpT10_ENKUlT_T0_E_clISt17integral_constantIbLb0EES1D_IbLb1EEEEDaS19_S1A_EUlS19_E_NS1_11comp_targetILNS1_3genE0ELNS1_11target_archE4294967295ELNS1_3gpuE0ELNS1_3repE0EEENS1_30default_config_static_selectorELNS0_4arch9wavefront6targetE0EEEvT1_,"axG",@progbits,_ZN7rocprim17ROCPRIM_400000_NS6detail17trampoline_kernelINS0_14default_configENS1_25partition_config_selectorILNS1_17partition_subalgoE8ElNS0_10empty_typeEbEEZZNS1_14partition_implILS5_8ELb0ES3_jPlPS6_PKS6_NS0_5tupleIJS9_S6_EEENSD_IJSA_SA_EEENS0_18inequality_wrapperIZN2at6native12_GLOBAL__N_124unique_dim_cuda_templateIN3c108BFloat16EEESt5tupleIJNSH_6TensorESO_SO_EERKSO_lbbbEUlllE0_EEPmJS6_EEE10hipError_tPvRmT3_T4_T5_T6_T7_T9_mT8_P12ihipStream_tbDpT10_ENKUlT_T0_E_clISt17integral_constantIbLb0EES1D_IbLb1EEEEDaS19_S1A_EUlS19_E_NS1_11comp_targetILNS1_3genE0ELNS1_11target_archE4294967295ELNS1_3gpuE0ELNS1_3repE0EEENS1_30default_config_static_selectorELNS0_4arch9wavefront6targetE0EEEvT1_,comdat
.Lfunc_end1198:
	.size	_ZN7rocprim17ROCPRIM_400000_NS6detail17trampoline_kernelINS0_14default_configENS1_25partition_config_selectorILNS1_17partition_subalgoE8ElNS0_10empty_typeEbEEZZNS1_14partition_implILS5_8ELb0ES3_jPlPS6_PKS6_NS0_5tupleIJS9_S6_EEENSD_IJSA_SA_EEENS0_18inequality_wrapperIZN2at6native12_GLOBAL__N_124unique_dim_cuda_templateIN3c108BFloat16EEESt5tupleIJNSH_6TensorESO_SO_EERKSO_lbbbEUlllE0_EEPmJS6_EEE10hipError_tPvRmT3_T4_T5_T6_T7_T9_mT8_P12ihipStream_tbDpT10_ENKUlT_T0_E_clISt17integral_constantIbLb0EES1D_IbLb1EEEEDaS19_S1A_EUlS19_E_NS1_11comp_targetILNS1_3genE0ELNS1_11target_archE4294967295ELNS1_3gpuE0ELNS1_3repE0EEENS1_30default_config_static_selectorELNS0_4arch9wavefront6targetE0EEEvT1_, .Lfunc_end1198-_ZN7rocprim17ROCPRIM_400000_NS6detail17trampoline_kernelINS0_14default_configENS1_25partition_config_selectorILNS1_17partition_subalgoE8ElNS0_10empty_typeEbEEZZNS1_14partition_implILS5_8ELb0ES3_jPlPS6_PKS6_NS0_5tupleIJS9_S6_EEENSD_IJSA_SA_EEENS0_18inequality_wrapperIZN2at6native12_GLOBAL__N_124unique_dim_cuda_templateIN3c108BFloat16EEESt5tupleIJNSH_6TensorESO_SO_EERKSO_lbbbEUlllE0_EEPmJS6_EEE10hipError_tPvRmT3_T4_T5_T6_T7_T9_mT8_P12ihipStream_tbDpT10_ENKUlT_T0_E_clISt17integral_constantIbLb0EES1D_IbLb1EEEEDaS19_S1A_EUlS19_E_NS1_11comp_targetILNS1_3genE0ELNS1_11target_archE4294967295ELNS1_3gpuE0ELNS1_3repE0EEENS1_30default_config_static_selectorELNS0_4arch9wavefront6targetE0EEEvT1_
                                        ; -- End function
	.set _ZN7rocprim17ROCPRIM_400000_NS6detail17trampoline_kernelINS0_14default_configENS1_25partition_config_selectorILNS1_17partition_subalgoE8ElNS0_10empty_typeEbEEZZNS1_14partition_implILS5_8ELb0ES3_jPlPS6_PKS6_NS0_5tupleIJS9_S6_EEENSD_IJSA_SA_EEENS0_18inequality_wrapperIZN2at6native12_GLOBAL__N_124unique_dim_cuda_templateIN3c108BFloat16EEESt5tupleIJNSH_6TensorESO_SO_EERKSO_lbbbEUlllE0_EEPmJS6_EEE10hipError_tPvRmT3_T4_T5_T6_T7_T9_mT8_P12ihipStream_tbDpT10_ENKUlT_T0_E_clISt17integral_constantIbLb0EES1D_IbLb1EEEEDaS19_S1A_EUlS19_E_NS1_11comp_targetILNS1_3genE0ELNS1_11target_archE4294967295ELNS1_3gpuE0ELNS1_3repE0EEENS1_30default_config_static_selectorELNS0_4arch9wavefront6targetE0EEEvT1_.num_vgpr, 53
	.set _ZN7rocprim17ROCPRIM_400000_NS6detail17trampoline_kernelINS0_14default_configENS1_25partition_config_selectorILNS1_17partition_subalgoE8ElNS0_10empty_typeEbEEZZNS1_14partition_implILS5_8ELb0ES3_jPlPS6_PKS6_NS0_5tupleIJS9_S6_EEENSD_IJSA_SA_EEENS0_18inequality_wrapperIZN2at6native12_GLOBAL__N_124unique_dim_cuda_templateIN3c108BFloat16EEESt5tupleIJNSH_6TensorESO_SO_EERKSO_lbbbEUlllE0_EEPmJS6_EEE10hipError_tPvRmT3_T4_T5_T6_T7_T9_mT8_P12ihipStream_tbDpT10_ENKUlT_T0_E_clISt17integral_constantIbLb0EES1D_IbLb1EEEEDaS19_S1A_EUlS19_E_NS1_11comp_targetILNS1_3genE0ELNS1_11target_archE4294967295ELNS1_3gpuE0ELNS1_3repE0EEENS1_30default_config_static_selectorELNS0_4arch9wavefront6targetE0EEEvT1_.num_agpr, 0
	.set _ZN7rocprim17ROCPRIM_400000_NS6detail17trampoline_kernelINS0_14default_configENS1_25partition_config_selectorILNS1_17partition_subalgoE8ElNS0_10empty_typeEbEEZZNS1_14partition_implILS5_8ELb0ES3_jPlPS6_PKS6_NS0_5tupleIJS9_S6_EEENSD_IJSA_SA_EEENS0_18inequality_wrapperIZN2at6native12_GLOBAL__N_124unique_dim_cuda_templateIN3c108BFloat16EEESt5tupleIJNSH_6TensorESO_SO_EERKSO_lbbbEUlllE0_EEPmJS6_EEE10hipError_tPvRmT3_T4_T5_T6_T7_T9_mT8_P12ihipStream_tbDpT10_ENKUlT_T0_E_clISt17integral_constantIbLb0EES1D_IbLb1EEEEDaS19_S1A_EUlS19_E_NS1_11comp_targetILNS1_3genE0ELNS1_11target_archE4294967295ELNS1_3gpuE0ELNS1_3repE0EEENS1_30default_config_static_selectorELNS0_4arch9wavefront6targetE0EEEvT1_.numbered_sgpr, 36
	.set _ZN7rocprim17ROCPRIM_400000_NS6detail17trampoline_kernelINS0_14default_configENS1_25partition_config_selectorILNS1_17partition_subalgoE8ElNS0_10empty_typeEbEEZZNS1_14partition_implILS5_8ELb0ES3_jPlPS6_PKS6_NS0_5tupleIJS9_S6_EEENSD_IJSA_SA_EEENS0_18inequality_wrapperIZN2at6native12_GLOBAL__N_124unique_dim_cuda_templateIN3c108BFloat16EEESt5tupleIJNSH_6TensorESO_SO_EERKSO_lbbbEUlllE0_EEPmJS6_EEE10hipError_tPvRmT3_T4_T5_T6_T7_T9_mT8_P12ihipStream_tbDpT10_ENKUlT_T0_E_clISt17integral_constantIbLb0EES1D_IbLb1EEEEDaS19_S1A_EUlS19_E_NS1_11comp_targetILNS1_3genE0ELNS1_11target_archE4294967295ELNS1_3gpuE0ELNS1_3repE0EEENS1_30default_config_static_selectorELNS0_4arch9wavefront6targetE0EEEvT1_.num_named_barrier, 0
	.set _ZN7rocprim17ROCPRIM_400000_NS6detail17trampoline_kernelINS0_14default_configENS1_25partition_config_selectorILNS1_17partition_subalgoE8ElNS0_10empty_typeEbEEZZNS1_14partition_implILS5_8ELb0ES3_jPlPS6_PKS6_NS0_5tupleIJS9_S6_EEENSD_IJSA_SA_EEENS0_18inequality_wrapperIZN2at6native12_GLOBAL__N_124unique_dim_cuda_templateIN3c108BFloat16EEESt5tupleIJNSH_6TensorESO_SO_EERKSO_lbbbEUlllE0_EEPmJS6_EEE10hipError_tPvRmT3_T4_T5_T6_T7_T9_mT8_P12ihipStream_tbDpT10_ENKUlT_T0_E_clISt17integral_constantIbLb0EES1D_IbLb1EEEEDaS19_S1A_EUlS19_E_NS1_11comp_targetILNS1_3genE0ELNS1_11target_archE4294967295ELNS1_3gpuE0ELNS1_3repE0EEENS1_30default_config_static_selectorELNS0_4arch9wavefront6targetE0EEEvT1_.private_seg_size, 0
	.set _ZN7rocprim17ROCPRIM_400000_NS6detail17trampoline_kernelINS0_14default_configENS1_25partition_config_selectorILNS1_17partition_subalgoE8ElNS0_10empty_typeEbEEZZNS1_14partition_implILS5_8ELb0ES3_jPlPS6_PKS6_NS0_5tupleIJS9_S6_EEENSD_IJSA_SA_EEENS0_18inequality_wrapperIZN2at6native12_GLOBAL__N_124unique_dim_cuda_templateIN3c108BFloat16EEESt5tupleIJNSH_6TensorESO_SO_EERKSO_lbbbEUlllE0_EEPmJS6_EEE10hipError_tPvRmT3_T4_T5_T6_T7_T9_mT8_P12ihipStream_tbDpT10_ENKUlT_T0_E_clISt17integral_constantIbLb0EES1D_IbLb1EEEEDaS19_S1A_EUlS19_E_NS1_11comp_targetILNS1_3genE0ELNS1_11target_archE4294967295ELNS1_3gpuE0ELNS1_3repE0EEENS1_30default_config_static_selectorELNS0_4arch9wavefront6targetE0EEEvT1_.uses_vcc, 1
	.set _ZN7rocprim17ROCPRIM_400000_NS6detail17trampoline_kernelINS0_14default_configENS1_25partition_config_selectorILNS1_17partition_subalgoE8ElNS0_10empty_typeEbEEZZNS1_14partition_implILS5_8ELb0ES3_jPlPS6_PKS6_NS0_5tupleIJS9_S6_EEENSD_IJSA_SA_EEENS0_18inequality_wrapperIZN2at6native12_GLOBAL__N_124unique_dim_cuda_templateIN3c108BFloat16EEESt5tupleIJNSH_6TensorESO_SO_EERKSO_lbbbEUlllE0_EEPmJS6_EEE10hipError_tPvRmT3_T4_T5_T6_T7_T9_mT8_P12ihipStream_tbDpT10_ENKUlT_T0_E_clISt17integral_constantIbLb0EES1D_IbLb1EEEEDaS19_S1A_EUlS19_E_NS1_11comp_targetILNS1_3genE0ELNS1_11target_archE4294967295ELNS1_3gpuE0ELNS1_3repE0EEENS1_30default_config_static_selectorELNS0_4arch9wavefront6targetE0EEEvT1_.uses_flat_scratch, 0
	.set _ZN7rocprim17ROCPRIM_400000_NS6detail17trampoline_kernelINS0_14default_configENS1_25partition_config_selectorILNS1_17partition_subalgoE8ElNS0_10empty_typeEbEEZZNS1_14partition_implILS5_8ELb0ES3_jPlPS6_PKS6_NS0_5tupleIJS9_S6_EEENSD_IJSA_SA_EEENS0_18inequality_wrapperIZN2at6native12_GLOBAL__N_124unique_dim_cuda_templateIN3c108BFloat16EEESt5tupleIJNSH_6TensorESO_SO_EERKSO_lbbbEUlllE0_EEPmJS6_EEE10hipError_tPvRmT3_T4_T5_T6_T7_T9_mT8_P12ihipStream_tbDpT10_ENKUlT_T0_E_clISt17integral_constantIbLb0EES1D_IbLb1EEEEDaS19_S1A_EUlS19_E_NS1_11comp_targetILNS1_3genE0ELNS1_11target_archE4294967295ELNS1_3gpuE0ELNS1_3repE0EEENS1_30default_config_static_selectorELNS0_4arch9wavefront6targetE0EEEvT1_.has_dyn_sized_stack, 0
	.set _ZN7rocprim17ROCPRIM_400000_NS6detail17trampoline_kernelINS0_14default_configENS1_25partition_config_selectorILNS1_17partition_subalgoE8ElNS0_10empty_typeEbEEZZNS1_14partition_implILS5_8ELb0ES3_jPlPS6_PKS6_NS0_5tupleIJS9_S6_EEENSD_IJSA_SA_EEENS0_18inequality_wrapperIZN2at6native12_GLOBAL__N_124unique_dim_cuda_templateIN3c108BFloat16EEESt5tupleIJNSH_6TensorESO_SO_EERKSO_lbbbEUlllE0_EEPmJS6_EEE10hipError_tPvRmT3_T4_T5_T6_T7_T9_mT8_P12ihipStream_tbDpT10_ENKUlT_T0_E_clISt17integral_constantIbLb0EES1D_IbLb1EEEEDaS19_S1A_EUlS19_E_NS1_11comp_targetILNS1_3genE0ELNS1_11target_archE4294967295ELNS1_3gpuE0ELNS1_3repE0EEENS1_30default_config_static_selectorELNS0_4arch9wavefront6targetE0EEEvT1_.has_recursion, 0
	.set _ZN7rocprim17ROCPRIM_400000_NS6detail17trampoline_kernelINS0_14default_configENS1_25partition_config_selectorILNS1_17partition_subalgoE8ElNS0_10empty_typeEbEEZZNS1_14partition_implILS5_8ELb0ES3_jPlPS6_PKS6_NS0_5tupleIJS9_S6_EEENSD_IJSA_SA_EEENS0_18inequality_wrapperIZN2at6native12_GLOBAL__N_124unique_dim_cuda_templateIN3c108BFloat16EEESt5tupleIJNSH_6TensorESO_SO_EERKSO_lbbbEUlllE0_EEPmJS6_EEE10hipError_tPvRmT3_T4_T5_T6_T7_T9_mT8_P12ihipStream_tbDpT10_ENKUlT_T0_E_clISt17integral_constantIbLb0EES1D_IbLb1EEEEDaS19_S1A_EUlS19_E_NS1_11comp_targetILNS1_3genE0ELNS1_11target_archE4294967295ELNS1_3gpuE0ELNS1_3repE0EEENS1_30default_config_static_selectorELNS0_4arch9wavefront6targetE0EEEvT1_.has_indirect_call, 0
	.section	.AMDGPU.csdata,"",@progbits
; Kernel info:
; codeLenInByte = 10940
; TotalNumSgprs: 38
; NumVgprs: 53
; ScratchSize: 0
; MemoryBound: 0
; FloatMode: 240
; IeeeMode: 1
; LDSByteSize: 28680 bytes/workgroup (compile time only)
; SGPRBlocks: 0
; VGPRBlocks: 3
; NumSGPRsForWavesPerEU: 38
; NumVGPRsForWavesPerEU: 53
; NamedBarCnt: 0
; Occupancy: 16
; WaveLimiterHint : 1
; COMPUTE_PGM_RSRC2:SCRATCH_EN: 0
; COMPUTE_PGM_RSRC2:USER_SGPR: 2
; COMPUTE_PGM_RSRC2:TRAP_HANDLER: 0
; COMPUTE_PGM_RSRC2:TGID_X_EN: 1
; COMPUTE_PGM_RSRC2:TGID_Y_EN: 0
; COMPUTE_PGM_RSRC2:TGID_Z_EN: 0
; COMPUTE_PGM_RSRC2:TIDIG_COMP_CNT: 0
	.section	.text._ZN7rocprim17ROCPRIM_400000_NS6detail17trampoline_kernelINS0_14default_configENS1_25partition_config_selectorILNS1_17partition_subalgoE8ElNS0_10empty_typeEbEEZZNS1_14partition_implILS5_8ELb0ES3_jPlPS6_PKS6_NS0_5tupleIJS9_S6_EEENSD_IJSA_SA_EEENS0_18inequality_wrapperIZN2at6native12_GLOBAL__N_124unique_dim_cuda_templateIN3c108BFloat16EEESt5tupleIJNSH_6TensorESO_SO_EERKSO_lbbbEUlllE0_EEPmJS6_EEE10hipError_tPvRmT3_T4_T5_T6_T7_T9_mT8_P12ihipStream_tbDpT10_ENKUlT_T0_E_clISt17integral_constantIbLb0EES1D_IbLb1EEEEDaS19_S1A_EUlS19_E_NS1_11comp_targetILNS1_3genE5ELNS1_11target_archE942ELNS1_3gpuE9ELNS1_3repE0EEENS1_30default_config_static_selectorELNS0_4arch9wavefront6targetE0EEEvT1_,"axG",@progbits,_ZN7rocprim17ROCPRIM_400000_NS6detail17trampoline_kernelINS0_14default_configENS1_25partition_config_selectorILNS1_17partition_subalgoE8ElNS0_10empty_typeEbEEZZNS1_14partition_implILS5_8ELb0ES3_jPlPS6_PKS6_NS0_5tupleIJS9_S6_EEENSD_IJSA_SA_EEENS0_18inequality_wrapperIZN2at6native12_GLOBAL__N_124unique_dim_cuda_templateIN3c108BFloat16EEESt5tupleIJNSH_6TensorESO_SO_EERKSO_lbbbEUlllE0_EEPmJS6_EEE10hipError_tPvRmT3_T4_T5_T6_T7_T9_mT8_P12ihipStream_tbDpT10_ENKUlT_T0_E_clISt17integral_constantIbLb0EES1D_IbLb1EEEEDaS19_S1A_EUlS19_E_NS1_11comp_targetILNS1_3genE5ELNS1_11target_archE942ELNS1_3gpuE9ELNS1_3repE0EEENS1_30default_config_static_selectorELNS0_4arch9wavefront6targetE0EEEvT1_,comdat
	.globl	_ZN7rocprim17ROCPRIM_400000_NS6detail17trampoline_kernelINS0_14default_configENS1_25partition_config_selectorILNS1_17partition_subalgoE8ElNS0_10empty_typeEbEEZZNS1_14partition_implILS5_8ELb0ES3_jPlPS6_PKS6_NS0_5tupleIJS9_S6_EEENSD_IJSA_SA_EEENS0_18inequality_wrapperIZN2at6native12_GLOBAL__N_124unique_dim_cuda_templateIN3c108BFloat16EEESt5tupleIJNSH_6TensorESO_SO_EERKSO_lbbbEUlllE0_EEPmJS6_EEE10hipError_tPvRmT3_T4_T5_T6_T7_T9_mT8_P12ihipStream_tbDpT10_ENKUlT_T0_E_clISt17integral_constantIbLb0EES1D_IbLb1EEEEDaS19_S1A_EUlS19_E_NS1_11comp_targetILNS1_3genE5ELNS1_11target_archE942ELNS1_3gpuE9ELNS1_3repE0EEENS1_30default_config_static_selectorELNS0_4arch9wavefront6targetE0EEEvT1_ ; -- Begin function _ZN7rocprim17ROCPRIM_400000_NS6detail17trampoline_kernelINS0_14default_configENS1_25partition_config_selectorILNS1_17partition_subalgoE8ElNS0_10empty_typeEbEEZZNS1_14partition_implILS5_8ELb0ES3_jPlPS6_PKS6_NS0_5tupleIJS9_S6_EEENSD_IJSA_SA_EEENS0_18inequality_wrapperIZN2at6native12_GLOBAL__N_124unique_dim_cuda_templateIN3c108BFloat16EEESt5tupleIJNSH_6TensorESO_SO_EERKSO_lbbbEUlllE0_EEPmJS6_EEE10hipError_tPvRmT3_T4_T5_T6_T7_T9_mT8_P12ihipStream_tbDpT10_ENKUlT_T0_E_clISt17integral_constantIbLb0EES1D_IbLb1EEEEDaS19_S1A_EUlS19_E_NS1_11comp_targetILNS1_3genE5ELNS1_11target_archE942ELNS1_3gpuE9ELNS1_3repE0EEENS1_30default_config_static_selectorELNS0_4arch9wavefront6targetE0EEEvT1_
	.p2align	8
	.type	_ZN7rocprim17ROCPRIM_400000_NS6detail17trampoline_kernelINS0_14default_configENS1_25partition_config_selectorILNS1_17partition_subalgoE8ElNS0_10empty_typeEbEEZZNS1_14partition_implILS5_8ELb0ES3_jPlPS6_PKS6_NS0_5tupleIJS9_S6_EEENSD_IJSA_SA_EEENS0_18inequality_wrapperIZN2at6native12_GLOBAL__N_124unique_dim_cuda_templateIN3c108BFloat16EEESt5tupleIJNSH_6TensorESO_SO_EERKSO_lbbbEUlllE0_EEPmJS6_EEE10hipError_tPvRmT3_T4_T5_T6_T7_T9_mT8_P12ihipStream_tbDpT10_ENKUlT_T0_E_clISt17integral_constantIbLb0EES1D_IbLb1EEEEDaS19_S1A_EUlS19_E_NS1_11comp_targetILNS1_3genE5ELNS1_11target_archE942ELNS1_3gpuE9ELNS1_3repE0EEENS1_30default_config_static_selectorELNS0_4arch9wavefront6targetE0EEEvT1_,@function
_ZN7rocprim17ROCPRIM_400000_NS6detail17trampoline_kernelINS0_14default_configENS1_25partition_config_selectorILNS1_17partition_subalgoE8ElNS0_10empty_typeEbEEZZNS1_14partition_implILS5_8ELb0ES3_jPlPS6_PKS6_NS0_5tupleIJS9_S6_EEENSD_IJSA_SA_EEENS0_18inequality_wrapperIZN2at6native12_GLOBAL__N_124unique_dim_cuda_templateIN3c108BFloat16EEESt5tupleIJNSH_6TensorESO_SO_EERKSO_lbbbEUlllE0_EEPmJS6_EEE10hipError_tPvRmT3_T4_T5_T6_T7_T9_mT8_P12ihipStream_tbDpT10_ENKUlT_T0_E_clISt17integral_constantIbLb0EES1D_IbLb1EEEEDaS19_S1A_EUlS19_E_NS1_11comp_targetILNS1_3genE5ELNS1_11target_archE942ELNS1_3gpuE9ELNS1_3repE0EEENS1_30default_config_static_selectorELNS0_4arch9wavefront6targetE0EEEvT1_: ; @_ZN7rocprim17ROCPRIM_400000_NS6detail17trampoline_kernelINS0_14default_configENS1_25partition_config_selectorILNS1_17partition_subalgoE8ElNS0_10empty_typeEbEEZZNS1_14partition_implILS5_8ELb0ES3_jPlPS6_PKS6_NS0_5tupleIJS9_S6_EEENSD_IJSA_SA_EEENS0_18inequality_wrapperIZN2at6native12_GLOBAL__N_124unique_dim_cuda_templateIN3c108BFloat16EEESt5tupleIJNSH_6TensorESO_SO_EERKSO_lbbbEUlllE0_EEPmJS6_EEE10hipError_tPvRmT3_T4_T5_T6_T7_T9_mT8_P12ihipStream_tbDpT10_ENKUlT_T0_E_clISt17integral_constantIbLb0EES1D_IbLb1EEEEDaS19_S1A_EUlS19_E_NS1_11comp_targetILNS1_3genE5ELNS1_11target_archE942ELNS1_3gpuE9ELNS1_3repE0EEENS1_30default_config_static_selectorELNS0_4arch9wavefront6targetE0EEEvT1_
; %bb.0:
	.section	.rodata,"a",@progbits
	.p2align	6, 0x0
	.amdhsa_kernel _ZN7rocprim17ROCPRIM_400000_NS6detail17trampoline_kernelINS0_14default_configENS1_25partition_config_selectorILNS1_17partition_subalgoE8ElNS0_10empty_typeEbEEZZNS1_14partition_implILS5_8ELb0ES3_jPlPS6_PKS6_NS0_5tupleIJS9_S6_EEENSD_IJSA_SA_EEENS0_18inequality_wrapperIZN2at6native12_GLOBAL__N_124unique_dim_cuda_templateIN3c108BFloat16EEESt5tupleIJNSH_6TensorESO_SO_EERKSO_lbbbEUlllE0_EEPmJS6_EEE10hipError_tPvRmT3_T4_T5_T6_T7_T9_mT8_P12ihipStream_tbDpT10_ENKUlT_T0_E_clISt17integral_constantIbLb0EES1D_IbLb1EEEEDaS19_S1A_EUlS19_E_NS1_11comp_targetILNS1_3genE5ELNS1_11target_archE942ELNS1_3gpuE9ELNS1_3repE0EEENS1_30default_config_static_selectorELNS0_4arch9wavefront6targetE0EEEvT1_
		.amdhsa_group_segment_fixed_size 0
		.amdhsa_private_segment_fixed_size 0
		.amdhsa_kernarg_size 136
		.amdhsa_user_sgpr_count 2
		.amdhsa_user_sgpr_dispatch_ptr 0
		.amdhsa_user_sgpr_queue_ptr 0
		.amdhsa_user_sgpr_kernarg_segment_ptr 1
		.amdhsa_user_sgpr_dispatch_id 0
		.amdhsa_user_sgpr_kernarg_preload_length 0
		.amdhsa_user_sgpr_kernarg_preload_offset 0
		.amdhsa_user_sgpr_private_segment_size 0
		.amdhsa_wavefront_size32 1
		.amdhsa_uses_dynamic_stack 0
		.amdhsa_enable_private_segment 0
		.amdhsa_system_sgpr_workgroup_id_x 1
		.amdhsa_system_sgpr_workgroup_id_y 0
		.amdhsa_system_sgpr_workgroup_id_z 0
		.amdhsa_system_sgpr_workgroup_info 0
		.amdhsa_system_vgpr_workitem_id 0
		.amdhsa_next_free_vgpr 1
		.amdhsa_next_free_sgpr 1
		.amdhsa_named_barrier_count 0
		.amdhsa_reserve_vcc 0
		.amdhsa_float_round_mode_32 0
		.amdhsa_float_round_mode_16_64 0
		.amdhsa_float_denorm_mode_32 3
		.amdhsa_float_denorm_mode_16_64 3
		.amdhsa_fp16_overflow 0
		.amdhsa_memory_ordered 1
		.amdhsa_forward_progress 1
		.amdhsa_inst_pref_size 0
		.amdhsa_round_robin_scheduling 0
		.amdhsa_exception_fp_ieee_invalid_op 0
		.amdhsa_exception_fp_denorm_src 0
		.amdhsa_exception_fp_ieee_div_zero 0
		.amdhsa_exception_fp_ieee_overflow 0
		.amdhsa_exception_fp_ieee_underflow 0
		.amdhsa_exception_fp_ieee_inexact 0
		.amdhsa_exception_int_div_zero 0
	.end_amdhsa_kernel
	.section	.text._ZN7rocprim17ROCPRIM_400000_NS6detail17trampoline_kernelINS0_14default_configENS1_25partition_config_selectorILNS1_17partition_subalgoE8ElNS0_10empty_typeEbEEZZNS1_14partition_implILS5_8ELb0ES3_jPlPS6_PKS6_NS0_5tupleIJS9_S6_EEENSD_IJSA_SA_EEENS0_18inequality_wrapperIZN2at6native12_GLOBAL__N_124unique_dim_cuda_templateIN3c108BFloat16EEESt5tupleIJNSH_6TensorESO_SO_EERKSO_lbbbEUlllE0_EEPmJS6_EEE10hipError_tPvRmT3_T4_T5_T6_T7_T9_mT8_P12ihipStream_tbDpT10_ENKUlT_T0_E_clISt17integral_constantIbLb0EES1D_IbLb1EEEEDaS19_S1A_EUlS19_E_NS1_11comp_targetILNS1_3genE5ELNS1_11target_archE942ELNS1_3gpuE9ELNS1_3repE0EEENS1_30default_config_static_selectorELNS0_4arch9wavefront6targetE0EEEvT1_,"axG",@progbits,_ZN7rocprim17ROCPRIM_400000_NS6detail17trampoline_kernelINS0_14default_configENS1_25partition_config_selectorILNS1_17partition_subalgoE8ElNS0_10empty_typeEbEEZZNS1_14partition_implILS5_8ELb0ES3_jPlPS6_PKS6_NS0_5tupleIJS9_S6_EEENSD_IJSA_SA_EEENS0_18inequality_wrapperIZN2at6native12_GLOBAL__N_124unique_dim_cuda_templateIN3c108BFloat16EEESt5tupleIJNSH_6TensorESO_SO_EERKSO_lbbbEUlllE0_EEPmJS6_EEE10hipError_tPvRmT3_T4_T5_T6_T7_T9_mT8_P12ihipStream_tbDpT10_ENKUlT_T0_E_clISt17integral_constantIbLb0EES1D_IbLb1EEEEDaS19_S1A_EUlS19_E_NS1_11comp_targetILNS1_3genE5ELNS1_11target_archE942ELNS1_3gpuE9ELNS1_3repE0EEENS1_30default_config_static_selectorELNS0_4arch9wavefront6targetE0EEEvT1_,comdat
.Lfunc_end1199:
	.size	_ZN7rocprim17ROCPRIM_400000_NS6detail17trampoline_kernelINS0_14default_configENS1_25partition_config_selectorILNS1_17partition_subalgoE8ElNS0_10empty_typeEbEEZZNS1_14partition_implILS5_8ELb0ES3_jPlPS6_PKS6_NS0_5tupleIJS9_S6_EEENSD_IJSA_SA_EEENS0_18inequality_wrapperIZN2at6native12_GLOBAL__N_124unique_dim_cuda_templateIN3c108BFloat16EEESt5tupleIJNSH_6TensorESO_SO_EERKSO_lbbbEUlllE0_EEPmJS6_EEE10hipError_tPvRmT3_T4_T5_T6_T7_T9_mT8_P12ihipStream_tbDpT10_ENKUlT_T0_E_clISt17integral_constantIbLb0EES1D_IbLb1EEEEDaS19_S1A_EUlS19_E_NS1_11comp_targetILNS1_3genE5ELNS1_11target_archE942ELNS1_3gpuE9ELNS1_3repE0EEENS1_30default_config_static_selectorELNS0_4arch9wavefront6targetE0EEEvT1_, .Lfunc_end1199-_ZN7rocprim17ROCPRIM_400000_NS6detail17trampoline_kernelINS0_14default_configENS1_25partition_config_selectorILNS1_17partition_subalgoE8ElNS0_10empty_typeEbEEZZNS1_14partition_implILS5_8ELb0ES3_jPlPS6_PKS6_NS0_5tupleIJS9_S6_EEENSD_IJSA_SA_EEENS0_18inequality_wrapperIZN2at6native12_GLOBAL__N_124unique_dim_cuda_templateIN3c108BFloat16EEESt5tupleIJNSH_6TensorESO_SO_EERKSO_lbbbEUlllE0_EEPmJS6_EEE10hipError_tPvRmT3_T4_T5_T6_T7_T9_mT8_P12ihipStream_tbDpT10_ENKUlT_T0_E_clISt17integral_constantIbLb0EES1D_IbLb1EEEEDaS19_S1A_EUlS19_E_NS1_11comp_targetILNS1_3genE5ELNS1_11target_archE942ELNS1_3gpuE9ELNS1_3repE0EEENS1_30default_config_static_selectorELNS0_4arch9wavefront6targetE0EEEvT1_
                                        ; -- End function
	.set _ZN7rocprim17ROCPRIM_400000_NS6detail17trampoline_kernelINS0_14default_configENS1_25partition_config_selectorILNS1_17partition_subalgoE8ElNS0_10empty_typeEbEEZZNS1_14partition_implILS5_8ELb0ES3_jPlPS6_PKS6_NS0_5tupleIJS9_S6_EEENSD_IJSA_SA_EEENS0_18inequality_wrapperIZN2at6native12_GLOBAL__N_124unique_dim_cuda_templateIN3c108BFloat16EEESt5tupleIJNSH_6TensorESO_SO_EERKSO_lbbbEUlllE0_EEPmJS6_EEE10hipError_tPvRmT3_T4_T5_T6_T7_T9_mT8_P12ihipStream_tbDpT10_ENKUlT_T0_E_clISt17integral_constantIbLb0EES1D_IbLb1EEEEDaS19_S1A_EUlS19_E_NS1_11comp_targetILNS1_3genE5ELNS1_11target_archE942ELNS1_3gpuE9ELNS1_3repE0EEENS1_30default_config_static_selectorELNS0_4arch9wavefront6targetE0EEEvT1_.num_vgpr, 0
	.set _ZN7rocprim17ROCPRIM_400000_NS6detail17trampoline_kernelINS0_14default_configENS1_25partition_config_selectorILNS1_17partition_subalgoE8ElNS0_10empty_typeEbEEZZNS1_14partition_implILS5_8ELb0ES3_jPlPS6_PKS6_NS0_5tupleIJS9_S6_EEENSD_IJSA_SA_EEENS0_18inequality_wrapperIZN2at6native12_GLOBAL__N_124unique_dim_cuda_templateIN3c108BFloat16EEESt5tupleIJNSH_6TensorESO_SO_EERKSO_lbbbEUlllE0_EEPmJS6_EEE10hipError_tPvRmT3_T4_T5_T6_T7_T9_mT8_P12ihipStream_tbDpT10_ENKUlT_T0_E_clISt17integral_constantIbLb0EES1D_IbLb1EEEEDaS19_S1A_EUlS19_E_NS1_11comp_targetILNS1_3genE5ELNS1_11target_archE942ELNS1_3gpuE9ELNS1_3repE0EEENS1_30default_config_static_selectorELNS0_4arch9wavefront6targetE0EEEvT1_.num_agpr, 0
	.set _ZN7rocprim17ROCPRIM_400000_NS6detail17trampoline_kernelINS0_14default_configENS1_25partition_config_selectorILNS1_17partition_subalgoE8ElNS0_10empty_typeEbEEZZNS1_14partition_implILS5_8ELb0ES3_jPlPS6_PKS6_NS0_5tupleIJS9_S6_EEENSD_IJSA_SA_EEENS0_18inequality_wrapperIZN2at6native12_GLOBAL__N_124unique_dim_cuda_templateIN3c108BFloat16EEESt5tupleIJNSH_6TensorESO_SO_EERKSO_lbbbEUlllE0_EEPmJS6_EEE10hipError_tPvRmT3_T4_T5_T6_T7_T9_mT8_P12ihipStream_tbDpT10_ENKUlT_T0_E_clISt17integral_constantIbLb0EES1D_IbLb1EEEEDaS19_S1A_EUlS19_E_NS1_11comp_targetILNS1_3genE5ELNS1_11target_archE942ELNS1_3gpuE9ELNS1_3repE0EEENS1_30default_config_static_selectorELNS0_4arch9wavefront6targetE0EEEvT1_.numbered_sgpr, 0
	.set _ZN7rocprim17ROCPRIM_400000_NS6detail17trampoline_kernelINS0_14default_configENS1_25partition_config_selectorILNS1_17partition_subalgoE8ElNS0_10empty_typeEbEEZZNS1_14partition_implILS5_8ELb0ES3_jPlPS6_PKS6_NS0_5tupleIJS9_S6_EEENSD_IJSA_SA_EEENS0_18inequality_wrapperIZN2at6native12_GLOBAL__N_124unique_dim_cuda_templateIN3c108BFloat16EEESt5tupleIJNSH_6TensorESO_SO_EERKSO_lbbbEUlllE0_EEPmJS6_EEE10hipError_tPvRmT3_T4_T5_T6_T7_T9_mT8_P12ihipStream_tbDpT10_ENKUlT_T0_E_clISt17integral_constantIbLb0EES1D_IbLb1EEEEDaS19_S1A_EUlS19_E_NS1_11comp_targetILNS1_3genE5ELNS1_11target_archE942ELNS1_3gpuE9ELNS1_3repE0EEENS1_30default_config_static_selectorELNS0_4arch9wavefront6targetE0EEEvT1_.num_named_barrier, 0
	.set _ZN7rocprim17ROCPRIM_400000_NS6detail17trampoline_kernelINS0_14default_configENS1_25partition_config_selectorILNS1_17partition_subalgoE8ElNS0_10empty_typeEbEEZZNS1_14partition_implILS5_8ELb0ES3_jPlPS6_PKS6_NS0_5tupleIJS9_S6_EEENSD_IJSA_SA_EEENS0_18inequality_wrapperIZN2at6native12_GLOBAL__N_124unique_dim_cuda_templateIN3c108BFloat16EEESt5tupleIJNSH_6TensorESO_SO_EERKSO_lbbbEUlllE0_EEPmJS6_EEE10hipError_tPvRmT3_T4_T5_T6_T7_T9_mT8_P12ihipStream_tbDpT10_ENKUlT_T0_E_clISt17integral_constantIbLb0EES1D_IbLb1EEEEDaS19_S1A_EUlS19_E_NS1_11comp_targetILNS1_3genE5ELNS1_11target_archE942ELNS1_3gpuE9ELNS1_3repE0EEENS1_30default_config_static_selectorELNS0_4arch9wavefront6targetE0EEEvT1_.private_seg_size, 0
	.set _ZN7rocprim17ROCPRIM_400000_NS6detail17trampoline_kernelINS0_14default_configENS1_25partition_config_selectorILNS1_17partition_subalgoE8ElNS0_10empty_typeEbEEZZNS1_14partition_implILS5_8ELb0ES3_jPlPS6_PKS6_NS0_5tupleIJS9_S6_EEENSD_IJSA_SA_EEENS0_18inequality_wrapperIZN2at6native12_GLOBAL__N_124unique_dim_cuda_templateIN3c108BFloat16EEESt5tupleIJNSH_6TensorESO_SO_EERKSO_lbbbEUlllE0_EEPmJS6_EEE10hipError_tPvRmT3_T4_T5_T6_T7_T9_mT8_P12ihipStream_tbDpT10_ENKUlT_T0_E_clISt17integral_constantIbLb0EES1D_IbLb1EEEEDaS19_S1A_EUlS19_E_NS1_11comp_targetILNS1_3genE5ELNS1_11target_archE942ELNS1_3gpuE9ELNS1_3repE0EEENS1_30default_config_static_selectorELNS0_4arch9wavefront6targetE0EEEvT1_.uses_vcc, 0
	.set _ZN7rocprim17ROCPRIM_400000_NS6detail17trampoline_kernelINS0_14default_configENS1_25partition_config_selectorILNS1_17partition_subalgoE8ElNS0_10empty_typeEbEEZZNS1_14partition_implILS5_8ELb0ES3_jPlPS6_PKS6_NS0_5tupleIJS9_S6_EEENSD_IJSA_SA_EEENS0_18inequality_wrapperIZN2at6native12_GLOBAL__N_124unique_dim_cuda_templateIN3c108BFloat16EEESt5tupleIJNSH_6TensorESO_SO_EERKSO_lbbbEUlllE0_EEPmJS6_EEE10hipError_tPvRmT3_T4_T5_T6_T7_T9_mT8_P12ihipStream_tbDpT10_ENKUlT_T0_E_clISt17integral_constantIbLb0EES1D_IbLb1EEEEDaS19_S1A_EUlS19_E_NS1_11comp_targetILNS1_3genE5ELNS1_11target_archE942ELNS1_3gpuE9ELNS1_3repE0EEENS1_30default_config_static_selectorELNS0_4arch9wavefront6targetE0EEEvT1_.uses_flat_scratch, 0
	.set _ZN7rocprim17ROCPRIM_400000_NS6detail17trampoline_kernelINS0_14default_configENS1_25partition_config_selectorILNS1_17partition_subalgoE8ElNS0_10empty_typeEbEEZZNS1_14partition_implILS5_8ELb0ES3_jPlPS6_PKS6_NS0_5tupleIJS9_S6_EEENSD_IJSA_SA_EEENS0_18inequality_wrapperIZN2at6native12_GLOBAL__N_124unique_dim_cuda_templateIN3c108BFloat16EEESt5tupleIJNSH_6TensorESO_SO_EERKSO_lbbbEUlllE0_EEPmJS6_EEE10hipError_tPvRmT3_T4_T5_T6_T7_T9_mT8_P12ihipStream_tbDpT10_ENKUlT_T0_E_clISt17integral_constantIbLb0EES1D_IbLb1EEEEDaS19_S1A_EUlS19_E_NS1_11comp_targetILNS1_3genE5ELNS1_11target_archE942ELNS1_3gpuE9ELNS1_3repE0EEENS1_30default_config_static_selectorELNS0_4arch9wavefront6targetE0EEEvT1_.has_dyn_sized_stack, 0
	.set _ZN7rocprim17ROCPRIM_400000_NS6detail17trampoline_kernelINS0_14default_configENS1_25partition_config_selectorILNS1_17partition_subalgoE8ElNS0_10empty_typeEbEEZZNS1_14partition_implILS5_8ELb0ES3_jPlPS6_PKS6_NS0_5tupleIJS9_S6_EEENSD_IJSA_SA_EEENS0_18inequality_wrapperIZN2at6native12_GLOBAL__N_124unique_dim_cuda_templateIN3c108BFloat16EEESt5tupleIJNSH_6TensorESO_SO_EERKSO_lbbbEUlllE0_EEPmJS6_EEE10hipError_tPvRmT3_T4_T5_T6_T7_T9_mT8_P12ihipStream_tbDpT10_ENKUlT_T0_E_clISt17integral_constantIbLb0EES1D_IbLb1EEEEDaS19_S1A_EUlS19_E_NS1_11comp_targetILNS1_3genE5ELNS1_11target_archE942ELNS1_3gpuE9ELNS1_3repE0EEENS1_30default_config_static_selectorELNS0_4arch9wavefront6targetE0EEEvT1_.has_recursion, 0
	.set _ZN7rocprim17ROCPRIM_400000_NS6detail17trampoline_kernelINS0_14default_configENS1_25partition_config_selectorILNS1_17partition_subalgoE8ElNS0_10empty_typeEbEEZZNS1_14partition_implILS5_8ELb0ES3_jPlPS6_PKS6_NS0_5tupleIJS9_S6_EEENSD_IJSA_SA_EEENS0_18inequality_wrapperIZN2at6native12_GLOBAL__N_124unique_dim_cuda_templateIN3c108BFloat16EEESt5tupleIJNSH_6TensorESO_SO_EERKSO_lbbbEUlllE0_EEPmJS6_EEE10hipError_tPvRmT3_T4_T5_T6_T7_T9_mT8_P12ihipStream_tbDpT10_ENKUlT_T0_E_clISt17integral_constantIbLb0EES1D_IbLb1EEEEDaS19_S1A_EUlS19_E_NS1_11comp_targetILNS1_3genE5ELNS1_11target_archE942ELNS1_3gpuE9ELNS1_3repE0EEENS1_30default_config_static_selectorELNS0_4arch9wavefront6targetE0EEEvT1_.has_indirect_call, 0
	.section	.AMDGPU.csdata,"",@progbits
; Kernel info:
; codeLenInByte = 0
; TotalNumSgprs: 0
; NumVgprs: 0
; ScratchSize: 0
; MemoryBound: 0
; FloatMode: 240
; IeeeMode: 1
; LDSByteSize: 0 bytes/workgroup (compile time only)
; SGPRBlocks: 0
; VGPRBlocks: 0
; NumSGPRsForWavesPerEU: 1
; NumVGPRsForWavesPerEU: 1
; NamedBarCnt: 0
; Occupancy: 16
; WaveLimiterHint : 0
; COMPUTE_PGM_RSRC2:SCRATCH_EN: 0
; COMPUTE_PGM_RSRC2:USER_SGPR: 2
; COMPUTE_PGM_RSRC2:TRAP_HANDLER: 0
; COMPUTE_PGM_RSRC2:TGID_X_EN: 1
; COMPUTE_PGM_RSRC2:TGID_Y_EN: 0
; COMPUTE_PGM_RSRC2:TGID_Z_EN: 0
; COMPUTE_PGM_RSRC2:TIDIG_COMP_CNT: 0
	.section	.text._ZN7rocprim17ROCPRIM_400000_NS6detail17trampoline_kernelINS0_14default_configENS1_25partition_config_selectorILNS1_17partition_subalgoE8ElNS0_10empty_typeEbEEZZNS1_14partition_implILS5_8ELb0ES3_jPlPS6_PKS6_NS0_5tupleIJS9_S6_EEENSD_IJSA_SA_EEENS0_18inequality_wrapperIZN2at6native12_GLOBAL__N_124unique_dim_cuda_templateIN3c108BFloat16EEESt5tupleIJNSH_6TensorESO_SO_EERKSO_lbbbEUlllE0_EEPmJS6_EEE10hipError_tPvRmT3_T4_T5_T6_T7_T9_mT8_P12ihipStream_tbDpT10_ENKUlT_T0_E_clISt17integral_constantIbLb0EES1D_IbLb1EEEEDaS19_S1A_EUlS19_E_NS1_11comp_targetILNS1_3genE4ELNS1_11target_archE910ELNS1_3gpuE8ELNS1_3repE0EEENS1_30default_config_static_selectorELNS0_4arch9wavefront6targetE0EEEvT1_,"axG",@progbits,_ZN7rocprim17ROCPRIM_400000_NS6detail17trampoline_kernelINS0_14default_configENS1_25partition_config_selectorILNS1_17partition_subalgoE8ElNS0_10empty_typeEbEEZZNS1_14partition_implILS5_8ELb0ES3_jPlPS6_PKS6_NS0_5tupleIJS9_S6_EEENSD_IJSA_SA_EEENS0_18inequality_wrapperIZN2at6native12_GLOBAL__N_124unique_dim_cuda_templateIN3c108BFloat16EEESt5tupleIJNSH_6TensorESO_SO_EERKSO_lbbbEUlllE0_EEPmJS6_EEE10hipError_tPvRmT3_T4_T5_T6_T7_T9_mT8_P12ihipStream_tbDpT10_ENKUlT_T0_E_clISt17integral_constantIbLb0EES1D_IbLb1EEEEDaS19_S1A_EUlS19_E_NS1_11comp_targetILNS1_3genE4ELNS1_11target_archE910ELNS1_3gpuE8ELNS1_3repE0EEENS1_30default_config_static_selectorELNS0_4arch9wavefront6targetE0EEEvT1_,comdat
	.globl	_ZN7rocprim17ROCPRIM_400000_NS6detail17trampoline_kernelINS0_14default_configENS1_25partition_config_selectorILNS1_17partition_subalgoE8ElNS0_10empty_typeEbEEZZNS1_14partition_implILS5_8ELb0ES3_jPlPS6_PKS6_NS0_5tupleIJS9_S6_EEENSD_IJSA_SA_EEENS0_18inequality_wrapperIZN2at6native12_GLOBAL__N_124unique_dim_cuda_templateIN3c108BFloat16EEESt5tupleIJNSH_6TensorESO_SO_EERKSO_lbbbEUlllE0_EEPmJS6_EEE10hipError_tPvRmT3_T4_T5_T6_T7_T9_mT8_P12ihipStream_tbDpT10_ENKUlT_T0_E_clISt17integral_constantIbLb0EES1D_IbLb1EEEEDaS19_S1A_EUlS19_E_NS1_11comp_targetILNS1_3genE4ELNS1_11target_archE910ELNS1_3gpuE8ELNS1_3repE0EEENS1_30default_config_static_selectorELNS0_4arch9wavefront6targetE0EEEvT1_ ; -- Begin function _ZN7rocprim17ROCPRIM_400000_NS6detail17trampoline_kernelINS0_14default_configENS1_25partition_config_selectorILNS1_17partition_subalgoE8ElNS0_10empty_typeEbEEZZNS1_14partition_implILS5_8ELb0ES3_jPlPS6_PKS6_NS0_5tupleIJS9_S6_EEENSD_IJSA_SA_EEENS0_18inequality_wrapperIZN2at6native12_GLOBAL__N_124unique_dim_cuda_templateIN3c108BFloat16EEESt5tupleIJNSH_6TensorESO_SO_EERKSO_lbbbEUlllE0_EEPmJS6_EEE10hipError_tPvRmT3_T4_T5_T6_T7_T9_mT8_P12ihipStream_tbDpT10_ENKUlT_T0_E_clISt17integral_constantIbLb0EES1D_IbLb1EEEEDaS19_S1A_EUlS19_E_NS1_11comp_targetILNS1_3genE4ELNS1_11target_archE910ELNS1_3gpuE8ELNS1_3repE0EEENS1_30default_config_static_selectorELNS0_4arch9wavefront6targetE0EEEvT1_
	.p2align	8
	.type	_ZN7rocprim17ROCPRIM_400000_NS6detail17trampoline_kernelINS0_14default_configENS1_25partition_config_selectorILNS1_17partition_subalgoE8ElNS0_10empty_typeEbEEZZNS1_14partition_implILS5_8ELb0ES3_jPlPS6_PKS6_NS0_5tupleIJS9_S6_EEENSD_IJSA_SA_EEENS0_18inequality_wrapperIZN2at6native12_GLOBAL__N_124unique_dim_cuda_templateIN3c108BFloat16EEESt5tupleIJNSH_6TensorESO_SO_EERKSO_lbbbEUlllE0_EEPmJS6_EEE10hipError_tPvRmT3_T4_T5_T6_T7_T9_mT8_P12ihipStream_tbDpT10_ENKUlT_T0_E_clISt17integral_constantIbLb0EES1D_IbLb1EEEEDaS19_S1A_EUlS19_E_NS1_11comp_targetILNS1_3genE4ELNS1_11target_archE910ELNS1_3gpuE8ELNS1_3repE0EEENS1_30default_config_static_selectorELNS0_4arch9wavefront6targetE0EEEvT1_,@function
_ZN7rocprim17ROCPRIM_400000_NS6detail17trampoline_kernelINS0_14default_configENS1_25partition_config_selectorILNS1_17partition_subalgoE8ElNS0_10empty_typeEbEEZZNS1_14partition_implILS5_8ELb0ES3_jPlPS6_PKS6_NS0_5tupleIJS9_S6_EEENSD_IJSA_SA_EEENS0_18inequality_wrapperIZN2at6native12_GLOBAL__N_124unique_dim_cuda_templateIN3c108BFloat16EEESt5tupleIJNSH_6TensorESO_SO_EERKSO_lbbbEUlllE0_EEPmJS6_EEE10hipError_tPvRmT3_T4_T5_T6_T7_T9_mT8_P12ihipStream_tbDpT10_ENKUlT_T0_E_clISt17integral_constantIbLb0EES1D_IbLb1EEEEDaS19_S1A_EUlS19_E_NS1_11comp_targetILNS1_3genE4ELNS1_11target_archE910ELNS1_3gpuE8ELNS1_3repE0EEENS1_30default_config_static_selectorELNS0_4arch9wavefront6targetE0EEEvT1_: ; @_ZN7rocprim17ROCPRIM_400000_NS6detail17trampoline_kernelINS0_14default_configENS1_25partition_config_selectorILNS1_17partition_subalgoE8ElNS0_10empty_typeEbEEZZNS1_14partition_implILS5_8ELb0ES3_jPlPS6_PKS6_NS0_5tupleIJS9_S6_EEENSD_IJSA_SA_EEENS0_18inequality_wrapperIZN2at6native12_GLOBAL__N_124unique_dim_cuda_templateIN3c108BFloat16EEESt5tupleIJNSH_6TensorESO_SO_EERKSO_lbbbEUlllE0_EEPmJS6_EEE10hipError_tPvRmT3_T4_T5_T6_T7_T9_mT8_P12ihipStream_tbDpT10_ENKUlT_T0_E_clISt17integral_constantIbLb0EES1D_IbLb1EEEEDaS19_S1A_EUlS19_E_NS1_11comp_targetILNS1_3genE4ELNS1_11target_archE910ELNS1_3gpuE8ELNS1_3repE0EEENS1_30default_config_static_selectorELNS0_4arch9wavefront6targetE0EEEvT1_
; %bb.0:
	.section	.rodata,"a",@progbits
	.p2align	6, 0x0
	.amdhsa_kernel _ZN7rocprim17ROCPRIM_400000_NS6detail17trampoline_kernelINS0_14default_configENS1_25partition_config_selectorILNS1_17partition_subalgoE8ElNS0_10empty_typeEbEEZZNS1_14partition_implILS5_8ELb0ES3_jPlPS6_PKS6_NS0_5tupleIJS9_S6_EEENSD_IJSA_SA_EEENS0_18inequality_wrapperIZN2at6native12_GLOBAL__N_124unique_dim_cuda_templateIN3c108BFloat16EEESt5tupleIJNSH_6TensorESO_SO_EERKSO_lbbbEUlllE0_EEPmJS6_EEE10hipError_tPvRmT3_T4_T5_T6_T7_T9_mT8_P12ihipStream_tbDpT10_ENKUlT_T0_E_clISt17integral_constantIbLb0EES1D_IbLb1EEEEDaS19_S1A_EUlS19_E_NS1_11comp_targetILNS1_3genE4ELNS1_11target_archE910ELNS1_3gpuE8ELNS1_3repE0EEENS1_30default_config_static_selectorELNS0_4arch9wavefront6targetE0EEEvT1_
		.amdhsa_group_segment_fixed_size 0
		.amdhsa_private_segment_fixed_size 0
		.amdhsa_kernarg_size 136
		.amdhsa_user_sgpr_count 2
		.amdhsa_user_sgpr_dispatch_ptr 0
		.amdhsa_user_sgpr_queue_ptr 0
		.amdhsa_user_sgpr_kernarg_segment_ptr 1
		.amdhsa_user_sgpr_dispatch_id 0
		.amdhsa_user_sgpr_kernarg_preload_length 0
		.amdhsa_user_sgpr_kernarg_preload_offset 0
		.amdhsa_user_sgpr_private_segment_size 0
		.amdhsa_wavefront_size32 1
		.amdhsa_uses_dynamic_stack 0
		.amdhsa_enable_private_segment 0
		.amdhsa_system_sgpr_workgroup_id_x 1
		.amdhsa_system_sgpr_workgroup_id_y 0
		.amdhsa_system_sgpr_workgroup_id_z 0
		.amdhsa_system_sgpr_workgroup_info 0
		.amdhsa_system_vgpr_workitem_id 0
		.amdhsa_next_free_vgpr 1
		.amdhsa_next_free_sgpr 1
		.amdhsa_named_barrier_count 0
		.amdhsa_reserve_vcc 0
		.amdhsa_float_round_mode_32 0
		.amdhsa_float_round_mode_16_64 0
		.amdhsa_float_denorm_mode_32 3
		.amdhsa_float_denorm_mode_16_64 3
		.amdhsa_fp16_overflow 0
		.amdhsa_memory_ordered 1
		.amdhsa_forward_progress 1
		.amdhsa_inst_pref_size 0
		.amdhsa_round_robin_scheduling 0
		.amdhsa_exception_fp_ieee_invalid_op 0
		.amdhsa_exception_fp_denorm_src 0
		.amdhsa_exception_fp_ieee_div_zero 0
		.amdhsa_exception_fp_ieee_overflow 0
		.amdhsa_exception_fp_ieee_underflow 0
		.amdhsa_exception_fp_ieee_inexact 0
		.amdhsa_exception_int_div_zero 0
	.end_amdhsa_kernel
	.section	.text._ZN7rocprim17ROCPRIM_400000_NS6detail17trampoline_kernelINS0_14default_configENS1_25partition_config_selectorILNS1_17partition_subalgoE8ElNS0_10empty_typeEbEEZZNS1_14partition_implILS5_8ELb0ES3_jPlPS6_PKS6_NS0_5tupleIJS9_S6_EEENSD_IJSA_SA_EEENS0_18inequality_wrapperIZN2at6native12_GLOBAL__N_124unique_dim_cuda_templateIN3c108BFloat16EEESt5tupleIJNSH_6TensorESO_SO_EERKSO_lbbbEUlllE0_EEPmJS6_EEE10hipError_tPvRmT3_T4_T5_T6_T7_T9_mT8_P12ihipStream_tbDpT10_ENKUlT_T0_E_clISt17integral_constantIbLb0EES1D_IbLb1EEEEDaS19_S1A_EUlS19_E_NS1_11comp_targetILNS1_3genE4ELNS1_11target_archE910ELNS1_3gpuE8ELNS1_3repE0EEENS1_30default_config_static_selectorELNS0_4arch9wavefront6targetE0EEEvT1_,"axG",@progbits,_ZN7rocprim17ROCPRIM_400000_NS6detail17trampoline_kernelINS0_14default_configENS1_25partition_config_selectorILNS1_17partition_subalgoE8ElNS0_10empty_typeEbEEZZNS1_14partition_implILS5_8ELb0ES3_jPlPS6_PKS6_NS0_5tupleIJS9_S6_EEENSD_IJSA_SA_EEENS0_18inequality_wrapperIZN2at6native12_GLOBAL__N_124unique_dim_cuda_templateIN3c108BFloat16EEESt5tupleIJNSH_6TensorESO_SO_EERKSO_lbbbEUlllE0_EEPmJS6_EEE10hipError_tPvRmT3_T4_T5_T6_T7_T9_mT8_P12ihipStream_tbDpT10_ENKUlT_T0_E_clISt17integral_constantIbLb0EES1D_IbLb1EEEEDaS19_S1A_EUlS19_E_NS1_11comp_targetILNS1_3genE4ELNS1_11target_archE910ELNS1_3gpuE8ELNS1_3repE0EEENS1_30default_config_static_selectorELNS0_4arch9wavefront6targetE0EEEvT1_,comdat
.Lfunc_end1200:
	.size	_ZN7rocprim17ROCPRIM_400000_NS6detail17trampoline_kernelINS0_14default_configENS1_25partition_config_selectorILNS1_17partition_subalgoE8ElNS0_10empty_typeEbEEZZNS1_14partition_implILS5_8ELb0ES3_jPlPS6_PKS6_NS0_5tupleIJS9_S6_EEENSD_IJSA_SA_EEENS0_18inequality_wrapperIZN2at6native12_GLOBAL__N_124unique_dim_cuda_templateIN3c108BFloat16EEESt5tupleIJNSH_6TensorESO_SO_EERKSO_lbbbEUlllE0_EEPmJS6_EEE10hipError_tPvRmT3_T4_T5_T6_T7_T9_mT8_P12ihipStream_tbDpT10_ENKUlT_T0_E_clISt17integral_constantIbLb0EES1D_IbLb1EEEEDaS19_S1A_EUlS19_E_NS1_11comp_targetILNS1_3genE4ELNS1_11target_archE910ELNS1_3gpuE8ELNS1_3repE0EEENS1_30default_config_static_selectorELNS0_4arch9wavefront6targetE0EEEvT1_, .Lfunc_end1200-_ZN7rocprim17ROCPRIM_400000_NS6detail17trampoline_kernelINS0_14default_configENS1_25partition_config_selectorILNS1_17partition_subalgoE8ElNS0_10empty_typeEbEEZZNS1_14partition_implILS5_8ELb0ES3_jPlPS6_PKS6_NS0_5tupleIJS9_S6_EEENSD_IJSA_SA_EEENS0_18inequality_wrapperIZN2at6native12_GLOBAL__N_124unique_dim_cuda_templateIN3c108BFloat16EEESt5tupleIJNSH_6TensorESO_SO_EERKSO_lbbbEUlllE0_EEPmJS6_EEE10hipError_tPvRmT3_T4_T5_T6_T7_T9_mT8_P12ihipStream_tbDpT10_ENKUlT_T0_E_clISt17integral_constantIbLb0EES1D_IbLb1EEEEDaS19_S1A_EUlS19_E_NS1_11comp_targetILNS1_3genE4ELNS1_11target_archE910ELNS1_3gpuE8ELNS1_3repE0EEENS1_30default_config_static_selectorELNS0_4arch9wavefront6targetE0EEEvT1_
                                        ; -- End function
	.set _ZN7rocprim17ROCPRIM_400000_NS6detail17trampoline_kernelINS0_14default_configENS1_25partition_config_selectorILNS1_17partition_subalgoE8ElNS0_10empty_typeEbEEZZNS1_14partition_implILS5_8ELb0ES3_jPlPS6_PKS6_NS0_5tupleIJS9_S6_EEENSD_IJSA_SA_EEENS0_18inequality_wrapperIZN2at6native12_GLOBAL__N_124unique_dim_cuda_templateIN3c108BFloat16EEESt5tupleIJNSH_6TensorESO_SO_EERKSO_lbbbEUlllE0_EEPmJS6_EEE10hipError_tPvRmT3_T4_T5_T6_T7_T9_mT8_P12ihipStream_tbDpT10_ENKUlT_T0_E_clISt17integral_constantIbLb0EES1D_IbLb1EEEEDaS19_S1A_EUlS19_E_NS1_11comp_targetILNS1_3genE4ELNS1_11target_archE910ELNS1_3gpuE8ELNS1_3repE0EEENS1_30default_config_static_selectorELNS0_4arch9wavefront6targetE0EEEvT1_.num_vgpr, 0
	.set _ZN7rocprim17ROCPRIM_400000_NS6detail17trampoline_kernelINS0_14default_configENS1_25partition_config_selectorILNS1_17partition_subalgoE8ElNS0_10empty_typeEbEEZZNS1_14partition_implILS5_8ELb0ES3_jPlPS6_PKS6_NS0_5tupleIJS9_S6_EEENSD_IJSA_SA_EEENS0_18inequality_wrapperIZN2at6native12_GLOBAL__N_124unique_dim_cuda_templateIN3c108BFloat16EEESt5tupleIJNSH_6TensorESO_SO_EERKSO_lbbbEUlllE0_EEPmJS6_EEE10hipError_tPvRmT3_T4_T5_T6_T7_T9_mT8_P12ihipStream_tbDpT10_ENKUlT_T0_E_clISt17integral_constantIbLb0EES1D_IbLb1EEEEDaS19_S1A_EUlS19_E_NS1_11comp_targetILNS1_3genE4ELNS1_11target_archE910ELNS1_3gpuE8ELNS1_3repE0EEENS1_30default_config_static_selectorELNS0_4arch9wavefront6targetE0EEEvT1_.num_agpr, 0
	.set _ZN7rocprim17ROCPRIM_400000_NS6detail17trampoline_kernelINS0_14default_configENS1_25partition_config_selectorILNS1_17partition_subalgoE8ElNS0_10empty_typeEbEEZZNS1_14partition_implILS5_8ELb0ES3_jPlPS6_PKS6_NS0_5tupleIJS9_S6_EEENSD_IJSA_SA_EEENS0_18inequality_wrapperIZN2at6native12_GLOBAL__N_124unique_dim_cuda_templateIN3c108BFloat16EEESt5tupleIJNSH_6TensorESO_SO_EERKSO_lbbbEUlllE0_EEPmJS6_EEE10hipError_tPvRmT3_T4_T5_T6_T7_T9_mT8_P12ihipStream_tbDpT10_ENKUlT_T0_E_clISt17integral_constantIbLb0EES1D_IbLb1EEEEDaS19_S1A_EUlS19_E_NS1_11comp_targetILNS1_3genE4ELNS1_11target_archE910ELNS1_3gpuE8ELNS1_3repE0EEENS1_30default_config_static_selectorELNS0_4arch9wavefront6targetE0EEEvT1_.numbered_sgpr, 0
	.set _ZN7rocprim17ROCPRIM_400000_NS6detail17trampoline_kernelINS0_14default_configENS1_25partition_config_selectorILNS1_17partition_subalgoE8ElNS0_10empty_typeEbEEZZNS1_14partition_implILS5_8ELb0ES3_jPlPS6_PKS6_NS0_5tupleIJS9_S6_EEENSD_IJSA_SA_EEENS0_18inequality_wrapperIZN2at6native12_GLOBAL__N_124unique_dim_cuda_templateIN3c108BFloat16EEESt5tupleIJNSH_6TensorESO_SO_EERKSO_lbbbEUlllE0_EEPmJS6_EEE10hipError_tPvRmT3_T4_T5_T6_T7_T9_mT8_P12ihipStream_tbDpT10_ENKUlT_T0_E_clISt17integral_constantIbLb0EES1D_IbLb1EEEEDaS19_S1A_EUlS19_E_NS1_11comp_targetILNS1_3genE4ELNS1_11target_archE910ELNS1_3gpuE8ELNS1_3repE0EEENS1_30default_config_static_selectorELNS0_4arch9wavefront6targetE0EEEvT1_.num_named_barrier, 0
	.set _ZN7rocprim17ROCPRIM_400000_NS6detail17trampoline_kernelINS0_14default_configENS1_25partition_config_selectorILNS1_17partition_subalgoE8ElNS0_10empty_typeEbEEZZNS1_14partition_implILS5_8ELb0ES3_jPlPS6_PKS6_NS0_5tupleIJS9_S6_EEENSD_IJSA_SA_EEENS0_18inequality_wrapperIZN2at6native12_GLOBAL__N_124unique_dim_cuda_templateIN3c108BFloat16EEESt5tupleIJNSH_6TensorESO_SO_EERKSO_lbbbEUlllE0_EEPmJS6_EEE10hipError_tPvRmT3_T4_T5_T6_T7_T9_mT8_P12ihipStream_tbDpT10_ENKUlT_T0_E_clISt17integral_constantIbLb0EES1D_IbLb1EEEEDaS19_S1A_EUlS19_E_NS1_11comp_targetILNS1_3genE4ELNS1_11target_archE910ELNS1_3gpuE8ELNS1_3repE0EEENS1_30default_config_static_selectorELNS0_4arch9wavefront6targetE0EEEvT1_.private_seg_size, 0
	.set _ZN7rocprim17ROCPRIM_400000_NS6detail17trampoline_kernelINS0_14default_configENS1_25partition_config_selectorILNS1_17partition_subalgoE8ElNS0_10empty_typeEbEEZZNS1_14partition_implILS5_8ELb0ES3_jPlPS6_PKS6_NS0_5tupleIJS9_S6_EEENSD_IJSA_SA_EEENS0_18inequality_wrapperIZN2at6native12_GLOBAL__N_124unique_dim_cuda_templateIN3c108BFloat16EEESt5tupleIJNSH_6TensorESO_SO_EERKSO_lbbbEUlllE0_EEPmJS6_EEE10hipError_tPvRmT3_T4_T5_T6_T7_T9_mT8_P12ihipStream_tbDpT10_ENKUlT_T0_E_clISt17integral_constantIbLb0EES1D_IbLb1EEEEDaS19_S1A_EUlS19_E_NS1_11comp_targetILNS1_3genE4ELNS1_11target_archE910ELNS1_3gpuE8ELNS1_3repE0EEENS1_30default_config_static_selectorELNS0_4arch9wavefront6targetE0EEEvT1_.uses_vcc, 0
	.set _ZN7rocprim17ROCPRIM_400000_NS6detail17trampoline_kernelINS0_14default_configENS1_25partition_config_selectorILNS1_17partition_subalgoE8ElNS0_10empty_typeEbEEZZNS1_14partition_implILS5_8ELb0ES3_jPlPS6_PKS6_NS0_5tupleIJS9_S6_EEENSD_IJSA_SA_EEENS0_18inequality_wrapperIZN2at6native12_GLOBAL__N_124unique_dim_cuda_templateIN3c108BFloat16EEESt5tupleIJNSH_6TensorESO_SO_EERKSO_lbbbEUlllE0_EEPmJS6_EEE10hipError_tPvRmT3_T4_T5_T6_T7_T9_mT8_P12ihipStream_tbDpT10_ENKUlT_T0_E_clISt17integral_constantIbLb0EES1D_IbLb1EEEEDaS19_S1A_EUlS19_E_NS1_11comp_targetILNS1_3genE4ELNS1_11target_archE910ELNS1_3gpuE8ELNS1_3repE0EEENS1_30default_config_static_selectorELNS0_4arch9wavefront6targetE0EEEvT1_.uses_flat_scratch, 0
	.set _ZN7rocprim17ROCPRIM_400000_NS6detail17trampoline_kernelINS0_14default_configENS1_25partition_config_selectorILNS1_17partition_subalgoE8ElNS0_10empty_typeEbEEZZNS1_14partition_implILS5_8ELb0ES3_jPlPS6_PKS6_NS0_5tupleIJS9_S6_EEENSD_IJSA_SA_EEENS0_18inequality_wrapperIZN2at6native12_GLOBAL__N_124unique_dim_cuda_templateIN3c108BFloat16EEESt5tupleIJNSH_6TensorESO_SO_EERKSO_lbbbEUlllE0_EEPmJS6_EEE10hipError_tPvRmT3_T4_T5_T6_T7_T9_mT8_P12ihipStream_tbDpT10_ENKUlT_T0_E_clISt17integral_constantIbLb0EES1D_IbLb1EEEEDaS19_S1A_EUlS19_E_NS1_11comp_targetILNS1_3genE4ELNS1_11target_archE910ELNS1_3gpuE8ELNS1_3repE0EEENS1_30default_config_static_selectorELNS0_4arch9wavefront6targetE0EEEvT1_.has_dyn_sized_stack, 0
	.set _ZN7rocprim17ROCPRIM_400000_NS6detail17trampoline_kernelINS0_14default_configENS1_25partition_config_selectorILNS1_17partition_subalgoE8ElNS0_10empty_typeEbEEZZNS1_14partition_implILS5_8ELb0ES3_jPlPS6_PKS6_NS0_5tupleIJS9_S6_EEENSD_IJSA_SA_EEENS0_18inequality_wrapperIZN2at6native12_GLOBAL__N_124unique_dim_cuda_templateIN3c108BFloat16EEESt5tupleIJNSH_6TensorESO_SO_EERKSO_lbbbEUlllE0_EEPmJS6_EEE10hipError_tPvRmT3_T4_T5_T6_T7_T9_mT8_P12ihipStream_tbDpT10_ENKUlT_T0_E_clISt17integral_constantIbLb0EES1D_IbLb1EEEEDaS19_S1A_EUlS19_E_NS1_11comp_targetILNS1_3genE4ELNS1_11target_archE910ELNS1_3gpuE8ELNS1_3repE0EEENS1_30default_config_static_selectorELNS0_4arch9wavefront6targetE0EEEvT1_.has_recursion, 0
	.set _ZN7rocprim17ROCPRIM_400000_NS6detail17trampoline_kernelINS0_14default_configENS1_25partition_config_selectorILNS1_17partition_subalgoE8ElNS0_10empty_typeEbEEZZNS1_14partition_implILS5_8ELb0ES3_jPlPS6_PKS6_NS0_5tupleIJS9_S6_EEENSD_IJSA_SA_EEENS0_18inequality_wrapperIZN2at6native12_GLOBAL__N_124unique_dim_cuda_templateIN3c108BFloat16EEESt5tupleIJNSH_6TensorESO_SO_EERKSO_lbbbEUlllE0_EEPmJS6_EEE10hipError_tPvRmT3_T4_T5_T6_T7_T9_mT8_P12ihipStream_tbDpT10_ENKUlT_T0_E_clISt17integral_constantIbLb0EES1D_IbLb1EEEEDaS19_S1A_EUlS19_E_NS1_11comp_targetILNS1_3genE4ELNS1_11target_archE910ELNS1_3gpuE8ELNS1_3repE0EEENS1_30default_config_static_selectorELNS0_4arch9wavefront6targetE0EEEvT1_.has_indirect_call, 0
	.section	.AMDGPU.csdata,"",@progbits
; Kernel info:
; codeLenInByte = 0
; TotalNumSgprs: 0
; NumVgprs: 0
; ScratchSize: 0
; MemoryBound: 0
; FloatMode: 240
; IeeeMode: 1
; LDSByteSize: 0 bytes/workgroup (compile time only)
; SGPRBlocks: 0
; VGPRBlocks: 0
; NumSGPRsForWavesPerEU: 1
; NumVGPRsForWavesPerEU: 1
; NamedBarCnt: 0
; Occupancy: 16
; WaveLimiterHint : 0
; COMPUTE_PGM_RSRC2:SCRATCH_EN: 0
; COMPUTE_PGM_RSRC2:USER_SGPR: 2
; COMPUTE_PGM_RSRC2:TRAP_HANDLER: 0
; COMPUTE_PGM_RSRC2:TGID_X_EN: 1
; COMPUTE_PGM_RSRC2:TGID_Y_EN: 0
; COMPUTE_PGM_RSRC2:TGID_Z_EN: 0
; COMPUTE_PGM_RSRC2:TIDIG_COMP_CNT: 0
	.section	.text._ZN7rocprim17ROCPRIM_400000_NS6detail17trampoline_kernelINS0_14default_configENS1_25partition_config_selectorILNS1_17partition_subalgoE8ElNS0_10empty_typeEbEEZZNS1_14partition_implILS5_8ELb0ES3_jPlPS6_PKS6_NS0_5tupleIJS9_S6_EEENSD_IJSA_SA_EEENS0_18inequality_wrapperIZN2at6native12_GLOBAL__N_124unique_dim_cuda_templateIN3c108BFloat16EEESt5tupleIJNSH_6TensorESO_SO_EERKSO_lbbbEUlllE0_EEPmJS6_EEE10hipError_tPvRmT3_T4_T5_T6_T7_T9_mT8_P12ihipStream_tbDpT10_ENKUlT_T0_E_clISt17integral_constantIbLb0EES1D_IbLb1EEEEDaS19_S1A_EUlS19_E_NS1_11comp_targetILNS1_3genE3ELNS1_11target_archE908ELNS1_3gpuE7ELNS1_3repE0EEENS1_30default_config_static_selectorELNS0_4arch9wavefront6targetE0EEEvT1_,"axG",@progbits,_ZN7rocprim17ROCPRIM_400000_NS6detail17trampoline_kernelINS0_14default_configENS1_25partition_config_selectorILNS1_17partition_subalgoE8ElNS0_10empty_typeEbEEZZNS1_14partition_implILS5_8ELb0ES3_jPlPS6_PKS6_NS0_5tupleIJS9_S6_EEENSD_IJSA_SA_EEENS0_18inequality_wrapperIZN2at6native12_GLOBAL__N_124unique_dim_cuda_templateIN3c108BFloat16EEESt5tupleIJNSH_6TensorESO_SO_EERKSO_lbbbEUlllE0_EEPmJS6_EEE10hipError_tPvRmT3_T4_T5_T6_T7_T9_mT8_P12ihipStream_tbDpT10_ENKUlT_T0_E_clISt17integral_constantIbLb0EES1D_IbLb1EEEEDaS19_S1A_EUlS19_E_NS1_11comp_targetILNS1_3genE3ELNS1_11target_archE908ELNS1_3gpuE7ELNS1_3repE0EEENS1_30default_config_static_selectorELNS0_4arch9wavefront6targetE0EEEvT1_,comdat
	.globl	_ZN7rocprim17ROCPRIM_400000_NS6detail17trampoline_kernelINS0_14default_configENS1_25partition_config_selectorILNS1_17partition_subalgoE8ElNS0_10empty_typeEbEEZZNS1_14partition_implILS5_8ELb0ES3_jPlPS6_PKS6_NS0_5tupleIJS9_S6_EEENSD_IJSA_SA_EEENS0_18inequality_wrapperIZN2at6native12_GLOBAL__N_124unique_dim_cuda_templateIN3c108BFloat16EEESt5tupleIJNSH_6TensorESO_SO_EERKSO_lbbbEUlllE0_EEPmJS6_EEE10hipError_tPvRmT3_T4_T5_T6_T7_T9_mT8_P12ihipStream_tbDpT10_ENKUlT_T0_E_clISt17integral_constantIbLb0EES1D_IbLb1EEEEDaS19_S1A_EUlS19_E_NS1_11comp_targetILNS1_3genE3ELNS1_11target_archE908ELNS1_3gpuE7ELNS1_3repE0EEENS1_30default_config_static_selectorELNS0_4arch9wavefront6targetE0EEEvT1_ ; -- Begin function _ZN7rocprim17ROCPRIM_400000_NS6detail17trampoline_kernelINS0_14default_configENS1_25partition_config_selectorILNS1_17partition_subalgoE8ElNS0_10empty_typeEbEEZZNS1_14partition_implILS5_8ELb0ES3_jPlPS6_PKS6_NS0_5tupleIJS9_S6_EEENSD_IJSA_SA_EEENS0_18inequality_wrapperIZN2at6native12_GLOBAL__N_124unique_dim_cuda_templateIN3c108BFloat16EEESt5tupleIJNSH_6TensorESO_SO_EERKSO_lbbbEUlllE0_EEPmJS6_EEE10hipError_tPvRmT3_T4_T5_T6_T7_T9_mT8_P12ihipStream_tbDpT10_ENKUlT_T0_E_clISt17integral_constantIbLb0EES1D_IbLb1EEEEDaS19_S1A_EUlS19_E_NS1_11comp_targetILNS1_3genE3ELNS1_11target_archE908ELNS1_3gpuE7ELNS1_3repE0EEENS1_30default_config_static_selectorELNS0_4arch9wavefront6targetE0EEEvT1_
	.p2align	8
	.type	_ZN7rocprim17ROCPRIM_400000_NS6detail17trampoline_kernelINS0_14default_configENS1_25partition_config_selectorILNS1_17partition_subalgoE8ElNS0_10empty_typeEbEEZZNS1_14partition_implILS5_8ELb0ES3_jPlPS6_PKS6_NS0_5tupleIJS9_S6_EEENSD_IJSA_SA_EEENS0_18inequality_wrapperIZN2at6native12_GLOBAL__N_124unique_dim_cuda_templateIN3c108BFloat16EEESt5tupleIJNSH_6TensorESO_SO_EERKSO_lbbbEUlllE0_EEPmJS6_EEE10hipError_tPvRmT3_T4_T5_T6_T7_T9_mT8_P12ihipStream_tbDpT10_ENKUlT_T0_E_clISt17integral_constantIbLb0EES1D_IbLb1EEEEDaS19_S1A_EUlS19_E_NS1_11comp_targetILNS1_3genE3ELNS1_11target_archE908ELNS1_3gpuE7ELNS1_3repE0EEENS1_30default_config_static_selectorELNS0_4arch9wavefront6targetE0EEEvT1_,@function
_ZN7rocprim17ROCPRIM_400000_NS6detail17trampoline_kernelINS0_14default_configENS1_25partition_config_selectorILNS1_17partition_subalgoE8ElNS0_10empty_typeEbEEZZNS1_14partition_implILS5_8ELb0ES3_jPlPS6_PKS6_NS0_5tupleIJS9_S6_EEENSD_IJSA_SA_EEENS0_18inequality_wrapperIZN2at6native12_GLOBAL__N_124unique_dim_cuda_templateIN3c108BFloat16EEESt5tupleIJNSH_6TensorESO_SO_EERKSO_lbbbEUlllE0_EEPmJS6_EEE10hipError_tPvRmT3_T4_T5_T6_T7_T9_mT8_P12ihipStream_tbDpT10_ENKUlT_T0_E_clISt17integral_constantIbLb0EES1D_IbLb1EEEEDaS19_S1A_EUlS19_E_NS1_11comp_targetILNS1_3genE3ELNS1_11target_archE908ELNS1_3gpuE7ELNS1_3repE0EEENS1_30default_config_static_selectorELNS0_4arch9wavefront6targetE0EEEvT1_: ; @_ZN7rocprim17ROCPRIM_400000_NS6detail17trampoline_kernelINS0_14default_configENS1_25partition_config_selectorILNS1_17partition_subalgoE8ElNS0_10empty_typeEbEEZZNS1_14partition_implILS5_8ELb0ES3_jPlPS6_PKS6_NS0_5tupleIJS9_S6_EEENSD_IJSA_SA_EEENS0_18inequality_wrapperIZN2at6native12_GLOBAL__N_124unique_dim_cuda_templateIN3c108BFloat16EEESt5tupleIJNSH_6TensorESO_SO_EERKSO_lbbbEUlllE0_EEPmJS6_EEE10hipError_tPvRmT3_T4_T5_T6_T7_T9_mT8_P12ihipStream_tbDpT10_ENKUlT_T0_E_clISt17integral_constantIbLb0EES1D_IbLb1EEEEDaS19_S1A_EUlS19_E_NS1_11comp_targetILNS1_3genE3ELNS1_11target_archE908ELNS1_3gpuE7ELNS1_3repE0EEENS1_30default_config_static_selectorELNS0_4arch9wavefront6targetE0EEEvT1_
; %bb.0:
	.section	.rodata,"a",@progbits
	.p2align	6, 0x0
	.amdhsa_kernel _ZN7rocprim17ROCPRIM_400000_NS6detail17trampoline_kernelINS0_14default_configENS1_25partition_config_selectorILNS1_17partition_subalgoE8ElNS0_10empty_typeEbEEZZNS1_14partition_implILS5_8ELb0ES3_jPlPS6_PKS6_NS0_5tupleIJS9_S6_EEENSD_IJSA_SA_EEENS0_18inequality_wrapperIZN2at6native12_GLOBAL__N_124unique_dim_cuda_templateIN3c108BFloat16EEESt5tupleIJNSH_6TensorESO_SO_EERKSO_lbbbEUlllE0_EEPmJS6_EEE10hipError_tPvRmT3_T4_T5_T6_T7_T9_mT8_P12ihipStream_tbDpT10_ENKUlT_T0_E_clISt17integral_constantIbLb0EES1D_IbLb1EEEEDaS19_S1A_EUlS19_E_NS1_11comp_targetILNS1_3genE3ELNS1_11target_archE908ELNS1_3gpuE7ELNS1_3repE0EEENS1_30default_config_static_selectorELNS0_4arch9wavefront6targetE0EEEvT1_
		.amdhsa_group_segment_fixed_size 0
		.amdhsa_private_segment_fixed_size 0
		.amdhsa_kernarg_size 136
		.amdhsa_user_sgpr_count 2
		.amdhsa_user_sgpr_dispatch_ptr 0
		.amdhsa_user_sgpr_queue_ptr 0
		.amdhsa_user_sgpr_kernarg_segment_ptr 1
		.amdhsa_user_sgpr_dispatch_id 0
		.amdhsa_user_sgpr_kernarg_preload_length 0
		.amdhsa_user_sgpr_kernarg_preload_offset 0
		.amdhsa_user_sgpr_private_segment_size 0
		.amdhsa_wavefront_size32 1
		.amdhsa_uses_dynamic_stack 0
		.amdhsa_enable_private_segment 0
		.amdhsa_system_sgpr_workgroup_id_x 1
		.amdhsa_system_sgpr_workgroup_id_y 0
		.amdhsa_system_sgpr_workgroup_id_z 0
		.amdhsa_system_sgpr_workgroup_info 0
		.amdhsa_system_vgpr_workitem_id 0
		.amdhsa_next_free_vgpr 1
		.amdhsa_next_free_sgpr 1
		.amdhsa_named_barrier_count 0
		.amdhsa_reserve_vcc 0
		.amdhsa_float_round_mode_32 0
		.amdhsa_float_round_mode_16_64 0
		.amdhsa_float_denorm_mode_32 3
		.amdhsa_float_denorm_mode_16_64 3
		.amdhsa_fp16_overflow 0
		.amdhsa_memory_ordered 1
		.amdhsa_forward_progress 1
		.amdhsa_inst_pref_size 0
		.amdhsa_round_robin_scheduling 0
		.amdhsa_exception_fp_ieee_invalid_op 0
		.amdhsa_exception_fp_denorm_src 0
		.amdhsa_exception_fp_ieee_div_zero 0
		.amdhsa_exception_fp_ieee_overflow 0
		.amdhsa_exception_fp_ieee_underflow 0
		.amdhsa_exception_fp_ieee_inexact 0
		.amdhsa_exception_int_div_zero 0
	.end_amdhsa_kernel
	.section	.text._ZN7rocprim17ROCPRIM_400000_NS6detail17trampoline_kernelINS0_14default_configENS1_25partition_config_selectorILNS1_17partition_subalgoE8ElNS0_10empty_typeEbEEZZNS1_14partition_implILS5_8ELb0ES3_jPlPS6_PKS6_NS0_5tupleIJS9_S6_EEENSD_IJSA_SA_EEENS0_18inequality_wrapperIZN2at6native12_GLOBAL__N_124unique_dim_cuda_templateIN3c108BFloat16EEESt5tupleIJNSH_6TensorESO_SO_EERKSO_lbbbEUlllE0_EEPmJS6_EEE10hipError_tPvRmT3_T4_T5_T6_T7_T9_mT8_P12ihipStream_tbDpT10_ENKUlT_T0_E_clISt17integral_constantIbLb0EES1D_IbLb1EEEEDaS19_S1A_EUlS19_E_NS1_11comp_targetILNS1_3genE3ELNS1_11target_archE908ELNS1_3gpuE7ELNS1_3repE0EEENS1_30default_config_static_selectorELNS0_4arch9wavefront6targetE0EEEvT1_,"axG",@progbits,_ZN7rocprim17ROCPRIM_400000_NS6detail17trampoline_kernelINS0_14default_configENS1_25partition_config_selectorILNS1_17partition_subalgoE8ElNS0_10empty_typeEbEEZZNS1_14partition_implILS5_8ELb0ES3_jPlPS6_PKS6_NS0_5tupleIJS9_S6_EEENSD_IJSA_SA_EEENS0_18inequality_wrapperIZN2at6native12_GLOBAL__N_124unique_dim_cuda_templateIN3c108BFloat16EEESt5tupleIJNSH_6TensorESO_SO_EERKSO_lbbbEUlllE0_EEPmJS6_EEE10hipError_tPvRmT3_T4_T5_T6_T7_T9_mT8_P12ihipStream_tbDpT10_ENKUlT_T0_E_clISt17integral_constantIbLb0EES1D_IbLb1EEEEDaS19_S1A_EUlS19_E_NS1_11comp_targetILNS1_3genE3ELNS1_11target_archE908ELNS1_3gpuE7ELNS1_3repE0EEENS1_30default_config_static_selectorELNS0_4arch9wavefront6targetE0EEEvT1_,comdat
.Lfunc_end1201:
	.size	_ZN7rocprim17ROCPRIM_400000_NS6detail17trampoline_kernelINS0_14default_configENS1_25partition_config_selectorILNS1_17partition_subalgoE8ElNS0_10empty_typeEbEEZZNS1_14partition_implILS5_8ELb0ES3_jPlPS6_PKS6_NS0_5tupleIJS9_S6_EEENSD_IJSA_SA_EEENS0_18inequality_wrapperIZN2at6native12_GLOBAL__N_124unique_dim_cuda_templateIN3c108BFloat16EEESt5tupleIJNSH_6TensorESO_SO_EERKSO_lbbbEUlllE0_EEPmJS6_EEE10hipError_tPvRmT3_T4_T5_T6_T7_T9_mT8_P12ihipStream_tbDpT10_ENKUlT_T0_E_clISt17integral_constantIbLb0EES1D_IbLb1EEEEDaS19_S1A_EUlS19_E_NS1_11comp_targetILNS1_3genE3ELNS1_11target_archE908ELNS1_3gpuE7ELNS1_3repE0EEENS1_30default_config_static_selectorELNS0_4arch9wavefront6targetE0EEEvT1_, .Lfunc_end1201-_ZN7rocprim17ROCPRIM_400000_NS6detail17trampoline_kernelINS0_14default_configENS1_25partition_config_selectorILNS1_17partition_subalgoE8ElNS0_10empty_typeEbEEZZNS1_14partition_implILS5_8ELb0ES3_jPlPS6_PKS6_NS0_5tupleIJS9_S6_EEENSD_IJSA_SA_EEENS0_18inequality_wrapperIZN2at6native12_GLOBAL__N_124unique_dim_cuda_templateIN3c108BFloat16EEESt5tupleIJNSH_6TensorESO_SO_EERKSO_lbbbEUlllE0_EEPmJS6_EEE10hipError_tPvRmT3_T4_T5_T6_T7_T9_mT8_P12ihipStream_tbDpT10_ENKUlT_T0_E_clISt17integral_constantIbLb0EES1D_IbLb1EEEEDaS19_S1A_EUlS19_E_NS1_11comp_targetILNS1_3genE3ELNS1_11target_archE908ELNS1_3gpuE7ELNS1_3repE0EEENS1_30default_config_static_selectorELNS0_4arch9wavefront6targetE0EEEvT1_
                                        ; -- End function
	.set _ZN7rocprim17ROCPRIM_400000_NS6detail17trampoline_kernelINS0_14default_configENS1_25partition_config_selectorILNS1_17partition_subalgoE8ElNS0_10empty_typeEbEEZZNS1_14partition_implILS5_8ELb0ES3_jPlPS6_PKS6_NS0_5tupleIJS9_S6_EEENSD_IJSA_SA_EEENS0_18inequality_wrapperIZN2at6native12_GLOBAL__N_124unique_dim_cuda_templateIN3c108BFloat16EEESt5tupleIJNSH_6TensorESO_SO_EERKSO_lbbbEUlllE0_EEPmJS6_EEE10hipError_tPvRmT3_T4_T5_T6_T7_T9_mT8_P12ihipStream_tbDpT10_ENKUlT_T0_E_clISt17integral_constantIbLb0EES1D_IbLb1EEEEDaS19_S1A_EUlS19_E_NS1_11comp_targetILNS1_3genE3ELNS1_11target_archE908ELNS1_3gpuE7ELNS1_3repE0EEENS1_30default_config_static_selectorELNS0_4arch9wavefront6targetE0EEEvT1_.num_vgpr, 0
	.set _ZN7rocprim17ROCPRIM_400000_NS6detail17trampoline_kernelINS0_14default_configENS1_25partition_config_selectorILNS1_17partition_subalgoE8ElNS0_10empty_typeEbEEZZNS1_14partition_implILS5_8ELb0ES3_jPlPS6_PKS6_NS0_5tupleIJS9_S6_EEENSD_IJSA_SA_EEENS0_18inequality_wrapperIZN2at6native12_GLOBAL__N_124unique_dim_cuda_templateIN3c108BFloat16EEESt5tupleIJNSH_6TensorESO_SO_EERKSO_lbbbEUlllE0_EEPmJS6_EEE10hipError_tPvRmT3_T4_T5_T6_T7_T9_mT8_P12ihipStream_tbDpT10_ENKUlT_T0_E_clISt17integral_constantIbLb0EES1D_IbLb1EEEEDaS19_S1A_EUlS19_E_NS1_11comp_targetILNS1_3genE3ELNS1_11target_archE908ELNS1_3gpuE7ELNS1_3repE0EEENS1_30default_config_static_selectorELNS0_4arch9wavefront6targetE0EEEvT1_.num_agpr, 0
	.set _ZN7rocprim17ROCPRIM_400000_NS6detail17trampoline_kernelINS0_14default_configENS1_25partition_config_selectorILNS1_17partition_subalgoE8ElNS0_10empty_typeEbEEZZNS1_14partition_implILS5_8ELb0ES3_jPlPS6_PKS6_NS0_5tupleIJS9_S6_EEENSD_IJSA_SA_EEENS0_18inequality_wrapperIZN2at6native12_GLOBAL__N_124unique_dim_cuda_templateIN3c108BFloat16EEESt5tupleIJNSH_6TensorESO_SO_EERKSO_lbbbEUlllE0_EEPmJS6_EEE10hipError_tPvRmT3_T4_T5_T6_T7_T9_mT8_P12ihipStream_tbDpT10_ENKUlT_T0_E_clISt17integral_constantIbLb0EES1D_IbLb1EEEEDaS19_S1A_EUlS19_E_NS1_11comp_targetILNS1_3genE3ELNS1_11target_archE908ELNS1_3gpuE7ELNS1_3repE0EEENS1_30default_config_static_selectorELNS0_4arch9wavefront6targetE0EEEvT1_.numbered_sgpr, 0
	.set _ZN7rocprim17ROCPRIM_400000_NS6detail17trampoline_kernelINS0_14default_configENS1_25partition_config_selectorILNS1_17partition_subalgoE8ElNS0_10empty_typeEbEEZZNS1_14partition_implILS5_8ELb0ES3_jPlPS6_PKS6_NS0_5tupleIJS9_S6_EEENSD_IJSA_SA_EEENS0_18inequality_wrapperIZN2at6native12_GLOBAL__N_124unique_dim_cuda_templateIN3c108BFloat16EEESt5tupleIJNSH_6TensorESO_SO_EERKSO_lbbbEUlllE0_EEPmJS6_EEE10hipError_tPvRmT3_T4_T5_T6_T7_T9_mT8_P12ihipStream_tbDpT10_ENKUlT_T0_E_clISt17integral_constantIbLb0EES1D_IbLb1EEEEDaS19_S1A_EUlS19_E_NS1_11comp_targetILNS1_3genE3ELNS1_11target_archE908ELNS1_3gpuE7ELNS1_3repE0EEENS1_30default_config_static_selectorELNS0_4arch9wavefront6targetE0EEEvT1_.num_named_barrier, 0
	.set _ZN7rocprim17ROCPRIM_400000_NS6detail17trampoline_kernelINS0_14default_configENS1_25partition_config_selectorILNS1_17partition_subalgoE8ElNS0_10empty_typeEbEEZZNS1_14partition_implILS5_8ELb0ES3_jPlPS6_PKS6_NS0_5tupleIJS9_S6_EEENSD_IJSA_SA_EEENS0_18inequality_wrapperIZN2at6native12_GLOBAL__N_124unique_dim_cuda_templateIN3c108BFloat16EEESt5tupleIJNSH_6TensorESO_SO_EERKSO_lbbbEUlllE0_EEPmJS6_EEE10hipError_tPvRmT3_T4_T5_T6_T7_T9_mT8_P12ihipStream_tbDpT10_ENKUlT_T0_E_clISt17integral_constantIbLb0EES1D_IbLb1EEEEDaS19_S1A_EUlS19_E_NS1_11comp_targetILNS1_3genE3ELNS1_11target_archE908ELNS1_3gpuE7ELNS1_3repE0EEENS1_30default_config_static_selectorELNS0_4arch9wavefront6targetE0EEEvT1_.private_seg_size, 0
	.set _ZN7rocprim17ROCPRIM_400000_NS6detail17trampoline_kernelINS0_14default_configENS1_25partition_config_selectorILNS1_17partition_subalgoE8ElNS0_10empty_typeEbEEZZNS1_14partition_implILS5_8ELb0ES3_jPlPS6_PKS6_NS0_5tupleIJS9_S6_EEENSD_IJSA_SA_EEENS0_18inequality_wrapperIZN2at6native12_GLOBAL__N_124unique_dim_cuda_templateIN3c108BFloat16EEESt5tupleIJNSH_6TensorESO_SO_EERKSO_lbbbEUlllE0_EEPmJS6_EEE10hipError_tPvRmT3_T4_T5_T6_T7_T9_mT8_P12ihipStream_tbDpT10_ENKUlT_T0_E_clISt17integral_constantIbLb0EES1D_IbLb1EEEEDaS19_S1A_EUlS19_E_NS1_11comp_targetILNS1_3genE3ELNS1_11target_archE908ELNS1_3gpuE7ELNS1_3repE0EEENS1_30default_config_static_selectorELNS0_4arch9wavefront6targetE0EEEvT1_.uses_vcc, 0
	.set _ZN7rocprim17ROCPRIM_400000_NS6detail17trampoline_kernelINS0_14default_configENS1_25partition_config_selectorILNS1_17partition_subalgoE8ElNS0_10empty_typeEbEEZZNS1_14partition_implILS5_8ELb0ES3_jPlPS6_PKS6_NS0_5tupleIJS9_S6_EEENSD_IJSA_SA_EEENS0_18inequality_wrapperIZN2at6native12_GLOBAL__N_124unique_dim_cuda_templateIN3c108BFloat16EEESt5tupleIJNSH_6TensorESO_SO_EERKSO_lbbbEUlllE0_EEPmJS6_EEE10hipError_tPvRmT3_T4_T5_T6_T7_T9_mT8_P12ihipStream_tbDpT10_ENKUlT_T0_E_clISt17integral_constantIbLb0EES1D_IbLb1EEEEDaS19_S1A_EUlS19_E_NS1_11comp_targetILNS1_3genE3ELNS1_11target_archE908ELNS1_3gpuE7ELNS1_3repE0EEENS1_30default_config_static_selectorELNS0_4arch9wavefront6targetE0EEEvT1_.uses_flat_scratch, 0
	.set _ZN7rocprim17ROCPRIM_400000_NS6detail17trampoline_kernelINS0_14default_configENS1_25partition_config_selectorILNS1_17partition_subalgoE8ElNS0_10empty_typeEbEEZZNS1_14partition_implILS5_8ELb0ES3_jPlPS6_PKS6_NS0_5tupleIJS9_S6_EEENSD_IJSA_SA_EEENS0_18inequality_wrapperIZN2at6native12_GLOBAL__N_124unique_dim_cuda_templateIN3c108BFloat16EEESt5tupleIJNSH_6TensorESO_SO_EERKSO_lbbbEUlllE0_EEPmJS6_EEE10hipError_tPvRmT3_T4_T5_T6_T7_T9_mT8_P12ihipStream_tbDpT10_ENKUlT_T0_E_clISt17integral_constantIbLb0EES1D_IbLb1EEEEDaS19_S1A_EUlS19_E_NS1_11comp_targetILNS1_3genE3ELNS1_11target_archE908ELNS1_3gpuE7ELNS1_3repE0EEENS1_30default_config_static_selectorELNS0_4arch9wavefront6targetE0EEEvT1_.has_dyn_sized_stack, 0
	.set _ZN7rocprim17ROCPRIM_400000_NS6detail17trampoline_kernelINS0_14default_configENS1_25partition_config_selectorILNS1_17partition_subalgoE8ElNS0_10empty_typeEbEEZZNS1_14partition_implILS5_8ELb0ES3_jPlPS6_PKS6_NS0_5tupleIJS9_S6_EEENSD_IJSA_SA_EEENS0_18inequality_wrapperIZN2at6native12_GLOBAL__N_124unique_dim_cuda_templateIN3c108BFloat16EEESt5tupleIJNSH_6TensorESO_SO_EERKSO_lbbbEUlllE0_EEPmJS6_EEE10hipError_tPvRmT3_T4_T5_T6_T7_T9_mT8_P12ihipStream_tbDpT10_ENKUlT_T0_E_clISt17integral_constantIbLb0EES1D_IbLb1EEEEDaS19_S1A_EUlS19_E_NS1_11comp_targetILNS1_3genE3ELNS1_11target_archE908ELNS1_3gpuE7ELNS1_3repE0EEENS1_30default_config_static_selectorELNS0_4arch9wavefront6targetE0EEEvT1_.has_recursion, 0
	.set _ZN7rocprim17ROCPRIM_400000_NS6detail17trampoline_kernelINS0_14default_configENS1_25partition_config_selectorILNS1_17partition_subalgoE8ElNS0_10empty_typeEbEEZZNS1_14partition_implILS5_8ELb0ES3_jPlPS6_PKS6_NS0_5tupleIJS9_S6_EEENSD_IJSA_SA_EEENS0_18inequality_wrapperIZN2at6native12_GLOBAL__N_124unique_dim_cuda_templateIN3c108BFloat16EEESt5tupleIJNSH_6TensorESO_SO_EERKSO_lbbbEUlllE0_EEPmJS6_EEE10hipError_tPvRmT3_T4_T5_T6_T7_T9_mT8_P12ihipStream_tbDpT10_ENKUlT_T0_E_clISt17integral_constantIbLb0EES1D_IbLb1EEEEDaS19_S1A_EUlS19_E_NS1_11comp_targetILNS1_3genE3ELNS1_11target_archE908ELNS1_3gpuE7ELNS1_3repE0EEENS1_30default_config_static_selectorELNS0_4arch9wavefront6targetE0EEEvT1_.has_indirect_call, 0
	.section	.AMDGPU.csdata,"",@progbits
; Kernel info:
; codeLenInByte = 0
; TotalNumSgprs: 0
; NumVgprs: 0
; ScratchSize: 0
; MemoryBound: 0
; FloatMode: 240
; IeeeMode: 1
; LDSByteSize: 0 bytes/workgroup (compile time only)
; SGPRBlocks: 0
; VGPRBlocks: 0
; NumSGPRsForWavesPerEU: 1
; NumVGPRsForWavesPerEU: 1
; NamedBarCnt: 0
; Occupancy: 16
; WaveLimiterHint : 0
; COMPUTE_PGM_RSRC2:SCRATCH_EN: 0
; COMPUTE_PGM_RSRC2:USER_SGPR: 2
; COMPUTE_PGM_RSRC2:TRAP_HANDLER: 0
; COMPUTE_PGM_RSRC2:TGID_X_EN: 1
; COMPUTE_PGM_RSRC2:TGID_Y_EN: 0
; COMPUTE_PGM_RSRC2:TGID_Z_EN: 0
; COMPUTE_PGM_RSRC2:TIDIG_COMP_CNT: 0
	.section	.text._ZN7rocprim17ROCPRIM_400000_NS6detail17trampoline_kernelINS0_14default_configENS1_25partition_config_selectorILNS1_17partition_subalgoE8ElNS0_10empty_typeEbEEZZNS1_14partition_implILS5_8ELb0ES3_jPlPS6_PKS6_NS0_5tupleIJS9_S6_EEENSD_IJSA_SA_EEENS0_18inequality_wrapperIZN2at6native12_GLOBAL__N_124unique_dim_cuda_templateIN3c108BFloat16EEESt5tupleIJNSH_6TensorESO_SO_EERKSO_lbbbEUlllE0_EEPmJS6_EEE10hipError_tPvRmT3_T4_T5_T6_T7_T9_mT8_P12ihipStream_tbDpT10_ENKUlT_T0_E_clISt17integral_constantIbLb0EES1D_IbLb1EEEEDaS19_S1A_EUlS19_E_NS1_11comp_targetILNS1_3genE2ELNS1_11target_archE906ELNS1_3gpuE6ELNS1_3repE0EEENS1_30default_config_static_selectorELNS0_4arch9wavefront6targetE0EEEvT1_,"axG",@progbits,_ZN7rocprim17ROCPRIM_400000_NS6detail17trampoline_kernelINS0_14default_configENS1_25partition_config_selectorILNS1_17partition_subalgoE8ElNS0_10empty_typeEbEEZZNS1_14partition_implILS5_8ELb0ES3_jPlPS6_PKS6_NS0_5tupleIJS9_S6_EEENSD_IJSA_SA_EEENS0_18inequality_wrapperIZN2at6native12_GLOBAL__N_124unique_dim_cuda_templateIN3c108BFloat16EEESt5tupleIJNSH_6TensorESO_SO_EERKSO_lbbbEUlllE0_EEPmJS6_EEE10hipError_tPvRmT3_T4_T5_T6_T7_T9_mT8_P12ihipStream_tbDpT10_ENKUlT_T0_E_clISt17integral_constantIbLb0EES1D_IbLb1EEEEDaS19_S1A_EUlS19_E_NS1_11comp_targetILNS1_3genE2ELNS1_11target_archE906ELNS1_3gpuE6ELNS1_3repE0EEENS1_30default_config_static_selectorELNS0_4arch9wavefront6targetE0EEEvT1_,comdat
	.globl	_ZN7rocprim17ROCPRIM_400000_NS6detail17trampoline_kernelINS0_14default_configENS1_25partition_config_selectorILNS1_17partition_subalgoE8ElNS0_10empty_typeEbEEZZNS1_14partition_implILS5_8ELb0ES3_jPlPS6_PKS6_NS0_5tupleIJS9_S6_EEENSD_IJSA_SA_EEENS0_18inequality_wrapperIZN2at6native12_GLOBAL__N_124unique_dim_cuda_templateIN3c108BFloat16EEESt5tupleIJNSH_6TensorESO_SO_EERKSO_lbbbEUlllE0_EEPmJS6_EEE10hipError_tPvRmT3_T4_T5_T6_T7_T9_mT8_P12ihipStream_tbDpT10_ENKUlT_T0_E_clISt17integral_constantIbLb0EES1D_IbLb1EEEEDaS19_S1A_EUlS19_E_NS1_11comp_targetILNS1_3genE2ELNS1_11target_archE906ELNS1_3gpuE6ELNS1_3repE0EEENS1_30default_config_static_selectorELNS0_4arch9wavefront6targetE0EEEvT1_ ; -- Begin function _ZN7rocprim17ROCPRIM_400000_NS6detail17trampoline_kernelINS0_14default_configENS1_25partition_config_selectorILNS1_17partition_subalgoE8ElNS0_10empty_typeEbEEZZNS1_14partition_implILS5_8ELb0ES3_jPlPS6_PKS6_NS0_5tupleIJS9_S6_EEENSD_IJSA_SA_EEENS0_18inequality_wrapperIZN2at6native12_GLOBAL__N_124unique_dim_cuda_templateIN3c108BFloat16EEESt5tupleIJNSH_6TensorESO_SO_EERKSO_lbbbEUlllE0_EEPmJS6_EEE10hipError_tPvRmT3_T4_T5_T6_T7_T9_mT8_P12ihipStream_tbDpT10_ENKUlT_T0_E_clISt17integral_constantIbLb0EES1D_IbLb1EEEEDaS19_S1A_EUlS19_E_NS1_11comp_targetILNS1_3genE2ELNS1_11target_archE906ELNS1_3gpuE6ELNS1_3repE0EEENS1_30default_config_static_selectorELNS0_4arch9wavefront6targetE0EEEvT1_
	.p2align	8
	.type	_ZN7rocprim17ROCPRIM_400000_NS6detail17trampoline_kernelINS0_14default_configENS1_25partition_config_selectorILNS1_17partition_subalgoE8ElNS0_10empty_typeEbEEZZNS1_14partition_implILS5_8ELb0ES3_jPlPS6_PKS6_NS0_5tupleIJS9_S6_EEENSD_IJSA_SA_EEENS0_18inequality_wrapperIZN2at6native12_GLOBAL__N_124unique_dim_cuda_templateIN3c108BFloat16EEESt5tupleIJNSH_6TensorESO_SO_EERKSO_lbbbEUlllE0_EEPmJS6_EEE10hipError_tPvRmT3_T4_T5_T6_T7_T9_mT8_P12ihipStream_tbDpT10_ENKUlT_T0_E_clISt17integral_constantIbLb0EES1D_IbLb1EEEEDaS19_S1A_EUlS19_E_NS1_11comp_targetILNS1_3genE2ELNS1_11target_archE906ELNS1_3gpuE6ELNS1_3repE0EEENS1_30default_config_static_selectorELNS0_4arch9wavefront6targetE0EEEvT1_,@function
_ZN7rocprim17ROCPRIM_400000_NS6detail17trampoline_kernelINS0_14default_configENS1_25partition_config_selectorILNS1_17partition_subalgoE8ElNS0_10empty_typeEbEEZZNS1_14partition_implILS5_8ELb0ES3_jPlPS6_PKS6_NS0_5tupleIJS9_S6_EEENSD_IJSA_SA_EEENS0_18inequality_wrapperIZN2at6native12_GLOBAL__N_124unique_dim_cuda_templateIN3c108BFloat16EEESt5tupleIJNSH_6TensorESO_SO_EERKSO_lbbbEUlllE0_EEPmJS6_EEE10hipError_tPvRmT3_T4_T5_T6_T7_T9_mT8_P12ihipStream_tbDpT10_ENKUlT_T0_E_clISt17integral_constantIbLb0EES1D_IbLb1EEEEDaS19_S1A_EUlS19_E_NS1_11comp_targetILNS1_3genE2ELNS1_11target_archE906ELNS1_3gpuE6ELNS1_3repE0EEENS1_30default_config_static_selectorELNS0_4arch9wavefront6targetE0EEEvT1_: ; @_ZN7rocprim17ROCPRIM_400000_NS6detail17trampoline_kernelINS0_14default_configENS1_25partition_config_selectorILNS1_17partition_subalgoE8ElNS0_10empty_typeEbEEZZNS1_14partition_implILS5_8ELb0ES3_jPlPS6_PKS6_NS0_5tupleIJS9_S6_EEENSD_IJSA_SA_EEENS0_18inequality_wrapperIZN2at6native12_GLOBAL__N_124unique_dim_cuda_templateIN3c108BFloat16EEESt5tupleIJNSH_6TensorESO_SO_EERKSO_lbbbEUlllE0_EEPmJS6_EEE10hipError_tPvRmT3_T4_T5_T6_T7_T9_mT8_P12ihipStream_tbDpT10_ENKUlT_T0_E_clISt17integral_constantIbLb0EES1D_IbLb1EEEEDaS19_S1A_EUlS19_E_NS1_11comp_targetILNS1_3genE2ELNS1_11target_archE906ELNS1_3gpuE6ELNS1_3repE0EEENS1_30default_config_static_selectorELNS0_4arch9wavefront6targetE0EEEvT1_
; %bb.0:
	.section	.rodata,"a",@progbits
	.p2align	6, 0x0
	.amdhsa_kernel _ZN7rocprim17ROCPRIM_400000_NS6detail17trampoline_kernelINS0_14default_configENS1_25partition_config_selectorILNS1_17partition_subalgoE8ElNS0_10empty_typeEbEEZZNS1_14partition_implILS5_8ELb0ES3_jPlPS6_PKS6_NS0_5tupleIJS9_S6_EEENSD_IJSA_SA_EEENS0_18inequality_wrapperIZN2at6native12_GLOBAL__N_124unique_dim_cuda_templateIN3c108BFloat16EEESt5tupleIJNSH_6TensorESO_SO_EERKSO_lbbbEUlllE0_EEPmJS6_EEE10hipError_tPvRmT3_T4_T5_T6_T7_T9_mT8_P12ihipStream_tbDpT10_ENKUlT_T0_E_clISt17integral_constantIbLb0EES1D_IbLb1EEEEDaS19_S1A_EUlS19_E_NS1_11comp_targetILNS1_3genE2ELNS1_11target_archE906ELNS1_3gpuE6ELNS1_3repE0EEENS1_30default_config_static_selectorELNS0_4arch9wavefront6targetE0EEEvT1_
		.amdhsa_group_segment_fixed_size 0
		.amdhsa_private_segment_fixed_size 0
		.amdhsa_kernarg_size 136
		.amdhsa_user_sgpr_count 2
		.amdhsa_user_sgpr_dispatch_ptr 0
		.amdhsa_user_sgpr_queue_ptr 0
		.amdhsa_user_sgpr_kernarg_segment_ptr 1
		.amdhsa_user_sgpr_dispatch_id 0
		.amdhsa_user_sgpr_kernarg_preload_length 0
		.amdhsa_user_sgpr_kernarg_preload_offset 0
		.amdhsa_user_sgpr_private_segment_size 0
		.amdhsa_wavefront_size32 1
		.amdhsa_uses_dynamic_stack 0
		.amdhsa_enable_private_segment 0
		.amdhsa_system_sgpr_workgroup_id_x 1
		.amdhsa_system_sgpr_workgroup_id_y 0
		.amdhsa_system_sgpr_workgroup_id_z 0
		.amdhsa_system_sgpr_workgroup_info 0
		.amdhsa_system_vgpr_workitem_id 0
		.amdhsa_next_free_vgpr 1
		.amdhsa_next_free_sgpr 1
		.amdhsa_named_barrier_count 0
		.amdhsa_reserve_vcc 0
		.amdhsa_float_round_mode_32 0
		.amdhsa_float_round_mode_16_64 0
		.amdhsa_float_denorm_mode_32 3
		.amdhsa_float_denorm_mode_16_64 3
		.amdhsa_fp16_overflow 0
		.amdhsa_memory_ordered 1
		.amdhsa_forward_progress 1
		.amdhsa_inst_pref_size 0
		.amdhsa_round_robin_scheduling 0
		.amdhsa_exception_fp_ieee_invalid_op 0
		.amdhsa_exception_fp_denorm_src 0
		.amdhsa_exception_fp_ieee_div_zero 0
		.amdhsa_exception_fp_ieee_overflow 0
		.amdhsa_exception_fp_ieee_underflow 0
		.amdhsa_exception_fp_ieee_inexact 0
		.amdhsa_exception_int_div_zero 0
	.end_amdhsa_kernel
	.section	.text._ZN7rocprim17ROCPRIM_400000_NS6detail17trampoline_kernelINS0_14default_configENS1_25partition_config_selectorILNS1_17partition_subalgoE8ElNS0_10empty_typeEbEEZZNS1_14partition_implILS5_8ELb0ES3_jPlPS6_PKS6_NS0_5tupleIJS9_S6_EEENSD_IJSA_SA_EEENS0_18inequality_wrapperIZN2at6native12_GLOBAL__N_124unique_dim_cuda_templateIN3c108BFloat16EEESt5tupleIJNSH_6TensorESO_SO_EERKSO_lbbbEUlllE0_EEPmJS6_EEE10hipError_tPvRmT3_T4_T5_T6_T7_T9_mT8_P12ihipStream_tbDpT10_ENKUlT_T0_E_clISt17integral_constantIbLb0EES1D_IbLb1EEEEDaS19_S1A_EUlS19_E_NS1_11comp_targetILNS1_3genE2ELNS1_11target_archE906ELNS1_3gpuE6ELNS1_3repE0EEENS1_30default_config_static_selectorELNS0_4arch9wavefront6targetE0EEEvT1_,"axG",@progbits,_ZN7rocprim17ROCPRIM_400000_NS6detail17trampoline_kernelINS0_14default_configENS1_25partition_config_selectorILNS1_17partition_subalgoE8ElNS0_10empty_typeEbEEZZNS1_14partition_implILS5_8ELb0ES3_jPlPS6_PKS6_NS0_5tupleIJS9_S6_EEENSD_IJSA_SA_EEENS0_18inequality_wrapperIZN2at6native12_GLOBAL__N_124unique_dim_cuda_templateIN3c108BFloat16EEESt5tupleIJNSH_6TensorESO_SO_EERKSO_lbbbEUlllE0_EEPmJS6_EEE10hipError_tPvRmT3_T4_T5_T6_T7_T9_mT8_P12ihipStream_tbDpT10_ENKUlT_T0_E_clISt17integral_constantIbLb0EES1D_IbLb1EEEEDaS19_S1A_EUlS19_E_NS1_11comp_targetILNS1_3genE2ELNS1_11target_archE906ELNS1_3gpuE6ELNS1_3repE0EEENS1_30default_config_static_selectorELNS0_4arch9wavefront6targetE0EEEvT1_,comdat
.Lfunc_end1202:
	.size	_ZN7rocprim17ROCPRIM_400000_NS6detail17trampoline_kernelINS0_14default_configENS1_25partition_config_selectorILNS1_17partition_subalgoE8ElNS0_10empty_typeEbEEZZNS1_14partition_implILS5_8ELb0ES3_jPlPS6_PKS6_NS0_5tupleIJS9_S6_EEENSD_IJSA_SA_EEENS0_18inequality_wrapperIZN2at6native12_GLOBAL__N_124unique_dim_cuda_templateIN3c108BFloat16EEESt5tupleIJNSH_6TensorESO_SO_EERKSO_lbbbEUlllE0_EEPmJS6_EEE10hipError_tPvRmT3_T4_T5_T6_T7_T9_mT8_P12ihipStream_tbDpT10_ENKUlT_T0_E_clISt17integral_constantIbLb0EES1D_IbLb1EEEEDaS19_S1A_EUlS19_E_NS1_11comp_targetILNS1_3genE2ELNS1_11target_archE906ELNS1_3gpuE6ELNS1_3repE0EEENS1_30default_config_static_selectorELNS0_4arch9wavefront6targetE0EEEvT1_, .Lfunc_end1202-_ZN7rocprim17ROCPRIM_400000_NS6detail17trampoline_kernelINS0_14default_configENS1_25partition_config_selectorILNS1_17partition_subalgoE8ElNS0_10empty_typeEbEEZZNS1_14partition_implILS5_8ELb0ES3_jPlPS6_PKS6_NS0_5tupleIJS9_S6_EEENSD_IJSA_SA_EEENS0_18inequality_wrapperIZN2at6native12_GLOBAL__N_124unique_dim_cuda_templateIN3c108BFloat16EEESt5tupleIJNSH_6TensorESO_SO_EERKSO_lbbbEUlllE0_EEPmJS6_EEE10hipError_tPvRmT3_T4_T5_T6_T7_T9_mT8_P12ihipStream_tbDpT10_ENKUlT_T0_E_clISt17integral_constantIbLb0EES1D_IbLb1EEEEDaS19_S1A_EUlS19_E_NS1_11comp_targetILNS1_3genE2ELNS1_11target_archE906ELNS1_3gpuE6ELNS1_3repE0EEENS1_30default_config_static_selectorELNS0_4arch9wavefront6targetE0EEEvT1_
                                        ; -- End function
	.set _ZN7rocprim17ROCPRIM_400000_NS6detail17trampoline_kernelINS0_14default_configENS1_25partition_config_selectorILNS1_17partition_subalgoE8ElNS0_10empty_typeEbEEZZNS1_14partition_implILS5_8ELb0ES3_jPlPS6_PKS6_NS0_5tupleIJS9_S6_EEENSD_IJSA_SA_EEENS0_18inequality_wrapperIZN2at6native12_GLOBAL__N_124unique_dim_cuda_templateIN3c108BFloat16EEESt5tupleIJNSH_6TensorESO_SO_EERKSO_lbbbEUlllE0_EEPmJS6_EEE10hipError_tPvRmT3_T4_T5_T6_T7_T9_mT8_P12ihipStream_tbDpT10_ENKUlT_T0_E_clISt17integral_constantIbLb0EES1D_IbLb1EEEEDaS19_S1A_EUlS19_E_NS1_11comp_targetILNS1_3genE2ELNS1_11target_archE906ELNS1_3gpuE6ELNS1_3repE0EEENS1_30default_config_static_selectorELNS0_4arch9wavefront6targetE0EEEvT1_.num_vgpr, 0
	.set _ZN7rocprim17ROCPRIM_400000_NS6detail17trampoline_kernelINS0_14default_configENS1_25partition_config_selectorILNS1_17partition_subalgoE8ElNS0_10empty_typeEbEEZZNS1_14partition_implILS5_8ELb0ES3_jPlPS6_PKS6_NS0_5tupleIJS9_S6_EEENSD_IJSA_SA_EEENS0_18inequality_wrapperIZN2at6native12_GLOBAL__N_124unique_dim_cuda_templateIN3c108BFloat16EEESt5tupleIJNSH_6TensorESO_SO_EERKSO_lbbbEUlllE0_EEPmJS6_EEE10hipError_tPvRmT3_T4_T5_T6_T7_T9_mT8_P12ihipStream_tbDpT10_ENKUlT_T0_E_clISt17integral_constantIbLb0EES1D_IbLb1EEEEDaS19_S1A_EUlS19_E_NS1_11comp_targetILNS1_3genE2ELNS1_11target_archE906ELNS1_3gpuE6ELNS1_3repE0EEENS1_30default_config_static_selectorELNS0_4arch9wavefront6targetE0EEEvT1_.num_agpr, 0
	.set _ZN7rocprim17ROCPRIM_400000_NS6detail17trampoline_kernelINS0_14default_configENS1_25partition_config_selectorILNS1_17partition_subalgoE8ElNS0_10empty_typeEbEEZZNS1_14partition_implILS5_8ELb0ES3_jPlPS6_PKS6_NS0_5tupleIJS9_S6_EEENSD_IJSA_SA_EEENS0_18inequality_wrapperIZN2at6native12_GLOBAL__N_124unique_dim_cuda_templateIN3c108BFloat16EEESt5tupleIJNSH_6TensorESO_SO_EERKSO_lbbbEUlllE0_EEPmJS6_EEE10hipError_tPvRmT3_T4_T5_T6_T7_T9_mT8_P12ihipStream_tbDpT10_ENKUlT_T0_E_clISt17integral_constantIbLb0EES1D_IbLb1EEEEDaS19_S1A_EUlS19_E_NS1_11comp_targetILNS1_3genE2ELNS1_11target_archE906ELNS1_3gpuE6ELNS1_3repE0EEENS1_30default_config_static_selectorELNS0_4arch9wavefront6targetE0EEEvT1_.numbered_sgpr, 0
	.set _ZN7rocprim17ROCPRIM_400000_NS6detail17trampoline_kernelINS0_14default_configENS1_25partition_config_selectorILNS1_17partition_subalgoE8ElNS0_10empty_typeEbEEZZNS1_14partition_implILS5_8ELb0ES3_jPlPS6_PKS6_NS0_5tupleIJS9_S6_EEENSD_IJSA_SA_EEENS0_18inequality_wrapperIZN2at6native12_GLOBAL__N_124unique_dim_cuda_templateIN3c108BFloat16EEESt5tupleIJNSH_6TensorESO_SO_EERKSO_lbbbEUlllE0_EEPmJS6_EEE10hipError_tPvRmT3_T4_T5_T6_T7_T9_mT8_P12ihipStream_tbDpT10_ENKUlT_T0_E_clISt17integral_constantIbLb0EES1D_IbLb1EEEEDaS19_S1A_EUlS19_E_NS1_11comp_targetILNS1_3genE2ELNS1_11target_archE906ELNS1_3gpuE6ELNS1_3repE0EEENS1_30default_config_static_selectorELNS0_4arch9wavefront6targetE0EEEvT1_.num_named_barrier, 0
	.set _ZN7rocprim17ROCPRIM_400000_NS6detail17trampoline_kernelINS0_14default_configENS1_25partition_config_selectorILNS1_17partition_subalgoE8ElNS0_10empty_typeEbEEZZNS1_14partition_implILS5_8ELb0ES3_jPlPS6_PKS6_NS0_5tupleIJS9_S6_EEENSD_IJSA_SA_EEENS0_18inequality_wrapperIZN2at6native12_GLOBAL__N_124unique_dim_cuda_templateIN3c108BFloat16EEESt5tupleIJNSH_6TensorESO_SO_EERKSO_lbbbEUlllE0_EEPmJS6_EEE10hipError_tPvRmT3_T4_T5_T6_T7_T9_mT8_P12ihipStream_tbDpT10_ENKUlT_T0_E_clISt17integral_constantIbLb0EES1D_IbLb1EEEEDaS19_S1A_EUlS19_E_NS1_11comp_targetILNS1_3genE2ELNS1_11target_archE906ELNS1_3gpuE6ELNS1_3repE0EEENS1_30default_config_static_selectorELNS0_4arch9wavefront6targetE0EEEvT1_.private_seg_size, 0
	.set _ZN7rocprim17ROCPRIM_400000_NS6detail17trampoline_kernelINS0_14default_configENS1_25partition_config_selectorILNS1_17partition_subalgoE8ElNS0_10empty_typeEbEEZZNS1_14partition_implILS5_8ELb0ES3_jPlPS6_PKS6_NS0_5tupleIJS9_S6_EEENSD_IJSA_SA_EEENS0_18inequality_wrapperIZN2at6native12_GLOBAL__N_124unique_dim_cuda_templateIN3c108BFloat16EEESt5tupleIJNSH_6TensorESO_SO_EERKSO_lbbbEUlllE0_EEPmJS6_EEE10hipError_tPvRmT3_T4_T5_T6_T7_T9_mT8_P12ihipStream_tbDpT10_ENKUlT_T0_E_clISt17integral_constantIbLb0EES1D_IbLb1EEEEDaS19_S1A_EUlS19_E_NS1_11comp_targetILNS1_3genE2ELNS1_11target_archE906ELNS1_3gpuE6ELNS1_3repE0EEENS1_30default_config_static_selectorELNS0_4arch9wavefront6targetE0EEEvT1_.uses_vcc, 0
	.set _ZN7rocprim17ROCPRIM_400000_NS6detail17trampoline_kernelINS0_14default_configENS1_25partition_config_selectorILNS1_17partition_subalgoE8ElNS0_10empty_typeEbEEZZNS1_14partition_implILS5_8ELb0ES3_jPlPS6_PKS6_NS0_5tupleIJS9_S6_EEENSD_IJSA_SA_EEENS0_18inequality_wrapperIZN2at6native12_GLOBAL__N_124unique_dim_cuda_templateIN3c108BFloat16EEESt5tupleIJNSH_6TensorESO_SO_EERKSO_lbbbEUlllE0_EEPmJS6_EEE10hipError_tPvRmT3_T4_T5_T6_T7_T9_mT8_P12ihipStream_tbDpT10_ENKUlT_T0_E_clISt17integral_constantIbLb0EES1D_IbLb1EEEEDaS19_S1A_EUlS19_E_NS1_11comp_targetILNS1_3genE2ELNS1_11target_archE906ELNS1_3gpuE6ELNS1_3repE0EEENS1_30default_config_static_selectorELNS0_4arch9wavefront6targetE0EEEvT1_.uses_flat_scratch, 0
	.set _ZN7rocprim17ROCPRIM_400000_NS6detail17trampoline_kernelINS0_14default_configENS1_25partition_config_selectorILNS1_17partition_subalgoE8ElNS0_10empty_typeEbEEZZNS1_14partition_implILS5_8ELb0ES3_jPlPS6_PKS6_NS0_5tupleIJS9_S6_EEENSD_IJSA_SA_EEENS0_18inequality_wrapperIZN2at6native12_GLOBAL__N_124unique_dim_cuda_templateIN3c108BFloat16EEESt5tupleIJNSH_6TensorESO_SO_EERKSO_lbbbEUlllE0_EEPmJS6_EEE10hipError_tPvRmT3_T4_T5_T6_T7_T9_mT8_P12ihipStream_tbDpT10_ENKUlT_T0_E_clISt17integral_constantIbLb0EES1D_IbLb1EEEEDaS19_S1A_EUlS19_E_NS1_11comp_targetILNS1_3genE2ELNS1_11target_archE906ELNS1_3gpuE6ELNS1_3repE0EEENS1_30default_config_static_selectorELNS0_4arch9wavefront6targetE0EEEvT1_.has_dyn_sized_stack, 0
	.set _ZN7rocprim17ROCPRIM_400000_NS6detail17trampoline_kernelINS0_14default_configENS1_25partition_config_selectorILNS1_17partition_subalgoE8ElNS0_10empty_typeEbEEZZNS1_14partition_implILS5_8ELb0ES3_jPlPS6_PKS6_NS0_5tupleIJS9_S6_EEENSD_IJSA_SA_EEENS0_18inequality_wrapperIZN2at6native12_GLOBAL__N_124unique_dim_cuda_templateIN3c108BFloat16EEESt5tupleIJNSH_6TensorESO_SO_EERKSO_lbbbEUlllE0_EEPmJS6_EEE10hipError_tPvRmT3_T4_T5_T6_T7_T9_mT8_P12ihipStream_tbDpT10_ENKUlT_T0_E_clISt17integral_constantIbLb0EES1D_IbLb1EEEEDaS19_S1A_EUlS19_E_NS1_11comp_targetILNS1_3genE2ELNS1_11target_archE906ELNS1_3gpuE6ELNS1_3repE0EEENS1_30default_config_static_selectorELNS0_4arch9wavefront6targetE0EEEvT1_.has_recursion, 0
	.set _ZN7rocprim17ROCPRIM_400000_NS6detail17trampoline_kernelINS0_14default_configENS1_25partition_config_selectorILNS1_17partition_subalgoE8ElNS0_10empty_typeEbEEZZNS1_14partition_implILS5_8ELb0ES3_jPlPS6_PKS6_NS0_5tupleIJS9_S6_EEENSD_IJSA_SA_EEENS0_18inequality_wrapperIZN2at6native12_GLOBAL__N_124unique_dim_cuda_templateIN3c108BFloat16EEESt5tupleIJNSH_6TensorESO_SO_EERKSO_lbbbEUlllE0_EEPmJS6_EEE10hipError_tPvRmT3_T4_T5_T6_T7_T9_mT8_P12ihipStream_tbDpT10_ENKUlT_T0_E_clISt17integral_constantIbLb0EES1D_IbLb1EEEEDaS19_S1A_EUlS19_E_NS1_11comp_targetILNS1_3genE2ELNS1_11target_archE906ELNS1_3gpuE6ELNS1_3repE0EEENS1_30default_config_static_selectorELNS0_4arch9wavefront6targetE0EEEvT1_.has_indirect_call, 0
	.section	.AMDGPU.csdata,"",@progbits
; Kernel info:
; codeLenInByte = 0
; TotalNumSgprs: 0
; NumVgprs: 0
; ScratchSize: 0
; MemoryBound: 0
; FloatMode: 240
; IeeeMode: 1
; LDSByteSize: 0 bytes/workgroup (compile time only)
; SGPRBlocks: 0
; VGPRBlocks: 0
; NumSGPRsForWavesPerEU: 1
; NumVGPRsForWavesPerEU: 1
; NamedBarCnt: 0
; Occupancy: 16
; WaveLimiterHint : 0
; COMPUTE_PGM_RSRC2:SCRATCH_EN: 0
; COMPUTE_PGM_RSRC2:USER_SGPR: 2
; COMPUTE_PGM_RSRC2:TRAP_HANDLER: 0
; COMPUTE_PGM_RSRC2:TGID_X_EN: 1
; COMPUTE_PGM_RSRC2:TGID_Y_EN: 0
; COMPUTE_PGM_RSRC2:TGID_Z_EN: 0
; COMPUTE_PGM_RSRC2:TIDIG_COMP_CNT: 0
	.section	.text._ZN7rocprim17ROCPRIM_400000_NS6detail17trampoline_kernelINS0_14default_configENS1_25partition_config_selectorILNS1_17partition_subalgoE8ElNS0_10empty_typeEbEEZZNS1_14partition_implILS5_8ELb0ES3_jPlPS6_PKS6_NS0_5tupleIJS9_S6_EEENSD_IJSA_SA_EEENS0_18inequality_wrapperIZN2at6native12_GLOBAL__N_124unique_dim_cuda_templateIN3c108BFloat16EEESt5tupleIJNSH_6TensorESO_SO_EERKSO_lbbbEUlllE0_EEPmJS6_EEE10hipError_tPvRmT3_T4_T5_T6_T7_T9_mT8_P12ihipStream_tbDpT10_ENKUlT_T0_E_clISt17integral_constantIbLb0EES1D_IbLb1EEEEDaS19_S1A_EUlS19_E_NS1_11comp_targetILNS1_3genE10ELNS1_11target_archE1200ELNS1_3gpuE4ELNS1_3repE0EEENS1_30default_config_static_selectorELNS0_4arch9wavefront6targetE0EEEvT1_,"axG",@progbits,_ZN7rocprim17ROCPRIM_400000_NS6detail17trampoline_kernelINS0_14default_configENS1_25partition_config_selectorILNS1_17partition_subalgoE8ElNS0_10empty_typeEbEEZZNS1_14partition_implILS5_8ELb0ES3_jPlPS6_PKS6_NS0_5tupleIJS9_S6_EEENSD_IJSA_SA_EEENS0_18inequality_wrapperIZN2at6native12_GLOBAL__N_124unique_dim_cuda_templateIN3c108BFloat16EEESt5tupleIJNSH_6TensorESO_SO_EERKSO_lbbbEUlllE0_EEPmJS6_EEE10hipError_tPvRmT3_T4_T5_T6_T7_T9_mT8_P12ihipStream_tbDpT10_ENKUlT_T0_E_clISt17integral_constantIbLb0EES1D_IbLb1EEEEDaS19_S1A_EUlS19_E_NS1_11comp_targetILNS1_3genE10ELNS1_11target_archE1200ELNS1_3gpuE4ELNS1_3repE0EEENS1_30default_config_static_selectorELNS0_4arch9wavefront6targetE0EEEvT1_,comdat
	.globl	_ZN7rocprim17ROCPRIM_400000_NS6detail17trampoline_kernelINS0_14default_configENS1_25partition_config_selectorILNS1_17partition_subalgoE8ElNS0_10empty_typeEbEEZZNS1_14partition_implILS5_8ELb0ES3_jPlPS6_PKS6_NS0_5tupleIJS9_S6_EEENSD_IJSA_SA_EEENS0_18inequality_wrapperIZN2at6native12_GLOBAL__N_124unique_dim_cuda_templateIN3c108BFloat16EEESt5tupleIJNSH_6TensorESO_SO_EERKSO_lbbbEUlllE0_EEPmJS6_EEE10hipError_tPvRmT3_T4_T5_T6_T7_T9_mT8_P12ihipStream_tbDpT10_ENKUlT_T0_E_clISt17integral_constantIbLb0EES1D_IbLb1EEEEDaS19_S1A_EUlS19_E_NS1_11comp_targetILNS1_3genE10ELNS1_11target_archE1200ELNS1_3gpuE4ELNS1_3repE0EEENS1_30default_config_static_selectorELNS0_4arch9wavefront6targetE0EEEvT1_ ; -- Begin function _ZN7rocprim17ROCPRIM_400000_NS6detail17trampoline_kernelINS0_14default_configENS1_25partition_config_selectorILNS1_17partition_subalgoE8ElNS0_10empty_typeEbEEZZNS1_14partition_implILS5_8ELb0ES3_jPlPS6_PKS6_NS0_5tupleIJS9_S6_EEENSD_IJSA_SA_EEENS0_18inequality_wrapperIZN2at6native12_GLOBAL__N_124unique_dim_cuda_templateIN3c108BFloat16EEESt5tupleIJNSH_6TensorESO_SO_EERKSO_lbbbEUlllE0_EEPmJS6_EEE10hipError_tPvRmT3_T4_T5_T6_T7_T9_mT8_P12ihipStream_tbDpT10_ENKUlT_T0_E_clISt17integral_constantIbLb0EES1D_IbLb1EEEEDaS19_S1A_EUlS19_E_NS1_11comp_targetILNS1_3genE10ELNS1_11target_archE1200ELNS1_3gpuE4ELNS1_3repE0EEENS1_30default_config_static_selectorELNS0_4arch9wavefront6targetE0EEEvT1_
	.p2align	8
	.type	_ZN7rocprim17ROCPRIM_400000_NS6detail17trampoline_kernelINS0_14default_configENS1_25partition_config_selectorILNS1_17partition_subalgoE8ElNS0_10empty_typeEbEEZZNS1_14partition_implILS5_8ELb0ES3_jPlPS6_PKS6_NS0_5tupleIJS9_S6_EEENSD_IJSA_SA_EEENS0_18inequality_wrapperIZN2at6native12_GLOBAL__N_124unique_dim_cuda_templateIN3c108BFloat16EEESt5tupleIJNSH_6TensorESO_SO_EERKSO_lbbbEUlllE0_EEPmJS6_EEE10hipError_tPvRmT3_T4_T5_T6_T7_T9_mT8_P12ihipStream_tbDpT10_ENKUlT_T0_E_clISt17integral_constantIbLb0EES1D_IbLb1EEEEDaS19_S1A_EUlS19_E_NS1_11comp_targetILNS1_3genE10ELNS1_11target_archE1200ELNS1_3gpuE4ELNS1_3repE0EEENS1_30default_config_static_selectorELNS0_4arch9wavefront6targetE0EEEvT1_,@function
_ZN7rocprim17ROCPRIM_400000_NS6detail17trampoline_kernelINS0_14default_configENS1_25partition_config_selectorILNS1_17partition_subalgoE8ElNS0_10empty_typeEbEEZZNS1_14partition_implILS5_8ELb0ES3_jPlPS6_PKS6_NS0_5tupleIJS9_S6_EEENSD_IJSA_SA_EEENS0_18inequality_wrapperIZN2at6native12_GLOBAL__N_124unique_dim_cuda_templateIN3c108BFloat16EEESt5tupleIJNSH_6TensorESO_SO_EERKSO_lbbbEUlllE0_EEPmJS6_EEE10hipError_tPvRmT3_T4_T5_T6_T7_T9_mT8_P12ihipStream_tbDpT10_ENKUlT_T0_E_clISt17integral_constantIbLb0EES1D_IbLb1EEEEDaS19_S1A_EUlS19_E_NS1_11comp_targetILNS1_3genE10ELNS1_11target_archE1200ELNS1_3gpuE4ELNS1_3repE0EEENS1_30default_config_static_selectorELNS0_4arch9wavefront6targetE0EEEvT1_: ; @_ZN7rocprim17ROCPRIM_400000_NS6detail17trampoline_kernelINS0_14default_configENS1_25partition_config_selectorILNS1_17partition_subalgoE8ElNS0_10empty_typeEbEEZZNS1_14partition_implILS5_8ELb0ES3_jPlPS6_PKS6_NS0_5tupleIJS9_S6_EEENSD_IJSA_SA_EEENS0_18inequality_wrapperIZN2at6native12_GLOBAL__N_124unique_dim_cuda_templateIN3c108BFloat16EEESt5tupleIJNSH_6TensorESO_SO_EERKSO_lbbbEUlllE0_EEPmJS6_EEE10hipError_tPvRmT3_T4_T5_T6_T7_T9_mT8_P12ihipStream_tbDpT10_ENKUlT_T0_E_clISt17integral_constantIbLb0EES1D_IbLb1EEEEDaS19_S1A_EUlS19_E_NS1_11comp_targetILNS1_3genE10ELNS1_11target_archE1200ELNS1_3gpuE4ELNS1_3repE0EEENS1_30default_config_static_selectorELNS0_4arch9wavefront6targetE0EEEvT1_
; %bb.0:
	.section	.rodata,"a",@progbits
	.p2align	6, 0x0
	.amdhsa_kernel _ZN7rocprim17ROCPRIM_400000_NS6detail17trampoline_kernelINS0_14default_configENS1_25partition_config_selectorILNS1_17partition_subalgoE8ElNS0_10empty_typeEbEEZZNS1_14partition_implILS5_8ELb0ES3_jPlPS6_PKS6_NS0_5tupleIJS9_S6_EEENSD_IJSA_SA_EEENS0_18inequality_wrapperIZN2at6native12_GLOBAL__N_124unique_dim_cuda_templateIN3c108BFloat16EEESt5tupleIJNSH_6TensorESO_SO_EERKSO_lbbbEUlllE0_EEPmJS6_EEE10hipError_tPvRmT3_T4_T5_T6_T7_T9_mT8_P12ihipStream_tbDpT10_ENKUlT_T0_E_clISt17integral_constantIbLb0EES1D_IbLb1EEEEDaS19_S1A_EUlS19_E_NS1_11comp_targetILNS1_3genE10ELNS1_11target_archE1200ELNS1_3gpuE4ELNS1_3repE0EEENS1_30default_config_static_selectorELNS0_4arch9wavefront6targetE0EEEvT1_
		.amdhsa_group_segment_fixed_size 0
		.amdhsa_private_segment_fixed_size 0
		.amdhsa_kernarg_size 136
		.amdhsa_user_sgpr_count 2
		.amdhsa_user_sgpr_dispatch_ptr 0
		.amdhsa_user_sgpr_queue_ptr 0
		.amdhsa_user_sgpr_kernarg_segment_ptr 1
		.amdhsa_user_sgpr_dispatch_id 0
		.amdhsa_user_sgpr_kernarg_preload_length 0
		.amdhsa_user_sgpr_kernarg_preload_offset 0
		.amdhsa_user_sgpr_private_segment_size 0
		.amdhsa_wavefront_size32 1
		.amdhsa_uses_dynamic_stack 0
		.amdhsa_enable_private_segment 0
		.amdhsa_system_sgpr_workgroup_id_x 1
		.amdhsa_system_sgpr_workgroup_id_y 0
		.amdhsa_system_sgpr_workgroup_id_z 0
		.amdhsa_system_sgpr_workgroup_info 0
		.amdhsa_system_vgpr_workitem_id 0
		.amdhsa_next_free_vgpr 1
		.amdhsa_next_free_sgpr 1
		.amdhsa_named_barrier_count 0
		.amdhsa_reserve_vcc 0
		.amdhsa_float_round_mode_32 0
		.amdhsa_float_round_mode_16_64 0
		.amdhsa_float_denorm_mode_32 3
		.amdhsa_float_denorm_mode_16_64 3
		.amdhsa_fp16_overflow 0
		.amdhsa_memory_ordered 1
		.amdhsa_forward_progress 1
		.amdhsa_inst_pref_size 0
		.amdhsa_round_robin_scheduling 0
		.amdhsa_exception_fp_ieee_invalid_op 0
		.amdhsa_exception_fp_denorm_src 0
		.amdhsa_exception_fp_ieee_div_zero 0
		.amdhsa_exception_fp_ieee_overflow 0
		.amdhsa_exception_fp_ieee_underflow 0
		.amdhsa_exception_fp_ieee_inexact 0
		.amdhsa_exception_int_div_zero 0
	.end_amdhsa_kernel
	.section	.text._ZN7rocprim17ROCPRIM_400000_NS6detail17trampoline_kernelINS0_14default_configENS1_25partition_config_selectorILNS1_17partition_subalgoE8ElNS0_10empty_typeEbEEZZNS1_14partition_implILS5_8ELb0ES3_jPlPS6_PKS6_NS0_5tupleIJS9_S6_EEENSD_IJSA_SA_EEENS0_18inequality_wrapperIZN2at6native12_GLOBAL__N_124unique_dim_cuda_templateIN3c108BFloat16EEESt5tupleIJNSH_6TensorESO_SO_EERKSO_lbbbEUlllE0_EEPmJS6_EEE10hipError_tPvRmT3_T4_T5_T6_T7_T9_mT8_P12ihipStream_tbDpT10_ENKUlT_T0_E_clISt17integral_constantIbLb0EES1D_IbLb1EEEEDaS19_S1A_EUlS19_E_NS1_11comp_targetILNS1_3genE10ELNS1_11target_archE1200ELNS1_3gpuE4ELNS1_3repE0EEENS1_30default_config_static_selectorELNS0_4arch9wavefront6targetE0EEEvT1_,"axG",@progbits,_ZN7rocprim17ROCPRIM_400000_NS6detail17trampoline_kernelINS0_14default_configENS1_25partition_config_selectorILNS1_17partition_subalgoE8ElNS0_10empty_typeEbEEZZNS1_14partition_implILS5_8ELb0ES3_jPlPS6_PKS6_NS0_5tupleIJS9_S6_EEENSD_IJSA_SA_EEENS0_18inequality_wrapperIZN2at6native12_GLOBAL__N_124unique_dim_cuda_templateIN3c108BFloat16EEESt5tupleIJNSH_6TensorESO_SO_EERKSO_lbbbEUlllE0_EEPmJS6_EEE10hipError_tPvRmT3_T4_T5_T6_T7_T9_mT8_P12ihipStream_tbDpT10_ENKUlT_T0_E_clISt17integral_constantIbLb0EES1D_IbLb1EEEEDaS19_S1A_EUlS19_E_NS1_11comp_targetILNS1_3genE10ELNS1_11target_archE1200ELNS1_3gpuE4ELNS1_3repE0EEENS1_30default_config_static_selectorELNS0_4arch9wavefront6targetE0EEEvT1_,comdat
.Lfunc_end1203:
	.size	_ZN7rocprim17ROCPRIM_400000_NS6detail17trampoline_kernelINS0_14default_configENS1_25partition_config_selectorILNS1_17partition_subalgoE8ElNS0_10empty_typeEbEEZZNS1_14partition_implILS5_8ELb0ES3_jPlPS6_PKS6_NS0_5tupleIJS9_S6_EEENSD_IJSA_SA_EEENS0_18inequality_wrapperIZN2at6native12_GLOBAL__N_124unique_dim_cuda_templateIN3c108BFloat16EEESt5tupleIJNSH_6TensorESO_SO_EERKSO_lbbbEUlllE0_EEPmJS6_EEE10hipError_tPvRmT3_T4_T5_T6_T7_T9_mT8_P12ihipStream_tbDpT10_ENKUlT_T0_E_clISt17integral_constantIbLb0EES1D_IbLb1EEEEDaS19_S1A_EUlS19_E_NS1_11comp_targetILNS1_3genE10ELNS1_11target_archE1200ELNS1_3gpuE4ELNS1_3repE0EEENS1_30default_config_static_selectorELNS0_4arch9wavefront6targetE0EEEvT1_, .Lfunc_end1203-_ZN7rocprim17ROCPRIM_400000_NS6detail17trampoline_kernelINS0_14default_configENS1_25partition_config_selectorILNS1_17partition_subalgoE8ElNS0_10empty_typeEbEEZZNS1_14partition_implILS5_8ELb0ES3_jPlPS6_PKS6_NS0_5tupleIJS9_S6_EEENSD_IJSA_SA_EEENS0_18inequality_wrapperIZN2at6native12_GLOBAL__N_124unique_dim_cuda_templateIN3c108BFloat16EEESt5tupleIJNSH_6TensorESO_SO_EERKSO_lbbbEUlllE0_EEPmJS6_EEE10hipError_tPvRmT3_T4_T5_T6_T7_T9_mT8_P12ihipStream_tbDpT10_ENKUlT_T0_E_clISt17integral_constantIbLb0EES1D_IbLb1EEEEDaS19_S1A_EUlS19_E_NS1_11comp_targetILNS1_3genE10ELNS1_11target_archE1200ELNS1_3gpuE4ELNS1_3repE0EEENS1_30default_config_static_selectorELNS0_4arch9wavefront6targetE0EEEvT1_
                                        ; -- End function
	.set _ZN7rocprim17ROCPRIM_400000_NS6detail17trampoline_kernelINS0_14default_configENS1_25partition_config_selectorILNS1_17partition_subalgoE8ElNS0_10empty_typeEbEEZZNS1_14partition_implILS5_8ELb0ES3_jPlPS6_PKS6_NS0_5tupleIJS9_S6_EEENSD_IJSA_SA_EEENS0_18inequality_wrapperIZN2at6native12_GLOBAL__N_124unique_dim_cuda_templateIN3c108BFloat16EEESt5tupleIJNSH_6TensorESO_SO_EERKSO_lbbbEUlllE0_EEPmJS6_EEE10hipError_tPvRmT3_T4_T5_T6_T7_T9_mT8_P12ihipStream_tbDpT10_ENKUlT_T0_E_clISt17integral_constantIbLb0EES1D_IbLb1EEEEDaS19_S1A_EUlS19_E_NS1_11comp_targetILNS1_3genE10ELNS1_11target_archE1200ELNS1_3gpuE4ELNS1_3repE0EEENS1_30default_config_static_selectorELNS0_4arch9wavefront6targetE0EEEvT1_.num_vgpr, 0
	.set _ZN7rocprim17ROCPRIM_400000_NS6detail17trampoline_kernelINS0_14default_configENS1_25partition_config_selectorILNS1_17partition_subalgoE8ElNS0_10empty_typeEbEEZZNS1_14partition_implILS5_8ELb0ES3_jPlPS6_PKS6_NS0_5tupleIJS9_S6_EEENSD_IJSA_SA_EEENS0_18inequality_wrapperIZN2at6native12_GLOBAL__N_124unique_dim_cuda_templateIN3c108BFloat16EEESt5tupleIJNSH_6TensorESO_SO_EERKSO_lbbbEUlllE0_EEPmJS6_EEE10hipError_tPvRmT3_T4_T5_T6_T7_T9_mT8_P12ihipStream_tbDpT10_ENKUlT_T0_E_clISt17integral_constantIbLb0EES1D_IbLb1EEEEDaS19_S1A_EUlS19_E_NS1_11comp_targetILNS1_3genE10ELNS1_11target_archE1200ELNS1_3gpuE4ELNS1_3repE0EEENS1_30default_config_static_selectorELNS0_4arch9wavefront6targetE0EEEvT1_.num_agpr, 0
	.set _ZN7rocprim17ROCPRIM_400000_NS6detail17trampoline_kernelINS0_14default_configENS1_25partition_config_selectorILNS1_17partition_subalgoE8ElNS0_10empty_typeEbEEZZNS1_14partition_implILS5_8ELb0ES3_jPlPS6_PKS6_NS0_5tupleIJS9_S6_EEENSD_IJSA_SA_EEENS0_18inequality_wrapperIZN2at6native12_GLOBAL__N_124unique_dim_cuda_templateIN3c108BFloat16EEESt5tupleIJNSH_6TensorESO_SO_EERKSO_lbbbEUlllE0_EEPmJS6_EEE10hipError_tPvRmT3_T4_T5_T6_T7_T9_mT8_P12ihipStream_tbDpT10_ENKUlT_T0_E_clISt17integral_constantIbLb0EES1D_IbLb1EEEEDaS19_S1A_EUlS19_E_NS1_11comp_targetILNS1_3genE10ELNS1_11target_archE1200ELNS1_3gpuE4ELNS1_3repE0EEENS1_30default_config_static_selectorELNS0_4arch9wavefront6targetE0EEEvT1_.numbered_sgpr, 0
	.set _ZN7rocprim17ROCPRIM_400000_NS6detail17trampoline_kernelINS0_14default_configENS1_25partition_config_selectorILNS1_17partition_subalgoE8ElNS0_10empty_typeEbEEZZNS1_14partition_implILS5_8ELb0ES3_jPlPS6_PKS6_NS0_5tupleIJS9_S6_EEENSD_IJSA_SA_EEENS0_18inequality_wrapperIZN2at6native12_GLOBAL__N_124unique_dim_cuda_templateIN3c108BFloat16EEESt5tupleIJNSH_6TensorESO_SO_EERKSO_lbbbEUlllE0_EEPmJS6_EEE10hipError_tPvRmT3_T4_T5_T6_T7_T9_mT8_P12ihipStream_tbDpT10_ENKUlT_T0_E_clISt17integral_constantIbLb0EES1D_IbLb1EEEEDaS19_S1A_EUlS19_E_NS1_11comp_targetILNS1_3genE10ELNS1_11target_archE1200ELNS1_3gpuE4ELNS1_3repE0EEENS1_30default_config_static_selectorELNS0_4arch9wavefront6targetE0EEEvT1_.num_named_barrier, 0
	.set _ZN7rocprim17ROCPRIM_400000_NS6detail17trampoline_kernelINS0_14default_configENS1_25partition_config_selectorILNS1_17partition_subalgoE8ElNS0_10empty_typeEbEEZZNS1_14partition_implILS5_8ELb0ES3_jPlPS6_PKS6_NS0_5tupleIJS9_S6_EEENSD_IJSA_SA_EEENS0_18inequality_wrapperIZN2at6native12_GLOBAL__N_124unique_dim_cuda_templateIN3c108BFloat16EEESt5tupleIJNSH_6TensorESO_SO_EERKSO_lbbbEUlllE0_EEPmJS6_EEE10hipError_tPvRmT3_T4_T5_T6_T7_T9_mT8_P12ihipStream_tbDpT10_ENKUlT_T0_E_clISt17integral_constantIbLb0EES1D_IbLb1EEEEDaS19_S1A_EUlS19_E_NS1_11comp_targetILNS1_3genE10ELNS1_11target_archE1200ELNS1_3gpuE4ELNS1_3repE0EEENS1_30default_config_static_selectorELNS0_4arch9wavefront6targetE0EEEvT1_.private_seg_size, 0
	.set _ZN7rocprim17ROCPRIM_400000_NS6detail17trampoline_kernelINS0_14default_configENS1_25partition_config_selectorILNS1_17partition_subalgoE8ElNS0_10empty_typeEbEEZZNS1_14partition_implILS5_8ELb0ES3_jPlPS6_PKS6_NS0_5tupleIJS9_S6_EEENSD_IJSA_SA_EEENS0_18inequality_wrapperIZN2at6native12_GLOBAL__N_124unique_dim_cuda_templateIN3c108BFloat16EEESt5tupleIJNSH_6TensorESO_SO_EERKSO_lbbbEUlllE0_EEPmJS6_EEE10hipError_tPvRmT3_T4_T5_T6_T7_T9_mT8_P12ihipStream_tbDpT10_ENKUlT_T0_E_clISt17integral_constantIbLb0EES1D_IbLb1EEEEDaS19_S1A_EUlS19_E_NS1_11comp_targetILNS1_3genE10ELNS1_11target_archE1200ELNS1_3gpuE4ELNS1_3repE0EEENS1_30default_config_static_selectorELNS0_4arch9wavefront6targetE0EEEvT1_.uses_vcc, 0
	.set _ZN7rocprim17ROCPRIM_400000_NS6detail17trampoline_kernelINS0_14default_configENS1_25partition_config_selectorILNS1_17partition_subalgoE8ElNS0_10empty_typeEbEEZZNS1_14partition_implILS5_8ELb0ES3_jPlPS6_PKS6_NS0_5tupleIJS9_S6_EEENSD_IJSA_SA_EEENS0_18inequality_wrapperIZN2at6native12_GLOBAL__N_124unique_dim_cuda_templateIN3c108BFloat16EEESt5tupleIJNSH_6TensorESO_SO_EERKSO_lbbbEUlllE0_EEPmJS6_EEE10hipError_tPvRmT3_T4_T5_T6_T7_T9_mT8_P12ihipStream_tbDpT10_ENKUlT_T0_E_clISt17integral_constantIbLb0EES1D_IbLb1EEEEDaS19_S1A_EUlS19_E_NS1_11comp_targetILNS1_3genE10ELNS1_11target_archE1200ELNS1_3gpuE4ELNS1_3repE0EEENS1_30default_config_static_selectorELNS0_4arch9wavefront6targetE0EEEvT1_.uses_flat_scratch, 0
	.set _ZN7rocprim17ROCPRIM_400000_NS6detail17trampoline_kernelINS0_14default_configENS1_25partition_config_selectorILNS1_17partition_subalgoE8ElNS0_10empty_typeEbEEZZNS1_14partition_implILS5_8ELb0ES3_jPlPS6_PKS6_NS0_5tupleIJS9_S6_EEENSD_IJSA_SA_EEENS0_18inequality_wrapperIZN2at6native12_GLOBAL__N_124unique_dim_cuda_templateIN3c108BFloat16EEESt5tupleIJNSH_6TensorESO_SO_EERKSO_lbbbEUlllE0_EEPmJS6_EEE10hipError_tPvRmT3_T4_T5_T6_T7_T9_mT8_P12ihipStream_tbDpT10_ENKUlT_T0_E_clISt17integral_constantIbLb0EES1D_IbLb1EEEEDaS19_S1A_EUlS19_E_NS1_11comp_targetILNS1_3genE10ELNS1_11target_archE1200ELNS1_3gpuE4ELNS1_3repE0EEENS1_30default_config_static_selectorELNS0_4arch9wavefront6targetE0EEEvT1_.has_dyn_sized_stack, 0
	.set _ZN7rocprim17ROCPRIM_400000_NS6detail17trampoline_kernelINS0_14default_configENS1_25partition_config_selectorILNS1_17partition_subalgoE8ElNS0_10empty_typeEbEEZZNS1_14partition_implILS5_8ELb0ES3_jPlPS6_PKS6_NS0_5tupleIJS9_S6_EEENSD_IJSA_SA_EEENS0_18inequality_wrapperIZN2at6native12_GLOBAL__N_124unique_dim_cuda_templateIN3c108BFloat16EEESt5tupleIJNSH_6TensorESO_SO_EERKSO_lbbbEUlllE0_EEPmJS6_EEE10hipError_tPvRmT3_T4_T5_T6_T7_T9_mT8_P12ihipStream_tbDpT10_ENKUlT_T0_E_clISt17integral_constantIbLb0EES1D_IbLb1EEEEDaS19_S1A_EUlS19_E_NS1_11comp_targetILNS1_3genE10ELNS1_11target_archE1200ELNS1_3gpuE4ELNS1_3repE0EEENS1_30default_config_static_selectorELNS0_4arch9wavefront6targetE0EEEvT1_.has_recursion, 0
	.set _ZN7rocprim17ROCPRIM_400000_NS6detail17trampoline_kernelINS0_14default_configENS1_25partition_config_selectorILNS1_17partition_subalgoE8ElNS0_10empty_typeEbEEZZNS1_14partition_implILS5_8ELb0ES3_jPlPS6_PKS6_NS0_5tupleIJS9_S6_EEENSD_IJSA_SA_EEENS0_18inequality_wrapperIZN2at6native12_GLOBAL__N_124unique_dim_cuda_templateIN3c108BFloat16EEESt5tupleIJNSH_6TensorESO_SO_EERKSO_lbbbEUlllE0_EEPmJS6_EEE10hipError_tPvRmT3_T4_T5_T6_T7_T9_mT8_P12ihipStream_tbDpT10_ENKUlT_T0_E_clISt17integral_constantIbLb0EES1D_IbLb1EEEEDaS19_S1A_EUlS19_E_NS1_11comp_targetILNS1_3genE10ELNS1_11target_archE1200ELNS1_3gpuE4ELNS1_3repE0EEENS1_30default_config_static_selectorELNS0_4arch9wavefront6targetE0EEEvT1_.has_indirect_call, 0
	.section	.AMDGPU.csdata,"",@progbits
; Kernel info:
; codeLenInByte = 0
; TotalNumSgprs: 0
; NumVgprs: 0
; ScratchSize: 0
; MemoryBound: 0
; FloatMode: 240
; IeeeMode: 1
; LDSByteSize: 0 bytes/workgroup (compile time only)
; SGPRBlocks: 0
; VGPRBlocks: 0
; NumSGPRsForWavesPerEU: 1
; NumVGPRsForWavesPerEU: 1
; NamedBarCnt: 0
; Occupancy: 16
; WaveLimiterHint : 0
; COMPUTE_PGM_RSRC2:SCRATCH_EN: 0
; COMPUTE_PGM_RSRC2:USER_SGPR: 2
; COMPUTE_PGM_RSRC2:TRAP_HANDLER: 0
; COMPUTE_PGM_RSRC2:TGID_X_EN: 1
; COMPUTE_PGM_RSRC2:TGID_Y_EN: 0
; COMPUTE_PGM_RSRC2:TGID_Z_EN: 0
; COMPUTE_PGM_RSRC2:TIDIG_COMP_CNT: 0
	.section	.text._ZN7rocprim17ROCPRIM_400000_NS6detail17trampoline_kernelINS0_14default_configENS1_25partition_config_selectorILNS1_17partition_subalgoE8ElNS0_10empty_typeEbEEZZNS1_14partition_implILS5_8ELb0ES3_jPlPS6_PKS6_NS0_5tupleIJS9_S6_EEENSD_IJSA_SA_EEENS0_18inequality_wrapperIZN2at6native12_GLOBAL__N_124unique_dim_cuda_templateIN3c108BFloat16EEESt5tupleIJNSH_6TensorESO_SO_EERKSO_lbbbEUlllE0_EEPmJS6_EEE10hipError_tPvRmT3_T4_T5_T6_T7_T9_mT8_P12ihipStream_tbDpT10_ENKUlT_T0_E_clISt17integral_constantIbLb0EES1D_IbLb1EEEEDaS19_S1A_EUlS19_E_NS1_11comp_targetILNS1_3genE9ELNS1_11target_archE1100ELNS1_3gpuE3ELNS1_3repE0EEENS1_30default_config_static_selectorELNS0_4arch9wavefront6targetE0EEEvT1_,"axG",@progbits,_ZN7rocprim17ROCPRIM_400000_NS6detail17trampoline_kernelINS0_14default_configENS1_25partition_config_selectorILNS1_17partition_subalgoE8ElNS0_10empty_typeEbEEZZNS1_14partition_implILS5_8ELb0ES3_jPlPS6_PKS6_NS0_5tupleIJS9_S6_EEENSD_IJSA_SA_EEENS0_18inequality_wrapperIZN2at6native12_GLOBAL__N_124unique_dim_cuda_templateIN3c108BFloat16EEESt5tupleIJNSH_6TensorESO_SO_EERKSO_lbbbEUlllE0_EEPmJS6_EEE10hipError_tPvRmT3_T4_T5_T6_T7_T9_mT8_P12ihipStream_tbDpT10_ENKUlT_T0_E_clISt17integral_constantIbLb0EES1D_IbLb1EEEEDaS19_S1A_EUlS19_E_NS1_11comp_targetILNS1_3genE9ELNS1_11target_archE1100ELNS1_3gpuE3ELNS1_3repE0EEENS1_30default_config_static_selectorELNS0_4arch9wavefront6targetE0EEEvT1_,comdat
	.globl	_ZN7rocprim17ROCPRIM_400000_NS6detail17trampoline_kernelINS0_14default_configENS1_25partition_config_selectorILNS1_17partition_subalgoE8ElNS0_10empty_typeEbEEZZNS1_14partition_implILS5_8ELb0ES3_jPlPS6_PKS6_NS0_5tupleIJS9_S6_EEENSD_IJSA_SA_EEENS0_18inequality_wrapperIZN2at6native12_GLOBAL__N_124unique_dim_cuda_templateIN3c108BFloat16EEESt5tupleIJNSH_6TensorESO_SO_EERKSO_lbbbEUlllE0_EEPmJS6_EEE10hipError_tPvRmT3_T4_T5_T6_T7_T9_mT8_P12ihipStream_tbDpT10_ENKUlT_T0_E_clISt17integral_constantIbLb0EES1D_IbLb1EEEEDaS19_S1A_EUlS19_E_NS1_11comp_targetILNS1_3genE9ELNS1_11target_archE1100ELNS1_3gpuE3ELNS1_3repE0EEENS1_30default_config_static_selectorELNS0_4arch9wavefront6targetE0EEEvT1_ ; -- Begin function _ZN7rocprim17ROCPRIM_400000_NS6detail17trampoline_kernelINS0_14default_configENS1_25partition_config_selectorILNS1_17partition_subalgoE8ElNS0_10empty_typeEbEEZZNS1_14partition_implILS5_8ELb0ES3_jPlPS6_PKS6_NS0_5tupleIJS9_S6_EEENSD_IJSA_SA_EEENS0_18inequality_wrapperIZN2at6native12_GLOBAL__N_124unique_dim_cuda_templateIN3c108BFloat16EEESt5tupleIJNSH_6TensorESO_SO_EERKSO_lbbbEUlllE0_EEPmJS6_EEE10hipError_tPvRmT3_T4_T5_T6_T7_T9_mT8_P12ihipStream_tbDpT10_ENKUlT_T0_E_clISt17integral_constantIbLb0EES1D_IbLb1EEEEDaS19_S1A_EUlS19_E_NS1_11comp_targetILNS1_3genE9ELNS1_11target_archE1100ELNS1_3gpuE3ELNS1_3repE0EEENS1_30default_config_static_selectorELNS0_4arch9wavefront6targetE0EEEvT1_
	.p2align	8
	.type	_ZN7rocprim17ROCPRIM_400000_NS6detail17trampoline_kernelINS0_14default_configENS1_25partition_config_selectorILNS1_17partition_subalgoE8ElNS0_10empty_typeEbEEZZNS1_14partition_implILS5_8ELb0ES3_jPlPS6_PKS6_NS0_5tupleIJS9_S6_EEENSD_IJSA_SA_EEENS0_18inequality_wrapperIZN2at6native12_GLOBAL__N_124unique_dim_cuda_templateIN3c108BFloat16EEESt5tupleIJNSH_6TensorESO_SO_EERKSO_lbbbEUlllE0_EEPmJS6_EEE10hipError_tPvRmT3_T4_T5_T6_T7_T9_mT8_P12ihipStream_tbDpT10_ENKUlT_T0_E_clISt17integral_constantIbLb0EES1D_IbLb1EEEEDaS19_S1A_EUlS19_E_NS1_11comp_targetILNS1_3genE9ELNS1_11target_archE1100ELNS1_3gpuE3ELNS1_3repE0EEENS1_30default_config_static_selectorELNS0_4arch9wavefront6targetE0EEEvT1_,@function
_ZN7rocprim17ROCPRIM_400000_NS6detail17trampoline_kernelINS0_14default_configENS1_25partition_config_selectorILNS1_17partition_subalgoE8ElNS0_10empty_typeEbEEZZNS1_14partition_implILS5_8ELb0ES3_jPlPS6_PKS6_NS0_5tupleIJS9_S6_EEENSD_IJSA_SA_EEENS0_18inequality_wrapperIZN2at6native12_GLOBAL__N_124unique_dim_cuda_templateIN3c108BFloat16EEESt5tupleIJNSH_6TensorESO_SO_EERKSO_lbbbEUlllE0_EEPmJS6_EEE10hipError_tPvRmT3_T4_T5_T6_T7_T9_mT8_P12ihipStream_tbDpT10_ENKUlT_T0_E_clISt17integral_constantIbLb0EES1D_IbLb1EEEEDaS19_S1A_EUlS19_E_NS1_11comp_targetILNS1_3genE9ELNS1_11target_archE1100ELNS1_3gpuE3ELNS1_3repE0EEENS1_30default_config_static_selectorELNS0_4arch9wavefront6targetE0EEEvT1_: ; @_ZN7rocprim17ROCPRIM_400000_NS6detail17trampoline_kernelINS0_14default_configENS1_25partition_config_selectorILNS1_17partition_subalgoE8ElNS0_10empty_typeEbEEZZNS1_14partition_implILS5_8ELb0ES3_jPlPS6_PKS6_NS0_5tupleIJS9_S6_EEENSD_IJSA_SA_EEENS0_18inequality_wrapperIZN2at6native12_GLOBAL__N_124unique_dim_cuda_templateIN3c108BFloat16EEESt5tupleIJNSH_6TensorESO_SO_EERKSO_lbbbEUlllE0_EEPmJS6_EEE10hipError_tPvRmT3_T4_T5_T6_T7_T9_mT8_P12ihipStream_tbDpT10_ENKUlT_T0_E_clISt17integral_constantIbLb0EES1D_IbLb1EEEEDaS19_S1A_EUlS19_E_NS1_11comp_targetILNS1_3genE9ELNS1_11target_archE1100ELNS1_3gpuE3ELNS1_3repE0EEENS1_30default_config_static_selectorELNS0_4arch9wavefront6targetE0EEEvT1_
; %bb.0:
	.section	.rodata,"a",@progbits
	.p2align	6, 0x0
	.amdhsa_kernel _ZN7rocprim17ROCPRIM_400000_NS6detail17trampoline_kernelINS0_14default_configENS1_25partition_config_selectorILNS1_17partition_subalgoE8ElNS0_10empty_typeEbEEZZNS1_14partition_implILS5_8ELb0ES3_jPlPS6_PKS6_NS0_5tupleIJS9_S6_EEENSD_IJSA_SA_EEENS0_18inequality_wrapperIZN2at6native12_GLOBAL__N_124unique_dim_cuda_templateIN3c108BFloat16EEESt5tupleIJNSH_6TensorESO_SO_EERKSO_lbbbEUlllE0_EEPmJS6_EEE10hipError_tPvRmT3_T4_T5_T6_T7_T9_mT8_P12ihipStream_tbDpT10_ENKUlT_T0_E_clISt17integral_constantIbLb0EES1D_IbLb1EEEEDaS19_S1A_EUlS19_E_NS1_11comp_targetILNS1_3genE9ELNS1_11target_archE1100ELNS1_3gpuE3ELNS1_3repE0EEENS1_30default_config_static_selectorELNS0_4arch9wavefront6targetE0EEEvT1_
		.amdhsa_group_segment_fixed_size 0
		.amdhsa_private_segment_fixed_size 0
		.amdhsa_kernarg_size 136
		.amdhsa_user_sgpr_count 2
		.amdhsa_user_sgpr_dispatch_ptr 0
		.amdhsa_user_sgpr_queue_ptr 0
		.amdhsa_user_sgpr_kernarg_segment_ptr 1
		.amdhsa_user_sgpr_dispatch_id 0
		.amdhsa_user_sgpr_kernarg_preload_length 0
		.amdhsa_user_sgpr_kernarg_preload_offset 0
		.amdhsa_user_sgpr_private_segment_size 0
		.amdhsa_wavefront_size32 1
		.amdhsa_uses_dynamic_stack 0
		.amdhsa_enable_private_segment 0
		.amdhsa_system_sgpr_workgroup_id_x 1
		.amdhsa_system_sgpr_workgroup_id_y 0
		.amdhsa_system_sgpr_workgroup_id_z 0
		.amdhsa_system_sgpr_workgroup_info 0
		.amdhsa_system_vgpr_workitem_id 0
		.amdhsa_next_free_vgpr 1
		.amdhsa_next_free_sgpr 1
		.amdhsa_named_barrier_count 0
		.amdhsa_reserve_vcc 0
		.amdhsa_float_round_mode_32 0
		.amdhsa_float_round_mode_16_64 0
		.amdhsa_float_denorm_mode_32 3
		.amdhsa_float_denorm_mode_16_64 3
		.amdhsa_fp16_overflow 0
		.amdhsa_memory_ordered 1
		.amdhsa_forward_progress 1
		.amdhsa_inst_pref_size 0
		.amdhsa_round_robin_scheduling 0
		.amdhsa_exception_fp_ieee_invalid_op 0
		.amdhsa_exception_fp_denorm_src 0
		.amdhsa_exception_fp_ieee_div_zero 0
		.amdhsa_exception_fp_ieee_overflow 0
		.amdhsa_exception_fp_ieee_underflow 0
		.amdhsa_exception_fp_ieee_inexact 0
		.amdhsa_exception_int_div_zero 0
	.end_amdhsa_kernel
	.section	.text._ZN7rocprim17ROCPRIM_400000_NS6detail17trampoline_kernelINS0_14default_configENS1_25partition_config_selectorILNS1_17partition_subalgoE8ElNS0_10empty_typeEbEEZZNS1_14partition_implILS5_8ELb0ES3_jPlPS6_PKS6_NS0_5tupleIJS9_S6_EEENSD_IJSA_SA_EEENS0_18inequality_wrapperIZN2at6native12_GLOBAL__N_124unique_dim_cuda_templateIN3c108BFloat16EEESt5tupleIJNSH_6TensorESO_SO_EERKSO_lbbbEUlllE0_EEPmJS6_EEE10hipError_tPvRmT3_T4_T5_T6_T7_T9_mT8_P12ihipStream_tbDpT10_ENKUlT_T0_E_clISt17integral_constantIbLb0EES1D_IbLb1EEEEDaS19_S1A_EUlS19_E_NS1_11comp_targetILNS1_3genE9ELNS1_11target_archE1100ELNS1_3gpuE3ELNS1_3repE0EEENS1_30default_config_static_selectorELNS0_4arch9wavefront6targetE0EEEvT1_,"axG",@progbits,_ZN7rocprim17ROCPRIM_400000_NS6detail17trampoline_kernelINS0_14default_configENS1_25partition_config_selectorILNS1_17partition_subalgoE8ElNS0_10empty_typeEbEEZZNS1_14partition_implILS5_8ELb0ES3_jPlPS6_PKS6_NS0_5tupleIJS9_S6_EEENSD_IJSA_SA_EEENS0_18inequality_wrapperIZN2at6native12_GLOBAL__N_124unique_dim_cuda_templateIN3c108BFloat16EEESt5tupleIJNSH_6TensorESO_SO_EERKSO_lbbbEUlllE0_EEPmJS6_EEE10hipError_tPvRmT3_T4_T5_T6_T7_T9_mT8_P12ihipStream_tbDpT10_ENKUlT_T0_E_clISt17integral_constantIbLb0EES1D_IbLb1EEEEDaS19_S1A_EUlS19_E_NS1_11comp_targetILNS1_3genE9ELNS1_11target_archE1100ELNS1_3gpuE3ELNS1_3repE0EEENS1_30default_config_static_selectorELNS0_4arch9wavefront6targetE0EEEvT1_,comdat
.Lfunc_end1204:
	.size	_ZN7rocprim17ROCPRIM_400000_NS6detail17trampoline_kernelINS0_14default_configENS1_25partition_config_selectorILNS1_17partition_subalgoE8ElNS0_10empty_typeEbEEZZNS1_14partition_implILS5_8ELb0ES3_jPlPS6_PKS6_NS0_5tupleIJS9_S6_EEENSD_IJSA_SA_EEENS0_18inequality_wrapperIZN2at6native12_GLOBAL__N_124unique_dim_cuda_templateIN3c108BFloat16EEESt5tupleIJNSH_6TensorESO_SO_EERKSO_lbbbEUlllE0_EEPmJS6_EEE10hipError_tPvRmT3_T4_T5_T6_T7_T9_mT8_P12ihipStream_tbDpT10_ENKUlT_T0_E_clISt17integral_constantIbLb0EES1D_IbLb1EEEEDaS19_S1A_EUlS19_E_NS1_11comp_targetILNS1_3genE9ELNS1_11target_archE1100ELNS1_3gpuE3ELNS1_3repE0EEENS1_30default_config_static_selectorELNS0_4arch9wavefront6targetE0EEEvT1_, .Lfunc_end1204-_ZN7rocprim17ROCPRIM_400000_NS6detail17trampoline_kernelINS0_14default_configENS1_25partition_config_selectorILNS1_17partition_subalgoE8ElNS0_10empty_typeEbEEZZNS1_14partition_implILS5_8ELb0ES3_jPlPS6_PKS6_NS0_5tupleIJS9_S6_EEENSD_IJSA_SA_EEENS0_18inequality_wrapperIZN2at6native12_GLOBAL__N_124unique_dim_cuda_templateIN3c108BFloat16EEESt5tupleIJNSH_6TensorESO_SO_EERKSO_lbbbEUlllE0_EEPmJS6_EEE10hipError_tPvRmT3_T4_T5_T6_T7_T9_mT8_P12ihipStream_tbDpT10_ENKUlT_T0_E_clISt17integral_constantIbLb0EES1D_IbLb1EEEEDaS19_S1A_EUlS19_E_NS1_11comp_targetILNS1_3genE9ELNS1_11target_archE1100ELNS1_3gpuE3ELNS1_3repE0EEENS1_30default_config_static_selectorELNS0_4arch9wavefront6targetE0EEEvT1_
                                        ; -- End function
	.set _ZN7rocprim17ROCPRIM_400000_NS6detail17trampoline_kernelINS0_14default_configENS1_25partition_config_selectorILNS1_17partition_subalgoE8ElNS0_10empty_typeEbEEZZNS1_14partition_implILS5_8ELb0ES3_jPlPS6_PKS6_NS0_5tupleIJS9_S6_EEENSD_IJSA_SA_EEENS0_18inequality_wrapperIZN2at6native12_GLOBAL__N_124unique_dim_cuda_templateIN3c108BFloat16EEESt5tupleIJNSH_6TensorESO_SO_EERKSO_lbbbEUlllE0_EEPmJS6_EEE10hipError_tPvRmT3_T4_T5_T6_T7_T9_mT8_P12ihipStream_tbDpT10_ENKUlT_T0_E_clISt17integral_constantIbLb0EES1D_IbLb1EEEEDaS19_S1A_EUlS19_E_NS1_11comp_targetILNS1_3genE9ELNS1_11target_archE1100ELNS1_3gpuE3ELNS1_3repE0EEENS1_30default_config_static_selectorELNS0_4arch9wavefront6targetE0EEEvT1_.num_vgpr, 0
	.set _ZN7rocprim17ROCPRIM_400000_NS6detail17trampoline_kernelINS0_14default_configENS1_25partition_config_selectorILNS1_17partition_subalgoE8ElNS0_10empty_typeEbEEZZNS1_14partition_implILS5_8ELb0ES3_jPlPS6_PKS6_NS0_5tupleIJS9_S6_EEENSD_IJSA_SA_EEENS0_18inequality_wrapperIZN2at6native12_GLOBAL__N_124unique_dim_cuda_templateIN3c108BFloat16EEESt5tupleIJNSH_6TensorESO_SO_EERKSO_lbbbEUlllE0_EEPmJS6_EEE10hipError_tPvRmT3_T4_T5_T6_T7_T9_mT8_P12ihipStream_tbDpT10_ENKUlT_T0_E_clISt17integral_constantIbLb0EES1D_IbLb1EEEEDaS19_S1A_EUlS19_E_NS1_11comp_targetILNS1_3genE9ELNS1_11target_archE1100ELNS1_3gpuE3ELNS1_3repE0EEENS1_30default_config_static_selectorELNS0_4arch9wavefront6targetE0EEEvT1_.num_agpr, 0
	.set _ZN7rocprim17ROCPRIM_400000_NS6detail17trampoline_kernelINS0_14default_configENS1_25partition_config_selectorILNS1_17partition_subalgoE8ElNS0_10empty_typeEbEEZZNS1_14partition_implILS5_8ELb0ES3_jPlPS6_PKS6_NS0_5tupleIJS9_S6_EEENSD_IJSA_SA_EEENS0_18inequality_wrapperIZN2at6native12_GLOBAL__N_124unique_dim_cuda_templateIN3c108BFloat16EEESt5tupleIJNSH_6TensorESO_SO_EERKSO_lbbbEUlllE0_EEPmJS6_EEE10hipError_tPvRmT3_T4_T5_T6_T7_T9_mT8_P12ihipStream_tbDpT10_ENKUlT_T0_E_clISt17integral_constantIbLb0EES1D_IbLb1EEEEDaS19_S1A_EUlS19_E_NS1_11comp_targetILNS1_3genE9ELNS1_11target_archE1100ELNS1_3gpuE3ELNS1_3repE0EEENS1_30default_config_static_selectorELNS0_4arch9wavefront6targetE0EEEvT1_.numbered_sgpr, 0
	.set _ZN7rocprim17ROCPRIM_400000_NS6detail17trampoline_kernelINS0_14default_configENS1_25partition_config_selectorILNS1_17partition_subalgoE8ElNS0_10empty_typeEbEEZZNS1_14partition_implILS5_8ELb0ES3_jPlPS6_PKS6_NS0_5tupleIJS9_S6_EEENSD_IJSA_SA_EEENS0_18inequality_wrapperIZN2at6native12_GLOBAL__N_124unique_dim_cuda_templateIN3c108BFloat16EEESt5tupleIJNSH_6TensorESO_SO_EERKSO_lbbbEUlllE0_EEPmJS6_EEE10hipError_tPvRmT3_T4_T5_T6_T7_T9_mT8_P12ihipStream_tbDpT10_ENKUlT_T0_E_clISt17integral_constantIbLb0EES1D_IbLb1EEEEDaS19_S1A_EUlS19_E_NS1_11comp_targetILNS1_3genE9ELNS1_11target_archE1100ELNS1_3gpuE3ELNS1_3repE0EEENS1_30default_config_static_selectorELNS0_4arch9wavefront6targetE0EEEvT1_.num_named_barrier, 0
	.set _ZN7rocprim17ROCPRIM_400000_NS6detail17trampoline_kernelINS0_14default_configENS1_25partition_config_selectorILNS1_17partition_subalgoE8ElNS0_10empty_typeEbEEZZNS1_14partition_implILS5_8ELb0ES3_jPlPS6_PKS6_NS0_5tupleIJS9_S6_EEENSD_IJSA_SA_EEENS0_18inequality_wrapperIZN2at6native12_GLOBAL__N_124unique_dim_cuda_templateIN3c108BFloat16EEESt5tupleIJNSH_6TensorESO_SO_EERKSO_lbbbEUlllE0_EEPmJS6_EEE10hipError_tPvRmT3_T4_T5_T6_T7_T9_mT8_P12ihipStream_tbDpT10_ENKUlT_T0_E_clISt17integral_constantIbLb0EES1D_IbLb1EEEEDaS19_S1A_EUlS19_E_NS1_11comp_targetILNS1_3genE9ELNS1_11target_archE1100ELNS1_3gpuE3ELNS1_3repE0EEENS1_30default_config_static_selectorELNS0_4arch9wavefront6targetE0EEEvT1_.private_seg_size, 0
	.set _ZN7rocprim17ROCPRIM_400000_NS6detail17trampoline_kernelINS0_14default_configENS1_25partition_config_selectorILNS1_17partition_subalgoE8ElNS0_10empty_typeEbEEZZNS1_14partition_implILS5_8ELb0ES3_jPlPS6_PKS6_NS0_5tupleIJS9_S6_EEENSD_IJSA_SA_EEENS0_18inequality_wrapperIZN2at6native12_GLOBAL__N_124unique_dim_cuda_templateIN3c108BFloat16EEESt5tupleIJNSH_6TensorESO_SO_EERKSO_lbbbEUlllE0_EEPmJS6_EEE10hipError_tPvRmT3_T4_T5_T6_T7_T9_mT8_P12ihipStream_tbDpT10_ENKUlT_T0_E_clISt17integral_constantIbLb0EES1D_IbLb1EEEEDaS19_S1A_EUlS19_E_NS1_11comp_targetILNS1_3genE9ELNS1_11target_archE1100ELNS1_3gpuE3ELNS1_3repE0EEENS1_30default_config_static_selectorELNS0_4arch9wavefront6targetE0EEEvT1_.uses_vcc, 0
	.set _ZN7rocprim17ROCPRIM_400000_NS6detail17trampoline_kernelINS0_14default_configENS1_25partition_config_selectorILNS1_17partition_subalgoE8ElNS0_10empty_typeEbEEZZNS1_14partition_implILS5_8ELb0ES3_jPlPS6_PKS6_NS0_5tupleIJS9_S6_EEENSD_IJSA_SA_EEENS0_18inequality_wrapperIZN2at6native12_GLOBAL__N_124unique_dim_cuda_templateIN3c108BFloat16EEESt5tupleIJNSH_6TensorESO_SO_EERKSO_lbbbEUlllE0_EEPmJS6_EEE10hipError_tPvRmT3_T4_T5_T6_T7_T9_mT8_P12ihipStream_tbDpT10_ENKUlT_T0_E_clISt17integral_constantIbLb0EES1D_IbLb1EEEEDaS19_S1A_EUlS19_E_NS1_11comp_targetILNS1_3genE9ELNS1_11target_archE1100ELNS1_3gpuE3ELNS1_3repE0EEENS1_30default_config_static_selectorELNS0_4arch9wavefront6targetE0EEEvT1_.uses_flat_scratch, 0
	.set _ZN7rocprim17ROCPRIM_400000_NS6detail17trampoline_kernelINS0_14default_configENS1_25partition_config_selectorILNS1_17partition_subalgoE8ElNS0_10empty_typeEbEEZZNS1_14partition_implILS5_8ELb0ES3_jPlPS6_PKS6_NS0_5tupleIJS9_S6_EEENSD_IJSA_SA_EEENS0_18inequality_wrapperIZN2at6native12_GLOBAL__N_124unique_dim_cuda_templateIN3c108BFloat16EEESt5tupleIJNSH_6TensorESO_SO_EERKSO_lbbbEUlllE0_EEPmJS6_EEE10hipError_tPvRmT3_T4_T5_T6_T7_T9_mT8_P12ihipStream_tbDpT10_ENKUlT_T0_E_clISt17integral_constantIbLb0EES1D_IbLb1EEEEDaS19_S1A_EUlS19_E_NS1_11comp_targetILNS1_3genE9ELNS1_11target_archE1100ELNS1_3gpuE3ELNS1_3repE0EEENS1_30default_config_static_selectorELNS0_4arch9wavefront6targetE0EEEvT1_.has_dyn_sized_stack, 0
	.set _ZN7rocprim17ROCPRIM_400000_NS6detail17trampoline_kernelINS0_14default_configENS1_25partition_config_selectorILNS1_17partition_subalgoE8ElNS0_10empty_typeEbEEZZNS1_14partition_implILS5_8ELb0ES3_jPlPS6_PKS6_NS0_5tupleIJS9_S6_EEENSD_IJSA_SA_EEENS0_18inequality_wrapperIZN2at6native12_GLOBAL__N_124unique_dim_cuda_templateIN3c108BFloat16EEESt5tupleIJNSH_6TensorESO_SO_EERKSO_lbbbEUlllE0_EEPmJS6_EEE10hipError_tPvRmT3_T4_T5_T6_T7_T9_mT8_P12ihipStream_tbDpT10_ENKUlT_T0_E_clISt17integral_constantIbLb0EES1D_IbLb1EEEEDaS19_S1A_EUlS19_E_NS1_11comp_targetILNS1_3genE9ELNS1_11target_archE1100ELNS1_3gpuE3ELNS1_3repE0EEENS1_30default_config_static_selectorELNS0_4arch9wavefront6targetE0EEEvT1_.has_recursion, 0
	.set _ZN7rocprim17ROCPRIM_400000_NS6detail17trampoline_kernelINS0_14default_configENS1_25partition_config_selectorILNS1_17partition_subalgoE8ElNS0_10empty_typeEbEEZZNS1_14partition_implILS5_8ELb0ES3_jPlPS6_PKS6_NS0_5tupleIJS9_S6_EEENSD_IJSA_SA_EEENS0_18inequality_wrapperIZN2at6native12_GLOBAL__N_124unique_dim_cuda_templateIN3c108BFloat16EEESt5tupleIJNSH_6TensorESO_SO_EERKSO_lbbbEUlllE0_EEPmJS6_EEE10hipError_tPvRmT3_T4_T5_T6_T7_T9_mT8_P12ihipStream_tbDpT10_ENKUlT_T0_E_clISt17integral_constantIbLb0EES1D_IbLb1EEEEDaS19_S1A_EUlS19_E_NS1_11comp_targetILNS1_3genE9ELNS1_11target_archE1100ELNS1_3gpuE3ELNS1_3repE0EEENS1_30default_config_static_selectorELNS0_4arch9wavefront6targetE0EEEvT1_.has_indirect_call, 0
	.section	.AMDGPU.csdata,"",@progbits
; Kernel info:
; codeLenInByte = 0
; TotalNumSgprs: 0
; NumVgprs: 0
; ScratchSize: 0
; MemoryBound: 0
; FloatMode: 240
; IeeeMode: 1
; LDSByteSize: 0 bytes/workgroup (compile time only)
; SGPRBlocks: 0
; VGPRBlocks: 0
; NumSGPRsForWavesPerEU: 1
; NumVGPRsForWavesPerEU: 1
; NamedBarCnt: 0
; Occupancy: 16
; WaveLimiterHint : 0
; COMPUTE_PGM_RSRC2:SCRATCH_EN: 0
; COMPUTE_PGM_RSRC2:USER_SGPR: 2
; COMPUTE_PGM_RSRC2:TRAP_HANDLER: 0
; COMPUTE_PGM_RSRC2:TGID_X_EN: 1
; COMPUTE_PGM_RSRC2:TGID_Y_EN: 0
; COMPUTE_PGM_RSRC2:TGID_Z_EN: 0
; COMPUTE_PGM_RSRC2:TIDIG_COMP_CNT: 0
	.section	.text._ZN7rocprim17ROCPRIM_400000_NS6detail17trampoline_kernelINS0_14default_configENS1_25partition_config_selectorILNS1_17partition_subalgoE8ElNS0_10empty_typeEbEEZZNS1_14partition_implILS5_8ELb0ES3_jPlPS6_PKS6_NS0_5tupleIJS9_S6_EEENSD_IJSA_SA_EEENS0_18inequality_wrapperIZN2at6native12_GLOBAL__N_124unique_dim_cuda_templateIN3c108BFloat16EEESt5tupleIJNSH_6TensorESO_SO_EERKSO_lbbbEUlllE0_EEPmJS6_EEE10hipError_tPvRmT3_T4_T5_T6_T7_T9_mT8_P12ihipStream_tbDpT10_ENKUlT_T0_E_clISt17integral_constantIbLb0EES1D_IbLb1EEEEDaS19_S1A_EUlS19_E_NS1_11comp_targetILNS1_3genE8ELNS1_11target_archE1030ELNS1_3gpuE2ELNS1_3repE0EEENS1_30default_config_static_selectorELNS0_4arch9wavefront6targetE0EEEvT1_,"axG",@progbits,_ZN7rocprim17ROCPRIM_400000_NS6detail17trampoline_kernelINS0_14default_configENS1_25partition_config_selectorILNS1_17partition_subalgoE8ElNS0_10empty_typeEbEEZZNS1_14partition_implILS5_8ELb0ES3_jPlPS6_PKS6_NS0_5tupleIJS9_S6_EEENSD_IJSA_SA_EEENS0_18inequality_wrapperIZN2at6native12_GLOBAL__N_124unique_dim_cuda_templateIN3c108BFloat16EEESt5tupleIJNSH_6TensorESO_SO_EERKSO_lbbbEUlllE0_EEPmJS6_EEE10hipError_tPvRmT3_T4_T5_T6_T7_T9_mT8_P12ihipStream_tbDpT10_ENKUlT_T0_E_clISt17integral_constantIbLb0EES1D_IbLb1EEEEDaS19_S1A_EUlS19_E_NS1_11comp_targetILNS1_3genE8ELNS1_11target_archE1030ELNS1_3gpuE2ELNS1_3repE0EEENS1_30default_config_static_selectorELNS0_4arch9wavefront6targetE0EEEvT1_,comdat
	.globl	_ZN7rocprim17ROCPRIM_400000_NS6detail17trampoline_kernelINS0_14default_configENS1_25partition_config_selectorILNS1_17partition_subalgoE8ElNS0_10empty_typeEbEEZZNS1_14partition_implILS5_8ELb0ES3_jPlPS6_PKS6_NS0_5tupleIJS9_S6_EEENSD_IJSA_SA_EEENS0_18inequality_wrapperIZN2at6native12_GLOBAL__N_124unique_dim_cuda_templateIN3c108BFloat16EEESt5tupleIJNSH_6TensorESO_SO_EERKSO_lbbbEUlllE0_EEPmJS6_EEE10hipError_tPvRmT3_T4_T5_T6_T7_T9_mT8_P12ihipStream_tbDpT10_ENKUlT_T0_E_clISt17integral_constantIbLb0EES1D_IbLb1EEEEDaS19_S1A_EUlS19_E_NS1_11comp_targetILNS1_3genE8ELNS1_11target_archE1030ELNS1_3gpuE2ELNS1_3repE0EEENS1_30default_config_static_selectorELNS0_4arch9wavefront6targetE0EEEvT1_ ; -- Begin function _ZN7rocprim17ROCPRIM_400000_NS6detail17trampoline_kernelINS0_14default_configENS1_25partition_config_selectorILNS1_17partition_subalgoE8ElNS0_10empty_typeEbEEZZNS1_14partition_implILS5_8ELb0ES3_jPlPS6_PKS6_NS0_5tupleIJS9_S6_EEENSD_IJSA_SA_EEENS0_18inequality_wrapperIZN2at6native12_GLOBAL__N_124unique_dim_cuda_templateIN3c108BFloat16EEESt5tupleIJNSH_6TensorESO_SO_EERKSO_lbbbEUlllE0_EEPmJS6_EEE10hipError_tPvRmT3_T4_T5_T6_T7_T9_mT8_P12ihipStream_tbDpT10_ENKUlT_T0_E_clISt17integral_constantIbLb0EES1D_IbLb1EEEEDaS19_S1A_EUlS19_E_NS1_11comp_targetILNS1_3genE8ELNS1_11target_archE1030ELNS1_3gpuE2ELNS1_3repE0EEENS1_30default_config_static_selectorELNS0_4arch9wavefront6targetE0EEEvT1_
	.p2align	8
	.type	_ZN7rocprim17ROCPRIM_400000_NS6detail17trampoline_kernelINS0_14default_configENS1_25partition_config_selectorILNS1_17partition_subalgoE8ElNS0_10empty_typeEbEEZZNS1_14partition_implILS5_8ELb0ES3_jPlPS6_PKS6_NS0_5tupleIJS9_S6_EEENSD_IJSA_SA_EEENS0_18inequality_wrapperIZN2at6native12_GLOBAL__N_124unique_dim_cuda_templateIN3c108BFloat16EEESt5tupleIJNSH_6TensorESO_SO_EERKSO_lbbbEUlllE0_EEPmJS6_EEE10hipError_tPvRmT3_T4_T5_T6_T7_T9_mT8_P12ihipStream_tbDpT10_ENKUlT_T0_E_clISt17integral_constantIbLb0EES1D_IbLb1EEEEDaS19_S1A_EUlS19_E_NS1_11comp_targetILNS1_3genE8ELNS1_11target_archE1030ELNS1_3gpuE2ELNS1_3repE0EEENS1_30default_config_static_selectorELNS0_4arch9wavefront6targetE0EEEvT1_,@function
_ZN7rocprim17ROCPRIM_400000_NS6detail17trampoline_kernelINS0_14default_configENS1_25partition_config_selectorILNS1_17partition_subalgoE8ElNS0_10empty_typeEbEEZZNS1_14partition_implILS5_8ELb0ES3_jPlPS6_PKS6_NS0_5tupleIJS9_S6_EEENSD_IJSA_SA_EEENS0_18inequality_wrapperIZN2at6native12_GLOBAL__N_124unique_dim_cuda_templateIN3c108BFloat16EEESt5tupleIJNSH_6TensorESO_SO_EERKSO_lbbbEUlllE0_EEPmJS6_EEE10hipError_tPvRmT3_T4_T5_T6_T7_T9_mT8_P12ihipStream_tbDpT10_ENKUlT_T0_E_clISt17integral_constantIbLb0EES1D_IbLb1EEEEDaS19_S1A_EUlS19_E_NS1_11comp_targetILNS1_3genE8ELNS1_11target_archE1030ELNS1_3gpuE2ELNS1_3repE0EEENS1_30default_config_static_selectorELNS0_4arch9wavefront6targetE0EEEvT1_: ; @_ZN7rocprim17ROCPRIM_400000_NS6detail17trampoline_kernelINS0_14default_configENS1_25partition_config_selectorILNS1_17partition_subalgoE8ElNS0_10empty_typeEbEEZZNS1_14partition_implILS5_8ELb0ES3_jPlPS6_PKS6_NS0_5tupleIJS9_S6_EEENSD_IJSA_SA_EEENS0_18inequality_wrapperIZN2at6native12_GLOBAL__N_124unique_dim_cuda_templateIN3c108BFloat16EEESt5tupleIJNSH_6TensorESO_SO_EERKSO_lbbbEUlllE0_EEPmJS6_EEE10hipError_tPvRmT3_T4_T5_T6_T7_T9_mT8_P12ihipStream_tbDpT10_ENKUlT_T0_E_clISt17integral_constantIbLb0EES1D_IbLb1EEEEDaS19_S1A_EUlS19_E_NS1_11comp_targetILNS1_3genE8ELNS1_11target_archE1030ELNS1_3gpuE2ELNS1_3repE0EEENS1_30default_config_static_selectorELNS0_4arch9wavefront6targetE0EEEvT1_
; %bb.0:
	.section	.rodata,"a",@progbits
	.p2align	6, 0x0
	.amdhsa_kernel _ZN7rocprim17ROCPRIM_400000_NS6detail17trampoline_kernelINS0_14default_configENS1_25partition_config_selectorILNS1_17partition_subalgoE8ElNS0_10empty_typeEbEEZZNS1_14partition_implILS5_8ELb0ES3_jPlPS6_PKS6_NS0_5tupleIJS9_S6_EEENSD_IJSA_SA_EEENS0_18inequality_wrapperIZN2at6native12_GLOBAL__N_124unique_dim_cuda_templateIN3c108BFloat16EEESt5tupleIJNSH_6TensorESO_SO_EERKSO_lbbbEUlllE0_EEPmJS6_EEE10hipError_tPvRmT3_T4_T5_T6_T7_T9_mT8_P12ihipStream_tbDpT10_ENKUlT_T0_E_clISt17integral_constantIbLb0EES1D_IbLb1EEEEDaS19_S1A_EUlS19_E_NS1_11comp_targetILNS1_3genE8ELNS1_11target_archE1030ELNS1_3gpuE2ELNS1_3repE0EEENS1_30default_config_static_selectorELNS0_4arch9wavefront6targetE0EEEvT1_
		.amdhsa_group_segment_fixed_size 0
		.amdhsa_private_segment_fixed_size 0
		.amdhsa_kernarg_size 136
		.amdhsa_user_sgpr_count 2
		.amdhsa_user_sgpr_dispatch_ptr 0
		.amdhsa_user_sgpr_queue_ptr 0
		.amdhsa_user_sgpr_kernarg_segment_ptr 1
		.amdhsa_user_sgpr_dispatch_id 0
		.amdhsa_user_sgpr_kernarg_preload_length 0
		.amdhsa_user_sgpr_kernarg_preload_offset 0
		.amdhsa_user_sgpr_private_segment_size 0
		.amdhsa_wavefront_size32 1
		.amdhsa_uses_dynamic_stack 0
		.amdhsa_enable_private_segment 0
		.amdhsa_system_sgpr_workgroup_id_x 1
		.amdhsa_system_sgpr_workgroup_id_y 0
		.amdhsa_system_sgpr_workgroup_id_z 0
		.amdhsa_system_sgpr_workgroup_info 0
		.amdhsa_system_vgpr_workitem_id 0
		.amdhsa_next_free_vgpr 1
		.amdhsa_next_free_sgpr 1
		.amdhsa_named_barrier_count 0
		.amdhsa_reserve_vcc 0
		.amdhsa_float_round_mode_32 0
		.amdhsa_float_round_mode_16_64 0
		.amdhsa_float_denorm_mode_32 3
		.amdhsa_float_denorm_mode_16_64 3
		.amdhsa_fp16_overflow 0
		.amdhsa_memory_ordered 1
		.amdhsa_forward_progress 1
		.amdhsa_inst_pref_size 0
		.amdhsa_round_robin_scheduling 0
		.amdhsa_exception_fp_ieee_invalid_op 0
		.amdhsa_exception_fp_denorm_src 0
		.amdhsa_exception_fp_ieee_div_zero 0
		.amdhsa_exception_fp_ieee_overflow 0
		.amdhsa_exception_fp_ieee_underflow 0
		.amdhsa_exception_fp_ieee_inexact 0
		.amdhsa_exception_int_div_zero 0
	.end_amdhsa_kernel
	.section	.text._ZN7rocprim17ROCPRIM_400000_NS6detail17trampoline_kernelINS0_14default_configENS1_25partition_config_selectorILNS1_17partition_subalgoE8ElNS0_10empty_typeEbEEZZNS1_14partition_implILS5_8ELb0ES3_jPlPS6_PKS6_NS0_5tupleIJS9_S6_EEENSD_IJSA_SA_EEENS0_18inequality_wrapperIZN2at6native12_GLOBAL__N_124unique_dim_cuda_templateIN3c108BFloat16EEESt5tupleIJNSH_6TensorESO_SO_EERKSO_lbbbEUlllE0_EEPmJS6_EEE10hipError_tPvRmT3_T4_T5_T6_T7_T9_mT8_P12ihipStream_tbDpT10_ENKUlT_T0_E_clISt17integral_constantIbLb0EES1D_IbLb1EEEEDaS19_S1A_EUlS19_E_NS1_11comp_targetILNS1_3genE8ELNS1_11target_archE1030ELNS1_3gpuE2ELNS1_3repE0EEENS1_30default_config_static_selectorELNS0_4arch9wavefront6targetE0EEEvT1_,"axG",@progbits,_ZN7rocprim17ROCPRIM_400000_NS6detail17trampoline_kernelINS0_14default_configENS1_25partition_config_selectorILNS1_17partition_subalgoE8ElNS0_10empty_typeEbEEZZNS1_14partition_implILS5_8ELb0ES3_jPlPS6_PKS6_NS0_5tupleIJS9_S6_EEENSD_IJSA_SA_EEENS0_18inequality_wrapperIZN2at6native12_GLOBAL__N_124unique_dim_cuda_templateIN3c108BFloat16EEESt5tupleIJNSH_6TensorESO_SO_EERKSO_lbbbEUlllE0_EEPmJS6_EEE10hipError_tPvRmT3_T4_T5_T6_T7_T9_mT8_P12ihipStream_tbDpT10_ENKUlT_T0_E_clISt17integral_constantIbLb0EES1D_IbLb1EEEEDaS19_S1A_EUlS19_E_NS1_11comp_targetILNS1_3genE8ELNS1_11target_archE1030ELNS1_3gpuE2ELNS1_3repE0EEENS1_30default_config_static_selectorELNS0_4arch9wavefront6targetE0EEEvT1_,comdat
.Lfunc_end1205:
	.size	_ZN7rocprim17ROCPRIM_400000_NS6detail17trampoline_kernelINS0_14default_configENS1_25partition_config_selectorILNS1_17partition_subalgoE8ElNS0_10empty_typeEbEEZZNS1_14partition_implILS5_8ELb0ES3_jPlPS6_PKS6_NS0_5tupleIJS9_S6_EEENSD_IJSA_SA_EEENS0_18inequality_wrapperIZN2at6native12_GLOBAL__N_124unique_dim_cuda_templateIN3c108BFloat16EEESt5tupleIJNSH_6TensorESO_SO_EERKSO_lbbbEUlllE0_EEPmJS6_EEE10hipError_tPvRmT3_T4_T5_T6_T7_T9_mT8_P12ihipStream_tbDpT10_ENKUlT_T0_E_clISt17integral_constantIbLb0EES1D_IbLb1EEEEDaS19_S1A_EUlS19_E_NS1_11comp_targetILNS1_3genE8ELNS1_11target_archE1030ELNS1_3gpuE2ELNS1_3repE0EEENS1_30default_config_static_selectorELNS0_4arch9wavefront6targetE0EEEvT1_, .Lfunc_end1205-_ZN7rocprim17ROCPRIM_400000_NS6detail17trampoline_kernelINS0_14default_configENS1_25partition_config_selectorILNS1_17partition_subalgoE8ElNS0_10empty_typeEbEEZZNS1_14partition_implILS5_8ELb0ES3_jPlPS6_PKS6_NS0_5tupleIJS9_S6_EEENSD_IJSA_SA_EEENS0_18inequality_wrapperIZN2at6native12_GLOBAL__N_124unique_dim_cuda_templateIN3c108BFloat16EEESt5tupleIJNSH_6TensorESO_SO_EERKSO_lbbbEUlllE0_EEPmJS6_EEE10hipError_tPvRmT3_T4_T5_T6_T7_T9_mT8_P12ihipStream_tbDpT10_ENKUlT_T0_E_clISt17integral_constantIbLb0EES1D_IbLb1EEEEDaS19_S1A_EUlS19_E_NS1_11comp_targetILNS1_3genE8ELNS1_11target_archE1030ELNS1_3gpuE2ELNS1_3repE0EEENS1_30default_config_static_selectorELNS0_4arch9wavefront6targetE0EEEvT1_
                                        ; -- End function
	.set _ZN7rocprim17ROCPRIM_400000_NS6detail17trampoline_kernelINS0_14default_configENS1_25partition_config_selectorILNS1_17partition_subalgoE8ElNS0_10empty_typeEbEEZZNS1_14partition_implILS5_8ELb0ES3_jPlPS6_PKS6_NS0_5tupleIJS9_S6_EEENSD_IJSA_SA_EEENS0_18inequality_wrapperIZN2at6native12_GLOBAL__N_124unique_dim_cuda_templateIN3c108BFloat16EEESt5tupleIJNSH_6TensorESO_SO_EERKSO_lbbbEUlllE0_EEPmJS6_EEE10hipError_tPvRmT3_T4_T5_T6_T7_T9_mT8_P12ihipStream_tbDpT10_ENKUlT_T0_E_clISt17integral_constantIbLb0EES1D_IbLb1EEEEDaS19_S1A_EUlS19_E_NS1_11comp_targetILNS1_3genE8ELNS1_11target_archE1030ELNS1_3gpuE2ELNS1_3repE0EEENS1_30default_config_static_selectorELNS0_4arch9wavefront6targetE0EEEvT1_.num_vgpr, 0
	.set _ZN7rocprim17ROCPRIM_400000_NS6detail17trampoline_kernelINS0_14default_configENS1_25partition_config_selectorILNS1_17partition_subalgoE8ElNS0_10empty_typeEbEEZZNS1_14partition_implILS5_8ELb0ES3_jPlPS6_PKS6_NS0_5tupleIJS9_S6_EEENSD_IJSA_SA_EEENS0_18inequality_wrapperIZN2at6native12_GLOBAL__N_124unique_dim_cuda_templateIN3c108BFloat16EEESt5tupleIJNSH_6TensorESO_SO_EERKSO_lbbbEUlllE0_EEPmJS6_EEE10hipError_tPvRmT3_T4_T5_T6_T7_T9_mT8_P12ihipStream_tbDpT10_ENKUlT_T0_E_clISt17integral_constantIbLb0EES1D_IbLb1EEEEDaS19_S1A_EUlS19_E_NS1_11comp_targetILNS1_3genE8ELNS1_11target_archE1030ELNS1_3gpuE2ELNS1_3repE0EEENS1_30default_config_static_selectorELNS0_4arch9wavefront6targetE0EEEvT1_.num_agpr, 0
	.set _ZN7rocprim17ROCPRIM_400000_NS6detail17trampoline_kernelINS0_14default_configENS1_25partition_config_selectorILNS1_17partition_subalgoE8ElNS0_10empty_typeEbEEZZNS1_14partition_implILS5_8ELb0ES3_jPlPS6_PKS6_NS0_5tupleIJS9_S6_EEENSD_IJSA_SA_EEENS0_18inequality_wrapperIZN2at6native12_GLOBAL__N_124unique_dim_cuda_templateIN3c108BFloat16EEESt5tupleIJNSH_6TensorESO_SO_EERKSO_lbbbEUlllE0_EEPmJS6_EEE10hipError_tPvRmT3_T4_T5_T6_T7_T9_mT8_P12ihipStream_tbDpT10_ENKUlT_T0_E_clISt17integral_constantIbLb0EES1D_IbLb1EEEEDaS19_S1A_EUlS19_E_NS1_11comp_targetILNS1_3genE8ELNS1_11target_archE1030ELNS1_3gpuE2ELNS1_3repE0EEENS1_30default_config_static_selectorELNS0_4arch9wavefront6targetE0EEEvT1_.numbered_sgpr, 0
	.set _ZN7rocprim17ROCPRIM_400000_NS6detail17trampoline_kernelINS0_14default_configENS1_25partition_config_selectorILNS1_17partition_subalgoE8ElNS0_10empty_typeEbEEZZNS1_14partition_implILS5_8ELb0ES3_jPlPS6_PKS6_NS0_5tupleIJS9_S6_EEENSD_IJSA_SA_EEENS0_18inequality_wrapperIZN2at6native12_GLOBAL__N_124unique_dim_cuda_templateIN3c108BFloat16EEESt5tupleIJNSH_6TensorESO_SO_EERKSO_lbbbEUlllE0_EEPmJS6_EEE10hipError_tPvRmT3_T4_T5_T6_T7_T9_mT8_P12ihipStream_tbDpT10_ENKUlT_T0_E_clISt17integral_constantIbLb0EES1D_IbLb1EEEEDaS19_S1A_EUlS19_E_NS1_11comp_targetILNS1_3genE8ELNS1_11target_archE1030ELNS1_3gpuE2ELNS1_3repE0EEENS1_30default_config_static_selectorELNS0_4arch9wavefront6targetE0EEEvT1_.num_named_barrier, 0
	.set _ZN7rocprim17ROCPRIM_400000_NS6detail17trampoline_kernelINS0_14default_configENS1_25partition_config_selectorILNS1_17partition_subalgoE8ElNS0_10empty_typeEbEEZZNS1_14partition_implILS5_8ELb0ES3_jPlPS6_PKS6_NS0_5tupleIJS9_S6_EEENSD_IJSA_SA_EEENS0_18inequality_wrapperIZN2at6native12_GLOBAL__N_124unique_dim_cuda_templateIN3c108BFloat16EEESt5tupleIJNSH_6TensorESO_SO_EERKSO_lbbbEUlllE0_EEPmJS6_EEE10hipError_tPvRmT3_T4_T5_T6_T7_T9_mT8_P12ihipStream_tbDpT10_ENKUlT_T0_E_clISt17integral_constantIbLb0EES1D_IbLb1EEEEDaS19_S1A_EUlS19_E_NS1_11comp_targetILNS1_3genE8ELNS1_11target_archE1030ELNS1_3gpuE2ELNS1_3repE0EEENS1_30default_config_static_selectorELNS0_4arch9wavefront6targetE0EEEvT1_.private_seg_size, 0
	.set _ZN7rocprim17ROCPRIM_400000_NS6detail17trampoline_kernelINS0_14default_configENS1_25partition_config_selectorILNS1_17partition_subalgoE8ElNS0_10empty_typeEbEEZZNS1_14partition_implILS5_8ELb0ES3_jPlPS6_PKS6_NS0_5tupleIJS9_S6_EEENSD_IJSA_SA_EEENS0_18inequality_wrapperIZN2at6native12_GLOBAL__N_124unique_dim_cuda_templateIN3c108BFloat16EEESt5tupleIJNSH_6TensorESO_SO_EERKSO_lbbbEUlllE0_EEPmJS6_EEE10hipError_tPvRmT3_T4_T5_T6_T7_T9_mT8_P12ihipStream_tbDpT10_ENKUlT_T0_E_clISt17integral_constantIbLb0EES1D_IbLb1EEEEDaS19_S1A_EUlS19_E_NS1_11comp_targetILNS1_3genE8ELNS1_11target_archE1030ELNS1_3gpuE2ELNS1_3repE0EEENS1_30default_config_static_selectorELNS0_4arch9wavefront6targetE0EEEvT1_.uses_vcc, 0
	.set _ZN7rocprim17ROCPRIM_400000_NS6detail17trampoline_kernelINS0_14default_configENS1_25partition_config_selectorILNS1_17partition_subalgoE8ElNS0_10empty_typeEbEEZZNS1_14partition_implILS5_8ELb0ES3_jPlPS6_PKS6_NS0_5tupleIJS9_S6_EEENSD_IJSA_SA_EEENS0_18inequality_wrapperIZN2at6native12_GLOBAL__N_124unique_dim_cuda_templateIN3c108BFloat16EEESt5tupleIJNSH_6TensorESO_SO_EERKSO_lbbbEUlllE0_EEPmJS6_EEE10hipError_tPvRmT3_T4_T5_T6_T7_T9_mT8_P12ihipStream_tbDpT10_ENKUlT_T0_E_clISt17integral_constantIbLb0EES1D_IbLb1EEEEDaS19_S1A_EUlS19_E_NS1_11comp_targetILNS1_3genE8ELNS1_11target_archE1030ELNS1_3gpuE2ELNS1_3repE0EEENS1_30default_config_static_selectorELNS0_4arch9wavefront6targetE0EEEvT1_.uses_flat_scratch, 0
	.set _ZN7rocprim17ROCPRIM_400000_NS6detail17trampoline_kernelINS0_14default_configENS1_25partition_config_selectorILNS1_17partition_subalgoE8ElNS0_10empty_typeEbEEZZNS1_14partition_implILS5_8ELb0ES3_jPlPS6_PKS6_NS0_5tupleIJS9_S6_EEENSD_IJSA_SA_EEENS0_18inequality_wrapperIZN2at6native12_GLOBAL__N_124unique_dim_cuda_templateIN3c108BFloat16EEESt5tupleIJNSH_6TensorESO_SO_EERKSO_lbbbEUlllE0_EEPmJS6_EEE10hipError_tPvRmT3_T4_T5_T6_T7_T9_mT8_P12ihipStream_tbDpT10_ENKUlT_T0_E_clISt17integral_constantIbLb0EES1D_IbLb1EEEEDaS19_S1A_EUlS19_E_NS1_11comp_targetILNS1_3genE8ELNS1_11target_archE1030ELNS1_3gpuE2ELNS1_3repE0EEENS1_30default_config_static_selectorELNS0_4arch9wavefront6targetE0EEEvT1_.has_dyn_sized_stack, 0
	.set _ZN7rocprim17ROCPRIM_400000_NS6detail17trampoline_kernelINS0_14default_configENS1_25partition_config_selectorILNS1_17partition_subalgoE8ElNS0_10empty_typeEbEEZZNS1_14partition_implILS5_8ELb0ES3_jPlPS6_PKS6_NS0_5tupleIJS9_S6_EEENSD_IJSA_SA_EEENS0_18inequality_wrapperIZN2at6native12_GLOBAL__N_124unique_dim_cuda_templateIN3c108BFloat16EEESt5tupleIJNSH_6TensorESO_SO_EERKSO_lbbbEUlllE0_EEPmJS6_EEE10hipError_tPvRmT3_T4_T5_T6_T7_T9_mT8_P12ihipStream_tbDpT10_ENKUlT_T0_E_clISt17integral_constantIbLb0EES1D_IbLb1EEEEDaS19_S1A_EUlS19_E_NS1_11comp_targetILNS1_3genE8ELNS1_11target_archE1030ELNS1_3gpuE2ELNS1_3repE0EEENS1_30default_config_static_selectorELNS0_4arch9wavefront6targetE0EEEvT1_.has_recursion, 0
	.set _ZN7rocprim17ROCPRIM_400000_NS6detail17trampoline_kernelINS0_14default_configENS1_25partition_config_selectorILNS1_17partition_subalgoE8ElNS0_10empty_typeEbEEZZNS1_14partition_implILS5_8ELb0ES3_jPlPS6_PKS6_NS0_5tupleIJS9_S6_EEENSD_IJSA_SA_EEENS0_18inequality_wrapperIZN2at6native12_GLOBAL__N_124unique_dim_cuda_templateIN3c108BFloat16EEESt5tupleIJNSH_6TensorESO_SO_EERKSO_lbbbEUlllE0_EEPmJS6_EEE10hipError_tPvRmT3_T4_T5_T6_T7_T9_mT8_P12ihipStream_tbDpT10_ENKUlT_T0_E_clISt17integral_constantIbLb0EES1D_IbLb1EEEEDaS19_S1A_EUlS19_E_NS1_11comp_targetILNS1_3genE8ELNS1_11target_archE1030ELNS1_3gpuE2ELNS1_3repE0EEENS1_30default_config_static_selectorELNS0_4arch9wavefront6targetE0EEEvT1_.has_indirect_call, 0
	.section	.AMDGPU.csdata,"",@progbits
; Kernel info:
; codeLenInByte = 0
; TotalNumSgprs: 0
; NumVgprs: 0
; ScratchSize: 0
; MemoryBound: 0
; FloatMode: 240
; IeeeMode: 1
; LDSByteSize: 0 bytes/workgroup (compile time only)
; SGPRBlocks: 0
; VGPRBlocks: 0
; NumSGPRsForWavesPerEU: 1
; NumVGPRsForWavesPerEU: 1
; NamedBarCnt: 0
; Occupancy: 16
; WaveLimiterHint : 0
; COMPUTE_PGM_RSRC2:SCRATCH_EN: 0
; COMPUTE_PGM_RSRC2:USER_SGPR: 2
; COMPUTE_PGM_RSRC2:TRAP_HANDLER: 0
; COMPUTE_PGM_RSRC2:TGID_X_EN: 1
; COMPUTE_PGM_RSRC2:TGID_Y_EN: 0
; COMPUTE_PGM_RSRC2:TGID_Z_EN: 0
; COMPUTE_PGM_RSRC2:TIDIG_COMP_CNT: 0
	.section	.text._ZN7rocprim17ROCPRIM_400000_NS6detail17trampoline_kernelINS0_14default_configENS1_25partition_config_selectorILNS1_17partition_subalgoE9EllbEEZZNS1_14partition_implILS5_9ELb0ES3_jPlS8_PNS0_10empty_typeENS0_5tupleIJS8_S9_EEENSB_IJS8_SA_EEENS0_18inequality_wrapperIZN2at6native12_GLOBAL__N_124unique_dim_cuda_templateIN3c108BFloat16EEESt5tupleIJNSF_6TensorESM_SM_EERKSM_lbbbEUlllE0_EEPmJS9_EEE10hipError_tPvRmT3_T4_T5_T6_T7_T9_mT8_P12ihipStream_tbDpT10_ENKUlT_T0_E_clISt17integral_constantIbLb0EES1C_EEDaS17_S18_EUlS17_E_NS1_11comp_targetILNS1_3genE0ELNS1_11target_archE4294967295ELNS1_3gpuE0ELNS1_3repE0EEENS1_30default_config_static_selectorELNS0_4arch9wavefront6targetE0EEEvT1_,"axG",@progbits,_ZN7rocprim17ROCPRIM_400000_NS6detail17trampoline_kernelINS0_14default_configENS1_25partition_config_selectorILNS1_17partition_subalgoE9EllbEEZZNS1_14partition_implILS5_9ELb0ES3_jPlS8_PNS0_10empty_typeENS0_5tupleIJS8_S9_EEENSB_IJS8_SA_EEENS0_18inequality_wrapperIZN2at6native12_GLOBAL__N_124unique_dim_cuda_templateIN3c108BFloat16EEESt5tupleIJNSF_6TensorESM_SM_EERKSM_lbbbEUlllE0_EEPmJS9_EEE10hipError_tPvRmT3_T4_T5_T6_T7_T9_mT8_P12ihipStream_tbDpT10_ENKUlT_T0_E_clISt17integral_constantIbLb0EES1C_EEDaS17_S18_EUlS17_E_NS1_11comp_targetILNS1_3genE0ELNS1_11target_archE4294967295ELNS1_3gpuE0ELNS1_3repE0EEENS1_30default_config_static_selectorELNS0_4arch9wavefront6targetE0EEEvT1_,comdat
	.globl	_ZN7rocprim17ROCPRIM_400000_NS6detail17trampoline_kernelINS0_14default_configENS1_25partition_config_selectorILNS1_17partition_subalgoE9EllbEEZZNS1_14partition_implILS5_9ELb0ES3_jPlS8_PNS0_10empty_typeENS0_5tupleIJS8_S9_EEENSB_IJS8_SA_EEENS0_18inequality_wrapperIZN2at6native12_GLOBAL__N_124unique_dim_cuda_templateIN3c108BFloat16EEESt5tupleIJNSF_6TensorESM_SM_EERKSM_lbbbEUlllE0_EEPmJS9_EEE10hipError_tPvRmT3_T4_T5_T6_T7_T9_mT8_P12ihipStream_tbDpT10_ENKUlT_T0_E_clISt17integral_constantIbLb0EES1C_EEDaS17_S18_EUlS17_E_NS1_11comp_targetILNS1_3genE0ELNS1_11target_archE4294967295ELNS1_3gpuE0ELNS1_3repE0EEENS1_30default_config_static_selectorELNS0_4arch9wavefront6targetE0EEEvT1_ ; -- Begin function _ZN7rocprim17ROCPRIM_400000_NS6detail17trampoline_kernelINS0_14default_configENS1_25partition_config_selectorILNS1_17partition_subalgoE9EllbEEZZNS1_14partition_implILS5_9ELb0ES3_jPlS8_PNS0_10empty_typeENS0_5tupleIJS8_S9_EEENSB_IJS8_SA_EEENS0_18inequality_wrapperIZN2at6native12_GLOBAL__N_124unique_dim_cuda_templateIN3c108BFloat16EEESt5tupleIJNSF_6TensorESM_SM_EERKSM_lbbbEUlllE0_EEPmJS9_EEE10hipError_tPvRmT3_T4_T5_T6_T7_T9_mT8_P12ihipStream_tbDpT10_ENKUlT_T0_E_clISt17integral_constantIbLb0EES1C_EEDaS17_S18_EUlS17_E_NS1_11comp_targetILNS1_3genE0ELNS1_11target_archE4294967295ELNS1_3gpuE0ELNS1_3repE0EEENS1_30default_config_static_selectorELNS0_4arch9wavefront6targetE0EEEvT1_
	.p2align	8
	.type	_ZN7rocprim17ROCPRIM_400000_NS6detail17trampoline_kernelINS0_14default_configENS1_25partition_config_selectorILNS1_17partition_subalgoE9EllbEEZZNS1_14partition_implILS5_9ELb0ES3_jPlS8_PNS0_10empty_typeENS0_5tupleIJS8_S9_EEENSB_IJS8_SA_EEENS0_18inequality_wrapperIZN2at6native12_GLOBAL__N_124unique_dim_cuda_templateIN3c108BFloat16EEESt5tupleIJNSF_6TensorESM_SM_EERKSM_lbbbEUlllE0_EEPmJS9_EEE10hipError_tPvRmT3_T4_T5_T6_T7_T9_mT8_P12ihipStream_tbDpT10_ENKUlT_T0_E_clISt17integral_constantIbLb0EES1C_EEDaS17_S18_EUlS17_E_NS1_11comp_targetILNS1_3genE0ELNS1_11target_archE4294967295ELNS1_3gpuE0ELNS1_3repE0EEENS1_30default_config_static_selectorELNS0_4arch9wavefront6targetE0EEEvT1_,@function
_ZN7rocprim17ROCPRIM_400000_NS6detail17trampoline_kernelINS0_14default_configENS1_25partition_config_selectorILNS1_17partition_subalgoE9EllbEEZZNS1_14partition_implILS5_9ELb0ES3_jPlS8_PNS0_10empty_typeENS0_5tupleIJS8_S9_EEENSB_IJS8_SA_EEENS0_18inequality_wrapperIZN2at6native12_GLOBAL__N_124unique_dim_cuda_templateIN3c108BFloat16EEESt5tupleIJNSF_6TensorESM_SM_EERKSM_lbbbEUlllE0_EEPmJS9_EEE10hipError_tPvRmT3_T4_T5_T6_T7_T9_mT8_P12ihipStream_tbDpT10_ENKUlT_T0_E_clISt17integral_constantIbLb0EES1C_EEDaS17_S18_EUlS17_E_NS1_11comp_targetILNS1_3genE0ELNS1_11target_archE4294967295ELNS1_3gpuE0ELNS1_3repE0EEENS1_30default_config_static_selectorELNS0_4arch9wavefront6targetE0EEEvT1_: ; @_ZN7rocprim17ROCPRIM_400000_NS6detail17trampoline_kernelINS0_14default_configENS1_25partition_config_selectorILNS1_17partition_subalgoE9EllbEEZZNS1_14partition_implILS5_9ELb0ES3_jPlS8_PNS0_10empty_typeENS0_5tupleIJS8_S9_EEENSB_IJS8_SA_EEENS0_18inequality_wrapperIZN2at6native12_GLOBAL__N_124unique_dim_cuda_templateIN3c108BFloat16EEESt5tupleIJNSF_6TensorESM_SM_EERKSM_lbbbEUlllE0_EEPmJS9_EEE10hipError_tPvRmT3_T4_T5_T6_T7_T9_mT8_P12ihipStream_tbDpT10_ENKUlT_T0_E_clISt17integral_constantIbLb0EES1C_EEDaS17_S18_EUlS17_E_NS1_11comp_targetILNS1_3genE0ELNS1_11target_archE4294967295ELNS1_3gpuE0ELNS1_3repE0EEENS1_30default_config_static_selectorELNS0_4arch9wavefront6targetE0EEEvT1_
; %bb.0:
	s_clause 0x2
	s_load_b128 s[4:7], s[0:1], 0x8
	s_load_b256 s[12:19], s[0:1], 0x40
	s_load_b32 s2, s[0:1], 0x70
	s_bfe_u32 s10, ttmp6, 0x4000c
	s_and_b32 s8, ttmp6, 15
	s_add_co_i32 s10, s10, 1
	s_load_b64 s[20:21], s[0:1], 0x18
	s_mul_i32 s10, ttmp9, s10
	s_getreg_b32 s24, hwreg(HW_REG_IB_STS2, 6, 4)
	s_add_co_i32 s10, s8, s10
	s_mov_b32 s9, 0
	v_dual_mov_b32 v1, v0 :: v_dual_lshlrev_b32 v34, 3, v0
	s_mov_b32 s11, s9
	s_mov_b32 s3, -1
	s_wait_kmcnt 0x0
	s_lshl_b64 s[22:23], s[6:7], 3
	s_load_b64 s[14:15], s[14:15], 0x0
	s_mul_i32 s8, s2, 0x280
	s_cmp_eq_u32 s24, 0
	s_add_nc_u64 s[24:25], s[6:7], s[8:9]
	s_cselect_b32 s26, ttmp9, s10
	s_add_co_i32 s8, s8, s6
	v_cmp_le_u64_e64 s9, s[16:17], s[24:25]
	s_sub_co_i32 s27, s16, s8
	s_add_co_i32 s2, s2, -1
	s_addk_co_i32 s27, 0x280
	s_cmp_eq_u32 s26, s2
	s_mul_i32 s10, s26, 0x280
	s_cselect_b32 s24, -1, 0
	s_add_nc_u64 s[4:5], s[4:5], s[22:23]
	s_and_b32 s28, s24, s9
	s_lshl_b64 s[16:17], s[10:11], 3
	s_xor_b32 s25, s28, -1
	s_add_nc_u64 s[4:5], s[4:5], s[16:17]
	s_and_b32 vcc_lo, exec_lo, s25
	s_cbranch_vccz .LBB1206_2
; %bb.1:
	s_clause 0x4
	global_load_b64 v[2:3], v0, s[4:5] scale_offset
	global_load_b64 v[4:5], v0, s[4:5] offset:1024 scale_offset
	global_load_b64 v[6:7], v0, s[4:5] offset:2048 scale_offset
	;; [unrolled: 1-line block ×4, first 2 shown]
	v_lshlrev_b32_e32 v12, 3, v0
	s_mov_b32 s3, 0
	s_wait_loadcnt 0x3
	ds_store_2addr_stride64_b64 v12, v[2:3], v[4:5] offset1:2
	s_wait_loadcnt 0x1
	ds_store_2addr_stride64_b64 v12, v[6:7], v[8:9] offset0:4 offset1:6
	s_wait_loadcnt 0x0
	ds_store_b64 v12, v[10:11] offset:4096
	s_wait_dscnt 0x0
	s_barrier_signal -1
	s_barrier_wait -1
.LBB1206_2:
	s_load_b128 s[8:11], s[0:1], 0x60
	v_cmp_gt_u32_e64 s2, s27, v0
	s_and_not1_b32 vcc_lo, exec_lo, s3
	s_cbranch_vccnz .LBB1206_14
; %bb.3:
	v_mov_b32_e32 v2, 0
	s_delay_alu instid0(VALU_DEP_1)
	v_dual_mov_b32 v3, v2 :: v_dual_mov_b32 v4, v2
	v_dual_mov_b32 v5, v2 :: v_dual_mov_b32 v6, v2
	;; [unrolled: 1-line block ×4, first 2 shown]
	v_mov_b32_e32 v11, v2
	s_and_saveexec_b32 s3, s2
	s_cbranch_execz .LBB1206_5
; %bb.4:
	global_load_b64 v[4:5], v0, s[4:5] scale_offset
	v_dual_mov_b32 v6, v2 :: v_dual_mov_b32 v7, v2
	v_dual_mov_b32 v8, v2 :: v_dual_mov_b32 v9, v2
	;; [unrolled: 1-line block ×4, first 2 shown]
	s_wait_loadcnt 0x0
	v_mov_b64_e32 v[2:3], v[4:5]
	v_mov_b64_e32 v[4:5], v[6:7]
	;; [unrolled: 1-line block ×8, first 2 shown]
.LBB1206_5:
	s_or_b32 exec_lo, exec_lo, s3
	v_or_b32_e32 v12, 0x80, v0
	s_mov_b32 s2, exec_lo
	s_delay_alu instid0(VALU_DEP_1)
	v_cmpx_gt_u32_e64 s27, v12
	s_cbranch_execz .LBB1206_7
; %bb.6:
	global_load_b64 v[4:5], v0, s[4:5] offset:1024 scale_offset
.LBB1206_7:
	s_wait_xcnt 0x0
	s_or_b32 exec_lo, exec_lo, s2
	v_or_b32_e32 v12, 0x100, v0
	s_mov_b32 s2, exec_lo
	s_delay_alu instid0(VALU_DEP_1)
	v_cmpx_gt_u32_e64 s27, v12
	s_cbranch_execz .LBB1206_9
; %bb.8:
	global_load_b64 v[6:7], v0, s[4:5] offset:2048 scale_offset
.LBB1206_9:
	s_wait_xcnt 0x0
	;; [unrolled: 10-line block ×4, first 2 shown]
	s_or_b32 exec_lo, exec_lo, s2
	v_lshlrev_b32_e32 v12, 3, v0
	s_wait_loadcnt 0x0
	ds_store_2addr_stride64_b64 v12, v[2:3], v[4:5] offset1:2
	ds_store_2addr_stride64_b64 v12, v[6:7], v[8:9] offset0:4 offset1:6
	ds_store_b64 v12, v[10:11] offset:4096
	s_wait_dscnt 0x0
	s_barrier_signal -1
	s_barrier_wait -1
.LBB1206_14:
	v_mul_u32_u24_e32 v30, 5, v0
	s_add_nc_u64 s[2:3], s[20:21], s[22:23]
	s_and_b32 vcc_lo, exec_lo, s25
	s_add_nc_u64 s[2:3], s[2:3], s[16:17]
	s_delay_alu instid0(VALU_DEP_1)
	v_lshlrev_b32_e32 v28, 3, v30
	s_mov_b32 s16, -1
	ds_load_2addr_b64 v[14:17], v28 offset1:1
	ds_load_2addr_b64 v[10:13], v28 offset0:2 offset1:3
	ds_load_b64 v[20:21], v28 offset:32
	s_wait_dscnt 0x0
	s_barrier_signal -1
	s_barrier_wait -1
	s_cbranch_vccz .LBB1206_16
; %bb.15:
	s_clause 0x4
	global_load_b64 v[2:3], v0, s[2:3] scale_offset
	global_load_b64 v[4:5], v0, s[2:3] offset:1024 scale_offset
	global_load_b64 v[6:7], v0, s[2:3] offset:2048 scale_offset
	;; [unrolled: 1-line block ×4, first 2 shown]
	v_lshlrev_b32_e32 v22, 3, v0
	s_mov_b32 s16, 0
	s_wait_loadcnt 0x3
	ds_store_2addr_stride64_b64 v22, v[2:3], v[4:5] offset1:2
	s_wait_loadcnt 0x1
	ds_store_2addr_stride64_b64 v22, v[6:7], v[8:9] offset0:4 offset1:6
	s_wait_loadcnt 0x0
	ds_store_b64 v22, v[18:19] offset:4096
	s_wait_dscnt 0x0
	s_barrier_signal -1
	s_barrier_wait -1
.LBB1206_16:
	s_and_not1_b32 vcc_lo, exec_lo, s16
	s_cbranch_vccnz .LBB1206_28
; %bb.17:
	s_mov_b32 s16, exec_lo
                                        ; implicit-def: $vgpr2_vgpr3
	v_cmpx_gt_u32_e64 s27, v0
	s_cbranch_execz .LBB1206_19
; %bb.18:
	global_load_b64 v[2:3], v0, s[2:3] scale_offset
.LBB1206_19:
	s_wait_xcnt 0x0
	s_or_b32 exec_lo, exec_lo, s16
	v_or_b32_e32 v4, 0x80, v0
	s_delay_alu instid0(VALU_DEP_1)
	v_cmp_gt_u32_e32 vcc_lo, s27, v4
                                        ; implicit-def: $vgpr4_vgpr5
	s_and_saveexec_b32 s16, vcc_lo
	s_cbranch_execz .LBB1206_21
; %bb.20:
	global_load_b64 v[4:5], v0, s[2:3] offset:1024 scale_offset
.LBB1206_21:
	s_wait_xcnt 0x0
	s_or_b32 exec_lo, exec_lo, s16
	v_or_b32_e32 v6, 0x100, v0
	s_delay_alu instid0(VALU_DEP_1)
	v_cmp_gt_u32_e32 vcc_lo, s27, v6
                                        ; implicit-def: $vgpr6_vgpr7
	s_and_saveexec_b32 s16, vcc_lo
	s_cbranch_execz .LBB1206_23
; %bb.22:
	global_load_b64 v[6:7], v0, s[2:3] offset:2048 scale_offset
.LBB1206_23:
	s_wait_xcnt 0x0
	s_or_b32 exec_lo, exec_lo, s16
	v_or_b32_e32 v8, 0x180, v0
	s_delay_alu instid0(VALU_DEP_1)
	v_cmp_gt_u32_e32 vcc_lo, s27, v8
                                        ; implicit-def: $vgpr8_vgpr9
	s_and_saveexec_b32 s16, vcc_lo
	s_cbranch_execz .LBB1206_25
; %bb.24:
	global_load_b64 v[8:9], v0, s[2:3] offset:3072 scale_offset
.LBB1206_25:
	s_wait_xcnt 0x0
	s_or_b32 exec_lo, exec_lo, s16
	v_or_b32_e32 v18, 0x200, v0
	s_delay_alu instid0(VALU_DEP_1)
	v_cmp_gt_u32_e32 vcc_lo, s27, v18
                                        ; implicit-def: $vgpr18_vgpr19
	s_and_saveexec_b32 s16, vcc_lo
	s_cbranch_execz .LBB1206_27
; %bb.26:
	global_load_b64 v[18:19], v0, s[2:3] offset:4096 scale_offset
.LBB1206_27:
	s_wait_xcnt 0x0
	s_or_b32 exec_lo, exec_lo, s16
	v_lshlrev_b32_e32 v22, 5, v0
	s_delay_alu instid0(VALU_DEP_1)
	v_sub_nc_u32_e32 v22, v28, v22
	s_wait_loadcnt 0x0
	ds_store_2addr_stride64_b64 v22, v[2:3], v[4:5] offset1:2
	ds_store_2addr_stride64_b64 v22, v[6:7], v[8:9] offset0:4 offset1:6
	ds_store_b64 v22, v[18:19] offset:4096
	s_wait_dscnt 0x0
	s_barrier_signal -1
	s_barrier_wait -1
.LBB1206_28:
	ds_load_b64 v[18:19], v28 offset:32
	ds_load_2addr_b64 v[2:5], v28 offset0:2 offset1:3
	ds_load_2addr_b64 v[6:9], v28 offset1:1
	s_cmp_lg_u32 s26, 0
	v_cmp_gt_i64_e64 s17, s[18:19], 0
	s_cselect_b32 s16, -1, 0
	s_cmp_lg_u64 s[6:7], 0
	s_mov_b32 s6, 0
	s_cselect_b32 s2, -1, 0
	s_wait_dscnt 0x0
	s_or_b32 s2, s16, s2
	s_barrier_signal -1
	s_and_b32 vcc_lo, exec_lo, s2
	s_barrier_wait -1
	s_cbranch_vccz .LBB1206_40
; %bb.29:
	s_add_nc_u64 s[2:3], s[4:5], -8
	v_cndmask_b32_e64 v29, 0, 1, s17
	s_load_b64 s[4:5], s[2:3], 0x0
	v_lshlrev_b32_e32 v31, 3, v0
	s_and_b32 vcc_lo, exec_lo, s25
	s_wait_xcnt 0x0
	v_cmp_ne_u32_e64 s2, 1, v29
	ds_store_b64 v31, v[20:21]
	s_cbranch_vccz .LBB1206_42
; %bb.30:
	s_and_b32 vcc_lo, exec_lo, s2
	s_cbranch_vccnz .LBB1206_43
; %bb.31:
	v_mul_u64_e32 v[22:23], s[18:19], v[12:13]
	v_mul_u64_e32 v[24:25], s[18:19], v[20:21]
	s_add_nc_u64 s[6:7], s[18:19], -1
	s_mov_b32 s21, 0
	s_mov_b64 s[2:3], s[6:7]
                                        ; implicit-def: $sgpr20
	s_wait_kmcnt 0x0
	s_delay_alu instid0(VALU_DEP_2) | instskip(NEXT) | instid1(VALU_DEP_2)
	v_lshl_add_u64 v[22:23], v[22:23], 1, s[8:9]
	v_lshl_add_u64 v[24:25], v[24:25], 1, s[8:9]
	s_delay_alu instid0(VALU_DEP_2)
	v_mov_b64_e32 v[26:27], v[22:23]
.LBB1206_32:                            ; =>This Inner Loop Header: Depth=1
	global_load_u16 v32, v[24:25], off
	global_load_u16 v33, v[26:27], off
	s_cmp_eq_u64 s[2:3], 0
	s_add_nc_u64 s[22:23], s[2:3], -1
	s_cselect_b32 s3, -1, 0
	s_wait_xcnt 0x0
	v_add_nc_u64_e32 v[26:27], 2, v[26:27]
	v_add_nc_u64_e32 v[24:25], 2, v[24:25]
	s_wait_loadcnt 0x0
	v_dual_lshlrev_b32 v32, 16, v32 :: v_dual_lshlrev_b32 v33, 16, v33
	s_delay_alu instid0(VALU_DEP_1) | instskip(SKIP_2) | instid1(SALU_CYCLE_1)
	v_cmp_neq_f32_e32 vcc_lo, v33, v32
	v_cmp_eq_f32_e64 s2, v33, v32
	s_or_b32 s3, vcc_lo, s3
	s_and_b32 s3, exec_lo, s3
	s_delay_alu instid0(SALU_CYCLE_1)
	s_or_b32 s21, s3, s21
	s_and_not1_b32 s20, s20, exec_lo
	s_and_b32 s29, s2, exec_lo
	s_mov_b64 s[2:3], s[22:23]
	s_or_b32 s20, s20, s29
	s_and_not1_b32 exec_lo, exec_lo, s21
	s_cbranch_execnz .LBB1206_32
; %bb.33:
	s_or_b32 exec_lo, exec_lo, s21
	v_mul_u64_e32 v[24:25], s[18:19], v[10:11]
	s_mov_b32 s22, 0
	s_mov_b64 s[2:3], s[6:7]
                                        ; implicit-def: $sgpr21
	s_delay_alu instid0(VALU_DEP_1) | instskip(NEXT) | instid1(VALU_DEP_1)
	v_lshl_add_u64 v[24:25], v[24:25], 1, s[8:9]
	v_mov_b64_e32 v[26:27], v[24:25]
.LBB1206_34:                            ; =>This Inner Loop Header: Depth=1
	global_load_u16 v32, v[22:23], off
	global_load_u16 v33, v[26:27], off
	s_cmp_eq_u64 s[2:3], 0
	s_add_nc_u64 s[30:31], s[2:3], -1
	s_cselect_b32 s3, -1, 0
	s_wait_xcnt 0x0
	v_add_nc_u64_e32 v[26:27], 2, v[26:27]
	v_add_nc_u64_e32 v[22:23], 2, v[22:23]
	s_wait_loadcnt 0x0
	v_dual_lshlrev_b32 v32, 16, v32 :: v_dual_lshlrev_b32 v33, 16, v33
	s_delay_alu instid0(VALU_DEP_1) | instskip(SKIP_2) | instid1(SALU_CYCLE_1)
	v_cmp_neq_f32_e32 vcc_lo, v33, v32
	v_cmp_eq_f32_e64 s2, v33, v32
	s_or_b32 s3, vcc_lo, s3
	s_and_b32 s3, exec_lo, s3
	s_delay_alu instid0(SALU_CYCLE_1)
	s_or_b32 s22, s3, s22
	s_and_not1_b32 s21, s21, exec_lo
	s_and_b32 s23, s2, exec_lo
	s_mov_b64 s[2:3], s[30:31]
	s_or_b32 s21, s21, s23
	s_and_not1_b32 exec_lo, exec_lo, s22
	s_cbranch_execnz .LBB1206_34
; %bb.35:
	s_or_b32 exec_lo, exec_lo, s22
	v_mul_u64_e32 v[22:23], s[18:19], v[16:17]
	s_mov_b32 s23, 0
	s_mov_b64 s[2:3], s[6:7]
                                        ; implicit-def: $sgpr22
	s_delay_alu instid0(VALU_DEP_1) | instskip(NEXT) | instid1(VALU_DEP_1)
	v_lshl_add_u64 v[22:23], v[22:23], 1, s[8:9]
	v_mov_b64_e32 v[26:27], v[22:23]
.LBB1206_36:                            ; =>This Inner Loop Header: Depth=1
	global_load_u16 v32, v[24:25], off
	global_load_u16 v33, v[26:27], off
	s_cmp_eq_u64 s[2:3], 0
	s_add_nc_u64 s[30:31], s[2:3], -1
	s_cselect_b32 s3, -1, 0
	s_wait_xcnt 0x0
	v_add_nc_u64_e32 v[26:27], 2, v[26:27]
	v_add_nc_u64_e32 v[24:25], 2, v[24:25]
	s_wait_loadcnt 0x0
	v_dual_lshlrev_b32 v32, 16, v32 :: v_dual_lshlrev_b32 v33, 16, v33
	s_delay_alu instid0(VALU_DEP_1) | instskip(SKIP_2) | instid1(SALU_CYCLE_1)
	v_cmp_neq_f32_e32 vcc_lo, v33, v32
	v_cmp_eq_f32_e64 s2, v33, v32
	s_or_b32 s3, vcc_lo, s3
	s_and_b32 s3, exec_lo, s3
	s_delay_alu instid0(SALU_CYCLE_1)
	s_or_b32 s23, s3, s23
	s_and_not1_b32 s22, s22, exec_lo
	s_and_b32 s29, s2, exec_lo
	s_mov_b64 s[2:3], s[30:31]
	s_or_b32 s22, s22, s29
	s_and_not1_b32 exec_lo, exec_lo, s23
	s_cbranch_execnz .LBB1206_36
; %bb.37:
	s_or_b32 exec_lo, exec_lo, s23
	v_mul_u64_e32 v[24:25], s[18:19], v[14:15]
	s_mov_b32 s23, 0
                                        ; implicit-def: $sgpr3
	s_delay_alu instid0(VALU_DEP_1)
	v_lshl_add_u64 v[24:25], v[24:25], 1, s[8:9]
.LBB1206_38:                            ; =>This Inner Loop Header: Depth=1
	global_load_u16 v26, v[22:23], off
	global_load_u16 v27, v[24:25], off
	s_cmp_eq_u64 s[6:7], 0
	s_add_nc_u64 s[30:31], s[6:7], -1
	s_cselect_b32 s6, -1, 0
	s_wait_xcnt 0x0
	v_add_nc_u64_e32 v[24:25], 2, v[24:25]
	v_add_nc_u64_e32 v[22:23], 2, v[22:23]
	s_wait_loadcnt 0x0
	v_dual_lshlrev_b32 v26, 16, v26 :: v_dual_lshlrev_b32 v27, 16, v27
	s_delay_alu instid0(VALU_DEP_1) | instskip(SKIP_2) | instid1(SALU_CYCLE_1)
	v_cmp_neq_f32_e32 vcc_lo, v27, v26
	v_cmp_eq_f32_e64 s2, v27, v26
	s_or_b32 s6, vcc_lo, s6
	s_and_b32 s6, exec_lo, s6
	s_delay_alu instid0(SALU_CYCLE_1)
	s_or_b32 s23, s6, s23
	s_and_not1_b32 s3, s3, exec_lo
	s_and_b32 s2, s2, exec_lo
	s_mov_b64 s[6:7], s[30:31]
	s_or_b32 s3, s3, s2
	s_and_not1_b32 exec_lo, exec_lo, s23
	s_cbranch_execnz .LBB1206_38
; %bb.39:
	s_or_b32 exec_lo, exec_lo, s23
	s_xor_b32 s2, s21, -1
	s_xor_b32 s3, s3, -1
	v_cndmask_b32_e64 v22, 0, 1, s2
	s_xor_b32 s2, s22, -1
	s_delay_alu instid0(SALU_CYCLE_1) | instskip(SKIP_1) | instid1(VALU_DEP_2)
	v_cndmask_b32_e64 v23, 0, 1, s2
	s_xor_b32 s2, s20, -1
	v_lshlrev_b16 v22, 8, v22
	v_cndmask_b32_e64 v35, 0, 1, s2
	s_delay_alu instid0(VALU_DEP_2) | instskip(NEXT) | instid1(VALU_DEP_1)
	v_lshrrev_b32_e32 v22, 8, v22
	v_lshlrev_b16 v22, 8, v22
	s_delay_alu instid0(VALU_DEP_1) | instskip(NEXT) | instid1(VALU_DEP_1)
	v_or_b32_e32 v22, v23, v22
	v_lshlrev_b32_e32 v24, 16, v22
	s_branch .LBB1206_44
.LBB1206_40:
                                        ; implicit-def: $sgpr2
                                        ; implicit-def: $vgpr35
                                        ; implicit-def: $vgpr25
	s_branch .LBB1206_85
.LBB1206_41:
                                        ; implicit-def: $vgpr24
                                        ; implicit-def: $vgpr23
                                        ; implicit-def: $vgpr36
                                        ; implicit-def: $vgpr22
	s_branch .LBB1206_138
.LBB1206_42:
                                        ; implicit-def: $sgpr2
                                        ; implicit-def: $vgpr35
                                        ; implicit-def: $vgpr25
	s_cbranch_execnz .LBB1206_51
	s_branch .LBB1206_84
.LBB1206_43:
	v_dual_mov_b32 v24, 0 :: v_dual_mov_b32 v35, 0
	s_mov_b32 s3, 0
.LBB1206_44:
	s_wait_kmcnt 0x0
	v_mov_b64_e32 v[22:23], s[4:5]
	s_mov_b32 s2, 0
	s_mov_b32 s6, exec_lo
	s_wait_dscnt 0x0
	s_barrier_signal -1
	s_barrier_wait -1
	v_cmpx_ne_u32_e32 0, v0
; %bb.45:
	v_add_nc_u32_e32 v22, -8, v31
	ds_load_b64 v[22:23], v22
; %bb.46:
	s_or_b32 exec_lo, exec_lo, s6
	v_cndmask_b32_e64 v25, 0, 1, s3
	v_lshrrev_b32_e32 v26, 16, v24
	s_and_not1_b32 vcc_lo, exec_lo, s17
	s_delay_alu instid0(VALU_DEP_2) | instskip(NEXT) | instid1(VALU_DEP_2)
	v_lshlrev_b16 v25, 8, v25
	v_perm_b32 v26, v26, v24, 0xc0c0304
	s_delay_alu instid0(VALU_DEP_2) | instskip(NEXT) | instid1(VALU_DEP_1)
	v_bitop3_b16 v25, v24, v25, 0xff bitop3:0xec
	v_and_b32_e32 v27, 0xffff, v25
	s_cbranch_vccnz .LBB1206_50
; %bb.47:
	s_wait_dscnt 0x0
	v_mul_u64_e32 v[22:23], s[18:19], v[22:23]
	v_mul_u64_e32 v[24:25], s[18:19], v[14:15]
	s_add_nc_u64 s[2:3], s[18:19], -1
	s_mov_b32 s6, 0
                                        ; implicit-def: $sgpr7
	s_delay_alu instid0(VALU_DEP_2) | instskip(NEXT) | instid1(VALU_DEP_2)
	v_lshl_add_u64 v[22:23], v[22:23], 1, s[8:9]
	v_lshl_add_u64 v[24:25], v[24:25], 1, s[8:9]
.LBB1206_48:                            ; =>This Inner Loop Header: Depth=1
	global_load_u16 v32, v[24:25], off
	global_load_u16 v33, v[22:23], off
	s_cmp_eq_u64 s[2:3], 0
	s_add_nc_u64 s[20:21], s[2:3], -1
	s_cselect_b32 s3, -1, 0
	s_wait_xcnt 0x0
	v_add_nc_u64_e32 v[22:23], 2, v[22:23]
	v_add_nc_u64_e32 v[24:25], 2, v[24:25]
	s_wait_loadcnt 0x0
	v_dual_lshlrev_b32 v32, 16, v32 :: v_dual_lshlrev_b32 v33, 16, v33
	s_delay_alu instid0(VALU_DEP_1) | instskip(SKIP_2) | instid1(SALU_CYCLE_1)
	v_cmp_neq_f32_e32 vcc_lo, v33, v32
	v_cmp_eq_f32_e64 s2, v33, v32
	s_or_b32 s3, vcc_lo, s3
	s_and_b32 s3, exec_lo, s3
	s_delay_alu instid0(SALU_CYCLE_1)
	s_or_b32 s6, s3, s6
	s_and_not1_b32 s7, s7, exec_lo
	s_and_b32 s22, s2, exec_lo
	s_mov_b64 s[2:3], s[20:21]
	s_or_b32 s7, s7, s22
	s_and_not1_b32 exec_lo, exec_lo, s6
	s_cbranch_execnz .LBB1206_48
; %bb.49:
	s_or_b32 exec_lo, exec_lo, s6
	s_xor_b32 s2, s7, -1
.LBB1206_50:
	s_delay_alu instid0(VALU_DEP_1)
	v_lshl_or_b32 v25, v26, 16, v27
	s_branch .LBB1206_84
.LBB1206_51:
	s_wait_dscnt 0x0
	v_add_nc_u32_e32 v22, 4, v30
	s_mov_b32 s7, 0
	s_mov_b32 s6, 0
	s_mov_b32 s20, exec_lo
	s_delay_alu instid0(VALU_DEP_1)
	v_cmpx_gt_u32_e64 s27, v22
	s_cbranch_execz .LBB1206_57
; %bb.52:
	s_and_not1_b32 vcc_lo, exec_lo, s17
	s_mov_b32 s2, 0
	s_cbranch_vccnz .LBB1206_56
; %bb.53:
	v_mul_u64_e32 v[22:23], s[18:19], v[12:13]
	v_mul_u64_e32 v[24:25], s[18:19], v[20:21]
	s_add_nc_u64 s[2:3], s[18:19], -1
                                        ; implicit-def: $sgpr17
	s_wait_kmcnt 0x0
	s_delay_alu instid0(VALU_DEP_2) | instskip(NEXT) | instid1(VALU_DEP_2)
	v_lshl_add_u64 v[22:23], v[22:23], 1, s[8:9]
	v_lshl_add_u64 v[24:25], v[24:25], 1, s[8:9]
.LBB1206_54:                            ; =>This Inner Loop Header: Depth=1
	global_load_u16 v26, v[24:25], off
	global_load_u16 v27, v[22:23], off
	s_cmp_eq_u64 s[2:3], 0
	s_add_nc_u64 s[22:23], s[2:3], -1
	s_cselect_b32 s3, -1, 0
	s_wait_xcnt 0x0
	v_add_nc_u64_e32 v[22:23], 2, v[22:23]
	v_add_nc_u64_e32 v[24:25], 2, v[24:25]
	s_wait_loadcnt 0x0
	v_dual_lshlrev_b32 v26, 16, v26 :: v_dual_lshlrev_b32 v27, 16, v27
	s_delay_alu instid0(VALU_DEP_1) | instskip(SKIP_2) | instid1(SALU_CYCLE_1)
	v_cmp_neq_f32_e32 vcc_lo, v27, v26
	v_cmp_eq_f32_e64 s2, v27, v26
	s_or_b32 s3, vcc_lo, s3
	s_and_b32 s3, exec_lo, s3
	s_delay_alu instid0(SALU_CYCLE_1)
	s_or_b32 s6, s3, s6
	s_and_not1_b32 s17, s17, exec_lo
	s_and_b32 s21, s2, exec_lo
	s_mov_b64 s[2:3], s[22:23]
	s_or_b32 s17, s17, s21
	s_and_not1_b32 exec_lo, exec_lo, s6
	s_cbranch_execnz .LBB1206_54
; %bb.55:
	s_or_b32 exec_lo, exec_lo, s6
	s_xor_b32 s2, s17, -1
.LBB1206_56:
	s_delay_alu instid0(SALU_CYCLE_1)
	s_and_b32 s6, s2, exec_lo
.LBB1206_57:
	s_or_b32 exec_lo, exec_lo, s20
	v_add_nc_u32_e32 v22, 3, v30
	s_mov_b32 s17, exec_lo
	s_delay_alu instid0(VALU_DEP_1)
	v_cmpx_gt_u32_e64 s27, v22
	s_cbranch_execz .LBB1206_63
; %bb.58:
	v_cmp_ne_u32_e32 vcc_lo, 1, v29
	s_mov_b32 s2, 0
	s_cbranch_vccnz .LBB1206_62
; %bb.59:
	v_mul_u64_e32 v[22:23], s[18:19], v[10:11]
	v_mul_u64_e32 v[24:25], s[18:19], v[12:13]
	s_add_nc_u64 s[2:3], s[18:19], -1
	s_mov_b32 s7, 0
                                        ; implicit-def: $sgpr20
	s_wait_kmcnt 0x0
	s_delay_alu instid0(VALU_DEP_2) | instskip(NEXT) | instid1(VALU_DEP_2)
	v_lshl_add_u64 v[22:23], v[22:23], 1, s[8:9]
	v_lshl_add_u64 v[24:25], v[24:25], 1, s[8:9]
.LBB1206_60:                            ; =>This Inner Loop Header: Depth=1
	global_load_u16 v26, v[24:25], off
	global_load_u16 v27, v[22:23], off
	s_cmp_eq_u64 s[2:3], 0
	s_add_nc_u64 s[22:23], s[2:3], -1
	s_cselect_b32 s3, -1, 0
	s_wait_xcnt 0x0
	v_add_nc_u64_e32 v[22:23], 2, v[22:23]
	v_add_nc_u64_e32 v[24:25], 2, v[24:25]
	s_wait_loadcnt 0x0
	v_dual_lshlrev_b32 v26, 16, v26 :: v_dual_lshlrev_b32 v27, 16, v27
	s_delay_alu instid0(VALU_DEP_1) | instskip(SKIP_2) | instid1(SALU_CYCLE_1)
	v_cmp_neq_f32_e32 vcc_lo, v27, v26
	v_cmp_eq_f32_e64 s2, v27, v26
	s_or_b32 s3, vcc_lo, s3
	s_and_b32 s3, exec_lo, s3
	s_delay_alu instid0(SALU_CYCLE_1)
	s_or_b32 s7, s3, s7
	s_and_not1_b32 s20, s20, exec_lo
	s_and_b32 s21, s2, exec_lo
	s_mov_b64 s[2:3], s[22:23]
	s_or_b32 s20, s20, s21
	s_and_not1_b32 exec_lo, exec_lo, s7
	s_cbranch_execnz .LBB1206_60
; %bb.61:
	s_or_b32 exec_lo, exec_lo, s7
	s_xor_b32 s2, s20, -1
.LBB1206_62:
	s_delay_alu instid0(SALU_CYCLE_1)
	s_and_b32 s7, s2, exec_lo
.LBB1206_63:
	s_or_b32 exec_lo, exec_lo, s17
	v_add_nc_u32_e32 v22, 2, v30
	s_mov_b32 s17, 0
	s_mov_b32 s20, 0
	s_mov_b32 s21, exec_lo
	s_delay_alu instid0(VALU_DEP_1)
	v_cmpx_gt_u32_e64 s27, v22
	s_cbranch_execz .LBB1206_69
; %bb.64:
	v_cmp_ne_u32_e32 vcc_lo, 1, v29
	s_mov_b32 s2, 0
	s_cbranch_vccnz .LBB1206_68
; %bb.65:
	v_mul_u64_e32 v[22:23], s[18:19], v[16:17]
	v_mul_u64_e32 v[24:25], s[18:19], v[10:11]
	s_add_nc_u64 s[2:3], s[18:19], -1
                                        ; implicit-def: $sgpr22
	s_wait_kmcnt 0x0
	s_delay_alu instid0(VALU_DEP_2) | instskip(NEXT) | instid1(VALU_DEP_2)
	v_lshl_add_u64 v[22:23], v[22:23], 1, s[8:9]
	v_lshl_add_u64 v[24:25], v[24:25], 1, s[8:9]
.LBB1206_66:                            ; =>This Inner Loop Header: Depth=1
	global_load_u16 v26, v[24:25], off
	global_load_u16 v27, v[22:23], off
	s_cmp_eq_u64 s[2:3], 0
	s_add_nc_u64 s[30:31], s[2:3], -1
	s_cselect_b32 s3, -1, 0
	s_wait_xcnt 0x0
	v_add_nc_u64_e32 v[22:23], 2, v[22:23]
	v_add_nc_u64_e32 v[24:25], 2, v[24:25]
	s_wait_loadcnt 0x0
	v_dual_lshlrev_b32 v26, 16, v26 :: v_dual_lshlrev_b32 v27, 16, v27
	s_delay_alu instid0(VALU_DEP_1) | instskip(SKIP_2) | instid1(SALU_CYCLE_1)
	v_cmp_neq_f32_e32 vcc_lo, v27, v26
	v_cmp_eq_f32_e64 s2, v27, v26
	s_or_b32 s3, vcc_lo, s3
	s_and_b32 s3, exec_lo, s3
	s_delay_alu instid0(SALU_CYCLE_1)
	s_or_b32 s20, s3, s20
	s_and_not1_b32 s22, s22, exec_lo
	s_and_b32 s23, s2, exec_lo
	s_mov_b64 s[2:3], s[30:31]
	s_or_b32 s22, s22, s23
	s_and_not1_b32 exec_lo, exec_lo, s20
	s_cbranch_execnz .LBB1206_66
; %bb.67:
	s_or_b32 exec_lo, exec_lo, s20
	s_xor_b32 s2, s22, -1
.LBB1206_68:
	s_delay_alu instid0(SALU_CYCLE_1)
	s_and_b32 s20, s2, exec_lo
.LBB1206_69:
	s_or_b32 exec_lo, exec_lo, s21
	v_add_nc_u32_e32 v22, 1, v30
	s_mov_b32 s21, exec_lo
	s_delay_alu instid0(VALU_DEP_1)
	v_cmpx_gt_u32_e64 s27, v22
	s_cbranch_execz .LBB1206_75
; %bb.70:
	v_cmp_ne_u32_e32 vcc_lo, 1, v29
	s_mov_b32 s2, 0
	s_cbranch_vccnz .LBB1206_74
; %bb.71:
	v_mul_u64_e32 v[22:23], s[18:19], v[14:15]
	v_mul_u64_e32 v[24:25], s[18:19], v[16:17]
	s_add_nc_u64 s[2:3], s[18:19], -1
	s_mov_b32 s17, 0
                                        ; implicit-def: $sgpr22
	s_wait_kmcnt 0x0
	s_delay_alu instid0(VALU_DEP_2) | instskip(NEXT) | instid1(VALU_DEP_2)
	v_lshl_add_u64 v[22:23], v[22:23], 1, s[8:9]
	v_lshl_add_u64 v[24:25], v[24:25], 1, s[8:9]
.LBB1206_72:                            ; =>This Inner Loop Header: Depth=1
	global_load_u16 v26, v[24:25], off
	global_load_u16 v27, v[22:23], off
	s_cmp_eq_u64 s[2:3], 0
	s_add_nc_u64 s[30:31], s[2:3], -1
	s_cselect_b32 s3, -1, 0
	s_wait_xcnt 0x0
	v_add_nc_u64_e32 v[22:23], 2, v[22:23]
	v_add_nc_u64_e32 v[24:25], 2, v[24:25]
	s_wait_loadcnt 0x0
	v_dual_lshlrev_b32 v26, 16, v26 :: v_dual_lshlrev_b32 v27, 16, v27
	s_delay_alu instid0(VALU_DEP_1) | instskip(SKIP_2) | instid1(SALU_CYCLE_1)
	v_cmp_neq_f32_e32 vcc_lo, v27, v26
	v_cmp_eq_f32_e64 s2, v27, v26
	s_or_b32 s3, vcc_lo, s3
	s_and_b32 s3, exec_lo, s3
	s_delay_alu instid0(SALU_CYCLE_1)
	s_or_b32 s17, s3, s17
	s_and_not1_b32 s22, s22, exec_lo
	s_and_b32 s23, s2, exec_lo
	s_mov_b64 s[2:3], s[30:31]
	s_or_b32 s22, s22, s23
	s_and_not1_b32 exec_lo, exec_lo, s17
	s_cbranch_execnz .LBB1206_72
; %bb.73:
	s_or_b32 exec_lo, exec_lo, s17
	s_xor_b32 s2, s22, -1
.LBB1206_74:
	s_delay_alu instid0(SALU_CYCLE_1)
	s_and_b32 s17, s2, exec_lo
.LBB1206_75:
	s_or_b32 exec_lo, exec_lo, s21
	s_wait_kmcnt 0x0
	v_mov_b64_e32 v[22:23], s[4:5]
	s_mov_b32 s2, 0
	s_mov_b32 s3, exec_lo
	s_barrier_signal -1
	s_barrier_wait -1
	v_cmpx_ne_u32_e32 0, v0
; %bb.76:
	v_add_nc_u32_e32 v22, -8, v31
	ds_load_b64 v[22:23], v22
; %bb.77:
	s_or_b32 exec_lo, exec_lo, s3
	v_cndmask_b32_e64 v24, 0, 1, s7
	v_cndmask_b32_e64 v25, 0, 1, s20
	;; [unrolled: 1-line block ×3, first 2 shown]
	s_mov_b32 s4, exec_lo
	s_delay_alu instid0(VALU_DEP_3) | instskip(NEXT) | instid1(VALU_DEP_2)
	v_lshlrev_b16 v24, 8, v24
	v_lshlrev_b16 v26, 8, v26
	s_delay_alu instid0(VALU_DEP_2) | instskip(NEXT) | instid1(VALU_DEP_2)
	v_or_b32_e32 v24, v25, v24
	v_and_b32_e32 v26, 0xffff, v26
	s_delay_alu instid0(VALU_DEP_2)
	v_lshlrev_b32_e32 v27, 16, v24
	v_cmpx_gt_u32_e64 s27, v30
	s_cbranch_execz .LBB1206_83
; %bb.78:
	v_cmp_ne_u32_e32 vcc_lo, 1, v29
	s_cbranch_vccnz .LBB1206_82
; %bb.79:
	s_wait_dscnt 0x0
	v_mul_u64_e32 v[22:23], s[18:19], v[22:23]
	v_mul_u64_e32 v[24:25], s[18:19], v[14:15]
	s_add_nc_u64 s[2:3], s[18:19], -1
	s_mov_b32 s5, 0
                                        ; implicit-def: $sgpr7
	s_delay_alu instid0(VALU_DEP_2) | instskip(NEXT) | instid1(VALU_DEP_2)
	v_lshl_add_u64 v[22:23], v[22:23], 1, s[8:9]
	v_lshl_add_u64 v[24:25], v[24:25], 1, s[8:9]
.LBB1206_80:                            ; =>This Inner Loop Header: Depth=1
	global_load_u16 v29, v[24:25], off
	global_load_u16 v31, v[22:23], off
	s_cmp_eq_u64 s[2:3], 0
	s_add_nc_u64 s[20:21], s[2:3], -1
	s_cselect_b32 s3, -1, 0
	s_wait_xcnt 0x0
	v_add_nc_u64_e32 v[22:23], 2, v[22:23]
	v_add_nc_u64_e32 v[24:25], 2, v[24:25]
	s_wait_loadcnt 0x0
	v_dual_lshlrev_b32 v29, 16, v29 :: v_dual_lshlrev_b32 v31, 16, v31
	s_delay_alu instid0(VALU_DEP_1) | instskip(SKIP_2) | instid1(SALU_CYCLE_1)
	v_cmp_neq_f32_e32 vcc_lo, v31, v29
	v_cmp_eq_f32_e64 s2, v31, v29
	s_or_b32 s3, vcc_lo, s3
	s_and_b32 s3, exec_lo, s3
	s_delay_alu instid0(SALU_CYCLE_1)
	s_or_b32 s5, s3, s5
	s_and_not1_b32 s7, s7, exec_lo
	s_and_b32 s17, s2, exec_lo
	s_mov_b64 s[2:3], s[20:21]
	s_or_b32 s7, s7, s17
	s_and_not1_b32 exec_lo, exec_lo, s5
	s_cbranch_execnz .LBB1206_80
; %bb.81:
	s_or_b32 exec_lo, exec_lo, s5
	s_xor_b32 s2, s7, -1
.LBB1206_82:
	s_delay_alu instid0(SALU_CYCLE_1)
	s_and_b32 s2, s2, exec_lo
.LBB1206_83:
	s_or_b32 exec_lo, exec_lo, s4
	v_cndmask_b32_e64 v35, 0, 1, s6
	v_or_b32_e32 v25, v26, v27
.LBB1206_84:
	s_mov_b32 s6, -1
	s_cbranch_execnz .LBB1206_41
.LBB1206_85:
	s_wait_dscnt 0x0
	v_lshlrev_b32_e32 v22, 5, v0
	v_cmp_gt_i64_e64 s7, s[18:19], 0
	s_and_b32 vcc_lo, exec_lo, s25
	v_sub_nc_u32_e32 v31, v28, v22
	ds_store_b64 v31, v[20:21]
	s_cbranch_vccz .LBB1206_96
; %bb.86:
	s_and_not1_b32 vcc_lo, exec_lo, s7
	s_cbranch_vccnz .LBB1206_97
; %bb.87:
	v_mul_u64_e32 v[22:23], s[18:19], v[12:13]
	v_mul_u64_e32 v[24:25], s[18:19], v[20:21]
	s_wait_kmcnt 0x0
	s_add_nc_u64 s[4:5], s[18:19], -1
	s_mov_b32 s20, 0
	s_mov_b64 s[2:3], s[4:5]
                                        ; implicit-def: $sgpr17
	s_delay_alu instid0(VALU_DEP_2) | instskip(NEXT) | instid1(VALU_DEP_2)
	v_lshl_add_u64 v[22:23], v[22:23], 1, s[8:9]
	v_lshl_add_u64 v[24:25], v[24:25], 1, s[8:9]
	s_delay_alu instid0(VALU_DEP_2)
	v_mov_b64_e32 v[26:27], v[22:23]
.LBB1206_88:                            ; =>This Inner Loop Header: Depth=1
	global_load_u16 v28, v[24:25], off
	global_load_u16 v29, v[26:27], off
	s_cmp_eq_u64 s[2:3], 0
	s_add_nc_u64 s[22:23], s[2:3], -1
	s_cselect_b32 s3, -1, 0
	s_wait_xcnt 0x0
	v_add_nc_u64_e32 v[26:27], 2, v[26:27]
	v_add_nc_u64_e32 v[24:25], 2, v[24:25]
	s_wait_loadcnt 0x0
	v_dual_lshlrev_b32 v28, 16, v28 :: v_dual_lshlrev_b32 v29, 16, v29
	s_delay_alu instid0(VALU_DEP_1) | instskip(SKIP_2) | instid1(SALU_CYCLE_1)
	v_cmp_neq_f32_e32 vcc_lo, v29, v28
	v_cmp_eq_f32_e64 s2, v29, v28
	s_or_b32 s3, vcc_lo, s3
	s_and_b32 s3, exec_lo, s3
	s_delay_alu instid0(SALU_CYCLE_1)
	s_or_b32 s20, s3, s20
	s_and_not1_b32 s17, s17, exec_lo
	s_and_b32 s21, s2, exec_lo
	s_mov_b64 s[2:3], s[22:23]
	s_or_b32 s17, s17, s21
	s_and_not1_b32 exec_lo, exec_lo, s20
	s_cbranch_execnz .LBB1206_88
; %bb.89:
	s_or_b32 exec_lo, exec_lo, s20
	v_mul_u64_e32 v[24:25], s[18:19], v[10:11]
	s_mov_b32 s21, 0
	s_mov_b64 s[2:3], s[4:5]
                                        ; implicit-def: $sgpr20
	s_delay_alu instid0(VALU_DEP_1) | instskip(NEXT) | instid1(VALU_DEP_1)
	v_lshl_add_u64 v[24:25], v[24:25], 1, s[8:9]
	v_mov_b64_e32 v[26:27], v[24:25]
.LBB1206_90:                            ; =>This Inner Loop Header: Depth=1
	global_load_u16 v28, v[22:23], off
	global_load_u16 v29, v[26:27], off
	s_cmp_eq_u64 s[2:3], 0
	s_add_nc_u64 s[22:23], s[2:3], -1
	s_cselect_b32 s3, -1, 0
	s_wait_xcnt 0x0
	v_add_nc_u64_e32 v[26:27], 2, v[26:27]
	v_add_nc_u64_e32 v[22:23], 2, v[22:23]
	s_wait_loadcnt 0x0
	v_dual_lshlrev_b32 v28, 16, v28 :: v_dual_lshlrev_b32 v29, 16, v29
	s_delay_alu instid0(VALU_DEP_1) | instskip(SKIP_2) | instid1(SALU_CYCLE_1)
	v_cmp_neq_f32_e32 vcc_lo, v29, v28
	v_cmp_eq_f32_e64 s2, v29, v28
	s_or_b32 s3, vcc_lo, s3
	s_and_b32 s3, exec_lo, s3
	s_delay_alu instid0(SALU_CYCLE_1)
	s_or_b32 s21, s3, s21
	s_and_not1_b32 s20, s20, exec_lo
	s_and_b32 s29, s2, exec_lo
	s_mov_b64 s[2:3], s[22:23]
	s_or_b32 s20, s20, s29
	s_and_not1_b32 exec_lo, exec_lo, s21
	s_cbranch_execnz .LBB1206_90
; %bb.91:
	s_or_b32 exec_lo, exec_lo, s21
	v_mul_u64_e32 v[22:23], s[18:19], v[16:17]
	s_mov_b32 s22, 0
	s_mov_b64 s[2:3], s[4:5]
                                        ; implicit-def: $sgpr21
	s_delay_alu instid0(VALU_DEP_1) | instskip(NEXT) | instid1(VALU_DEP_1)
	v_lshl_add_u64 v[22:23], v[22:23], 1, s[8:9]
	v_mov_b64_e32 v[26:27], v[22:23]
.LBB1206_92:                            ; =>This Inner Loop Header: Depth=1
	global_load_u16 v28, v[24:25], off
	global_load_u16 v29, v[26:27], off
	s_cmp_eq_u64 s[2:3], 0
	s_add_nc_u64 s[30:31], s[2:3], -1
	s_cselect_b32 s3, -1, 0
	s_wait_xcnt 0x0
	v_add_nc_u64_e32 v[26:27], 2, v[26:27]
	v_add_nc_u64_e32 v[24:25], 2, v[24:25]
	s_wait_loadcnt 0x0
	v_dual_lshlrev_b32 v28, 16, v28 :: v_dual_lshlrev_b32 v29, 16, v29
	s_delay_alu instid0(VALU_DEP_1) | instskip(SKIP_2) | instid1(SALU_CYCLE_1)
	v_cmp_neq_f32_e32 vcc_lo, v29, v28
	v_cmp_eq_f32_e64 s2, v29, v28
	s_or_b32 s3, vcc_lo, s3
	s_and_b32 s3, exec_lo, s3
	s_delay_alu instid0(SALU_CYCLE_1)
	s_or_b32 s22, s3, s22
	s_and_not1_b32 s21, s21, exec_lo
	s_and_b32 s23, s2, exec_lo
	s_mov_b64 s[2:3], s[30:31]
	s_or_b32 s21, s21, s23
	s_and_not1_b32 exec_lo, exec_lo, s22
	s_cbranch_execnz .LBB1206_92
; %bb.93:
	s_or_b32 exec_lo, exec_lo, s22
	v_mul_u64_e32 v[24:25], s[18:19], v[14:15]
	s_mov_b32 s22, 0
                                        ; implicit-def: $sgpr3
	s_delay_alu instid0(VALU_DEP_1)
	v_lshl_add_u64 v[24:25], v[24:25], 1, s[8:9]
.LBB1206_94:                            ; =>This Inner Loop Header: Depth=1
	global_load_u16 v26, v[22:23], off
	global_load_u16 v27, v[24:25], off
	s_cmp_eq_u64 s[4:5], 0
	s_add_nc_u64 s[30:31], s[4:5], -1
	s_cselect_b32 s4, -1, 0
	s_wait_xcnt 0x0
	v_add_nc_u64_e32 v[24:25], 2, v[24:25]
	v_add_nc_u64_e32 v[22:23], 2, v[22:23]
	s_wait_loadcnt 0x0
	v_dual_lshlrev_b32 v26, 16, v26 :: v_dual_lshlrev_b32 v27, 16, v27
	s_delay_alu instid0(VALU_DEP_1) | instskip(SKIP_2) | instid1(SALU_CYCLE_1)
	v_cmp_neq_f32_e32 vcc_lo, v27, v26
	v_cmp_eq_f32_e64 s2, v27, v26
	s_or_b32 s4, vcc_lo, s4
	s_and_b32 s4, exec_lo, s4
	s_delay_alu instid0(SALU_CYCLE_1)
	s_or_b32 s22, s4, s22
	s_and_not1_b32 s3, s3, exec_lo
	s_and_b32 s2, s2, exec_lo
	s_mov_b64 s[4:5], s[30:31]
	s_or_b32 s3, s3, s2
	s_and_not1_b32 exec_lo, exec_lo, s22
	s_cbranch_execnz .LBB1206_94
; %bb.95:
	s_or_b32 exec_lo, exec_lo, s22
	s_xor_b32 s2, s20, -1
	s_delay_alu instid0(SALU_CYCLE_1) | instskip(SKIP_1) | instid1(SALU_CYCLE_1)
	v_cndmask_b32_e64 v22, 0, 1, s2
	s_xor_b32 s2, s21, -1
	v_cndmask_b32_e64 v23, 0, 1, s2
	s_xor_b32 s2, s17, -1
	s_delay_alu instid0(VALU_DEP_2) | instskip(SKIP_2) | instid1(VALU_DEP_2)
	v_lshlrev_b16 v22, 8, v22
	v_cndmask_b32_e64 v35, 0, 1, s2
	s_xor_b32 s2, s3, -1
	v_lshrrev_b32_e32 v22, 8, v22
	s_delay_alu instid0(VALU_DEP_1) | instskip(NEXT) | instid1(VALU_DEP_1)
	v_lshlrev_b16 v22, 8, v22
	v_or_b32_e32 v22, v23, v22
	s_delay_alu instid0(VALU_DEP_1)
	v_lshlrev_b32_e32 v22, 16, v22
	s_branch .LBB1206_98
.LBB1206_96:
	s_wait_kmcnt 0x0
                                        ; implicit-def: $sgpr2
                                        ; implicit-def: $vgpr35
                                        ; implicit-def: $vgpr25
                                        ; implicit-def: $vgpr24
                                        ; implicit-def: $vgpr23
                                        ; implicit-def: $vgpr36
                                        ; implicit-def: $vgpr22
	s_cbranch_execnz .LBB1206_105
	s_branch .LBB1206_138
.LBB1206_97:
	v_dual_mov_b32 v22, 0 :: v_dual_mov_b32 v35, 0
	s_mov_b32 s2, 0
.LBB1206_98:
	s_delay_alu instid0(VALU_DEP_1)
	v_dual_lshrrev_b32 v36, 16, v22 :: v_dual_lshrrev_b32 v22, 24, v22
	v_cndmask_b32_e64 v23, 0, 1, s2
	v_mov_b32_e32 v24, 1
	s_wait_kmcnt 0x0
	s_mov_b32 s4, 0
	s_wait_dscnt 0x0
	s_barrier_signal -1
	s_barrier_wait -1
                                        ; implicit-def: $sgpr2
                                        ; implicit-def: $vgpr25
	s_mov_b32 s3, exec_lo
	v_cmpx_ne_u32_e32 0, v0
	s_xor_b32 s5, exec_lo, s3
	s_cbranch_execz .LBB1206_104
; %bb.99:
	v_lshlrev_b16 v25, 8, v22
	v_lshlrev_b16 v26, 8, v23
	s_and_not1_b32 vcc_lo, exec_lo, s7
	s_mov_b32 s2, 0
	s_delay_alu instid0(VALU_DEP_2) | instskip(NEXT) | instid1(VALU_DEP_1)
	v_bitop3_b16 v25, v36, v25, 0xff bitop3:0xec
	v_dual_lshlrev_b32 v25, 16, v25 :: v_dual_bitop2_b32 v26, 1, v26 bitop3:0x54
	s_delay_alu instid0(VALU_DEP_1) | instskip(NEXT) | instid1(VALU_DEP_1)
	v_and_b32_e32 v26, 0xffff, v26
	v_or_b32_e32 v25, v26, v25
	s_cbranch_vccnz .LBB1206_103
; %bb.100:
	v_add_nc_u32_e32 v26, -8, v31
	v_mul_u64_e32 v[28:29], s[18:19], v[14:15]
	s_add_nc_u64 s[2:3], s[18:19], -1
	s_mov_b32 s17, 0
                                        ; implicit-def: $sgpr20
	ds_load_b64 v[26:27], v26
	s_wait_dscnt 0x0
	v_mul_u64_e32 v[26:27], s[18:19], v[26:27]
	v_lshl_add_u64 v[28:29], v[28:29], 1, s[8:9]
	s_delay_alu instid0(VALU_DEP_2)
	v_lshl_add_u64 v[26:27], v[26:27], 1, s[8:9]
.LBB1206_101:                           ; =>This Inner Loop Header: Depth=1
	global_load_u16 v32, v[28:29], off
	global_load_u16 v33, v[26:27], off
	s_cmp_eq_u64 s[2:3], 0
	s_add_nc_u64 s[22:23], s[2:3], -1
	s_cselect_b32 s3, -1, 0
	s_wait_xcnt 0x0
	v_add_nc_u64_e32 v[26:27], 2, v[26:27]
	v_add_nc_u64_e32 v[28:29], 2, v[28:29]
	s_wait_loadcnt 0x0
	v_dual_lshlrev_b32 v32, 16, v32 :: v_dual_lshlrev_b32 v33, 16, v33
	s_delay_alu instid0(VALU_DEP_1) | instskip(SKIP_2) | instid1(SALU_CYCLE_1)
	v_cmp_neq_f32_e32 vcc_lo, v33, v32
	v_cmp_eq_f32_e64 s2, v33, v32
	s_or_b32 s3, vcc_lo, s3
	s_and_b32 s3, exec_lo, s3
	s_delay_alu instid0(SALU_CYCLE_1)
	s_or_b32 s17, s3, s17
	s_and_not1_b32 s20, s20, exec_lo
	s_and_b32 s21, s2, exec_lo
	s_mov_b64 s[2:3], s[22:23]
	s_or_b32 s20, s20, s21
	s_and_not1_b32 exec_lo, exec_lo, s17
	s_cbranch_execnz .LBB1206_101
; %bb.102:
	s_or_b32 exec_lo, exec_lo, s17
	s_xor_b32 s2, s20, -1
.LBB1206_103:
	s_delay_alu instid0(VALU_DEP_1)
	v_perm_b32 v25, v25, v25, 0x3020104
	s_or_b32 s6, s6, exec_lo
.LBB1206_104:
	s_or_b32 exec_lo, exec_lo, s5
	s_delay_alu instid0(SALU_CYCLE_1)
	s_and_b32 vcc_lo, exec_lo, s4
	s_cbranch_vccz .LBB1206_138
.LBB1206_105:
	v_add_nc_u32_e32 v22, 4, v30
	s_mov_b32 s4, 0
	s_mov_b32 s5, 0
	s_mov_b32 s17, exec_lo
	s_delay_alu instid0(VALU_DEP_1)
	v_cmpx_gt_u32_e64 s27, v22
	s_cbranch_execz .LBB1206_111
; %bb.106:
	s_and_not1_b32 vcc_lo, exec_lo, s7
	s_mov_b32 s2, 0
	s_cbranch_vccnz .LBB1206_110
; %bb.107:
	v_mul_u64_e32 v[22:23], s[18:19], v[12:13]
	v_mul_u64_e32 v[24:25], s[18:19], v[20:21]
	s_add_nc_u64 s[2:3], s[18:19], -1
                                        ; implicit-def: $sgpr20
	s_delay_alu instid0(VALU_DEP_2) | instskip(NEXT) | instid1(VALU_DEP_2)
	v_lshl_add_u64 v[22:23], v[22:23], 1, s[8:9]
	v_lshl_add_u64 v[24:25], v[24:25], 1, s[8:9]
.LBB1206_108:                           ; =>This Inner Loop Header: Depth=1
	global_load_u16 v26, v[24:25], off
	global_load_u16 v27, v[22:23], off
	s_cmp_eq_u64 s[2:3], 0
	s_add_nc_u64 s[22:23], s[2:3], -1
	s_cselect_b32 s3, -1, 0
	s_wait_xcnt 0x0
	v_add_nc_u64_e32 v[22:23], 2, v[22:23]
	v_add_nc_u64_e32 v[24:25], 2, v[24:25]
	s_wait_loadcnt 0x0
	v_dual_lshlrev_b32 v26, 16, v26 :: v_dual_lshlrev_b32 v27, 16, v27
	s_delay_alu instid0(VALU_DEP_1) | instskip(SKIP_2) | instid1(SALU_CYCLE_1)
	v_cmp_neq_f32_e32 vcc_lo, v27, v26
	v_cmp_eq_f32_e64 s2, v27, v26
	s_or_b32 s3, vcc_lo, s3
	s_and_b32 s3, exec_lo, s3
	s_delay_alu instid0(SALU_CYCLE_1)
	s_or_b32 s5, s3, s5
	s_and_not1_b32 s20, s20, exec_lo
	s_and_b32 s21, s2, exec_lo
	s_mov_b64 s[2:3], s[22:23]
	s_or_b32 s20, s20, s21
	s_and_not1_b32 exec_lo, exec_lo, s5
	s_cbranch_execnz .LBB1206_108
; %bb.109:
	s_or_b32 exec_lo, exec_lo, s5
	s_xor_b32 s2, s20, -1
.LBB1206_110:
	s_delay_alu instid0(SALU_CYCLE_1)
	s_and_b32 s5, s2, exec_lo
.LBB1206_111:
	s_or_b32 exec_lo, exec_lo, s17
	v_add_nc_u32_e32 v22, 3, v30
	s_mov_b32 s17, exec_lo
	s_delay_alu instid0(VALU_DEP_1)
	v_cmpx_gt_u32_e64 s27, v22
	s_cbranch_execz .LBB1206_117
; %bb.112:
	s_and_not1_b32 vcc_lo, exec_lo, s7
	s_mov_b32 s2, 0
	s_cbranch_vccnz .LBB1206_116
; %bb.113:
	v_mul_u64_e32 v[22:23], s[18:19], v[10:11]
	v_mul_u64_e32 v[24:25], s[18:19], v[12:13]
	s_add_nc_u64 s[2:3], s[18:19], -1
	s_mov_b32 s4, 0
                                        ; implicit-def: $sgpr20
	s_delay_alu instid0(VALU_DEP_2) | instskip(NEXT) | instid1(VALU_DEP_2)
	v_lshl_add_u64 v[22:23], v[22:23], 1, s[8:9]
	v_lshl_add_u64 v[24:25], v[24:25], 1, s[8:9]
.LBB1206_114:                           ; =>This Inner Loop Header: Depth=1
	global_load_u16 v26, v[24:25], off
	global_load_u16 v27, v[22:23], off
	s_cmp_eq_u64 s[2:3], 0
	s_add_nc_u64 s[22:23], s[2:3], -1
	s_cselect_b32 s3, -1, 0
	s_wait_xcnt 0x0
	v_add_nc_u64_e32 v[22:23], 2, v[22:23]
	v_add_nc_u64_e32 v[24:25], 2, v[24:25]
	s_wait_loadcnt 0x0
	v_dual_lshlrev_b32 v26, 16, v26 :: v_dual_lshlrev_b32 v27, 16, v27
	s_delay_alu instid0(VALU_DEP_1) | instskip(SKIP_2) | instid1(SALU_CYCLE_1)
	v_cmp_neq_f32_e32 vcc_lo, v27, v26
	v_cmp_eq_f32_e64 s2, v27, v26
	s_or_b32 s3, vcc_lo, s3
	s_and_b32 s3, exec_lo, s3
	s_delay_alu instid0(SALU_CYCLE_1)
	s_or_b32 s4, s3, s4
	s_and_not1_b32 s20, s20, exec_lo
	s_and_b32 s21, s2, exec_lo
	s_mov_b64 s[2:3], s[22:23]
	s_or_b32 s20, s20, s21
	s_and_not1_b32 exec_lo, exec_lo, s4
	s_cbranch_execnz .LBB1206_114
; %bb.115:
	s_or_b32 exec_lo, exec_lo, s4
	s_xor_b32 s2, s20, -1
.LBB1206_116:
	s_delay_alu instid0(SALU_CYCLE_1)
	s_and_b32 s4, s2, exec_lo
.LBB1206_117:
	s_or_b32 exec_lo, exec_lo, s17
	v_add_nc_u32_e32 v22, 2, v30
	s_mov_b32 s17, 0
	s_mov_b32 s20, 0
	s_mov_b32 s21, exec_lo
	s_delay_alu instid0(VALU_DEP_1)
	v_cmpx_gt_u32_e64 s27, v22
	s_cbranch_execz .LBB1206_123
; %bb.118:
	s_and_not1_b32 vcc_lo, exec_lo, s7
	s_mov_b32 s2, 0
	s_cbranch_vccnz .LBB1206_122
; %bb.119:
	v_mul_u64_e32 v[22:23], s[18:19], v[16:17]
	v_mul_u64_e32 v[24:25], s[18:19], v[10:11]
	s_add_nc_u64 s[2:3], s[18:19], -1
                                        ; implicit-def: $sgpr22
	s_delay_alu instid0(VALU_DEP_2) | instskip(NEXT) | instid1(VALU_DEP_2)
	v_lshl_add_u64 v[22:23], v[22:23], 1, s[8:9]
	v_lshl_add_u64 v[24:25], v[24:25], 1, s[8:9]
.LBB1206_120:                           ; =>This Inner Loop Header: Depth=1
	global_load_u16 v26, v[24:25], off
	global_load_u16 v27, v[22:23], off
	s_cmp_eq_u64 s[2:3], 0
	s_add_nc_u64 s[30:31], s[2:3], -1
	s_cselect_b32 s3, -1, 0
	s_wait_xcnt 0x0
	v_add_nc_u64_e32 v[22:23], 2, v[22:23]
	v_add_nc_u64_e32 v[24:25], 2, v[24:25]
	s_wait_loadcnt 0x0
	v_dual_lshlrev_b32 v26, 16, v26 :: v_dual_lshlrev_b32 v27, 16, v27
	s_delay_alu instid0(VALU_DEP_1) | instskip(SKIP_2) | instid1(SALU_CYCLE_1)
	v_cmp_neq_f32_e32 vcc_lo, v27, v26
	v_cmp_eq_f32_e64 s2, v27, v26
	s_or_b32 s3, vcc_lo, s3
	s_and_b32 s3, exec_lo, s3
	s_delay_alu instid0(SALU_CYCLE_1)
	s_or_b32 s20, s3, s20
	s_and_not1_b32 s22, s22, exec_lo
	s_and_b32 s23, s2, exec_lo
	s_mov_b64 s[2:3], s[30:31]
	s_or_b32 s22, s22, s23
	s_and_not1_b32 exec_lo, exec_lo, s20
	s_cbranch_execnz .LBB1206_120
; %bb.121:
	s_or_b32 exec_lo, exec_lo, s20
	s_xor_b32 s2, s22, -1
.LBB1206_122:
	s_delay_alu instid0(SALU_CYCLE_1)
	s_and_b32 s20, s2, exec_lo
.LBB1206_123:
	s_or_b32 exec_lo, exec_lo, s21
	v_add_nc_u32_e32 v22, 1, v30
	s_mov_b32 s21, exec_lo
	s_delay_alu instid0(VALU_DEP_1)
	v_cmpx_gt_u32_e64 s27, v22
	s_cbranch_execz .LBB1206_129
; %bb.124:
	s_and_not1_b32 vcc_lo, exec_lo, s7
	s_mov_b32 s2, 0
	s_cbranch_vccnz .LBB1206_128
; %bb.125:
	v_mul_u64_e32 v[22:23], s[18:19], v[14:15]
	v_mul_u64_e32 v[24:25], s[18:19], v[16:17]
	s_add_nc_u64 s[2:3], s[18:19], -1
	s_mov_b32 s17, 0
                                        ; implicit-def: $sgpr22
	s_delay_alu instid0(VALU_DEP_2) | instskip(NEXT) | instid1(VALU_DEP_2)
	v_lshl_add_u64 v[22:23], v[22:23], 1, s[8:9]
	v_lshl_add_u64 v[24:25], v[24:25], 1, s[8:9]
.LBB1206_126:                           ; =>This Inner Loop Header: Depth=1
	global_load_u16 v26, v[24:25], off
	global_load_u16 v27, v[22:23], off
	s_cmp_eq_u64 s[2:3], 0
	s_add_nc_u64 s[30:31], s[2:3], -1
	s_cselect_b32 s3, -1, 0
	s_wait_xcnt 0x0
	v_add_nc_u64_e32 v[22:23], 2, v[22:23]
	v_add_nc_u64_e32 v[24:25], 2, v[24:25]
	s_wait_loadcnt 0x0
	v_dual_lshlrev_b32 v26, 16, v26 :: v_dual_lshlrev_b32 v27, 16, v27
	s_delay_alu instid0(VALU_DEP_1) | instskip(SKIP_2) | instid1(SALU_CYCLE_1)
	v_cmp_neq_f32_e32 vcc_lo, v27, v26
	v_cmp_eq_f32_e64 s2, v27, v26
	s_or_b32 s3, vcc_lo, s3
	s_and_b32 s3, exec_lo, s3
	s_delay_alu instid0(SALU_CYCLE_1)
	s_or_b32 s17, s3, s17
	s_and_not1_b32 s22, s22, exec_lo
	s_and_b32 s23, s2, exec_lo
	s_mov_b64 s[2:3], s[30:31]
	s_or_b32 s22, s22, s23
	s_and_not1_b32 exec_lo, exec_lo, s17
	s_cbranch_execnz .LBB1206_126
; %bb.127:
	s_or_b32 exec_lo, exec_lo, s17
	s_xor_b32 s2, s22, -1
.LBB1206_128:
	s_delay_alu instid0(SALU_CYCLE_1)
	s_and_b32 s17, s2, exec_lo
.LBB1206_129:
	s_or_b32 exec_lo, exec_lo, s21
	v_cndmask_b32_e64 v35, 0, 1, s5
	v_cndmask_b32_e64 v36, 0, 1, s20
	;; [unrolled: 1-line block ×4, first 2 shown]
	v_mov_b32_e32 v24, 1
	s_mov_b32 s2, 0
	s_mov_b32 s4, exec_lo
	s_wait_dscnt 0x0
	s_barrier_signal -1
	s_barrier_wait -1
                                        ; implicit-def: $vgpr25
	v_cmpx_ne_u32_e32 0, v0
	s_cbranch_execz .LBB1206_137
; %bb.130:
	v_lshlrev_b16 v25, 8, v23
	v_lshlrev_b16 v26, 8, v22
	s_mov_b32 s5, exec_lo
	s_delay_alu instid0(VALU_DEP_1) | instskip(NEXT) | instid1(VALU_DEP_1)
	v_or_b32_e32 v26, v36, v26
	v_dual_lshlrev_b32 v26, 16, v26 :: v_dual_bitop2_b32 v25, 1, v25 bitop3:0x54
	s_delay_alu instid0(VALU_DEP_1) | instskip(NEXT) | instid1(VALU_DEP_1)
	v_and_b32_e32 v25, 0xffff, v25
	v_or_b32_e32 v25, v25, v26
	v_cmpx_gt_u32_e64 s27, v30
	s_cbranch_execz .LBB1206_136
; %bb.131:
	s_and_not1_b32 vcc_lo, exec_lo, s7
	s_cbranch_vccnz .LBB1206_135
; %bb.132:
	v_add_nc_u32_e32 v26, -8, v31
	v_mul_u64_e32 v[28:29], s[18:19], v[14:15]
	s_add_nc_u64 s[2:3], s[18:19], -1
	s_mov_b32 s7, 0
	ds_load_b64 v[26:27], v26
	s_wait_dscnt 0x0
	v_mul_u64_e32 v[26:27], s[18:19], v[26:27]
	v_lshl_add_u64 v[28:29], v[28:29], 1, s[8:9]
	s_delay_alu instid0(VALU_DEP_2)
	v_lshl_add_u64 v[26:27], v[26:27], 1, s[8:9]
                                        ; implicit-def: $sgpr8
.LBB1206_133:                           ; =>This Inner Loop Header: Depth=1
	global_load_u16 v31, v[28:29], off
	global_load_u16 v32, v[26:27], off
	s_cmp_eq_u64 s[2:3], 0
	s_add_nc_u64 s[18:19], s[2:3], -1
	s_cselect_b32 s3, -1, 0
	s_wait_xcnt 0x0
	v_add_nc_u64_e32 v[26:27], 2, v[26:27]
	v_add_nc_u64_e32 v[28:29], 2, v[28:29]
	s_wait_loadcnt 0x0
	v_dual_lshlrev_b32 v31, 16, v31 :: v_dual_lshlrev_b32 v32, 16, v32
	s_delay_alu instid0(VALU_DEP_1) | instskip(SKIP_2) | instid1(SALU_CYCLE_1)
	v_cmp_neq_f32_e32 vcc_lo, v32, v31
	v_cmp_eq_f32_e64 s2, v32, v31
	s_or_b32 s3, vcc_lo, s3
	s_and_b32 s3, exec_lo, s3
	s_delay_alu instid0(SALU_CYCLE_1)
	s_or_b32 s7, s3, s7
	s_and_not1_b32 s8, s8, exec_lo
	s_and_b32 s9, s2, exec_lo
	s_mov_b64 s[2:3], s[18:19]
	s_or_b32 s8, s8, s9
	s_and_not1_b32 exec_lo, exec_lo, s7
	s_cbranch_execnz .LBB1206_133
; %bb.134:
	s_or_b32 exec_lo, exec_lo, s7
	s_xor_b32 s2, s8, -1
.LBB1206_135:
	s_delay_alu instid0(SALU_CYCLE_1)
	s_and_b32 s2, s2, exec_lo
.LBB1206_136:
	s_or_b32 exec_lo, exec_lo, s5
	s_delay_alu instid0(VALU_DEP_2)
	v_perm_b32 v25, v25, v25, 0x3020104
	s_or_b32 s6, s6, exec_lo
.LBB1206_137:
	s_or_b32 exec_lo, exec_lo, s4
.LBB1206_138:
	s_and_saveexec_b32 s3, s6
	s_cbranch_execz .LBB1206_140
; %bb.139:
	s_wait_dscnt 0x0
	v_dual_lshrrev_b32 v22, 24, v25 :: v_dual_lshrrev_b32 v36, 16, v25
	v_lshrrev_b32_e32 v23, 8, v25
	v_cndmask_b32_e64 v24, 0, 1, s2
.LBB1206_140:
	s_or_b32 exec_lo, exec_lo, s3
	s_delay_alu instid0(SALU_CYCLE_1)
	s_and_not1_b32 vcc_lo, exec_lo, s28
	s_cbranch_vccnz .LBB1206_144
; %bb.141:
	s_wait_dscnt 0x0
	v_perm_b32 v23, v24, v23, 0xc0c0004
	v_perm_b32 v22, v36, v22, 0xc0c0004
	v_cmp_gt_u32_e32 vcc_lo, s27, v30
	v_dual_add_nc_u32 v24, 1, v30 :: v_dual_add_nc_u32 v26, 4, v30
	v_and_b32_e32 v35, 0xff, v35
	s_delay_alu instid0(VALU_DEP_4) | instskip(SKIP_1) | instid1(VALU_DEP_2)
	v_lshl_or_b32 v22, v22, 16, v23
	s_mov_b32 s2, exec_lo
	v_and_b32_e32 v25, 0xffff, v35
	s_delay_alu instid0(VALU_DEP_2) | instskip(SKIP_2) | instid1(VALU_DEP_3)
	v_cndmask_b32_e32 v23, 0, v22, vcc_lo
	v_cmp_gt_u32_e32 vcc_lo, s27, v24
	v_add_nc_u32_e32 v24, 2, v30
	v_and_b32_e32 v23, 0xff, v23
	s_delay_alu instid0(VALU_DEP_1) | instskip(NEXT) | instid1(VALU_DEP_3)
	v_cndmask_b32_e32 v23, v23, v22, vcc_lo
	v_cmp_gt_u32_e32 vcc_lo, s27, v24
	v_add_nc_u32_e32 v24, 3, v30
	s_delay_alu instid0(VALU_DEP_3) | instskip(NEXT) | instid1(VALU_DEP_1)
	v_and_b32_e32 v23, 0xffff, v23
	v_cndmask_b32_e32 v23, v23, v22, vcc_lo
	s_delay_alu instid0(VALU_DEP_3) | instskip(NEXT) | instid1(VALU_DEP_2)
	v_cmp_gt_u32_e32 vcc_lo, s27, v24
	v_and_b32_e32 v23, 0xffffff, v23
	s_delay_alu instid0(VALU_DEP_1) | instskip(NEXT) | instid1(VALU_DEP_1)
	v_cndmask_b32_e32 v24, v23, v22, vcc_lo
	v_lshrrev_b64 v[22:23], 24, v[24:25]
	v_dual_lshrrev_b32 v36, 16, v24 :: v_dual_lshrrev_b32 v23, 8, v24
	v_cmpx_le_u32_e64 s27, v26
; %bb.142:
	v_mov_b32_e32 v35, 0
; %bb.143:
	s_or_b32 exec_lo, exec_lo, s2
.LBB1206_144:
	s_delay_alu instid0(VALU_DEP_1)
	v_and_b32_e32 v25, 0xff, v24
	s_wait_dscnt 0x0
	v_and_b32_e32 v37, 0xff, v23
	v_and_b32_e32 v38, 0xff, v36
	v_mbcnt_lo_u32_b32 v40, -1, 0
	v_and_b32_e32 v39, 0xff, v22
	v_and_b32_e32 v26, 0xff, v35
	s_wait_kmcnt 0x0
	v_readfirstlane_b32 s8, v0
	v_add3_u32 v27, v37, v25, v38
	v_and_b32_e32 v28, 15, v40
	s_and_b32 vcc_lo, exec_lo, s16
	v_lshrrev_b32_e32 v41, 5, v0
	s_mov_b32 s9, -1
	v_add3_u32 v42, v27, v39, v26
	v_and_b32_e32 v26, 16, v40
	v_or_b32_e32 v27, 31, v0
	v_cmp_eq_u32_e64 s4, 0, v28
	v_cmp_lt_u32_e64 s6, 1, v28
	v_cmp_lt_u32_e64 s7, 3, v28
	;; [unrolled: 1-line block ×3, first 2 shown]
	v_cmp_eq_u32_e64 s3, 0, v26
	v_cmp_eq_u32_e64 s2, v0, v27
	s_barrier_signal -1
	s_barrier_wait -1
                                        ; implicit-def: $vgpr28
                                        ; implicit-def: $vgpr29
                                        ; implicit-def: $vgpr30
                                        ; implicit-def: $vgpr31
                                        ; implicit-def: $vgpr32
                                        ; implicit-def: $vgpr26
	s_cbranch_vccz .LBB1206_171
; %bb.145:
	v_mov_b32_dpp v26, v42 row_shr:1 row_mask:0xf bank_mask:0xf
	s_delay_alu instid0(VALU_DEP_1) | instskip(NEXT) | instid1(VALU_DEP_1)
	v_cndmask_b32_e64 v26, v26, 0, s4
	v_add_nc_u32_e32 v26, v26, v42
	s_delay_alu instid0(VALU_DEP_1) | instskip(NEXT) | instid1(VALU_DEP_1)
	v_mov_b32_dpp v27, v26 row_shr:2 row_mask:0xf bank_mask:0xf
	v_cndmask_b32_e64 v27, 0, v27, s6
	s_delay_alu instid0(VALU_DEP_1) | instskip(NEXT) | instid1(VALU_DEP_1)
	v_add_nc_u32_e32 v26, v26, v27
	v_mov_b32_dpp v27, v26 row_shr:4 row_mask:0xf bank_mask:0xf
	s_delay_alu instid0(VALU_DEP_1) | instskip(NEXT) | instid1(VALU_DEP_1)
	v_cndmask_b32_e64 v27, 0, v27, s7
	v_add_nc_u32_e32 v26, v26, v27
	s_delay_alu instid0(VALU_DEP_1) | instskip(NEXT) | instid1(VALU_DEP_1)
	v_mov_b32_dpp v27, v26 row_shr:8 row_mask:0xf bank_mask:0xf
	v_cndmask_b32_e64 v27, 0, v27, s5
	s_delay_alu instid0(VALU_DEP_1) | instskip(SKIP_3) | instid1(VALU_DEP_1)
	v_add_nc_u32_e32 v26, v26, v27
	ds_swizzle_b32 v27, v26 offset:swizzle(BROADCAST,32,15)
	s_wait_dscnt 0x0
	v_cndmask_b32_e64 v27, v27, 0, s3
	v_add_nc_u32_e32 v26, v26, v27
	s_and_saveexec_b32 s8, s2
; %bb.146:
	v_lshlrev_b32_e32 v27, 2, v41
	ds_store_b32 v27, v26
; %bb.147:
	s_or_b32 exec_lo, exec_lo, s8
	s_delay_alu instid0(SALU_CYCLE_1)
	s_mov_b32 s8, exec_lo
	s_wait_dscnt 0x0
	s_barrier_signal -1
	s_barrier_wait -1
	v_cmpx_gt_u32_e32 4, v0
	s_cbranch_execz .LBB1206_149
; %bb.148:
	v_and_b32_e32 v29, 3, v40
	s_delay_alu instid0(VALU_DEP_1) | instskip(SKIP_4) | instid1(VALU_DEP_1)
	v_cmp_ne_u32_e32 vcc_lo, 0, v29
	v_lshlrev_b32_e32 v27, 2, v0
	ds_load_b32 v28, v27
	s_wait_dscnt 0x0
	v_mov_b32_dpp v30, v28 row_shr:1 row_mask:0xf bank_mask:0xf
	v_cndmask_b32_e32 v30, 0, v30, vcc_lo
	v_cmp_lt_u32_e32 vcc_lo, 1, v29
	s_delay_alu instid0(VALU_DEP_2) | instskip(NEXT) | instid1(VALU_DEP_1)
	v_add_nc_u32_e32 v28, v30, v28
	v_mov_b32_dpp v30, v28 row_shr:2 row_mask:0xf bank_mask:0xf
	s_delay_alu instid0(VALU_DEP_1) | instskip(NEXT) | instid1(VALU_DEP_1)
	v_cndmask_b32_e32 v29, 0, v30, vcc_lo
	v_add_nc_u32_e32 v28, v28, v29
	ds_store_b32 v27, v28
.LBB1206_149:
	s_or_b32 exec_lo, exec_lo, s8
	s_delay_alu instid0(SALU_CYCLE_1)
	s_mov_b32 s9, exec_lo
	v_cmp_gt_u32_e32 vcc_lo, 32, v0
	s_wait_dscnt 0x0
	s_barrier_signal -1
	s_barrier_wait -1
                                        ; implicit-def: $vgpr43
	v_cmpx_lt_u32_e32 31, v0
	s_cbranch_execz .LBB1206_151
; %bb.150:
	v_lshl_add_u32 v27, v41, 2, -4
	ds_load_b32 v43, v27
	s_wait_dscnt 0x0
	v_add_nc_u32_e32 v26, v43, v26
.LBB1206_151:
	s_or_b32 exec_lo, exec_lo, s9
	v_sub_co_u32 v27, s8, v40, 1
	s_delay_alu instid0(VALU_DEP_1) | instskip(NEXT) | instid1(VALU_DEP_1)
	v_cmp_gt_i32_e64 s9, 0, v27
	v_cndmask_b32_e64 v27, v27, v40, s9
	s_delay_alu instid0(VALU_DEP_1)
	v_lshlrev_b32_e32 v27, 2, v27
	ds_bpermute_b32 v44, v27, v26
	s_and_saveexec_b32 s9, vcc_lo
	s_cbranch_execz .LBB1206_170
; %bb.152:
	v_mov_b32_e32 v33, 0
	ds_load_b32 v26, v33 offset:12
	s_and_saveexec_b32 s16, s8
	s_cbranch_execz .LBB1206_154
; %bb.153:
	s_add_co_i32 s17, s26, 32
	s_delay_alu instid0(SALU_CYCLE_1)
	v_dual_mov_b32 v27, 1 :: v_dual_mov_b32 v28, s17
	s_wait_dscnt 0x0
	global_store_b64 v28, v[26:27], s[10:11] scale_offset scope:SCOPE_DEV
.LBB1206_154:
	s_wait_xcnt 0x0
	s_or_b32 exec_lo, exec_lo, s16
	v_xad_u32 v28, v40, -1, s26
	s_mov_b32 s17, 0
	s_mov_b32 s16, exec_lo
	s_delay_alu instid0(VALU_DEP_1) | instskip(SKIP_4) | instid1(VALU_DEP_1)
	v_add_nc_u32_e32 v32, 32, v28
	global_load_b64 v[30:31], v32, s[10:11] scale_offset scope:SCOPE_DEV
	s_wait_loadcnt 0x0
	v_and_b32_e32 v27, 0xff, v31
	s_wait_xcnt 0x0
	v_cmpx_eq_u16_e32 0, v27
	s_cbranch_execz .LBB1206_158
; %bb.155:
	v_lshl_add_u64 v[32:33], v[32:33], 3, s[10:11]
.LBB1206_156:                           ; =>This Inner Loop Header: Depth=1
	global_load_b64 v[30:31], v[32:33], off scope:SCOPE_DEV
	s_wait_loadcnt 0x0
	v_and_b32_e32 v27, 0xff, v31
	s_delay_alu instid0(VALU_DEP_1)
	v_cmp_ne_u16_e32 vcc_lo, 0, v27
	s_or_b32 s17, vcc_lo, s17
	s_wait_xcnt 0x0
	s_and_not1_b32 exec_lo, exec_lo, s17
	s_cbranch_execnz .LBB1206_156
; %bb.157:
	s_or_b32 exec_lo, exec_lo, s17
.LBB1206_158:
	s_delay_alu instid0(SALU_CYCLE_1)
	s_or_b32 exec_lo, exec_lo, s16
	v_cmp_ne_u32_e32 vcc_lo, 31, v40
	v_lshlrev_b32_e64 v46, v40, -1
	v_lshl_or_b32 v53, v40, 2, 64
	v_dual_add_nc_u32 v48, 2, v40 :: v_dual_add_nc_u32 v50, 4, v40
	v_add_co_ci_u32_e64 v27, null, 0, v40, vcc_lo
	v_dual_add_nc_u32 v52, 8, v40 :: v_dual_add_nc_u32 v54, 16, v40
	s_delay_alu instid0(VALU_DEP_2)
	v_lshlrev_b32_e32 v45, 2, v27
	v_and_b32_e32 v27, 0xff, v31
	ds_bpermute_b32 v29, v45, v30
	v_cmp_eq_u16_e32 vcc_lo, 2, v27
	v_and_or_b32 v27, vcc_lo, v46, 0x80000000
	v_cmp_gt_u32_e32 vcc_lo, 30, v40
	s_delay_alu instid0(VALU_DEP_2) | instskip(SKIP_1) | instid1(VALU_DEP_2)
	v_ctz_i32_b32_e32 v27, v27
	v_cndmask_b32_e64 v32, 0, 2, vcc_lo
	v_cmp_lt_u32_e32 vcc_lo, v40, v27
	s_delay_alu instid0(VALU_DEP_2) | instskip(SKIP_3) | instid1(VALU_DEP_2)
	v_add_lshl_u32 v47, v32, v40, 2
	s_wait_dscnt 0x0
	v_cndmask_b32_e32 v29, 0, v29, vcc_lo
	v_cmp_gt_u32_e32 vcc_lo, 28, v40
	v_add_nc_u32_e32 v29, v29, v30
	v_cndmask_b32_e64 v32, 0, 4, vcc_lo
	v_cmp_le_u32_e32 vcc_lo, v48, v27
	ds_bpermute_b32 v30, v47, v29
	v_add_lshl_u32 v49, v32, v40, 2
	s_wait_dscnt 0x0
	v_cndmask_b32_e32 v30, 0, v30, vcc_lo
	v_cmp_gt_u32_e32 vcc_lo, 24, v40
	v_cndmask_b32_e64 v32, 0, 8, vcc_lo
	v_cmp_le_u32_e32 vcc_lo, v50, v27
	s_delay_alu instid0(VALU_DEP_4) | instskip(NEXT) | instid1(VALU_DEP_3)
	v_add_nc_u32_e32 v29, v29, v30
	v_add_lshl_u32 v51, v32, v40, 2
	ds_bpermute_b32 v30, v49, v29
	s_wait_dscnt 0x0
	v_cndmask_b32_e32 v30, 0, v30, vcc_lo
	v_cmp_le_u32_e32 vcc_lo, v52, v27
	s_delay_alu instid0(VALU_DEP_2) | instskip(SKIP_4) | instid1(VALU_DEP_2)
	v_add_nc_u32_e32 v29, v29, v30
	ds_bpermute_b32 v30, v51, v29
	s_wait_dscnt 0x0
	v_cndmask_b32_e32 v30, 0, v30, vcc_lo
	v_cmp_le_u32_e32 vcc_lo, v54, v27
	v_add_nc_u32_e32 v29, v29, v30
	ds_bpermute_b32 v30, v53, v29
	s_wait_dscnt 0x0
	v_cndmask_b32_e32 v27, 0, v30, vcc_lo
	s_delay_alu instid0(VALU_DEP_1)
	v_dual_mov_b32 v29, 0 :: v_dual_add_nc_u32 v30, v29, v27
	s_branch .LBB1206_161
.LBB1206_159:                           ;   in Loop: Header=BB1206_161 Depth=1
	s_or_b32 exec_lo, exec_lo, s16
	v_and_b32_e32 v32, 0xff, v31
	ds_bpermute_b32 v33, v45, v30
	v_subrev_nc_u32_e32 v28, 32, v28
	s_mov_b32 s16, 0
	v_cmp_eq_u16_e32 vcc_lo, 2, v32
	v_and_or_b32 v32, vcc_lo, v46, 0x80000000
	s_delay_alu instid0(VALU_DEP_1) | instskip(NEXT) | instid1(VALU_DEP_1)
	v_ctz_i32_b32_e32 v32, v32
	v_cmp_lt_u32_e32 vcc_lo, v40, v32
	s_wait_dscnt 0x0
	v_cndmask_b32_e32 v33, 0, v33, vcc_lo
	v_cmp_le_u32_e32 vcc_lo, v48, v32
	s_delay_alu instid0(VALU_DEP_2) | instskip(SKIP_4) | instid1(VALU_DEP_2)
	v_add_nc_u32_e32 v30, v33, v30
	ds_bpermute_b32 v33, v47, v30
	s_wait_dscnt 0x0
	v_cndmask_b32_e32 v33, 0, v33, vcc_lo
	v_cmp_le_u32_e32 vcc_lo, v50, v32
	v_add_nc_u32_e32 v30, v30, v33
	ds_bpermute_b32 v33, v49, v30
	s_wait_dscnt 0x0
	v_cndmask_b32_e32 v33, 0, v33, vcc_lo
	v_cmp_le_u32_e32 vcc_lo, v52, v32
	s_delay_alu instid0(VALU_DEP_2) | instskip(SKIP_4) | instid1(VALU_DEP_2)
	v_add_nc_u32_e32 v30, v30, v33
	ds_bpermute_b32 v33, v51, v30
	s_wait_dscnt 0x0
	v_cndmask_b32_e32 v33, 0, v33, vcc_lo
	v_cmp_le_u32_e32 vcc_lo, v54, v32
	v_add_nc_u32_e32 v30, v30, v33
	ds_bpermute_b32 v33, v53, v30
	s_wait_dscnt 0x0
	v_cndmask_b32_e32 v32, 0, v33, vcc_lo
	s_delay_alu instid0(VALU_DEP_1)
	v_add3_u32 v30, v32, v27, v30
.LBB1206_160:                           ;   in Loop: Header=BB1206_161 Depth=1
	s_and_b32 vcc_lo, exec_lo, s16
	s_cbranch_vccnz .LBB1206_166
.LBB1206_161:                           ; =>This Loop Header: Depth=1
                                        ;     Child Loop BB1206_164 Depth 2
	v_and_b32_e32 v27, 0xff, v31
	s_mov_b32 s16, -1
                                        ; implicit-def: $vgpr31
	s_delay_alu instid0(VALU_DEP_1)
	v_cmp_ne_u16_e32 vcc_lo, 2, v27
	v_mov_b32_e32 v27, v30
                                        ; implicit-def: $vgpr30
	s_cmp_lg_u32 vcc_lo, exec_lo
	s_cbranch_scc1 .LBB1206_160
; %bb.162:                              ;   in Loop: Header=BB1206_161 Depth=1
	global_load_b64 v[30:31], v28, s[10:11] scale_offset scope:SCOPE_DEV
	s_mov_b32 s16, exec_lo
	s_wait_loadcnt 0x0
	v_and_b32_e32 v32, 0xff, v31
	s_wait_xcnt 0x0
	s_delay_alu instid0(VALU_DEP_1)
	v_cmpx_eq_u16_e32 0, v32
	s_cbranch_execz .LBB1206_159
; %bb.163:                              ;   in Loop: Header=BB1206_161 Depth=1
	v_lshl_add_u64 v[32:33], v[28:29], 3, s[10:11]
	s_mov_b32 s17, 0
.LBB1206_164:                           ;   Parent Loop BB1206_161 Depth=1
                                        ; =>  This Inner Loop Header: Depth=2
	global_load_b64 v[30:31], v[32:33], off scope:SCOPE_DEV
	s_wait_loadcnt 0x0
	v_and_b32_e32 v55, 0xff, v31
	s_delay_alu instid0(VALU_DEP_1)
	v_cmp_ne_u16_e32 vcc_lo, 0, v55
	s_or_b32 s17, vcc_lo, s17
	s_wait_xcnt 0x0
	s_and_not1_b32 exec_lo, exec_lo, s17
	s_cbranch_execnz .LBB1206_164
; %bb.165:                              ;   in Loop: Header=BB1206_161 Depth=1
	s_or_b32 exec_lo, exec_lo, s17
	s_branch .LBB1206_159
.LBB1206_166:
	s_and_saveexec_b32 s16, s8
	s_cbranch_execz .LBB1206_168
; %bb.167:
	s_add_co_i32 s17, s26, 32
	v_dual_mov_b32 v29, 2 :: v_dual_add_nc_u32 v28, v27, v26
	v_dual_mov_b32 v30, s17 :: v_dual_mov_b32 v31, 0
	global_store_b64 v30, v[28:29], s[10:11] scale_offset scope:SCOPE_DEV
	ds_store_b64 v31, v[26:27] offset:5120
.LBB1206_168:
	s_wait_xcnt 0x0
	s_or_b32 exec_lo, exec_lo, s16
	v_cmp_eq_u32_e32 vcc_lo, 0, v0
	s_and_b32 exec_lo, exec_lo, vcc_lo
; %bb.169:
	v_mov_b32_e32 v26, 0
	ds_store_b32 v26, v27 offset:12
.LBB1206_170:
	s_or_b32 exec_lo, exec_lo, s9
	s_wait_dscnt 0x0
	v_dual_mov_b32 v26, 0 :: v_dual_cndmask_b32 v28, v44, v43, s8
	s_wait_storecnt 0x0
	s_barrier_signal -1
	s_barrier_wait -1
	ds_load_b32 v27, v26 offset:12
	v_cmp_ne_u32_e32 vcc_lo, 0, v0
	s_wait_dscnt 0x0
	s_barrier_signal -1
	s_barrier_wait -1
	v_cndmask_b32_e32 v28, 0, v28, vcc_lo
	s_mov_b32 s9, 0
	s_delay_alu instid0(VALU_DEP_1) | instskip(SKIP_2) | instid1(VALU_DEP_1)
	v_add_nc_u32_e32 v32, v27, v28
	ds_load_b64 v[26:27], v26 offset:5120
	v_add_nc_u32_e32 v31, v32, v25
	v_add_nc_u32_e32 v30, v31, v37
	s_delay_alu instid0(VALU_DEP_1) | instskip(NEXT) | instid1(VALU_DEP_1)
	v_add_nc_u32_e32 v29, v30, v38
	v_add_nc_u32_e32 v28, v29, v39
	s_wait_dscnt 0x0
	v_readfirstlane_b32 s8, v27
.LBB1206_171:
	s_and_b32 vcc_lo, exec_lo, s9
	s_cbranch_vccz .LBB1206_181
; %bb.172:
	v_mov_b32_dpp v26, v42 row_shr:1 row_mask:0xf bank_mask:0xf
	s_delay_alu instid0(VALU_DEP_1) | instskip(NEXT) | instid1(VALU_DEP_1)
	v_cndmask_b32_e64 v26, v26, 0, s4
	v_add_nc_u32_e32 v26, v26, v42
	s_delay_alu instid0(VALU_DEP_1) | instskip(NEXT) | instid1(VALU_DEP_1)
	v_mov_b32_dpp v27, v26 row_shr:2 row_mask:0xf bank_mask:0xf
	v_cndmask_b32_e64 v27, 0, v27, s6
	s_delay_alu instid0(VALU_DEP_1) | instskip(NEXT) | instid1(VALU_DEP_1)
	v_add_nc_u32_e32 v26, v26, v27
	v_mov_b32_dpp v27, v26 row_shr:4 row_mask:0xf bank_mask:0xf
	s_delay_alu instid0(VALU_DEP_1) | instskip(NEXT) | instid1(VALU_DEP_1)
	v_cndmask_b32_e64 v27, 0, v27, s7
	v_add_nc_u32_e32 v26, v26, v27
	s_delay_alu instid0(VALU_DEP_1) | instskip(NEXT) | instid1(VALU_DEP_1)
	v_mov_b32_dpp v27, v26 row_shr:8 row_mask:0xf bank_mask:0xf
	v_cndmask_b32_e64 v27, 0, v27, s5
	s_delay_alu instid0(VALU_DEP_1) | instskip(SKIP_3) | instid1(VALU_DEP_1)
	v_add_nc_u32_e32 v26, v26, v27
	ds_swizzle_b32 v27, v26 offset:swizzle(BROADCAST,32,15)
	s_wait_dscnt 0x0
	v_cndmask_b32_e64 v27, v27, 0, s3
	v_add_nc_u32_e32 v26, v26, v27
	s_and_saveexec_b32 s3, s2
; %bb.173:
	v_lshlrev_b32_e32 v27, 2, v41
	ds_store_b32 v27, v26
; %bb.174:
	s_or_b32 exec_lo, exec_lo, s3
	s_delay_alu instid0(SALU_CYCLE_1)
	s_mov_b32 s2, exec_lo
	s_wait_dscnt 0x0
	s_barrier_signal -1
	s_barrier_wait -1
	v_cmpx_gt_u32_e32 4, v0
	s_cbranch_execz .LBB1206_176
; %bb.175:
	v_and_b32_e32 v29, 3, v40
	s_delay_alu instid0(VALU_DEP_1) | instskip(SKIP_4) | instid1(VALU_DEP_1)
	v_cmp_ne_u32_e32 vcc_lo, 0, v29
	v_lshlrev_b32_e32 v27, 2, v0
	ds_load_b32 v28, v27
	s_wait_dscnt 0x0
	v_mov_b32_dpp v30, v28 row_shr:1 row_mask:0xf bank_mask:0xf
	v_cndmask_b32_e32 v30, 0, v30, vcc_lo
	v_cmp_lt_u32_e32 vcc_lo, 1, v29
	s_delay_alu instid0(VALU_DEP_2) | instskip(NEXT) | instid1(VALU_DEP_1)
	v_add_nc_u32_e32 v28, v30, v28
	v_mov_b32_dpp v30, v28 row_shr:2 row_mask:0xf bank_mask:0xf
	s_delay_alu instid0(VALU_DEP_1) | instskip(NEXT) | instid1(VALU_DEP_1)
	v_cndmask_b32_e32 v29, 0, v30, vcc_lo
	v_add_nc_u32_e32 v28, v28, v29
	ds_store_b32 v27, v28
.LBB1206_176:
	s_or_b32 exec_lo, exec_lo, s2
	v_dual_mov_b32 v27, 0 :: v_dual_mov_b32 v28, 0
	s_mov_b32 s2, exec_lo
	s_wait_dscnt 0x0
	s_barrier_signal -1
	s_barrier_wait -1
	v_cmpx_lt_u32_e32 31, v0
; %bb.177:
	v_lshl_add_u32 v28, v41, 2, -4
	ds_load_b32 v28, v28
; %bb.178:
	s_or_b32 exec_lo, exec_lo, s2
	v_sub_co_u32 v29, vcc_lo, v40, 1
	s_mov_b32 s8, 0
	s_wait_dscnt 0x0
	v_add_nc_u32_e32 v26, v28, v26
	v_cmp_gt_i32_e64 s2, 0, v29
	s_delay_alu instid0(VALU_DEP_1) | instskip(SKIP_1) | instid1(VALU_DEP_2)
	v_cndmask_b32_e64 v29, v29, v40, s2
	v_cmp_eq_u32_e64 s2, 0, v0
	v_lshlrev_b32_e32 v29, 2, v29
	ds_bpermute_b32 v29, v29, v26
	ds_load_b32 v26, v27 offset:12
	s_and_saveexec_b32 s3, s2
	s_cbranch_execz .LBB1206_180
; %bb.179:
	v_dual_mov_b32 v30, 0 :: v_dual_mov_b32 v27, 2
	s_wait_dscnt 0x0
	global_store_b64 v30, v[26:27], s[10:11] offset:256 scope:SCOPE_DEV
.LBB1206_180:
	s_wait_xcnt 0x0
	s_or_b32 exec_lo, exec_lo, s3
	s_wait_dscnt 0x1
	v_cndmask_b32_e32 v27, v29, v28, vcc_lo
	s_wait_storecnt_dscnt 0x0
	s_barrier_signal -1
	s_barrier_wait -1
	s_delay_alu instid0(VALU_DEP_1) | instskip(NEXT) | instid1(VALU_DEP_1)
	v_cndmask_b32_e64 v32, v27, 0, s2
	v_add_nc_u32_e32 v31, v32, v25
	s_delay_alu instid0(VALU_DEP_1) | instskip(NEXT) | instid1(VALU_DEP_1)
	v_add_nc_u32_e32 v30, v31, v37
	v_add_nc_u32_e32 v29, v30, v38
	s_delay_alu instid0(VALU_DEP_1)
	v_add_nc_u32_e32 v28, v29, v39
.LBB1206_181:
	s_load_b128 s[4:7], s[0:1], 0x28
	s_delay_alu instid0(VALU_DEP_1)
	v_dual_add_nc_u32 v25, s8, v26 :: v_dual_bitop2_b32 v24, 1, v24 bitop3:0x40
	s_wait_xcnt 0x0
	v_cmp_gt_u32_e64 s0, 0x81, v26
	s_mov_b32 s3, -1
	v_cmp_lt_u32_e64 s1, v32, v25
	v_cmp_eq_u32_e64 s2, 1, v24
	s_and_b32 vcc_lo, exec_lo, s0
	s_cbranch_vccz .LBB1206_193
; %bb.182:
	s_or_b32 s1, s25, s1
	s_delay_alu instid0(SALU_CYCLE_1) | instskip(NEXT) | instid1(SALU_CYCLE_1)
	s_and_b32 s2, s1, s2
	s_and_saveexec_b32 s1, s2
	s_cbranch_execz .LBB1206_184
; %bb.183:
	s_lshl_b64 s[2:3], s[14:15], 3
	s_wait_kmcnt 0x0
	s_add_nc_u64 s[2:3], s[4:5], s[2:3]
	global_store_b64 v32, v[14:15], s[2:3] scale_offset
.LBB1206_184:
	s_wait_xcnt 0x0
	s_or_b32 exec_lo, exec_lo, s1
	v_and_b32_e32 v27, 1, v23
	v_cmp_lt_u32_e32 vcc_lo, v31, v25
	s_delay_alu instid0(VALU_DEP_2) | instskip(SKIP_1) | instid1(SALU_CYCLE_1)
	v_cmp_eq_u32_e64 s1, 1, v27
	s_or_b32 s2, s25, vcc_lo
	s_and_b32 s2, s2, s1
	s_delay_alu instid0(SALU_CYCLE_1)
	s_and_saveexec_b32 s1, s2
	s_cbranch_execz .LBB1206_186
; %bb.185:
	s_lshl_b64 s[2:3], s[14:15], 3
	s_wait_kmcnt 0x0
	s_add_nc_u64 s[2:3], s[4:5], s[2:3]
	global_store_b64 v31, v[16:17], s[2:3] scale_offset
.LBB1206_186:
	s_wait_xcnt 0x0
	s_or_b32 exec_lo, exec_lo, s1
	v_and_b32_e32 v27, 1, v36
	v_cmp_lt_u32_e32 vcc_lo, v30, v25
	s_delay_alu instid0(VALU_DEP_2) | instskip(SKIP_1) | instid1(SALU_CYCLE_1)
	v_cmp_eq_u32_e64 s1, 1, v27
	s_or_b32 s2, s25, vcc_lo
	s_and_b32 s2, s2, s1
	s_delay_alu instid0(SALU_CYCLE_1)
	;; [unrolled: 17-line block ×4, first 2 shown]
	s_and_saveexec_b32 s1, s2
	s_cbranch_execz .LBB1206_192
; %bb.191:
	s_lshl_b64 s[2:3], s[14:15], 3
	s_wait_kmcnt 0x0
	s_add_nc_u64 s[2:3], s[4:5], s[2:3]
	global_store_b64 v28, v[20:21], s[2:3] scale_offset
.LBB1206_192:
	s_wait_xcnt 0x0
	s_or_b32 exec_lo, exec_lo, s1
	s_mov_b32 s3, 0
.LBB1206_193:
	s_delay_alu instid0(SALU_CYCLE_1)
	s_and_b32 vcc_lo, exec_lo, s3
	s_cbranch_vccz .LBB1206_207
; %bb.194:
	s_mov_b32 s1, exec_lo
	v_cmpx_eq_u32_e32 1, v24
; %bb.195:
	v_subrev_nc_u32_e32 v27, s8, v32
	s_delay_alu instid0(VALU_DEP_1)
	v_lshlrev_b32_e32 v27, 3, v27
	ds_store_b64 v27, v[14:15]
; %bb.196:
	s_or_b32 exec_lo, exec_lo, s1
	v_and_b32_e32 v14, 1, v23
	s_mov_b32 s1, exec_lo
	s_delay_alu instid0(VALU_DEP_1)
	v_cmpx_eq_u32_e32 1, v14
; %bb.197:
	v_subrev_nc_u32_e32 v14, s8, v31
	s_delay_alu instid0(VALU_DEP_1)
	v_lshlrev_b32_e32 v14, 3, v14
	ds_store_b64 v14, v[16:17]
; %bb.198:
	s_or_b32 exec_lo, exec_lo, s1
	v_and_b32_e32 v14, 1, v36
	s_mov_b32 s1, exec_lo
	s_delay_alu instid0(VALU_DEP_1)
	;; [unrolled: 11-line block ×4, first 2 shown]
	v_cmpx_eq_u32_e32 1, v10
; %bb.203:
	v_subrev_nc_u32_e32 v10, s8, v28
	s_delay_alu instid0(VALU_DEP_1)
	v_lshlrev_b32_e32 v10, 3, v10
	ds_store_b64 v10, v[20:21]
; %bb.204:
	s_or_b32 exec_lo, exec_lo, s1
	s_mov_b32 s9, 0
	v_dual_mov_b32 v11, v1 :: v_dual_lshlrev_b32 v10, 3, v0
	s_lshl_b64 s[2:3], s[8:9], 3
	s_wait_storecnt_dscnt 0x0
	s_wait_kmcnt 0x0
	s_add_nc_u64 s[2:3], s[4:5], s[2:3]
	s_lshl_b64 s[4:5], s[14:15], 3
	s_barrier_signal -1
	s_add_nc_u64 s[2:3], s[2:3], s[4:5]
	s_barrier_wait -1
.LBB1206_205:                           ; =>This Inner Loop Header: Depth=1
	ds_load_b64 v[12:13], v10
	v_add_nc_u32_e32 v10, 0x400, v10
	s_wait_dscnt 0x0
	global_store_b64 v11, v[12:13], s[2:3] scale_offset
	s_wait_xcnt 0x0
	v_add_nc_u32_e32 v11, 0x80, v11
	s_delay_alu instid0(VALU_DEP_1) | instskip(SKIP_1) | instid1(SALU_CYCLE_1)
	v_cmp_ge_u32_e32 vcc_lo, v11, v26
	s_or_b32 s9, vcc_lo, s9
	s_and_not1_b32 exec_lo, exec_lo, s9
	s_cbranch_execnz .LBB1206_205
; %bb.206:
	s_or_b32 exec_lo, exec_lo, s9
.LBB1206_207:
	s_delay_alu instid0(SALU_CYCLE_1)
	s_and_b32 vcc_lo, exec_lo, s0
	s_mov_b32 s0, -1
	s_wait_storecnt 0x0
	s_barrier_signal -1
	s_barrier_wait -1
	s_cbranch_vccz .LBB1206_219
; %bb.208:
	v_cmp_lt_u32_e32 vcc_lo, v32, v25
	v_cmp_eq_u32_e64 s0, 1, v24
	s_or_b32 s1, s25, vcc_lo
	s_delay_alu instid0(SALU_CYCLE_1) | instskip(NEXT) | instid1(SALU_CYCLE_1)
	s_and_b32 s1, s1, s0
	s_and_saveexec_b32 s0, s1
	s_cbranch_execz .LBB1206_210
; %bb.209:
	s_lshl_b64 s[2:3], s[14:15], 3
	s_wait_kmcnt 0x0
	s_add_nc_u64 s[2:3], s[6:7], s[2:3]
	global_store_b64 v32, v[6:7], s[2:3] scale_offset
.LBB1206_210:
	s_wait_xcnt 0x0
	s_or_b32 exec_lo, exec_lo, s0
	v_and_b32_e32 v10, 1, v23
	v_cmp_lt_u32_e32 vcc_lo, v31, v25
	s_delay_alu instid0(VALU_DEP_2) | instskip(SKIP_1) | instid1(SALU_CYCLE_1)
	v_cmp_eq_u32_e64 s0, 1, v10
	s_or_b32 s1, s25, vcc_lo
	s_and_b32 s1, s1, s0
	s_delay_alu instid0(SALU_CYCLE_1)
	s_and_saveexec_b32 s0, s1
	s_cbranch_execz .LBB1206_212
; %bb.211:
	s_lshl_b64 s[2:3], s[14:15], 3
	s_wait_kmcnt 0x0
	s_add_nc_u64 s[2:3], s[6:7], s[2:3]
	global_store_b64 v31, v[8:9], s[2:3] scale_offset
.LBB1206_212:
	s_wait_xcnt 0x0
	s_or_b32 exec_lo, exec_lo, s0
	v_and_b32_e32 v10, 1, v36
	v_cmp_lt_u32_e32 vcc_lo, v30, v25
	s_delay_alu instid0(VALU_DEP_2) | instskip(SKIP_1) | instid1(SALU_CYCLE_1)
	v_cmp_eq_u32_e64 s0, 1, v10
	s_or_b32 s1, s25, vcc_lo
	s_and_b32 s1, s1, s0
	s_delay_alu instid0(SALU_CYCLE_1)
	;; [unrolled: 17-line block ×4, first 2 shown]
	s_and_saveexec_b32 s0, s1
	s_cbranch_execz .LBB1206_218
; %bb.217:
	s_lshl_b64 s[2:3], s[14:15], 3
	s_wait_kmcnt 0x0
	s_add_nc_u64 s[2:3], s[6:7], s[2:3]
	global_store_b64 v28, v[18:19], s[2:3] scale_offset
.LBB1206_218:
	s_wait_xcnt 0x0
	s_or_b32 exec_lo, exec_lo, s0
	s_mov_b32 s0, 0
.LBB1206_219:
	s_delay_alu instid0(SALU_CYCLE_1)
	s_and_b32 vcc_lo, exec_lo, s0
	s_cbranch_vccz .LBB1206_233
; %bb.220:
	s_mov_b32 s0, exec_lo
	v_cmpx_eq_u32_e32 1, v24
; %bb.221:
	v_subrev_nc_u32_e32 v10, s8, v32
	s_delay_alu instid0(VALU_DEP_1)
	v_lshlrev_b32_e32 v10, 3, v10
	ds_store_b64 v10, v[6:7]
; %bb.222:
	s_or_b32 exec_lo, exec_lo, s0
	v_and_b32_e32 v6, 1, v23
	s_mov_b32 s0, exec_lo
	s_delay_alu instid0(VALU_DEP_1)
	v_cmpx_eq_u32_e32 1, v6
; %bb.223:
	v_subrev_nc_u32_e32 v6, s8, v31
	s_delay_alu instid0(VALU_DEP_1)
	v_lshlrev_b32_e32 v6, 3, v6
	ds_store_b64 v6, v[8:9]
; %bb.224:
	s_or_b32 exec_lo, exec_lo, s0
	v_and_b32_e32 v6, 1, v36
	s_mov_b32 s0, exec_lo
	s_delay_alu instid0(VALU_DEP_1)
	;; [unrolled: 11-line block ×4, first 2 shown]
	v_cmpx_eq_u32_e32 1, v2
; %bb.229:
	v_subrev_nc_u32_e32 v2, s8, v28
	s_delay_alu instid0(VALU_DEP_1)
	v_lshlrev_b32_e32 v2, 3, v2
	ds_store_b64 v2, v[18:19]
; %bb.230:
	s_or_b32 exec_lo, exec_lo, s0
	s_mov_b32 s9, 0
	s_lshl_b64 s[2:3], s[14:15], 3
	s_lshl_b64 s[0:1], s[8:9], 3
	s_wait_storecnt_dscnt 0x0
	s_wait_kmcnt 0x0
	s_add_nc_u64 s[0:1], s[6:7], s[0:1]
	s_barrier_signal -1
	s_add_nc_u64 s[0:1], s[0:1], s[2:3]
	s_barrier_wait -1
.LBB1206_231:                           ; =>This Inner Loop Header: Depth=1
	ds_load_b64 v[2:3], v34
	v_add_nc_u32_e32 v34, 0x400, v34
	s_wait_dscnt 0x0
	global_store_b64 v1, v[2:3], s[0:1] scale_offset
	s_wait_xcnt 0x0
	v_add_nc_u32_e32 v1, 0x80, v1
	s_delay_alu instid0(VALU_DEP_1) | instskip(SKIP_1) | instid1(SALU_CYCLE_1)
	v_cmp_ge_u32_e32 vcc_lo, v1, v26
	s_or_b32 s9, vcc_lo, s9
	s_and_not1_b32 exec_lo, exec_lo, s9
	s_cbranch_execnz .LBB1206_231
; %bb.232:
	s_or_b32 exec_lo, exec_lo, s9
.LBB1206_233:
	v_cmp_eq_u32_e32 vcc_lo, 0, v0
	s_mov_b32 s9, 0
	s_and_b32 s0, vcc_lo, s24
	s_delay_alu instid0(SALU_CYCLE_1)
	s_and_saveexec_b32 s1, s0
	s_cbranch_execz .LBB1206_235
; %bb.234:
	v_mov_b32_e32 v27, 0
	s_delay_alu instid0(VALU_DEP_1) | instskip(NEXT) | instid1(VALU_DEP_1)
	v_add_nc_u64_e32 v[0:1], s[14:15], v[26:27]
	v_add_nc_u64_e32 v[0:1], s[8:9], v[0:1]
	global_store_b64 v27, v[0:1], s[12:13]
.LBB1206_235:
	s_endpgm
	.section	.rodata,"a",@progbits
	.p2align	6, 0x0
	.amdhsa_kernel _ZN7rocprim17ROCPRIM_400000_NS6detail17trampoline_kernelINS0_14default_configENS1_25partition_config_selectorILNS1_17partition_subalgoE9EllbEEZZNS1_14partition_implILS5_9ELb0ES3_jPlS8_PNS0_10empty_typeENS0_5tupleIJS8_S9_EEENSB_IJS8_SA_EEENS0_18inequality_wrapperIZN2at6native12_GLOBAL__N_124unique_dim_cuda_templateIN3c108BFloat16EEESt5tupleIJNSF_6TensorESM_SM_EERKSM_lbbbEUlllE0_EEPmJS9_EEE10hipError_tPvRmT3_T4_T5_T6_T7_T9_mT8_P12ihipStream_tbDpT10_ENKUlT_T0_E_clISt17integral_constantIbLb0EES1C_EEDaS17_S18_EUlS17_E_NS1_11comp_targetILNS1_3genE0ELNS1_11target_archE4294967295ELNS1_3gpuE0ELNS1_3repE0EEENS1_30default_config_static_selectorELNS0_4arch9wavefront6targetE0EEEvT1_
		.amdhsa_group_segment_fixed_size 5128
		.amdhsa_private_segment_fixed_size 0
		.amdhsa_kernarg_size 120
		.amdhsa_user_sgpr_count 2
		.amdhsa_user_sgpr_dispatch_ptr 0
		.amdhsa_user_sgpr_queue_ptr 0
		.amdhsa_user_sgpr_kernarg_segment_ptr 1
		.amdhsa_user_sgpr_dispatch_id 0
		.amdhsa_user_sgpr_kernarg_preload_length 0
		.amdhsa_user_sgpr_kernarg_preload_offset 0
		.amdhsa_user_sgpr_private_segment_size 0
		.amdhsa_wavefront_size32 1
		.amdhsa_uses_dynamic_stack 0
		.amdhsa_enable_private_segment 0
		.amdhsa_system_sgpr_workgroup_id_x 1
		.amdhsa_system_sgpr_workgroup_id_y 0
		.amdhsa_system_sgpr_workgroup_id_z 0
		.amdhsa_system_sgpr_workgroup_info 0
		.amdhsa_system_vgpr_workitem_id 0
		.amdhsa_next_free_vgpr 56
		.amdhsa_next_free_sgpr 32
		.amdhsa_named_barrier_count 0
		.amdhsa_reserve_vcc 1
		.amdhsa_float_round_mode_32 0
		.amdhsa_float_round_mode_16_64 0
		.amdhsa_float_denorm_mode_32 3
		.amdhsa_float_denorm_mode_16_64 3
		.amdhsa_fp16_overflow 0
		.amdhsa_memory_ordered 1
		.amdhsa_forward_progress 1
		.amdhsa_inst_pref_size 76
		.amdhsa_round_robin_scheduling 0
		.amdhsa_exception_fp_ieee_invalid_op 0
		.amdhsa_exception_fp_denorm_src 0
		.amdhsa_exception_fp_ieee_div_zero 0
		.amdhsa_exception_fp_ieee_overflow 0
		.amdhsa_exception_fp_ieee_underflow 0
		.amdhsa_exception_fp_ieee_inexact 0
		.amdhsa_exception_int_div_zero 0
	.end_amdhsa_kernel
	.section	.text._ZN7rocprim17ROCPRIM_400000_NS6detail17trampoline_kernelINS0_14default_configENS1_25partition_config_selectorILNS1_17partition_subalgoE9EllbEEZZNS1_14partition_implILS5_9ELb0ES3_jPlS8_PNS0_10empty_typeENS0_5tupleIJS8_S9_EEENSB_IJS8_SA_EEENS0_18inequality_wrapperIZN2at6native12_GLOBAL__N_124unique_dim_cuda_templateIN3c108BFloat16EEESt5tupleIJNSF_6TensorESM_SM_EERKSM_lbbbEUlllE0_EEPmJS9_EEE10hipError_tPvRmT3_T4_T5_T6_T7_T9_mT8_P12ihipStream_tbDpT10_ENKUlT_T0_E_clISt17integral_constantIbLb0EES1C_EEDaS17_S18_EUlS17_E_NS1_11comp_targetILNS1_3genE0ELNS1_11target_archE4294967295ELNS1_3gpuE0ELNS1_3repE0EEENS1_30default_config_static_selectorELNS0_4arch9wavefront6targetE0EEEvT1_,"axG",@progbits,_ZN7rocprim17ROCPRIM_400000_NS6detail17trampoline_kernelINS0_14default_configENS1_25partition_config_selectorILNS1_17partition_subalgoE9EllbEEZZNS1_14partition_implILS5_9ELb0ES3_jPlS8_PNS0_10empty_typeENS0_5tupleIJS8_S9_EEENSB_IJS8_SA_EEENS0_18inequality_wrapperIZN2at6native12_GLOBAL__N_124unique_dim_cuda_templateIN3c108BFloat16EEESt5tupleIJNSF_6TensorESM_SM_EERKSM_lbbbEUlllE0_EEPmJS9_EEE10hipError_tPvRmT3_T4_T5_T6_T7_T9_mT8_P12ihipStream_tbDpT10_ENKUlT_T0_E_clISt17integral_constantIbLb0EES1C_EEDaS17_S18_EUlS17_E_NS1_11comp_targetILNS1_3genE0ELNS1_11target_archE4294967295ELNS1_3gpuE0ELNS1_3repE0EEENS1_30default_config_static_selectorELNS0_4arch9wavefront6targetE0EEEvT1_,comdat
.Lfunc_end1206:
	.size	_ZN7rocprim17ROCPRIM_400000_NS6detail17trampoline_kernelINS0_14default_configENS1_25partition_config_selectorILNS1_17partition_subalgoE9EllbEEZZNS1_14partition_implILS5_9ELb0ES3_jPlS8_PNS0_10empty_typeENS0_5tupleIJS8_S9_EEENSB_IJS8_SA_EEENS0_18inequality_wrapperIZN2at6native12_GLOBAL__N_124unique_dim_cuda_templateIN3c108BFloat16EEESt5tupleIJNSF_6TensorESM_SM_EERKSM_lbbbEUlllE0_EEPmJS9_EEE10hipError_tPvRmT3_T4_T5_T6_T7_T9_mT8_P12ihipStream_tbDpT10_ENKUlT_T0_E_clISt17integral_constantIbLb0EES1C_EEDaS17_S18_EUlS17_E_NS1_11comp_targetILNS1_3genE0ELNS1_11target_archE4294967295ELNS1_3gpuE0ELNS1_3repE0EEENS1_30default_config_static_selectorELNS0_4arch9wavefront6targetE0EEEvT1_, .Lfunc_end1206-_ZN7rocprim17ROCPRIM_400000_NS6detail17trampoline_kernelINS0_14default_configENS1_25partition_config_selectorILNS1_17partition_subalgoE9EllbEEZZNS1_14partition_implILS5_9ELb0ES3_jPlS8_PNS0_10empty_typeENS0_5tupleIJS8_S9_EEENSB_IJS8_SA_EEENS0_18inequality_wrapperIZN2at6native12_GLOBAL__N_124unique_dim_cuda_templateIN3c108BFloat16EEESt5tupleIJNSF_6TensorESM_SM_EERKSM_lbbbEUlllE0_EEPmJS9_EEE10hipError_tPvRmT3_T4_T5_T6_T7_T9_mT8_P12ihipStream_tbDpT10_ENKUlT_T0_E_clISt17integral_constantIbLb0EES1C_EEDaS17_S18_EUlS17_E_NS1_11comp_targetILNS1_3genE0ELNS1_11target_archE4294967295ELNS1_3gpuE0ELNS1_3repE0EEENS1_30default_config_static_selectorELNS0_4arch9wavefront6targetE0EEEvT1_
                                        ; -- End function
	.set _ZN7rocprim17ROCPRIM_400000_NS6detail17trampoline_kernelINS0_14default_configENS1_25partition_config_selectorILNS1_17partition_subalgoE9EllbEEZZNS1_14partition_implILS5_9ELb0ES3_jPlS8_PNS0_10empty_typeENS0_5tupleIJS8_S9_EEENSB_IJS8_SA_EEENS0_18inequality_wrapperIZN2at6native12_GLOBAL__N_124unique_dim_cuda_templateIN3c108BFloat16EEESt5tupleIJNSF_6TensorESM_SM_EERKSM_lbbbEUlllE0_EEPmJS9_EEE10hipError_tPvRmT3_T4_T5_T6_T7_T9_mT8_P12ihipStream_tbDpT10_ENKUlT_T0_E_clISt17integral_constantIbLb0EES1C_EEDaS17_S18_EUlS17_E_NS1_11comp_targetILNS1_3genE0ELNS1_11target_archE4294967295ELNS1_3gpuE0ELNS1_3repE0EEENS1_30default_config_static_selectorELNS0_4arch9wavefront6targetE0EEEvT1_.num_vgpr, 56
	.set _ZN7rocprim17ROCPRIM_400000_NS6detail17trampoline_kernelINS0_14default_configENS1_25partition_config_selectorILNS1_17partition_subalgoE9EllbEEZZNS1_14partition_implILS5_9ELb0ES3_jPlS8_PNS0_10empty_typeENS0_5tupleIJS8_S9_EEENSB_IJS8_SA_EEENS0_18inequality_wrapperIZN2at6native12_GLOBAL__N_124unique_dim_cuda_templateIN3c108BFloat16EEESt5tupleIJNSF_6TensorESM_SM_EERKSM_lbbbEUlllE0_EEPmJS9_EEE10hipError_tPvRmT3_T4_T5_T6_T7_T9_mT8_P12ihipStream_tbDpT10_ENKUlT_T0_E_clISt17integral_constantIbLb0EES1C_EEDaS17_S18_EUlS17_E_NS1_11comp_targetILNS1_3genE0ELNS1_11target_archE4294967295ELNS1_3gpuE0ELNS1_3repE0EEENS1_30default_config_static_selectorELNS0_4arch9wavefront6targetE0EEEvT1_.num_agpr, 0
	.set _ZN7rocprim17ROCPRIM_400000_NS6detail17trampoline_kernelINS0_14default_configENS1_25partition_config_selectorILNS1_17partition_subalgoE9EllbEEZZNS1_14partition_implILS5_9ELb0ES3_jPlS8_PNS0_10empty_typeENS0_5tupleIJS8_S9_EEENSB_IJS8_SA_EEENS0_18inequality_wrapperIZN2at6native12_GLOBAL__N_124unique_dim_cuda_templateIN3c108BFloat16EEESt5tupleIJNSF_6TensorESM_SM_EERKSM_lbbbEUlllE0_EEPmJS9_EEE10hipError_tPvRmT3_T4_T5_T6_T7_T9_mT8_P12ihipStream_tbDpT10_ENKUlT_T0_E_clISt17integral_constantIbLb0EES1C_EEDaS17_S18_EUlS17_E_NS1_11comp_targetILNS1_3genE0ELNS1_11target_archE4294967295ELNS1_3gpuE0ELNS1_3repE0EEENS1_30default_config_static_selectorELNS0_4arch9wavefront6targetE0EEEvT1_.numbered_sgpr, 32
	.set _ZN7rocprim17ROCPRIM_400000_NS6detail17trampoline_kernelINS0_14default_configENS1_25partition_config_selectorILNS1_17partition_subalgoE9EllbEEZZNS1_14partition_implILS5_9ELb0ES3_jPlS8_PNS0_10empty_typeENS0_5tupleIJS8_S9_EEENSB_IJS8_SA_EEENS0_18inequality_wrapperIZN2at6native12_GLOBAL__N_124unique_dim_cuda_templateIN3c108BFloat16EEESt5tupleIJNSF_6TensorESM_SM_EERKSM_lbbbEUlllE0_EEPmJS9_EEE10hipError_tPvRmT3_T4_T5_T6_T7_T9_mT8_P12ihipStream_tbDpT10_ENKUlT_T0_E_clISt17integral_constantIbLb0EES1C_EEDaS17_S18_EUlS17_E_NS1_11comp_targetILNS1_3genE0ELNS1_11target_archE4294967295ELNS1_3gpuE0ELNS1_3repE0EEENS1_30default_config_static_selectorELNS0_4arch9wavefront6targetE0EEEvT1_.num_named_barrier, 0
	.set _ZN7rocprim17ROCPRIM_400000_NS6detail17trampoline_kernelINS0_14default_configENS1_25partition_config_selectorILNS1_17partition_subalgoE9EllbEEZZNS1_14partition_implILS5_9ELb0ES3_jPlS8_PNS0_10empty_typeENS0_5tupleIJS8_S9_EEENSB_IJS8_SA_EEENS0_18inequality_wrapperIZN2at6native12_GLOBAL__N_124unique_dim_cuda_templateIN3c108BFloat16EEESt5tupleIJNSF_6TensorESM_SM_EERKSM_lbbbEUlllE0_EEPmJS9_EEE10hipError_tPvRmT3_T4_T5_T6_T7_T9_mT8_P12ihipStream_tbDpT10_ENKUlT_T0_E_clISt17integral_constantIbLb0EES1C_EEDaS17_S18_EUlS17_E_NS1_11comp_targetILNS1_3genE0ELNS1_11target_archE4294967295ELNS1_3gpuE0ELNS1_3repE0EEENS1_30default_config_static_selectorELNS0_4arch9wavefront6targetE0EEEvT1_.private_seg_size, 0
	.set _ZN7rocprim17ROCPRIM_400000_NS6detail17trampoline_kernelINS0_14default_configENS1_25partition_config_selectorILNS1_17partition_subalgoE9EllbEEZZNS1_14partition_implILS5_9ELb0ES3_jPlS8_PNS0_10empty_typeENS0_5tupleIJS8_S9_EEENSB_IJS8_SA_EEENS0_18inequality_wrapperIZN2at6native12_GLOBAL__N_124unique_dim_cuda_templateIN3c108BFloat16EEESt5tupleIJNSF_6TensorESM_SM_EERKSM_lbbbEUlllE0_EEPmJS9_EEE10hipError_tPvRmT3_T4_T5_T6_T7_T9_mT8_P12ihipStream_tbDpT10_ENKUlT_T0_E_clISt17integral_constantIbLb0EES1C_EEDaS17_S18_EUlS17_E_NS1_11comp_targetILNS1_3genE0ELNS1_11target_archE4294967295ELNS1_3gpuE0ELNS1_3repE0EEENS1_30default_config_static_selectorELNS0_4arch9wavefront6targetE0EEEvT1_.uses_vcc, 1
	.set _ZN7rocprim17ROCPRIM_400000_NS6detail17trampoline_kernelINS0_14default_configENS1_25partition_config_selectorILNS1_17partition_subalgoE9EllbEEZZNS1_14partition_implILS5_9ELb0ES3_jPlS8_PNS0_10empty_typeENS0_5tupleIJS8_S9_EEENSB_IJS8_SA_EEENS0_18inequality_wrapperIZN2at6native12_GLOBAL__N_124unique_dim_cuda_templateIN3c108BFloat16EEESt5tupleIJNSF_6TensorESM_SM_EERKSM_lbbbEUlllE0_EEPmJS9_EEE10hipError_tPvRmT3_T4_T5_T6_T7_T9_mT8_P12ihipStream_tbDpT10_ENKUlT_T0_E_clISt17integral_constantIbLb0EES1C_EEDaS17_S18_EUlS17_E_NS1_11comp_targetILNS1_3genE0ELNS1_11target_archE4294967295ELNS1_3gpuE0ELNS1_3repE0EEENS1_30default_config_static_selectorELNS0_4arch9wavefront6targetE0EEEvT1_.uses_flat_scratch, 0
	.set _ZN7rocprim17ROCPRIM_400000_NS6detail17trampoline_kernelINS0_14default_configENS1_25partition_config_selectorILNS1_17partition_subalgoE9EllbEEZZNS1_14partition_implILS5_9ELb0ES3_jPlS8_PNS0_10empty_typeENS0_5tupleIJS8_S9_EEENSB_IJS8_SA_EEENS0_18inequality_wrapperIZN2at6native12_GLOBAL__N_124unique_dim_cuda_templateIN3c108BFloat16EEESt5tupleIJNSF_6TensorESM_SM_EERKSM_lbbbEUlllE0_EEPmJS9_EEE10hipError_tPvRmT3_T4_T5_T6_T7_T9_mT8_P12ihipStream_tbDpT10_ENKUlT_T0_E_clISt17integral_constantIbLb0EES1C_EEDaS17_S18_EUlS17_E_NS1_11comp_targetILNS1_3genE0ELNS1_11target_archE4294967295ELNS1_3gpuE0ELNS1_3repE0EEENS1_30default_config_static_selectorELNS0_4arch9wavefront6targetE0EEEvT1_.has_dyn_sized_stack, 0
	.set _ZN7rocprim17ROCPRIM_400000_NS6detail17trampoline_kernelINS0_14default_configENS1_25partition_config_selectorILNS1_17partition_subalgoE9EllbEEZZNS1_14partition_implILS5_9ELb0ES3_jPlS8_PNS0_10empty_typeENS0_5tupleIJS8_S9_EEENSB_IJS8_SA_EEENS0_18inequality_wrapperIZN2at6native12_GLOBAL__N_124unique_dim_cuda_templateIN3c108BFloat16EEESt5tupleIJNSF_6TensorESM_SM_EERKSM_lbbbEUlllE0_EEPmJS9_EEE10hipError_tPvRmT3_T4_T5_T6_T7_T9_mT8_P12ihipStream_tbDpT10_ENKUlT_T0_E_clISt17integral_constantIbLb0EES1C_EEDaS17_S18_EUlS17_E_NS1_11comp_targetILNS1_3genE0ELNS1_11target_archE4294967295ELNS1_3gpuE0ELNS1_3repE0EEENS1_30default_config_static_selectorELNS0_4arch9wavefront6targetE0EEEvT1_.has_recursion, 0
	.set _ZN7rocprim17ROCPRIM_400000_NS6detail17trampoline_kernelINS0_14default_configENS1_25partition_config_selectorILNS1_17partition_subalgoE9EllbEEZZNS1_14partition_implILS5_9ELb0ES3_jPlS8_PNS0_10empty_typeENS0_5tupleIJS8_S9_EEENSB_IJS8_SA_EEENS0_18inequality_wrapperIZN2at6native12_GLOBAL__N_124unique_dim_cuda_templateIN3c108BFloat16EEESt5tupleIJNSF_6TensorESM_SM_EERKSM_lbbbEUlllE0_EEPmJS9_EEE10hipError_tPvRmT3_T4_T5_T6_T7_T9_mT8_P12ihipStream_tbDpT10_ENKUlT_T0_E_clISt17integral_constantIbLb0EES1C_EEDaS17_S18_EUlS17_E_NS1_11comp_targetILNS1_3genE0ELNS1_11target_archE4294967295ELNS1_3gpuE0ELNS1_3repE0EEENS1_30default_config_static_selectorELNS0_4arch9wavefront6targetE0EEEvT1_.has_indirect_call, 0
	.section	.AMDGPU.csdata,"",@progbits
; Kernel info:
; codeLenInByte = 9628
; TotalNumSgprs: 34
; NumVgprs: 56
; ScratchSize: 0
; MemoryBound: 0
; FloatMode: 240
; IeeeMode: 1
; LDSByteSize: 5128 bytes/workgroup (compile time only)
; SGPRBlocks: 0
; VGPRBlocks: 3
; NumSGPRsForWavesPerEU: 34
; NumVGPRsForWavesPerEU: 56
; NamedBarCnt: 0
; Occupancy: 16
; WaveLimiterHint : 1
; COMPUTE_PGM_RSRC2:SCRATCH_EN: 0
; COMPUTE_PGM_RSRC2:USER_SGPR: 2
; COMPUTE_PGM_RSRC2:TRAP_HANDLER: 0
; COMPUTE_PGM_RSRC2:TGID_X_EN: 1
; COMPUTE_PGM_RSRC2:TGID_Y_EN: 0
; COMPUTE_PGM_RSRC2:TGID_Z_EN: 0
; COMPUTE_PGM_RSRC2:TIDIG_COMP_CNT: 0
	.section	.text._ZN7rocprim17ROCPRIM_400000_NS6detail17trampoline_kernelINS0_14default_configENS1_25partition_config_selectorILNS1_17partition_subalgoE9EllbEEZZNS1_14partition_implILS5_9ELb0ES3_jPlS8_PNS0_10empty_typeENS0_5tupleIJS8_S9_EEENSB_IJS8_SA_EEENS0_18inequality_wrapperIZN2at6native12_GLOBAL__N_124unique_dim_cuda_templateIN3c108BFloat16EEESt5tupleIJNSF_6TensorESM_SM_EERKSM_lbbbEUlllE0_EEPmJS9_EEE10hipError_tPvRmT3_T4_T5_T6_T7_T9_mT8_P12ihipStream_tbDpT10_ENKUlT_T0_E_clISt17integral_constantIbLb0EES1C_EEDaS17_S18_EUlS17_E_NS1_11comp_targetILNS1_3genE5ELNS1_11target_archE942ELNS1_3gpuE9ELNS1_3repE0EEENS1_30default_config_static_selectorELNS0_4arch9wavefront6targetE0EEEvT1_,"axG",@progbits,_ZN7rocprim17ROCPRIM_400000_NS6detail17trampoline_kernelINS0_14default_configENS1_25partition_config_selectorILNS1_17partition_subalgoE9EllbEEZZNS1_14partition_implILS5_9ELb0ES3_jPlS8_PNS0_10empty_typeENS0_5tupleIJS8_S9_EEENSB_IJS8_SA_EEENS0_18inequality_wrapperIZN2at6native12_GLOBAL__N_124unique_dim_cuda_templateIN3c108BFloat16EEESt5tupleIJNSF_6TensorESM_SM_EERKSM_lbbbEUlllE0_EEPmJS9_EEE10hipError_tPvRmT3_T4_T5_T6_T7_T9_mT8_P12ihipStream_tbDpT10_ENKUlT_T0_E_clISt17integral_constantIbLb0EES1C_EEDaS17_S18_EUlS17_E_NS1_11comp_targetILNS1_3genE5ELNS1_11target_archE942ELNS1_3gpuE9ELNS1_3repE0EEENS1_30default_config_static_selectorELNS0_4arch9wavefront6targetE0EEEvT1_,comdat
	.globl	_ZN7rocprim17ROCPRIM_400000_NS6detail17trampoline_kernelINS0_14default_configENS1_25partition_config_selectorILNS1_17partition_subalgoE9EllbEEZZNS1_14partition_implILS5_9ELb0ES3_jPlS8_PNS0_10empty_typeENS0_5tupleIJS8_S9_EEENSB_IJS8_SA_EEENS0_18inequality_wrapperIZN2at6native12_GLOBAL__N_124unique_dim_cuda_templateIN3c108BFloat16EEESt5tupleIJNSF_6TensorESM_SM_EERKSM_lbbbEUlllE0_EEPmJS9_EEE10hipError_tPvRmT3_T4_T5_T6_T7_T9_mT8_P12ihipStream_tbDpT10_ENKUlT_T0_E_clISt17integral_constantIbLb0EES1C_EEDaS17_S18_EUlS17_E_NS1_11comp_targetILNS1_3genE5ELNS1_11target_archE942ELNS1_3gpuE9ELNS1_3repE0EEENS1_30default_config_static_selectorELNS0_4arch9wavefront6targetE0EEEvT1_ ; -- Begin function _ZN7rocprim17ROCPRIM_400000_NS6detail17trampoline_kernelINS0_14default_configENS1_25partition_config_selectorILNS1_17partition_subalgoE9EllbEEZZNS1_14partition_implILS5_9ELb0ES3_jPlS8_PNS0_10empty_typeENS0_5tupleIJS8_S9_EEENSB_IJS8_SA_EEENS0_18inequality_wrapperIZN2at6native12_GLOBAL__N_124unique_dim_cuda_templateIN3c108BFloat16EEESt5tupleIJNSF_6TensorESM_SM_EERKSM_lbbbEUlllE0_EEPmJS9_EEE10hipError_tPvRmT3_T4_T5_T6_T7_T9_mT8_P12ihipStream_tbDpT10_ENKUlT_T0_E_clISt17integral_constantIbLb0EES1C_EEDaS17_S18_EUlS17_E_NS1_11comp_targetILNS1_3genE5ELNS1_11target_archE942ELNS1_3gpuE9ELNS1_3repE0EEENS1_30default_config_static_selectorELNS0_4arch9wavefront6targetE0EEEvT1_
	.p2align	8
	.type	_ZN7rocprim17ROCPRIM_400000_NS6detail17trampoline_kernelINS0_14default_configENS1_25partition_config_selectorILNS1_17partition_subalgoE9EllbEEZZNS1_14partition_implILS5_9ELb0ES3_jPlS8_PNS0_10empty_typeENS0_5tupleIJS8_S9_EEENSB_IJS8_SA_EEENS0_18inequality_wrapperIZN2at6native12_GLOBAL__N_124unique_dim_cuda_templateIN3c108BFloat16EEESt5tupleIJNSF_6TensorESM_SM_EERKSM_lbbbEUlllE0_EEPmJS9_EEE10hipError_tPvRmT3_T4_T5_T6_T7_T9_mT8_P12ihipStream_tbDpT10_ENKUlT_T0_E_clISt17integral_constantIbLb0EES1C_EEDaS17_S18_EUlS17_E_NS1_11comp_targetILNS1_3genE5ELNS1_11target_archE942ELNS1_3gpuE9ELNS1_3repE0EEENS1_30default_config_static_selectorELNS0_4arch9wavefront6targetE0EEEvT1_,@function
_ZN7rocprim17ROCPRIM_400000_NS6detail17trampoline_kernelINS0_14default_configENS1_25partition_config_selectorILNS1_17partition_subalgoE9EllbEEZZNS1_14partition_implILS5_9ELb0ES3_jPlS8_PNS0_10empty_typeENS0_5tupleIJS8_S9_EEENSB_IJS8_SA_EEENS0_18inequality_wrapperIZN2at6native12_GLOBAL__N_124unique_dim_cuda_templateIN3c108BFloat16EEESt5tupleIJNSF_6TensorESM_SM_EERKSM_lbbbEUlllE0_EEPmJS9_EEE10hipError_tPvRmT3_T4_T5_T6_T7_T9_mT8_P12ihipStream_tbDpT10_ENKUlT_T0_E_clISt17integral_constantIbLb0EES1C_EEDaS17_S18_EUlS17_E_NS1_11comp_targetILNS1_3genE5ELNS1_11target_archE942ELNS1_3gpuE9ELNS1_3repE0EEENS1_30default_config_static_selectorELNS0_4arch9wavefront6targetE0EEEvT1_: ; @_ZN7rocprim17ROCPRIM_400000_NS6detail17trampoline_kernelINS0_14default_configENS1_25partition_config_selectorILNS1_17partition_subalgoE9EllbEEZZNS1_14partition_implILS5_9ELb0ES3_jPlS8_PNS0_10empty_typeENS0_5tupleIJS8_S9_EEENSB_IJS8_SA_EEENS0_18inequality_wrapperIZN2at6native12_GLOBAL__N_124unique_dim_cuda_templateIN3c108BFloat16EEESt5tupleIJNSF_6TensorESM_SM_EERKSM_lbbbEUlllE0_EEPmJS9_EEE10hipError_tPvRmT3_T4_T5_T6_T7_T9_mT8_P12ihipStream_tbDpT10_ENKUlT_T0_E_clISt17integral_constantIbLb0EES1C_EEDaS17_S18_EUlS17_E_NS1_11comp_targetILNS1_3genE5ELNS1_11target_archE942ELNS1_3gpuE9ELNS1_3repE0EEENS1_30default_config_static_selectorELNS0_4arch9wavefront6targetE0EEEvT1_
; %bb.0:
	.section	.rodata,"a",@progbits
	.p2align	6, 0x0
	.amdhsa_kernel _ZN7rocprim17ROCPRIM_400000_NS6detail17trampoline_kernelINS0_14default_configENS1_25partition_config_selectorILNS1_17partition_subalgoE9EllbEEZZNS1_14partition_implILS5_9ELb0ES3_jPlS8_PNS0_10empty_typeENS0_5tupleIJS8_S9_EEENSB_IJS8_SA_EEENS0_18inequality_wrapperIZN2at6native12_GLOBAL__N_124unique_dim_cuda_templateIN3c108BFloat16EEESt5tupleIJNSF_6TensorESM_SM_EERKSM_lbbbEUlllE0_EEPmJS9_EEE10hipError_tPvRmT3_T4_T5_T6_T7_T9_mT8_P12ihipStream_tbDpT10_ENKUlT_T0_E_clISt17integral_constantIbLb0EES1C_EEDaS17_S18_EUlS17_E_NS1_11comp_targetILNS1_3genE5ELNS1_11target_archE942ELNS1_3gpuE9ELNS1_3repE0EEENS1_30default_config_static_selectorELNS0_4arch9wavefront6targetE0EEEvT1_
		.amdhsa_group_segment_fixed_size 0
		.amdhsa_private_segment_fixed_size 0
		.amdhsa_kernarg_size 120
		.amdhsa_user_sgpr_count 2
		.amdhsa_user_sgpr_dispatch_ptr 0
		.amdhsa_user_sgpr_queue_ptr 0
		.amdhsa_user_sgpr_kernarg_segment_ptr 1
		.amdhsa_user_sgpr_dispatch_id 0
		.amdhsa_user_sgpr_kernarg_preload_length 0
		.amdhsa_user_sgpr_kernarg_preload_offset 0
		.amdhsa_user_sgpr_private_segment_size 0
		.amdhsa_wavefront_size32 1
		.amdhsa_uses_dynamic_stack 0
		.amdhsa_enable_private_segment 0
		.amdhsa_system_sgpr_workgroup_id_x 1
		.amdhsa_system_sgpr_workgroup_id_y 0
		.amdhsa_system_sgpr_workgroup_id_z 0
		.amdhsa_system_sgpr_workgroup_info 0
		.amdhsa_system_vgpr_workitem_id 0
		.amdhsa_next_free_vgpr 1
		.amdhsa_next_free_sgpr 1
		.amdhsa_named_barrier_count 0
		.amdhsa_reserve_vcc 0
		.amdhsa_float_round_mode_32 0
		.amdhsa_float_round_mode_16_64 0
		.amdhsa_float_denorm_mode_32 3
		.amdhsa_float_denorm_mode_16_64 3
		.amdhsa_fp16_overflow 0
		.amdhsa_memory_ordered 1
		.amdhsa_forward_progress 1
		.amdhsa_inst_pref_size 0
		.amdhsa_round_robin_scheduling 0
		.amdhsa_exception_fp_ieee_invalid_op 0
		.amdhsa_exception_fp_denorm_src 0
		.amdhsa_exception_fp_ieee_div_zero 0
		.amdhsa_exception_fp_ieee_overflow 0
		.amdhsa_exception_fp_ieee_underflow 0
		.amdhsa_exception_fp_ieee_inexact 0
		.amdhsa_exception_int_div_zero 0
	.end_amdhsa_kernel
	.section	.text._ZN7rocprim17ROCPRIM_400000_NS6detail17trampoline_kernelINS0_14default_configENS1_25partition_config_selectorILNS1_17partition_subalgoE9EllbEEZZNS1_14partition_implILS5_9ELb0ES3_jPlS8_PNS0_10empty_typeENS0_5tupleIJS8_S9_EEENSB_IJS8_SA_EEENS0_18inequality_wrapperIZN2at6native12_GLOBAL__N_124unique_dim_cuda_templateIN3c108BFloat16EEESt5tupleIJNSF_6TensorESM_SM_EERKSM_lbbbEUlllE0_EEPmJS9_EEE10hipError_tPvRmT3_T4_T5_T6_T7_T9_mT8_P12ihipStream_tbDpT10_ENKUlT_T0_E_clISt17integral_constantIbLb0EES1C_EEDaS17_S18_EUlS17_E_NS1_11comp_targetILNS1_3genE5ELNS1_11target_archE942ELNS1_3gpuE9ELNS1_3repE0EEENS1_30default_config_static_selectorELNS0_4arch9wavefront6targetE0EEEvT1_,"axG",@progbits,_ZN7rocprim17ROCPRIM_400000_NS6detail17trampoline_kernelINS0_14default_configENS1_25partition_config_selectorILNS1_17partition_subalgoE9EllbEEZZNS1_14partition_implILS5_9ELb0ES3_jPlS8_PNS0_10empty_typeENS0_5tupleIJS8_S9_EEENSB_IJS8_SA_EEENS0_18inequality_wrapperIZN2at6native12_GLOBAL__N_124unique_dim_cuda_templateIN3c108BFloat16EEESt5tupleIJNSF_6TensorESM_SM_EERKSM_lbbbEUlllE0_EEPmJS9_EEE10hipError_tPvRmT3_T4_T5_T6_T7_T9_mT8_P12ihipStream_tbDpT10_ENKUlT_T0_E_clISt17integral_constantIbLb0EES1C_EEDaS17_S18_EUlS17_E_NS1_11comp_targetILNS1_3genE5ELNS1_11target_archE942ELNS1_3gpuE9ELNS1_3repE0EEENS1_30default_config_static_selectorELNS0_4arch9wavefront6targetE0EEEvT1_,comdat
.Lfunc_end1207:
	.size	_ZN7rocprim17ROCPRIM_400000_NS6detail17trampoline_kernelINS0_14default_configENS1_25partition_config_selectorILNS1_17partition_subalgoE9EllbEEZZNS1_14partition_implILS5_9ELb0ES3_jPlS8_PNS0_10empty_typeENS0_5tupleIJS8_S9_EEENSB_IJS8_SA_EEENS0_18inequality_wrapperIZN2at6native12_GLOBAL__N_124unique_dim_cuda_templateIN3c108BFloat16EEESt5tupleIJNSF_6TensorESM_SM_EERKSM_lbbbEUlllE0_EEPmJS9_EEE10hipError_tPvRmT3_T4_T5_T6_T7_T9_mT8_P12ihipStream_tbDpT10_ENKUlT_T0_E_clISt17integral_constantIbLb0EES1C_EEDaS17_S18_EUlS17_E_NS1_11comp_targetILNS1_3genE5ELNS1_11target_archE942ELNS1_3gpuE9ELNS1_3repE0EEENS1_30default_config_static_selectorELNS0_4arch9wavefront6targetE0EEEvT1_, .Lfunc_end1207-_ZN7rocprim17ROCPRIM_400000_NS6detail17trampoline_kernelINS0_14default_configENS1_25partition_config_selectorILNS1_17partition_subalgoE9EllbEEZZNS1_14partition_implILS5_9ELb0ES3_jPlS8_PNS0_10empty_typeENS0_5tupleIJS8_S9_EEENSB_IJS8_SA_EEENS0_18inequality_wrapperIZN2at6native12_GLOBAL__N_124unique_dim_cuda_templateIN3c108BFloat16EEESt5tupleIJNSF_6TensorESM_SM_EERKSM_lbbbEUlllE0_EEPmJS9_EEE10hipError_tPvRmT3_T4_T5_T6_T7_T9_mT8_P12ihipStream_tbDpT10_ENKUlT_T0_E_clISt17integral_constantIbLb0EES1C_EEDaS17_S18_EUlS17_E_NS1_11comp_targetILNS1_3genE5ELNS1_11target_archE942ELNS1_3gpuE9ELNS1_3repE0EEENS1_30default_config_static_selectorELNS0_4arch9wavefront6targetE0EEEvT1_
                                        ; -- End function
	.set _ZN7rocprim17ROCPRIM_400000_NS6detail17trampoline_kernelINS0_14default_configENS1_25partition_config_selectorILNS1_17partition_subalgoE9EllbEEZZNS1_14partition_implILS5_9ELb0ES3_jPlS8_PNS0_10empty_typeENS0_5tupleIJS8_S9_EEENSB_IJS8_SA_EEENS0_18inequality_wrapperIZN2at6native12_GLOBAL__N_124unique_dim_cuda_templateIN3c108BFloat16EEESt5tupleIJNSF_6TensorESM_SM_EERKSM_lbbbEUlllE0_EEPmJS9_EEE10hipError_tPvRmT3_T4_T5_T6_T7_T9_mT8_P12ihipStream_tbDpT10_ENKUlT_T0_E_clISt17integral_constantIbLb0EES1C_EEDaS17_S18_EUlS17_E_NS1_11comp_targetILNS1_3genE5ELNS1_11target_archE942ELNS1_3gpuE9ELNS1_3repE0EEENS1_30default_config_static_selectorELNS0_4arch9wavefront6targetE0EEEvT1_.num_vgpr, 0
	.set _ZN7rocprim17ROCPRIM_400000_NS6detail17trampoline_kernelINS0_14default_configENS1_25partition_config_selectorILNS1_17partition_subalgoE9EllbEEZZNS1_14partition_implILS5_9ELb0ES3_jPlS8_PNS0_10empty_typeENS0_5tupleIJS8_S9_EEENSB_IJS8_SA_EEENS0_18inequality_wrapperIZN2at6native12_GLOBAL__N_124unique_dim_cuda_templateIN3c108BFloat16EEESt5tupleIJNSF_6TensorESM_SM_EERKSM_lbbbEUlllE0_EEPmJS9_EEE10hipError_tPvRmT3_T4_T5_T6_T7_T9_mT8_P12ihipStream_tbDpT10_ENKUlT_T0_E_clISt17integral_constantIbLb0EES1C_EEDaS17_S18_EUlS17_E_NS1_11comp_targetILNS1_3genE5ELNS1_11target_archE942ELNS1_3gpuE9ELNS1_3repE0EEENS1_30default_config_static_selectorELNS0_4arch9wavefront6targetE0EEEvT1_.num_agpr, 0
	.set _ZN7rocprim17ROCPRIM_400000_NS6detail17trampoline_kernelINS0_14default_configENS1_25partition_config_selectorILNS1_17partition_subalgoE9EllbEEZZNS1_14partition_implILS5_9ELb0ES3_jPlS8_PNS0_10empty_typeENS0_5tupleIJS8_S9_EEENSB_IJS8_SA_EEENS0_18inequality_wrapperIZN2at6native12_GLOBAL__N_124unique_dim_cuda_templateIN3c108BFloat16EEESt5tupleIJNSF_6TensorESM_SM_EERKSM_lbbbEUlllE0_EEPmJS9_EEE10hipError_tPvRmT3_T4_T5_T6_T7_T9_mT8_P12ihipStream_tbDpT10_ENKUlT_T0_E_clISt17integral_constantIbLb0EES1C_EEDaS17_S18_EUlS17_E_NS1_11comp_targetILNS1_3genE5ELNS1_11target_archE942ELNS1_3gpuE9ELNS1_3repE0EEENS1_30default_config_static_selectorELNS0_4arch9wavefront6targetE0EEEvT1_.numbered_sgpr, 0
	.set _ZN7rocprim17ROCPRIM_400000_NS6detail17trampoline_kernelINS0_14default_configENS1_25partition_config_selectorILNS1_17partition_subalgoE9EllbEEZZNS1_14partition_implILS5_9ELb0ES3_jPlS8_PNS0_10empty_typeENS0_5tupleIJS8_S9_EEENSB_IJS8_SA_EEENS0_18inequality_wrapperIZN2at6native12_GLOBAL__N_124unique_dim_cuda_templateIN3c108BFloat16EEESt5tupleIJNSF_6TensorESM_SM_EERKSM_lbbbEUlllE0_EEPmJS9_EEE10hipError_tPvRmT3_T4_T5_T6_T7_T9_mT8_P12ihipStream_tbDpT10_ENKUlT_T0_E_clISt17integral_constantIbLb0EES1C_EEDaS17_S18_EUlS17_E_NS1_11comp_targetILNS1_3genE5ELNS1_11target_archE942ELNS1_3gpuE9ELNS1_3repE0EEENS1_30default_config_static_selectorELNS0_4arch9wavefront6targetE0EEEvT1_.num_named_barrier, 0
	.set _ZN7rocprim17ROCPRIM_400000_NS6detail17trampoline_kernelINS0_14default_configENS1_25partition_config_selectorILNS1_17partition_subalgoE9EllbEEZZNS1_14partition_implILS5_9ELb0ES3_jPlS8_PNS0_10empty_typeENS0_5tupleIJS8_S9_EEENSB_IJS8_SA_EEENS0_18inequality_wrapperIZN2at6native12_GLOBAL__N_124unique_dim_cuda_templateIN3c108BFloat16EEESt5tupleIJNSF_6TensorESM_SM_EERKSM_lbbbEUlllE0_EEPmJS9_EEE10hipError_tPvRmT3_T4_T5_T6_T7_T9_mT8_P12ihipStream_tbDpT10_ENKUlT_T0_E_clISt17integral_constantIbLb0EES1C_EEDaS17_S18_EUlS17_E_NS1_11comp_targetILNS1_3genE5ELNS1_11target_archE942ELNS1_3gpuE9ELNS1_3repE0EEENS1_30default_config_static_selectorELNS0_4arch9wavefront6targetE0EEEvT1_.private_seg_size, 0
	.set _ZN7rocprim17ROCPRIM_400000_NS6detail17trampoline_kernelINS0_14default_configENS1_25partition_config_selectorILNS1_17partition_subalgoE9EllbEEZZNS1_14partition_implILS5_9ELb0ES3_jPlS8_PNS0_10empty_typeENS0_5tupleIJS8_S9_EEENSB_IJS8_SA_EEENS0_18inequality_wrapperIZN2at6native12_GLOBAL__N_124unique_dim_cuda_templateIN3c108BFloat16EEESt5tupleIJNSF_6TensorESM_SM_EERKSM_lbbbEUlllE0_EEPmJS9_EEE10hipError_tPvRmT3_T4_T5_T6_T7_T9_mT8_P12ihipStream_tbDpT10_ENKUlT_T0_E_clISt17integral_constantIbLb0EES1C_EEDaS17_S18_EUlS17_E_NS1_11comp_targetILNS1_3genE5ELNS1_11target_archE942ELNS1_3gpuE9ELNS1_3repE0EEENS1_30default_config_static_selectorELNS0_4arch9wavefront6targetE0EEEvT1_.uses_vcc, 0
	.set _ZN7rocprim17ROCPRIM_400000_NS6detail17trampoline_kernelINS0_14default_configENS1_25partition_config_selectorILNS1_17partition_subalgoE9EllbEEZZNS1_14partition_implILS5_9ELb0ES3_jPlS8_PNS0_10empty_typeENS0_5tupleIJS8_S9_EEENSB_IJS8_SA_EEENS0_18inequality_wrapperIZN2at6native12_GLOBAL__N_124unique_dim_cuda_templateIN3c108BFloat16EEESt5tupleIJNSF_6TensorESM_SM_EERKSM_lbbbEUlllE0_EEPmJS9_EEE10hipError_tPvRmT3_T4_T5_T6_T7_T9_mT8_P12ihipStream_tbDpT10_ENKUlT_T0_E_clISt17integral_constantIbLb0EES1C_EEDaS17_S18_EUlS17_E_NS1_11comp_targetILNS1_3genE5ELNS1_11target_archE942ELNS1_3gpuE9ELNS1_3repE0EEENS1_30default_config_static_selectorELNS0_4arch9wavefront6targetE0EEEvT1_.uses_flat_scratch, 0
	.set _ZN7rocprim17ROCPRIM_400000_NS6detail17trampoline_kernelINS0_14default_configENS1_25partition_config_selectorILNS1_17partition_subalgoE9EllbEEZZNS1_14partition_implILS5_9ELb0ES3_jPlS8_PNS0_10empty_typeENS0_5tupleIJS8_S9_EEENSB_IJS8_SA_EEENS0_18inequality_wrapperIZN2at6native12_GLOBAL__N_124unique_dim_cuda_templateIN3c108BFloat16EEESt5tupleIJNSF_6TensorESM_SM_EERKSM_lbbbEUlllE0_EEPmJS9_EEE10hipError_tPvRmT3_T4_T5_T6_T7_T9_mT8_P12ihipStream_tbDpT10_ENKUlT_T0_E_clISt17integral_constantIbLb0EES1C_EEDaS17_S18_EUlS17_E_NS1_11comp_targetILNS1_3genE5ELNS1_11target_archE942ELNS1_3gpuE9ELNS1_3repE0EEENS1_30default_config_static_selectorELNS0_4arch9wavefront6targetE0EEEvT1_.has_dyn_sized_stack, 0
	.set _ZN7rocprim17ROCPRIM_400000_NS6detail17trampoline_kernelINS0_14default_configENS1_25partition_config_selectorILNS1_17partition_subalgoE9EllbEEZZNS1_14partition_implILS5_9ELb0ES3_jPlS8_PNS0_10empty_typeENS0_5tupleIJS8_S9_EEENSB_IJS8_SA_EEENS0_18inequality_wrapperIZN2at6native12_GLOBAL__N_124unique_dim_cuda_templateIN3c108BFloat16EEESt5tupleIJNSF_6TensorESM_SM_EERKSM_lbbbEUlllE0_EEPmJS9_EEE10hipError_tPvRmT3_T4_T5_T6_T7_T9_mT8_P12ihipStream_tbDpT10_ENKUlT_T0_E_clISt17integral_constantIbLb0EES1C_EEDaS17_S18_EUlS17_E_NS1_11comp_targetILNS1_3genE5ELNS1_11target_archE942ELNS1_3gpuE9ELNS1_3repE0EEENS1_30default_config_static_selectorELNS0_4arch9wavefront6targetE0EEEvT1_.has_recursion, 0
	.set _ZN7rocprim17ROCPRIM_400000_NS6detail17trampoline_kernelINS0_14default_configENS1_25partition_config_selectorILNS1_17partition_subalgoE9EllbEEZZNS1_14partition_implILS5_9ELb0ES3_jPlS8_PNS0_10empty_typeENS0_5tupleIJS8_S9_EEENSB_IJS8_SA_EEENS0_18inequality_wrapperIZN2at6native12_GLOBAL__N_124unique_dim_cuda_templateIN3c108BFloat16EEESt5tupleIJNSF_6TensorESM_SM_EERKSM_lbbbEUlllE0_EEPmJS9_EEE10hipError_tPvRmT3_T4_T5_T6_T7_T9_mT8_P12ihipStream_tbDpT10_ENKUlT_T0_E_clISt17integral_constantIbLb0EES1C_EEDaS17_S18_EUlS17_E_NS1_11comp_targetILNS1_3genE5ELNS1_11target_archE942ELNS1_3gpuE9ELNS1_3repE0EEENS1_30default_config_static_selectorELNS0_4arch9wavefront6targetE0EEEvT1_.has_indirect_call, 0
	.section	.AMDGPU.csdata,"",@progbits
; Kernel info:
; codeLenInByte = 0
; TotalNumSgprs: 0
; NumVgprs: 0
; ScratchSize: 0
; MemoryBound: 0
; FloatMode: 240
; IeeeMode: 1
; LDSByteSize: 0 bytes/workgroup (compile time only)
; SGPRBlocks: 0
; VGPRBlocks: 0
; NumSGPRsForWavesPerEU: 1
; NumVGPRsForWavesPerEU: 1
; NamedBarCnt: 0
; Occupancy: 16
; WaveLimiterHint : 0
; COMPUTE_PGM_RSRC2:SCRATCH_EN: 0
; COMPUTE_PGM_RSRC2:USER_SGPR: 2
; COMPUTE_PGM_RSRC2:TRAP_HANDLER: 0
; COMPUTE_PGM_RSRC2:TGID_X_EN: 1
; COMPUTE_PGM_RSRC2:TGID_Y_EN: 0
; COMPUTE_PGM_RSRC2:TGID_Z_EN: 0
; COMPUTE_PGM_RSRC2:TIDIG_COMP_CNT: 0
	.section	.text._ZN7rocprim17ROCPRIM_400000_NS6detail17trampoline_kernelINS0_14default_configENS1_25partition_config_selectorILNS1_17partition_subalgoE9EllbEEZZNS1_14partition_implILS5_9ELb0ES3_jPlS8_PNS0_10empty_typeENS0_5tupleIJS8_S9_EEENSB_IJS8_SA_EEENS0_18inequality_wrapperIZN2at6native12_GLOBAL__N_124unique_dim_cuda_templateIN3c108BFloat16EEESt5tupleIJNSF_6TensorESM_SM_EERKSM_lbbbEUlllE0_EEPmJS9_EEE10hipError_tPvRmT3_T4_T5_T6_T7_T9_mT8_P12ihipStream_tbDpT10_ENKUlT_T0_E_clISt17integral_constantIbLb0EES1C_EEDaS17_S18_EUlS17_E_NS1_11comp_targetILNS1_3genE4ELNS1_11target_archE910ELNS1_3gpuE8ELNS1_3repE0EEENS1_30default_config_static_selectorELNS0_4arch9wavefront6targetE0EEEvT1_,"axG",@progbits,_ZN7rocprim17ROCPRIM_400000_NS6detail17trampoline_kernelINS0_14default_configENS1_25partition_config_selectorILNS1_17partition_subalgoE9EllbEEZZNS1_14partition_implILS5_9ELb0ES3_jPlS8_PNS0_10empty_typeENS0_5tupleIJS8_S9_EEENSB_IJS8_SA_EEENS0_18inequality_wrapperIZN2at6native12_GLOBAL__N_124unique_dim_cuda_templateIN3c108BFloat16EEESt5tupleIJNSF_6TensorESM_SM_EERKSM_lbbbEUlllE0_EEPmJS9_EEE10hipError_tPvRmT3_T4_T5_T6_T7_T9_mT8_P12ihipStream_tbDpT10_ENKUlT_T0_E_clISt17integral_constantIbLb0EES1C_EEDaS17_S18_EUlS17_E_NS1_11comp_targetILNS1_3genE4ELNS1_11target_archE910ELNS1_3gpuE8ELNS1_3repE0EEENS1_30default_config_static_selectorELNS0_4arch9wavefront6targetE0EEEvT1_,comdat
	.globl	_ZN7rocprim17ROCPRIM_400000_NS6detail17trampoline_kernelINS0_14default_configENS1_25partition_config_selectorILNS1_17partition_subalgoE9EllbEEZZNS1_14partition_implILS5_9ELb0ES3_jPlS8_PNS0_10empty_typeENS0_5tupleIJS8_S9_EEENSB_IJS8_SA_EEENS0_18inequality_wrapperIZN2at6native12_GLOBAL__N_124unique_dim_cuda_templateIN3c108BFloat16EEESt5tupleIJNSF_6TensorESM_SM_EERKSM_lbbbEUlllE0_EEPmJS9_EEE10hipError_tPvRmT3_T4_T5_T6_T7_T9_mT8_P12ihipStream_tbDpT10_ENKUlT_T0_E_clISt17integral_constantIbLb0EES1C_EEDaS17_S18_EUlS17_E_NS1_11comp_targetILNS1_3genE4ELNS1_11target_archE910ELNS1_3gpuE8ELNS1_3repE0EEENS1_30default_config_static_selectorELNS0_4arch9wavefront6targetE0EEEvT1_ ; -- Begin function _ZN7rocprim17ROCPRIM_400000_NS6detail17trampoline_kernelINS0_14default_configENS1_25partition_config_selectorILNS1_17partition_subalgoE9EllbEEZZNS1_14partition_implILS5_9ELb0ES3_jPlS8_PNS0_10empty_typeENS0_5tupleIJS8_S9_EEENSB_IJS8_SA_EEENS0_18inequality_wrapperIZN2at6native12_GLOBAL__N_124unique_dim_cuda_templateIN3c108BFloat16EEESt5tupleIJNSF_6TensorESM_SM_EERKSM_lbbbEUlllE0_EEPmJS9_EEE10hipError_tPvRmT3_T4_T5_T6_T7_T9_mT8_P12ihipStream_tbDpT10_ENKUlT_T0_E_clISt17integral_constantIbLb0EES1C_EEDaS17_S18_EUlS17_E_NS1_11comp_targetILNS1_3genE4ELNS1_11target_archE910ELNS1_3gpuE8ELNS1_3repE0EEENS1_30default_config_static_selectorELNS0_4arch9wavefront6targetE0EEEvT1_
	.p2align	8
	.type	_ZN7rocprim17ROCPRIM_400000_NS6detail17trampoline_kernelINS0_14default_configENS1_25partition_config_selectorILNS1_17partition_subalgoE9EllbEEZZNS1_14partition_implILS5_9ELb0ES3_jPlS8_PNS0_10empty_typeENS0_5tupleIJS8_S9_EEENSB_IJS8_SA_EEENS0_18inequality_wrapperIZN2at6native12_GLOBAL__N_124unique_dim_cuda_templateIN3c108BFloat16EEESt5tupleIJNSF_6TensorESM_SM_EERKSM_lbbbEUlllE0_EEPmJS9_EEE10hipError_tPvRmT3_T4_T5_T6_T7_T9_mT8_P12ihipStream_tbDpT10_ENKUlT_T0_E_clISt17integral_constantIbLb0EES1C_EEDaS17_S18_EUlS17_E_NS1_11comp_targetILNS1_3genE4ELNS1_11target_archE910ELNS1_3gpuE8ELNS1_3repE0EEENS1_30default_config_static_selectorELNS0_4arch9wavefront6targetE0EEEvT1_,@function
_ZN7rocprim17ROCPRIM_400000_NS6detail17trampoline_kernelINS0_14default_configENS1_25partition_config_selectorILNS1_17partition_subalgoE9EllbEEZZNS1_14partition_implILS5_9ELb0ES3_jPlS8_PNS0_10empty_typeENS0_5tupleIJS8_S9_EEENSB_IJS8_SA_EEENS0_18inequality_wrapperIZN2at6native12_GLOBAL__N_124unique_dim_cuda_templateIN3c108BFloat16EEESt5tupleIJNSF_6TensorESM_SM_EERKSM_lbbbEUlllE0_EEPmJS9_EEE10hipError_tPvRmT3_T4_T5_T6_T7_T9_mT8_P12ihipStream_tbDpT10_ENKUlT_T0_E_clISt17integral_constantIbLb0EES1C_EEDaS17_S18_EUlS17_E_NS1_11comp_targetILNS1_3genE4ELNS1_11target_archE910ELNS1_3gpuE8ELNS1_3repE0EEENS1_30default_config_static_selectorELNS0_4arch9wavefront6targetE0EEEvT1_: ; @_ZN7rocprim17ROCPRIM_400000_NS6detail17trampoline_kernelINS0_14default_configENS1_25partition_config_selectorILNS1_17partition_subalgoE9EllbEEZZNS1_14partition_implILS5_9ELb0ES3_jPlS8_PNS0_10empty_typeENS0_5tupleIJS8_S9_EEENSB_IJS8_SA_EEENS0_18inequality_wrapperIZN2at6native12_GLOBAL__N_124unique_dim_cuda_templateIN3c108BFloat16EEESt5tupleIJNSF_6TensorESM_SM_EERKSM_lbbbEUlllE0_EEPmJS9_EEE10hipError_tPvRmT3_T4_T5_T6_T7_T9_mT8_P12ihipStream_tbDpT10_ENKUlT_T0_E_clISt17integral_constantIbLb0EES1C_EEDaS17_S18_EUlS17_E_NS1_11comp_targetILNS1_3genE4ELNS1_11target_archE910ELNS1_3gpuE8ELNS1_3repE0EEENS1_30default_config_static_selectorELNS0_4arch9wavefront6targetE0EEEvT1_
; %bb.0:
	.section	.rodata,"a",@progbits
	.p2align	6, 0x0
	.amdhsa_kernel _ZN7rocprim17ROCPRIM_400000_NS6detail17trampoline_kernelINS0_14default_configENS1_25partition_config_selectorILNS1_17partition_subalgoE9EllbEEZZNS1_14partition_implILS5_9ELb0ES3_jPlS8_PNS0_10empty_typeENS0_5tupleIJS8_S9_EEENSB_IJS8_SA_EEENS0_18inequality_wrapperIZN2at6native12_GLOBAL__N_124unique_dim_cuda_templateIN3c108BFloat16EEESt5tupleIJNSF_6TensorESM_SM_EERKSM_lbbbEUlllE0_EEPmJS9_EEE10hipError_tPvRmT3_T4_T5_T6_T7_T9_mT8_P12ihipStream_tbDpT10_ENKUlT_T0_E_clISt17integral_constantIbLb0EES1C_EEDaS17_S18_EUlS17_E_NS1_11comp_targetILNS1_3genE4ELNS1_11target_archE910ELNS1_3gpuE8ELNS1_3repE0EEENS1_30default_config_static_selectorELNS0_4arch9wavefront6targetE0EEEvT1_
		.amdhsa_group_segment_fixed_size 0
		.amdhsa_private_segment_fixed_size 0
		.amdhsa_kernarg_size 120
		.amdhsa_user_sgpr_count 2
		.amdhsa_user_sgpr_dispatch_ptr 0
		.amdhsa_user_sgpr_queue_ptr 0
		.amdhsa_user_sgpr_kernarg_segment_ptr 1
		.amdhsa_user_sgpr_dispatch_id 0
		.amdhsa_user_sgpr_kernarg_preload_length 0
		.amdhsa_user_sgpr_kernarg_preload_offset 0
		.amdhsa_user_sgpr_private_segment_size 0
		.amdhsa_wavefront_size32 1
		.amdhsa_uses_dynamic_stack 0
		.amdhsa_enable_private_segment 0
		.amdhsa_system_sgpr_workgroup_id_x 1
		.amdhsa_system_sgpr_workgroup_id_y 0
		.amdhsa_system_sgpr_workgroup_id_z 0
		.amdhsa_system_sgpr_workgroup_info 0
		.amdhsa_system_vgpr_workitem_id 0
		.amdhsa_next_free_vgpr 1
		.amdhsa_next_free_sgpr 1
		.amdhsa_named_barrier_count 0
		.amdhsa_reserve_vcc 0
		.amdhsa_float_round_mode_32 0
		.amdhsa_float_round_mode_16_64 0
		.amdhsa_float_denorm_mode_32 3
		.amdhsa_float_denorm_mode_16_64 3
		.amdhsa_fp16_overflow 0
		.amdhsa_memory_ordered 1
		.amdhsa_forward_progress 1
		.amdhsa_inst_pref_size 0
		.amdhsa_round_robin_scheduling 0
		.amdhsa_exception_fp_ieee_invalid_op 0
		.amdhsa_exception_fp_denorm_src 0
		.amdhsa_exception_fp_ieee_div_zero 0
		.amdhsa_exception_fp_ieee_overflow 0
		.amdhsa_exception_fp_ieee_underflow 0
		.amdhsa_exception_fp_ieee_inexact 0
		.amdhsa_exception_int_div_zero 0
	.end_amdhsa_kernel
	.section	.text._ZN7rocprim17ROCPRIM_400000_NS6detail17trampoline_kernelINS0_14default_configENS1_25partition_config_selectorILNS1_17partition_subalgoE9EllbEEZZNS1_14partition_implILS5_9ELb0ES3_jPlS8_PNS0_10empty_typeENS0_5tupleIJS8_S9_EEENSB_IJS8_SA_EEENS0_18inequality_wrapperIZN2at6native12_GLOBAL__N_124unique_dim_cuda_templateIN3c108BFloat16EEESt5tupleIJNSF_6TensorESM_SM_EERKSM_lbbbEUlllE0_EEPmJS9_EEE10hipError_tPvRmT3_T4_T5_T6_T7_T9_mT8_P12ihipStream_tbDpT10_ENKUlT_T0_E_clISt17integral_constantIbLb0EES1C_EEDaS17_S18_EUlS17_E_NS1_11comp_targetILNS1_3genE4ELNS1_11target_archE910ELNS1_3gpuE8ELNS1_3repE0EEENS1_30default_config_static_selectorELNS0_4arch9wavefront6targetE0EEEvT1_,"axG",@progbits,_ZN7rocprim17ROCPRIM_400000_NS6detail17trampoline_kernelINS0_14default_configENS1_25partition_config_selectorILNS1_17partition_subalgoE9EllbEEZZNS1_14partition_implILS5_9ELb0ES3_jPlS8_PNS0_10empty_typeENS0_5tupleIJS8_S9_EEENSB_IJS8_SA_EEENS0_18inequality_wrapperIZN2at6native12_GLOBAL__N_124unique_dim_cuda_templateIN3c108BFloat16EEESt5tupleIJNSF_6TensorESM_SM_EERKSM_lbbbEUlllE0_EEPmJS9_EEE10hipError_tPvRmT3_T4_T5_T6_T7_T9_mT8_P12ihipStream_tbDpT10_ENKUlT_T0_E_clISt17integral_constantIbLb0EES1C_EEDaS17_S18_EUlS17_E_NS1_11comp_targetILNS1_3genE4ELNS1_11target_archE910ELNS1_3gpuE8ELNS1_3repE0EEENS1_30default_config_static_selectorELNS0_4arch9wavefront6targetE0EEEvT1_,comdat
.Lfunc_end1208:
	.size	_ZN7rocprim17ROCPRIM_400000_NS6detail17trampoline_kernelINS0_14default_configENS1_25partition_config_selectorILNS1_17partition_subalgoE9EllbEEZZNS1_14partition_implILS5_9ELb0ES3_jPlS8_PNS0_10empty_typeENS0_5tupleIJS8_S9_EEENSB_IJS8_SA_EEENS0_18inequality_wrapperIZN2at6native12_GLOBAL__N_124unique_dim_cuda_templateIN3c108BFloat16EEESt5tupleIJNSF_6TensorESM_SM_EERKSM_lbbbEUlllE0_EEPmJS9_EEE10hipError_tPvRmT3_T4_T5_T6_T7_T9_mT8_P12ihipStream_tbDpT10_ENKUlT_T0_E_clISt17integral_constantIbLb0EES1C_EEDaS17_S18_EUlS17_E_NS1_11comp_targetILNS1_3genE4ELNS1_11target_archE910ELNS1_3gpuE8ELNS1_3repE0EEENS1_30default_config_static_selectorELNS0_4arch9wavefront6targetE0EEEvT1_, .Lfunc_end1208-_ZN7rocprim17ROCPRIM_400000_NS6detail17trampoline_kernelINS0_14default_configENS1_25partition_config_selectorILNS1_17partition_subalgoE9EllbEEZZNS1_14partition_implILS5_9ELb0ES3_jPlS8_PNS0_10empty_typeENS0_5tupleIJS8_S9_EEENSB_IJS8_SA_EEENS0_18inequality_wrapperIZN2at6native12_GLOBAL__N_124unique_dim_cuda_templateIN3c108BFloat16EEESt5tupleIJNSF_6TensorESM_SM_EERKSM_lbbbEUlllE0_EEPmJS9_EEE10hipError_tPvRmT3_T4_T5_T6_T7_T9_mT8_P12ihipStream_tbDpT10_ENKUlT_T0_E_clISt17integral_constantIbLb0EES1C_EEDaS17_S18_EUlS17_E_NS1_11comp_targetILNS1_3genE4ELNS1_11target_archE910ELNS1_3gpuE8ELNS1_3repE0EEENS1_30default_config_static_selectorELNS0_4arch9wavefront6targetE0EEEvT1_
                                        ; -- End function
	.set _ZN7rocprim17ROCPRIM_400000_NS6detail17trampoline_kernelINS0_14default_configENS1_25partition_config_selectorILNS1_17partition_subalgoE9EllbEEZZNS1_14partition_implILS5_9ELb0ES3_jPlS8_PNS0_10empty_typeENS0_5tupleIJS8_S9_EEENSB_IJS8_SA_EEENS0_18inequality_wrapperIZN2at6native12_GLOBAL__N_124unique_dim_cuda_templateIN3c108BFloat16EEESt5tupleIJNSF_6TensorESM_SM_EERKSM_lbbbEUlllE0_EEPmJS9_EEE10hipError_tPvRmT3_T4_T5_T6_T7_T9_mT8_P12ihipStream_tbDpT10_ENKUlT_T0_E_clISt17integral_constantIbLb0EES1C_EEDaS17_S18_EUlS17_E_NS1_11comp_targetILNS1_3genE4ELNS1_11target_archE910ELNS1_3gpuE8ELNS1_3repE0EEENS1_30default_config_static_selectorELNS0_4arch9wavefront6targetE0EEEvT1_.num_vgpr, 0
	.set _ZN7rocprim17ROCPRIM_400000_NS6detail17trampoline_kernelINS0_14default_configENS1_25partition_config_selectorILNS1_17partition_subalgoE9EllbEEZZNS1_14partition_implILS5_9ELb0ES3_jPlS8_PNS0_10empty_typeENS0_5tupleIJS8_S9_EEENSB_IJS8_SA_EEENS0_18inequality_wrapperIZN2at6native12_GLOBAL__N_124unique_dim_cuda_templateIN3c108BFloat16EEESt5tupleIJNSF_6TensorESM_SM_EERKSM_lbbbEUlllE0_EEPmJS9_EEE10hipError_tPvRmT3_T4_T5_T6_T7_T9_mT8_P12ihipStream_tbDpT10_ENKUlT_T0_E_clISt17integral_constantIbLb0EES1C_EEDaS17_S18_EUlS17_E_NS1_11comp_targetILNS1_3genE4ELNS1_11target_archE910ELNS1_3gpuE8ELNS1_3repE0EEENS1_30default_config_static_selectorELNS0_4arch9wavefront6targetE0EEEvT1_.num_agpr, 0
	.set _ZN7rocprim17ROCPRIM_400000_NS6detail17trampoline_kernelINS0_14default_configENS1_25partition_config_selectorILNS1_17partition_subalgoE9EllbEEZZNS1_14partition_implILS5_9ELb0ES3_jPlS8_PNS0_10empty_typeENS0_5tupleIJS8_S9_EEENSB_IJS8_SA_EEENS0_18inequality_wrapperIZN2at6native12_GLOBAL__N_124unique_dim_cuda_templateIN3c108BFloat16EEESt5tupleIJNSF_6TensorESM_SM_EERKSM_lbbbEUlllE0_EEPmJS9_EEE10hipError_tPvRmT3_T4_T5_T6_T7_T9_mT8_P12ihipStream_tbDpT10_ENKUlT_T0_E_clISt17integral_constantIbLb0EES1C_EEDaS17_S18_EUlS17_E_NS1_11comp_targetILNS1_3genE4ELNS1_11target_archE910ELNS1_3gpuE8ELNS1_3repE0EEENS1_30default_config_static_selectorELNS0_4arch9wavefront6targetE0EEEvT1_.numbered_sgpr, 0
	.set _ZN7rocprim17ROCPRIM_400000_NS6detail17trampoline_kernelINS0_14default_configENS1_25partition_config_selectorILNS1_17partition_subalgoE9EllbEEZZNS1_14partition_implILS5_9ELb0ES3_jPlS8_PNS0_10empty_typeENS0_5tupleIJS8_S9_EEENSB_IJS8_SA_EEENS0_18inequality_wrapperIZN2at6native12_GLOBAL__N_124unique_dim_cuda_templateIN3c108BFloat16EEESt5tupleIJNSF_6TensorESM_SM_EERKSM_lbbbEUlllE0_EEPmJS9_EEE10hipError_tPvRmT3_T4_T5_T6_T7_T9_mT8_P12ihipStream_tbDpT10_ENKUlT_T0_E_clISt17integral_constantIbLb0EES1C_EEDaS17_S18_EUlS17_E_NS1_11comp_targetILNS1_3genE4ELNS1_11target_archE910ELNS1_3gpuE8ELNS1_3repE0EEENS1_30default_config_static_selectorELNS0_4arch9wavefront6targetE0EEEvT1_.num_named_barrier, 0
	.set _ZN7rocprim17ROCPRIM_400000_NS6detail17trampoline_kernelINS0_14default_configENS1_25partition_config_selectorILNS1_17partition_subalgoE9EllbEEZZNS1_14partition_implILS5_9ELb0ES3_jPlS8_PNS0_10empty_typeENS0_5tupleIJS8_S9_EEENSB_IJS8_SA_EEENS0_18inequality_wrapperIZN2at6native12_GLOBAL__N_124unique_dim_cuda_templateIN3c108BFloat16EEESt5tupleIJNSF_6TensorESM_SM_EERKSM_lbbbEUlllE0_EEPmJS9_EEE10hipError_tPvRmT3_T4_T5_T6_T7_T9_mT8_P12ihipStream_tbDpT10_ENKUlT_T0_E_clISt17integral_constantIbLb0EES1C_EEDaS17_S18_EUlS17_E_NS1_11comp_targetILNS1_3genE4ELNS1_11target_archE910ELNS1_3gpuE8ELNS1_3repE0EEENS1_30default_config_static_selectorELNS0_4arch9wavefront6targetE0EEEvT1_.private_seg_size, 0
	.set _ZN7rocprim17ROCPRIM_400000_NS6detail17trampoline_kernelINS0_14default_configENS1_25partition_config_selectorILNS1_17partition_subalgoE9EllbEEZZNS1_14partition_implILS5_9ELb0ES3_jPlS8_PNS0_10empty_typeENS0_5tupleIJS8_S9_EEENSB_IJS8_SA_EEENS0_18inequality_wrapperIZN2at6native12_GLOBAL__N_124unique_dim_cuda_templateIN3c108BFloat16EEESt5tupleIJNSF_6TensorESM_SM_EERKSM_lbbbEUlllE0_EEPmJS9_EEE10hipError_tPvRmT3_T4_T5_T6_T7_T9_mT8_P12ihipStream_tbDpT10_ENKUlT_T0_E_clISt17integral_constantIbLb0EES1C_EEDaS17_S18_EUlS17_E_NS1_11comp_targetILNS1_3genE4ELNS1_11target_archE910ELNS1_3gpuE8ELNS1_3repE0EEENS1_30default_config_static_selectorELNS0_4arch9wavefront6targetE0EEEvT1_.uses_vcc, 0
	.set _ZN7rocprim17ROCPRIM_400000_NS6detail17trampoline_kernelINS0_14default_configENS1_25partition_config_selectorILNS1_17partition_subalgoE9EllbEEZZNS1_14partition_implILS5_9ELb0ES3_jPlS8_PNS0_10empty_typeENS0_5tupleIJS8_S9_EEENSB_IJS8_SA_EEENS0_18inequality_wrapperIZN2at6native12_GLOBAL__N_124unique_dim_cuda_templateIN3c108BFloat16EEESt5tupleIJNSF_6TensorESM_SM_EERKSM_lbbbEUlllE0_EEPmJS9_EEE10hipError_tPvRmT3_T4_T5_T6_T7_T9_mT8_P12ihipStream_tbDpT10_ENKUlT_T0_E_clISt17integral_constantIbLb0EES1C_EEDaS17_S18_EUlS17_E_NS1_11comp_targetILNS1_3genE4ELNS1_11target_archE910ELNS1_3gpuE8ELNS1_3repE0EEENS1_30default_config_static_selectorELNS0_4arch9wavefront6targetE0EEEvT1_.uses_flat_scratch, 0
	.set _ZN7rocprim17ROCPRIM_400000_NS6detail17trampoline_kernelINS0_14default_configENS1_25partition_config_selectorILNS1_17partition_subalgoE9EllbEEZZNS1_14partition_implILS5_9ELb0ES3_jPlS8_PNS0_10empty_typeENS0_5tupleIJS8_S9_EEENSB_IJS8_SA_EEENS0_18inequality_wrapperIZN2at6native12_GLOBAL__N_124unique_dim_cuda_templateIN3c108BFloat16EEESt5tupleIJNSF_6TensorESM_SM_EERKSM_lbbbEUlllE0_EEPmJS9_EEE10hipError_tPvRmT3_T4_T5_T6_T7_T9_mT8_P12ihipStream_tbDpT10_ENKUlT_T0_E_clISt17integral_constantIbLb0EES1C_EEDaS17_S18_EUlS17_E_NS1_11comp_targetILNS1_3genE4ELNS1_11target_archE910ELNS1_3gpuE8ELNS1_3repE0EEENS1_30default_config_static_selectorELNS0_4arch9wavefront6targetE0EEEvT1_.has_dyn_sized_stack, 0
	.set _ZN7rocprim17ROCPRIM_400000_NS6detail17trampoline_kernelINS0_14default_configENS1_25partition_config_selectorILNS1_17partition_subalgoE9EllbEEZZNS1_14partition_implILS5_9ELb0ES3_jPlS8_PNS0_10empty_typeENS0_5tupleIJS8_S9_EEENSB_IJS8_SA_EEENS0_18inequality_wrapperIZN2at6native12_GLOBAL__N_124unique_dim_cuda_templateIN3c108BFloat16EEESt5tupleIJNSF_6TensorESM_SM_EERKSM_lbbbEUlllE0_EEPmJS9_EEE10hipError_tPvRmT3_T4_T5_T6_T7_T9_mT8_P12ihipStream_tbDpT10_ENKUlT_T0_E_clISt17integral_constantIbLb0EES1C_EEDaS17_S18_EUlS17_E_NS1_11comp_targetILNS1_3genE4ELNS1_11target_archE910ELNS1_3gpuE8ELNS1_3repE0EEENS1_30default_config_static_selectorELNS0_4arch9wavefront6targetE0EEEvT1_.has_recursion, 0
	.set _ZN7rocprim17ROCPRIM_400000_NS6detail17trampoline_kernelINS0_14default_configENS1_25partition_config_selectorILNS1_17partition_subalgoE9EllbEEZZNS1_14partition_implILS5_9ELb0ES3_jPlS8_PNS0_10empty_typeENS0_5tupleIJS8_S9_EEENSB_IJS8_SA_EEENS0_18inequality_wrapperIZN2at6native12_GLOBAL__N_124unique_dim_cuda_templateIN3c108BFloat16EEESt5tupleIJNSF_6TensorESM_SM_EERKSM_lbbbEUlllE0_EEPmJS9_EEE10hipError_tPvRmT3_T4_T5_T6_T7_T9_mT8_P12ihipStream_tbDpT10_ENKUlT_T0_E_clISt17integral_constantIbLb0EES1C_EEDaS17_S18_EUlS17_E_NS1_11comp_targetILNS1_3genE4ELNS1_11target_archE910ELNS1_3gpuE8ELNS1_3repE0EEENS1_30default_config_static_selectorELNS0_4arch9wavefront6targetE0EEEvT1_.has_indirect_call, 0
	.section	.AMDGPU.csdata,"",@progbits
; Kernel info:
; codeLenInByte = 0
; TotalNumSgprs: 0
; NumVgprs: 0
; ScratchSize: 0
; MemoryBound: 0
; FloatMode: 240
; IeeeMode: 1
; LDSByteSize: 0 bytes/workgroup (compile time only)
; SGPRBlocks: 0
; VGPRBlocks: 0
; NumSGPRsForWavesPerEU: 1
; NumVGPRsForWavesPerEU: 1
; NamedBarCnt: 0
; Occupancy: 16
; WaveLimiterHint : 0
; COMPUTE_PGM_RSRC2:SCRATCH_EN: 0
; COMPUTE_PGM_RSRC2:USER_SGPR: 2
; COMPUTE_PGM_RSRC2:TRAP_HANDLER: 0
; COMPUTE_PGM_RSRC2:TGID_X_EN: 1
; COMPUTE_PGM_RSRC2:TGID_Y_EN: 0
; COMPUTE_PGM_RSRC2:TGID_Z_EN: 0
; COMPUTE_PGM_RSRC2:TIDIG_COMP_CNT: 0
	.section	.text._ZN7rocprim17ROCPRIM_400000_NS6detail17trampoline_kernelINS0_14default_configENS1_25partition_config_selectorILNS1_17partition_subalgoE9EllbEEZZNS1_14partition_implILS5_9ELb0ES3_jPlS8_PNS0_10empty_typeENS0_5tupleIJS8_S9_EEENSB_IJS8_SA_EEENS0_18inequality_wrapperIZN2at6native12_GLOBAL__N_124unique_dim_cuda_templateIN3c108BFloat16EEESt5tupleIJNSF_6TensorESM_SM_EERKSM_lbbbEUlllE0_EEPmJS9_EEE10hipError_tPvRmT3_T4_T5_T6_T7_T9_mT8_P12ihipStream_tbDpT10_ENKUlT_T0_E_clISt17integral_constantIbLb0EES1C_EEDaS17_S18_EUlS17_E_NS1_11comp_targetILNS1_3genE3ELNS1_11target_archE908ELNS1_3gpuE7ELNS1_3repE0EEENS1_30default_config_static_selectorELNS0_4arch9wavefront6targetE0EEEvT1_,"axG",@progbits,_ZN7rocprim17ROCPRIM_400000_NS6detail17trampoline_kernelINS0_14default_configENS1_25partition_config_selectorILNS1_17partition_subalgoE9EllbEEZZNS1_14partition_implILS5_9ELb0ES3_jPlS8_PNS0_10empty_typeENS0_5tupleIJS8_S9_EEENSB_IJS8_SA_EEENS0_18inequality_wrapperIZN2at6native12_GLOBAL__N_124unique_dim_cuda_templateIN3c108BFloat16EEESt5tupleIJNSF_6TensorESM_SM_EERKSM_lbbbEUlllE0_EEPmJS9_EEE10hipError_tPvRmT3_T4_T5_T6_T7_T9_mT8_P12ihipStream_tbDpT10_ENKUlT_T0_E_clISt17integral_constantIbLb0EES1C_EEDaS17_S18_EUlS17_E_NS1_11comp_targetILNS1_3genE3ELNS1_11target_archE908ELNS1_3gpuE7ELNS1_3repE0EEENS1_30default_config_static_selectorELNS0_4arch9wavefront6targetE0EEEvT1_,comdat
	.globl	_ZN7rocprim17ROCPRIM_400000_NS6detail17trampoline_kernelINS0_14default_configENS1_25partition_config_selectorILNS1_17partition_subalgoE9EllbEEZZNS1_14partition_implILS5_9ELb0ES3_jPlS8_PNS0_10empty_typeENS0_5tupleIJS8_S9_EEENSB_IJS8_SA_EEENS0_18inequality_wrapperIZN2at6native12_GLOBAL__N_124unique_dim_cuda_templateIN3c108BFloat16EEESt5tupleIJNSF_6TensorESM_SM_EERKSM_lbbbEUlllE0_EEPmJS9_EEE10hipError_tPvRmT3_T4_T5_T6_T7_T9_mT8_P12ihipStream_tbDpT10_ENKUlT_T0_E_clISt17integral_constantIbLb0EES1C_EEDaS17_S18_EUlS17_E_NS1_11comp_targetILNS1_3genE3ELNS1_11target_archE908ELNS1_3gpuE7ELNS1_3repE0EEENS1_30default_config_static_selectorELNS0_4arch9wavefront6targetE0EEEvT1_ ; -- Begin function _ZN7rocprim17ROCPRIM_400000_NS6detail17trampoline_kernelINS0_14default_configENS1_25partition_config_selectorILNS1_17partition_subalgoE9EllbEEZZNS1_14partition_implILS5_9ELb0ES3_jPlS8_PNS0_10empty_typeENS0_5tupleIJS8_S9_EEENSB_IJS8_SA_EEENS0_18inequality_wrapperIZN2at6native12_GLOBAL__N_124unique_dim_cuda_templateIN3c108BFloat16EEESt5tupleIJNSF_6TensorESM_SM_EERKSM_lbbbEUlllE0_EEPmJS9_EEE10hipError_tPvRmT3_T4_T5_T6_T7_T9_mT8_P12ihipStream_tbDpT10_ENKUlT_T0_E_clISt17integral_constantIbLb0EES1C_EEDaS17_S18_EUlS17_E_NS1_11comp_targetILNS1_3genE3ELNS1_11target_archE908ELNS1_3gpuE7ELNS1_3repE0EEENS1_30default_config_static_selectorELNS0_4arch9wavefront6targetE0EEEvT1_
	.p2align	8
	.type	_ZN7rocprim17ROCPRIM_400000_NS6detail17trampoline_kernelINS0_14default_configENS1_25partition_config_selectorILNS1_17partition_subalgoE9EllbEEZZNS1_14partition_implILS5_9ELb0ES3_jPlS8_PNS0_10empty_typeENS0_5tupleIJS8_S9_EEENSB_IJS8_SA_EEENS0_18inequality_wrapperIZN2at6native12_GLOBAL__N_124unique_dim_cuda_templateIN3c108BFloat16EEESt5tupleIJNSF_6TensorESM_SM_EERKSM_lbbbEUlllE0_EEPmJS9_EEE10hipError_tPvRmT3_T4_T5_T6_T7_T9_mT8_P12ihipStream_tbDpT10_ENKUlT_T0_E_clISt17integral_constantIbLb0EES1C_EEDaS17_S18_EUlS17_E_NS1_11comp_targetILNS1_3genE3ELNS1_11target_archE908ELNS1_3gpuE7ELNS1_3repE0EEENS1_30default_config_static_selectorELNS0_4arch9wavefront6targetE0EEEvT1_,@function
_ZN7rocprim17ROCPRIM_400000_NS6detail17trampoline_kernelINS0_14default_configENS1_25partition_config_selectorILNS1_17partition_subalgoE9EllbEEZZNS1_14partition_implILS5_9ELb0ES3_jPlS8_PNS0_10empty_typeENS0_5tupleIJS8_S9_EEENSB_IJS8_SA_EEENS0_18inequality_wrapperIZN2at6native12_GLOBAL__N_124unique_dim_cuda_templateIN3c108BFloat16EEESt5tupleIJNSF_6TensorESM_SM_EERKSM_lbbbEUlllE0_EEPmJS9_EEE10hipError_tPvRmT3_T4_T5_T6_T7_T9_mT8_P12ihipStream_tbDpT10_ENKUlT_T0_E_clISt17integral_constantIbLb0EES1C_EEDaS17_S18_EUlS17_E_NS1_11comp_targetILNS1_3genE3ELNS1_11target_archE908ELNS1_3gpuE7ELNS1_3repE0EEENS1_30default_config_static_selectorELNS0_4arch9wavefront6targetE0EEEvT1_: ; @_ZN7rocprim17ROCPRIM_400000_NS6detail17trampoline_kernelINS0_14default_configENS1_25partition_config_selectorILNS1_17partition_subalgoE9EllbEEZZNS1_14partition_implILS5_9ELb0ES3_jPlS8_PNS0_10empty_typeENS0_5tupleIJS8_S9_EEENSB_IJS8_SA_EEENS0_18inequality_wrapperIZN2at6native12_GLOBAL__N_124unique_dim_cuda_templateIN3c108BFloat16EEESt5tupleIJNSF_6TensorESM_SM_EERKSM_lbbbEUlllE0_EEPmJS9_EEE10hipError_tPvRmT3_T4_T5_T6_T7_T9_mT8_P12ihipStream_tbDpT10_ENKUlT_T0_E_clISt17integral_constantIbLb0EES1C_EEDaS17_S18_EUlS17_E_NS1_11comp_targetILNS1_3genE3ELNS1_11target_archE908ELNS1_3gpuE7ELNS1_3repE0EEENS1_30default_config_static_selectorELNS0_4arch9wavefront6targetE0EEEvT1_
; %bb.0:
	.section	.rodata,"a",@progbits
	.p2align	6, 0x0
	.amdhsa_kernel _ZN7rocprim17ROCPRIM_400000_NS6detail17trampoline_kernelINS0_14default_configENS1_25partition_config_selectorILNS1_17partition_subalgoE9EllbEEZZNS1_14partition_implILS5_9ELb0ES3_jPlS8_PNS0_10empty_typeENS0_5tupleIJS8_S9_EEENSB_IJS8_SA_EEENS0_18inequality_wrapperIZN2at6native12_GLOBAL__N_124unique_dim_cuda_templateIN3c108BFloat16EEESt5tupleIJNSF_6TensorESM_SM_EERKSM_lbbbEUlllE0_EEPmJS9_EEE10hipError_tPvRmT3_T4_T5_T6_T7_T9_mT8_P12ihipStream_tbDpT10_ENKUlT_T0_E_clISt17integral_constantIbLb0EES1C_EEDaS17_S18_EUlS17_E_NS1_11comp_targetILNS1_3genE3ELNS1_11target_archE908ELNS1_3gpuE7ELNS1_3repE0EEENS1_30default_config_static_selectorELNS0_4arch9wavefront6targetE0EEEvT1_
		.amdhsa_group_segment_fixed_size 0
		.amdhsa_private_segment_fixed_size 0
		.amdhsa_kernarg_size 120
		.amdhsa_user_sgpr_count 2
		.amdhsa_user_sgpr_dispatch_ptr 0
		.amdhsa_user_sgpr_queue_ptr 0
		.amdhsa_user_sgpr_kernarg_segment_ptr 1
		.amdhsa_user_sgpr_dispatch_id 0
		.amdhsa_user_sgpr_kernarg_preload_length 0
		.amdhsa_user_sgpr_kernarg_preload_offset 0
		.amdhsa_user_sgpr_private_segment_size 0
		.amdhsa_wavefront_size32 1
		.amdhsa_uses_dynamic_stack 0
		.amdhsa_enable_private_segment 0
		.amdhsa_system_sgpr_workgroup_id_x 1
		.amdhsa_system_sgpr_workgroup_id_y 0
		.amdhsa_system_sgpr_workgroup_id_z 0
		.amdhsa_system_sgpr_workgroup_info 0
		.amdhsa_system_vgpr_workitem_id 0
		.amdhsa_next_free_vgpr 1
		.amdhsa_next_free_sgpr 1
		.amdhsa_named_barrier_count 0
		.amdhsa_reserve_vcc 0
		.amdhsa_float_round_mode_32 0
		.amdhsa_float_round_mode_16_64 0
		.amdhsa_float_denorm_mode_32 3
		.amdhsa_float_denorm_mode_16_64 3
		.amdhsa_fp16_overflow 0
		.amdhsa_memory_ordered 1
		.amdhsa_forward_progress 1
		.amdhsa_inst_pref_size 0
		.amdhsa_round_robin_scheduling 0
		.amdhsa_exception_fp_ieee_invalid_op 0
		.amdhsa_exception_fp_denorm_src 0
		.amdhsa_exception_fp_ieee_div_zero 0
		.amdhsa_exception_fp_ieee_overflow 0
		.amdhsa_exception_fp_ieee_underflow 0
		.amdhsa_exception_fp_ieee_inexact 0
		.amdhsa_exception_int_div_zero 0
	.end_amdhsa_kernel
	.section	.text._ZN7rocprim17ROCPRIM_400000_NS6detail17trampoline_kernelINS0_14default_configENS1_25partition_config_selectorILNS1_17partition_subalgoE9EllbEEZZNS1_14partition_implILS5_9ELb0ES3_jPlS8_PNS0_10empty_typeENS0_5tupleIJS8_S9_EEENSB_IJS8_SA_EEENS0_18inequality_wrapperIZN2at6native12_GLOBAL__N_124unique_dim_cuda_templateIN3c108BFloat16EEESt5tupleIJNSF_6TensorESM_SM_EERKSM_lbbbEUlllE0_EEPmJS9_EEE10hipError_tPvRmT3_T4_T5_T6_T7_T9_mT8_P12ihipStream_tbDpT10_ENKUlT_T0_E_clISt17integral_constantIbLb0EES1C_EEDaS17_S18_EUlS17_E_NS1_11comp_targetILNS1_3genE3ELNS1_11target_archE908ELNS1_3gpuE7ELNS1_3repE0EEENS1_30default_config_static_selectorELNS0_4arch9wavefront6targetE0EEEvT1_,"axG",@progbits,_ZN7rocprim17ROCPRIM_400000_NS6detail17trampoline_kernelINS0_14default_configENS1_25partition_config_selectorILNS1_17partition_subalgoE9EllbEEZZNS1_14partition_implILS5_9ELb0ES3_jPlS8_PNS0_10empty_typeENS0_5tupleIJS8_S9_EEENSB_IJS8_SA_EEENS0_18inequality_wrapperIZN2at6native12_GLOBAL__N_124unique_dim_cuda_templateIN3c108BFloat16EEESt5tupleIJNSF_6TensorESM_SM_EERKSM_lbbbEUlllE0_EEPmJS9_EEE10hipError_tPvRmT3_T4_T5_T6_T7_T9_mT8_P12ihipStream_tbDpT10_ENKUlT_T0_E_clISt17integral_constantIbLb0EES1C_EEDaS17_S18_EUlS17_E_NS1_11comp_targetILNS1_3genE3ELNS1_11target_archE908ELNS1_3gpuE7ELNS1_3repE0EEENS1_30default_config_static_selectorELNS0_4arch9wavefront6targetE0EEEvT1_,comdat
.Lfunc_end1209:
	.size	_ZN7rocprim17ROCPRIM_400000_NS6detail17trampoline_kernelINS0_14default_configENS1_25partition_config_selectorILNS1_17partition_subalgoE9EllbEEZZNS1_14partition_implILS5_9ELb0ES3_jPlS8_PNS0_10empty_typeENS0_5tupleIJS8_S9_EEENSB_IJS8_SA_EEENS0_18inequality_wrapperIZN2at6native12_GLOBAL__N_124unique_dim_cuda_templateIN3c108BFloat16EEESt5tupleIJNSF_6TensorESM_SM_EERKSM_lbbbEUlllE0_EEPmJS9_EEE10hipError_tPvRmT3_T4_T5_T6_T7_T9_mT8_P12ihipStream_tbDpT10_ENKUlT_T0_E_clISt17integral_constantIbLb0EES1C_EEDaS17_S18_EUlS17_E_NS1_11comp_targetILNS1_3genE3ELNS1_11target_archE908ELNS1_3gpuE7ELNS1_3repE0EEENS1_30default_config_static_selectorELNS0_4arch9wavefront6targetE0EEEvT1_, .Lfunc_end1209-_ZN7rocprim17ROCPRIM_400000_NS6detail17trampoline_kernelINS0_14default_configENS1_25partition_config_selectorILNS1_17partition_subalgoE9EllbEEZZNS1_14partition_implILS5_9ELb0ES3_jPlS8_PNS0_10empty_typeENS0_5tupleIJS8_S9_EEENSB_IJS8_SA_EEENS0_18inequality_wrapperIZN2at6native12_GLOBAL__N_124unique_dim_cuda_templateIN3c108BFloat16EEESt5tupleIJNSF_6TensorESM_SM_EERKSM_lbbbEUlllE0_EEPmJS9_EEE10hipError_tPvRmT3_T4_T5_T6_T7_T9_mT8_P12ihipStream_tbDpT10_ENKUlT_T0_E_clISt17integral_constantIbLb0EES1C_EEDaS17_S18_EUlS17_E_NS1_11comp_targetILNS1_3genE3ELNS1_11target_archE908ELNS1_3gpuE7ELNS1_3repE0EEENS1_30default_config_static_selectorELNS0_4arch9wavefront6targetE0EEEvT1_
                                        ; -- End function
	.set _ZN7rocprim17ROCPRIM_400000_NS6detail17trampoline_kernelINS0_14default_configENS1_25partition_config_selectorILNS1_17partition_subalgoE9EllbEEZZNS1_14partition_implILS5_9ELb0ES3_jPlS8_PNS0_10empty_typeENS0_5tupleIJS8_S9_EEENSB_IJS8_SA_EEENS0_18inequality_wrapperIZN2at6native12_GLOBAL__N_124unique_dim_cuda_templateIN3c108BFloat16EEESt5tupleIJNSF_6TensorESM_SM_EERKSM_lbbbEUlllE0_EEPmJS9_EEE10hipError_tPvRmT3_T4_T5_T6_T7_T9_mT8_P12ihipStream_tbDpT10_ENKUlT_T0_E_clISt17integral_constantIbLb0EES1C_EEDaS17_S18_EUlS17_E_NS1_11comp_targetILNS1_3genE3ELNS1_11target_archE908ELNS1_3gpuE7ELNS1_3repE0EEENS1_30default_config_static_selectorELNS0_4arch9wavefront6targetE0EEEvT1_.num_vgpr, 0
	.set _ZN7rocprim17ROCPRIM_400000_NS6detail17trampoline_kernelINS0_14default_configENS1_25partition_config_selectorILNS1_17partition_subalgoE9EllbEEZZNS1_14partition_implILS5_9ELb0ES3_jPlS8_PNS0_10empty_typeENS0_5tupleIJS8_S9_EEENSB_IJS8_SA_EEENS0_18inequality_wrapperIZN2at6native12_GLOBAL__N_124unique_dim_cuda_templateIN3c108BFloat16EEESt5tupleIJNSF_6TensorESM_SM_EERKSM_lbbbEUlllE0_EEPmJS9_EEE10hipError_tPvRmT3_T4_T5_T6_T7_T9_mT8_P12ihipStream_tbDpT10_ENKUlT_T0_E_clISt17integral_constantIbLb0EES1C_EEDaS17_S18_EUlS17_E_NS1_11comp_targetILNS1_3genE3ELNS1_11target_archE908ELNS1_3gpuE7ELNS1_3repE0EEENS1_30default_config_static_selectorELNS0_4arch9wavefront6targetE0EEEvT1_.num_agpr, 0
	.set _ZN7rocprim17ROCPRIM_400000_NS6detail17trampoline_kernelINS0_14default_configENS1_25partition_config_selectorILNS1_17partition_subalgoE9EllbEEZZNS1_14partition_implILS5_9ELb0ES3_jPlS8_PNS0_10empty_typeENS0_5tupleIJS8_S9_EEENSB_IJS8_SA_EEENS0_18inequality_wrapperIZN2at6native12_GLOBAL__N_124unique_dim_cuda_templateIN3c108BFloat16EEESt5tupleIJNSF_6TensorESM_SM_EERKSM_lbbbEUlllE0_EEPmJS9_EEE10hipError_tPvRmT3_T4_T5_T6_T7_T9_mT8_P12ihipStream_tbDpT10_ENKUlT_T0_E_clISt17integral_constantIbLb0EES1C_EEDaS17_S18_EUlS17_E_NS1_11comp_targetILNS1_3genE3ELNS1_11target_archE908ELNS1_3gpuE7ELNS1_3repE0EEENS1_30default_config_static_selectorELNS0_4arch9wavefront6targetE0EEEvT1_.numbered_sgpr, 0
	.set _ZN7rocprim17ROCPRIM_400000_NS6detail17trampoline_kernelINS0_14default_configENS1_25partition_config_selectorILNS1_17partition_subalgoE9EllbEEZZNS1_14partition_implILS5_9ELb0ES3_jPlS8_PNS0_10empty_typeENS0_5tupleIJS8_S9_EEENSB_IJS8_SA_EEENS0_18inequality_wrapperIZN2at6native12_GLOBAL__N_124unique_dim_cuda_templateIN3c108BFloat16EEESt5tupleIJNSF_6TensorESM_SM_EERKSM_lbbbEUlllE0_EEPmJS9_EEE10hipError_tPvRmT3_T4_T5_T6_T7_T9_mT8_P12ihipStream_tbDpT10_ENKUlT_T0_E_clISt17integral_constantIbLb0EES1C_EEDaS17_S18_EUlS17_E_NS1_11comp_targetILNS1_3genE3ELNS1_11target_archE908ELNS1_3gpuE7ELNS1_3repE0EEENS1_30default_config_static_selectorELNS0_4arch9wavefront6targetE0EEEvT1_.num_named_barrier, 0
	.set _ZN7rocprim17ROCPRIM_400000_NS6detail17trampoline_kernelINS0_14default_configENS1_25partition_config_selectorILNS1_17partition_subalgoE9EllbEEZZNS1_14partition_implILS5_9ELb0ES3_jPlS8_PNS0_10empty_typeENS0_5tupleIJS8_S9_EEENSB_IJS8_SA_EEENS0_18inequality_wrapperIZN2at6native12_GLOBAL__N_124unique_dim_cuda_templateIN3c108BFloat16EEESt5tupleIJNSF_6TensorESM_SM_EERKSM_lbbbEUlllE0_EEPmJS9_EEE10hipError_tPvRmT3_T4_T5_T6_T7_T9_mT8_P12ihipStream_tbDpT10_ENKUlT_T0_E_clISt17integral_constantIbLb0EES1C_EEDaS17_S18_EUlS17_E_NS1_11comp_targetILNS1_3genE3ELNS1_11target_archE908ELNS1_3gpuE7ELNS1_3repE0EEENS1_30default_config_static_selectorELNS0_4arch9wavefront6targetE0EEEvT1_.private_seg_size, 0
	.set _ZN7rocprim17ROCPRIM_400000_NS6detail17trampoline_kernelINS0_14default_configENS1_25partition_config_selectorILNS1_17partition_subalgoE9EllbEEZZNS1_14partition_implILS5_9ELb0ES3_jPlS8_PNS0_10empty_typeENS0_5tupleIJS8_S9_EEENSB_IJS8_SA_EEENS0_18inequality_wrapperIZN2at6native12_GLOBAL__N_124unique_dim_cuda_templateIN3c108BFloat16EEESt5tupleIJNSF_6TensorESM_SM_EERKSM_lbbbEUlllE0_EEPmJS9_EEE10hipError_tPvRmT3_T4_T5_T6_T7_T9_mT8_P12ihipStream_tbDpT10_ENKUlT_T0_E_clISt17integral_constantIbLb0EES1C_EEDaS17_S18_EUlS17_E_NS1_11comp_targetILNS1_3genE3ELNS1_11target_archE908ELNS1_3gpuE7ELNS1_3repE0EEENS1_30default_config_static_selectorELNS0_4arch9wavefront6targetE0EEEvT1_.uses_vcc, 0
	.set _ZN7rocprim17ROCPRIM_400000_NS6detail17trampoline_kernelINS0_14default_configENS1_25partition_config_selectorILNS1_17partition_subalgoE9EllbEEZZNS1_14partition_implILS5_9ELb0ES3_jPlS8_PNS0_10empty_typeENS0_5tupleIJS8_S9_EEENSB_IJS8_SA_EEENS0_18inequality_wrapperIZN2at6native12_GLOBAL__N_124unique_dim_cuda_templateIN3c108BFloat16EEESt5tupleIJNSF_6TensorESM_SM_EERKSM_lbbbEUlllE0_EEPmJS9_EEE10hipError_tPvRmT3_T4_T5_T6_T7_T9_mT8_P12ihipStream_tbDpT10_ENKUlT_T0_E_clISt17integral_constantIbLb0EES1C_EEDaS17_S18_EUlS17_E_NS1_11comp_targetILNS1_3genE3ELNS1_11target_archE908ELNS1_3gpuE7ELNS1_3repE0EEENS1_30default_config_static_selectorELNS0_4arch9wavefront6targetE0EEEvT1_.uses_flat_scratch, 0
	.set _ZN7rocprim17ROCPRIM_400000_NS6detail17trampoline_kernelINS0_14default_configENS1_25partition_config_selectorILNS1_17partition_subalgoE9EllbEEZZNS1_14partition_implILS5_9ELb0ES3_jPlS8_PNS0_10empty_typeENS0_5tupleIJS8_S9_EEENSB_IJS8_SA_EEENS0_18inequality_wrapperIZN2at6native12_GLOBAL__N_124unique_dim_cuda_templateIN3c108BFloat16EEESt5tupleIJNSF_6TensorESM_SM_EERKSM_lbbbEUlllE0_EEPmJS9_EEE10hipError_tPvRmT3_T4_T5_T6_T7_T9_mT8_P12ihipStream_tbDpT10_ENKUlT_T0_E_clISt17integral_constantIbLb0EES1C_EEDaS17_S18_EUlS17_E_NS1_11comp_targetILNS1_3genE3ELNS1_11target_archE908ELNS1_3gpuE7ELNS1_3repE0EEENS1_30default_config_static_selectorELNS0_4arch9wavefront6targetE0EEEvT1_.has_dyn_sized_stack, 0
	.set _ZN7rocprim17ROCPRIM_400000_NS6detail17trampoline_kernelINS0_14default_configENS1_25partition_config_selectorILNS1_17partition_subalgoE9EllbEEZZNS1_14partition_implILS5_9ELb0ES3_jPlS8_PNS0_10empty_typeENS0_5tupleIJS8_S9_EEENSB_IJS8_SA_EEENS0_18inequality_wrapperIZN2at6native12_GLOBAL__N_124unique_dim_cuda_templateIN3c108BFloat16EEESt5tupleIJNSF_6TensorESM_SM_EERKSM_lbbbEUlllE0_EEPmJS9_EEE10hipError_tPvRmT3_T4_T5_T6_T7_T9_mT8_P12ihipStream_tbDpT10_ENKUlT_T0_E_clISt17integral_constantIbLb0EES1C_EEDaS17_S18_EUlS17_E_NS1_11comp_targetILNS1_3genE3ELNS1_11target_archE908ELNS1_3gpuE7ELNS1_3repE0EEENS1_30default_config_static_selectorELNS0_4arch9wavefront6targetE0EEEvT1_.has_recursion, 0
	.set _ZN7rocprim17ROCPRIM_400000_NS6detail17trampoline_kernelINS0_14default_configENS1_25partition_config_selectorILNS1_17partition_subalgoE9EllbEEZZNS1_14partition_implILS5_9ELb0ES3_jPlS8_PNS0_10empty_typeENS0_5tupleIJS8_S9_EEENSB_IJS8_SA_EEENS0_18inequality_wrapperIZN2at6native12_GLOBAL__N_124unique_dim_cuda_templateIN3c108BFloat16EEESt5tupleIJNSF_6TensorESM_SM_EERKSM_lbbbEUlllE0_EEPmJS9_EEE10hipError_tPvRmT3_T4_T5_T6_T7_T9_mT8_P12ihipStream_tbDpT10_ENKUlT_T0_E_clISt17integral_constantIbLb0EES1C_EEDaS17_S18_EUlS17_E_NS1_11comp_targetILNS1_3genE3ELNS1_11target_archE908ELNS1_3gpuE7ELNS1_3repE0EEENS1_30default_config_static_selectorELNS0_4arch9wavefront6targetE0EEEvT1_.has_indirect_call, 0
	.section	.AMDGPU.csdata,"",@progbits
; Kernel info:
; codeLenInByte = 0
; TotalNumSgprs: 0
; NumVgprs: 0
; ScratchSize: 0
; MemoryBound: 0
; FloatMode: 240
; IeeeMode: 1
; LDSByteSize: 0 bytes/workgroup (compile time only)
; SGPRBlocks: 0
; VGPRBlocks: 0
; NumSGPRsForWavesPerEU: 1
; NumVGPRsForWavesPerEU: 1
; NamedBarCnt: 0
; Occupancy: 16
; WaveLimiterHint : 0
; COMPUTE_PGM_RSRC2:SCRATCH_EN: 0
; COMPUTE_PGM_RSRC2:USER_SGPR: 2
; COMPUTE_PGM_RSRC2:TRAP_HANDLER: 0
; COMPUTE_PGM_RSRC2:TGID_X_EN: 1
; COMPUTE_PGM_RSRC2:TGID_Y_EN: 0
; COMPUTE_PGM_RSRC2:TGID_Z_EN: 0
; COMPUTE_PGM_RSRC2:TIDIG_COMP_CNT: 0
	.section	.text._ZN7rocprim17ROCPRIM_400000_NS6detail17trampoline_kernelINS0_14default_configENS1_25partition_config_selectorILNS1_17partition_subalgoE9EllbEEZZNS1_14partition_implILS5_9ELb0ES3_jPlS8_PNS0_10empty_typeENS0_5tupleIJS8_S9_EEENSB_IJS8_SA_EEENS0_18inequality_wrapperIZN2at6native12_GLOBAL__N_124unique_dim_cuda_templateIN3c108BFloat16EEESt5tupleIJNSF_6TensorESM_SM_EERKSM_lbbbEUlllE0_EEPmJS9_EEE10hipError_tPvRmT3_T4_T5_T6_T7_T9_mT8_P12ihipStream_tbDpT10_ENKUlT_T0_E_clISt17integral_constantIbLb0EES1C_EEDaS17_S18_EUlS17_E_NS1_11comp_targetILNS1_3genE2ELNS1_11target_archE906ELNS1_3gpuE6ELNS1_3repE0EEENS1_30default_config_static_selectorELNS0_4arch9wavefront6targetE0EEEvT1_,"axG",@progbits,_ZN7rocprim17ROCPRIM_400000_NS6detail17trampoline_kernelINS0_14default_configENS1_25partition_config_selectorILNS1_17partition_subalgoE9EllbEEZZNS1_14partition_implILS5_9ELb0ES3_jPlS8_PNS0_10empty_typeENS0_5tupleIJS8_S9_EEENSB_IJS8_SA_EEENS0_18inequality_wrapperIZN2at6native12_GLOBAL__N_124unique_dim_cuda_templateIN3c108BFloat16EEESt5tupleIJNSF_6TensorESM_SM_EERKSM_lbbbEUlllE0_EEPmJS9_EEE10hipError_tPvRmT3_T4_T5_T6_T7_T9_mT8_P12ihipStream_tbDpT10_ENKUlT_T0_E_clISt17integral_constantIbLb0EES1C_EEDaS17_S18_EUlS17_E_NS1_11comp_targetILNS1_3genE2ELNS1_11target_archE906ELNS1_3gpuE6ELNS1_3repE0EEENS1_30default_config_static_selectorELNS0_4arch9wavefront6targetE0EEEvT1_,comdat
	.globl	_ZN7rocprim17ROCPRIM_400000_NS6detail17trampoline_kernelINS0_14default_configENS1_25partition_config_selectorILNS1_17partition_subalgoE9EllbEEZZNS1_14partition_implILS5_9ELb0ES3_jPlS8_PNS0_10empty_typeENS0_5tupleIJS8_S9_EEENSB_IJS8_SA_EEENS0_18inequality_wrapperIZN2at6native12_GLOBAL__N_124unique_dim_cuda_templateIN3c108BFloat16EEESt5tupleIJNSF_6TensorESM_SM_EERKSM_lbbbEUlllE0_EEPmJS9_EEE10hipError_tPvRmT3_T4_T5_T6_T7_T9_mT8_P12ihipStream_tbDpT10_ENKUlT_T0_E_clISt17integral_constantIbLb0EES1C_EEDaS17_S18_EUlS17_E_NS1_11comp_targetILNS1_3genE2ELNS1_11target_archE906ELNS1_3gpuE6ELNS1_3repE0EEENS1_30default_config_static_selectorELNS0_4arch9wavefront6targetE0EEEvT1_ ; -- Begin function _ZN7rocprim17ROCPRIM_400000_NS6detail17trampoline_kernelINS0_14default_configENS1_25partition_config_selectorILNS1_17partition_subalgoE9EllbEEZZNS1_14partition_implILS5_9ELb0ES3_jPlS8_PNS0_10empty_typeENS0_5tupleIJS8_S9_EEENSB_IJS8_SA_EEENS0_18inequality_wrapperIZN2at6native12_GLOBAL__N_124unique_dim_cuda_templateIN3c108BFloat16EEESt5tupleIJNSF_6TensorESM_SM_EERKSM_lbbbEUlllE0_EEPmJS9_EEE10hipError_tPvRmT3_T4_T5_T6_T7_T9_mT8_P12ihipStream_tbDpT10_ENKUlT_T0_E_clISt17integral_constantIbLb0EES1C_EEDaS17_S18_EUlS17_E_NS1_11comp_targetILNS1_3genE2ELNS1_11target_archE906ELNS1_3gpuE6ELNS1_3repE0EEENS1_30default_config_static_selectorELNS0_4arch9wavefront6targetE0EEEvT1_
	.p2align	8
	.type	_ZN7rocprim17ROCPRIM_400000_NS6detail17trampoline_kernelINS0_14default_configENS1_25partition_config_selectorILNS1_17partition_subalgoE9EllbEEZZNS1_14partition_implILS5_9ELb0ES3_jPlS8_PNS0_10empty_typeENS0_5tupleIJS8_S9_EEENSB_IJS8_SA_EEENS0_18inequality_wrapperIZN2at6native12_GLOBAL__N_124unique_dim_cuda_templateIN3c108BFloat16EEESt5tupleIJNSF_6TensorESM_SM_EERKSM_lbbbEUlllE0_EEPmJS9_EEE10hipError_tPvRmT3_T4_T5_T6_T7_T9_mT8_P12ihipStream_tbDpT10_ENKUlT_T0_E_clISt17integral_constantIbLb0EES1C_EEDaS17_S18_EUlS17_E_NS1_11comp_targetILNS1_3genE2ELNS1_11target_archE906ELNS1_3gpuE6ELNS1_3repE0EEENS1_30default_config_static_selectorELNS0_4arch9wavefront6targetE0EEEvT1_,@function
_ZN7rocprim17ROCPRIM_400000_NS6detail17trampoline_kernelINS0_14default_configENS1_25partition_config_selectorILNS1_17partition_subalgoE9EllbEEZZNS1_14partition_implILS5_9ELb0ES3_jPlS8_PNS0_10empty_typeENS0_5tupleIJS8_S9_EEENSB_IJS8_SA_EEENS0_18inequality_wrapperIZN2at6native12_GLOBAL__N_124unique_dim_cuda_templateIN3c108BFloat16EEESt5tupleIJNSF_6TensorESM_SM_EERKSM_lbbbEUlllE0_EEPmJS9_EEE10hipError_tPvRmT3_T4_T5_T6_T7_T9_mT8_P12ihipStream_tbDpT10_ENKUlT_T0_E_clISt17integral_constantIbLb0EES1C_EEDaS17_S18_EUlS17_E_NS1_11comp_targetILNS1_3genE2ELNS1_11target_archE906ELNS1_3gpuE6ELNS1_3repE0EEENS1_30default_config_static_selectorELNS0_4arch9wavefront6targetE0EEEvT1_: ; @_ZN7rocprim17ROCPRIM_400000_NS6detail17trampoline_kernelINS0_14default_configENS1_25partition_config_selectorILNS1_17partition_subalgoE9EllbEEZZNS1_14partition_implILS5_9ELb0ES3_jPlS8_PNS0_10empty_typeENS0_5tupleIJS8_S9_EEENSB_IJS8_SA_EEENS0_18inequality_wrapperIZN2at6native12_GLOBAL__N_124unique_dim_cuda_templateIN3c108BFloat16EEESt5tupleIJNSF_6TensorESM_SM_EERKSM_lbbbEUlllE0_EEPmJS9_EEE10hipError_tPvRmT3_T4_T5_T6_T7_T9_mT8_P12ihipStream_tbDpT10_ENKUlT_T0_E_clISt17integral_constantIbLb0EES1C_EEDaS17_S18_EUlS17_E_NS1_11comp_targetILNS1_3genE2ELNS1_11target_archE906ELNS1_3gpuE6ELNS1_3repE0EEENS1_30default_config_static_selectorELNS0_4arch9wavefront6targetE0EEEvT1_
; %bb.0:
	.section	.rodata,"a",@progbits
	.p2align	6, 0x0
	.amdhsa_kernel _ZN7rocprim17ROCPRIM_400000_NS6detail17trampoline_kernelINS0_14default_configENS1_25partition_config_selectorILNS1_17partition_subalgoE9EllbEEZZNS1_14partition_implILS5_9ELb0ES3_jPlS8_PNS0_10empty_typeENS0_5tupleIJS8_S9_EEENSB_IJS8_SA_EEENS0_18inequality_wrapperIZN2at6native12_GLOBAL__N_124unique_dim_cuda_templateIN3c108BFloat16EEESt5tupleIJNSF_6TensorESM_SM_EERKSM_lbbbEUlllE0_EEPmJS9_EEE10hipError_tPvRmT3_T4_T5_T6_T7_T9_mT8_P12ihipStream_tbDpT10_ENKUlT_T0_E_clISt17integral_constantIbLb0EES1C_EEDaS17_S18_EUlS17_E_NS1_11comp_targetILNS1_3genE2ELNS1_11target_archE906ELNS1_3gpuE6ELNS1_3repE0EEENS1_30default_config_static_selectorELNS0_4arch9wavefront6targetE0EEEvT1_
		.amdhsa_group_segment_fixed_size 0
		.amdhsa_private_segment_fixed_size 0
		.amdhsa_kernarg_size 120
		.amdhsa_user_sgpr_count 2
		.amdhsa_user_sgpr_dispatch_ptr 0
		.amdhsa_user_sgpr_queue_ptr 0
		.amdhsa_user_sgpr_kernarg_segment_ptr 1
		.amdhsa_user_sgpr_dispatch_id 0
		.amdhsa_user_sgpr_kernarg_preload_length 0
		.amdhsa_user_sgpr_kernarg_preload_offset 0
		.amdhsa_user_sgpr_private_segment_size 0
		.amdhsa_wavefront_size32 1
		.amdhsa_uses_dynamic_stack 0
		.amdhsa_enable_private_segment 0
		.amdhsa_system_sgpr_workgroup_id_x 1
		.amdhsa_system_sgpr_workgroup_id_y 0
		.amdhsa_system_sgpr_workgroup_id_z 0
		.amdhsa_system_sgpr_workgroup_info 0
		.amdhsa_system_vgpr_workitem_id 0
		.amdhsa_next_free_vgpr 1
		.amdhsa_next_free_sgpr 1
		.amdhsa_named_barrier_count 0
		.amdhsa_reserve_vcc 0
		.amdhsa_float_round_mode_32 0
		.amdhsa_float_round_mode_16_64 0
		.amdhsa_float_denorm_mode_32 3
		.amdhsa_float_denorm_mode_16_64 3
		.amdhsa_fp16_overflow 0
		.amdhsa_memory_ordered 1
		.amdhsa_forward_progress 1
		.amdhsa_inst_pref_size 0
		.amdhsa_round_robin_scheduling 0
		.amdhsa_exception_fp_ieee_invalid_op 0
		.amdhsa_exception_fp_denorm_src 0
		.amdhsa_exception_fp_ieee_div_zero 0
		.amdhsa_exception_fp_ieee_overflow 0
		.amdhsa_exception_fp_ieee_underflow 0
		.amdhsa_exception_fp_ieee_inexact 0
		.amdhsa_exception_int_div_zero 0
	.end_amdhsa_kernel
	.section	.text._ZN7rocprim17ROCPRIM_400000_NS6detail17trampoline_kernelINS0_14default_configENS1_25partition_config_selectorILNS1_17partition_subalgoE9EllbEEZZNS1_14partition_implILS5_9ELb0ES3_jPlS8_PNS0_10empty_typeENS0_5tupleIJS8_S9_EEENSB_IJS8_SA_EEENS0_18inequality_wrapperIZN2at6native12_GLOBAL__N_124unique_dim_cuda_templateIN3c108BFloat16EEESt5tupleIJNSF_6TensorESM_SM_EERKSM_lbbbEUlllE0_EEPmJS9_EEE10hipError_tPvRmT3_T4_T5_T6_T7_T9_mT8_P12ihipStream_tbDpT10_ENKUlT_T0_E_clISt17integral_constantIbLb0EES1C_EEDaS17_S18_EUlS17_E_NS1_11comp_targetILNS1_3genE2ELNS1_11target_archE906ELNS1_3gpuE6ELNS1_3repE0EEENS1_30default_config_static_selectorELNS0_4arch9wavefront6targetE0EEEvT1_,"axG",@progbits,_ZN7rocprim17ROCPRIM_400000_NS6detail17trampoline_kernelINS0_14default_configENS1_25partition_config_selectorILNS1_17partition_subalgoE9EllbEEZZNS1_14partition_implILS5_9ELb0ES3_jPlS8_PNS0_10empty_typeENS0_5tupleIJS8_S9_EEENSB_IJS8_SA_EEENS0_18inequality_wrapperIZN2at6native12_GLOBAL__N_124unique_dim_cuda_templateIN3c108BFloat16EEESt5tupleIJNSF_6TensorESM_SM_EERKSM_lbbbEUlllE0_EEPmJS9_EEE10hipError_tPvRmT3_T4_T5_T6_T7_T9_mT8_P12ihipStream_tbDpT10_ENKUlT_T0_E_clISt17integral_constantIbLb0EES1C_EEDaS17_S18_EUlS17_E_NS1_11comp_targetILNS1_3genE2ELNS1_11target_archE906ELNS1_3gpuE6ELNS1_3repE0EEENS1_30default_config_static_selectorELNS0_4arch9wavefront6targetE0EEEvT1_,comdat
.Lfunc_end1210:
	.size	_ZN7rocprim17ROCPRIM_400000_NS6detail17trampoline_kernelINS0_14default_configENS1_25partition_config_selectorILNS1_17partition_subalgoE9EllbEEZZNS1_14partition_implILS5_9ELb0ES3_jPlS8_PNS0_10empty_typeENS0_5tupleIJS8_S9_EEENSB_IJS8_SA_EEENS0_18inequality_wrapperIZN2at6native12_GLOBAL__N_124unique_dim_cuda_templateIN3c108BFloat16EEESt5tupleIJNSF_6TensorESM_SM_EERKSM_lbbbEUlllE0_EEPmJS9_EEE10hipError_tPvRmT3_T4_T5_T6_T7_T9_mT8_P12ihipStream_tbDpT10_ENKUlT_T0_E_clISt17integral_constantIbLb0EES1C_EEDaS17_S18_EUlS17_E_NS1_11comp_targetILNS1_3genE2ELNS1_11target_archE906ELNS1_3gpuE6ELNS1_3repE0EEENS1_30default_config_static_selectorELNS0_4arch9wavefront6targetE0EEEvT1_, .Lfunc_end1210-_ZN7rocprim17ROCPRIM_400000_NS6detail17trampoline_kernelINS0_14default_configENS1_25partition_config_selectorILNS1_17partition_subalgoE9EllbEEZZNS1_14partition_implILS5_9ELb0ES3_jPlS8_PNS0_10empty_typeENS0_5tupleIJS8_S9_EEENSB_IJS8_SA_EEENS0_18inequality_wrapperIZN2at6native12_GLOBAL__N_124unique_dim_cuda_templateIN3c108BFloat16EEESt5tupleIJNSF_6TensorESM_SM_EERKSM_lbbbEUlllE0_EEPmJS9_EEE10hipError_tPvRmT3_T4_T5_T6_T7_T9_mT8_P12ihipStream_tbDpT10_ENKUlT_T0_E_clISt17integral_constantIbLb0EES1C_EEDaS17_S18_EUlS17_E_NS1_11comp_targetILNS1_3genE2ELNS1_11target_archE906ELNS1_3gpuE6ELNS1_3repE0EEENS1_30default_config_static_selectorELNS0_4arch9wavefront6targetE0EEEvT1_
                                        ; -- End function
	.set _ZN7rocprim17ROCPRIM_400000_NS6detail17trampoline_kernelINS0_14default_configENS1_25partition_config_selectorILNS1_17partition_subalgoE9EllbEEZZNS1_14partition_implILS5_9ELb0ES3_jPlS8_PNS0_10empty_typeENS0_5tupleIJS8_S9_EEENSB_IJS8_SA_EEENS0_18inequality_wrapperIZN2at6native12_GLOBAL__N_124unique_dim_cuda_templateIN3c108BFloat16EEESt5tupleIJNSF_6TensorESM_SM_EERKSM_lbbbEUlllE0_EEPmJS9_EEE10hipError_tPvRmT3_T4_T5_T6_T7_T9_mT8_P12ihipStream_tbDpT10_ENKUlT_T0_E_clISt17integral_constantIbLb0EES1C_EEDaS17_S18_EUlS17_E_NS1_11comp_targetILNS1_3genE2ELNS1_11target_archE906ELNS1_3gpuE6ELNS1_3repE0EEENS1_30default_config_static_selectorELNS0_4arch9wavefront6targetE0EEEvT1_.num_vgpr, 0
	.set _ZN7rocprim17ROCPRIM_400000_NS6detail17trampoline_kernelINS0_14default_configENS1_25partition_config_selectorILNS1_17partition_subalgoE9EllbEEZZNS1_14partition_implILS5_9ELb0ES3_jPlS8_PNS0_10empty_typeENS0_5tupleIJS8_S9_EEENSB_IJS8_SA_EEENS0_18inequality_wrapperIZN2at6native12_GLOBAL__N_124unique_dim_cuda_templateIN3c108BFloat16EEESt5tupleIJNSF_6TensorESM_SM_EERKSM_lbbbEUlllE0_EEPmJS9_EEE10hipError_tPvRmT3_T4_T5_T6_T7_T9_mT8_P12ihipStream_tbDpT10_ENKUlT_T0_E_clISt17integral_constantIbLb0EES1C_EEDaS17_S18_EUlS17_E_NS1_11comp_targetILNS1_3genE2ELNS1_11target_archE906ELNS1_3gpuE6ELNS1_3repE0EEENS1_30default_config_static_selectorELNS0_4arch9wavefront6targetE0EEEvT1_.num_agpr, 0
	.set _ZN7rocprim17ROCPRIM_400000_NS6detail17trampoline_kernelINS0_14default_configENS1_25partition_config_selectorILNS1_17partition_subalgoE9EllbEEZZNS1_14partition_implILS5_9ELb0ES3_jPlS8_PNS0_10empty_typeENS0_5tupleIJS8_S9_EEENSB_IJS8_SA_EEENS0_18inequality_wrapperIZN2at6native12_GLOBAL__N_124unique_dim_cuda_templateIN3c108BFloat16EEESt5tupleIJNSF_6TensorESM_SM_EERKSM_lbbbEUlllE0_EEPmJS9_EEE10hipError_tPvRmT3_T4_T5_T6_T7_T9_mT8_P12ihipStream_tbDpT10_ENKUlT_T0_E_clISt17integral_constantIbLb0EES1C_EEDaS17_S18_EUlS17_E_NS1_11comp_targetILNS1_3genE2ELNS1_11target_archE906ELNS1_3gpuE6ELNS1_3repE0EEENS1_30default_config_static_selectorELNS0_4arch9wavefront6targetE0EEEvT1_.numbered_sgpr, 0
	.set _ZN7rocprim17ROCPRIM_400000_NS6detail17trampoline_kernelINS0_14default_configENS1_25partition_config_selectorILNS1_17partition_subalgoE9EllbEEZZNS1_14partition_implILS5_9ELb0ES3_jPlS8_PNS0_10empty_typeENS0_5tupleIJS8_S9_EEENSB_IJS8_SA_EEENS0_18inequality_wrapperIZN2at6native12_GLOBAL__N_124unique_dim_cuda_templateIN3c108BFloat16EEESt5tupleIJNSF_6TensorESM_SM_EERKSM_lbbbEUlllE0_EEPmJS9_EEE10hipError_tPvRmT3_T4_T5_T6_T7_T9_mT8_P12ihipStream_tbDpT10_ENKUlT_T0_E_clISt17integral_constantIbLb0EES1C_EEDaS17_S18_EUlS17_E_NS1_11comp_targetILNS1_3genE2ELNS1_11target_archE906ELNS1_3gpuE6ELNS1_3repE0EEENS1_30default_config_static_selectorELNS0_4arch9wavefront6targetE0EEEvT1_.num_named_barrier, 0
	.set _ZN7rocprim17ROCPRIM_400000_NS6detail17trampoline_kernelINS0_14default_configENS1_25partition_config_selectorILNS1_17partition_subalgoE9EllbEEZZNS1_14partition_implILS5_9ELb0ES3_jPlS8_PNS0_10empty_typeENS0_5tupleIJS8_S9_EEENSB_IJS8_SA_EEENS0_18inequality_wrapperIZN2at6native12_GLOBAL__N_124unique_dim_cuda_templateIN3c108BFloat16EEESt5tupleIJNSF_6TensorESM_SM_EERKSM_lbbbEUlllE0_EEPmJS9_EEE10hipError_tPvRmT3_T4_T5_T6_T7_T9_mT8_P12ihipStream_tbDpT10_ENKUlT_T0_E_clISt17integral_constantIbLb0EES1C_EEDaS17_S18_EUlS17_E_NS1_11comp_targetILNS1_3genE2ELNS1_11target_archE906ELNS1_3gpuE6ELNS1_3repE0EEENS1_30default_config_static_selectorELNS0_4arch9wavefront6targetE0EEEvT1_.private_seg_size, 0
	.set _ZN7rocprim17ROCPRIM_400000_NS6detail17trampoline_kernelINS0_14default_configENS1_25partition_config_selectorILNS1_17partition_subalgoE9EllbEEZZNS1_14partition_implILS5_9ELb0ES3_jPlS8_PNS0_10empty_typeENS0_5tupleIJS8_S9_EEENSB_IJS8_SA_EEENS0_18inequality_wrapperIZN2at6native12_GLOBAL__N_124unique_dim_cuda_templateIN3c108BFloat16EEESt5tupleIJNSF_6TensorESM_SM_EERKSM_lbbbEUlllE0_EEPmJS9_EEE10hipError_tPvRmT3_T4_T5_T6_T7_T9_mT8_P12ihipStream_tbDpT10_ENKUlT_T0_E_clISt17integral_constantIbLb0EES1C_EEDaS17_S18_EUlS17_E_NS1_11comp_targetILNS1_3genE2ELNS1_11target_archE906ELNS1_3gpuE6ELNS1_3repE0EEENS1_30default_config_static_selectorELNS0_4arch9wavefront6targetE0EEEvT1_.uses_vcc, 0
	.set _ZN7rocprim17ROCPRIM_400000_NS6detail17trampoline_kernelINS0_14default_configENS1_25partition_config_selectorILNS1_17partition_subalgoE9EllbEEZZNS1_14partition_implILS5_9ELb0ES3_jPlS8_PNS0_10empty_typeENS0_5tupleIJS8_S9_EEENSB_IJS8_SA_EEENS0_18inequality_wrapperIZN2at6native12_GLOBAL__N_124unique_dim_cuda_templateIN3c108BFloat16EEESt5tupleIJNSF_6TensorESM_SM_EERKSM_lbbbEUlllE0_EEPmJS9_EEE10hipError_tPvRmT3_T4_T5_T6_T7_T9_mT8_P12ihipStream_tbDpT10_ENKUlT_T0_E_clISt17integral_constantIbLb0EES1C_EEDaS17_S18_EUlS17_E_NS1_11comp_targetILNS1_3genE2ELNS1_11target_archE906ELNS1_3gpuE6ELNS1_3repE0EEENS1_30default_config_static_selectorELNS0_4arch9wavefront6targetE0EEEvT1_.uses_flat_scratch, 0
	.set _ZN7rocprim17ROCPRIM_400000_NS6detail17trampoline_kernelINS0_14default_configENS1_25partition_config_selectorILNS1_17partition_subalgoE9EllbEEZZNS1_14partition_implILS5_9ELb0ES3_jPlS8_PNS0_10empty_typeENS0_5tupleIJS8_S9_EEENSB_IJS8_SA_EEENS0_18inequality_wrapperIZN2at6native12_GLOBAL__N_124unique_dim_cuda_templateIN3c108BFloat16EEESt5tupleIJNSF_6TensorESM_SM_EERKSM_lbbbEUlllE0_EEPmJS9_EEE10hipError_tPvRmT3_T4_T5_T6_T7_T9_mT8_P12ihipStream_tbDpT10_ENKUlT_T0_E_clISt17integral_constantIbLb0EES1C_EEDaS17_S18_EUlS17_E_NS1_11comp_targetILNS1_3genE2ELNS1_11target_archE906ELNS1_3gpuE6ELNS1_3repE0EEENS1_30default_config_static_selectorELNS0_4arch9wavefront6targetE0EEEvT1_.has_dyn_sized_stack, 0
	.set _ZN7rocprim17ROCPRIM_400000_NS6detail17trampoline_kernelINS0_14default_configENS1_25partition_config_selectorILNS1_17partition_subalgoE9EllbEEZZNS1_14partition_implILS5_9ELb0ES3_jPlS8_PNS0_10empty_typeENS0_5tupleIJS8_S9_EEENSB_IJS8_SA_EEENS0_18inequality_wrapperIZN2at6native12_GLOBAL__N_124unique_dim_cuda_templateIN3c108BFloat16EEESt5tupleIJNSF_6TensorESM_SM_EERKSM_lbbbEUlllE0_EEPmJS9_EEE10hipError_tPvRmT3_T4_T5_T6_T7_T9_mT8_P12ihipStream_tbDpT10_ENKUlT_T0_E_clISt17integral_constantIbLb0EES1C_EEDaS17_S18_EUlS17_E_NS1_11comp_targetILNS1_3genE2ELNS1_11target_archE906ELNS1_3gpuE6ELNS1_3repE0EEENS1_30default_config_static_selectorELNS0_4arch9wavefront6targetE0EEEvT1_.has_recursion, 0
	.set _ZN7rocprim17ROCPRIM_400000_NS6detail17trampoline_kernelINS0_14default_configENS1_25partition_config_selectorILNS1_17partition_subalgoE9EllbEEZZNS1_14partition_implILS5_9ELb0ES3_jPlS8_PNS0_10empty_typeENS0_5tupleIJS8_S9_EEENSB_IJS8_SA_EEENS0_18inequality_wrapperIZN2at6native12_GLOBAL__N_124unique_dim_cuda_templateIN3c108BFloat16EEESt5tupleIJNSF_6TensorESM_SM_EERKSM_lbbbEUlllE0_EEPmJS9_EEE10hipError_tPvRmT3_T4_T5_T6_T7_T9_mT8_P12ihipStream_tbDpT10_ENKUlT_T0_E_clISt17integral_constantIbLb0EES1C_EEDaS17_S18_EUlS17_E_NS1_11comp_targetILNS1_3genE2ELNS1_11target_archE906ELNS1_3gpuE6ELNS1_3repE0EEENS1_30default_config_static_selectorELNS0_4arch9wavefront6targetE0EEEvT1_.has_indirect_call, 0
	.section	.AMDGPU.csdata,"",@progbits
; Kernel info:
; codeLenInByte = 0
; TotalNumSgprs: 0
; NumVgprs: 0
; ScratchSize: 0
; MemoryBound: 0
; FloatMode: 240
; IeeeMode: 1
; LDSByteSize: 0 bytes/workgroup (compile time only)
; SGPRBlocks: 0
; VGPRBlocks: 0
; NumSGPRsForWavesPerEU: 1
; NumVGPRsForWavesPerEU: 1
; NamedBarCnt: 0
; Occupancy: 16
; WaveLimiterHint : 0
; COMPUTE_PGM_RSRC2:SCRATCH_EN: 0
; COMPUTE_PGM_RSRC2:USER_SGPR: 2
; COMPUTE_PGM_RSRC2:TRAP_HANDLER: 0
; COMPUTE_PGM_RSRC2:TGID_X_EN: 1
; COMPUTE_PGM_RSRC2:TGID_Y_EN: 0
; COMPUTE_PGM_RSRC2:TGID_Z_EN: 0
; COMPUTE_PGM_RSRC2:TIDIG_COMP_CNT: 0
	.section	.text._ZN7rocprim17ROCPRIM_400000_NS6detail17trampoline_kernelINS0_14default_configENS1_25partition_config_selectorILNS1_17partition_subalgoE9EllbEEZZNS1_14partition_implILS5_9ELb0ES3_jPlS8_PNS0_10empty_typeENS0_5tupleIJS8_S9_EEENSB_IJS8_SA_EEENS0_18inequality_wrapperIZN2at6native12_GLOBAL__N_124unique_dim_cuda_templateIN3c108BFloat16EEESt5tupleIJNSF_6TensorESM_SM_EERKSM_lbbbEUlllE0_EEPmJS9_EEE10hipError_tPvRmT3_T4_T5_T6_T7_T9_mT8_P12ihipStream_tbDpT10_ENKUlT_T0_E_clISt17integral_constantIbLb0EES1C_EEDaS17_S18_EUlS17_E_NS1_11comp_targetILNS1_3genE10ELNS1_11target_archE1200ELNS1_3gpuE4ELNS1_3repE0EEENS1_30default_config_static_selectorELNS0_4arch9wavefront6targetE0EEEvT1_,"axG",@progbits,_ZN7rocprim17ROCPRIM_400000_NS6detail17trampoline_kernelINS0_14default_configENS1_25partition_config_selectorILNS1_17partition_subalgoE9EllbEEZZNS1_14partition_implILS5_9ELb0ES3_jPlS8_PNS0_10empty_typeENS0_5tupleIJS8_S9_EEENSB_IJS8_SA_EEENS0_18inequality_wrapperIZN2at6native12_GLOBAL__N_124unique_dim_cuda_templateIN3c108BFloat16EEESt5tupleIJNSF_6TensorESM_SM_EERKSM_lbbbEUlllE0_EEPmJS9_EEE10hipError_tPvRmT3_T4_T5_T6_T7_T9_mT8_P12ihipStream_tbDpT10_ENKUlT_T0_E_clISt17integral_constantIbLb0EES1C_EEDaS17_S18_EUlS17_E_NS1_11comp_targetILNS1_3genE10ELNS1_11target_archE1200ELNS1_3gpuE4ELNS1_3repE0EEENS1_30default_config_static_selectorELNS0_4arch9wavefront6targetE0EEEvT1_,comdat
	.globl	_ZN7rocprim17ROCPRIM_400000_NS6detail17trampoline_kernelINS0_14default_configENS1_25partition_config_selectorILNS1_17partition_subalgoE9EllbEEZZNS1_14partition_implILS5_9ELb0ES3_jPlS8_PNS0_10empty_typeENS0_5tupleIJS8_S9_EEENSB_IJS8_SA_EEENS0_18inequality_wrapperIZN2at6native12_GLOBAL__N_124unique_dim_cuda_templateIN3c108BFloat16EEESt5tupleIJNSF_6TensorESM_SM_EERKSM_lbbbEUlllE0_EEPmJS9_EEE10hipError_tPvRmT3_T4_T5_T6_T7_T9_mT8_P12ihipStream_tbDpT10_ENKUlT_T0_E_clISt17integral_constantIbLb0EES1C_EEDaS17_S18_EUlS17_E_NS1_11comp_targetILNS1_3genE10ELNS1_11target_archE1200ELNS1_3gpuE4ELNS1_3repE0EEENS1_30default_config_static_selectorELNS0_4arch9wavefront6targetE0EEEvT1_ ; -- Begin function _ZN7rocprim17ROCPRIM_400000_NS6detail17trampoline_kernelINS0_14default_configENS1_25partition_config_selectorILNS1_17partition_subalgoE9EllbEEZZNS1_14partition_implILS5_9ELb0ES3_jPlS8_PNS0_10empty_typeENS0_5tupleIJS8_S9_EEENSB_IJS8_SA_EEENS0_18inequality_wrapperIZN2at6native12_GLOBAL__N_124unique_dim_cuda_templateIN3c108BFloat16EEESt5tupleIJNSF_6TensorESM_SM_EERKSM_lbbbEUlllE0_EEPmJS9_EEE10hipError_tPvRmT3_T4_T5_T6_T7_T9_mT8_P12ihipStream_tbDpT10_ENKUlT_T0_E_clISt17integral_constantIbLb0EES1C_EEDaS17_S18_EUlS17_E_NS1_11comp_targetILNS1_3genE10ELNS1_11target_archE1200ELNS1_3gpuE4ELNS1_3repE0EEENS1_30default_config_static_selectorELNS0_4arch9wavefront6targetE0EEEvT1_
	.p2align	8
	.type	_ZN7rocprim17ROCPRIM_400000_NS6detail17trampoline_kernelINS0_14default_configENS1_25partition_config_selectorILNS1_17partition_subalgoE9EllbEEZZNS1_14partition_implILS5_9ELb0ES3_jPlS8_PNS0_10empty_typeENS0_5tupleIJS8_S9_EEENSB_IJS8_SA_EEENS0_18inequality_wrapperIZN2at6native12_GLOBAL__N_124unique_dim_cuda_templateIN3c108BFloat16EEESt5tupleIJNSF_6TensorESM_SM_EERKSM_lbbbEUlllE0_EEPmJS9_EEE10hipError_tPvRmT3_T4_T5_T6_T7_T9_mT8_P12ihipStream_tbDpT10_ENKUlT_T0_E_clISt17integral_constantIbLb0EES1C_EEDaS17_S18_EUlS17_E_NS1_11comp_targetILNS1_3genE10ELNS1_11target_archE1200ELNS1_3gpuE4ELNS1_3repE0EEENS1_30default_config_static_selectorELNS0_4arch9wavefront6targetE0EEEvT1_,@function
_ZN7rocprim17ROCPRIM_400000_NS6detail17trampoline_kernelINS0_14default_configENS1_25partition_config_selectorILNS1_17partition_subalgoE9EllbEEZZNS1_14partition_implILS5_9ELb0ES3_jPlS8_PNS0_10empty_typeENS0_5tupleIJS8_S9_EEENSB_IJS8_SA_EEENS0_18inequality_wrapperIZN2at6native12_GLOBAL__N_124unique_dim_cuda_templateIN3c108BFloat16EEESt5tupleIJNSF_6TensorESM_SM_EERKSM_lbbbEUlllE0_EEPmJS9_EEE10hipError_tPvRmT3_T4_T5_T6_T7_T9_mT8_P12ihipStream_tbDpT10_ENKUlT_T0_E_clISt17integral_constantIbLb0EES1C_EEDaS17_S18_EUlS17_E_NS1_11comp_targetILNS1_3genE10ELNS1_11target_archE1200ELNS1_3gpuE4ELNS1_3repE0EEENS1_30default_config_static_selectorELNS0_4arch9wavefront6targetE0EEEvT1_: ; @_ZN7rocprim17ROCPRIM_400000_NS6detail17trampoline_kernelINS0_14default_configENS1_25partition_config_selectorILNS1_17partition_subalgoE9EllbEEZZNS1_14partition_implILS5_9ELb0ES3_jPlS8_PNS0_10empty_typeENS0_5tupleIJS8_S9_EEENSB_IJS8_SA_EEENS0_18inequality_wrapperIZN2at6native12_GLOBAL__N_124unique_dim_cuda_templateIN3c108BFloat16EEESt5tupleIJNSF_6TensorESM_SM_EERKSM_lbbbEUlllE0_EEPmJS9_EEE10hipError_tPvRmT3_T4_T5_T6_T7_T9_mT8_P12ihipStream_tbDpT10_ENKUlT_T0_E_clISt17integral_constantIbLb0EES1C_EEDaS17_S18_EUlS17_E_NS1_11comp_targetILNS1_3genE10ELNS1_11target_archE1200ELNS1_3gpuE4ELNS1_3repE0EEENS1_30default_config_static_selectorELNS0_4arch9wavefront6targetE0EEEvT1_
; %bb.0:
	.section	.rodata,"a",@progbits
	.p2align	6, 0x0
	.amdhsa_kernel _ZN7rocprim17ROCPRIM_400000_NS6detail17trampoline_kernelINS0_14default_configENS1_25partition_config_selectorILNS1_17partition_subalgoE9EllbEEZZNS1_14partition_implILS5_9ELb0ES3_jPlS8_PNS0_10empty_typeENS0_5tupleIJS8_S9_EEENSB_IJS8_SA_EEENS0_18inequality_wrapperIZN2at6native12_GLOBAL__N_124unique_dim_cuda_templateIN3c108BFloat16EEESt5tupleIJNSF_6TensorESM_SM_EERKSM_lbbbEUlllE0_EEPmJS9_EEE10hipError_tPvRmT3_T4_T5_T6_T7_T9_mT8_P12ihipStream_tbDpT10_ENKUlT_T0_E_clISt17integral_constantIbLb0EES1C_EEDaS17_S18_EUlS17_E_NS1_11comp_targetILNS1_3genE10ELNS1_11target_archE1200ELNS1_3gpuE4ELNS1_3repE0EEENS1_30default_config_static_selectorELNS0_4arch9wavefront6targetE0EEEvT1_
		.amdhsa_group_segment_fixed_size 0
		.amdhsa_private_segment_fixed_size 0
		.amdhsa_kernarg_size 120
		.amdhsa_user_sgpr_count 2
		.amdhsa_user_sgpr_dispatch_ptr 0
		.amdhsa_user_sgpr_queue_ptr 0
		.amdhsa_user_sgpr_kernarg_segment_ptr 1
		.amdhsa_user_sgpr_dispatch_id 0
		.amdhsa_user_sgpr_kernarg_preload_length 0
		.amdhsa_user_sgpr_kernarg_preload_offset 0
		.amdhsa_user_sgpr_private_segment_size 0
		.amdhsa_wavefront_size32 1
		.amdhsa_uses_dynamic_stack 0
		.amdhsa_enable_private_segment 0
		.amdhsa_system_sgpr_workgroup_id_x 1
		.amdhsa_system_sgpr_workgroup_id_y 0
		.amdhsa_system_sgpr_workgroup_id_z 0
		.amdhsa_system_sgpr_workgroup_info 0
		.amdhsa_system_vgpr_workitem_id 0
		.amdhsa_next_free_vgpr 1
		.amdhsa_next_free_sgpr 1
		.amdhsa_named_barrier_count 0
		.amdhsa_reserve_vcc 0
		.amdhsa_float_round_mode_32 0
		.amdhsa_float_round_mode_16_64 0
		.amdhsa_float_denorm_mode_32 3
		.amdhsa_float_denorm_mode_16_64 3
		.amdhsa_fp16_overflow 0
		.amdhsa_memory_ordered 1
		.amdhsa_forward_progress 1
		.amdhsa_inst_pref_size 0
		.amdhsa_round_robin_scheduling 0
		.amdhsa_exception_fp_ieee_invalid_op 0
		.amdhsa_exception_fp_denorm_src 0
		.amdhsa_exception_fp_ieee_div_zero 0
		.amdhsa_exception_fp_ieee_overflow 0
		.amdhsa_exception_fp_ieee_underflow 0
		.amdhsa_exception_fp_ieee_inexact 0
		.amdhsa_exception_int_div_zero 0
	.end_amdhsa_kernel
	.section	.text._ZN7rocprim17ROCPRIM_400000_NS6detail17trampoline_kernelINS0_14default_configENS1_25partition_config_selectorILNS1_17partition_subalgoE9EllbEEZZNS1_14partition_implILS5_9ELb0ES3_jPlS8_PNS0_10empty_typeENS0_5tupleIJS8_S9_EEENSB_IJS8_SA_EEENS0_18inequality_wrapperIZN2at6native12_GLOBAL__N_124unique_dim_cuda_templateIN3c108BFloat16EEESt5tupleIJNSF_6TensorESM_SM_EERKSM_lbbbEUlllE0_EEPmJS9_EEE10hipError_tPvRmT3_T4_T5_T6_T7_T9_mT8_P12ihipStream_tbDpT10_ENKUlT_T0_E_clISt17integral_constantIbLb0EES1C_EEDaS17_S18_EUlS17_E_NS1_11comp_targetILNS1_3genE10ELNS1_11target_archE1200ELNS1_3gpuE4ELNS1_3repE0EEENS1_30default_config_static_selectorELNS0_4arch9wavefront6targetE0EEEvT1_,"axG",@progbits,_ZN7rocprim17ROCPRIM_400000_NS6detail17trampoline_kernelINS0_14default_configENS1_25partition_config_selectorILNS1_17partition_subalgoE9EllbEEZZNS1_14partition_implILS5_9ELb0ES3_jPlS8_PNS0_10empty_typeENS0_5tupleIJS8_S9_EEENSB_IJS8_SA_EEENS0_18inequality_wrapperIZN2at6native12_GLOBAL__N_124unique_dim_cuda_templateIN3c108BFloat16EEESt5tupleIJNSF_6TensorESM_SM_EERKSM_lbbbEUlllE0_EEPmJS9_EEE10hipError_tPvRmT3_T4_T5_T6_T7_T9_mT8_P12ihipStream_tbDpT10_ENKUlT_T0_E_clISt17integral_constantIbLb0EES1C_EEDaS17_S18_EUlS17_E_NS1_11comp_targetILNS1_3genE10ELNS1_11target_archE1200ELNS1_3gpuE4ELNS1_3repE0EEENS1_30default_config_static_selectorELNS0_4arch9wavefront6targetE0EEEvT1_,comdat
.Lfunc_end1211:
	.size	_ZN7rocprim17ROCPRIM_400000_NS6detail17trampoline_kernelINS0_14default_configENS1_25partition_config_selectorILNS1_17partition_subalgoE9EllbEEZZNS1_14partition_implILS5_9ELb0ES3_jPlS8_PNS0_10empty_typeENS0_5tupleIJS8_S9_EEENSB_IJS8_SA_EEENS0_18inequality_wrapperIZN2at6native12_GLOBAL__N_124unique_dim_cuda_templateIN3c108BFloat16EEESt5tupleIJNSF_6TensorESM_SM_EERKSM_lbbbEUlllE0_EEPmJS9_EEE10hipError_tPvRmT3_T4_T5_T6_T7_T9_mT8_P12ihipStream_tbDpT10_ENKUlT_T0_E_clISt17integral_constantIbLb0EES1C_EEDaS17_S18_EUlS17_E_NS1_11comp_targetILNS1_3genE10ELNS1_11target_archE1200ELNS1_3gpuE4ELNS1_3repE0EEENS1_30default_config_static_selectorELNS0_4arch9wavefront6targetE0EEEvT1_, .Lfunc_end1211-_ZN7rocprim17ROCPRIM_400000_NS6detail17trampoline_kernelINS0_14default_configENS1_25partition_config_selectorILNS1_17partition_subalgoE9EllbEEZZNS1_14partition_implILS5_9ELb0ES3_jPlS8_PNS0_10empty_typeENS0_5tupleIJS8_S9_EEENSB_IJS8_SA_EEENS0_18inequality_wrapperIZN2at6native12_GLOBAL__N_124unique_dim_cuda_templateIN3c108BFloat16EEESt5tupleIJNSF_6TensorESM_SM_EERKSM_lbbbEUlllE0_EEPmJS9_EEE10hipError_tPvRmT3_T4_T5_T6_T7_T9_mT8_P12ihipStream_tbDpT10_ENKUlT_T0_E_clISt17integral_constantIbLb0EES1C_EEDaS17_S18_EUlS17_E_NS1_11comp_targetILNS1_3genE10ELNS1_11target_archE1200ELNS1_3gpuE4ELNS1_3repE0EEENS1_30default_config_static_selectorELNS0_4arch9wavefront6targetE0EEEvT1_
                                        ; -- End function
	.set _ZN7rocprim17ROCPRIM_400000_NS6detail17trampoline_kernelINS0_14default_configENS1_25partition_config_selectorILNS1_17partition_subalgoE9EllbEEZZNS1_14partition_implILS5_9ELb0ES3_jPlS8_PNS0_10empty_typeENS0_5tupleIJS8_S9_EEENSB_IJS8_SA_EEENS0_18inequality_wrapperIZN2at6native12_GLOBAL__N_124unique_dim_cuda_templateIN3c108BFloat16EEESt5tupleIJNSF_6TensorESM_SM_EERKSM_lbbbEUlllE0_EEPmJS9_EEE10hipError_tPvRmT3_T4_T5_T6_T7_T9_mT8_P12ihipStream_tbDpT10_ENKUlT_T0_E_clISt17integral_constantIbLb0EES1C_EEDaS17_S18_EUlS17_E_NS1_11comp_targetILNS1_3genE10ELNS1_11target_archE1200ELNS1_3gpuE4ELNS1_3repE0EEENS1_30default_config_static_selectorELNS0_4arch9wavefront6targetE0EEEvT1_.num_vgpr, 0
	.set _ZN7rocprim17ROCPRIM_400000_NS6detail17trampoline_kernelINS0_14default_configENS1_25partition_config_selectorILNS1_17partition_subalgoE9EllbEEZZNS1_14partition_implILS5_9ELb0ES3_jPlS8_PNS0_10empty_typeENS0_5tupleIJS8_S9_EEENSB_IJS8_SA_EEENS0_18inequality_wrapperIZN2at6native12_GLOBAL__N_124unique_dim_cuda_templateIN3c108BFloat16EEESt5tupleIJNSF_6TensorESM_SM_EERKSM_lbbbEUlllE0_EEPmJS9_EEE10hipError_tPvRmT3_T4_T5_T6_T7_T9_mT8_P12ihipStream_tbDpT10_ENKUlT_T0_E_clISt17integral_constantIbLb0EES1C_EEDaS17_S18_EUlS17_E_NS1_11comp_targetILNS1_3genE10ELNS1_11target_archE1200ELNS1_3gpuE4ELNS1_3repE0EEENS1_30default_config_static_selectorELNS0_4arch9wavefront6targetE0EEEvT1_.num_agpr, 0
	.set _ZN7rocprim17ROCPRIM_400000_NS6detail17trampoline_kernelINS0_14default_configENS1_25partition_config_selectorILNS1_17partition_subalgoE9EllbEEZZNS1_14partition_implILS5_9ELb0ES3_jPlS8_PNS0_10empty_typeENS0_5tupleIJS8_S9_EEENSB_IJS8_SA_EEENS0_18inequality_wrapperIZN2at6native12_GLOBAL__N_124unique_dim_cuda_templateIN3c108BFloat16EEESt5tupleIJNSF_6TensorESM_SM_EERKSM_lbbbEUlllE0_EEPmJS9_EEE10hipError_tPvRmT3_T4_T5_T6_T7_T9_mT8_P12ihipStream_tbDpT10_ENKUlT_T0_E_clISt17integral_constantIbLb0EES1C_EEDaS17_S18_EUlS17_E_NS1_11comp_targetILNS1_3genE10ELNS1_11target_archE1200ELNS1_3gpuE4ELNS1_3repE0EEENS1_30default_config_static_selectorELNS0_4arch9wavefront6targetE0EEEvT1_.numbered_sgpr, 0
	.set _ZN7rocprim17ROCPRIM_400000_NS6detail17trampoline_kernelINS0_14default_configENS1_25partition_config_selectorILNS1_17partition_subalgoE9EllbEEZZNS1_14partition_implILS5_9ELb0ES3_jPlS8_PNS0_10empty_typeENS0_5tupleIJS8_S9_EEENSB_IJS8_SA_EEENS0_18inequality_wrapperIZN2at6native12_GLOBAL__N_124unique_dim_cuda_templateIN3c108BFloat16EEESt5tupleIJNSF_6TensorESM_SM_EERKSM_lbbbEUlllE0_EEPmJS9_EEE10hipError_tPvRmT3_T4_T5_T6_T7_T9_mT8_P12ihipStream_tbDpT10_ENKUlT_T0_E_clISt17integral_constantIbLb0EES1C_EEDaS17_S18_EUlS17_E_NS1_11comp_targetILNS1_3genE10ELNS1_11target_archE1200ELNS1_3gpuE4ELNS1_3repE0EEENS1_30default_config_static_selectorELNS0_4arch9wavefront6targetE0EEEvT1_.num_named_barrier, 0
	.set _ZN7rocprim17ROCPRIM_400000_NS6detail17trampoline_kernelINS0_14default_configENS1_25partition_config_selectorILNS1_17partition_subalgoE9EllbEEZZNS1_14partition_implILS5_9ELb0ES3_jPlS8_PNS0_10empty_typeENS0_5tupleIJS8_S9_EEENSB_IJS8_SA_EEENS0_18inequality_wrapperIZN2at6native12_GLOBAL__N_124unique_dim_cuda_templateIN3c108BFloat16EEESt5tupleIJNSF_6TensorESM_SM_EERKSM_lbbbEUlllE0_EEPmJS9_EEE10hipError_tPvRmT3_T4_T5_T6_T7_T9_mT8_P12ihipStream_tbDpT10_ENKUlT_T0_E_clISt17integral_constantIbLb0EES1C_EEDaS17_S18_EUlS17_E_NS1_11comp_targetILNS1_3genE10ELNS1_11target_archE1200ELNS1_3gpuE4ELNS1_3repE0EEENS1_30default_config_static_selectorELNS0_4arch9wavefront6targetE0EEEvT1_.private_seg_size, 0
	.set _ZN7rocprim17ROCPRIM_400000_NS6detail17trampoline_kernelINS0_14default_configENS1_25partition_config_selectorILNS1_17partition_subalgoE9EllbEEZZNS1_14partition_implILS5_9ELb0ES3_jPlS8_PNS0_10empty_typeENS0_5tupleIJS8_S9_EEENSB_IJS8_SA_EEENS0_18inequality_wrapperIZN2at6native12_GLOBAL__N_124unique_dim_cuda_templateIN3c108BFloat16EEESt5tupleIJNSF_6TensorESM_SM_EERKSM_lbbbEUlllE0_EEPmJS9_EEE10hipError_tPvRmT3_T4_T5_T6_T7_T9_mT8_P12ihipStream_tbDpT10_ENKUlT_T0_E_clISt17integral_constantIbLb0EES1C_EEDaS17_S18_EUlS17_E_NS1_11comp_targetILNS1_3genE10ELNS1_11target_archE1200ELNS1_3gpuE4ELNS1_3repE0EEENS1_30default_config_static_selectorELNS0_4arch9wavefront6targetE0EEEvT1_.uses_vcc, 0
	.set _ZN7rocprim17ROCPRIM_400000_NS6detail17trampoline_kernelINS0_14default_configENS1_25partition_config_selectorILNS1_17partition_subalgoE9EllbEEZZNS1_14partition_implILS5_9ELb0ES3_jPlS8_PNS0_10empty_typeENS0_5tupleIJS8_S9_EEENSB_IJS8_SA_EEENS0_18inequality_wrapperIZN2at6native12_GLOBAL__N_124unique_dim_cuda_templateIN3c108BFloat16EEESt5tupleIJNSF_6TensorESM_SM_EERKSM_lbbbEUlllE0_EEPmJS9_EEE10hipError_tPvRmT3_T4_T5_T6_T7_T9_mT8_P12ihipStream_tbDpT10_ENKUlT_T0_E_clISt17integral_constantIbLb0EES1C_EEDaS17_S18_EUlS17_E_NS1_11comp_targetILNS1_3genE10ELNS1_11target_archE1200ELNS1_3gpuE4ELNS1_3repE0EEENS1_30default_config_static_selectorELNS0_4arch9wavefront6targetE0EEEvT1_.uses_flat_scratch, 0
	.set _ZN7rocprim17ROCPRIM_400000_NS6detail17trampoline_kernelINS0_14default_configENS1_25partition_config_selectorILNS1_17partition_subalgoE9EllbEEZZNS1_14partition_implILS5_9ELb0ES3_jPlS8_PNS0_10empty_typeENS0_5tupleIJS8_S9_EEENSB_IJS8_SA_EEENS0_18inequality_wrapperIZN2at6native12_GLOBAL__N_124unique_dim_cuda_templateIN3c108BFloat16EEESt5tupleIJNSF_6TensorESM_SM_EERKSM_lbbbEUlllE0_EEPmJS9_EEE10hipError_tPvRmT3_T4_T5_T6_T7_T9_mT8_P12ihipStream_tbDpT10_ENKUlT_T0_E_clISt17integral_constantIbLb0EES1C_EEDaS17_S18_EUlS17_E_NS1_11comp_targetILNS1_3genE10ELNS1_11target_archE1200ELNS1_3gpuE4ELNS1_3repE0EEENS1_30default_config_static_selectorELNS0_4arch9wavefront6targetE0EEEvT1_.has_dyn_sized_stack, 0
	.set _ZN7rocprim17ROCPRIM_400000_NS6detail17trampoline_kernelINS0_14default_configENS1_25partition_config_selectorILNS1_17partition_subalgoE9EllbEEZZNS1_14partition_implILS5_9ELb0ES3_jPlS8_PNS0_10empty_typeENS0_5tupleIJS8_S9_EEENSB_IJS8_SA_EEENS0_18inequality_wrapperIZN2at6native12_GLOBAL__N_124unique_dim_cuda_templateIN3c108BFloat16EEESt5tupleIJNSF_6TensorESM_SM_EERKSM_lbbbEUlllE0_EEPmJS9_EEE10hipError_tPvRmT3_T4_T5_T6_T7_T9_mT8_P12ihipStream_tbDpT10_ENKUlT_T0_E_clISt17integral_constantIbLb0EES1C_EEDaS17_S18_EUlS17_E_NS1_11comp_targetILNS1_3genE10ELNS1_11target_archE1200ELNS1_3gpuE4ELNS1_3repE0EEENS1_30default_config_static_selectorELNS0_4arch9wavefront6targetE0EEEvT1_.has_recursion, 0
	.set _ZN7rocprim17ROCPRIM_400000_NS6detail17trampoline_kernelINS0_14default_configENS1_25partition_config_selectorILNS1_17partition_subalgoE9EllbEEZZNS1_14partition_implILS5_9ELb0ES3_jPlS8_PNS0_10empty_typeENS0_5tupleIJS8_S9_EEENSB_IJS8_SA_EEENS0_18inequality_wrapperIZN2at6native12_GLOBAL__N_124unique_dim_cuda_templateIN3c108BFloat16EEESt5tupleIJNSF_6TensorESM_SM_EERKSM_lbbbEUlllE0_EEPmJS9_EEE10hipError_tPvRmT3_T4_T5_T6_T7_T9_mT8_P12ihipStream_tbDpT10_ENKUlT_T0_E_clISt17integral_constantIbLb0EES1C_EEDaS17_S18_EUlS17_E_NS1_11comp_targetILNS1_3genE10ELNS1_11target_archE1200ELNS1_3gpuE4ELNS1_3repE0EEENS1_30default_config_static_selectorELNS0_4arch9wavefront6targetE0EEEvT1_.has_indirect_call, 0
	.section	.AMDGPU.csdata,"",@progbits
; Kernel info:
; codeLenInByte = 0
; TotalNumSgprs: 0
; NumVgprs: 0
; ScratchSize: 0
; MemoryBound: 0
; FloatMode: 240
; IeeeMode: 1
; LDSByteSize: 0 bytes/workgroup (compile time only)
; SGPRBlocks: 0
; VGPRBlocks: 0
; NumSGPRsForWavesPerEU: 1
; NumVGPRsForWavesPerEU: 1
; NamedBarCnt: 0
; Occupancy: 16
; WaveLimiterHint : 0
; COMPUTE_PGM_RSRC2:SCRATCH_EN: 0
; COMPUTE_PGM_RSRC2:USER_SGPR: 2
; COMPUTE_PGM_RSRC2:TRAP_HANDLER: 0
; COMPUTE_PGM_RSRC2:TGID_X_EN: 1
; COMPUTE_PGM_RSRC2:TGID_Y_EN: 0
; COMPUTE_PGM_RSRC2:TGID_Z_EN: 0
; COMPUTE_PGM_RSRC2:TIDIG_COMP_CNT: 0
	.section	.text._ZN7rocprim17ROCPRIM_400000_NS6detail17trampoline_kernelINS0_14default_configENS1_25partition_config_selectorILNS1_17partition_subalgoE9EllbEEZZNS1_14partition_implILS5_9ELb0ES3_jPlS8_PNS0_10empty_typeENS0_5tupleIJS8_S9_EEENSB_IJS8_SA_EEENS0_18inequality_wrapperIZN2at6native12_GLOBAL__N_124unique_dim_cuda_templateIN3c108BFloat16EEESt5tupleIJNSF_6TensorESM_SM_EERKSM_lbbbEUlllE0_EEPmJS9_EEE10hipError_tPvRmT3_T4_T5_T6_T7_T9_mT8_P12ihipStream_tbDpT10_ENKUlT_T0_E_clISt17integral_constantIbLb0EES1C_EEDaS17_S18_EUlS17_E_NS1_11comp_targetILNS1_3genE9ELNS1_11target_archE1100ELNS1_3gpuE3ELNS1_3repE0EEENS1_30default_config_static_selectorELNS0_4arch9wavefront6targetE0EEEvT1_,"axG",@progbits,_ZN7rocprim17ROCPRIM_400000_NS6detail17trampoline_kernelINS0_14default_configENS1_25partition_config_selectorILNS1_17partition_subalgoE9EllbEEZZNS1_14partition_implILS5_9ELb0ES3_jPlS8_PNS0_10empty_typeENS0_5tupleIJS8_S9_EEENSB_IJS8_SA_EEENS0_18inequality_wrapperIZN2at6native12_GLOBAL__N_124unique_dim_cuda_templateIN3c108BFloat16EEESt5tupleIJNSF_6TensorESM_SM_EERKSM_lbbbEUlllE0_EEPmJS9_EEE10hipError_tPvRmT3_T4_T5_T6_T7_T9_mT8_P12ihipStream_tbDpT10_ENKUlT_T0_E_clISt17integral_constantIbLb0EES1C_EEDaS17_S18_EUlS17_E_NS1_11comp_targetILNS1_3genE9ELNS1_11target_archE1100ELNS1_3gpuE3ELNS1_3repE0EEENS1_30default_config_static_selectorELNS0_4arch9wavefront6targetE0EEEvT1_,comdat
	.globl	_ZN7rocprim17ROCPRIM_400000_NS6detail17trampoline_kernelINS0_14default_configENS1_25partition_config_selectorILNS1_17partition_subalgoE9EllbEEZZNS1_14partition_implILS5_9ELb0ES3_jPlS8_PNS0_10empty_typeENS0_5tupleIJS8_S9_EEENSB_IJS8_SA_EEENS0_18inequality_wrapperIZN2at6native12_GLOBAL__N_124unique_dim_cuda_templateIN3c108BFloat16EEESt5tupleIJNSF_6TensorESM_SM_EERKSM_lbbbEUlllE0_EEPmJS9_EEE10hipError_tPvRmT3_T4_T5_T6_T7_T9_mT8_P12ihipStream_tbDpT10_ENKUlT_T0_E_clISt17integral_constantIbLb0EES1C_EEDaS17_S18_EUlS17_E_NS1_11comp_targetILNS1_3genE9ELNS1_11target_archE1100ELNS1_3gpuE3ELNS1_3repE0EEENS1_30default_config_static_selectorELNS0_4arch9wavefront6targetE0EEEvT1_ ; -- Begin function _ZN7rocprim17ROCPRIM_400000_NS6detail17trampoline_kernelINS0_14default_configENS1_25partition_config_selectorILNS1_17partition_subalgoE9EllbEEZZNS1_14partition_implILS5_9ELb0ES3_jPlS8_PNS0_10empty_typeENS0_5tupleIJS8_S9_EEENSB_IJS8_SA_EEENS0_18inequality_wrapperIZN2at6native12_GLOBAL__N_124unique_dim_cuda_templateIN3c108BFloat16EEESt5tupleIJNSF_6TensorESM_SM_EERKSM_lbbbEUlllE0_EEPmJS9_EEE10hipError_tPvRmT3_T4_T5_T6_T7_T9_mT8_P12ihipStream_tbDpT10_ENKUlT_T0_E_clISt17integral_constantIbLb0EES1C_EEDaS17_S18_EUlS17_E_NS1_11comp_targetILNS1_3genE9ELNS1_11target_archE1100ELNS1_3gpuE3ELNS1_3repE0EEENS1_30default_config_static_selectorELNS0_4arch9wavefront6targetE0EEEvT1_
	.p2align	8
	.type	_ZN7rocprim17ROCPRIM_400000_NS6detail17trampoline_kernelINS0_14default_configENS1_25partition_config_selectorILNS1_17partition_subalgoE9EllbEEZZNS1_14partition_implILS5_9ELb0ES3_jPlS8_PNS0_10empty_typeENS0_5tupleIJS8_S9_EEENSB_IJS8_SA_EEENS0_18inequality_wrapperIZN2at6native12_GLOBAL__N_124unique_dim_cuda_templateIN3c108BFloat16EEESt5tupleIJNSF_6TensorESM_SM_EERKSM_lbbbEUlllE0_EEPmJS9_EEE10hipError_tPvRmT3_T4_T5_T6_T7_T9_mT8_P12ihipStream_tbDpT10_ENKUlT_T0_E_clISt17integral_constantIbLb0EES1C_EEDaS17_S18_EUlS17_E_NS1_11comp_targetILNS1_3genE9ELNS1_11target_archE1100ELNS1_3gpuE3ELNS1_3repE0EEENS1_30default_config_static_selectorELNS0_4arch9wavefront6targetE0EEEvT1_,@function
_ZN7rocprim17ROCPRIM_400000_NS6detail17trampoline_kernelINS0_14default_configENS1_25partition_config_selectorILNS1_17partition_subalgoE9EllbEEZZNS1_14partition_implILS5_9ELb0ES3_jPlS8_PNS0_10empty_typeENS0_5tupleIJS8_S9_EEENSB_IJS8_SA_EEENS0_18inequality_wrapperIZN2at6native12_GLOBAL__N_124unique_dim_cuda_templateIN3c108BFloat16EEESt5tupleIJNSF_6TensorESM_SM_EERKSM_lbbbEUlllE0_EEPmJS9_EEE10hipError_tPvRmT3_T4_T5_T6_T7_T9_mT8_P12ihipStream_tbDpT10_ENKUlT_T0_E_clISt17integral_constantIbLb0EES1C_EEDaS17_S18_EUlS17_E_NS1_11comp_targetILNS1_3genE9ELNS1_11target_archE1100ELNS1_3gpuE3ELNS1_3repE0EEENS1_30default_config_static_selectorELNS0_4arch9wavefront6targetE0EEEvT1_: ; @_ZN7rocprim17ROCPRIM_400000_NS6detail17trampoline_kernelINS0_14default_configENS1_25partition_config_selectorILNS1_17partition_subalgoE9EllbEEZZNS1_14partition_implILS5_9ELb0ES3_jPlS8_PNS0_10empty_typeENS0_5tupleIJS8_S9_EEENSB_IJS8_SA_EEENS0_18inequality_wrapperIZN2at6native12_GLOBAL__N_124unique_dim_cuda_templateIN3c108BFloat16EEESt5tupleIJNSF_6TensorESM_SM_EERKSM_lbbbEUlllE0_EEPmJS9_EEE10hipError_tPvRmT3_T4_T5_T6_T7_T9_mT8_P12ihipStream_tbDpT10_ENKUlT_T0_E_clISt17integral_constantIbLb0EES1C_EEDaS17_S18_EUlS17_E_NS1_11comp_targetILNS1_3genE9ELNS1_11target_archE1100ELNS1_3gpuE3ELNS1_3repE0EEENS1_30default_config_static_selectorELNS0_4arch9wavefront6targetE0EEEvT1_
; %bb.0:
	.section	.rodata,"a",@progbits
	.p2align	6, 0x0
	.amdhsa_kernel _ZN7rocprim17ROCPRIM_400000_NS6detail17trampoline_kernelINS0_14default_configENS1_25partition_config_selectorILNS1_17partition_subalgoE9EllbEEZZNS1_14partition_implILS5_9ELb0ES3_jPlS8_PNS0_10empty_typeENS0_5tupleIJS8_S9_EEENSB_IJS8_SA_EEENS0_18inequality_wrapperIZN2at6native12_GLOBAL__N_124unique_dim_cuda_templateIN3c108BFloat16EEESt5tupleIJNSF_6TensorESM_SM_EERKSM_lbbbEUlllE0_EEPmJS9_EEE10hipError_tPvRmT3_T4_T5_T6_T7_T9_mT8_P12ihipStream_tbDpT10_ENKUlT_T0_E_clISt17integral_constantIbLb0EES1C_EEDaS17_S18_EUlS17_E_NS1_11comp_targetILNS1_3genE9ELNS1_11target_archE1100ELNS1_3gpuE3ELNS1_3repE0EEENS1_30default_config_static_selectorELNS0_4arch9wavefront6targetE0EEEvT1_
		.amdhsa_group_segment_fixed_size 0
		.amdhsa_private_segment_fixed_size 0
		.amdhsa_kernarg_size 120
		.amdhsa_user_sgpr_count 2
		.amdhsa_user_sgpr_dispatch_ptr 0
		.amdhsa_user_sgpr_queue_ptr 0
		.amdhsa_user_sgpr_kernarg_segment_ptr 1
		.amdhsa_user_sgpr_dispatch_id 0
		.amdhsa_user_sgpr_kernarg_preload_length 0
		.amdhsa_user_sgpr_kernarg_preload_offset 0
		.amdhsa_user_sgpr_private_segment_size 0
		.amdhsa_wavefront_size32 1
		.amdhsa_uses_dynamic_stack 0
		.amdhsa_enable_private_segment 0
		.amdhsa_system_sgpr_workgroup_id_x 1
		.amdhsa_system_sgpr_workgroup_id_y 0
		.amdhsa_system_sgpr_workgroup_id_z 0
		.amdhsa_system_sgpr_workgroup_info 0
		.amdhsa_system_vgpr_workitem_id 0
		.amdhsa_next_free_vgpr 1
		.amdhsa_next_free_sgpr 1
		.amdhsa_named_barrier_count 0
		.amdhsa_reserve_vcc 0
		.amdhsa_float_round_mode_32 0
		.amdhsa_float_round_mode_16_64 0
		.amdhsa_float_denorm_mode_32 3
		.amdhsa_float_denorm_mode_16_64 3
		.amdhsa_fp16_overflow 0
		.amdhsa_memory_ordered 1
		.amdhsa_forward_progress 1
		.amdhsa_inst_pref_size 0
		.amdhsa_round_robin_scheduling 0
		.amdhsa_exception_fp_ieee_invalid_op 0
		.amdhsa_exception_fp_denorm_src 0
		.amdhsa_exception_fp_ieee_div_zero 0
		.amdhsa_exception_fp_ieee_overflow 0
		.amdhsa_exception_fp_ieee_underflow 0
		.amdhsa_exception_fp_ieee_inexact 0
		.amdhsa_exception_int_div_zero 0
	.end_amdhsa_kernel
	.section	.text._ZN7rocprim17ROCPRIM_400000_NS6detail17trampoline_kernelINS0_14default_configENS1_25partition_config_selectorILNS1_17partition_subalgoE9EllbEEZZNS1_14partition_implILS5_9ELb0ES3_jPlS8_PNS0_10empty_typeENS0_5tupleIJS8_S9_EEENSB_IJS8_SA_EEENS0_18inequality_wrapperIZN2at6native12_GLOBAL__N_124unique_dim_cuda_templateIN3c108BFloat16EEESt5tupleIJNSF_6TensorESM_SM_EERKSM_lbbbEUlllE0_EEPmJS9_EEE10hipError_tPvRmT3_T4_T5_T6_T7_T9_mT8_P12ihipStream_tbDpT10_ENKUlT_T0_E_clISt17integral_constantIbLb0EES1C_EEDaS17_S18_EUlS17_E_NS1_11comp_targetILNS1_3genE9ELNS1_11target_archE1100ELNS1_3gpuE3ELNS1_3repE0EEENS1_30default_config_static_selectorELNS0_4arch9wavefront6targetE0EEEvT1_,"axG",@progbits,_ZN7rocprim17ROCPRIM_400000_NS6detail17trampoline_kernelINS0_14default_configENS1_25partition_config_selectorILNS1_17partition_subalgoE9EllbEEZZNS1_14partition_implILS5_9ELb0ES3_jPlS8_PNS0_10empty_typeENS0_5tupleIJS8_S9_EEENSB_IJS8_SA_EEENS0_18inequality_wrapperIZN2at6native12_GLOBAL__N_124unique_dim_cuda_templateIN3c108BFloat16EEESt5tupleIJNSF_6TensorESM_SM_EERKSM_lbbbEUlllE0_EEPmJS9_EEE10hipError_tPvRmT3_T4_T5_T6_T7_T9_mT8_P12ihipStream_tbDpT10_ENKUlT_T0_E_clISt17integral_constantIbLb0EES1C_EEDaS17_S18_EUlS17_E_NS1_11comp_targetILNS1_3genE9ELNS1_11target_archE1100ELNS1_3gpuE3ELNS1_3repE0EEENS1_30default_config_static_selectorELNS0_4arch9wavefront6targetE0EEEvT1_,comdat
.Lfunc_end1212:
	.size	_ZN7rocprim17ROCPRIM_400000_NS6detail17trampoline_kernelINS0_14default_configENS1_25partition_config_selectorILNS1_17partition_subalgoE9EllbEEZZNS1_14partition_implILS5_9ELb0ES3_jPlS8_PNS0_10empty_typeENS0_5tupleIJS8_S9_EEENSB_IJS8_SA_EEENS0_18inequality_wrapperIZN2at6native12_GLOBAL__N_124unique_dim_cuda_templateIN3c108BFloat16EEESt5tupleIJNSF_6TensorESM_SM_EERKSM_lbbbEUlllE0_EEPmJS9_EEE10hipError_tPvRmT3_T4_T5_T6_T7_T9_mT8_P12ihipStream_tbDpT10_ENKUlT_T0_E_clISt17integral_constantIbLb0EES1C_EEDaS17_S18_EUlS17_E_NS1_11comp_targetILNS1_3genE9ELNS1_11target_archE1100ELNS1_3gpuE3ELNS1_3repE0EEENS1_30default_config_static_selectorELNS0_4arch9wavefront6targetE0EEEvT1_, .Lfunc_end1212-_ZN7rocprim17ROCPRIM_400000_NS6detail17trampoline_kernelINS0_14default_configENS1_25partition_config_selectorILNS1_17partition_subalgoE9EllbEEZZNS1_14partition_implILS5_9ELb0ES3_jPlS8_PNS0_10empty_typeENS0_5tupleIJS8_S9_EEENSB_IJS8_SA_EEENS0_18inequality_wrapperIZN2at6native12_GLOBAL__N_124unique_dim_cuda_templateIN3c108BFloat16EEESt5tupleIJNSF_6TensorESM_SM_EERKSM_lbbbEUlllE0_EEPmJS9_EEE10hipError_tPvRmT3_T4_T5_T6_T7_T9_mT8_P12ihipStream_tbDpT10_ENKUlT_T0_E_clISt17integral_constantIbLb0EES1C_EEDaS17_S18_EUlS17_E_NS1_11comp_targetILNS1_3genE9ELNS1_11target_archE1100ELNS1_3gpuE3ELNS1_3repE0EEENS1_30default_config_static_selectorELNS0_4arch9wavefront6targetE0EEEvT1_
                                        ; -- End function
	.set _ZN7rocprim17ROCPRIM_400000_NS6detail17trampoline_kernelINS0_14default_configENS1_25partition_config_selectorILNS1_17partition_subalgoE9EllbEEZZNS1_14partition_implILS5_9ELb0ES3_jPlS8_PNS0_10empty_typeENS0_5tupleIJS8_S9_EEENSB_IJS8_SA_EEENS0_18inequality_wrapperIZN2at6native12_GLOBAL__N_124unique_dim_cuda_templateIN3c108BFloat16EEESt5tupleIJNSF_6TensorESM_SM_EERKSM_lbbbEUlllE0_EEPmJS9_EEE10hipError_tPvRmT3_T4_T5_T6_T7_T9_mT8_P12ihipStream_tbDpT10_ENKUlT_T0_E_clISt17integral_constantIbLb0EES1C_EEDaS17_S18_EUlS17_E_NS1_11comp_targetILNS1_3genE9ELNS1_11target_archE1100ELNS1_3gpuE3ELNS1_3repE0EEENS1_30default_config_static_selectorELNS0_4arch9wavefront6targetE0EEEvT1_.num_vgpr, 0
	.set _ZN7rocprim17ROCPRIM_400000_NS6detail17trampoline_kernelINS0_14default_configENS1_25partition_config_selectorILNS1_17partition_subalgoE9EllbEEZZNS1_14partition_implILS5_9ELb0ES3_jPlS8_PNS0_10empty_typeENS0_5tupleIJS8_S9_EEENSB_IJS8_SA_EEENS0_18inequality_wrapperIZN2at6native12_GLOBAL__N_124unique_dim_cuda_templateIN3c108BFloat16EEESt5tupleIJNSF_6TensorESM_SM_EERKSM_lbbbEUlllE0_EEPmJS9_EEE10hipError_tPvRmT3_T4_T5_T6_T7_T9_mT8_P12ihipStream_tbDpT10_ENKUlT_T0_E_clISt17integral_constantIbLb0EES1C_EEDaS17_S18_EUlS17_E_NS1_11comp_targetILNS1_3genE9ELNS1_11target_archE1100ELNS1_3gpuE3ELNS1_3repE0EEENS1_30default_config_static_selectorELNS0_4arch9wavefront6targetE0EEEvT1_.num_agpr, 0
	.set _ZN7rocprim17ROCPRIM_400000_NS6detail17trampoline_kernelINS0_14default_configENS1_25partition_config_selectorILNS1_17partition_subalgoE9EllbEEZZNS1_14partition_implILS5_9ELb0ES3_jPlS8_PNS0_10empty_typeENS0_5tupleIJS8_S9_EEENSB_IJS8_SA_EEENS0_18inequality_wrapperIZN2at6native12_GLOBAL__N_124unique_dim_cuda_templateIN3c108BFloat16EEESt5tupleIJNSF_6TensorESM_SM_EERKSM_lbbbEUlllE0_EEPmJS9_EEE10hipError_tPvRmT3_T4_T5_T6_T7_T9_mT8_P12ihipStream_tbDpT10_ENKUlT_T0_E_clISt17integral_constantIbLb0EES1C_EEDaS17_S18_EUlS17_E_NS1_11comp_targetILNS1_3genE9ELNS1_11target_archE1100ELNS1_3gpuE3ELNS1_3repE0EEENS1_30default_config_static_selectorELNS0_4arch9wavefront6targetE0EEEvT1_.numbered_sgpr, 0
	.set _ZN7rocprim17ROCPRIM_400000_NS6detail17trampoline_kernelINS0_14default_configENS1_25partition_config_selectorILNS1_17partition_subalgoE9EllbEEZZNS1_14partition_implILS5_9ELb0ES3_jPlS8_PNS0_10empty_typeENS0_5tupleIJS8_S9_EEENSB_IJS8_SA_EEENS0_18inequality_wrapperIZN2at6native12_GLOBAL__N_124unique_dim_cuda_templateIN3c108BFloat16EEESt5tupleIJNSF_6TensorESM_SM_EERKSM_lbbbEUlllE0_EEPmJS9_EEE10hipError_tPvRmT3_T4_T5_T6_T7_T9_mT8_P12ihipStream_tbDpT10_ENKUlT_T0_E_clISt17integral_constantIbLb0EES1C_EEDaS17_S18_EUlS17_E_NS1_11comp_targetILNS1_3genE9ELNS1_11target_archE1100ELNS1_3gpuE3ELNS1_3repE0EEENS1_30default_config_static_selectorELNS0_4arch9wavefront6targetE0EEEvT1_.num_named_barrier, 0
	.set _ZN7rocprim17ROCPRIM_400000_NS6detail17trampoline_kernelINS0_14default_configENS1_25partition_config_selectorILNS1_17partition_subalgoE9EllbEEZZNS1_14partition_implILS5_9ELb0ES3_jPlS8_PNS0_10empty_typeENS0_5tupleIJS8_S9_EEENSB_IJS8_SA_EEENS0_18inequality_wrapperIZN2at6native12_GLOBAL__N_124unique_dim_cuda_templateIN3c108BFloat16EEESt5tupleIJNSF_6TensorESM_SM_EERKSM_lbbbEUlllE0_EEPmJS9_EEE10hipError_tPvRmT3_T4_T5_T6_T7_T9_mT8_P12ihipStream_tbDpT10_ENKUlT_T0_E_clISt17integral_constantIbLb0EES1C_EEDaS17_S18_EUlS17_E_NS1_11comp_targetILNS1_3genE9ELNS1_11target_archE1100ELNS1_3gpuE3ELNS1_3repE0EEENS1_30default_config_static_selectorELNS0_4arch9wavefront6targetE0EEEvT1_.private_seg_size, 0
	.set _ZN7rocprim17ROCPRIM_400000_NS6detail17trampoline_kernelINS0_14default_configENS1_25partition_config_selectorILNS1_17partition_subalgoE9EllbEEZZNS1_14partition_implILS5_9ELb0ES3_jPlS8_PNS0_10empty_typeENS0_5tupleIJS8_S9_EEENSB_IJS8_SA_EEENS0_18inequality_wrapperIZN2at6native12_GLOBAL__N_124unique_dim_cuda_templateIN3c108BFloat16EEESt5tupleIJNSF_6TensorESM_SM_EERKSM_lbbbEUlllE0_EEPmJS9_EEE10hipError_tPvRmT3_T4_T5_T6_T7_T9_mT8_P12ihipStream_tbDpT10_ENKUlT_T0_E_clISt17integral_constantIbLb0EES1C_EEDaS17_S18_EUlS17_E_NS1_11comp_targetILNS1_3genE9ELNS1_11target_archE1100ELNS1_3gpuE3ELNS1_3repE0EEENS1_30default_config_static_selectorELNS0_4arch9wavefront6targetE0EEEvT1_.uses_vcc, 0
	.set _ZN7rocprim17ROCPRIM_400000_NS6detail17trampoline_kernelINS0_14default_configENS1_25partition_config_selectorILNS1_17partition_subalgoE9EllbEEZZNS1_14partition_implILS5_9ELb0ES3_jPlS8_PNS0_10empty_typeENS0_5tupleIJS8_S9_EEENSB_IJS8_SA_EEENS0_18inequality_wrapperIZN2at6native12_GLOBAL__N_124unique_dim_cuda_templateIN3c108BFloat16EEESt5tupleIJNSF_6TensorESM_SM_EERKSM_lbbbEUlllE0_EEPmJS9_EEE10hipError_tPvRmT3_T4_T5_T6_T7_T9_mT8_P12ihipStream_tbDpT10_ENKUlT_T0_E_clISt17integral_constantIbLb0EES1C_EEDaS17_S18_EUlS17_E_NS1_11comp_targetILNS1_3genE9ELNS1_11target_archE1100ELNS1_3gpuE3ELNS1_3repE0EEENS1_30default_config_static_selectorELNS0_4arch9wavefront6targetE0EEEvT1_.uses_flat_scratch, 0
	.set _ZN7rocprim17ROCPRIM_400000_NS6detail17trampoline_kernelINS0_14default_configENS1_25partition_config_selectorILNS1_17partition_subalgoE9EllbEEZZNS1_14partition_implILS5_9ELb0ES3_jPlS8_PNS0_10empty_typeENS0_5tupleIJS8_S9_EEENSB_IJS8_SA_EEENS0_18inequality_wrapperIZN2at6native12_GLOBAL__N_124unique_dim_cuda_templateIN3c108BFloat16EEESt5tupleIJNSF_6TensorESM_SM_EERKSM_lbbbEUlllE0_EEPmJS9_EEE10hipError_tPvRmT3_T4_T5_T6_T7_T9_mT8_P12ihipStream_tbDpT10_ENKUlT_T0_E_clISt17integral_constantIbLb0EES1C_EEDaS17_S18_EUlS17_E_NS1_11comp_targetILNS1_3genE9ELNS1_11target_archE1100ELNS1_3gpuE3ELNS1_3repE0EEENS1_30default_config_static_selectorELNS0_4arch9wavefront6targetE0EEEvT1_.has_dyn_sized_stack, 0
	.set _ZN7rocprim17ROCPRIM_400000_NS6detail17trampoline_kernelINS0_14default_configENS1_25partition_config_selectorILNS1_17partition_subalgoE9EllbEEZZNS1_14partition_implILS5_9ELb0ES3_jPlS8_PNS0_10empty_typeENS0_5tupleIJS8_S9_EEENSB_IJS8_SA_EEENS0_18inequality_wrapperIZN2at6native12_GLOBAL__N_124unique_dim_cuda_templateIN3c108BFloat16EEESt5tupleIJNSF_6TensorESM_SM_EERKSM_lbbbEUlllE0_EEPmJS9_EEE10hipError_tPvRmT3_T4_T5_T6_T7_T9_mT8_P12ihipStream_tbDpT10_ENKUlT_T0_E_clISt17integral_constantIbLb0EES1C_EEDaS17_S18_EUlS17_E_NS1_11comp_targetILNS1_3genE9ELNS1_11target_archE1100ELNS1_3gpuE3ELNS1_3repE0EEENS1_30default_config_static_selectorELNS0_4arch9wavefront6targetE0EEEvT1_.has_recursion, 0
	.set _ZN7rocprim17ROCPRIM_400000_NS6detail17trampoline_kernelINS0_14default_configENS1_25partition_config_selectorILNS1_17partition_subalgoE9EllbEEZZNS1_14partition_implILS5_9ELb0ES3_jPlS8_PNS0_10empty_typeENS0_5tupleIJS8_S9_EEENSB_IJS8_SA_EEENS0_18inequality_wrapperIZN2at6native12_GLOBAL__N_124unique_dim_cuda_templateIN3c108BFloat16EEESt5tupleIJNSF_6TensorESM_SM_EERKSM_lbbbEUlllE0_EEPmJS9_EEE10hipError_tPvRmT3_T4_T5_T6_T7_T9_mT8_P12ihipStream_tbDpT10_ENKUlT_T0_E_clISt17integral_constantIbLb0EES1C_EEDaS17_S18_EUlS17_E_NS1_11comp_targetILNS1_3genE9ELNS1_11target_archE1100ELNS1_3gpuE3ELNS1_3repE0EEENS1_30default_config_static_selectorELNS0_4arch9wavefront6targetE0EEEvT1_.has_indirect_call, 0
	.section	.AMDGPU.csdata,"",@progbits
; Kernel info:
; codeLenInByte = 0
; TotalNumSgprs: 0
; NumVgprs: 0
; ScratchSize: 0
; MemoryBound: 0
; FloatMode: 240
; IeeeMode: 1
; LDSByteSize: 0 bytes/workgroup (compile time only)
; SGPRBlocks: 0
; VGPRBlocks: 0
; NumSGPRsForWavesPerEU: 1
; NumVGPRsForWavesPerEU: 1
; NamedBarCnt: 0
; Occupancy: 16
; WaveLimiterHint : 0
; COMPUTE_PGM_RSRC2:SCRATCH_EN: 0
; COMPUTE_PGM_RSRC2:USER_SGPR: 2
; COMPUTE_PGM_RSRC2:TRAP_HANDLER: 0
; COMPUTE_PGM_RSRC2:TGID_X_EN: 1
; COMPUTE_PGM_RSRC2:TGID_Y_EN: 0
; COMPUTE_PGM_RSRC2:TGID_Z_EN: 0
; COMPUTE_PGM_RSRC2:TIDIG_COMP_CNT: 0
	.section	.text._ZN7rocprim17ROCPRIM_400000_NS6detail17trampoline_kernelINS0_14default_configENS1_25partition_config_selectorILNS1_17partition_subalgoE9EllbEEZZNS1_14partition_implILS5_9ELb0ES3_jPlS8_PNS0_10empty_typeENS0_5tupleIJS8_S9_EEENSB_IJS8_SA_EEENS0_18inequality_wrapperIZN2at6native12_GLOBAL__N_124unique_dim_cuda_templateIN3c108BFloat16EEESt5tupleIJNSF_6TensorESM_SM_EERKSM_lbbbEUlllE0_EEPmJS9_EEE10hipError_tPvRmT3_T4_T5_T6_T7_T9_mT8_P12ihipStream_tbDpT10_ENKUlT_T0_E_clISt17integral_constantIbLb0EES1C_EEDaS17_S18_EUlS17_E_NS1_11comp_targetILNS1_3genE8ELNS1_11target_archE1030ELNS1_3gpuE2ELNS1_3repE0EEENS1_30default_config_static_selectorELNS0_4arch9wavefront6targetE0EEEvT1_,"axG",@progbits,_ZN7rocprim17ROCPRIM_400000_NS6detail17trampoline_kernelINS0_14default_configENS1_25partition_config_selectorILNS1_17partition_subalgoE9EllbEEZZNS1_14partition_implILS5_9ELb0ES3_jPlS8_PNS0_10empty_typeENS0_5tupleIJS8_S9_EEENSB_IJS8_SA_EEENS0_18inequality_wrapperIZN2at6native12_GLOBAL__N_124unique_dim_cuda_templateIN3c108BFloat16EEESt5tupleIJNSF_6TensorESM_SM_EERKSM_lbbbEUlllE0_EEPmJS9_EEE10hipError_tPvRmT3_T4_T5_T6_T7_T9_mT8_P12ihipStream_tbDpT10_ENKUlT_T0_E_clISt17integral_constantIbLb0EES1C_EEDaS17_S18_EUlS17_E_NS1_11comp_targetILNS1_3genE8ELNS1_11target_archE1030ELNS1_3gpuE2ELNS1_3repE0EEENS1_30default_config_static_selectorELNS0_4arch9wavefront6targetE0EEEvT1_,comdat
	.globl	_ZN7rocprim17ROCPRIM_400000_NS6detail17trampoline_kernelINS0_14default_configENS1_25partition_config_selectorILNS1_17partition_subalgoE9EllbEEZZNS1_14partition_implILS5_9ELb0ES3_jPlS8_PNS0_10empty_typeENS0_5tupleIJS8_S9_EEENSB_IJS8_SA_EEENS0_18inequality_wrapperIZN2at6native12_GLOBAL__N_124unique_dim_cuda_templateIN3c108BFloat16EEESt5tupleIJNSF_6TensorESM_SM_EERKSM_lbbbEUlllE0_EEPmJS9_EEE10hipError_tPvRmT3_T4_T5_T6_T7_T9_mT8_P12ihipStream_tbDpT10_ENKUlT_T0_E_clISt17integral_constantIbLb0EES1C_EEDaS17_S18_EUlS17_E_NS1_11comp_targetILNS1_3genE8ELNS1_11target_archE1030ELNS1_3gpuE2ELNS1_3repE0EEENS1_30default_config_static_selectorELNS0_4arch9wavefront6targetE0EEEvT1_ ; -- Begin function _ZN7rocprim17ROCPRIM_400000_NS6detail17trampoline_kernelINS0_14default_configENS1_25partition_config_selectorILNS1_17partition_subalgoE9EllbEEZZNS1_14partition_implILS5_9ELb0ES3_jPlS8_PNS0_10empty_typeENS0_5tupleIJS8_S9_EEENSB_IJS8_SA_EEENS0_18inequality_wrapperIZN2at6native12_GLOBAL__N_124unique_dim_cuda_templateIN3c108BFloat16EEESt5tupleIJNSF_6TensorESM_SM_EERKSM_lbbbEUlllE0_EEPmJS9_EEE10hipError_tPvRmT3_T4_T5_T6_T7_T9_mT8_P12ihipStream_tbDpT10_ENKUlT_T0_E_clISt17integral_constantIbLb0EES1C_EEDaS17_S18_EUlS17_E_NS1_11comp_targetILNS1_3genE8ELNS1_11target_archE1030ELNS1_3gpuE2ELNS1_3repE0EEENS1_30default_config_static_selectorELNS0_4arch9wavefront6targetE0EEEvT1_
	.p2align	8
	.type	_ZN7rocprim17ROCPRIM_400000_NS6detail17trampoline_kernelINS0_14default_configENS1_25partition_config_selectorILNS1_17partition_subalgoE9EllbEEZZNS1_14partition_implILS5_9ELb0ES3_jPlS8_PNS0_10empty_typeENS0_5tupleIJS8_S9_EEENSB_IJS8_SA_EEENS0_18inequality_wrapperIZN2at6native12_GLOBAL__N_124unique_dim_cuda_templateIN3c108BFloat16EEESt5tupleIJNSF_6TensorESM_SM_EERKSM_lbbbEUlllE0_EEPmJS9_EEE10hipError_tPvRmT3_T4_T5_T6_T7_T9_mT8_P12ihipStream_tbDpT10_ENKUlT_T0_E_clISt17integral_constantIbLb0EES1C_EEDaS17_S18_EUlS17_E_NS1_11comp_targetILNS1_3genE8ELNS1_11target_archE1030ELNS1_3gpuE2ELNS1_3repE0EEENS1_30default_config_static_selectorELNS0_4arch9wavefront6targetE0EEEvT1_,@function
_ZN7rocprim17ROCPRIM_400000_NS6detail17trampoline_kernelINS0_14default_configENS1_25partition_config_selectorILNS1_17partition_subalgoE9EllbEEZZNS1_14partition_implILS5_9ELb0ES3_jPlS8_PNS0_10empty_typeENS0_5tupleIJS8_S9_EEENSB_IJS8_SA_EEENS0_18inequality_wrapperIZN2at6native12_GLOBAL__N_124unique_dim_cuda_templateIN3c108BFloat16EEESt5tupleIJNSF_6TensorESM_SM_EERKSM_lbbbEUlllE0_EEPmJS9_EEE10hipError_tPvRmT3_T4_T5_T6_T7_T9_mT8_P12ihipStream_tbDpT10_ENKUlT_T0_E_clISt17integral_constantIbLb0EES1C_EEDaS17_S18_EUlS17_E_NS1_11comp_targetILNS1_3genE8ELNS1_11target_archE1030ELNS1_3gpuE2ELNS1_3repE0EEENS1_30default_config_static_selectorELNS0_4arch9wavefront6targetE0EEEvT1_: ; @_ZN7rocprim17ROCPRIM_400000_NS6detail17trampoline_kernelINS0_14default_configENS1_25partition_config_selectorILNS1_17partition_subalgoE9EllbEEZZNS1_14partition_implILS5_9ELb0ES3_jPlS8_PNS0_10empty_typeENS0_5tupleIJS8_S9_EEENSB_IJS8_SA_EEENS0_18inequality_wrapperIZN2at6native12_GLOBAL__N_124unique_dim_cuda_templateIN3c108BFloat16EEESt5tupleIJNSF_6TensorESM_SM_EERKSM_lbbbEUlllE0_EEPmJS9_EEE10hipError_tPvRmT3_T4_T5_T6_T7_T9_mT8_P12ihipStream_tbDpT10_ENKUlT_T0_E_clISt17integral_constantIbLb0EES1C_EEDaS17_S18_EUlS17_E_NS1_11comp_targetILNS1_3genE8ELNS1_11target_archE1030ELNS1_3gpuE2ELNS1_3repE0EEENS1_30default_config_static_selectorELNS0_4arch9wavefront6targetE0EEEvT1_
; %bb.0:
	.section	.rodata,"a",@progbits
	.p2align	6, 0x0
	.amdhsa_kernel _ZN7rocprim17ROCPRIM_400000_NS6detail17trampoline_kernelINS0_14default_configENS1_25partition_config_selectorILNS1_17partition_subalgoE9EllbEEZZNS1_14partition_implILS5_9ELb0ES3_jPlS8_PNS0_10empty_typeENS0_5tupleIJS8_S9_EEENSB_IJS8_SA_EEENS0_18inequality_wrapperIZN2at6native12_GLOBAL__N_124unique_dim_cuda_templateIN3c108BFloat16EEESt5tupleIJNSF_6TensorESM_SM_EERKSM_lbbbEUlllE0_EEPmJS9_EEE10hipError_tPvRmT3_T4_T5_T6_T7_T9_mT8_P12ihipStream_tbDpT10_ENKUlT_T0_E_clISt17integral_constantIbLb0EES1C_EEDaS17_S18_EUlS17_E_NS1_11comp_targetILNS1_3genE8ELNS1_11target_archE1030ELNS1_3gpuE2ELNS1_3repE0EEENS1_30default_config_static_selectorELNS0_4arch9wavefront6targetE0EEEvT1_
		.amdhsa_group_segment_fixed_size 0
		.amdhsa_private_segment_fixed_size 0
		.amdhsa_kernarg_size 120
		.amdhsa_user_sgpr_count 2
		.amdhsa_user_sgpr_dispatch_ptr 0
		.amdhsa_user_sgpr_queue_ptr 0
		.amdhsa_user_sgpr_kernarg_segment_ptr 1
		.amdhsa_user_sgpr_dispatch_id 0
		.amdhsa_user_sgpr_kernarg_preload_length 0
		.amdhsa_user_sgpr_kernarg_preload_offset 0
		.amdhsa_user_sgpr_private_segment_size 0
		.amdhsa_wavefront_size32 1
		.amdhsa_uses_dynamic_stack 0
		.amdhsa_enable_private_segment 0
		.amdhsa_system_sgpr_workgroup_id_x 1
		.amdhsa_system_sgpr_workgroup_id_y 0
		.amdhsa_system_sgpr_workgroup_id_z 0
		.amdhsa_system_sgpr_workgroup_info 0
		.amdhsa_system_vgpr_workitem_id 0
		.amdhsa_next_free_vgpr 1
		.amdhsa_next_free_sgpr 1
		.amdhsa_named_barrier_count 0
		.amdhsa_reserve_vcc 0
		.amdhsa_float_round_mode_32 0
		.amdhsa_float_round_mode_16_64 0
		.amdhsa_float_denorm_mode_32 3
		.amdhsa_float_denorm_mode_16_64 3
		.amdhsa_fp16_overflow 0
		.amdhsa_memory_ordered 1
		.amdhsa_forward_progress 1
		.amdhsa_inst_pref_size 0
		.amdhsa_round_robin_scheduling 0
		.amdhsa_exception_fp_ieee_invalid_op 0
		.amdhsa_exception_fp_denorm_src 0
		.amdhsa_exception_fp_ieee_div_zero 0
		.amdhsa_exception_fp_ieee_overflow 0
		.amdhsa_exception_fp_ieee_underflow 0
		.amdhsa_exception_fp_ieee_inexact 0
		.amdhsa_exception_int_div_zero 0
	.end_amdhsa_kernel
	.section	.text._ZN7rocprim17ROCPRIM_400000_NS6detail17trampoline_kernelINS0_14default_configENS1_25partition_config_selectorILNS1_17partition_subalgoE9EllbEEZZNS1_14partition_implILS5_9ELb0ES3_jPlS8_PNS0_10empty_typeENS0_5tupleIJS8_S9_EEENSB_IJS8_SA_EEENS0_18inequality_wrapperIZN2at6native12_GLOBAL__N_124unique_dim_cuda_templateIN3c108BFloat16EEESt5tupleIJNSF_6TensorESM_SM_EERKSM_lbbbEUlllE0_EEPmJS9_EEE10hipError_tPvRmT3_T4_T5_T6_T7_T9_mT8_P12ihipStream_tbDpT10_ENKUlT_T0_E_clISt17integral_constantIbLb0EES1C_EEDaS17_S18_EUlS17_E_NS1_11comp_targetILNS1_3genE8ELNS1_11target_archE1030ELNS1_3gpuE2ELNS1_3repE0EEENS1_30default_config_static_selectorELNS0_4arch9wavefront6targetE0EEEvT1_,"axG",@progbits,_ZN7rocprim17ROCPRIM_400000_NS6detail17trampoline_kernelINS0_14default_configENS1_25partition_config_selectorILNS1_17partition_subalgoE9EllbEEZZNS1_14partition_implILS5_9ELb0ES3_jPlS8_PNS0_10empty_typeENS0_5tupleIJS8_S9_EEENSB_IJS8_SA_EEENS0_18inequality_wrapperIZN2at6native12_GLOBAL__N_124unique_dim_cuda_templateIN3c108BFloat16EEESt5tupleIJNSF_6TensorESM_SM_EERKSM_lbbbEUlllE0_EEPmJS9_EEE10hipError_tPvRmT3_T4_T5_T6_T7_T9_mT8_P12ihipStream_tbDpT10_ENKUlT_T0_E_clISt17integral_constantIbLb0EES1C_EEDaS17_S18_EUlS17_E_NS1_11comp_targetILNS1_3genE8ELNS1_11target_archE1030ELNS1_3gpuE2ELNS1_3repE0EEENS1_30default_config_static_selectorELNS0_4arch9wavefront6targetE0EEEvT1_,comdat
.Lfunc_end1213:
	.size	_ZN7rocprim17ROCPRIM_400000_NS6detail17trampoline_kernelINS0_14default_configENS1_25partition_config_selectorILNS1_17partition_subalgoE9EllbEEZZNS1_14partition_implILS5_9ELb0ES3_jPlS8_PNS0_10empty_typeENS0_5tupleIJS8_S9_EEENSB_IJS8_SA_EEENS0_18inequality_wrapperIZN2at6native12_GLOBAL__N_124unique_dim_cuda_templateIN3c108BFloat16EEESt5tupleIJNSF_6TensorESM_SM_EERKSM_lbbbEUlllE0_EEPmJS9_EEE10hipError_tPvRmT3_T4_T5_T6_T7_T9_mT8_P12ihipStream_tbDpT10_ENKUlT_T0_E_clISt17integral_constantIbLb0EES1C_EEDaS17_S18_EUlS17_E_NS1_11comp_targetILNS1_3genE8ELNS1_11target_archE1030ELNS1_3gpuE2ELNS1_3repE0EEENS1_30default_config_static_selectorELNS0_4arch9wavefront6targetE0EEEvT1_, .Lfunc_end1213-_ZN7rocprim17ROCPRIM_400000_NS6detail17trampoline_kernelINS0_14default_configENS1_25partition_config_selectorILNS1_17partition_subalgoE9EllbEEZZNS1_14partition_implILS5_9ELb0ES3_jPlS8_PNS0_10empty_typeENS0_5tupleIJS8_S9_EEENSB_IJS8_SA_EEENS0_18inequality_wrapperIZN2at6native12_GLOBAL__N_124unique_dim_cuda_templateIN3c108BFloat16EEESt5tupleIJNSF_6TensorESM_SM_EERKSM_lbbbEUlllE0_EEPmJS9_EEE10hipError_tPvRmT3_T4_T5_T6_T7_T9_mT8_P12ihipStream_tbDpT10_ENKUlT_T0_E_clISt17integral_constantIbLb0EES1C_EEDaS17_S18_EUlS17_E_NS1_11comp_targetILNS1_3genE8ELNS1_11target_archE1030ELNS1_3gpuE2ELNS1_3repE0EEENS1_30default_config_static_selectorELNS0_4arch9wavefront6targetE0EEEvT1_
                                        ; -- End function
	.set _ZN7rocprim17ROCPRIM_400000_NS6detail17trampoline_kernelINS0_14default_configENS1_25partition_config_selectorILNS1_17partition_subalgoE9EllbEEZZNS1_14partition_implILS5_9ELb0ES3_jPlS8_PNS0_10empty_typeENS0_5tupleIJS8_S9_EEENSB_IJS8_SA_EEENS0_18inequality_wrapperIZN2at6native12_GLOBAL__N_124unique_dim_cuda_templateIN3c108BFloat16EEESt5tupleIJNSF_6TensorESM_SM_EERKSM_lbbbEUlllE0_EEPmJS9_EEE10hipError_tPvRmT3_T4_T5_T6_T7_T9_mT8_P12ihipStream_tbDpT10_ENKUlT_T0_E_clISt17integral_constantIbLb0EES1C_EEDaS17_S18_EUlS17_E_NS1_11comp_targetILNS1_3genE8ELNS1_11target_archE1030ELNS1_3gpuE2ELNS1_3repE0EEENS1_30default_config_static_selectorELNS0_4arch9wavefront6targetE0EEEvT1_.num_vgpr, 0
	.set _ZN7rocprim17ROCPRIM_400000_NS6detail17trampoline_kernelINS0_14default_configENS1_25partition_config_selectorILNS1_17partition_subalgoE9EllbEEZZNS1_14partition_implILS5_9ELb0ES3_jPlS8_PNS0_10empty_typeENS0_5tupleIJS8_S9_EEENSB_IJS8_SA_EEENS0_18inequality_wrapperIZN2at6native12_GLOBAL__N_124unique_dim_cuda_templateIN3c108BFloat16EEESt5tupleIJNSF_6TensorESM_SM_EERKSM_lbbbEUlllE0_EEPmJS9_EEE10hipError_tPvRmT3_T4_T5_T6_T7_T9_mT8_P12ihipStream_tbDpT10_ENKUlT_T0_E_clISt17integral_constantIbLb0EES1C_EEDaS17_S18_EUlS17_E_NS1_11comp_targetILNS1_3genE8ELNS1_11target_archE1030ELNS1_3gpuE2ELNS1_3repE0EEENS1_30default_config_static_selectorELNS0_4arch9wavefront6targetE0EEEvT1_.num_agpr, 0
	.set _ZN7rocprim17ROCPRIM_400000_NS6detail17trampoline_kernelINS0_14default_configENS1_25partition_config_selectorILNS1_17partition_subalgoE9EllbEEZZNS1_14partition_implILS5_9ELb0ES3_jPlS8_PNS0_10empty_typeENS0_5tupleIJS8_S9_EEENSB_IJS8_SA_EEENS0_18inequality_wrapperIZN2at6native12_GLOBAL__N_124unique_dim_cuda_templateIN3c108BFloat16EEESt5tupleIJNSF_6TensorESM_SM_EERKSM_lbbbEUlllE0_EEPmJS9_EEE10hipError_tPvRmT3_T4_T5_T6_T7_T9_mT8_P12ihipStream_tbDpT10_ENKUlT_T0_E_clISt17integral_constantIbLb0EES1C_EEDaS17_S18_EUlS17_E_NS1_11comp_targetILNS1_3genE8ELNS1_11target_archE1030ELNS1_3gpuE2ELNS1_3repE0EEENS1_30default_config_static_selectorELNS0_4arch9wavefront6targetE0EEEvT1_.numbered_sgpr, 0
	.set _ZN7rocprim17ROCPRIM_400000_NS6detail17trampoline_kernelINS0_14default_configENS1_25partition_config_selectorILNS1_17partition_subalgoE9EllbEEZZNS1_14partition_implILS5_9ELb0ES3_jPlS8_PNS0_10empty_typeENS0_5tupleIJS8_S9_EEENSB_IJS8_SA_EEENS0_18inequality_wrapperIZN2at6native12_GLOBAL__N_124unique_dim_cuda_templateIN3c108BFloat16EEESt5tupleIJNSF_6TensorESM_SM_EERKSM_lbbbEUlllE0_EEPmJS9_EEE10hipError_tPvRmT3_T4_T5_T6_T7_T9_mT8_P12ihipStream_tbDpT10_ENKUlT_T0_E_clISt17integral_constantIbLb0EES1C_EEDaS17_S18_EUlS17_E_NS1_11comp_targetILNS1_3genE8ELNS1_11target_archE1030ELNS1_3gpuE2ELNS1_3repE0EEENS1_30default_config_static_selectorELNS0_4arch9wavefront6targetE0EEEvT1_.num_named_barrier, 0
	.set _ZN7rocprim17ROCPRIM_400000_NS6detail17trampoline_kernelINS0_14default_configENS1_25partition_config_selectorILNS1_17partition_subalgoE9EllbEEZZNS1_14partition_implILS5_9ELb0ES3_jPlS8_PNS0_10empty_typeENS0_5tupleIJS8_S9_EEENSB_IJS8_SA_EEENS0_18inequality_wrapperIZN2at6native12_GLOBAL__N_124unique_dim_cuda_templateIN3c108BFloat16EEESt5tupleIJNSF_6TensorESM_SM_EERKSM_lbbbEUlllE0_EEPmJS9_EEE10hipError_tPvRmT3_T4_T5_T6_T7_T9_mT8_P12ihipStream_tbDpT10_ENKUlT_T0_E_clISt17integral_constantIbLb0EES1C_EEDaS17_S18_EUlS17_E_NS1_11comp_targetILNS1_3genE8ELNS1_11target_archE1030ELNS1_3gpuE2ELNS1_3repE0EEENS1_30default_config_static_selectorELNS0_4arch9wavefront6targetE0EEEvT1_.private_seg_size, 0
	.set _ZN7rocprim17ROCPRIM_400000_NS6detail17trampoline_kernelINS0_14default_configENS1_25partition_config_selectorILNS1_17partition_subalgoE9EllbEEZZNS1_14partition_implILS5_9ELb0ES3_jPlS8_PNS0_10empty_typeENS0_5tupleIJS8_S9_EEENSB_IJS8_SA_EEENS0_18inequality_wrapperIZN2at6native12_GLOBAL__N_124unique_dim_cuda_templateIN3c108BFloat16EEESt5tupleIJNSF_6TensorESM_SM_EERKSM_lbbbEUlllE0_EEPmJS9_EEE10hipError_tPvRmT3_T4_T5_T6_T7_T9_mT8_P12ihipStream_tbDpT10_ENKUlT_T0_E_clISt17integral_constantIbLb0EES1C_EEDaS17_S18_EUlS17_E_NS1_11comp_targetILNS1_3genE8ELNS1_11target_archE1030ELNS1_3gpuE2ELNS1_3repE0EEENS1_30default_config_static_selectorELNS0_4arch9wavefront6targetE0EEEvT1_.uses_vcc, 0
	.set _ZN7rocprim17ROCPRIM_400000_NS6detail17trampoline_kernelINS0_14default_configENS1_25partition_config_selectorILNS1_17partition_subalgoE9EllbEEZZNS1_14partition_implILS5_9ELb0ES3_jPlS8_PNS0_10empty_typeENS0_5tupleIJS8_S9_EEENSB_IJS8_SA_EEENS0_18inequality_wrapperIZN2at6native12_GLOBAL__N_124unique_dim_cuda_templateIN3c108BFloat16EEESt5tupleIJNSF_6TensorESM_SM_EERKSM_lbbbEUlllE0_EEPmJS9_EEE10hipError_tPvRmT3_T4_T5_T6_T7_T9_mT8_P12ihipStream_tbDpT10_ENKUlT_T0_E_clISt17integral_constantIbLb0EES1C_EEDaS17_S18_EUlS17_E_NS1_11comp_targetILNS1_3genE8ELNS1_11target_archE1030ELNS1_3gpuE2ELNS1_3repE0EEENS1_30default_config_static_selectorELNS0_4arch9wavefront6targetE0EEEvT1_.uses_flat_scratch, 0
	.set _ZN7rocprim17ROCPRIM_400000_NS6detail17trampoline_kernelINS0_14default_configENS1_25partition_config_selectorILNS1_17partition_subalgoE9EllbEEZZNS1_14partition_implILS5_9ELb0ES3_jPlS8_PNS0_10empty_typeENS0_5tupleIJS8_S9_EEENSB_IJS8_SA_EEENS0_18inequality_wrapperIZN2at6native12_GLOBAL__N_124unique_dim_cuda_templateIN3c108BFloat16EEESt5tupleIJNSF_6TensorESM_SM_EERKSM_lbbbEUlllE0_EEPmJS9_EEE10hipError_tPvRmT3_T4_T5_T6_T7_T9_mT8_P12ihipStream_tbDpT10_ENKUlT_T0_E_clISt17integral_constantIbLb0EES1C_EEDaS17_S18_EUlS17_E_NS1_11comp_targetILNS1_3genE8ELNS1_11target_archE1030ELNS1_3gpuE2ELNS1_3repE0EEENS1_30default_config_static_selectorELNS0_4arch9wavefront6targetE0EEEvT1_.has_dyn_sized_stack, 0
	.set _ZN7rocprim17ROCPRIM_400000_NS6detail17trampoline_kernelINS0_14default_configENS1_25partition_config_selectorILNS1_17partition_subalgoE9EllbEEZZNS1_14partition_implILS5_9ELb0ES3_jPlS8_PNS0_10empty_typeENS0_5tupleIJS8_S9_EEENSB_IJS8_SA_EEENS0_18inequality_wrapperIZN2at6native12_GLOBAL__N_124unique_dim_cuda_templateIN3c108BFloat16EEESt5tupleIJNSF_6TensorESM_SM_EERKSM_lbbbEUlllE0_EEPmJS9_EEE10hipError_tPvRmT3_T4_T5_T6_T7_T9_mT8_P12ihipStream_tbDpT10_ENKUlT_T0_E_clISt17integral_constantIbLb0EES1C_EEDaS17_S18_EUlS17_E_NS1_11comp_targetILNS1_3genE8ELNS1_11target_archE1030ELNS1_3gpuE2ELNS1_3repE0EEENS1_30default_config_static_selectorELNS0_4arch9wavefront6targetE0EEEvT1_.has_recursion, 0
	.set _ZN7rocprim17ROCPRIM_400000_NS6detail17trampoline_kernelINS0_14default_configENS1_25partition_config_selectorILNS1_17partition_subalgoE9EllbEEZZNS1_14partition_implILS5_9ELb0ES3_jPlS8_PNS0_10empty_typeENS0_5tupleIJS8_S9_EEENSB_IJS8_SA_EEENS0_18inequality_wrapperIZN2at6native12_GLOBAL__N_124unique_dim_cuda_templateIN3c108BFloat16EEESt5tupleIJNSF_6TensorESM_SM_EERKSM_lbbbEUlllE0_EEPmJS9_EEE10hipError_tPvRmT3_T4_T5_T6_T7_T9_mT8_P12ihipStream_tbDpT10_ENKUlT_T0_E_clISt17integral_constantIbLb0EES1C_EEDaS17_S18_EUlS17_E_NS1_11comp_targetILNS1_3genE8ELNS1_11target_archE1030ELNS1_3gpuE2ELNS1_3repE0EEENS1_30default_config_static_selectorELNS0_4arch9wavefront6targetE0EEEvT1_.has_indirect_call, 0
	.section	.AMDGPU.csdata,"",@progbits
; Kernel info:
; codeLenInByte = 0
; TotalNumSgprs: 0
; NumVgprs: 0
; ScratchSize: 0
; MemoryBound: 0
; FloatMode: 240
; IeeeMode: 1
; LDSByteSize: 0 bytes/workgroup (compile time only)
; SGPRBlocks: 0
; VGPRBlocks: 0
; NumSGPRsForWavesPerEU: 1
; NumVGPRsForWavesPerEU: 1
; NamedBarCnt: 0
; Occupancy: 16
; WaveLimiterHint : 0
; COMPUTE_PGM_RSRC2:SCRATCH_EN: 0
; COMPUTE_PGM_RSRC2:USER_SGPR: 2
; COMPUTE_PGM_RSRC2:TRAP_HANDLER: 0
; COMPUTE_PGM_RSRC2:TGID_X_EN: 1
; COMPUTE_PGM_RSRC2:TGID_Y_EN: 0
; COMPUTE_PGM_RSRC2:TGID_Z_EN: 0
; COMPUTE_PGM_RSRC2:TIDIG_COMP_CNT: 0
	.section	.text._ZN7rocprim17ROCPRIM_400000_NS6detail17trampoline_kernelINS0_14default_configENS1_25partition_config_selectorILNS1_17partition_subalgoE9EllbEEZZNS1_14partition_implILS5_9ELb0ES3_jPlS8_PNS0_10empty_typeENS0_5tupleIJS8_S9_EEENSB_IJS8_SA_EEENS0_18inequality_wrapperIZN2at6native12_GLOBAL__N_124unique_dim_cuda_templateIN3c108BFloat16EEESt5tupleIJNSF_6TensorESM_SM_EERKSM_lbbbEUlllE0_EEPmJS9_EEE10hipError_tPvRmT3_T4_T5_T6_T7_T9_mT8_P12ihipStream_tbDpT10_ENKUlT_T0_E_clISt17integral_constantIbLb1EES1C_EEDaS17_S18_EUlS17_E_NS1_11comp_targetILNS1_3genE0ELNS1_11target_archE4294967295ELNS1_3gpuE0ELNS1_3repE0EEENS1_30default_config_static_selectorELNS0_4arch9wavefront6targetE0EEEvT1_,"axG",@progbits,_ZN7rocprim17ROCPRIM_400000_NS6detail17trampoline_kernelINS0_14default_configENS1_25partition_config_selectorILNS1_17partition_subalgoE9EllbEEZZNS1_14partition_implILS5_9ELb0ES3_jPlS8_PNS0_10empty_typeENS0_5tupleIJS8_S9_EEENSB_IJS8_SA_EEENS0_18inequality_wrapperIZN2at6native12_GLOBAL__N_124unique_dim_cuda_templateIN3c108BFloat16EEESt5tupleIJNSF_6TensorESM_SM_EERKSM_lbbbEUlllE0_EEPmJS9_EEE10hipError_tPvRmT3_T4_T5_T6_T7_T9_mT8_P12ihipStream_tbDpT10_ENKUlT_T0_E_clISt17integral_constantIbLb1EES1C_EEDaS17_S18_EUlS17_E_NS1_11comp_targetILNS1_3genE0ELNS1_11target_archE4294967295ELNS1_3gpuE0ELNS1_3repE0EEENS1_30default_config_static_selectorELNS0_4arch9wavefront6targetE0EEEvT1_,comdat
	.globl	_ZN7rocprim17ROCPRIM_400000_NS6detail17trampoline_kernelINS0_14default_configENS1_25partition_config_selectorILNS1_17partition_subalgoE9EllbEEZZNS1_14partition_implILS5_9ELb0ES3_jPlS8_PNS0_10empty_typeENS0_5tupleIJS8_S9_EEENSB_IJS8_SA_EEENS0_18inequality_wrapperIZN2at6native12_GLOBAL__N_124unique_dim_cuda_templateIN3c108BFloat16EEESt5tupleIJNSF_6TensorESM_SM_EERKSM_lbbbEUlllE0_EEPmJS9_EEE10hipError_tPvRmT3_T4_T5_T6_T7_T9_mT8_P12ihipStream_tbDpT10_ENKUlT_T0_E_clISt17integral_constantIbLb1EES1C_EEDaS17_S18_EUlS17_E_NS1_11comp_targetILNS1_3genE0ELNS1_11target_archE4294967295ELNS1_3gpuE0ELNS1_3repE0EEENS1_30default_config_static_selectorELNS0_4arch9wavefront6targetE0EEEvT1_ ; -- Begin function _ZN7rocprim17ROCPRIM_400000_NS6detail17trampoline_kernelINS0_14default_configENS1_25partition_config_selectorILNS1_17partition_subalgoE9EllbEEZZNS1_14partition_implILS5_9ELb0ES3_jPlS8_PNS0_10empty_typeENS0_5tupleIJS8_S9_EEENSB_IJS8_SA_EEENS0_18inequality_wrapperIZN2at6native12_GLOBAL__N_124unique_dim_cuda_templateIN3c108BFloat16EEESt5tupleIJNSF_6TensorESM_SM_EERKSM_lbbbEUlllE0_EEPmJS9_EEE10hipError_tPvRmT3_T4_T5_T6_T7_T9_mT8_P12ihipStream_tbDpT10_ENKUlT_T0_E_clISt17integral_constantIbLb1EES1C_EEDaS17_S18_EUlS17_E_NS1_11comp_targetILNS1_3genE0ELNS1_11target_archE4294967295ELNS1_3gpuE0ELNS1_3repE0EEENS1_30default_config_static_selectorELNS0_4arch9wavefront6targetE0EEEvT1_
	.p2align	8
	.type	_ZN7rocprim17ROCPRIM_400000_NS6detail17trampoline_kernelINS0_14default_configENS1_25partition_config_selectorILNS1_17partition_subalgoE9EllbEEZZNS1_14partition_implILS5_9ELb0ES3_jPlS8_PNS0_10empty_typeENS0_5tupleIJS8_S9_EEENSB_IJS8_SA_EEENS0_18inequality_wrapperIZN2at6native12_GLOBAL__N_124unique_dim_cuda_templateIN3c108BFloat16EEESt5tupleIJNSF_6TensorESM_SM_EERKSM_lbbbEUlllE0_EEPmJS9_EEE10hipError_tPvRmT3_T4_T5_T6_T7_T9_mT8_P12ihipStream_tbDpT10_ENKUlT_T0_E_clISt17integral_constantIbLb1EES1C_EEDaS17_S18_EUlS17_E_NS1_11comp_targetILNS1_3genE0ELNS1_11target_archE4294967295ELNS1_3gpuE0ELNS1_3repE0EEENS1_30default_config_static_selectorELNS0_4arch9wavefront6targetE0EEEvT1_,@function
_ZN7rocprim17ROCPRIM_400000_NS6detail17trampoline_kernelINS0_14default_configENS1_25partition_config_selectorILNS1_17partition_subalgoE9EllbEEZZNS1_14partition_implILS5_9ELb0ES3_jPlS8_PNS0_10empty_typeENS0_5tupleIJS8_S9_EEENSB_IJS8_SA_EEENS0_18inequality_wrapperIZN2at6native12_GLOBAL__N_124unique_dim_cuda_templateIN3c108BFloat16EEESt5tupleIJNSF_6TensorESM_SM_EERKSM_lbbbEUlllE0_EEPmJS9_EEE10hipError_tPvRmT3_T4_T5_T6_T7_T9_mT8_P12ihipStream_tbDpT10_ENKUlT_T0_E_clISt17integral_constantIbLb1EES1C_EEDaS17_S18_EUlS17_E_NS1_11comp_targetILNS1_3genE0ELNS1_11target_archE4294967295ELNS1_3gpuE0ELNS1_3repE0EEENS1_30default_config_static_selectorELNS0_4arch9wavefront6targetE0EEEvT1_: ; @_ZN7rocprim17ROCPRIM_400000_NS6detail17trampoline_kernelINS0_14default_configENS1_25partition_config_selectorILNS1_17partition_subalgoE9EllbEEZZNS1_14partition_implILS5_9ELb0ES3_jPlS8_PNS0_10empty_typeENS0_5tupleIJS8_S9_EEENSB_IJS8_SA_EEENS0_18inequality_wrapperIZN2at6native12_GLOBAL__N_124unique_dim_cuda_templateIN3c108BFloat16EEESt5tupleIJNSF_6TensorESM_SM_EERKSM_lbbbEUlllE0_EEPmJS9_EEE10hipError_tPvRmT3_T4_T5_T6_T7_T9_mT8_P12ihipStream_tbDpT10_ENKUlT_T0_E_clISt17integral_constantIbLb1EES1C_EEDaS17_S18_EUlS17_E_NS1_11comp_targetILNS1_3genE0ELNS1_11target_archE4294967295ELNS1_3gpuE0ELNS1_3repE0EEENS1_30default_config_static_selectorELNS0_4arch9wavefront6targetE0EEEvT1_
; %bb.0:
	s_endpgm
	.section	.rodata,"a",@progbits
	.p2align	6, 0x0
	.amdhsa_kernel _ZN7rocprim17ROCPRIM_400000_NS6detail17trampoline_kernelINS0_14default_configENS1_25partition_config_selectorILNS1_17partition_subalgoE9EllbEEZZNS1_14partition_implILS5_9ELb0ES3_jPlS8_PNS0_10empty_typeENS0_5tupleIJS8_S9_EEENSB_IJS8_SA_EEENS0_18inequality_wrapperIZN2at6native12_GLOBAL__N_124unique_dim_cuda_templateIN3c108BFloat16EEESt5tupleIJNSF_6TensorESM_SM_EERKSM_lbbbEUlllE0_EEPmJS9_EEE10hipError_tPvRmT3_T4_T5_T6_T7_T9_mT8_P12ihipStream_tbDpT10_ENKUlT_T0_E_clISt17integral_constantIbLb1EES1C_EEDaS17_S18_EUlS17_E_NS1_11comp_targetILNS1_3genE0ELNS1_11target_archE4294967295ELNS1_3gpuE0ELNS1_3repE0EEENS1_30default_config_static_selectorELNS0_4arch9wavefront6targetE0EEEvT1_
		.amdhsa_group_segment_fixed_size 0
		.amdhsa_private_segment_fixed_size 0
		.amdhsa_kernarg_size 136
		.amdhsa_user_sgpr_count 2
		.amdhsa_user_sgpr_dispatch_ptr 0
		.amdhsa_user_sgpr_queue_ptr 0
		.amdhsa_user_sgpr_kernarg_segment_ptr 1
		.amdhsa_user_sgpr_dispatch_id 0
		.amdhsa_user_sgpr_kernarg_preload_length 0
		.amdhsa_user_sgpr_kernarg_preload_offset 0
		.amdhsa_user_sgpr_private_segment_size 0
		.amdhsa_wavefront_size32 1
		.amdhsa_uses_dynamic_stack 0
		.amdhsa_enable_private_segment 0
		.amdhsa_system_sgpr_workgroup_id_x 1
		.amdhsa_system_sgpr_workgroup_id_y 0
		.amdhsa_system_sgpr_workgroup_id_z 0
		.amdhsa_system_sgpr_workgroup_info 0
		.amdhsa_system_vgpr_workitem_id 0
		.amdhsa_next_free_vgpr 1
		.amdhsa_next_free_sgpr 1
		.amdhsa_named_barrier_count 0
		.amdhsa_reserve_vcc 0
		.amdhsa_float_round_mode_32 0
		.amdhsa_float_round_mode_16_64 0
		.amdhsa_float_denorm_mode_32 3
		.amdhsa_float_denorm_mode_16_64 3
		.amdhsa_fp16_overflow 0
		.amdhsa_memory_ordered 1
		.amdhsa_forward_progress 1
		.amdhsa_inst_pref_size 1
		.amdhsa_round_robin_scheduling 0
		.amdhsa_exception_fp_ieee_invalid_op 0
		.amdhsa_exception_fp_denorm_src 0
		.amdhsa_exception_fp_ieee_div_zero 0
		.amdhsa_exception_fp_ieee_overflow 0
		.amdhsa_exception_fp_ieee_underflow 0
		.amdhsa_exception_fp_ieee_inexact 0
		.amdhsa_exception_int_div_zero 0
	.end_amdhsa_kernel
	.section	.text._ZN7rocprim17ROCPRIM_400000_NS6detail17trampoline_kernelINS0_14default_configENS1_25partition_config_selectorILNS1_17partition_subalgoE9EllbEEZZNS1_14partition_implILS5_9ELb0ES3_jPlS8_PNS0_10empty_typeENS0_5tupleIJS8_S9_EEENSB_IJS8_SA_EEENS0_18inequality_wrapperIZN2at6native12_GLOBAL__N_124unique_dim_cuda_templateIN3c108BFloat16EEESt5tupleIJNSF_6TensorESM_SM_EERKSM_lbbbEUlllE0_EEPmJS9_EEE10hipError_tPvRmT3_T4_T5_T6_T7_T9_mT8_P12ihipStream_tbDpT10_ENKUlT_T0_E_clISt17integral_constantIbLb1EES1C_EEDaS17_S18_EUlS17_E_NS1_11comp_targetILNS1_3genE0ELNS1_11target_archE4294967295ELNS1_3gpuE0ELNS1_3repE0EEENS1_30default_config_static_selectorELNS0_4arch9wavefront6targetE0EEEvT1_,"axG",@progbits,_ZN7rocprim17ROCPRIM_400000_NS6detail17trampoline_kernelINS0_14default_configENS1_25partition_config_selectorILNS1_17partition_subalgoE9EllbEEZZNS1_14partition_implILS5_9ELb0ES3_jPlS8_PNS0_10empty_typeENS0_5tupleIJS8_S9_EEENSB_IJS8_SA_EEENS0_18inequality_wrapperIZN2at6native12_GLOBAL__N_124unique_dim_cuda_templateIN3c108BFloat16EEESt5tupleIJNSF_6TensorESM_SM_EERKSM_lbbbEUlllE0_EEPmJS9_EEE10hipError_tPvRmT3_T4_T5_T6_T7_T9_mT8_P12ihipStream_tbDpT10_ENKUlT_T0_E_clISt17integral_constantIbLb1EES1C_EEDaS17_S18_EUlS17_E_NS1_11comp_targetILNS1_3genE0ELNS1_11target_archE4294967295ELNS1_3gpuE0ELNS1_3repE0EEENS1_30default_config_static_selectorELNS0_4arch9wavefront6targetE0EEEvT1_,comdat
.Lfunc_end1214:
	.size	_ZN7rocprim17ROCPRIM_400000_NS6detail17trampoline_kernelINS0_14default_configENS1_25partition_config_selectorILNS1_17partition_subalgoE9EllbEEZZNS1_14partition_implILS5_9ELb0ES3_jPlS8_PNS0_10empty_typeENS0_5tupleIJS8_S9_EEENSB_IJS8_SA_EEENS0_18inequality_wrapperIZN2at6native12_GLOBAL__N_124unique_dim_cuda_templateIN3c108BFloat16EEESt5tupleIJNSF_6TensorESM_SM_EERKSM_lbbbEUlllE0_EEPmJS9_EEE10hipError_tPvRmT3_T4_T5_T6_T7_T9_mT8_P12ihipStream_tbDpT10_ENKUlT_T0_E_clISt17integral_constantIbLb1EES1C_EEDaS17_S18_EUlS17_E_NS1_11comp_targetILNS1_3genE0ELNS1_11target_archE4294967295ELNS1_3gpuE0ELNS1_3repE0EEENS1_30default_config_static_selectorELNS0_4arch9wavefront6targetE0EEEvT1_, .Lfunc_end1214-_ZN7rocprim17ROCPRIM_400000_NS6detail17trampoline_kernelINS0_14default_configENS1_25partition_config_selectorILNS1_17partition_subalgoE9EllbEEZZNS1_14partition_implILS5_9ELb0ES3_jPlS8_PNS0_10empty_typeENS0_5tupleIJS8_S9_EEENSB_IJS8_SA_EEENS0_18inequality_wrapperIZN2at6native12_GLOBAL__N_124unique_dim_cuda_templateIN3c108BFloat16EEESt5tupleIJNSF_6TensorESM_SM_EERKSM_lbbbEUlllE0_EEPmJS9_EEE10hipError_tPvRmT3_T4_T5_T6_T7_T9_mT8_P12ihipStream_tbDpT10_ENKUlT_T0_E_clISt17integral_constantIbLb1EES1C_EEDaS17_S18_EUlS17_E_NS1_11comp_targetILNS1_3genE0ELNS1_11target_archE4294967295ELNS1_3gpuE0ELNS1_3repE0EEENS1_30default_config_static_selectorELNS0_4arch9wavefront6targetE0EEEvT1_
                                        ; -- End function
	.set _ZN7rocprim17ROCPRIM_400000_NS6detail17trampoline_kernelINS0_14default_configENS1_25partition_config_selectorILNS1_17partition_subalgoE9EllbEEZZNS1_14partition_implILS5_9ELb0ES3_jPlS8_PNS0_10empty_typeENS0_5tupleIJS8_S9_EEENSB_IJS8_SA_EEENS0_18inequality_wrapperIZN2at6native12_GLOBAL__N_124unique_dim_cuda_templateIN3c108BFloat16EEESt5tupleIJNSF_6TensorESM_SM_EERKSM_lbbbEUlllE0_EEPmJS9_EEE10hipError_tPvRmT3_T4_T5_T6_T7_T9_mT8_P12ihipStream_tbDpT10_ENKUlT_T0_E_clISt17integral_constantIbLb1EES1C_EEDaS17_S18_EUlS17_E_NS1_11comp_targetILNS1_3genE0ELNS1_11target_archE4294967295ELNS1_3gpuE0ELNS1_3repE0EEENS1_30default_config_static_selectorELNS0_4arch9wavefront6targetE0EEEvT1_.num_vgpr, 0
	.set _ZN7rocprim17ROCPRIM_400000_NS6detail17trampoline_kernelINS0_14default_configENS1_25partition_config_selectorILNS1_17partition_subalgoE9EllbEEZZNS1_14partition_implILS5_9ELb0ES3_jPlS8_PNS0_10empty_typeENS0_5tupleIJS8_S9_EEENSB_IJS8_SA_EEENS0_18inequality_wrapperIZN2at6native12_GLOBAL__N_124unique_dim_cuda_templateIN3c108BFloat16EEESt5tupleIJNSF_6TensorESM_SM_EERKSM_lbbbEUlllE0_EEPmJS9_EEE10hipError_tPvRmT3_T4_T5_T6_T7_T9_mT8_P12ihipStream_tbDpT10_ENKUlT_T0_E_clISt17integral_constantIbLb1EES1C_EEDaS17_S18_EUlS17_E_NS1_11comp_targetILNS1_3genE0ELNS1_11target_archE4294967295ELNS1_3gpuE0ELNS1_3repE0EEENS1_30default_config_static_selectorELNS0_4arch9wavefront6targetE0EEEvT1_.num_agpr, 0
	.set _ZN7rocprim17ROCPRIM_400000_NS6detail17trampoline_kernelINS0_14default_configENS1_25partition_config_selectorILNS1_17partition_subalgoE9EllbEEZZNS1_14partition_implILS5_9ELb0ES3_jPlS8_PNS0_10empty_typeENS0_5tupleIJS8_S9_EEENSB_IJS8_SA_EEENS0_18inequality_wrapperIZN2at6native12_GLOBAL__N_124unique_dim_cuda_templateIN3c108BFloat16EEESt5tupleIJNSF_6TensorESM_SM_EERKSM_lbbbEUlllE0_EEPmJS9_EEE10hipError_tPvRmT3_T4_T5_T6_T7_T9_mT8_P12ihipStream_tbDpT10_ENKUlT_T0_E_clISt17integral_constantIbLb1EES1C_EEDaS17_S18_EUlS17_E_NS1_11comp_targetILNS1_3genE0ELNS1_11target_archE4294967295ELNS1_3gpuE0ELNS1_3repE0EEENS1_30default_config_static_selectorELNS0_4arch9wavefront6targetE0EEEvT1_.numbered_sgpr, 0
	.set _ZN7rocprim17ROCPRIM_400000_NS6detail17trampoline_kernelINS0_14default_configENS1_25partition_config_selectorILNS1_17partition_subalgoE9EllbEEZZNS1_14partition_implILS5_9ELb0ES3_jPlS8_PNS0_10empty_typeENS0_5tupleIJS8_S9_EEENSB_IJS8_SA_EEENS0_18inequality_wrapperIZN2at6native12_GLOBAL__N_124unique_dim_cuda_templateIN3c108BFloat16EEESt5tupleIJNSF_6TensorESM_SM_EERKSM_lbbbEUlllE0_EEPmJS9_EEE10hipError_tPvRmT3_T4_T5_T6_T7_T9_mT8_P12ihipStream_tbDpT10_ENKUlT_T0_E_clISt17integral_constantIbLb1EES1C_EEDaS17_S18_EUlS17_E_NS1_11comp_targetILNS1_3genE0ELNS1_11target_archE4294967295ELNS1_3gpuE0ELNS1_3repE0EEENS1_30default_config_static_selectorELNS0_4arch9wavefront6targetE0EEEvT1_.num_named_barrier, 0
	.set _ZN7rocprim17ROCPRIM_400000_NS6detail17trampoline_kernelINS0_14default_configENS1_25partition_config_selectorILNS1_17partition_subalgoE9EllbEEZZNS1_14partition_implILS5_9ELb0ES3_jPlS8_PNS0_10empty_typeENS0_5tupleIJS8_S9_EEENSB_IJS8_SA_EEENS0_18inequality_wrapperIZN2at6native12_GLOBAL__N_124unique_dim_cuda_templateIN3c108BFloat16EEESt5tupleIJNSF_6TensorESM_SM_EERKSM_lbbbEUlllE0_EEPmJS9_EEE10hipError_tPvRmT3_T4_T5_T6_T7_T9_mT8_P12ihipStream_tbDpT10_ENKUlT_T0_E_clISt17integral_constantIbLb1EES1C_EEDaS17_S18_EUlS17_E_NS1_11comp_targetILNS1_3genE0ELNS1_11target_archE4294967295ELNS1_3gpuE0ELNS1_3repE0EEENS1_30default_config_static_selectorELNS0_4arch9wavefront6targetE0EEEvT1_.private_seg_size, 0
	.set _ZN7rocprim17ROCPRIM_400000_NS6detail17trampoline_kernelINS0_14default_configENS1_25partition_config_selectorILNS1_17partition_subalgoE9EllbEEZZNS1_14partition_implILS5_9ELb0ES3_jPlS8_PNS0_10empty_typeENS0_5tupleIJS8_S9_EEENSB_IJS8_SA_EEENS0_18inequality_wrapperIZN2at6native12_GLOBAL__N_124unique_dim_cuda_templateIN3c108BFloat16EEESt5tupleIJNSF_6TensorESM_SM_EERKSM_lbbbEUlllE0_EEPmJS9_EEE10hipError_tPvRmT3_T4_T5_T6_T7_T9_mT8_P12ihipStream_tbDpT10_ENKUlT_T0_E_clISt17integral_constantIbLb1EES1C_EEDaS17_S18_EUlS17_E_NS1_11comp_targetILNS1_3genE0ELNS1_11target_archE4294967295ELNS1_3gpuE0ELNS1_3repE0EEENS1_30default_config_static_selectorELNS0_4arch9wavefront6targetE0EEEvT1_.uses_vcc, 0
	.set _ZN7rocprim17ROCPRIM_400000_NS6detail17trampoline_kernelINS0_14default_configENS1_25partition_config_selectorILNS1_17partition_subalgoE9EllbEEZZNS1_14partition_implILS5_9ELb0ES3_jPlS8_PNS0_10empty_typeENS0_5tupleIJS8_S9_EEENSB_IJS8_SA_EEENS0_18inequality_wrapperIZN2at6native12_GLOBAL__N_124unique_dim_cuda_templateIN3c108BFloat16EEESt5tupleIJNSF_6TensorESM_SM_EERKSM_lbbbEUlllE0_EEPmJS9_EEE10hipError_tPvRmT3_T4_T5_T6_T7_T9_mT8_P12ihipStream_tbDpT10_ENKUlT_T0_E_clISt17integral_constantIbLb1EES1C_EEDaS17_S18_EUlS17_E_NS1_11comp_targetILNS1_3genE0ELNS1_11target_archE4294967295ELNS1_3gpuE0ELNS1_3repE0EEENS1_30default_config_static_selectorELNS0_4arch9wavefront6targetE0EEEvT1_.uses_flat_scratch, 0
	.set _ZN7rocprim17ROCPRIM_400000_NS6detail17trampoline_kernelINS0_14default_configENS1_25partition_config_selectorILNS1_17partition_subalgoE9EllbEEZZNS1_14partition_implILS5_9ELb0ES3_jPlS8_PNS0_10empty_typeENS0_5tupleIJS8_S9_EEENSB_IJS8_SA_EEENS0_18inequality_wrapperIZN2at6native12_GLOBAL__N_124unique_dim_cuda_templateIN3c108BFloat16EEESt5tupleIJNSF_6TensorESM_SM_EERKSM_lbbbEUlllE0_EEPmJS9_EEE10hipError_tPvRmT3_T4_T5_T6_T7_T9_mT8_P12ihipStream_tbDpT10_ENKUlT_T0_E_clISt17integral_constantIbLb1EES1C_EEDaS17_S18_EUlS17_E_NS1_11comp_targetILNS1_3genE0ELNS1_11target_archE4294967295ELNS1_3gpuE0ELNS1_3repE0EEENS1_30default_config_static_selectorELNS0_4arch9wavefront6targetE0EEEvT1_.has_dyn_sized_stack, 0
	.set _ZN7rocprim17ROCPRIM_400000_NS6detail17trampoline_kernelINS0_14default_configENS1_25partition_config_selectorILNS1_17partition_subalgoE9EllbEEZZNS1_14partition_implILS5_9ELb0ES3_jPlS8_PNS0_10empty_typeENS0_5tupleIJS8_S9_EEENSB_IJS8_SA_EEENS0_18inequality_wrapperIZN2at6native12_GLOBAL__N_124unique_dim_cuda_templateIN3c108BFloat16EEESt5tupleIJNSF_6TensorESM_SM_EERKSM_lbbbEUlllE0_EEPmJS9_EEE10hipError_tPvRmT3_T4_T5_T6_T7_T9_mT8_P12ihipStream_tbDpT10_ENKUlT_T0_E_clISt17integral_constantIbLb1EES1C_EEDaS17_S18_EUlS17_E_NS1_11comp_targetILNS1_3genE0ELNS1_11target_archE4294967295ELNS1_3gpuE0ELNS1_3repE0EEENS1_30default_config_static_selectorELNS0_4arch9wavefront6targetE0EEEvT1_.has_recursion, 0
	.set _ZN7rocprim17ROCPRIM_400000_NS6detail17trampoline_kernelINS0_14default_configENS1_25partition_config_selectorILNS1_17partition_subalgoE9EllbEEZZNS1_14partition_implILS5_9ELb0ES3_jPlS8_PNS0_10empty_typeENS0_5tupleIJS8_S9_EEENSB_IJS8_SA_EEENS0_18inequality_wrapperIZN2at6native12_GLOBAL__N_124unique_dim_cuda_templateIN3c108BFloat16EEESt5tupleIJNSF_6TensorESM_SM_EERKSM_lbbbEUlllE0_EEPmJS9_EEE10hipError_tPvRmT3_T4_T5_T6_T7_T9_mT8_P12ihipStream_tbDpT10_ENKUlT_T0_E_clISt17integral_constantIbLb1EES1C_EEDaS17_S18_EUlS17_E_NS1_11comp_targetILNS1_3genE0ELNS1_11target_archE4294967295ELNS1_3gpuE0ELNS1_3repE0EEENS1_30default_config_static_selectorELNS0_4arch9wavefront6targetE0EEEvT1_.has_indirect_call, 0
	.section	.AMDGPU.csdata,"",@progbits
; Kernel info:
; codeLenInByte = 4
; TotalNumSgprs: 0
; NumVgprs: 0
; ScratchSize: 0
; MemoryBound: 0
; FloatMode: 240
; IeeeMode: 1
; LDSByteSize: 0 bytes/workgroup (compile time only)
; SGPRBlocks: 0
; VGPRBlocks: 0
; NumSGPRsForWavesPerEU: 1
; NumVGPRsForWavesPerEU: 1
; NamedBarCnt: 0
; Occupancy: 16
; WaveLimiterHint : 0
; COMPUTE_PGM_RSRC2:SCRATCH_EN: 0
; COMPUTE_PGM_RSRC2:USER_SGPR: 2
; COMPUTE_PGM_RSRC2:TRAP_HANDLER: 0
; COMPUTE_PGM_RSRC2:TGID_X_EN: 1
; COMPUTE_PGM_RSRC2:TGID_Y_EN: 0
; COMPUTE_PGM_RSRC2:TGID_Z_EN: 0
; COMPUTE_PGM_RSRC2:TIDIG_COMP_CNT: 0
	.section	.text._ZN7rocprim17ROCPRIM_400000_NS6detail17trampoline_kernelINS0_14default_configENS1_25partition_config_selectorILNS1_17partition_subalgoE9EllbEEZZNS1_14partition_implILS5_9ELb0ES3_jPlS8_PNS0_10empty_typeENS0_5tupleIJS8_S9_EEENSB_IJS8_SA_EEENS0_18inequality_wrapperIZN2at6native12_GLOBAL__N_124unique_dim_cuda_templateIN3c108BFloat16EEESt5tupleIJNSF_6TensorESM_SM_EERKSM_lbbbEUlllE0_EEPmJS9_EEE10hipError_tPvRmT3_T4_T5_T6_T7_T9_mT8_P12ihipStream_tbDpT10_ENKUlT_T0_E_clISt17integral_constantIbLb1EES1C_EEDaS17_S18_EUlS17_E_NS1_11comp_targetILNS1_3genE5ELNS1_11target_archE942ELNS1_3gpuE9ELNS1_3repE0EEENS1_30default_config_static_selectorELNS0_4arch9wavefront6targetE0EEEvT1_,"axG",@progbits,_ZN7rocprim17ROCPRIM_400000_NS6detail17trampoline_kernelINS0_14default_configENS1_25partition_config_selectorILNS1_17partition_subalgoE9EllbEEZZNS1_14partition_implILS5_9ELb0ES3_jPlS8_PNS0_10empty_typeENS0_5tupleIJS8_S9_EEENSB_IJS8_SA_EEENS0_18inequality_wrapperIZN2at6native12_GLOBAL__N_124unique_dim_cuda_templateIN3c108BFloat16EEESt5tupleIJNSF_6TensorESM_SM_EERKSM_lbbbEUlllE0_EEPmJS9_EEE10hipError_tPvRmT3_T4_T5_T6_T7_T9_mT8_P12ihipStream_tbDpT10_ENKUlT_T0_E_clISt17integral_constantIbLb1EES1C_EEDaS17_S18_EUlS17_E_NS1_11comp_targetILNS1_3genE5ELNS1_11target_archE942ELNS1_3gpuE9ELNS1_3repE0EEENS1_30default_config_static_selectorELNS0_4arch9wavefront6targetE0EEEvT1_,comdat
	.globl	_ZN7rocprim17ROCPRIM_400000_NS6detail17trampoline_kernelINS0_14default_configENS1_25partition_config_selectorILNS1_17partition_subalgoE9EllbEEZZNS1_14partition_implILS5_9ELb0ES3_jPlS8_PNS0_10empty_typeENS0_5tupleIJS8_S9_EEENSB_IJS8_SA_EEENS0_18inequality_wrapperIZN2at6native12_GLOBAL__N_124unique_dim_cuda_templateIN3c108BFloat16EEESt5tupleIJNSF_6TensorESM_SM_EERKSM_lbbbEUlllE0_EEPmJS9_EEE10hipError_tPvRmT3_T4_T5_T6_T7_T9_mT8_P12ihipStream_tbDpT10_ENKUlT_T0_E_clISt17integral_constantIbLb1EES1C_EEDaS17_S18_EUlS17_E_NS1_11comp_targetILNS1_3genE5ELNS1_11target_archE942ELNS1_3gpuE9ELNS1_3repE0EEENS1_30default_config_static_selectorELNS0_4arch9wavefront6targetE0EEEvT1_ ; -- Begin function _ZN7rocprim17ROCPRIM_400000_NS6detail17trampoline_kernelINS0_14default_configENS1_25partition_config_selectorILNS1_17partition_subalgoE9EllbEEZZNS1_14partition_implILS5_9ELb0ES3_jPlS8_PNS0_10empty_typeENS0_5tupleIJS8_S9_EEENSB_IJS8_SA_EEENS0_18inequality_wrapperIZN2at6native12_GLOBAL__N_124unique_dim_cuda_templateIN3c108BFloat16EEESt5tupleIJNSF_6TensorESM_SM_EERKSM_lbbbEUlllE0_EEPmJS9_EEE10hipError_tPvRmT3_T4_T5_T6_T7_T9_mT8_P12ihipStream_tbDpT10_ENKUlT_T0_E_clISt17integral_constantIbLb1EES1C_EEDaS17_S18_EUlS17_E_NS1_11comp_targetILNS1_3genE5ELNS1_11target_archE942ELNS1_3gpuE9ELNS1_3repE0EEENS1_30default_config_static_selectorELNS0_4arch9wavefront6targetE0EEEvT1_
	.p2align	8
	.type	_ZN7rocprim17ROCPRIM_400000_NS6detail17trampoline_kernelINS0_14default_configENS1_25partition_config_selectorILNS1_17partition_subalgoE9EllbEEZZNS1_14partition_implILS5_9ELb0ES3_jPlS8_PNS0_10empty_typeENS0_5tupleIJS8_S9_EEENSB_IJS8_SA_EEENS0_18inequality_wrapperIZN2at6native12_GLOBAL__N_124unique_dim_cuda_templateIN3c108BFloat16EEESt5tupleIJNSF_6TensorESM_SM_EERKSM_lbbbEUlllE0_EEPmJS9_EEE10hipError_tPvRmT3_T4_T5_T6_T7_T9_mT8_P12ihipStream_tbDpT10_ENKUlT_T0_E_clISt17integral_constantIbLb1EES1C_EEDaS17_S18_EUlS17_E_NS1_11comp_targetILNS1_3genE5ELNS1_11target_archE942ELNS1_3gpuE9ELNS1_3repE0EEENS1_30default_config_static_selectorELNS0_4arch9wavefront6targetE0EEEvT1_,@function
_ZN7rocprim17ROCPRIM_400000_NS6detail17trampoline_kernelINS0_14default_configENS1_25partition_config_selectorILNS1_17partition_subalgoE9EllbEEZZNS1_14partition_implILS5_9ELb0ES3_jPlS8_PNS0_10empty_typeENS0_5tupleIJS8_S9_EEENSB_IJS8_SA_EEENS0_18inequality_wrapperIZN2at6native12_GLOBAL__N_124unique_dim_cuda_templateIN3c108BFloat16EEESt5tupleIJNSF_6TensorESM_SM_EERKSM_lbbbEUlllE0_EEPmJS9_EEE10hipError_tPvRmT3_T4_T5_T6_T7_T9_mT8_P12ihipStream_tbDpT10_ENKUlT_T0_E_clISt17integral_constantIbLb1EES1C_EEDaS17_S18_EUlS17_E_NS1_11comp_targetILNS1_3genE5ELNS1_11target_archE942ELNS1_3gpuE9ELNS1_3repE0EEENS1_30default_config_static_selectorELNS0_4arch9wavefront6targetE0EEEvT1_: ; @_ZN7rocprim17ROCPRIM_400000_NS6detail17trampoline_kernelINS0_14default_configENS1_25partition_config_selectorILNS1_17partition_subalgoE9EllbEEZZNS1_14partition_implILS5_9ELb0ES3_jPlS8_PNS0_10empty_typeENS0_5tupleIJS8_S9_EEENSB_IJS8_SA_EEENS0_18inequality_wrapperIZN2at6native12_GLOBAL__N_124unique_dim_cuda_templateIN3c108BFloat16EEESt5tupleIJNSF_6TensorESM_SM_EERKSM_lbbbEUlllE0_EEPmJS9_EEE10hipError_tPvRmT3_T4_T5_T6_T7_T9_mT8_P12ihipStream_tbDpT10_ENKUlT_T0_E_clISt17integral_constantIbLb1EES1C_EEDaS17_S18_EUlS17_E_NS1_11comp_targetILNS1_3genE5ELNS1_11target_archE942ELNS1_3gpuE9ELNS1_3repE0EEENS1_30default_config_static_selectorELNS0_4arch9wavefront6targetE0EEEvT1_
; %bb.0:
	.section	.rodata,"a",@progbits
	.p2align	6, 0x0
	.amdhsa_kernel _ZN7rocprim17ROCPRIM_400000_NS6detail17trampoline_kernelINS0_14default_configENS1_25partition_config_selectorILNS1_17partition_subalgoE9EllbEEZZNS1_14partition_implILS5_9ELb0ES3_jPlS8_PNS0_10empty_typeENS0_5tupleIJS8_S9_EEENSB_IJS8_SA_EEENS0_18inequality_wrapperIZN2at6native12_GLOBAL__N_124unique_dim_cuda_templateIN3c108BFloat16EEESt5tupleIJNSF_6TensorESM_SM_EERKSM_lbbbEUlllE0_EEPmJS9_EEE10hipError_tPvRmT3_T4_T5_T6_T7_T9_mT8_P12ihipStream_tbDpT10_ENKUlT_T0_E_clISt17integral_constantIbLb1EES1C_EEDaS17_S18_EUlS17_E_NS1_11comp_targetILNS1_3genE5ELNS1_11target_archE942ELNS1_3gpuE9ELNS1_3repE0EEENS1_30default_config_static_selectorELNS0_4arch9wavefront6targetE0EEEvT1_
		.amdhsa_group_segment_fixed_size 0
		.amdhsa_private_segment_fixed_size 0
		.amdhsa_kernarg_size 136
		.amdhsa_user_sgpr_count 2
		.amdhsa_user_sgpr_dispatch_ptr 0
		.amdhsa_user_sgpr_queue_ptr 0
		.amdhsa_user_sgpr_kernarg_segment_ptr 1
		.amdhsa_user_sgpr_dispatch_id 0
		.amdhsa_user_sgpr_kernarg_preload_length 0
		.amdhsa_user_sgpr_kernarg_preload_offset 0
		.amdhsa_user_sgpr_private_segment_size 0
		.amdhsa_wavefront_size32 1
		.amdhsa_uses_dynamic_stack 0
		.amdhsa_enable_private_segment 0
		.amdhsa_system_sgpr_workgroup_id_x 1
		.amdhsa_system_sgpr_workgroup_id_y 0
		.amdhsa_system_sgpr_workgroup_id_z 0
		.amdhsa_system_sgpr_workgroup_info 0
		.amdhsa_system_vgpr_workitem_id 0
		.amdhsa_next_free_vgpr 1
		.amdhsa_next_free_sgpr 1
		.amdhsa_named_barrier_count 0
		.amdhsa_reserve_vcc 0
		.amdhsa_float_round_mode_32 0
		.amdhsa_float_round_mode_16_64 0
		.amdhsa_float_denorm_mode_32 3
		.amdhsa_float_denorm_mode_16_64 3
		.amdhsa_fp16_overflow 0
		.amdhsa_memory_ordered 1
		.amdhsa_forward_progress 1
		.amdhsa_inst_pref_size 0
		.amdhsa_round_robin_scheduling 0
		.amdhsa_exception_fp_ieee_invalid_op 0
		.amdhsa_exception_fp_denorm_src 0
		.amdhsa_exception_fp_ieee_div_zero 0
		.amdhsa_exception_fp_ieee_overflow 0
		.amdhsa_exception_fp_ieee_underflow 0
		.amdhsa_exception_fp_ieee_inexact 0
		.amdhsa_exception_int_div_zero 0
	.end_amdhsa_kernel
	.section	.text._ZN7rocprim17ROCPRIM_400000_NS6detail17trampoline_kernelINS0_14default_configENS1_25partition_config_selectorILNS1_17partition_subalgoE9EllbEEZZNS1_14partition_implILS5_9ELb0ES3_jPlS8_PNS0_10empty_typeENS0_5tupleIJS8_S9_EEENSB_IJS8_SA_EEENS0_18inequality_wrapperIZN2at6native12_GLOBAL__N_124unique_dim_cuda_templateIN3c108BFloat16EEESt5tupleIJNSF_6TensorESM_SM_EERKSM_lbbbEUlllE0_EEPmJS9_EEE10hipError_tPvRmT3_T4_T5_T6_T7_T9_mT8_P12ihipStream_tbDpT10_ENKUlT_T0_E_clISt17integral_constantIbLb1EES1C_EEDaS17_S18_EUlS17_E_NS1_11comp_targetILNS1_3genE5ELNS1_11target_archE942ELNS1_3gpuE9ELNS1_3repE0EEENS1_30default_config_static_selectorELNS0_4arch9wavefront6targetE0EEEvT1_,"axG",@progbits,_ZN7rocprim17ROCPRIM_400000_NS6detail17trampoline_kernelINS0_14default_configENS1_25partition_config_selectorILNS1_17partition_subalgoE9EllbEEZZNS1_14partition_implILS5_9ELb0ES3_jPlS8_PNS0_10empty_typeENS0_5tupleIJS8_S9_EEENSB_IJS8_SA_EEENS0_18inequality_wrapperIZN2at6native12_GLOBAL__N_124unique_dim_cuda_templateIN3c108BFloat16EEESt5tupleIJNSF_6TensorESM_SM_EERKSM_lbbbEUlllE0_EEPmJS9_EEE10hipError_tPvRmT3_T4_T5_T6_T7_T9_mT8_P12ihipStream_tbDpT10_ENKUlT_T0_E_clISt17integral_constantIbLb1EES1C_EEDaS17_S18_EUlS17_E_NS1_11comp_targetILNS1_3genE5ELNS1_11target_archE942ELNS1_3gpuE9ELNS1_3repE0EEENS1_30default_config_static_selectorELNS0_4arch9wavefront6targetE0EEEvT1_,comdat
.Lfunc_end1215:
	.size	_ZN7rocprim17ROCPRIM_400000_NS6detail17trampoline_kernelINS0_14default_configENS1_25partition_config_selectorILNS1_17partition_subalgoE9EllbEEZZNS1_14partition_implILS5_9ELb0ES3_jPlS8_PNS0_10empty_typeENS0_5tupleIJS8_S9_EEENSB_IJS8_SA_EEENS0_18inequality_wrapperIZN2at6native12_GLOBAL__N_124unique_dim_cuda_templateIN3c108BFloat16EEESt5tupleIJNSF_6TensorESM_SM_EERKSM_lbbbEUlllE0_EEPmJS9_EEE10hipError_tPvRmT3_T4_T5_T6_T7_T9_mT8_P12ihipStream_tbDpT10_ENKUlT_T0_E_clISt17integral_constantIbLb1EES1C_EEDaS17_S18_EUlS17_E_NS1_11comp_targetILNS1_3genE5ELNS1_11target_archE942ELNS1_3gpuE9ELNS1_3repE0EEENS1_30default_config_static_selectorELNS0_4arch9wavefront6targetE0EEEvT1_, .Lfunc_end1215-_ZN7rocprim17ROCPRIM_400000_NS6detail17trampoline_kernelINS0_14default_configENS1_25partition_config_selectorILNS1_17partition_subalgoE9EllbEEZZNS1_14partition_implILS5_9ELb0ES3_jPlS8_PNS0_10empty_typeENS0_5tupleIJS8_S9_EEENSB_IJS8_SA_EEENS0_18inequality_wrapperIZN2at6native12_GLOBAL__N_124unique_dim_cuda_templateIN3c108BFloat16EEESt5tupleIJNSF_6TensorESM_SM_EERKSM_lbbbEUlllE0_EEPmJS9_EEE10hipError_tPvRmT3_T4_T5_T6_T7_T9_mT8_P12ihipStream_tbDpT10_ENKUlT_T0_E_clISt17integral_constantIbLb1EES1C_EEDaS17_S18_EUlS17_E_NS1_11comp_targetILNS1_3genE5ELNS1_11target_archE942ELNS1_3gpuE9ELNS1_3repE0EEENS1_30default_config_static_selectorELNS0_4arch9wavefront6targetE0EEEvT1_
                                        ; -- End function
	.set _ZN7rocprim17ROCPRIM_400000_NS6detail17trampoline_kernelINS0_14default_configENS1_25partition_config_selectorILNS1_17partition_subalgoE9EllbEEZZNS1_14partition_implILS5_9ELb0ES3_jPlS8_PNS0_10empty_typeENS0_5tupleIJS8_S9_EEENSB_IJS8_SA_EEENS0_18inequality_wrapperIZN2at6native12_GLOBAL__N_124unique_dim_cuda_templateIN3c108BFloat16EEESt5tupleIJNSF_6TensorESM_SM_EERKSM_lbbbEUlllE0_EEPmJS9_EEE10hipError_tPvRmT3_T4_T5_T6_T7_T9_mT8_P12ihipStream_tbDpT10_ENKUlT_T0_E_clISt17integral_constantIbLb1EES1C_EEDaS17_S18_EUlS17_E_NS1_11comp_targetILNS1_3genE5ELNS1_11target_archE942ELNS1_3gpuE9ELNS1_3repE0EEENS1_30default_config_static_selectorELNS0_4arch9wavefront6targetE0EEEvT1_.num_vgpr, 0
	.set _ZN7rocprim17ROCPRIM_400000_NS6detail17trampoline_kernelINS0_14default_configENS1_25partition_config_selectorILNS1_17partition_subalgoE9EllbEEZZNS1_14partition_implILS5_9ELb0ES3_jPlS8_PNS0_10empty_typeENS0_5tupleIJS8_S9_EEENSB_IJS8_SA_EEENS0_18inequality_wrapperIZN2at6native12_GLOBAL__N_124unique_dim_cuda_templateIN3c108BFloat16EEESt5tupleIJNSF_6TensorESM_SM_EERKSM_lbbbEUlllE0_EEPmJS9_EEE10hipError_tPvRmT3_T4_T5_T6_T7_T9_mT8_P12ihipStream_tbDpT10_ENKUlT_T0_E_clISt17integral_constantIbLb1EES1C_EEDaS17_S18_EUlS17_E_NS1_11comp_targetILNS1_3genE5ELNS1_11target_archE942ELNS1_3gpuE9ELNS1_3repE0EEENS1_30default_config_static_selectorELNS0_4arch9wavefront6targetE0EEEvT1_.num_agpr, 0
	.set _ZN7rocprim17ROCPRIM_400000_NS6detail17trampoline_kernelINS0_14default_configENS1_25partition_config_selectorILNS1_17partition_subalgoE9EllbEEZZNS1_14partition_implILS5_9ELb0ES3_jPlS8_PNS0_10empty_typeENS0_5tupleIJS8_S9_EEENSB_IJS8_SA_EEENS0_18inequality_wrapperIZN2at6native12_GLOBAL__N_124unique_dim_cuda_templateIN3c108BFloat16EEESt5tupleIJNSF_6TensorESM_SM_EERKSM_lbbbEUlllE0_EEPmJS9_EEE10hipError_tPvRmT3_T4_T5_T6_T7_T9_mT8_P12ihipStream_tbDpT10_ENKUlT_T0_E_clISt17integral_constantIbLb1EES1C_EEDaS17_S18_EUlS17_E_NS1_11comp_targetILNS1_3genE5ELNS1_11target_archE942ELNS1_3gpuE9ELNS1_3repE0EEENS1_30default_config_static_selectorELNS0_4arch9wavefront6targetE0EEEvT1_.numbered_sgpr, 0
	.set _ZN7rocprim17ROCPRIM_400000_NS6detail17trampoline_kernelINS0_14default_configENS1_25partition_config_selectorILNS1_17partition_subalgoE9EllbEEZZNS1_14partition_implILS5_9ELb0ES3_jPlS8_PNS0_10empty_typeENS0_5tupleIJS8_S9_EEENSB_IJS8_SA_EEENS0_18inequality_wrapperIZN2at6native12_GLOBAL__N_124unique_dim_cuda_templateIN3c108BFloat16EEESt5tupleIJNSF_6TensorESM_SM_EERKSM_lbbbEUlllE0_EEPmJS9_EEE10hipError_tPvRmT3_T4_T5_T6_T7_T9_mT8_P12ihipStream_tbDpT10_ENKUlT_T0_E_clISt17integral_constantIbLb1EES1C_EEDaS17_S18_EUlS17_E_NS1_11comp_targetILNS1_3genE5ELNS1_11target_archE942ELNS1_3gpuE9ELNS1_3repE0EEENS1_30default_config_static_selectorELNS0_4arch9wavefront6targetE0EEEvT1_.num_named_barrier, 0
	.set _ZN7rocprim17ROCPRIM_400000_NS6detail17trampoline_kernelINS0_14default_configENS1_25partition_config_selectorILNS1_17partition_subalgoE9EllbEEZZNS1_14partition_implILS5_9ELb0ES3_jPlS8_PNS0_10empty_typeENS0_5tupleIJS8_S9_EEENSB_IJS8_SA_EEENS0_18inequality_wrapperIZN2at6native12_GLOBAL__N_124unique_dim_cuda_templateIN3c108BFloat16EEESt5tupleIJNSF_6TensorESM_SM_EERKSM_lbbbEUlllE0_EEPmJS9_EEE10hipError_tPvRmT3_T4_T5_T6_T7_T9_mT8_P12ihipStream_tbDpT10_ENKUlT_T0_E_clISt17integral_constantIbLb1EES1C_EEDaS17_S18_EUlS17_E_NS1_11comp_targetILNS1_3genE5ELNS1_11target_archE942ELNS1_3gpuE9ELNS1_3repE0EEENS1_30default_config_static_selectorELNS0_4arch9wavefront6targetE0EEEvT1_.private_seg_size, 0
	.set _ZN7rocprim17ROCPRIM_400000_NS6detail17trampoline_kernelINS0_14default_configENS1_25partition_config_selectorILNS1_17partition_subalgoE9EllbEEZZNS1_14partition_implILS5_9ELb0ES3_jPlS8_PNS0_10empty_typeENS0_5tupleIJS8_S9_EEENSB_IJS8_SA_EEENS0_18inequality_wrapperIZN2at6native12_GLOBAL__N_124unique_dim_cuda_templateIN3c108BFloat16EEESt5tupleIJNSF_6TensorESM_SM_EERKSM_lbbbEUlllE0_EEPmJS9_EEE10hipError_tPvRmT3_T4_T5_T6_T7_T9_mT8_P12ihipStream_tbDpT10_ENKUlT_T0_E_clISt17integral_constantIbLb1EES1C_EEDaS17_S18_EUlS17_E_NS1_11comp_targetILNS1_3genE5ELNS1_11target_archE942ELNS1_3gpuE9ELNS1_3repE0EEENS1_30default_config_static_selectorELNS0_4arch9wavefront6targetE0EEEvT1_.uses_vcc, 0
	.set _ZN7rocprim17ROCPRIM_400000_NS6detail17trampoline_kernelINS0_14default_configENS1_25partition_config_selectorILNS1_17partition_subalgoE9EllbEEZZNS1_14partition_implILS5_9ELb0ES3_jPlS8_PNS0_10empty_typeENS0_5tupleIJS8_S9_EEENSB_IJS8_SA_EEENS0_18inequality_wrapperIZN2at6native12_GLOBAL__N_124unique_dim_cuda_templateIN3c108BFloat16EEESt5tupleIJNSF_6TensorESM_SM_EERKSM_lbbbEUlllE0_EEPmJS9_EEE10hipError_tPvRmT3_T4_T5_T6_T7_T9_mT8_P12ihipStream_tbDpT10_ENKUlT_T0_E_clISt17integral_constantIbLb1EES1C_EEDaS17_S18_EUlS17_E_NS1_11comp_targetILNS1_3genE5ELNS1_11target_archE942ELNS1_3gpuE9ELNS1_3repE0EEENS1_30default_config_static_selectorELNS0_4arch9wavefront6targetE0EEEvT1_.uses_flat_scratch, 0
	.set _ZN7rocprim17ROCPRIM_400000_NS6detail17trampoline_kernelINS0_14default_configENS1_25partition_config_selectorILNS1_17partition_subalgoE9EllbEEZZNS1_14partition_implILS5_9ELb0ES3_jPlS8_PNS0_10empty_typeENS0_5tupleIJS8_S9_EEENSB_IJS8_SA_EEENS0_18inequality_wrapperIZN2at6native12_GLOBAL__N_124unique_dim_cuda_templateIN3c108BFloat16EEESt5tupleIJNSF_6TensorESM_SM_EERKSM_lbbbEUlllE0_EEPmJS9_EEE10hipError_tPvRmT3_T4_T5_T6_T7_T9_mT8_P12ihipStream_tbDpT10_ENKUlT_T0_E_clISt17integral_constantIbLb1EES1C_EEDaS17_S18_EUlS17_E_NS1_11comp_targetILNS1_3genE5ELNS1_11target_archE942ELNS1_3gpuE9ELNS1_3repE0EEENS1_30default_config_static_selectorELNS0_4arch9wavefront6targetE0EEEvT1_.has_dyn_sized_stack, 0
	.set _ZN7rocprim17ROCPRIM_400000_NS6detail17trampoline_kernelINS0_14default_configENS1_25partition_config_selectorILNS1_17partition_subalgoE9EllbEEZZNS1_14partition_implILS5_9ELb0ES3_jPlS8_PNS0_10empty_typeENS0_5tupleIJS8_S9_EEENSB_IJS8_SA_EEENS0_18inequality_wrapperIZN2at6native12_GLOBAL__N_124unique_dim_cuda_templateIN3c108BFloat16EEESt5tupleIJNSF_6TensorESM_SM_EERKSM_lbbbEUlllE0_EEPmJS9_EEE10hipError_tPvRmT3_T4_T5_T6_T7_T9_mT8_P12ihipStream_tbDpT10_ENKUlT_T0_E_clISt17integral_constantIbLb1EES1C_EEDaS17_S18_EUlS17_E_NS1_11comp_targetILNS1_3genE5ELNS1_11target_archE942ELNS1_3gpuE9ELNS1_3repE0EEENS1_30default_config_static_selectorELNS0_4arch9wavefront6targetE0EEEvT1_.has_recursion, 0
	.set _ZN7rocprim17ROCPRIM_400000_NS6detail17trampoline_kernelINS0_14default_configENS1_25partition_config_selectorILNS1_17partition_subalgoE9EllbEEZZNS1_14partition_implILS5_9ELb0ES3_jPlS8_PNS0_10empty_typeENS0_5tupleIJS8_S9_EEENSB_IJS8_SA_EEENS0_18inequality_wrapperIZN2at6native12_GLOBAL__N_124unique_dim_cuda_templateIN3c108BFloat16EEESt5tupleIJNSF_6TensorESM_SM_EERKSM_lbbbEUlllE0_EEPmJS9_EEE10hipError_tPvRmT3_T4_T5_T6_T7_T9_mT8_P12ihipStream_tbDpT10_ENKUlT_T0_E_clISt17integral_constantIbLb1EES1C_EEDaS17_S18_EUlS17_E_NS1_11comp_targetILNS1_3genE5ELNS1_11target_archE942ELNS1_3gpuE9ELNS1_3repE0EEENS1_30default_config_static_selectorELNS0_4arch9wavefront6targetE0EEEvT1_.has_indirect_call, 0
	.section	.AMDGPU.csdata,"",@progbits
; Kernel info:
; codeLenInByte = 0
; TotalNumSgprs: 0
; NumVgprs: 0
; ScratchSize: 0
; MemoryBound: 0
; FloatMode: 240
; IeeeMode: 1
; LDSByteSize: 0 bytes/workgroup (compile time only)
; SGPRBlocks: 0
; VGPRBlocks: 0
; NumSGPRsForWavesPerEU: 1
; NumVGPRsForWavesPerEU: 1
; NamedBarCnt: 0
; Occupancy: 16
; WaveLimiterHint : 0
; COMPUTE_PGM_RSRC2:SCRATCH_EN: 0
; COMPUTE_PGM_RSRC2:USER_SGPR: 2
; COMPUTE_PGM_RSRC2:TRAP_HANDLER: 0
; COMPUTE_PGM_RSRC2:TGID_X_EN: 1
; COMPUTE_PGM_RSRC2:TGID_Y_EN: 0
; COMPUTE_PGM_RSRC2:TGID_Z_EN: 0
; COMPUTE_PGM_RSRC2:TIDIG_COMP_CNT: 0
	.section	.text._ZN7rocprim17ROCPRIM_400000_NS6detail17trampoline_kernelINS0_14default_configENS1_25partition_config_selectorILNS1_17partition_subalgoE9EllbEEZZNS1_14partition_implILS5_9ELb0ES3_jPlS8_PNS0_10empty_typeENS0_5tupleIJS8_S9_EEENSB_IJS8_SA_EEENS0_18inequality_wrapperIZN2at6native12_GLOBAL__N_124unique_dim_cuda_templateIN3c108BFloat16EEESt5tupleIJNSF_6TensorESM_SM_EERKSM_lbbbEUlllE0_EEPmJS9_EEE10hipError_tPvRmT3_T4_T5_T6_T7_T9_mT8_P12ihipStream_tbDpT10_ENKUlT_T0_E_clISt17integral_constantIbLb1EES1C_EEDaS17_S18_EUlS17_E_NS1_11comp_targetILNS1_3genE4ELNS1_11target_archE910ELNS1_3gpuE8ELNS1_3repE0EEENS1_30default_config_static_selectorELNS0_4arch9wavefront6targetE0EEEvT1_,"axG",@progbits,_ZN7rocprim17ROCPRIM_400000_NS6detail17trampoline_kernelINS0_14default_configENS1_25partition_config_selectorILNS1_17partition_subalgoE9EllbEEZZNS1_14partition_implILS5_9ELb0ES3_jPlS8_PNS0_10empty_typeENS0_5tupleIJS8_S9_EEENSB_IJS8_SA_EEENS0_18inequality_wrapperIZN2at6native12_GLOBAL__N_124unique_dim_cuda_templateIN3c108BFloat16EEESt5tupleIJNSF_6TensorESM_SM_EERKSM_lbbbEUlllE0_EEPmJS9_EEE10hipError_tPvRmT3_T4_T5_T6_T7_T9_mT8_P12ihipStream_tbDpT10_ENKUlT_T0_E_clISt17integral_constantIbLb1EES1C_EEDaS17_S18_EUlS17_E_NS1_11comp_targetILNS1_3genE4ELNS1_11target_archE910ELNS1_3gpuE8ELNS1_3repE0EEENS1_30default_config_static_selectorELNS0_4arch9wavefront6targetE0EEEvT1_,comdat
	.globl	_ZN7rocprim17ROCPRIM_400000_NS6detail17trampoline_kernelINS0_14default_configENS1_25partition_config_selectorILNS1_17partition_subalgoE9EllbEEZZNS1_14partition_implILS5_9ELb0ES3_jPlS8_PNS0_10empty_typeENS0_5tupleIJS8_S9_EEENSB_IJS8_SA_EEENS0_18inequality_wrapperIZN2at6native12_GLOBAL__N_124unique_dim_cuda_templateIN3c108BFloat16EEESt5tupleIJNSF_6TensorESM_SM_EERKSM_lbbbEUlllE0_EEPmJS9_EEE10hipError_tPvRmT3_T4_T5_T6_T7_T9_mT8_P12ihipStream_tbDpT10_ENKUlT_T0_E_clISt17integral_constantIbLb1EES1C_EEDaS17_S18_EUlS17_E_NS1_11comp_targetILNS1_3genE4ELNS1_11target_archE910ELNS1_3gpuE8ELNS1_3repE0EEENS1_30default_config_static_selectorELNS0_4arch9wavefront6targetE0EEEvT1_ ; -- Begin function _ZN7rocprim17ROCPRIM_400000_NS6detail17trampoline_kernelINS0_14default_configENS1_25partition_config_selectorILNS1_17partition_subalgoE9EllbEEZZNS1_14partition_implILS5_9ELb0ES3_jPlS8_PNS0_10empty_typeENS0_5tupleIJS8_S9_EEENSB_IJS8_SA_EEENS0_18inequality_wrapperIZN2at6native12_GLOBAL__N_124unique_dim_cuda_templateIN3c108BFloat16EEESt5tupleIJNSF_6TensorESM_SM_EERKSM_lbbbEUlllE0_EEPmJS9_EEE10hipError_tPvRmT3_T4_T5_T6_T7_T9_mT8_P12ihipStream_tbDpT10_ENKUlT_T0_E_clISt17integral_constantIbLb1EES1C_EEDaS17_S18_EUlS17_E_NS1_11comp_targetILNS1_3genE4ELNS1_11target_archE910ELNS1_3gpuE8ELNS1_3repE0EEENS1_30default_config_static_selectorELNS0_4arch9wavefront6targetE0EEEvT1_
	.p2align	8
	.type	_ZN7rocprim17ROCPRIM_400000_NS6detail17trampoline_kernelINS0_14default_configENS1_25partition_config_selectorILNS1_17partition_subalgoE9EllbEEZZNS1_14partition_implILS5_9ELb0ES3_jPlS8_PNS0_10empty_typeENS0_5tupleIJS8_S9_EEENSB_IJS8_SA_EEENS0_18inequality_wrapperIZN2at6native12_GLOBAL__N_124unique_dim_cuda_templateIN3c108BFloat16EEESt5tupleIJNSF_6TensorESM_SM_EERKSM_lbbbEUlllE0_EEPmJS9_EEE10hipError_tPvRmT3_T4_T5_T6_T7_T9_mT8_P12ihipStream_tbDpT10_ENKUlT_T0_E_clISt17integral_constantIbLb1EES1C_EEDaS17_S18_EUlS17_E_NS1_11comp_targetILNS1_3genE4ELNS1_11target_archE910ELNS1_3gpuE8ELNS1_3repE0EEENS1_30default_config_static_selectorELNS0_4arch9wavefront6targetE0EEEvT1_,@function
_ZN7rocprim17ROCPRIM_400000_NS6detail17trampoline_kernelINS0_14default_configENS1_25partition_config_selectorILNS1_17partition_subalgoE9EllbEEZZNS1_14partition_implILS5_9ELb0ES3_jPlS8_PNS0_10empty_typeENS0_5tupleIJS8_S9_EEENSB_IJS8_SA_EEENS0_18inequality_wrapperIZN2at6native12_GLOBAL__N_124unique_dim_cuda_templateIN3c108BFloat16EEESt5tupleIJNSF_6TensorESM_SM_EERKSM_lbbbEUlllE0_EEPmJS9_EEE10hipError_tPvRmT3_T4_T5_T6_T7_T9_mT8_P12ihipStream_tbDpT10_ENKUlT_T0_E_clISt17integral_constantIbLb1EES1C_EEDaS17_S18_EUlS17_E_NS1_11comp_targetILNS1_3genE4ELNS1_11target_archE910ELNS1_3gpuE8ELNS1_3repE0EEENS1_30default_config_static_selectorELNS0_4arch9wavefront6targetE0EEEvT1_: ; @_ZN7rocprim17ROCPRIM_400000_NS6detail17trampoline_kernelINS0_14default_configENS1_25partition_config_selectorILNS1_17partition_subalgoE9EllbEEZZNS1_14partition_implILS5_9ELb0ES3_jPlS8_PNS0_10empty_typeENS0_5tupleIJS8_S9_EEENSB_IJS8_SA_EEENS0_18inequality_wrapperIZN2at6native12_GLOBAL__N_124unique_dim_cuda_templateIN3c108BFloat16EEESt5tupleIJNSF_6TensorESM_SM_EERKSM_lbbbEUlllE0_EEPmJS9_EEE10hipError_tPvRmT3_T4_T5_T6_T7_T9_mT8_P12ihipStream_tbDpT10_ENKUlT_T0_E_clISt17integral_constantIbLb1EES1C_EEDaS17_S18_EUlS17_E_NS1_11comp_targetILNS1_3genE4ELNS1_11target_archE910ELNS1_3gpuE8ELNS1_3repE0EEENS1_30default_config_static_selectorELNS0_4arch9wavefront6targetE0EEEvT1_
; %bb.0:
	.section	.rodata,"a",@progbits
	.p2align	6, 0x0
	.amdhsa_kernel _ZN7rocprim17ROCPRIM_400000_NS6detail17trampoline_kernelINS0_14default_configENS1_25partition_config_selectorILNS1_17partition_subalgoE9EllbEEZZNS1_14partition_implILS5_9ELb0ES3_jPlS8_PNS0_10empty_typeENS0_5tupleIJS8_S9_EEENSB_IJS8_SA_EEENS0_18inequality_wrapperIZN2at6native12_GLOBAL__N_124unique_dim_cuda_templateIN3c108BFloat16EEESt5tupleIJNSF_6TensorESM_SM_EERKSM_lbbbEUlllE0_EEPmJS9_EEE10hipError_tPvRmT3_T4_T5_T6_T7_T9_mT8_P12ihipStream_tbDpT10_ENKUlT_T0_E_clISt17integral_constantIbLb1EES1C_EEDaS17_S18_EUlS17_E_NS1_11comp_targetILNS1_3genE4ELNS1_11target_archE910ELNS1_3gpuE8ELNS1_3repE0EEENS1_30default_config_static_selectorELNS0_4arch9wavefront6targetE0EEEvT1_
		.amdhsa_group_segment_fixed_size 0
		.amdhsa_private_segment_fixed_size 0
		.amdhsa_kernarg_size 136
		.amdhsa_user_sgpr_count 2
		.amdhsa_user_sgpr_dispatch_ptr 0
		.amdhsa_user_sgpr_queue_ptr 0
		.amdhsa_user_sgpr_kernarg_segment_ptr 1
		.amdhsa_user_sgpr_dispatch_id 0
		.amdhsa_user_sgpr_kernarg_preload_length 0
		.amdhsa_user_sgpr_kernarg_preload_offset 0
		.amdhsa_user_sgpr_private_segment_size 0
		.amdhsa_wavefront_size32 1
		.amdhsa_uses_dynamic_stack 0
		.amdhsa_enable_private_segment 0
		.amdhsa_system_sgpr_workgroup_id_x 1
		.amdhsa_system_sgpr_workgroup_id_y 0
		.amdhsa_system_sgpr_workgroup_id_z 0
		.amdhsa_system_sgpr_workgroup_info 0
		.amdhsa_system_vgpr_workitem_id 0
		.amdhsa_next_free_vgpr 1
		.amdhsa_next_free_sgpr 1
		.amdhsa_named_barrier_count 0
		.amdhsa_reserve_vcc 0
		.amdhsa_float_round_mode_32 0
		.amdhsa_float_round_mode_16_64 0
		.amdhsa_float_denorm_mode_32 3
		.amdhsa_float_denorm_mode_16_64 3
		.amdhsa_fp16_overflow 0
		.amdhsa_memory_ordered 1
		.amdhsa_forward_progress 1
		.amdhsa_inst_pref_size 0
		.amdhsa_round_robin_scheduling 0
		.amdhsa_exception_fp_ieee_invalid_op 0
		.amdhsa_exception_fp_denorm_src 0
		.amdhsa_exception_fp_ieee_div_zero 0
		.amdhsa_exception_fp_ieee_overflow 0
		.amdhsa_exception_fp_ieee_underflow 0
		.amdhsa_exception_fp_ieee_inexact 0
		.amdhsa_exception_int_div_zero 0
	.end_amdhsa_kernel
	.section	.text._ZN7rocprim17ROCPRIM_400000_NS6detail17trampoline_kernelINS0_14default_configENS1_25partition_config_selectorILNS1_17partition_subalgoE9EllbEEZZNS1_14partition_implILS5_9ELb0ES3_jPlS8_PNS0_10empty_typeENS0_5tupleIJS8_S9_EEENSB_IJS8_SA_EEENS0_18inequality_wrapperIZN2at6native12_GLOBAL__N_124unique_dim_cuda_templateIN3c108BFloat16EEESt5tupleIJNSF_6TensorESM_SM_EERKSM_lbbbEUlllE0_EEPmJS9_EEE10hipError_tPvRmT3_T4_T5_T6_T7_T9_mT8_P12ihipStream_tbDpT10_ENKUlT_T0_E_clISt17integral_constantIbLb1EES1C_EEDaS17_S18_EUlS17_E_NS1_11comp_targetILNS1_3genE4ELNS1_11target_archE910ELNS1_3gpuE8ELNS1_3repE0EEENS1_30default_config_static_selectorELNS0_4arch9wavefront6targetE0EEEvT1_,"axG",@progbits,_ZN7rocprim17ROCPRIM_400000_NS6detail17trampoline_kernelINS0_14default_configENS1_25partition_config_selectorILNS1_17partition_subalgoE9EllbEEZZNS1_14partition_implILS5_9ELb0ES3_jPlS8_PNS0_10empty_typeENS0_5tupleIJS8_S9_EEENSB_IJS8_SA_EEENS0_18inequality_wrapperIZN2at6native12_GLOBAL__N_124unique_dim_cuda_templateIN3c108BFloat16EEESt5tupleIJNSF_6TensorESM_SM_EERKSM_lbbbEUlllE0_EEPmJS9_EEE10hipError_tPvRmT3_T4_T5_T6_T7_T9_mT8_P12ihipStream_tbDpT10_ENKUlT_T0_E_clISt17integral_constantIbLb1EES1C_EEDaS17_S18_EUlS17_E_NS1_11comp_targetILNS1_3genE4ELNS1_11target_archE910ELNS1_3gpuE8ELNS1_3repE0EEENS1_30default_config_static_selectorELNS0_4arch9wavefront6targetE0EEEvT1_,comdat
.Lfunc_end1216:
	.size	_ZN7rocprim17ROCPRIM_400000_NS6detail17trampoline_kernelINS0_14default_configENS1_25partition_config_selectorILNS1_17partition_subalgoE9EllbEEZZNS1_14partition_implILS5_9ELb0ES3_jPlS8_PNS0_10empty_typeENS0_5tupleIJS8_S9_EEENSB_IJS8_SA_EEENS0_18inequality_wrapperIZN2at6native12_GLOBAL__N_124unique_dim_cuda_templateIN3c108BFloat16EEESt5tupleIJNSF_6TensorESM_SM_EERKSM_lbbbEUlllE0_EEPmJS9_EEE10hipError_tPvRmT3_T4_T5_T6_T7_T9_mT8_P12ihipStream_tbDpT10_ENKUlT_T0_E_clISt17integral_constantIbLb1EES1C_EEDaS17_S18_EUlS17_E_NS1_11comp_targetILNS1_3genE4ELNS1_11target_archE910ELNS1_3gpuE8ELNS1_3repE0EEENS1_30default_config_static_selectorELNS0_4arch9wavefront6targetE0EEEvT1_, .Lfunc_end1216-_ZN7rocprim17ROCPRIM_400000_NS6detail17trampoline_kernelINS0_14default_configENS1_25partition_config_selectorILNS1_17partition_subalgoE9EllbEEZZNS1_14partition_implILS5_9ELb0ES3_jPlS8_PNS0_10empty_typeENS0_5tupleIJS8_S9_EEENSB_IJS8_SA_EEENS0_18inequality_wrapperIZN2at6native12_GLOBAL__N_124unique_dim_cuda_templateIN3c108BFloat16EEESt5tupleIJNSF_6TensorESM_SM_EERKSM_lbbbEUlllE0_EEPmJS9_EEE10hipError_tPvRmT3_T4_T5_T6_T7_T9_mT8_P12ihipStream_tbDpT10_ENKUlT_T0_E_clISt17integral_constantIbLb1EES1C_EEDaS17_S18_EUlS17_E_NS1_11comp_targetILNS1_3genE4ELNS1_11target_archE910ELNS1_3gpuE8ELNS1_3repE0EEENS1_30default_config_static_selectorELNS0_4arch9wavefront6targetE0EEEvT1_
                                        ; -- End function
	.set _ZN7rocprim17ROCPRIM_400000_NS6detail17trampoline_kernelINS0_14default_configENS1_25partition_config_selectorILNS1_17partition_subalgoE9EllbEEZZNS1_14partition_implILS5_9ELb0ES3_jPlS8_PNS0_10empty_typeENS0_5tupleIJS8_S9_EEENSB_IJS8_SA_EEENS0_18inequality_wrapperIZN2at6native12_GLOBAL__N_124unique_dim_cuda_templateIN3c108BFloat16EEESt5tupleIJNSF_6TensorESM_SM_EERKSM_lbbbEUlllE0_EEPmJS9_EEE10hipError_tPvRmT3_T4_T5_T6_T7_T9_mT8_P12ihipStream_tbDpT10_ENKUlT_T0_E_clISt17integral_constantIbLb1EES1C_EEDaS17_S18_EUlS17_E_NS1_11comp_targetILNS1_3genE4ELNS1_11target_archE910ELNS1_3gpuE8ELNS1_3repE0EEENS1_30default_config_static_selectorELNS0_4arch9wavefront6targetE0EEEvT1_.num_vgpr, 0
	.set _ZN7rocprim17ROCPRIM_400000_NS6detail17trampoline_kernelINS0_14default_configENS1_25partition_config_selectorILNS1_17partition_subalgoE9EllbEEZZNS1_14partition_implILS5_9ELb0ES3_jPlS8_PNS0_10empty_typeENS0_5tupleIJS8_S9_EEENSB_IJS8_SA_EEENS0_18inequality_wrapperIZN2at6native12_GLOBAL__N_124unique_dim_cuda_templateIN3c108BFloat16EEESt5tupleIJNSF_6TensorESM_SM_EERKSM_lbbbEUlllE0_EEPmJS9_EEE10hipError_tPvRmT3_T4_T5_T6_T7_T9_mT8_P12ihipStream_tbDpT10_ENKUlT_T0_E_clISt17integral_constantIbLb1EES1C_EEDaS17_S18_EUlS17_E_NS1_11comp_targetILNS1_3genE4ELNS1_11target_archE910ELNS1_3gpuE8ELNS1_3repE0EEENS1_30default_config_static_selectorELNS0_4arch9wavefront6targetE0EEEvT1_.num_agpr, 0
	.set _ZN7rocprim17ROCPRIM_400000_NS6detail17trampoline_kernelINS0_14default_configENS1_25partition_config_selectorILNS1_17partition_subalgoE9EllbEEZZNS1_14partition_implILS5_9ELb0ES3_jPlS8_PNS0_10empty_typeENS0_5tupleIJS8_S9_EEENSB_IJS8_SA_EEENS0_18inequality_wrapperIZN2at6native12_GLOBAL__N_124unique_dim_cuda_templateIN3c108BFloat16EEESt5tupleIJNSF_6TensorESM_SM_EERKSM_lbbbEUlllE0_EEPmJS9_EEE10hipError_tPvRmT3_T4_T5_T6_T7_T9_mT8_P12ihipStream_tbDpT10_ENKUlT_T0_E_clISt17integral_constantIbLb1EES1C_EEDaS17_S18_EUlS17_E_NS1_11comp_targetILNS1_3genE4ELNS1_11target_archE910ELNS1_3gpuE8ELNS1_3repE0EEENS1_30default_config_static_selectorELNS0_4arch9wavefront6targetE0EEEvT1_.numbered_sgpr, 0
	.set _ZN7rocprim17ROCPRIM_400000_NS6detail17trampoline_kernelINS0_14default_configENS1_25partition_config_selectorILNS1_17partition_subalgoE9EllbEEZZNS1_14partition_implILS5_9ELb0ES3_jPlS8_PNS0_10empty_typeENS0_5tupleIJS8_S9_EEENSB_IJS8_SA_EEENS0_18inequality_wrapperIZN2at6native12_GLOBAL__N_124unique_dim_cuda_templateIN3c108BFloat16EEESt5tupleIJNSF_6TensorESM_SM_EERKSM_lbbbEUlllE0_EEPmJS9_EEE10hipError_tPvRmT3_T4_T5_T6_T7_T9_mT8_P12ihipStream_tbDpT10_ENKUlT_T0_E_clISt17integral_constantIbLb1EES1C_EEDaS17_S18_EUlS17_E_NS1_11comp_targetILNS1_3genE4ELNS1_11target_archE910ELNS1_3gpuE8ELNS1_3repE0EEENS1_30default_config_static_selectorELNS0_4arch9wavefront6targetE0EEEvT1_.num_named_barrier, 0
	.set _ZN7rocprim17ROCPRIM_400000_NS6detail17trampoline_kernelINS0_14default_configENS1_25partition_config_selectorILNS1_17partition_subalgoE9EllbEEZZNS1_14partition_implILS5_9ELb0ES3_jPlS8_PNS0_10empty_typeENS0_5tupleIJS8_S9_EEENSB_IJS8_SA_EEENS0_18inequality_wrapperIZN2at6native12_GLOBAL__N_124unique_dim_cuda_templateIN3c108BFloat16EEESt5tupleIJNSF_6TensorESM_SM_EERKSM_lbbbEUlllE0_EEPmJS9_EEE10hipError_tPvRmT3_T4_T5_T6_T7_T9_mT8_P12ihipStream_tbDpT10_ENKUlT_T0_E_clISt17integral_constantIbLb1EES1C_EEDaS17_S18_EUlS17_E_NS1_11comp_targetILNS1_3genE4ELNS1_11target_archE910ELNS1_3gpuE8ELNS1_3repE0EEENS1_30default_config_static_selectorELNS0_4arch9wavefront6targetE0EEEvT1_.private_seg_size, 0
	.set _ZN7rocprim17ROCPRIM_400000_NS6detail17trampoline_kernelINS0_14default_configENS1_25partition_config_selectorILNS1_17partition_subalgoE9EllbEEZZNS1_14partition_implILS5_9ELb0ES3_jPlS8_PNS0_10empty_typeENS0_5tupleIJS8_S9_EEENSB_IJS8_SA_EEENS0_18inequality_wrapperIZN2at6native12_GLOBAL__N_124unique_dim_cuda_templateIN3c108BFloat16EEESt5tupleIJNSF_6TensorESM_SM_EERKSM_lbbbEUlllE0_EEPmJS9_EEE10hipError_tPvRmT3_T4_T5_T6_T7_T9_mT8_P12ihipStream_tbDpT10_ENKUlT_T0_E_clISt17integral_constantIbLb1EES1C_EEDaS17_S18_EUlS17_E_NS1_11comp_targetILNS1_3genE4ELNS1_11target_archE910ELNS1_3gpuE8ELNS1_3repE0EEENS1_30default_config_static_selectorELNS0_4arch9wavefront6targetE0EEEvT1_.uses_vcc, 0
	.set _ZN7rocprim17ROCPRIM_400000_NS6detail17trampoline_kernelINS0_14default_configENS1_25partition_config_selectorILNS1_17partition_subalgoE9EllbEEZZNS1_14partition_implILS5_9ELb0ES3_jPlS8_PNS0_10empty_typeENS0_5tupleIJS8_S9_EEENSB_IJS8_SA_EEENS0_18inequality_wrapperIZN2at6native12_GLOBAL__N_124unique_dim_cuda_templateIN3c108BFloat16EEESt5tupleIJNSF_6TensorESM_SM_EERKSM_lbbbEUlllE0_EEPmJS9_EEE10hipError_tPvRmT3_T4_T5_T6_T7_T9_mT8_P12ihipStream_tbDpT10_ENKUlT_T0_E_clISt17integral_constantIbLb1EES1C_EEDaS17_S18_EUlS17_E_NS1_11comp_targetILNS1_3genE4ELNS1_11target_archE910ELNS1_3gpuE8ELNS1_3repE0EEENS1_30default_config_static_selectorELNS0_4arch9wavefront6targetE0EEEvT1_.uses_flat_scratch, 0
	.set _ZN7rocprim17ROCPRIM_400000_NS6detail17trampoline_kernelINS0_14default_configENS1_25partition_config_selectorILNS1_17partition_subalgoE9EllbEEZZNS1_14partition_implILS5_9ELb0ES3_jPlS8_PNS0_10empty_typeENS0_5tupleIJS8_S9_EEENSB_IJS8_SA_EEENS0_18inequality_wrapperIZN2at6native12_GLOBAL__N_124unique_dim_cuda_templateIN3c108BFloat16EEESt5tupleIJNSF_6TensorESM_SM_EERKSM_lbbbEUlllE0_EEPmJS9_EEE10hipError_tPvRmT3_T4_T5_T6_T7_T9_mT8_P12ihipStream_tbDpT10_ENKUlT_T0_E_clISt17integral_constantIbLb1EES1C_EEDaS17_S18_EUlS17_E_NS1_11comp_targetILNS1_3genE4ELNS1_11target_archE910ELNS1_3gpuE8ELNS1_3repE0EEENS1_30default_config_static_selectorELNS0_4arch9wavefront6targetE0EEEvT1_.has_dyn_sized_stack, 0
	.set _ZN7rocprim17ROCPRIM_400000_NS6detail17trampoline_kernelINS0_14default_configENS1_25partition_config_selectorILNS1_17partition_subalgoE9EllbEEZZNS1_14partition_implILS5_9ELb0ES3_jPlS8_PNS0_10empty_typeENS0_5tupleIJS8_S9_EEENSB_IJS8_SA_EEENS0_18inequality_wrapperIZN2at6native12_GLOBAL__N_124unique_dim_cuda_templateIN3c108BFloat16EEESt5tupleIJNSF_6TensorESM_SM_EERKSM_lbbbEUlllE0_EEPmJS9_EEE10hipError_tPvRmT3_T4_T5_T6_T7_T9_mT8_P12ihipStream_tbDpT10_ENKUlT_T0_E_clISt17integral_constantIbLb1EES1C_EEDaS17_S18_EUlS17_E_NS1_11comp_targetILNS1_3genE4ELNS1_11target_archE910ELNS1_3gpuE8ELNS1_3repE0EEENS1_30default_config_static_selectorELNS0_4arch9wavefront6targetE0EEEvT1_.has_recursion, 0
	.set _ZN7rocprim17ROCPRIM_400000_NS6detail17trampoline_kernelINS0_14default_configENS1_25partition_config_selectorILNS1_17partition_subalgoE9EllbEEZZNS1_14partition_implILS5_9ELb0ES3_jPlS8_PNS0_10empty_typeENS0_5tupleIJS8_S9_EEENSB_IJS8_SA_EEENS0_18inequality_wrapperIZN2at6native12_GLOBAL__N_124unique_dim_cuda_templateIN3c108BFloat16EEESt5tupleIJNSF_6TensorESM_SM_EERKSM_lbbbEUlllE0_EEPmJS9_EEE10hipError_tPvRmT3_T4_T5_T6_T7_T9_mT8_P12ihipStream_tbDpT10_ENKUlT_T0_E_clISt17integral_constantIbLb1EES1C_EEDaS17_S18_EUlS17_E_NS1_11comp_targetILNS1_3genE4ELNS1_11target_archE910ELNS1_3gpuE8ELNS1_3repE0EEENS1_30default_config_static_selectorELNS0_4arch9wavefront6targetE0EEEvT1_.has_indirect_call, 0
	.section	.AMDGPU.csdata,"",@progbits
; Kernel info:
; codeLenInByte = 0
; TotalNumSgprs: 0
; NumVgprs: 0
; ScratchSize: 0
; MemoryBound: 0
; FloatMode: 240
; IeeeMode: 1
; LDSByteSize: 0 bytes/workgroup (compile time only)
; SGPRBlocks: 0
; VGPRBlocks: 0
; NumSGPRsForWavesPerEU: 1
; NumVGPRsForWavesPerEU: 1
; NamedBarCnt: 0
; Occupancy: 16
; WaveLimiterHint : 0
; COMPUTE_PGM_RSRC2:SCRATCH_EN: 0
; COMPUTE_PGM_RSRC2:USER_SGPR: 2
; COMPUTE_PGM_RSRC2:TRAP_HANDLER: 0
; COMPUTE_PGM_RSRC2:TGID_X_EN: 1
; COMPUTE_PGM_RSRC2:TGID_Y_EN: 0
; COMPUTE_PGM_RSRC2:TGID_Z_EN: 0
; COMPUTE_PGM_RSRC2:TIDIG_COMP_CNT: 0
	.section	.text._ZN7rocprim17ROCPRIM_400000_NS6detail17trampoline_kernelINS0_14default_configENS1_25partition_config_selectorILNS1_17partition_subalgoE9EllbEEZZNS1_14partition_implILS5_9ELb0ES3_jPlS8_PNS0_10empty_typeENS0_5tupleIJS8_S9_EEENSB_IJS8_SA_EEENS0_18inequality_wrapperIZN2at6native12_GLOBAL__N_124unique_dim_cuda_templateIN3c108BFloat16EEESt5tupleIJNSF_6TensorESM_SM_EERKSM_lbbbEUlllE0_EEPmJS9_EEE10hipError_tPvRmT3_T4_T5_T6_T7_T9_mT8_P12ihipStream_tbDpT10_ENKUlT_T0_E_clISt17integral_constantIbLb1EES1C_EEDaS17_S18_EUlS17_E_NS1_11comp_targetILNS1_3genE3ELNS1_11target_archE908ELNS1_3gpuE7ELNS1_3repE0EEENS1_30default_config_static_selectorELNS0_4arch9wavefront6targetE0EEEvT1_,"axG",@progbits,_ZN7rocprim17ROCPRIM_400000_NS6detail17trampoline_kernelINS0_14default_configENS1_25partition_config_selectorILNS1_17partition_subalgoE9EllbEEZZNS1_14partition_implILS5_9ELb0ES3_jPlS8_PNS0_10empty_typeENS0_5tupleIJS8_S9_EEENSB_IJS8_SA_EEENS0_18inequality_wrapperIZN2at6native12_GLOBAL__N_124unique_dim_cuda_templateIN3c108BFloat16EEESt5tupleIJNSF_6TensorESM_SM_EERKSM_lbbbEUlllE0_EEPmJS9_EEE10hipError_tPvRmT3_T4_T5_T6_T7_T9_mT8_P12ihipStream_tbDpT10_ENKUlT_T0_E_clISt17integral_constantIbLb1EES1C_EEDaS17_S18_EUlS17_E_NS1_11comp_targetILNS1_3genE3ELNS1_11target_archE908ELNS1_3gpuE7ELNS1_3repE0EEENS1_30default_config_static_selectorELNS0_4arch9wavefront6targetE0EEEvT1_,comdat
	.globl	_ZN7rocprim17ROCPRIM_400000_NS6detail17trampoline_kernelINS0_14default_configENS1_25partition_config_selectorILNS1_17partition_subalgoE9EllbEEZZNS1_14partition_implILS5_9ELb0ES3_jPlS8_PNS0_10empty_typeENS0_5tupleIJS8_S9_EEENSB_IJS8_SA_EEENS0_18inequality_wrapperIZN2at6native12_GLOBAL__N_124unique_dim_cuda_templateIN3c108BFloat16EEESt5tupleIJNSF_6TensorESM_SM_EERKSM_lbbbEUlllE0_EEPmJS9_EEE10hipError_tPvRmT3_T4_T5_T6_T7_T9_mT8_P12ihipStream_tbDpT10_ENKUlT_T0_E_clISt17integral_constantIbLb1EES1C_EEDaS17_S18_EUlS17_E_NS1_11comp_targetILNS1_3genE3ELNS1_11target_archE908ELNS1_3gpuE7ELNS1_3repE0EEENS1_30default_config_static_selectorELNS0_4arch9wavefront6targetE0EEEvT1_ ; -- Begin function _ZN7rocprim17ROCPRIM_400000_NS6detail17trampoline_kernelINS0_14default_configENS1_25partition_config_selectorILNS1_17partition_subalgoE9EllbEEZZNS1_14partition_implILS5_9ELb0ES3_jPlS8_PNS0_10empty_typeENS0_5tupleIJS8_S9_EEENSB_IJS8_SA_EEENS0_18inequality_wrapperIZN2at6native12_GLOBAL__N_124unique_dim_cuda_templateIN3c108BFloat16EEESt5tupleIJNSF_6TensorESM_SM_EERKSM_lbbbEUlllE0_EEPmJS9_EEE10hipError_tPvRmT3_T4_T5_T6_T7_T9_mT8_P12ihipStream_tbDpT10_ENKUlT_T0_E_clISt17integral_constantIbLb1EES1C_EEDaS17_S18_EUlS17_E_NS1_11comp_targetILNS1_3genE3ELNS1_11target_archE908ELNS1_3gpuE7ELNS1_3repE0EEENS1_30default_config_static_selectorELNS0_4arch9wavefront6targetE0EEEvT1_
	.p2align	8
	.type	_ZN7rocprim17ROCPRIM_400000_NS6detail17trampoline_kernelINS0_14default_configENS1_25partition_config_selectorILNS1_17partition_subalgoE9EllbEEZZNS1_14partition_implILS5_9ELb0ES3_jPlS8_PNS0_10empty_typeENS0_5tupleIJS8_S9_EEENSB_IJS8_SA_EEENS0_18inequality_wrapperIZN2at6native12_GLOBAL__N_124unique_dim_cuda_templateIN3c108BFloat16EEESt5tupleIJNSF_6TensorESM_SM_EERKSM_lbbbEUlllE0_EEPmJS9_EEE10hipError_tPvRmT3_T4_T5_T6_T7_T9_mT8_P12ihipStream_tbDpT10_ENKUlT_T0_E_clISt17integral_constantIbLb1EES1C_EEDaS17_S18_EUlS17_E_NS1_11comp_targetILNS1_3genE3ELNS1_11target_archE908ELNS1_3gpuE7ELNS1_3repE0EEENS1_30default_config_static_selectorELNS0_4arch9wavefront6targetE0EEEvT1_,@function
_ZN7rocprim17ROCPRIM_400000_NS6detail17trampoline_kernelINS0_14default_configENS1_25partition_config_selectorILNS1_17partition_subalgoE9EllbEEZZNS1_14partition_implILS5_9ELb0ES3_jPlS8_PNS0_10empty_typeENS0_5tupleIJS8_S9_EEENSB_IJS8_SA_EEENS0_18inequality_wrapperIZN2at6native12_GLOBAL__N_124unique_dim_cuda_templateIN3c108BFloat16EEESt5tupleIJNSF_6TensorESM_SM_EERKSM_lbbbEUlllE0_EEPmJS9_EEE10hipError_tPvRmT3_T4_T5_T6_T7_T9_mT8_P12ihipStream_tbDpT10_ENKUlT_T0_E_clISt17integral_constantIbLb1EES1C_EEDaS17_S18_EUlS17_E_NS1_11comp_targetILNS1_3genE3ELNS1_11target_archE908ELNS1_3gpuE7ELNS1_3repE0EEENS1_30default_config_static_selectorELNS0_4arch9wavefront6targetE0EEEvT1_: ; @_ZN7rocprim17ROCPRIM_400000_NS6detail17trampoline_kernelINS0_14default_configENS1_25partition_config_selectorILNS1_17partition_subalgoE9EllbEEZZNS1_14partition_implILS5_9ELb0ES3_jPlS8_PNS0_10empty_typeENS0_5tupleIJS8_S9_EEENSB_IJS8_SA_EEENS0_18inequality_wrapperIZN2at6native12_GLOBAL__N_124unique_dim_cuda_templateIN3c108BFloat16EEESt5tupleIJNSF_6TensorESM_SM_EERKSM_lbbbEUlllE0_EEPmJS9_EEE10hipError_tPvRmT3_T4_T5_T6_T7_T9_mT8_P12ihipStream_tbDpT10_ENKUlT_T0_E_clISt17integral_constantIbLb1EES1C_EEDaS17_S18_EUlS17_E_NS1_11comp_targetILNS1_3genE3ELNS1_11target_archE908ELNS1_3gpuE7ELNS1_3repE0EEENS1_30default_config_static_selectorELNS0_4arch9wavefront6targetE0EEEvT1_
; %bb.0:
	.section	.rodata,"a",@progbits
	.p2align	6, 0x0
	.amdhsa_kernel _ZN7rocprim17ROCPRIM_400000_NS6detail17trampoline_kernelINS0_14default_configENS1_25partition_config_selectorILNS1_17partition_subalgoE9EllbEEZZNS1_14partition_implILS5_9ELb0ES3_jPlS8_PNS0_10empty_typeENS0_5tupleIJS8_S9_EEENSB_IJS8_SA_EEENS0_18inequality_wrapperIZN2at6native12_GLOBAL__N_124unique_dim_cuda_templateIN3c108BFloat16EEESt5tupleIJNSF_6TensorESM_SM_EERKSM_lbbbEUlllE0_EEPmJS9_EEE10hipError_tPvRmT3_T4_T5_T6_T7_T9_mT8_P12ihipStream_tbDpT10_ENKUlT_T0_E_clISt17integral_constantIbLb1EES1C_EEDaS17_S18_EUlS17_E_NS1_11comp_targetILNS1_3genE3ELNS1_11target_archE908ELNS1_3gpuE7ELNS1_3repE0EEENS1_30default_config_static_selectorELNS0_4arch9wavefront6targetE0EEEvT1_
		.amdhsa_group_segment_fixed_size 0
		.amdhsa_private_segment_fixed_size 0
		.amdhsa_kernarg_size 136
		.amdhsa_user_sgpr_count 2
		.amdhsa_user_sgpr_dispatch_ptr 0
		.amdhsa_user_sgpr_queue_ptr 0
		.amdhsa_user_sgpr_kernarg_segment_ptr 1
		.amdhsa_user_sgpr_dispatch_id 0
		.amdhsa_user_sgpr_kernarg_preload_length 0
		.amdhsa_user_sgpr_kernarg_preload_offset 0
		.amdhsa_user_sgpr_private_segment_size 0
		.amdhsa_wavefront_size32 1
		.amdhsa_uses_dynamic_stack 0
		.amdhsa_enable_private_segment 0
		.amdhsa_system_sgpr_workgroup_id_x 1
		.amdhsa_system_sgpr_workgroup_id_y 0
		.amdhsa_system_sgpr_workgroup_id_z 0
		.amdhsa_system_sgpr_workgroup_info 0
		.amdhsa_system_vgpr_workitem_id 0
		.amdhsa_next_free_vgpr 1
		.amdhsa_next_free_sgpr 1
		.amdhsa_named_barrier_count 0
		.amdhsa_reserve_vcc 0
		.amdhsa_float_round_mode_32 0
		.amdhsa_float_round_mode_16_64 0
		.amdhsa_float_denorm_mode_32 3
		.amdhsa_float_denorm_mode_16_64 3
		.amdhsa_fp16_overflow 0
		.amdhsa_memory_ordered 1
		.amdhsa_forward_progress 1
		.amdhsa_inst_pref_size 0
		.amdhsa_round_robin_scheduling 0
		.amdhsa_exception_fp_ieee_invalid_op 0
		.amdhsa_exception_fp_denorm_src 0
		.amdhsa_exception_fp_ieee_div_zero 0
		.amdhsa_exception_fp_ieee_overflow 0
		.amdhsa_exception_fp_ieee_underflow 0
		.amdhsa_exception_fp_ieee_inexact 0
		.amdhsa_exception_int_div_zero 0
	.end_amdhsa_kernel
	.section	.text._ZN7rocprim17ROCPRIM_400000_NS6detail17trampoline_kernelINS0_14default_configENS1_25partition_config_selectorILNS1_17partition_subalgoE9EllbEEZZNS1_14partition_implILS5_9ELb0ES3_jPlS8_PNS0_10empty_typeENS0_5tupleIJS8_S9_EEENSB_IJS8_SA_EEENS0_18inequality_wrapperIZN2at6native12_GLOBAL__N_124unique_dim_cuda_templateIN3c108BFloat16EEESt5tupleIJNSF_6TensorESM_SM_EERKSM_lbbbEUlllE0_EEPmJS9_EEE10hipError_tPvRmT3_T4_T5_T6_T7_T9_mT8_P12ihipStream_tbDpT10_ENKUlT_T0_E_clISt17integral_constantIbLb1EES1C_EEDaS17_S18_EUlS17_E_NS1_11comp_targetILNS1_3genE3ELNS1_11target_archE908ELNS1_3gpuE7ELNS1_3repE0EEENS1_30default_config_static_selectorELNS0_4arch9wavefront6targetE0EEEvT1_,"axG",@progbits,_ZN7rocprim17ROCPRIM_400000_NS6detail17trampoline_kernelINS0_14default_configENS1_25partition_config_selectorILNS1_17partition_subalgoE9EllbEEZZNS1_14partition_implILS5_9ELb0ES3_jPlS8_PNS0_10empty_typeENS0_5tupleIJS8_S9_EEENSB_IJS8_SA_EEENS0_18inequality_wrapperIZN2at6native12_GLOBAL__N_124unique_dim_cuda_templateIN3c108BFloat16EEESt5tupleIJNSF_6TensorESM_SM_EERKSM_lbbbEUlllE0_EEPmJS9_EEE10hipError_tPvRmT3_T4_T5_T6_T7_T9_mT8_P12ihipStream_tbDpT10_ENKUlT_T0_E_clISt17integral_constantIbLb1EES1C_EEDaS17_S18_EUlS17_E_NS1_11comp_targetILNS1_3genE3ELNS1_11target_archE908ELNS1_3gpuE7ELNS1_3repE0EEENS1_30default_config_static_selectorELNS0_4arch9wavefront6targetE0EEEvT1_,comdat
.Lfunc_end1217:
	.size	_ZN7rocprim17ROCPRIM_400000_NS6detail17trampoline_kernelINS0_14default_configENS1_25partition_config_selectorILNS1_17partition_subalgoE9EllbEEZZNS1_14partition_implILS5_9ELb0ES3_jPlS8_PNS0_10empty_typeENS0_5tupleIJS8_S9_EEENSB_IJS8_SA_EEENS0_18inequality_wrapperIZN2at6native12_GLOBAL__N_124unique_dim_cuda_templateIN3c108BFloat16EEESt5tupleIJNSF_6TensorESM_SM_EERKSM_lbbbEUlllE0_EEPmJS9_EEE10hipError_tPvRmT3_T4_T5_T6_T7_T9_mT8_P12ihipStream_tbDpT10_ENKUlT_T0_E_clISt17integral_constantIbLb1EES1C_EEDaS17_S18_EUlS17_E_NS1_11comp_targetILNS1_3genE3ELNS1_11target_archE908ELNS1_3gpuE7ELNS1_3repE0EEENS1_30default_config_static_selectorELNS0_4arch9wavefront6targetE0EEEvT1_, .Lfunc_end1217-_ZN7rocprim17ROCPRIM_400000_NS6detail17trampoline_kernelINS0_14default_configENS1_25partition_config_selectorILNS1_17partition_subalgoE9EllbEEZZNS1_14partition_implILS5_9ELb0ES3_jPlS8_PNS0_10empty_typeENS0_5tupleIJS8_S9_EEENSB_IJS8_SA_EEENS0_18inequality_wrapperIZN2at6native12_GLOBAL__N_124unique_dim_cuda_templateIN3c108BFloat16EEESt5tupleIJNSF_6TensorESM_SM_EERKSM_lbbbEUlllE0_EEPmJS9_EEE10hipError_tPvRmT3_T4_T5_T6_T7_T9_mT8_P12ihipStream_tbDpT10_ENKUlT_T0_E_clISt17integral_constantIbLb1EES1C_EEDaS17_S18_EUlS17_E_NS1_11comp_targetILNS1_3genE3ELNS1_11target_archE908ELNS1_3gpuE7ELNS1_3repE0EEENS1_30default_config_static_selectorELNS0_4arch9wavefront6targetE0EEEvT1_
                                        ; -- End function
	.set _ZN7rocprim17ROCPRIM_400000_NS6detail17trampoline_kernelINS0_14default_configENS1_25partition_config_selectorILNS1_17partition_subalgoE9EllbEEZZNS1_14partition_implILS5_9ELb0ES3_jPlS8_PNS0_10empty_typeENS0_5tupleIJS8_S9_EEENSB_IJS8_SA_EEENS0_18inequality_wrapperIZN2at6native12_GLOBAL__N_124unique_dim_cuda_templateIN3c108BFloat16EEESt5tupleIJNSF_6TensorESM_SM_EERKSM_lbbbEUlllE0_EEPmJS9_EEE10hipError_tPvRmT3_T4_T5_T6_T7_T9_mT8_P12ihipStream_tbDpT10_ENKUlT_T0_E_clISt17integral_constantIbLb1EES1C_EEDaS17_S18_EUlS17_E_NS1_11comp_targetILNS1_3genE3ELNS1_11target_archE908ELNS1_3gpuE7ELNS1_3repE0EEENS1_30default_config_static_selectorELNS0_4arch9wavefront6targetE0EEEvT1_.num_vgpr, 0
	.set _ZN7rocprim17ROCPRIM_400000_NS6detail17trampoline_kernelINS0_14default_configENS1_25partition_config_selectorILNS1_17partition_subalgoE9EllbEEZZNS1_14partition_implILS5_9ELb0ES3_jPlS8_PNS0_10empty_typeENS0_5tupleIJS8_S9_EEENSB_IJS8_SA_EEENS0_18inequality_wrapperIZN2at6native12_GLOBAL__N_124unique_dim_cuda_templateIN3c108BFloat16EEESt5tupleIJNSF_6TensorESM_SM_EERKSM_lbbbEUlllE0_EEPmJS9_EEE10hipError_tPvRmT3_T4_T5_T6_T7_T9_mT8_P12ihipStream_tbDpT10_ENKUlT_T0_E_clISt17integral_constantIbLb1EES1C_EEDaS17_S18_EUlS17_E_NS1_11comp_targetILNS1_3genE3ELNS1_11target_archE908ELNS1_3gpuE7ELNS1_3repE0EEENS1_30default_config_static_selectorELNS0_4arch9wavefront6targetE0EEEvT1_.num_agpr, 0
	.set _ZN7rocprim17ROCPRIM_400000_NS6detail17trampoline_kernelINS0_14default_configENS1_25partition_config_selectorILNS1_17partition_subalgoE9EllbEEZZNS1_14partition_implILS5_9ELb0ES3_jPlS8_PNS0_10empty_typeENS0_5tupleIJS8_S9_EEENSB_IJS8_SA_EEENS0_18inequality_wrapperIZN2at6native12_GLOBAL__N_124unique_dim_cuda_templateIN3c108BFloat16EEESt5tupleIJNSF_6TensorESM_SM_EERKSM_lbbbEUlllE0_EEPmJS9_EEE10hipError_tPvRmT3_T4_T5_T6_T7_T9_mT8_P12ihipStream_tbDpT10_ENKUlT_T0_E_clISt17integral_constantIbLb1EES1C_EEDaS17_S18_EUlS17_E_NS1_11comp_targetILNS1_3genE3ELNS1_11target_archE908ELNS1_3gpuE7ELNS1_3repE0EEENS1_30default_config_static_selectorELNS0_4arch9wavefront6targetE0EEEvT1_.numbered_sgpr, 0
	.set _ZN7rocprim17ROCPRIM_400000_NS6detail17trampoline_kernelINS0_14default_configENS1_25partition_config_selectorILNS1_17partition_subalgoE9EllbEEZZNS1_14partition_implILS5_9ELb0ES3_jPlS8_PNS0_10empty_typeENS0_5tupleIJS8_S9_EEENSB_IJS8_SA_EEENS0_18inequality_wrapperIZN2at6native12_GLOBAL__N_124unique_dim_cuda_templateIN3c108BFloat16EEESt5tupleIJNSF_6TensorESM_SM_EERKSM_lbbbEUlllE0_EEPmJS9_EEE10hipError_tPvRmT3_T4_T5_T6_T7_T9_mT8_P12ihipStream_tbDpT10_ENKUlT_T0_E_clISt17integral_constantIbLb1EES1C_EEDaS17_S18_EUlS17_E_NS1_11comp_targetILNS1_3genE3ELNS1_11target_archE908ELNS1_3gpuE7ELNS1_3repE0EEENS1_30default_config_static_selectorELNS0_4arch9wavefront6targetE0EEEvT1_.num_named_barrier, 0
	.set _ZN7rocprim17ROCPRIM_400000_NS6detail17trampoline_kernelINS0_14default_configENS1_25partition_config_selectorILNS1_17partition_subalgoE9EllbEEZZNS1_14partition_implILS5_9ELb0ES3_jPlS8_PNS0_10empty_typeENS0_5tupleIJS8_S9_EEENSB_IJS8_SA_EEENS0_18inequality_wrapperIZN2at6native12_GLOBAL__N_124unique_dim_cuda_templateIN3c108BFloat16EEESt5tupleIJNSF_6TensorESM_SM_EERKSM_lbbbEUlllE0_EEPmJS9_EEE10hipError_tPvRmT3_T4_T5_T6_T7_T9_mT8_P12ihipStream_tbDpT10_ENKUlT_T0_E_clISt17integral_constantIbLb1EES1C_EEDaS17_S18_EUlS17_E_NS1_11comp_targetILNS1_3genE3ELNS1_11target_archE908ELNS1_3gpuE7ELNS1_3repE0EEENS1_30default_config_static_selectorELNS0_4arch9wavefront6targetE0EEEvT1_.private_seg_size, 0
	.set _ZN7rocprim17ROCPRIM_400000_NS6detail17trampoline_kernelINS0_14default_configENS1_25partition_config_selectorILNS1_17partition_subalgoE9EllbEEZZNS1_14partition_implILS5_9ELb0ES3_jPlS8_PNS0_10empty_typeENS0_5tupleIJS8_S9_EEENSB_IJS8_SA_EEENS0_18inequality_wrapperIZN2at6native12_GLOBAL__N_124unique_dim_cuda_templateIN3c108BFloat16EEESt5tupleIJNSF_6TensorESM_SM_EERKSM_lbbbEUlllE0_EEPmJS9_EEE10hipError_tPvRmT3_T4_T5_T6_T7_T9_mT8_P12ihipStream_tbDpT10_ENKUlT_T0_E_clISt17integral_constantIbLb1EES1C_EEDaS17_S18_EUlS17_E_NS1_11comp_targetILNS1_3genE3ELNS1_11target_archE908ELNS1_3gpuE7ELNS1_3repE0EEENS1_30default_config_static_selectorELNS0_4arch9wavefront6targetE0EEEvT1_.uses_vcc, 0
	.set _ZN7rocprim17ROCPRIM_400000_NS6detail17trampoline_kernelINS0_14default_configENS1_25partition_config_selectorILNS1_17partition_subalgoE9EllbEEZZNS1_14partition_implILS5_9ELb0ES3_jPlS8_PNS0_10empty_typeENS0_5tupleIJS8_S9_EEENSB_IJS8_SA_EEENS0_18inequality_wrapperIZN2at6native12_GLOBAL__N_124unique_dim_cuda_templateIN3c108BFloat16EEESt5tupleIJNSF_6TensorESM_SM_EERKSM_lbbbEUlllE0_EEPmJS9_EEE10hipError_tPvRmT3_T4_T5_T6_T7_T9_mT8_P12ihipStream_tbDpT10_ENKUlT_T0_E_clISt17integral_constantIbLb1EES1C_EEDaS17_S18_EUlS17_E_NS1_11comp_targetILNS1_3genE3ELNS1_11target_archE908ELNS1_3gpuE7ELNS1_3repE0EEENS1_30default_config_static_selectorELNS0_4arch9wavefront6targetE0EEEvT1_.uses_flat_scratch, 0
	.set _ZN7rocprim17ROCPRIM_400000_NS6detail17trampoline_kernelINS0_14default_configENS1_25partition_config_selectorILNS1_17partition_subalgoE9EllbEEZZNS1_14partition_implILS5_9ELb0ES3_jPlS8_PNS0_10empty_typeENS0_5tupleIJS8_S9_EEENSB_IJS8_SA_EEENS0_18inequality_wrapperIZN2at6native12_GLOBAL__N_124unique_dim_cuda_templateIN3c108BFloat16EEESt5tupleIJNSF_6TensorESM_SM_EERKSM_lbbbEUlllE0_EEPmJS9_EEE10hipError_tPvRmT3_T4_T5_T6_T7_T9_mT8_P12ihipStream_tbDpT10_ENKUlT_T0_E_clISt17integral_constantIbLb1EES1C_EEDaS17_S18_EUlS17_E_NS1_11comp_targetILNS1_3genE3ELNS1_11target_archE908ELNS1_3gpuE7ELNS1_3repE0EEENS1_30default_config_static_selectorELNS0_4arch9wavefront6targetE0EEEvT1_.has_dyn_sized_stack, 0
	.set _ZN7rocprim17ROCPRIM_400000_NS6detail17trampoline_kernelINS0_14default_configENS1_25partition_config_selectorILNS1_17partition_subalgoE9EllbEEZZNS1_14partition_implILS5_9ELb0ES3_jPlS8_PNS0_10empty_typeENS0_5tupleIJS8_S9_EEENSB_IJS8_SA_EEENS0_18inequality_wrapperIZN2at6native12_GLOBAL__N_124unique_dim_cuda_templateIN3c108BFloat16EEESt5tupleIJNSF_6TensorESM_SM_EERKSM_lbbbEUlllE0_EEPmJS9_EEE10hipError_tPvRmT3_T4_T5_T6_T7_T9_mT8_P12ihipStream_tbDpT10_ENKUlT_T0_E_clISt17integral_constantIbLb1EES1C_EEDaS17_S18_EUlS17_E_NS1_11comp_targetILNS1_3genE3ELNS1_11target_archE908ELNS1_3gpuE7ELNS1_3repE0EEENS1_30default_config_static_selectorELNS0_4arch9wavefront6targetE0EEEvT1_.has_recursion, 0
	.set _ZN7rocprim17ROCPRIM_400000_NS6detail17trampoline_kernelINS0_14default_configENS1_25partition_config_selectorILNS1_17partition_subalgoE9EllbEEZZNS1_14partition_implILS5_9ELb0ES3_jPlS8_PNS0_10empty_typeENS0_5tupleIJS8_S9_EEENSB_IJS8_SA_EEENS0_18inequality_wrapperIZN2at6native12_GLOBAL__N_124unique_dim_cuda_templateIN3c108BFloat16EEESt5tupleIJNSF_6TensorESM_SM_EERKSM_lbbbEUlllE0_EEPmJS9_EEE10hipError_tPvRmT3_T4_T5_T6_T7_T9_mT8_P12ihipStream_tbDpT10_ENKUlT_T0_E_clISt17integral_constantIbLb1EES1C_EEDaS17_S18_EUlS17_E_NS1_11comp_targetILNS1_3genE3ELNS1_11target_archE908ELNS1_3gpuE7ELNS1_3repE0EEENS1_30default_config_static_selectorELNS0_4arch9wavefront6targetE0EEEvT1_.has_indirect_call, 0
	.section	.AMDGPU.csdata,"",@progbits
; Kernel info:
; codeLenInByte = 0
; TotalNumSgprs: 0
; NumVgprs: 0
; ScratchSize: 0
; MemoryBound: 0
; FloatMode: 240
; IeeeMode: 1
; LDSByteSize: 0 bytes/workgroup (compile time only)
; SGPRBlocks: 0
; VGPRBlocks: 0
; NumSGPRsForWavesPerEU: 1
; NumVGPRsForWavesPerEU: 1
; NamedBarCnt: 0
; Occupancy: 16
; WaveLimiterHint : 0
; COMPUTE_PGM_RSRC2:SCRATCH_EN: 0
; COMPUTE_PGM_RSRC2:USER_SGPR: 2
; COMPUTE_PGM_RSRC2:TRAP_HANDLER: 0
; COMPUTE_PGM_RSRC2:TGID_X_EN: 1
; COMPUTE_PGM_RSRC2:TGID_Y_EN: 0
; COMPUTE_PGM_RSRC2:TGID_Z_EN: 0
; COMPUTE_PGM_RSRC2:TIDIG_COMP_CNT: 0
	.section	.text._ZN7rocprim17ROCPRIM_400000_NS6detail17trampoline_kernelINS0_14default_configENS1_25partition_config_selectorILNS1_17partition_subalgoE9EllbEEZZNS1_14partition_implILS5_9ELb0ES3_jPlS8_PNS0_10empty_typeENS0_5tupleIJS8_S9_EEENSB_IJS8_SA_EEENS0_18inequality_wrapperIZN2at6native12_GLOBAL__N_124unique_dim_cuda_templateIN3c108BFloat16EEESt5tupleIJNSF_6TensorESM_SM_EERKSM_lbbbEUlllE0_EEPmJS9_EEE10hipError_tPvRmT3_T4_T5_T6_T7_T9_mT8_P12ihipStream_tbDpT10_ENKUlT_T0_E_clISt17integral_constantIbLb1EES1C_EEDaS17_S18_EUlS17_E_NS1_11comp_targetILNS1_3genE2ELNS1_11target_archE906ELNS1_3gpuE6ELNS1_3repE0EEENS1_30default_config_static_selectorELNS0_4arch9wavefront6targetE0EEEvT1_,"axG",@progbits,_ZN7rocprim17ROCPRIM_400000_NS6detail17trampoline_kernelINS0_14default_configENS1_25partition_config_selectorILNS1_17partition_subalgoE9EllbEEZZNS1_14partition_implILS5_9ELb0ES3_jPlS8_PNS0_10empty_typeENS0_5tupleIJS8_S9_EEENSB_IJS8_SA_EEENS0_18inequality_wrapperIZN2at6native12_GLOBAL__N_124unique_dim_cuda_templateIN3c108BFloat16EEESt5tupleIJNSF_6TensorESM_SM_EERKSM_lbbbEUlllE0_EEPmJS9_EEE10hipError_tPvRmT3_T4_T5_T6_T7_T9_mT8_P12ihipStream_tbDpT10_ENKUlT_T0_E_clISt17integral_constantIbLb1EES1C_EEDaS17_S18_EUlS17_E_NS1_11comp_targetILNS1_3genE2ELNS1_11target_archE906ELNS1_3gpuE6ELNS1_3repE0EEENS1_30default_config_static_selectorELNS0_4arch9wavefront6targetE0EEEvT1_,comdat
	.globl	_ZN7rocprim17ROCPRIM_400000_NS6detail17trampoline_kernelINS0_14default_configENS1_25partition_config_selectorILNS1_17partition_subalgoE9EllbEEZZNS1_14partition_implILS5_9ELb0ES3_jPlS8_PNS0_10empty_typeENS0_5tupleIJS8_S9_EEENSB_IJS8_SA_EEENS0_18inequality_wrapperIZN2at6native12_GLOBAL__N_124unique_dim_cuda_templateIN3c108BFloat16EEESt5tupleIJNSF_6TensorESM_SM_EERKSM_lbbbEUlllE0_EEPmJS9_EEE10hipError_tPvRmT3_T4_T5_T6_T7_T9_mT8_P12ihipStream_tbDpT10_ENKUlT_T0_E_clISt17integral_constantIbLb1EES1C_EEDaS17_S18_EUlS17_E_NS1_11comp_targetILNS1_3genE2ELNS1_11target_archE906ELNS1_3gpuE6ELNS1_3repE0EEENS1_30default_config_static_selectorELNS0_4arch9wavefront6targetE0EEEvT1_ ; -- Begin function _ZN7rocprim17ROCPRIM_400000_NS6detail17trampoline_kernelINS0_14default_configENS1_25partition_config_selectorILNS1_17partition_subalgoE9EllbEEZZNS1_14partition_implILS5_9ELb0ES3_jPlS8_PNS0_10empty_typeENS0_5tupleIJS8_S9_EEENSB_IJS8_SA_EEENS0_18inequality_wrapperIZN2at6native12_GLOBAL__N_124unique_dim_cuda_templateIN3c108BFloat16EEESt5tupleIJNSF_6TensorESM_SM_EERKSM_lbbbEUlllE0_EEPmJS9_EEE10hipError_tPvRmT3_T4_T5_T6_T7_T9_mT8_P12ihipStream_tbDpT10_ENKUlT_T0_E_clISt17integral_constantIbLb1EES1C_EEDaS17_S18_EUlS17_E_NS1_11comp_targetILNS1_3genE2ELNS1_11target_archE906ELNS1_3gpuE6ELNS1_3repE0EEENS1_30default_config_static_selectorELNS0_4arch9wavefront6targetE0EEEvT1_
	.p2align	8
	.type	_ZN7rocprim17ROCPRIM_400000_NS6detail17trampoline_kernelINS0_14default_configENS1_25partition_config_selectorILNS1_17partition_subalgoE9EllbEEZZNS1_14partition_implILS5_9ELb0ES3_jPlS8_PNS0_10empty_typeENS0_5tupleIJS8_S9_EEENSB_IJS8_SA_EEENS0_18inequality_wrapperIZN2at6native12_GLOBAL__N_124unique_dim_cuda_templateIN3c108BFloat16EEESt5tupleIJNSF_6TensorESM_SM_EERKSM_lbbbEUlllE0_EEPmJS9_EEE10hipError_tPvRmT3_T4_T5_T6_T7_T9_mT8_P12ihipStream_tbDpT10_ENKUlT_T0_E_clISt17integral_constantIbLb1EES1C_EEDaS17_S18_EUlS17_E_NS1_11comp_targetILNS1_3genE2ELNS1_11target_archE906ELNS1_3gpuE6ELNS1_3repE0EEENS1_30default_config_static_selectorELNS0_4arch9wavefront6targetE0EEEvT1_,@function
_ZN7rocprim17ROCPRIM_400000_NS6detail17trampoline_kernelINS0_14default_configENS1_25partition_config_selectorILNS1_17partition_subalgoE9EllbEEZZNS1_14partition_implILS5_9ELb0ES3_jPlS8_PNS0_10empty_typeENS0_5tupleIJS8_S9_EEENSB_IJS8_SA_EEENS0_18inequality_wrapperIZN2at6native12_GLOBAL__N_124unique_dim_cuda_templateIN3c108BFloat16EEESt5tupleIJNSF_6TensorESM_SM_EERKSM_lbbbEUlllE0_EEPmJS9_EEE10hipError_tPvRmT3_T4_T5_T6_T7_T9_mT8_P12ihipStream_tbDpT10_ENKUlT_T0_E_clISt17integral_constantIbLb1EES1C_EEDaS17_S18_EUlS17_E_NS1_11comp_targetILNS1_3genE2ELNS1_11target_archE906ELNS1_3gpuE6ELNS1_3repE0EEENS1_30default_config_static_selectorELNS0_4arch9wavefront6targetE0EEEvT1_: ; @_ZN7rocprim17ROCPRIM_400000_NS6detail17trampoline_kernelINS0_14default_configENS1_25partition_config_selectorILNS1_17partition_subalgoE9EllbEEZZNS1_14partition_implILS5_9ELb0ES3_jPlS8_PNS0_10empty_typeENS0_5tupleIJS8_S9_EEENSB_IJS8_SA_EEENS0_18inequality_wrapperIZN2at6native12_GLOBAL__N_124unique_dim_cuda_templateIN3c108BFloat16EEESt5tupleIJNSF_6TensorESM_SM_EERKSM_lbbbEUlllE0_EEPmJS9_EEE10hipError_tPvRmT3_T4_T5_T6_T7_T9_mT8_P12ihipStream_tbDpT10_ENKUlT_T0_E_clISt17integral_constantIbLb1EES1C_EEDaS17_S18_EUlS17_E_NS1_11comp_targetILNS1_3genE2ELNS1_11target_archE906ELNS1_3gpuE6ELNS1_3repE0EEENS1_30default_config_static_selectorELNS0_4arch9wavefront6targetE0EEEvT1_
; %bb.0:
	.section	.rodata,"a",@progbits
	.p2align	6, 0x0
	.amdhsa_kernel _ZN7rocprim17ROCPRIM_400000_NS6detail17trampoline_kernelINS0_14default_configENS1_25partition_config_selectorILNS1_17partition_subalgoE9EllbEEZZNS1_14partition_implILS5_9ELb0ES3_jPlS8_PNS0_10empty_typeENS0_5tupleIJS8_S9_EEENSB_IJS8_SA_EEENS0_18inequality_wrapperIZN2at6native12_GLOBAL__N_124unique_dim_cuda_templateIN3c108BFloat16EEESt5tupleIJNSF_6TensorESM_SM_EERKSM_lbbbEUlllE0_EEPmJS9_EEE10hipError_tPvRmT3_T4_T5_T6_T7_T9_mT8_P12ihipStream_tbDpT10_ENKUlT_T0_E_clISt17integral_constantIbLb1EES1C_EEDaS17_S18_EUlS17_E_NS1_11comp_targetILNS1_3genE2ELNS1_11target_archE906ELNS1_3gpuE6ELNS1_3repE0EEENS1_30default_config_static_selectorELNS0_4arch9wavefront6targetE0EEEvT1_
		.amdhsa_group_segment_fixed_size 0
		.amdhsa_private_segment_fixed_size 0
		.amdhsa_kernarg_size 136
		.amdhsa_user_sgpr_count 2
		.amdhsa_user_sgpr_dispatch_ptr 0
		.amdhsa_user_sgpr_queue_ptr 0
		.amdhsa_user_sgpr_kernarg_segment_ptr 1
		.amdhsa_user_sgpr_dispatch_id 0
		.amdhsa_user_sgpr_kernarg_preload_length 0
		.amdhsa_user_sgpr_kernarg_preload_offset 0
		.amdhsa_user_sgpr_private_segment_size 0
		.amdhsa_wavefront_size32 1
		.amdhsa_uses_dynamic_stack 0
		.amdhsa_enable_private_segment 0
		.amdhsa_system_sgpr_workgroup_id_x 1
		.amdhsa_system_sgpr_workgroup_id_y 0
		.amdhsa_system_sgpr_workgroup_id_z 0
		.amdhsa_system_sgpr_workgroup_info 0
		.amdhsa_system_vgpr_workitem_id 0
		.amdhsa_next_free_vgpr 1
		.amdhsa_next_free_sgpr 1
		.amdhsa_named_barrier_count 0
		.amdhsa_reserve_vcc 0
		.amdhsa_float_round_mode_32 0
		.amdhsa_float_round_mode_16_64 0
		.amdhsa_float_denorm_mode_32 3
		.amdhsa_float_denorm_mode_16_64 3
		.amdhsa_fp16_overflow 0
		.amdhsa_memory_ordered 1
		.amdhsa_forward_progress 1
		.amdhsa_inst_pref_size 0
		.amdhsa_round_robin_scheduling 0
		.amdhsa_exception_fp_ieee_invalid_op 0
		.amdhsa_exception_fp_denorm_src 0
		.amdhsa_exception_fp_ieee_div_zero 0
		.amdhsa_exception_fp_ieee_overflow 0
		.amdhsa_exception_fp_ieee_underflow 0
		.amdhsa_exception_fp_ieee_inexact 0
		.amdhsa_exception_int_div_zero 0
	.end_amdhsa_kernel
	.section	.text._ZN7rocprim17ROCPRIM_400000_NS6detail17trampoline_kernelINS0_14default_configENS1_25partition_config_selectorILNS1_17partition_subalgoE9EllbEEZZNS1_14partition_implILS5_9ELb0ES3_jPlS8_PNS0_10empty_typeENS0_5tupleIJS8_S9_EEENSB_IJS8_SA_EEENS0_18inequality_wrapperIZN2at6native12_GLOBAL__N_124unique_dim_cuda_templateIN3c108BFloat16EEESt5tupleIJNSF_6TensorESM_SM_EERKSM_lbbbEUlllE0_EEPmJS9_EEE10hipError_tPvRmT3_T4_T5_T6_T7_T9_mT8_P12ihipStream_tbDpT10_ENKUlT_T0_E_clISt17integral_constantIbLb1EES1C_EEDaS17_S18_EUlS17_E_NS1_11comp_targetILNS1_3genE2ELNS1_11target_archE906ELNS1_3gpuE6ELNS1_3repE0EEENS1_30default_config_static_selectorELNS0_4arch9wavefront6targetE0EEEvT1_,"axG",@progbits,_ZN7rocprim17ROCPRIM_400000_NS6detail17trampoline_kernelINS0_14default_configENS1_25partition_config_selectorILNS1_17partition_subalgoE9EllbEEZZNS1_14partition_implILS5_9ELb0ES3_jPlS8_PNS0_10empty_typeENS0_5tupleIJS8_S9_EEENSB_IJS8_SA_EEENS0_18inequality_wrapperIZN2at6native12_GLOBAL__N_124unique_dim_cuda_templateIN3c108BFloat16EEESt5tupleIJNSF_6TensorESM_SM_EERKSM_lbbbEUlllE0_EEPmJS9_EEE10hipError_tPvRmT3_T4_T5_T6_T7_T9_mT8_P12ihipStream_tbDpT10_ENKUlT_T0_E_clISt17integral_constantIbLb1EES1C_EEDaS17_S18_EUlS17_E_NS1_11comp_targetILNS1_3genE2ELNS1_11target_archE906ELNS1_3gpuE6ELNS1_3repE0EEENS1_30default_config_static_selectorELNS0_4arch9wavefront6targetE0EEEvT1_,comdat
.Lfunc_end1218:
	.size	_ZN7rocprim17ROCPRIM_400000_NS6detail17trampoline_kernelINS0_14default_configENS1_25partition_config_selectorILNS1_17partition_subalgoE9EllbEEZZNS1_14partition_implILS5_9ELb0ES3_jPlS8_PNS0_10empty_typeENS0_5tupleIJS8_S9_EEENSB_IJS8_SA_EEENS0_18inequality_wrapperIZN2at6native12_GLOBAL__N_124unique_dim_cuda_templateIN3c108BFloat16EEESt5tupleIJNSF_6TensorESM_SM_EERKSM_lbbbEUlllE0_EEPmJS9_EEE10hipError_tPvRmT3_T4_T5_T6_T7_T9_mT8_P12ihipStream_tbDpT10_ENKUlT_T0_E_clISt17integral_constantIbLb1EES1C_EEDaS17_S18_EUlS17_E_NS1_11comp_targetILNS1_3genE2ELNS1_11target_archE906ELNS1_3gpuE6ELNS1_3repE0EEENS1_30default_config_static_selectorELNS0_4arch9wavefront6targetE0EEEvT1_, .Lfunc_end1218-_ZN7rocprim17ROCPRIM_400000_NS6detail17trampoline_kernelINS0_14default_configENS1_25partition_config_selectorILNS1_17partition_subalgoE9EllbEEZZNS1_14partition_implILS5_9ELb0ES3_jPlS8_PNS0_10empty_typeENS0_5tupleIJS8_S9_EEENSB_IJS8_SA_EEENS0_18inequality_wrapperIZN2at6native12_GLOBAL__N_124unique_dim_cuda_templateIN3c108BFloat16EEESt5tupleIJNSF_6TensorESM_SM_EERKSM_lbbbEUlllE0_EEPmJS9_EEE10hipError_tPvRmT3_T4_T5_T6_T7_T9_mT8_P12ihipStream_tbDpT10_ENKUlT_T0_E_clISt17integral_constantIbLb1EES1C_EEDaS17_S18_EUlS17_E_NS1_11comp_targetILNS1_3genE2ELNS1_11target_archE906ELNS1_3gpuE6ELNS1_3repE0EEENS1_30default_config_static_selectorELNS0_4arch9wavefront6targetE0EEEvT1_
                                        ; -- End function
	.set _ZN7rocprim17ROCPRIM_400000_NS6detail17trampoline_kernelINS0_14default_configENS1_25partition_config_selectorILNS1_17partition_subalgoE9EllbEEZZNS1_14partition_implILS5_9ELb0ES3_jPlS8_PNS0_10empty_typeENS0_5tupleIJS8_S9_EEENSB_IJS8_SA_EEENS0_18inequality_wrapperIZN2at6native12_GLOBAL__N_124unique_dim_cuda_templateIN3c108BFloat16EEESt5tupleIJNSF_6TensorESM_SM_EERKSM_lbbbEUlllE0_EEPmJS9_EEE10hipError_tPvRmT3_T4_T5_T6_T7_T9_mT8_P12ihipStream_tbDpT10_ENKUlT_T0_E_clISt17integral_constantIbLb1EES1C_EEDaS17_S18_EUlS17_E_NS1_11comp_targetILNS1_3genE2ELNS1_11target_archE906ELNS1_3gpuE6ELNS1_3repE0EEENS1_30default_config_static_selectorELNS0_4arch9wavefront6targetE0EEEvT1_.num_vgpr, 0
	.set _ZN7rocprim17ROCPRIM_400000_NS6detail17trampoline_kernelINS0_14default_configENS1_25partition_config_selectorILNS1_17partition_subalgoE9EllbEEZZNS1_14partition_implILS5_9ELb0ES3_jPlS8_PNS0_10empty_typeENS0_5tupleIJS8_S9_EEENSB_IJS8_SA_EEENS0_18inequality_wrapperIZN2at6native12_GLOBAL__N_124unique_dim_cuda_templateIN3c108BFloat16EEESt5tupleIJNSF_6TensorESM_SM_EERKSM_lbbbEUlllE0_EEPmJS9_EEE10hipError_tPvRmT3_T4_T5_T6_T7_T9_mT8_P12ihipStream_tbDpT10_ENKUlT_T0_E_clISt17integral_constantIbLb1EES1C_EEDaS17_S18_EUlS17_E_NS1_11comp_targetILNS1_3genE2ELNS1_11target_archE906ELNS1_3gpuE6ELNS1_3repE0EEENS1_30default_config_static_selectorELNS0_4arch9wavefront6targetE0EEEvT1_.num_agpr, 0
	.set _ZN7rocprim17ROCPRIM_400000_NS6detail17trampoline_kernelINS0_14default_configENS1_25partition_config_selectorILNS1_17partition_subalgoE9EllbEEZZNS1_14partition_implILS5_9ELb0ES3_jPlS8_PNS0_10empty_typeENS0_5tupleIJS8_S9_EEENSB_IJS8_SA_EEENS0_18inequality_wrapperIZN2at6native12_GLOBAL__N_124unique_dim_cuda_templateIN3c108BFloat16EEESt5tupleIJNSF_6TensorESM_SM_EERKSM_lbbbEUlllE0_EEPmJS9_EEE10hipError_tPvRmT3_T4_T5_T6_T7_T9_mT8_P12ihipStream_tbDpT10_ENKUlT_T0_E_clISt17integral_constantIbLb1EES1C_EEDaS17_S18_EUlS17_E_NS1_11comp_targetILNS1_3genE2ELNS1_11target_archE906ELNS1_3gpuE6ELNS1_3repE0EEENS1_30default_config_static_selectorELNS0_4arch9wavefront6targetE0EEEvT1_.numbered_sgpr, 0
	.set _ZN7rocprim17ROCPRIM_400000_NS6detail17trampoline_kernelINS0_14default_configENS1_25partition_config_selectorILNS1_17partition_subalgoE9EllbEEZZNS1_14partition_implILS5_9ELb0ES3_jPlS8_PNS0_10empty_typeENS0_5tupleIJS8_S9_EEENSB_IJS8_SA_EEENS0_18inequality_wrapperIZN2at6native12_GLOBAL__N_124unique_dim_cuda_templateIN3c108BFloat16EEESt5tupleIJNSF_6TensorESM_SM_EERKSM_lbbbEUlllE0_EEPmJS9_EEE10hipError_tPvRmT3_T4_T5_T6_T7_T9_mT8_P12ihipStream_tbDpT10_ENKUlT_T0_E_clISt17integral_constantIbLb1EES1C_EEDaS17_S18_EUlS17_E_NS1_11comp_targetILNS1_3genE2ELNS1_11target_archE906ELNS1_3gpuE6ELNS1_3repE0EEENS1_30default_config_static_selectorELNS0_4arch9wavefront6targetE0EEEvT1_.num_named_barrier, 0
	.set _ZN7rocprim17ROCPRIM_400000_NS6detail17trampoline_kernelINS0_14default_configENS1_25partition_config_selectorILNS1_17partition_subalgoE9EllbEEZZNS1_14partition_implILS5_9ELb0ES3_jPlS8_PNS0_10empty_typeENS0_5tupleIJS8_S9_EEENSB_IJS8_SA_EEENS0_18inequality_wrapperIZN2at6native12_GLOBAL__N_124unique_dim_cuda_templateIN3c108BFloat16EEESt5tupleIJNSF_6TensorESM_SM_EERKSM_lbbbEUlllE0_EEPmJS9_EEE10hipError_tPvRmT3_T4_T5_T6_T7_T9_mT8_P12ihipStream_tbDpT10_ENKUlT_T0_E_clISt17integral_constantIbLb1EES1C_EEDaS17_S18_EUlS17_E_NS1_11comp_targetILNS1_3genE2ELNS1_11target_archE906ELNS1_3gpuE6ELNS1_3repE0EEENS1_30default_config_static_selectorELNS0_4arch9wavefront6targetE0EEEvT1_.private_seg_size, 0
	.set _ZN7rocprim17ROCPRIM_400000_NS6detail17trampoline_kernelINS0_14default_configENS1_25partition_config_selectorILNS1_17partition_subalgoE9EllbEEZZNS1_14partition_implILS5_9ELb0ES3_jPlS8_PNS0_10empty_typeENS0_5tupleIJS8_S9_EEENSB_IJS8_SA_EEENS0_18inequality_wrapperIZN2at6native12_GLOBAL__N_124unique_dim_cuda_templateIN3c108BFloat16EEESt5tupleIJNSF_6TensorESM_SM_EERKSM_lbbbEUlllE0_EEPmJS9_EEE10hipError_tPvRmT3_T4_T5_T6_T7_T9_mT8_P12ihipStream_tbDpT10_ENKUlT_T0_E_clISt17integral_constantIbLb1EES1C_EEDaS17_S18_EUlS17_E_NS1_11comp_targetILNS1_3genE2ELNS1_11target_archE906ELNS1_3gpuE6ELNS1_3repE0EEENS1_30default_config_static_selectorELNS0_4arch9wavefront6targetE0EEEvT1_.uses_vcc, 0
	.set _ZN7rocprim17ROCPRIM_400000_NS6detail17trampoline_kernelINS0_14default_configENS1_25partition_config_selectorILNS1_17partition_subalgoE9EllbEEZZNS1_14partition_implILS5_9ELb0ES3_jPlS8_PNS0_10empty_typeENS0_5tupleIJS8_S9_EEENSB_IJS8_SA_EEENS0_18inequality_wrapperIZN2at6native12_GLOBAL__N_124unique_dim_cuda_templateIN3c108BFloat16EEESt5tupleIJNSF_6TensorESM_SM_EERKSM_lbbbEUlllE0_EEPmJS9_EEE10hipError_tPvRmT3_T4_T5_T6_T7_T9_mT8_P12ihipStream_tbDpT10_ENKUlT_T0_E_clISt17integral_constantIbLb1EES1C_EEDaS17_S18_EUlS17_E_NS1_11comp_targetILNS1_3genE2ELNS1_11target_archE906ELNS1_3gpuE6ELNS1_3repE0EEENS1_30default_config_static_selectorELNS0_4arch9wavefront6targetE0EEEvT1_.uses_flat_scratch, 0
	.set _ZN7rocprim17ROCPRIM_400000_NS6detail17trampoline_kernelINS0_14default_configENS1_25partition_config_selectorILNS1_17partition_subalgoE9EllbEEZZNS1_14partition_implILS5_9ELb0ES3_jPlS8_PNS0_10empty_typeENS0_5tupleIJS8_S9_EEENSB_IJS8_SA_EEENS0_18inequality_wrapperIZN2at6native12_GLOBAL__N_124unique_dim_cuda_templateIN3c108BFloat16EEESt5tupleIJNSF_6TensorESM_SM_EERKSM_lbbbEUlllE0_EEPmJS9_EEE10hipError_tPvRmT3_T4_T5_T6_T7_T9_mT8_P12ihipStream_tbDpT10_ENKUlT_T0_E_clISt17integral_constantIbLb1EES1C_EEDaS17_S18_EUlS17_E_NS1_11comp_targetILNS1_3genE2ELNS1_11target_archE906ELNS1_3gpuE6ELNS1_3repE0EEENS1_30default_config_static_selectorELNS0_4arch9wavefront6targetE0EEEvT1_.has_dyn_sized_stack, 0
	.set _ZN7rocprim17ROCPRIM_400000_NS6detail17trampoline_kernelINS0_14default_configENS1_25partition_config_selectorILNS1_17partition_subalgoE9EllbEEZZNS1_14partition_implILS5_9ELb0ES3_jPlS8_PNS0_10empty_typeENS0_5tupleIJS8_S9_EEENSB_IJS8_SA_EEENS0_18inequality_wrapperIZN2at6native12_GLOBAL__N_124unique_dim_cuda_templateIN3c108BFloat16EEESt5tupleIJNSF_6TensorESM_SM_EERKSM_lbbbEUlllE0_EEPmJS9_EEE10hipError_tPvRmT3_T4_T5_T6_T7_T9_mT8_P12ihipStream_tbDpT10_ENKUlT_T0_E_clISt17integral_constantIbLb1EES1C_EEDaS17_S18_EUlS17_E_NS1_11comp_targetILNS1_3genE2ELNS1_11target_archE906ELNS1_3gpuE6ELNS1_3repE0EEENS1_30default_config_static_selectorELNS0_4arch9wavefront6targetE0EEEvT1_.has_recursion, 0
	.set _ZN7rocprim17ROCPRIM_400000_NS6detail17trampoline_kernelINS0_14default_configENS1_25partition_config_selectorILNS1_17partition_subalgoE9EllbEEZZNS1_14partition_implILS5_9ELb0ES3_jPlS8_PNS0_10empty_typeENS0_5tupleIJS8_S9_EEENSB_IJS8_SA_EEENS0_18inequality_wrapperIZN2at6native12_GLOBAL__N_124unique_dim_cuda_templateIN3c108BFloat16EEESt5tupleIJNSF_6TensorESM_SM_EERKSM_lbbbEUlllE0_EEPmJS9_EEE10hipError_tPvRmT3_T4_T5_T6_T7_T9_mT8_P12ihipStream_tbDpT10_ENKUlT_T0_E_clISt17integral_constantIbLb1EES1C_EEDaS17_S18_EUlS17_E_NS1_11comp_targetILNS1_3genE2ELNS1_11target_archE906ELNS1_3gpuE6ELNS1_3repE0EEENS1_30default_config_static_selectorELNS0_4arch9wavefront6targetE0EEEvT1_.has_indirect_call, 0
	.section	.AMDGPU.csdata,"",@progbits
; Kernel info:
; codeLenInByte = 0
; TotalNumSgprs: 0
; NumVgprs: 0
; ScratchSize: 0
; MemoryBound: 0
; FloatMode: 240
; IeeeMode: 1
; LDSByteSize: 0 bytes/workgroup (compile time only)
; SGPRBlocks: 0
; VGPRBlocks: 0
; NumSGPRsForWavesPerEU: 1
; NumVGPRsForWavesPerEU: 1
; NamedBarCnt: 0
; Occupancy: 16
; WaveLimiterHint : 0
; COMPUTE_PGM_RSRC2:SCRATCH_EN: 0
; COMPUTE_PGM_RSRC2:USER_SGPR: 2
; COMPUTE_PGM_RSRC2:TRAP_HANDLER: 0
; COMPUTE_PGM_RSRC2:TGID_X_EN: 1
; COMPUTE_PGM_RSRC2:TGID_Y_EN: 0
; COMPUTE_PGM_RSRC2:TGID_Z_EN: 0
; COMPUTE_PGM_RSRC2:TIDIG_COMP_CNT: 0
	.section	.text._ZN7rocprim17ROCPRIM_400000_NS6detail17trampoline_kernelINS0_14default_configENS1_25partition_config_selectorILNS1_17partition_subalgoE9EllbEEZZNS1_14partition_implILS5_9ELb0ES3_jPlS8_PNS0_10empty_typeENS0_5tupleIJS8_S9_EEENSB_IJS8_SA_EEENS0_18inequality_wrapperIZN2at6native12_GLOBAL__N_124unique_dim_cuda_templateIN3c108BFloat16EEESt5tupleIJNSF_6TensorESM_SM_EERKSM_lbbbEUlllE0_EEPmJS9_EEE10hipError_tPvRmT3_T4_T5_T6_T7_T9_mT8_P12ihipStream_tbDpT10_ENKUlT_T0_E_clISt17integral_constantIbLb1EES1C_EEDaS17_S18_EUlS17_E_NS1_11comp_targetILNS1_3genE10ELNS1_11target_archE1200ELNS1_3gpuE4ELNS1_3repE0EEENS1_30default_config_static_selectorELNS0_4arch9wavefront6targetE0EEEvT1_,"axG",@progbits,_ZN7rocprim17ROCPRIM_400000_NS6detail17trampoline_kernelINS0_14default_configENS1_25partition_config_selectorILNS1_17partition_subalgoE9EllbEEZZNS1_14partition_implILS5_9ELb0ES3_jPlS8_PNS0_10empty_typeENS0_5tupleIJS8_S9_EEENSB_IJS8_SA_EEENS0_18inequality_wrapperIZN2at6native12_GLOBAL__N_124unique_dim_cuda_templateIN3c108BFloat16EEESt5tupleIJNSF_6TensorESM_SM_EERKSM_lbbbEUlllE0_EEPmJS9_EEE10hipError_tPvRmT3_T4_T5_T6_T7_T9_mT8_P12ihipStream_tbDpT10_ENKUlT_T0_E_clISt17integral_constantIbLb1EES1C_EEDaS17_S18_EUlS17_E_NS1_11comp_targetILNS1_3genE10ELNS1_11target_archE1200ELNS1_3gpuE4ELNS1_3repE0EEENS1_30default_config_static_selectorELNS0_4arch9wavefront6targetE0EEEvT1_,comdat
	.globl	_ZN7rocprim17ROCPRIM_400000_NS6detail17trampoline_kernelINS0_14default_configENS1_25partition_config_selectorILNS1_17partition_subalgoE9EllbEEZZNS1_14partition_implILS5_9ELb0ES3_jPlS8_PNS0_10empty_typeENS0_5tupleIJS8_S9_EEENSB_IJS8_SA_EEENS0_18inequality_wrapperIZN2at6native12_GLOBAL__N_124unique_dim_cuda_templateIN3c108BFloat16EEESt5tupleIJNSF_6TensorESM_SM_EERKSM_lbbbEUlllE0_EEPmJS9_EEE10hipError_tPvRmT3_T4_T5_T6_T7_T9_mT8_P12ihipStream_tbDpT10_ENKUlT_T0_E_clISt17integral_constantIbLb1EES1C_EEDaS17_S18_EUlS17_E_NS1_11comp_targetILNS1_3genE10ELNS1_11target_archE1200ELNS1_3gpuE4ELNS1_3repE0EEENS1_30default_config_static_selectorELNS0_4arch9wavefront6targetE0EEEvT1_ ; -- Begin function _ZN7rocprim17ROCPRIM_400000_NS6detail17trampoline_kernelINS0_14default_configENS1_25partition_config_selectorILNS1_17partition_subalgoE9EllbEEZZNS1_14partition_implILS5_9ELb0ES3_jPlS8_PNS0_10empty_typeENS0_5tupleIJS8_S9_EEENSB_IJS8_SA_EEENS0_18inequality_wrapperIZN2at6native12_GLOBAL__N_124unique_dim_cuda_templateIN3c108BFloat16EEESt5tupleIJNSF_6TensorESM_SM_EERKSM_lbbbEUlllE0_EEPmJS9_EEE10hipError_tPvRmT3_T4_T5_T6_T7_T9_mT8_P12ihipStream_tbDpT10_ENKUlT_T0_E_clISt17integral_constantIbLb1EES1C_EEDaS17_S18_EUlS17_E_NS1_11comp_targetILNS1_3genE10ELNS1_11target_archE1200ELNS1_3gpuE4ELNS1_3repE0EEENS1_30default_config_static_selectorELNS0_4arch9wavefront6targetE0EEEvT1_
	.p2align	8
	.type	_ZN7rocprim17ROCPRIM_400000_NS6detail17trampoline_kernelINS0_14default_configENS1_25partition_config_selectorILNS1_17partition_subalgoE9EllbEEZZNS1_14partition_implILS5_9ELb0ES3_jPlS8_PNS0_10empty_typeENS0_5tupleIJS8_S9_EEENSB_IJS8_SA_EEENS0_18inequality_wrapperIZN2at6native12_GLOBAL__N_124unique_dim_cuda_templateIN3c108BFloat16EEESt5tupleIJNSF_6TensorESM_SM_EERKSM_lbbbEUlllE0_EEPmJS9_EEE10hipError_tPvRmT3_T4_T5_T6_T7_T9_mT8_P12ihipStream_tbDpT10_ENKUlT_T0_E_clISt17integral_constantIbLb1EES1C_EEDaS17_S18_EUlS17_E_NS1_11comp_targetILNS1_3genE10ELNS1_11target_archE1200ELNS1_3gpuE4ELNS1_3repE0EEENS1_30default_config_static_selectorELNS0_4arch9wavefront6targetE0EEEvT1_,@function
_ZN7rocprim17ROCPRIM_400000_NS6detail17trampoline_kernelINS0_14default_configENS1_25partition_config_selectorILNS1_17partition_subalgoE9EllbEEZZNS1_14partition_implILS5_9ELb0ES3_jPlS8_PNS0_10empty_typeENS0_5tupleIJS8_S9_EEENSB_IJS8_SA_EEENS0_18inequality_wrapperIZN2at6native12_GLOBAL__N_124unique_dim_cuda_templateIN3c108BFloat16EEESt5tupleIJNSF_6TensorESM_SM_EERKSM_lbbbEUlllE0_EEPmJS9_EEE10hipError_tPvRmT3_T4_T5_T6_T7_T9_mT8_P12ihipStream_tbDpT10_ENKUlT_T0_E_clISt17integral_constantIbLb1EES1C_EEDaS17_S18_EUlS17_E_NS1_11comp_targetILNS1_3genE10ELNS1_11target_archE1200ELNS1_3gpuE4ELNS1_3repE0EEENS1_30default_config_static_selectorELNS0_4arch9wavefront6targetE0EEEvT1_: ; @_ZN7rocprim17ROCPRIM_400000_NS6detail17trampoline_kernelINS0_14default_configENS1_25partition_config_selectorILNS1_17partition_subalgoE9EllbEEZZNS1_14partition_implILS5_9ELb0ES3_jPlS8_PNS0_10empty_typeENS0_5tupleIJS8_S9_EEENSB_IJS8_SA_EEENS0_18inequality_wrapperIZN2at6native12_GLOBAL__N_124unique_dim_cuda_templateIN3c108BFloat16EEESt5tupleIJNSF_6TensorESM_SM_EERKSM_lbbbEUlllE0_EEPmJS9_EEE10hipError_tPvRmT3_T4_T5_T6_T7_T9_mT8_P12ihipStream_tbDpT10_ENKUlT_T0_E_clISt17integral_constantIbLb1EES1C_EEDaS17_S18_EUlS17_E_NS1_11comp_targetILNS1_3genE10ELNS1_11target_archE1200ELNS1_3gpuE4ELNS1_3repE0EEENS1_30default_config_static_selectorELNS0_4arch9wavefront6targetE0EEEvT1_
; %bb.0:
	.section	.rodata,"a",@progbits
	.p2align	6, 0x0
	.amdhsa_kernel _ZN7rocprim17ROCPRIM_400000_NS6detail17trampoline_kernelINS0_14default_configENS1_25partition_config_selectorILNS1_17partition_subalgoE9EllbEEZZNS1_14partition_implILS5_9ELb0ES3_jPlS8_PNS0_10empty_typeENS0_5tupleIJS8_S9_EEENSB_IJS8_SA_EEENS0_18inequality_wrapperIZN2at6native12_GLOBAL__N_124unique_dim_cuda_templateIN3c108BFloat16EEESt5tupleIJNSF_6TensorESM_SM_EERKSM_lbbbEUlllE0_EEPmJS9_EEE10hipError_tPvRmT3_T4_T5_T6_T7_T9_mT8_P12ihipStream_tbDpT10_ENKUlT_T0_E_clISt17integral_constantIbLb1EES1C_EEDaS17_S18_EUlS17_E_NS1_11comp_targetILNS1_3genE10ELNS1_11target_archE1200ELNS1_3gpuE4ELNS1_3repE0EEENS1_30default_config_static_selectorELNS0_4arch9wavefront6targetE0EEEvT1_
		.amdhsa_group_segment_fixed_size 0
		.amdhsa_private_segment_fixed_size 0
		.amdhsa_kernarg_size 136
		.amdhsa_user_sgpr_count 2
		.amdhsa_user_sgpr_dispatch_ptr 0
		.amdhsa_user_sgpr_queue_ptr 0
		.amdhsa_user_sgpr_kernarg_segment_ptr 1
		.amdhsa_user_sgpr_dispatch_id 0
		.amdhsa_user_sgpr_kernarg_preload_length 0
		.amdhsa_user_sgpr_kernarg_preload_offset 0
		.amdhsa_user_sgpr_private_segment_size 0
		.amdhsa_wavefront_size32 1
		.amdhsa_uses_dynamic_stack 0
		.amdhsa_enable_private_segment 0
		.amdhsa_system_sgpr_workgroup_id_x 1
		.amdhsa_system_sgpr_workgroup_id_y 0
		.amdhsa_system_sgpr_workgroup_id_z 0
		.amdhsa_system_sgpr_workgroup_info 0
		.amdhsa_system_vgpr_workitem_id 0
		.amdhsa_next_free_vgpr 1
		.amdhsa_next_free_sgpr 1
		.amdhsa_named_barrier_count 0
		.amdhsa_reserve_vcc 0
		.amdhsa_float_round_mode_32 0
		.amdhsa_float_round_mode_16_64 0
		.amdhsa_float_denorm_mode_32 3
		.amdhsa_float_denorm_mode_16_64 3
		.amdhsa_fp16_overflow 0
		.amdhsa_memory_ordered 1
		.amdhsa_forward_progress 1
		.amdhsa_inst_pref_size 0
		.amdhsa_round_robin_scheduling 0
		.amdhsa_exception_fp_ieee_invalid_op 0
		.amdhsa_exception_fp_denorm_src 0
		.amdhsa_exception_fp_ieee_div_zero 0
		.amdhsa_exception_fp_ieee_overflow 0
		.amdhsa_exception_fp_ieee_underflow 0
		.amdhsa_exception_fp_ieee_inexact 0
		.amdhsa_exception_int_div_zero 0
	.end_amdhsa_kernel
	.section	.text._ZN7rocprim17ROCPRIM_400000_NS6detail17trampoline_kernelINS0_14default_configENS1_25partition_config_selectorILNS1_17partition_subalgoE9EllbEEZZNS1_14partition_implILS5_9ELb0ES3_jPlS8_PNS0_10empty_typeENS0_5tupleIJS8_S9_EEENSB_IJS8_SA_EEENS0_18inequality_wrapperIZN2at6native12_GLOBAL__N_124unique_dim_cuda_templateIN3c108BFloat16EEESt5tupleIJNSF_6TensorESM_SM_EERKSM_lbbbEUlllE0_EEPmJS9_EEE10hipError_tPvRmT3_T4_T5_T6_T7_T9_mT8_P12ihipStream_tbDpT10_ENKUlT_T0_E_clISt17integral_constantIbLb1EES1C_EEDaS17_S18_EUlS17_E_NS1_11comp_targetILNS1_3genE10ELNS1_11target_archE1200ELNS1_3gpuE4ELNS1_3repE0EEENS1_30default_config_static_selectorELNS0_4arch9wavefront6targetE0EEEvT1_,"axG",@progbits,_ZN7rocprim17ROCPRIM_400000_NS6detail17trampoline_kernelINS0_14default_configENS1_25partition_config_selectorILNS1_17partition_subalgoE9EllbEEZZNS1_14partition_implILS5_9ELb0ES3_jPlS8_PNS0_10empty_typeENS0_5tupleIJS8_S9_EEENSB_IJS8_SA_EEENS0_18inequality_wrapperIZN2at6native12_GLOBAL__N_124unique_dim_cuda_templateIN3c108BFloat16EEESt5tupleIJNSF_6TensorESM_SM_EERKSM_lbbbEUlllE0_EEPmJS9_EEE10hipError_tPvRmT3_T4_T5_T6_T7_T9_mT8_P12ihipStream_tbDpT10_ENKUlT_T0_E_clISt17integral_constantIbLb1EES1C_EEDaS17_S18_EUlS17_E_NS1_11comp_targetILNS1_3genE10ELNS1_11target_archE1200ELNS1_3gpuE4ELNS1_3repE0EEENS1_30default_config_static_selectorELNS0_4arch9wavefront6targetE0EEEvT1_,comdat
.Lfunc_end1219:
	.size	_ZN7rocprim17ROCPRIM_400000_NS6detail17trampoline_kernelINS0_14default_configENS1_25partition_config_selectorILNS1_17partition_subalgoE9EllbEEZZNS1_14partition_implILS5_9ELb0ES3_jPlS8_PNS0_10empty_typeENS0_5tupleIJS8_S9_EEENSB_IJS8_SA_EEENS0_18inequality_wrapperIZN2at6native12_GLOBAL__N_124unique_dim_cuda_templateIN3c108BFloat16EEESt5tupleIJNSF_6TensorESM_SM_EERKSM_lbbbEUlllE0_EEPmJS9_EEE10hipError_tPvRmT3_T4_T5_T6_T7_T9_mT8_P12ihipStream_tbDpT10_ENKUlT_T0_E_clISt17integral_constantIbLb1EES1C_EEDaS17_S18_EUlS17_E_NS1_11comp_targetILNS1_3genE10ELNS1_11target_archE1200ELNS1_3gpuE4ELNS1_3repE0EEENS1_30default_config_static_selectorELNS0_4arch9wavefront6targetE0EEEvT1_, .Lfunc_end1219-_ZN7rocprim17ROCPRIM_400000_NS6detail17trampoline_kernelINS0_14default_configENS1_25partition_config_selectorILNS1_17partition_subalgoE9EllbEEZZNS1_14partition_implILS5_9ELb0ES3_jPlS8_PNS0_10empty_typeENS0_5tupleIJS8_S9_EEENSB_IJS8_SA_EEENS0_18inequality_wrapperIZN2at6native12_GLOBAL__N_124unique_dim_cuda_templateIN3c108BFloat16EEESt5tupleIJNSF_6TensorESM_SM_EERKSM_lbbbEUlllE0_EEPmJS9_EEE10hipError_tPvRmT3_T4_T5_T6_T7_T9_mT8_P12ihipStream_tbDpT10_ENKUlT_T0_E_clISt17integral_constantIbLb1EES1C_EEDaS17_S18_EUlS17_E_NS1_11comp_targetILNS1_3genE10ELNS1_11target_archE1200ELNS1_3gpuE4ELNS1_3repE0EEENS1_30default_config_static_selectorELNS0_4arch9wavefront6targetE0EEEvT1_
                                        ; -- End function
	.set _ZN7rocprim17ROCPRIM_400000_NS6detail17trampoline_kernelINS0_14default_configENS1_25partition_config_selectorILNS1_17partition_subalgoE9EllbEEZZNS1_14partition_implILS5_9ELb0ES3_jPlS8_PNS0_10empty_typeENS0_5tupleIJS8_S9_EEENSB_IJS8_SA_EEENS0_18inequality_wrapperIZN2at6native12_GLOBAL__N_124unique_dim_cuda_templateIN3c108BFloat16EEESt5tupleIJNSF_6TensorESM_SM_EERKSM_lbbbEUlllE0_EEPmJS9_EEE10hipError_tPvRmT3_T4_T5_T6_T7_T9_mT8_P12ihipStream_tbDpT10_ENKUlT_T0_E_clISt17integral_constantIbLb1EES1C_EEDaS17_S18_EUlS17_E_NS1_11comp_targetILNS1_3genE10ELNS1_11target_archE1200ELNS1_3gpuE4ELNS1_3repE0EEENS1_30default_config_static_selectorELNS0_4arch9wavefront6targetE0EEEvT1_.num_vgpr, 0
	.set _ZN7rocprim17ROCPRIM_400000_NS6detail17trampoline_kernelINS0_14default_configENS1_25partition_config_selectorILNS1_17partition_subalgoE9EllbEEZZNS1_14partition_implILS5_9ELb0ES3_jPlS8_PNS0_10empty_typeENS0_5tupleIJS8_S9_EEENSB_IJS8_SA_EEENS0_18inequality_wrapperIZN2at6native12_GLOBAL__N_124unique_dim_cuda_templateIN3c108BFloat16EEESt5tupleIJNSF_6TensorESM_SM_EERKSM_lbbbEUlllE0_EEPmJS9_EEE10hipError_tPvRmT3_T4_T5_T6_T7_T9_mT8_P12ihipStream_tbDpT10_ENKUlT_T0_E_clISt17integral_constantIbLb1EES1C_EEDaS17_S18_EUlS17_E_NS1_11comp_targetILNS1_3genE10ELNS1_11target_archE1200ELNS1_3gpuE4ELNS1_3repE0EEENS1_30default_config_static_selectorELNS0_4arch9wavefront6targetE0EEEvT1_.num_agpr, 0
	.set _ZN7rocprim17ROCPRIM_400000_NS6detail17trampoline_kernelINS0_14default_configENS1_25partition_config_selectorILNS1_17partition_subalgoE9EllbEEZZNS1_14partition_implILS5_9ELb0ES3_jPlS8_PNS0_10empty_typeENS0_5tupleIJS8_S9_EEENSB_IJS8_SA_EEENS0_18inequality_wrapperIZN2at6native12_GLOBAL__N_124unique_dim_cuda_templateIN3c108BFloat16EEESt5tupleIJNSF_6TensorESM_SM_EERKSM_lbbbEUlllE0_EEPmJS9_EEE10hipError_tPvRmT3_T4_T5_T6_T7_T9_mT8_P12ihipStream_tbDpT10_ENKUlT_T0_E_clISt17integral_constantIbLb1EES1C_EEDaS17_S18_EUlS17_E_NS1_11comp_targetILNS1_3genE10ELNS1_11target_archE1200ELNS1_3gpuE4ELNS1_3repE0EEENS1_30default_config_static_selectorELNS0_4arch9wavefront6targetE0EEEvT1_.numbered_sgpr, 0
	.set _ZN7rocprim17ROCPRIM_400000_NS6detail17trampoline_kernelINS0_14default_configENS1_25partition_config_selectorILNS1_17partition_subalgoE9EllbEEZZNS1_14partition_implILS5_9ELb0ES3_jPlS8_PNS0_10empty_typeENS0_5tupleIJS8_S9_EEENSB_IJS8_SA_EEENS0_18inequality_wrapperIZN2at6native12_GLOBAL__N_124unique_dim_cuda_templateIN3c108BFloat16EEESt5tupleIJNSF_6TensorESM_SM_EERKSM_lbbbEUlllE0_EEPmJS9_EEE10hipError_tPvRmT3_T4_T5_T6_T7_T9_mT8_P12ihipStream_tbDpT10_ENKUlT_T0_E_clISt17integral_constantIbLb1EES1C_EEDaS17_S18_EUlS17_E_NS1_11comp_targetILNS1_3genE10ELNS1_11target_archE1200ELNS1_3gpuE4ELNS1_3repE0EEENS1_30default_config_static_selectorELNS0_4arch9wavefront6targetE0EEEvT1_.num_named_barrier, 0
	.set _ZN7rocprim17ROCPRIM_400000_NS6detail17trampoline_kernelINS0_14default_configENS1_25partition_config_selectorILNS1_17partition_subalgoE9EllbEEZZNS1_14partition_implILS5_9ELb0ES3_jPlS8_PNS0_10empty_typeENS0_5tupleIJS8_S9_EEENSB_IJS8_SA_EEENS0_18inequality_wrapperIZN2at6native12_GLOBAL__N_124unique_dim_cuda_templateIN3c108BFloat16EEESt5tupleIJNSF_6TensorESM_SM_EERKSM_lbbbEUlllE0_EEPmJS9_EEE10hipError_tPvRmT3_T4_T5_T6_T7_T9_mT8_P12ihipStream_tbDpT10_ENKUlT_T0_E_clISt17integral_constantIbLb1EES1C_EEDaS17_S18_EUlS17_E_NS1_11comp_targetILNS1_3genE10ELNS1_11target_archE1200ELNS1_3gpuE4ELNS1_3repE0EEENS1_30default_config_static_selectorELNS0_4arch9wavefront6targetE0EEEvT1_.private_seg_size, 0
	.set _ZN7rocprim17ROCPRIM_400000_NS6detail17trampoline_kernelINS0_14default_configENS1_25partition_config_selectorILNS1_17partition_subalgoE9EllbEEZZNS1_14partition_implILS5_9ELb0ES3_jPlS8_PNS0_10empty_typeENS0_5tupleIJS8_S9_EEENSB_IJS8_SA_EEENS0_18inequality_wrapperIZN2at6native12_GLOBAL__N_124unique_dim_cuda_templateIN3c108BFloat16EEESt5tupleIJNSF_6TensorESM_SM_EERKSM_lbbbEUlllE0_EEPmJS9_EEE10hipError_tPvRmT3_T4_T5_T6_T7_T9_mT8_P12ihipStream_tbDpT10_ENKUlT_T0_E_clISt17integral_constantIbLb1EES1C_EEDaS17_S18_EUlS17_E_NS1_11comp_targetILNS1_3genE10ELNS1_11target_archE1200ELNS1_3gpuE4ELNS1_3repE0EEENS1_30default_config_static_selectorELNS0_4arch9wavefront6targetE0EEEvT1_.uses_vcc, 0
	.set _ZN7rocprim17ROCPRIM_400000_NS6detail17trampoline_kernelINS0_14default_configENS1_25partition_config_selectorILNS1_17partition_subalgoE9EllbEEZZNS1_14partition_implILS5_9ELb0ES3_jPlS8_PNS0_10empty_typeENS0_5tupleIJS8_S9_EEENSB_IJS8_SA_EEENS0_18inequality_wrapperIZN2at6native12_GLOBAL__N_124unique_dim_cuda_templateIN3c108BFloat16EEESt5tupleIJNSF_6TensorESM_SM_EERKSM_lbbbEUlllE0_EEPmJS9_EEE10hipError_tPvRmT3_T4_T5_T6_T7_T9_mT8_P12ihipStream_tbDpT10_ENKUlT_T0_E_clISt17integral_constantIbLb1EES1C_EEDaS17_S18_EUlS17_E_NS1_11comp_targetILNS1_3genE10ELNS1_11target_archE1200ELNS1_3gpuE4ELNS1_3repE0EEENS1_30default_config_static_selectorELNS0_4arch9wavefront6targetE0EEEvT1_.uses_flat_scratch, 0
	.set _ZN7rocprim17ROCPRIM_400000_NS6detail17trampoline_kernelINS0_14default_configENS1_25partition_config_selectorILNS1_17partition_subalgoE9EllbEEZZNS1_14partition_implILS5_9ELb0ES3_jPlS8_PNS0_10empty_typeENS0_5tupleIJS8_S9_EEENSB_IJS8_SA_EEENS0_18inequality_wrapperIZN2at6native12_GLOBAL__N_124unique_dim_cuda_templateIN3c108BFloat16EEESt5tupleIJNSF_6TensorESM_SM_EERKSM_lbbbEUlllE0_EEPmJS9_EEE10hipError_tPvRmT3_T4_T5_T6_T7_T9_mT8_P12ihipStream_tbDpT10_ENKUlT_T0_E_clISt17integral_constantIbLb1EES1C_EEDaS17_S18_EUlS17_E_NS1_11comp_targetILNS1_3genE10ELNS1_11target_archE1200ELNS1_3gpuE4ELNS1_3repE0EEENS1_30default_config_static_selectorELNS0_4arch9wavefront6targetE0EEEvT1_.has_dyn_sized_stack, 0
	.set _ZN7rocprim17ROCPRIM_400000_NS6detail17trampoline_kernelINS0_14default_configENS1_25partition_config_selectorILNS1_17partition_subalgoE9EllbEEZZNS1_14partition_implILS5_9ELb0ES3_jPlS8_PNS0_10empty_typeENS0_5tupleIJS8_S9_EEENSB_IJS8_SA_EEENS0_18inequality_wrapperIZN2at6native12_GLOBAL__N_124unique_dim_cuda_templateIN3c108BFloat16EEESt5tupleIJNSF_6TensorESM_SM_EERKSM_lbbbEUlllE0_EEPmJS9_EEE10hipError_tPvRmT3_T4_T5_T6_T7_T9_mT8_P12ihipStream_tbDpT10_ENKUlT_T0_E_clISt17integral_constantIbLb1EES1C_EEDaS17_S18_EUlS17_E_NS1_11comp_targetILNS1_3genE10ELNS1_11target_archE1200ELNS1_3gpuE4ELNS1_3repE0EEENS1_30default_config_static_selectorELNS0_4arch9wavefront6targetE0EEEvT1_.has_recursion, 0
	.set _ZN7rocprim17ROCPRIM_400000_NS6detail17trampoline_kernelINS0_14default_configENS1_25partition_config_selectorILNS1_17partition_subalgoE9EllbEEZZNS1_14partition_implILS5_9ELb0ES3_jPlS8_PNS0_10empty_typeENS0_5tupleIJS8_S9_EEENSB_IJS8_SA_EEENS0_18inequality_wrapperIZN2at6native12_GLOBAL__N_124unique_dim_cuda_templateIN3c108BFloat16EEESt5tupleIJNSF_6TensorESM_SM_EERKSM_lbbbEUlllE0_EEPmJS9_EEE10hipError_tPvRmT3_T4_T5_T6_T7_T9_mT8_P12ihipStream_tbDpT10_ENKUlT_T0_E_clISt17integral_constantIbLb1EES1C_EEDaS17_S18_EUlS17_E_NS1_11comp_targetILNS1_3genE10ELNS1_11target_archE1200ELNS1_3gpuE4ELNS1_3repE0EEENS1_30default_config_static_selectorELNS0_4arch9wavefront6targetE0EEEvT1_.has_indirect_call, 0
	.section	.AMDGPU.csdata,"",@progbits
; Kernel info:
; codeLenInByte = 0
; TotalNumSgprs: 0
; NumVgprs: 0
; ScratchSize: 0
; MemoryBound: 0
; FloatMode: 240
; IeeeMode: 1
; LDSByteSize: 0 bytes/workgroup (compile time only)
; SGPRBlocks: 0
; VGPRBlocks: 0
; NumSGPRsForWavesPerEU: 1
; NumVGPRsForWavesPerEU: 1
; NamedBarCnt: 0
; Occupancy: 16
; WaveLimiterHint : 0
; COMPUTE_PGM_RSRC2:SCRATCH_EN: 0
; COMPUTE_PGM_RSRC2:USER_SGPR: 2
; COMPUTE_PGM_RSRC2:TRAP_HANDLER: 0
; COMPUTE_PGM_RSRC2:TGID_X_EN: 1
; COMPUTE_PGM_RSRC2:TGID_Y_EN: 0
; COMPUTE_PGM_RSRC2:TGID_Z_EN: 0
; COMPUTE_PGM_RSRC2:TIDIG_COMP_CNT: 0
	.section	.text._ZN7rocprim17ROCPRIM_400000_NS6detail17trampoline_kernelINS0_14default_configENS1_25partition_config_selectorILNS1_17partition_subalgoE9EllbEEZZNS1_14partition_implILS5_9ELb0ES3_jPlS8_PNS0_10empty_typeENS0_5tupleIJS8_S9_EEENSB_IJS8_SA_EEENS0_18inequality_wrapperIZN2at6native12_GLOBAL__N_124unique_dim_cuda_templateIN3c108BFloat16EEESt5tupleIJNSF_6TensorESM_SM_EERKSM_lbbbEUlllE0_EEPmJS9_EEE10hipError_tPvRmT3_T4_T5_T6_T7_T9_mT8_P12ihipStream_tbDpT10_ENKUlT_T0_E_clISt17integral_constantIbLb1EES1C_EEDaS17_S18_EUlS17_E_NS1_11comp_targetILNS1_3genE9ELNS1_11target_archE1100ELNS1_3gpuE3ELNS1_3repE0EEENS1_30default_config_static_selectorELNS0_4arch9wavefront6targetE0EEEvT1_,"axG",@progbits,_ZN7rocprim17ROCPRIM_400000_NS6detail17trampoline_kernelINS0_14default_configENS1_25partition_config_selectorILNS1_17partition_subalgoE9EllbEEZZNS1_14partition_implILS5_9ELb0ES3_jPlS8_PNS0_10empty_typeENS0_5tupleIJS8_S9_EEENSB_IJS8_SA_EEENS0_18inequality_wrapperIZN2at6native12_GLOBAL__N_124unique_dim_cuda_templateIN3c108BFloat16EEESt5tupleIJNSF_6TensorESM_SM_EERKSM_lbbbEUlllE0_EEPmJS9_EEE10hipError_tPvRmT3_T4_T5_T6_T7_T9_mT8_P12ihipStream_tbDpT10_ENKUlT_T0_E_clISt17integral_constantIbLb1EES1C_EEDaS17_S18_EUlS17_E_NS1_11comp_targetILNS1_3genE9ELNS1_11target_archE1100ELNS1_3gpuE3ELNS1_3repE0EEENS1_30default_config_static_selectorELNS0_4arch9wavefront6targetE0EEEvT1_,comdat
	.globl	_ZN7rocprim17ROCPRIM_400000_NS6detail17trampoline_kernelINS0_14default_configENS1_25partition_config_selectorILNS1_17partition_subalgoE9EllbEEZZNS1_14partition_implILS5_9ELb0ES3_jPlS8_PNS0_10empty_typeENS0_5tupleIJS8_S9_EEENSB_IJS8_SA_EEENS0_18inequality_wrapperIZN2at6native12_GLOBAL__N_124unique_dim_cuda_templateIN3c108BFloat16EEESt5tupleIJNSF_6TensorESM_SM_EERKSM_lbbbEUlllE0_EEPmJS9_EEE10hipError_tPvRmT3_T4_T5_T6_T7_T9_mT8_P12ihipStream_tbDpT10_ENKUlT_T0_E_clISt17integral_constantIbLb1EES1C_EEDaS17_S18_EUlS17_E_NS1_11comp_targetILNS1_3genE9ELNS1_11target_archE1100ELNS1_3gpuE3ELNS1_3repE0EEENS1_30default_config_static_selectorELNS0_4arch9wavefront6targetE0EEEvT1_ ; -- Begin function _ZN7rocprim17ROCPRIM_400000_NS6detail17trampoline_kernelINS0_14default_configENS1_25partition_config_selectorILNS1_17partition_subalgoE9EllbEEZZNS1_14partition_implILS5_9ELb0ES3_jPlS8_PNS0_10empty_typeENS0_5tupleIJS8_S9_EEENSB_IJS8_SA_EEENS0_18inequality_wrapperIZN2at6native12_GLOBAL__N_124unique_dim_cuda_templateIN3c108BFloat16EEESt5tupleIJNSF_6TensorESM_SM_EERKSM_lbbbEUlllE0_EEPmJS9_EEE10hipError_tPvRmT3_T4_T5_T6_T7_T9_mT8_P12ihipStream_tbDpT10_ENKUlT_T0_E_clISt17integral_constantIbLb1EES1C_EEDaS17_S18_EUlS17_E_NS1_11comp_targetILNS1_3genE9ELNS1_11target_archE1100ELNS1_3gpuE3ELNS1_3repE0EEENS1_30default_config_static_selectorELNS0_4arch9wavefront6targetE0EEEvT1_
	.p2align	8
	.type	_ZN7rocprim17ROCPRIM_400000_NS6detail17trampoline_kernelINS0_14default_configENS1_25partition_config_selectorILNS1_17partition_subalgoE9EllbEEZZNS1_14partition_implILS5_9ELb0ES3_jPlS8_PNS0_10empty_typeENS0_5tupleIJS8_S9_EEENSB_IJS8_SA_EEENS0_18inequality_wrapperIZN2at6native12_GLOBAL__N_124unique_dim_cuda_templateIN3c108BFloat16EEESt5tupleIJNSF_6TensorESM_SM_EERKSM_lbbbEUlllE0_EEPmJS9_EEE10hipError_tPvRmT3_T4_T5_T6_T7_T9_mT8_P12ihipStream_tbDpT10_ENKUlT_T0_E_clISt17integral_constantIbLb1EES1C_EEDaS17_S18_EUlS17_E_NS1_11comp_targetILNS1_3genE9ELNS1_11target_archE1100ELNS1_3gpuE3ELNS1_3repE0EEENS1_30default_config_static_selectorELNS0_4arch9wavefront6targetE0EEEvT1_,@function
_ZN7rocprim17ROCPRIM_400000_NS6detail17trampoline_kernelINS0_14default_configENS1_25partition_config_selectorILNS1_17partition_subalgoE9EllbEEZZNS1_14partition_implILS5_9ELb0ES3_jPlS8_PNS0_10empty_typeENS0_5tupleIJS8_S9_EEENSB_IJS8_SA_EEENS0_18inequality_wrapperIZN2at6native12_GLOBAL__N_124unique_dim_cuda_templateIN3c108BFloat16EEESt5tupleIJNSF_6TensorESM_SM_EERKSM_lbbbEUlllE0_EEPmJS9_EEE10hipError_tPvRmT3_T4_T5_T6_T7_T9_mT8_P12ihipStream_tbDpT10_ENKUlT_T0_E_clISt17integral_constantIbLb1EES1C_EEDaS17_S18_EUlS17_E_NS1_11comp_targetILNS1_3genE9ELNS1_11target_archE1100ELNS1_3gpuE3ELNS1_3repE0EEENS1_30default_config_static_selectorELNS0_4arch9wavefront6targetE0EEEvT1_: ; @_ZN7rocprim17ROCPRIM_400000_NS6detail17trampoline_kernelINS0_14default_configENS1_25partition_config_selectorILNS1_17partition_subalgoE9EllbEEZZNS1_14partition_implILS5_9ELb0ES3_jPlS8_PNS0_10empty_typeENS0_5tupleIJS8_S9_EEENSB_IJS8_SA_EEENS0_18inequality_wrapperIZN2at6native12_GLOBAL__N_124unique_dim_cuda_templateIN3c108BFloat16EEESt5tupleIJNSF_6TensorESM_SM_EERKSM_lbbbEUlllE0_EEPmJS9_EEE10hipError_tPvRmT3_T4_T5_T6_T7_T9_mT8_P12ihipStream_tbDpT10_ENKUlT_T0_E_clISt17integral_constantIbLb1EES1C_EEDaS17_S18_EUlS17_E_NS1_11comp_targetILNS1_3genE9ELNS1_11target_archE1100ELNS1_3gpuE3ELNS1_3repE0EEENS1_30default_config_static_selectorELNS0_4arch9wavefront6targetE0EEEvT1_
; %bb.0:
	.section	.rodata,"a",@progbits
	.p2align	6, 0x0
	.amdhsa_kernel _ZN7rocprim17ROCPRIM_400000_NS6detail17trampoline_kernelINS0_14default_configENS1_25partition_config_selectorILNS1_17partition_subalgoE9EllbEEZZNS1_14partition_implILS5_9ELb0ES3_jPlS8_PNS0_10empty_typeENS0_5tupleIJS8_S9_EEENSB_IJS8_SA_EEENS0_18inequality_wrapperIZN2at6native12_GLOBAL__N_124unique_dim_cuda_templateIN3c108BFloat16EEESt5tupleIJNSF_6TensorESM_SM_EERKSM_lbbbEUlllE0_EEPmJS9_EEE10hipError_tPvRmT3_T4_T5_T6_T7_T9_mT8_P12ihipStream_tbDpT10_ENKUlT_T0_E_clISt17integral_constantIbLb1EES1C_EEDaS17_S18_EUlS17_E_NS1_11comp_targetILNS1_3genE9ELNS1_11target_archE1100ELNS1_3gpuE3ELNS1_3repE0EEENS1_30default_config_static_selectorELNS0_4arch9wavefront6targetE0EEEvT1_
		.amdhsa_group_segment_fixed_size 0
		.amdhsa_private_segment_fixed_size 0
		.amdhsa_kernarg_size 136
		.amdhsa_user_sgpr_count 2
		.amdhsa_user_sgpr_dispatch_ptr 0
		.amdhsa_user_sgpr_queue_ptr 0
		.amdhsa_user_sgpr_kernarg_segment_ptr 1
		.amdhsa_user_sgpr_dispatch_id 0
		.amdhsa_user_sgpr_kernarg_preload_length 0
		.amdhsa_user_sgpr_kernarg_preload_offset 0
		.amdhsa_user_sgpr_private_segment_size 0
		.amdhsa_wavefront_size32 1
		.amdhsa_uses_dynamic_stack 0
		.amdhsa_enable_private_segment 0
		.amdhsa_system_sgpr_workgroup_id_x 1
		.amdhsa_system_sgpr_workgroup_id_y 0
		.amdhsa_system_sgpr_workgroup_id_z 0
		.amdhsa_system_sgpr_workgroup_info 0
		.amdhsa_system_vgpr_workitem_id 0
		.amdhsa_next_free_vgpr 1
		.amdhsa_next_free_sgpr 1
		.amdhsa_named_barrier_count 0
		.amdhsa_reserve_vcc 0
		.amdhsa_float_round_mode_32 0
		.amdhsa_float_round_mode_16_64 0
		.amdhsa_float_denorm_mode_32 3
		.amdhsa_float_denorm_mode_16_64 3
		.amdhsa_fp16_overflow 0
		.amdhsa_memory_ordered 1
		.amdhsa_forward_progress 1
		.amdhsa_inst_pref_size 0
		.amdhsa_round_robin_scheduling 0
		.amdhsa_exception_fp_ieee_invalid_op 0
		.amdhsa_exception_fp_denorm_src 0
		.amdhsa_exception_fp_ieee_div_zero 0
		.amdhsa_exception_fp_ieee_overflow 0
		.amdhsa_exception_fp_ieee_underflow 0
		.amdhsa_exception_fp_ieee_inexact 0
		.amdhsa_exception_int_div_zero 0
	.end_amdhsa_kernel
	.section	.text._ZN7rocprim17ROCPRIM_400000_NS6detail17trampoline_kernelINS0_14default_configENS1_25partition_config_selectorILNS1_17partition_subalgoE9EllbEEZZNS1_14partition_implILS5_9ELb0ES3_jPlS8_PNS0_10empty_typeENS0_5tupleIJS8_S9_EEENSB_IJS8_SA_EEENS0_18inequality_wrapperIZN2at6native12_GLOBAL__N_124unique_dim_cuda_templateIN3c108BFloat16EEESt5tupleIJNSF_6TensorESM_SM_EERKSM_lbbbEUlllE0_EEPmJS9_EEE10hipError_tPvRmT3_T4_T5_T6_T7_T9_mT8_P12ihipStream_tbDpT10_ENKUlT_T0_E_clISt17integral_constantIbLb1EES1C_EEDaS17_S18_EUlS17_E_NS1_11comp_targetILNS1_3genE9ELNS1_11target_archE1100ELNS1_3gpuE3ELNS1_3repE0EEENS1_30default_config_static_selectorELNS0_4arch9wavefront6targetE0EEEvT1_,"axG",@progbits,_ZN7rocprim17ROCPRIM_400000_NS6detail17trampoline_kernelINS0_14default_configENS1_25partition_config_selectorILNS1_17partition_subalgoE9EllbEEZZNS1_14partition_implILS5_9ELb0ES3_jPlS8_PNS0_10empty_typeENS0_5tupleIJS8_S9_EEENSB_IJS8_SA_EEENS0_18inequality_wrapperIZN2at6native12_GLOBAL__N_124unique_dim_cuda_templateIN3c108BFloat16EEESt5tupleIJNSF_6TensorESM_SM_EERKSM_lbbbEUlllE0_EEPmJS9_EEE10hipError_tPvRmT3_T4_T5_T6_T7_T9_mT8_P12ihipStream_tbDpT10_ENKUlT_T0_E_clISt17integral_constantIbLb1EES1C_EEDaS17_S18_EUlS17_E_NS1_11comp_targetILNS1_3genE9ELNS1_11target_archE1100ELNS1_3gpuE3ELNS1_3repE0EEENS1_30default_config_static_selectorELNS0_4arch9wavefront6targetE0EEEvT1_,comdat
.Lfunc_end1220:
	.size	_ZN7rocprim17ROCPRIM_400000_NS6detail17trampoline_kernelINS0_14default_configENS1_25partition_config_selectorILNS1_17partition_subalgoE9EllbEEZZNS1_14partition_implILS5_9ELb0ES3_jPlS8_PNS0_10empty_typeENS0_5tupleIJS8_S9_EEENSB_IJS8_SA_EEENS0_18inequality_wrapperIZN2at6native12_GLOBAL__N_124unique_dim_cuda_templateIN3c108BFloat16EEESt5tupleIJNSF_6TensorESM_SM_EERKSM_lbbbEUlllE0_EEPmJS9_EEE10hipError_tPvRmT3_T4_T5_T6_T7_T9_mT8_P12ihipStream_tbDpT10_ENKUlT_T0_E_clISt17integral_constantIbLb1EES1C_EEDaS17_S18_EUlS17_E_NS1_11comp_targetILNS1_3genE9ELNS1_11target_archE1100ELNS1_3gpuE3ELNS1_3repE0EEENS1_30default_config_static_selectorELNS0_4arch9wavefront6targetE0EEEvT1_, .Lfunc_end1220-_ZN7rocprim17ROCPRIM_400000_NS6detail17trampoline_kernelINS0_14default_configENS1_25partition_config_selectorILNS1_17partition_subalgoE9EllbEEZZNS1_14partition_implILS5_9ELb0ES3_jPlS8_PNS0_10empty_typeENS0_5tupleIJS8_S9_EEENSB_IJS8_SA_EEENS0_18inequality_wrapperIZN2at6native12_GLOBAL__N_124unique_dim_cuda_templateIN3c108BFloat16EEESt5tupleIJNSF_6TensorESM_SM_EERKSM_lbbbEUlllE0_EEPmJS9_EEE10hipError_tPvRmT3_T4_T5_T6_T7_T9_mT8_P12ihipStream_tbDpT10_ENKUlT_T0_E_clISt17integral_constantIbLb1EES1C_EEDaS17_S18_EUlS17_E_NS1_11comp_targetILNS1_3genE9ELNS1_11target_archE1100ELNS1_3gpuE3ELNS1_3repE0EEENS1_30default_config_static_selectorELNS0_4arch9wavefront6targetE0EEEvT1_
                                        ; -- End function
	.set _ZN7rocprim17ROCPRIM_400000_NS6detail17trampoline_kernelINS0_14default_configENS1_25partition_config_selectorILNS1_17partition_subalgoE9EllbEEZZNS1_14partition_implILS5_9ELb0ES3_jPlS8_PNS0_10empty_typeENS0_5tupleIJS8_S9_EEENSB_IJS8_SA_EEENS0_18inequality_wrapperIZN2at6native12_GLOBAL__N_124unique_dim_cuda_templateIN3c108BFloat16EEESt5tupleIJNSF_6TensorESM_SM_EERKSM_lbbbEUlllE0_EEPmJS9_EEE10hipError_tPvRmT3_T4_T5_T6_T7_T9_mT8_P12ihipStream_tbDpT10_ENKUlT_T0_E_clISt17integral_constantIbLb1EES1C_EEDaS17_S18_EUlS17_E_NS1_11comp_targetILNS1_3genE9ELNS1_11target_archE1100ELNS1_3gpuE3ELNS1_3repE0EEENS1_30default_config_static_selectorELNS0_4arch9wavefront6targetE0EEEvT1_.num_vgpr, 0
	.set _ZN7rocprim17ROCPRIM_400000_NS6detail17trampoline_kernelINS0_14default_configENS1_25partition_config_selectorILNS1_17partition_subalgoE9EllbEEZZNS1_14partition_implILS5_9ELb0ES3_jPlS8_PNS0_10empty_typeENS0_5tupleIJS8_S9_EEENSB_IJS8_SA_EEENS0_18inequality_wrapperIZN2at6native12_GLOBAL__N_124unique_dim_cuda_templateIN3c108BFloat16EEESt5tupleIJNSF_6TensorESM_SM_EERKSM_lbbbEUlllE0_EEPmJS9_EEE10hipError_tPvRmT3_T4_T5_T6_T7_T9_mT8_P12ihipStream_tbDpT10_ENKUlT_T0_E_clISt17integral_constantIbLb1EES1C_EEDaS17_S18_EUlS17_E_NS1_11comp_targetILNS1_3genE9ELNS1_11target_archE1100ELNS1_3gpuE3ELNS1_3repE0EEENS1_30default_config_static_selectorELNS0_4arch9wavefront6targetE0EEEvT1_.num_agpr, 0
	.set _ZN7rocprim17ROCPRIM_400000_NS6detail17trampoline_kernelINS0_14default_configENS1_25partition_config_selectorILNS1_17partition_subalgoE9EllbEEZZNS1_14partition_implILS5_9ELb0ES3_jPlS8_PNS0_10empty_typeENS0_5tupleIJS8_S9_EEENSB_IJS8_SA_EEENS0_18inequality_wrapperIZN2at6native12_GLOBAL__N_124unique_dim_cuda_templateIN3c108BFloat16EEESt5tupleIJNSF_6TensorESM_SM_EERKSM_lbbbEUlllE0_EEPmJS9_EEE10hipError_tPvRmT3_T4_T5_T6_T7_T9_mT8_P12ihipStream_tbDpT10_ENKUlT_T0_E_clISt17integral_constantIbLb1EES1C_EEDaS17_S18_EUlS17_E_NS1_11comp_targetILNS1_3genE9ELNS1_11target_archE1100ELNS1_3gpuE3ELNS1_3repE0EEENS1_30default_config_static_selectorELNS0_4arch9wavefront6targetE0EEEvT1_.numbered_sgpr, 0
	.set _ZN7rocprim17ROCPRIM_400000_NS6detail17trampoline_kernelINS0_14default_configENS1_25partition_config_selectorILNS1_17partition_subalgoE9EllbEEZZNS1_14partition_implILS5_9ELb0ES3_jPlS8_PNS0_10empty_typeENS0_5tupleIJS8_S9_EEENSB_IJS8_SA_EEENS0_18inequality_wrapperIZN2at6native12_GLOBAL__N_124unique_dim_cuda_templateIN3c108BFloat16EEESt5tupleIJNSF_6TensorESM_SM_EERKSM_lbbbEUlllE0_EEPmJS9_EEE10hipError_tPvRmT3_T4_T5_T6_T7_T9_mT8_P12ihipStream_tbDpT10_ENKUlT_T0_E_clISt17integral_constantIbLb1EES1C_EEDaS17_S18_EUlS17_E_NS1_11comp_targetILNS1_3genE9ELNS1_11target_archE1100ELNS1_3gpuE3ELNS1_3repE0EEENS1_30default_config_static_selectorELNS0_4arch9wavefront6targetE0EEEvT1_.num_named_barrier, 0
	.set _ZN7rocprim17ROCPRIM_400000_NS6detail17trampoline_kernelINS0_14default_configENS1_25partition_config_selectorILNS1_17partition_subalgoE9EllbEEZZNS1_14partition_implILS5_9ELb0ES3_jPlS8_PNS0_10empty_typeENS0_5tupleIJS8_S9_EEENSB_IJS8_SA_EEENS0_18inequality_wrapperIZN2at6native12_GLOBAL__N_124unique_dim_cuda_templateIN3c108BFloat16EEESt5tupleIJNSF_6TensorESM_SM_EERKSM_lbbbEUlllE0_EEPmJS9_EEE10hipError_tPvRmT3_T4_T5_T6_T7_T9_mT8_P12ihipStream_tbDpT10_ENKUlT_T0_E_clISt17integral_constantIbLb1EES1C_EEDaS17_S18_EUlS17_E_NS1_11comp_targetILNS1_3genE9ELNS1_11target_archE1100ELNS1_3gpuE3ELNS1_3repE0EEENS1_30default_config_static_selectorELNS0_4arch9wavefront6targetE0EEEvT1_.private_seg_size, 0
	.set _ZN7rocprim17ROCPRIM_400000_NS6detail17trampoline_kernelINS0_14default_configENS1_25partition_config_selectorILNS1_17partition_subalgoE9EllbEEZZNS1_14partition_implILS5_9ELb0ES3_jPlS8_PNS0_10empty_typeENS0_5tupleIJS8_S9_EEENSB_IJS8_SA_EEENS0_18inequality_wrapperIZN2at6native12_GLOBAL__N_124unique_dim_cuda_templateIN3c108BFloat16EEESt5tupleIJNSF_6TensorESM_SM_EERKSM_lbbbEUlllE0_EEPmJS9_EEE10hipError_tPvRmT3_T4_T5_T6_T7_T9_mT8_P12ihipStream_tbDpT10_ENKUlT_T0_E_clISt17integral_constantIbLb1EES1C_EEDaS17_S18_EUlS17_E_NS1_11comp_targetILNS1_3genE9ELNS1_11target_archE1100ELNS1_3gpuE3ELNS1_3repE0EEENS1_30default_config_static_selectorELNS0_4arch9wavefront6targetE0EEEvT1_.uses_vcc, 0
	.set _ZN7rocprim17ROCPRIM_400000_NS6detail17trampoline_kernelINS0_14default_configENS1_25partition_config_selectorILNS1_17partition_subalgoE9EllbEEZZNS1_14partition_implILS5_9ELb0ES3_jPlS8_PNS0_10empty_typeENS0_5tupleIJS8_S9_EEENSB_IJS8_SA_EEENS0_18inequality_wrapperIZN2at6native12_GLOBAL__N_124unique_dim_cuda_templateIN3c108BFloat16EEESt5tupleIJNSF_6TensorESM_SM_EERKSM_lbbbEUlllE0_EEPmJS9_EEE10hipError_tPvRmT3_T4_T5_T6_T7_T9_mT8_P12ihipStream_tbDpT10_ENKUlT_T0_E_clISt17integral_constantIbLb1EES1C_EEDaS17_S18_EUlS17_E_NS1_11comp_targetILNS1_3genE9ELNS1_11target_archE1100ELNS1_3gpuE3ELNS1_3repE0EEENS1_30default_config_static_selectorELNS0_4arch9wavefront6targetE0EEEvT1_.uses_flat_scratch, 0
	.set _ZN7rocprim17ROCPRIM_400000_NS6detail17trampoline_kernelINS0_14default_configENS1_25partition_config_selectorILNS1_17partition_subalgoE9EllbEEZZNS1_14partition_implILS5_9ELb0ES3_jPlS8_PNS0_10empty_typeENS0_5tupleIJS8_S9_EEENSB_IJS8_SA_EEENS0_18inequality_wrapperIZN2at6native12_GLOBAL__N_124unique_dim_cuda_templateIN3c108BFloat16EEESt5tupleIJNSF_6TensorESM_SM_EERKSM_lbbbEUlllE0_EEPmJS9_EEE10hipError_tPvRmT3_T4_T5_T6_T7_T9_mT8_P12ihipStream_tbDpT10_ENKUlT_T0_E_clISt17integral_constantIbLb1EES1C_EEDaS17_S18_EUlS17_E_NS1_11comp_targetILNS1_3genE9ELNS1_11target_archE1100ELNS1_3gpuE3ELNS1_3repE0EEENS1_30default_config_static_selectorELNS0_4arch9wavefront6targetE0EEEvT1_.has_dyn_sized_stack, 0
	.set _ZN7rocprim17ROCPRIM_400000_NS6detail17trampoline_kernelINS0_14default_configENS1_25partition_config_selectorILNS1_17partition_subalgoE9EllbEEZZNS1_14partition_implILS5_9ELb0ES3_jPlS8_PNS0_10empty_typeENS0_5tupleIJS8_S9_EEENSB_IJS8_SA_EEENS0_18inequality_wrapperIZN2at6native12_GLOBAL__N_124unique_dim_cuda_templateIN3c108BFloat16EEESt5tupleIJNSF_6TensorESM_SM_EERKSM_lbbbEUlllE0_EEPmJS9_EEE10hipError_tPvRmT3_T4_T5_T6_T7_T9_mT8_P12ihipStream_tbDpT10_ENKUlT_T0_E_clISt17integral_constantIbLb1EES1C_EEDaS17_S18_EUlS17_E_NS1_11comp_targetILNS1_3genE9ELNS1_11target_archE1100ELNS1_3gpuE3ELNS1_3repE0EEENS1_30default_config_static_selectorELNS0_4arch9wavefront6targetE0EEEvT1_.has_recursion, 0
	.set _ZN7rocprim17ROCPRIM_400000_NS6detail17trampoline_kernelINS0_14default_configENS1_25partition_config_selectorILNS1_17partition_subalgoE9EllbEEZZNS1_14partition_implILS5_9ELb0ES3_jPlS8_PNS0_10empty_typeENS0_5tupleIJS8_S9_EEENSB_IJS8_SA_EEENS0_18inequality_wrapperIZN2at6native12_GLOBAL__N_124unique_dim_cuda_templateIN3c108BFloat16EEESt5tupleIJNSF_6TensorESM_SM_EERKSM_lbbbEUlllE0_EEPmJS9_EEE10hipError_tPvRmT3_T4_T5_T6_T7_T9_mT8_P12ihipStream_tbDpT10_ENKUlT_T0_E_clISt17integral_constantIbLb1EES1C_EEDaS17_S18_EUlS17_E_NS1_11comp_targetILNS1_3genE9ELNS1_11target_archE1100ELNS1_3gpuE3ELNS1_3repE0EEENS1_30default_config_static_selectorELNS0_4arch9wavefront6targetE0EEEvT1_.has_indirect_call, 0
	.section	.AMDGPU.csdata,"",@progbits
; Kernel info:
; codeLenInByte = 0
; TotalNumSgprs: 0
; NumVgprs: 0
; ScratchSize: 0
; MemoryBound: 0
; FloatMode: 240
; IeeeMode: 1
; LDSByteSize: 0 bytes/workgroup (compile time only)
; SGPRBlocks: 0
; VGPRBlocks: 0
; NumSGPRsForWavesPerEU: 1
; NumVGPRsForWavesPerEU: 1
; NamedBarCnt: 0
; Occupancy: 16
; WaveLimiterHint : 0
; COMPUTE_PGM_RSRC2:SCRATCH_EN: 0
; COMPUTE_PGM_RSRC2:USER_SGPR: 2
; COMPUTE_PGM_RSRC2:TRAP_HANDLER: 0
; COMPUTE_PGM_RSRC2:TGID_X_EN: 1
; COMPUTE_PGM_RSRC2:TGID_Y_EN: 0
; COMPUTE_PGM_RSRC2:TGID_Z_EN: 0
; COMPUTE_PGM_RSRC2:TIDIG_COMP_CNT: 0
	.section	.text._ZN7rocprim17ROCPRIM_400000_NS6detail17trampoline_kernelINS0_14default_configENS1_25partition_config_selectorILNS1_17partition_subalgoE9EllbEEZZNS1_14partition_implILS5_9ELb0ES3_jPlS8_PNS0_10empty_typeENS0_5tupleIJS8_S9_EEENSB_IJS8_SA_EEENS0_18inequality_wrapperIZN2at6native12_GLOBAL__N_124unique_dim_cuda_templateIN3c108BFloat16EEESt5tupleIJNSF_6TensorESM_SM_EERKSM_lbbbEUlllE0_EEPmJS9_EEE10hipError_tPvRmT3_T4_T5_T6_T7_T9_mT8_P12ihipStream_tbDpT10_ENKUlT_T0_E_clISt17integral_constantIbLb1EES1C_EEDaS17_S18_EUlS17_E_NS1_11comp_targetILNS1_3genE8ELNS1_11target_archE1030ELNS1_3gpuE2ELNS1_3repE0EEENS1_30default_config_static_selectorELNS0_4arch9wavefront6targetE0EEEvT1_,"axG",@progbits,_ZN7rocprim17ROCPRIM_400000_NS6detail17trampoline_kernelINS0_14default_configENS1_25partition_config_selectorILNS1_17partition_subalgoE9EllbEEZZNS1_14partition_implILS5_9ELb0ES3_jPlS8_PNS0_10empty_typeENS0_5tupleIJS8_S9_EEENSB_IJS8_SA_EEENS0_18inequality_wrapperIZN2at6native12_GLOBAL__N_124unique_dim_cuda_templateIN3c108BFloat16EEESt5tupleIJNSF_6TensorESM_SM_EERKSM_lbbbEUlllE0_EEPmJS9_EEE10hipError_tPvRmT3_T4_T5_T6_T7_T9_mT8_P12ihipStream_tbDpT10_ENKUlT_T0_E_clISt17integral_constantIbLb1EES1C_EEDaS17_S18_EUlS17_E_NS1_11comp_targetILNS1_3genE8ELNS1_11target_archE1030ELNS1_3gpuE2ELNS1_3repE0EEENS1_30default_config_static_selectorELNS0_4arch9wavefront6targetE0EEEvT1_,comdat
	.globl	_ZN7rocprim17ROCPRIM_400000_NS6detail17trampoline_kernelINS0_14default_configENS1_25partition_config_selectorILNS1_17partition_subalgoE9EllbEEZZNS1_14partition_implILS5_9ELb0ES3_jPlS8_PNS0_10empty_typeENS0_5tupleIJS8_S9_EEENSB_IJS8_SA_EEENS0_18inequality_wrapperIZN2at6native12_GLOBAL__N_124unique_dim_cuda_templateIN3c108BFloat16EEESt5tupleIJNSF_6TensorESM_SM_EERKSM_lbbbEUlllE0_EEPmJS9_EEE10hipError_tPvRmT3_T4_T5_T6_T7_T9_mT8_P12ihipStream_tbDpT10_ENKUlT_T0_E_clISt17integral_constantIbLb1EES1C_EEDaS17_S18_EUlS17_E_NS1_11comp_targetILNS1_3genE8ELNS1_11target_archE1030ELNS1_3gpuE2ELNS1_3repE0EEENS1_30default_config_static_selectorELNS0_4arch9wavefront6targetE0EEEvT1_ ; -- Begin function _ZN7rocprim17ROCPRIM_400000_NS6detail17trampoline_kernelINS0_14default_configENS1_25partition_config_selectorILNS1_17partition_subalgoE9EllbEEZZNS1_14partition_implILS5_9ELb0ES3_jPlS8_PNS0_10empty_typeENS0_5tupleIJS8_S9_EEENSB_IJS8_SA_EEENS0_18inequality_wrapperIZN2at6native12_GLOBAL__N_124unique_dim_cuda_templateIN3c108BFloat16EEESt5tupleIJNSF_6TensorESM_SM_EERKSM_lbbbEUlllE0_EEPmJS9_EEE10hipError_tPvRmT3_T4_T5_T6_T7_T9_mT8_P12ihipStream_tbDpT10_ENKUlT_T0_E_clISt17integral_constantIbLb1EES1C_EEDaS17_S18_EUlS17_E_NS1_11comp_targetILNS1_3genE8ELNS1_11target_archE1030ELNS1_3gpuE2ELNS1_3repE0EEENS1_30default_config_static_selectorELNS0_4arch9wavefront6targetE0EEEvT1_
	.p2align	8
	.type	_ZN7rocprim17ROCPRIM_400000_NS6detail17trampoline_kernelINS0_14default_configENS1_25partition_config_selectorILNS1_17partition_subalgoE9EllbEEZZNS1_14partition_implILS5_9ELb0ES3_jPlS8_PNS0_10empty_typeENS0_5tupleIJS8_S9_EEENSB_IJS8_SA_EEENS0_18inequality_wrapperIZN2at6native12_GLOBAL__N_124unique_dim_cuda_templateIN3c108BFloat16EEESt5tupleIJNSF_6TensorESM_SM_EERKSM_lbbbEUlllE0_EEPmJS9_EEE10hipError_tPvRmT3_T4_T5_T6_T7_T9_mT8_P12ihipStream_tbDpT10_ENKUlT_T0_E_clISt17integral_constantIbLb1EES1C_EEDaS17_S18_EUlS17_E_NS1_11comp_targetILNS1_3genE8ELNS1_11target_archE1030ELNS1_3gpuE2ELNS1_3repE0EEENS1_30default_config_static_selectorELNS0_4arch9wavefront6targetE0EEEvT1_,@function
_ZN7rocprim17ROCPRIM_400000_NS6detail17trampoline_kernelINS0_14default_configENS1_25partition_config_selectorILNS1_17partition_subalgoE9EllbEEZZNS1_14partition_implILS5_9ELb0ES3_jPlS8_PNS0_10empty_typeENS0_5tupleIJS8_S9_EEENSB_IJS8_SA_EEENS0_18inequality_wrapperIZN2at6native12_GLOBAL__N_124unique_dim_cuda_templateIN3c108BFloat16EEESt5tupleIJNSF_6TensorESM_SM_EERKSM_lbbbEUlllE0_EEPmJS9_EEE10hipError_tPvRmT3_T4_T5_T6_T7_T9_mT8_P12ihipStream_tbDpT10_ENKUlT_T0_E_clISt17integral_constantIbLb1EES1C_EEDaS17_S18_EUlS17_E_NS1_11comp_targetILNS1_3genE8ELNS1_11target_archE1030ELNS1_3gpuE2ELNS1_3repE0EEENS1_30default_config_static_selectorELNS0_4arch9wavefront6targetE0EEEvT1_: ; @_ZN7rocprim17ROCPRIM_400000_NS6detail17trampoline_kernelINS0_14default_configENS1_25partition_config_selectorILNS1_17partition_subalgoE9EllbEEZZNS1_14partition_implILS5_9ELb0ES3_jPlS8_PNS0_10empty_typeENS0_5tupleIJS8_S9_EEENSB_IJS8_SA_EEENS0_18inequality_wrapperIZN2at6native12_GLOBAL__N_124unique_dim_cuda_templateIN3c108BFloat16EEESt5tupleIJNSF_6TensorESM_SM_EERKSM_lbbbEUlllE0_EEPmJS9_EEE10hipError_tPvRmT3_T4_T5_T6_T7_T9_mT8_P12ihipStream_tbDpT10_ENKUlT_T0_E_clISt17integral_constantIbLb1EES1C_EEDaS17_S18_EUlS17_E_NS1_11comp_targetILNS1_3genE8ELNS1_11target_archE1030ELNS1_3gpuE2ELNS1_3repE0EEENS1_30default_config_static_selectorELNS0_4arch9wavefront6targetE0EEEvT1_
; %bb.0:
	.section	.rodata,"a",@progbits
	.p2align	6, 0x0
	.amdhsa_kernel _ZN7rocprim17ROCPRIM_400000_NS6detail17trampoline_kernelINS0_14default_configENS1_25partition_config_selectorILNS1_17partition_subalgoE9EllbEEZZNS1_14partition_implILS5_9ELb0ES3_jPlS8_PNS0_10empty_typeENS0_5tupleIJS8_S9_EEENSB_IJS8_SA_EEENS0_18inequality_wrapperIZN2at6native12_GLOBAL__N_124unique_dim_cuda_templateIN3c108BFloat16EEESt5tupleIJNSF_6TensorESM_SM_EERKSM_lbbbEUlllE0_EEPmJS9_EEE10hipError_tPvRmT3_T4_T5_T6_T7_T9_mT8_P12ihipStream_tbDpT10_ENKUlT_T0_E_clISt17integral_constantIbLb1EES1C_EEDaS17_S18_EUlS17_E_NS1_11comp_targetILNS1_3genE8ELNS1_11target_archE1030ELNS1_3gpuE2ELNS1_3repE0EEENS1_30default_config_static_selectorELNS0_4arch9wavefront6targetE0EEEvT1_
		.amdhsa_group_segment_fixed_size 0
		.amdhsa_private_segment_fixed_size 0
		.amdhsa_kernarg_size 136
		.amdhsa_user_sgpr_count 2
		.amdhsa_user_sgpr_dispatch_ptr 0
		.amdhsa_user_sgpr_queue_ptr 0
		.amdhsa_user_sgpr_kernarg_segment_ptr 1
		.amdhsa_user_sgpr_dispatch_id 0
		.amdhsa_user_sgpr_kernarg_preload_length 0
		.amdhsa_user_sgpr_kernarg_preload_offset 0
		.amdhsa_user_sgpr_private_segment_size 0
		.amdhsa_wavefront_size32 1
		.amdhsa_uses_dynamic_stack 0
		.amdhsa_enable_private_segment 0
		.amdhsa_system_sgpr_workgroup_id_x 1
		.amdhsa_system_sgpr_workgroup_id_y 0
		.amdhsa_system_sgpr_workgroup_id_z 0
		.amdhsa_system_sgpr_workgroup_info 0
		.amdhsa_system_vgpr_workitem_id 0
		.amdhsa_next_free_vgpr 1
		.amdhsa_next_free_sgpr 1
		.amdhsa_named_barrier_count 0
		.amdhsa_reserve_vcc 0
		.amdhsa_float_round_mode_32 0
		.amdhsa_float_round_mode_16_64 0
		.amdhsa_float_denorm_mode_32 3
		.amdhsa_float_denorm_mode_16_64 3
		.amdhsa_fp16_overflow 0
		.amdhsa_memory_ordered 1
		.amdhsa_forward_progress 1
		.amdhsa_inst_pref_size 0
		.amdhsa_round_robin_scheduling 0
		.amdhsa_exception_fp_ieee_invalid_op 0
		.amdhsa_exception_fp_denorm_src 0
		.amdhsa_exception_fp_ieee_div_zero 0
		.amdhsa_exception_fp_ieee_overflow 0
		.amdhsa_exception_fp_ieee_underflow 0
		.amdhsa_exception_fp_ieee_inexact 0
		.amdhsa_exception_int_div_zero 0
	.end_amdhsa_kernel
	.section	.text._ZN7rocprim17ROCPRIM_400000_NS6detail17trampoline_kernelINS0_14default_configENS1_25partition_config_selectorILNS1_17partition_subalgoE9EllbEEZZNS1_14partition_implILS5_9ELb0ES3_jPlS8_PNS0_10empty_typeENS0_5tupleIJS8_S9_EEENSB_IJS8_SA_EEENS0_18inequality_wrapperIZN2at6native12_GLOBAL__N_124unique_dim_cuda_templateIN3c108BFloat16EEESt5tupleIJNSF_6TensorESM_SM_EERKSM_lbbbEUlllE0_EEPmJS9_EEE10hipError_tPvRmT3_T4_T5_T6_T7_T9_mT8_P12ihipStream_tbDpT10_ENKUlT_T0_E_clISt17integral_constantIbLb1EES1C_EEDaS17_S18_EUlS17_E_NS1_11comp_targetILNS1_3genE8ELNS1_11target_archE1030ELNS1_3gpuE2ELNS1_3repE0EEENS1_30default_config_static_selectorELNS0_4arch9wavefront6targetE0EEEvT1_,"axG",@progbits,_ZN7rocprim17ROCPRIM_400000_NS6detail17trampoline_kernelINS0_14default_configENS1_25partition_config_selectorILNS1_17partition_subalgoE9EllbEEZZNS1_14partition_implILS5_9ELb0ES3_jPlS8_PNS0_10empty_typeENS0_5tupleIJS8_S9_EEENSB_IJS8_SA_EEENS0_18inequality_wrapperIZN2at6native12_GLOBAL__N_124unique_dim_cuda_templateIN3c108BFloat16EEESt5tupleIJNSF_6TensorESM_SM_EERKSM_lbbbEUlllE0_EEPmJS9_EEE10hipError_tPvRmT3_T4_T5_T6_T7_T9_mT8_P12ihipStream_tbDpT10_ENKUlT_T0_E_clISt17integral_constantIbLb1EES1C_EEDaS17_S18_EUlS17_E_NS1_11comp_targetILNS1_3genE8ELNS1_11target_archE1030ELNS1_3gpuE2ELNS1_3repE0EEENS1_30default_config_static_selectorELNS0_4arch9wavefront6targetE0EEEvT1_,comdat
.Lfunc_end1221:
	.size	_ZN7rocprim17ROCPRIM_400000_NS6detail17trampoline_kernelINS0_14default_configENS1_25partition_config_selectorILNS1_17partition_subalgoE9EllbEEZZNS1_14partition_implILS5_9ELb0ES3_jPlS8_PNS0_10empty_typeENS0_5tupleIJS8_S9_EEENSB_IJS8_SA_EEENS0_18inequality_wrapperIZN2at6native12_GLOBAL__N_124unique_dim_cuda_templateIN3c108BFloat16EEESt5tupleIJNSF_6TensorESM_SM_EERKSM_lbbbEUlllE0_EEPmJS9_EEE10hipError_tPvRmT3_T4_T5_T6_T7_T9_mT8_P12ihipStream_tbDpT10_ENKUlT_T0_E_clISt17integral_constantIbLb1EES1C_EEDaS17_S18_EUlS17_E_NS1_11comp_targetILNS1_3genE8ELNS1_11target_archE1030ELNS1_3gpuE2ELNS1_3repE0EEENS1_30default_config_static_selectorELNS0_4arch9wavefront6targetE0EEEvT1_, .Lfunc_end1221-_ZN7rocprim17ROCPRIM_400000_NS6detail17trampoline_kernelINS0_14default_configENS1_25partition_config_selectorILNS1_17partition_subalgoE9EllbEEZZNS1_14partition_implILS5_9ELb0ES3_jPlS8_PNS0_10empty_typeENS0_5tupleIJS8_S9_EEENSB_IJS8_SA_EEENS0_18inequality_wrapperIZN2at6native12_GLOBAL__N_124unique_dim_cuda_templateIN3c108BFloat16EEESt5tupleIJNSF_6TensorESM_SM_EERKSM_lbbbEUlllE0_EEPmJS9_EEE10hipError_tPvRmT3_T4_T5_T6_T7_T9_mT8_P12ihipStream_tbDpT10_ENKUlT_T0_E_clISt17integral_constantIbLb1EES1C_EEDaS17_S18_EUlS17_E_NS1_11comp_targetILNS1_3genE8ELNS1_11target_archE1030ELNS1_3gpuE2ELNS1_3repE0EEENS1_30default_config_static_selectorELNS0_4arch9wavefront6targetE0EEEvT1_
                                        ; -- End function
	.set _ZN7rocprim17ROCPRIM_400000_NS6detail17trampoline_kernelINS0_14default_configENS1_25partition_config_selectorILNS1_17partition_subalgoE9EllbEEZZNS1_14partition_implILS5_9ELb0ES3_jPlS8_PNS0_10empty_typeENS0_5tupleIJS8_S9_EEENSB_IJS8_SA_EEENS0_18inequality_wrapperIZN2at6native12_GLOBAL__N_124unique_dim_cuda_templateIN3c108BFloat16EEESt5tupleIJNSF_6TensorESM_SM_EERKSM_lbbbEUlllE0_EEPmJS9_EEE10hipError_tPvRmT3_T4_T5_T6_T7_T9_mT8_P12ihipStream_tbDpT10_ENKUlT_T0_E_clISt17integral_constantIbLb1EES1C_EEDaS17_S18_EUlS17_E_NS1_11comp_targetILNS1_3genE8ELNS1_11target_archE1030ELNS1_3gpuE2ELNS1_3repE0EEENS1_30default_config_static_selectorELNS0_4arch9wavefront6targetE0EEEvT1_.num_vgpr, 0
	.set _ZN7rocprim17ROCPRIM_400000_NS6detail17trampoline_kernelINS0_14default_configENS1_25partition_config_selectorILNS1_17partition_subalgoE9EllbEEZZNS1_14partition_implILS5_9ELb0ES3_jPlS8_PNS0_10empty_typeENS0_5tupleIJS8_S9_EEENSB_IJS8_SA_EEENS0_18inequality_wrapperIZN2at6native12_GLOBAL__N_124unique_dim_cuda_templateIN3c108BFloat16EEESt5tupleIJNSF_6TensorESM_SM_EERKSM_lbbbEUlllE0_EEPmJS9_EEE10hipError_tPvRmT3_T4_T5_T6_T7_T9_mT8_P12ihipStream_tbDpT10_ENKUlT_T0_E_clISt17integral_constantIbLb1EES1C_EEDaS17_S18_EUlS17_E_NS1_11comp_targetILNS1_3genE8ELNS1_11target_archE1030ELNS1_3gpuE2ELNS1_3repE0EEENS1_30default_config_static_selectorELNS0_4arch9wavefront6targetE0EEEvT1_.num_agpr, 0
	.set _ZN7rocprim17ROCPRIM_400000_NS6detail17trampoline_kernelINS0_14default_configENS1_25partition_config_selectorILNS1_17partition_subalgoE9EllbEEZZNS1_14partition_implILS5_9ELb0ES3_jPlS8_PNS0_10empty_typeENS0_5tupleIJS8_S9_EEENSB_IJS8_SA_EEENS0_18inequality_wrapperIZN2at6native12_GLOBAL__N_124unique_dim_cuda_templateIN3c108BFloat16EEESt5tupleIJNSF_6TensorESM_SM_EERKSM_lbbbEUlllE0_EEPmJS9_EEE10hipError_tPvRmT3_T4_T5_T6_T7_T9_mT8_P12ihipStream_tbDpT10_ENKUlT_T0_E_clISt17integral_constantIbLb1EES1C_EEDaS17_S18_EUlS17_E_NS1_11comp_targetILNS1_3genE8ELNS1_11target_archE1030ELNS1_3gpuE2ELNS1_3repE0EEENS1_30default_config_static_selectorELNS0_4arch9wavefront6targetE0EEEvT1_.numbered_sgpr, 0
	.set _ZN7rocprim17ROCPRIM_400000_NS6detail17trampoline_kernelINS0_14default_configENS1_25partition_config_selectorILNS1_17partition_subalgoE9EllbEEZZNS1_14partition_implILS5_9ELb0ES3_jPlS8_PNS0_10empty_typeENS0_5tupleIJS8_S9_EEENSB_IJS8_SA_EEENS0_18inequality_wrapperIZN2at6native12_GLOBAL__N_124unique_dim_cuda_templateIN3c108BFloat16EEESt5tupleIJNSF_6TensorESM_SM_EERKSM_lbbbEUlllE0_EEPmJS9_EEE10hipError_tPvRmT3_T4_T5_T6_T7_T9_mT8_P12ihipStream_tbDpT10_ENKUlT_T0_E_clISt17integral_constantIbLb1EES1C_EEDaS17_S18_EUlS17_E_NS1_11comp_targetILNS1_3genE8ELNS1_11target_archE1030ELNS1_3gpuE2ELNS1_3repE0EEENS1_30default_config_static_selectorELNS0_4arch9wavefront6targetE0EEEvT1_.num_named_barrier, 0
	.set _ZN7rocprim17ROCPRIM_400000_NS6detail17trampoline_kernelINS0_14default_configENS1_25partition_config_selectorILNS1_17partition_subalgoE9EllbEEZZNS1_14partition_implILS5_9ELb0ES3_jPlS8_PNS0_10empty_typeENS0_5tupleIJS8_S9_EEENSB_IJS8_SA_EEENS0_18inequality_wrapperIZN2at6native12_GLOBAL__N_124unique_dim_cuda_templateIN3c108BFloat16EEESt5tupleIJNSF_6TensorESM_SM_EERKSM_lbbbEUlllE0_EEPmJS9_EEE10hipError_tPvRmT3_T4_T5_T6_T7_T9_mT8_P12ihipStream_tbDpT10_ENKUlT_T0_E_clISt17integral_constantIbLb1EES1C_EEDaS17_S18_EUlS17_E_NS1_11comp_targetILNS1_3genE8ELNS1_11target_archE1030ELNS1_3gpuE2ELNS1_3repE0EEENS1_30default_config_static_selectorELNS0_4arch9wavefront6targetE0EEEvT1_.private_seg_size, 0
	.set _ZN7rocprim17ROCPRIM_400000_NS6detail17trampoline_kernelINS0_14default_configENS1_25partition_config_selectorILNS1_17partition_subalgoE9EllbEEZZNS1_14partition_implILS5_9ELb0ES3_jPlS8_PNS0_10empty_typeENS0_5tupleIJS8_S9_EEENSB_IJS8_SA_EEENS0_18inequality_wrapperIZN2at6native12_GLOBAL__N_124unique_dim_cuda_templateIN3c108BFloat16EEESt5tupleIJNSF_6TensorESM_SM_EERKSM_lbbbEUlllE0_EEPmJS9_EEE10hipError_tPvRmT3_T4_T5_T6_T7_T9_mT8_P12ihipStream_tbDpT10_ENKUlT_T0_E_clISt17integral_constantIbLb1EES1C_EEDaS17_S18_EUlS17_E_NS1_11comp_targetILNS1_3genE8ELNS1_11target_archE1030ELNS1_3gpuE2ELNS1_3repE0EEENS1_30default_config_static_selectorELNS0_4arch9wavefront6targetE0EEEvT1_.uses_vcc, 0
	.set _ZN7rocprim17ROCPRIM_400000_NS6detail17trampoline_kernelINS0_14default_configENS1_25partition_config_selectorILNS1_17partition_subalgoE9EllbEEZZNS1_14partition_implILS5_9ELb0ES3_jPlS8_PNS0_10empty_typeENS0_5tupleIJS8_S9_EEENSB_IJS8_SA_EEENS0_18inequality_wrapperIZN2at6native12_GLOBAL__N_124unique_dim_cuda_templateIN3c108BFloat16EEESt5tupleIJNSF_6TensorESM_SM_EERKSM_lbbbEUlllE0_EEPmJS9_EEE10hipError_tPvRmT3_T4_T5_T6_T7_T9_mT8_P12ihipStream_tbDpT10_ENKUlT_T0_E_clISt17integral_constantIbLb1EES1C_EEDaS17_S18_EUlS17_E_NS1_11comp_targetILNS1_3genE8ELNS1_11target_archE1030ELNS1_3gpuE2ELNS1_3repE0EEENS1_30default_config_static_selectorELNS0_4arch9wavefront6targetE0EEEvT1_.uses_flat_scratch, 0
	.set _ZN7rocprim17ROCPRIM_400000_NS6detail17trampoline_kernelINS0_14default_configENS1_25partition_config_selectorILNS1_17partition_subalgoE9EllbEEZZNS1_14partition_implILS5_9ELb0ES3_jPlS8_PNS0_10empty_typeENS0_5tupleIJS8_S9_EEENSB_IJS8_SA_EEENS0_18inequality_wrapperIZN2at6native12_GLOBAL__N_124unique_dim_cuda_templateIN3c108BFloat16EEESt5tupleIJNSF_6TensorESM_SM_EERKSM_lbbbEUlllE0_EEPmJS9_EEE10hipError_tPvRmT3_T4_T5_T6_T7_T9_mT8_P12ihipStream_tbDpT10_ENKUlT_T0_E_clISt17integral_constantIbLb1EES1C_EEDaS17_S18_EUlS17_E_NS1_11comp_targetILNS1_3genE8ELNS1_11target_archE1030ELNS1_3gpuE2ELNS1_3repE0EEENS1_30default_config_static_selectorELNS0_4arch9wavefront6targetE0EEEvT1_.has_dyn_sized_stack, 0
	.set _ZN7rocprim17ROCPRIM_400000_NS6detail17trampoline_kernelINS0_14default_configENS1_25partition_config_selectorILNS1_17partition_subalgoE9EllbEEZZNS1_14partition_implILS5_9ELb0ES3_jPlS8_PNS0_10empty_typeENS0_5tupleIJS8_S9_EEENSB_IJS8_SA_EEENS0_18inequality_wrapperIZN2at6native12_GLOBAL__N_124unique_dim_cuda_templateIN3c108BFloat16EEESt5tupleIJNSF_6TensorESM_SM_EERKSM_lbbbEUlllE0_EEPmJS9_EEE10hipError_tPvRmT3_T4_T5_T6_T7_T9_mT8_P12ihipStream_tbDpT10_ENKUlT_T0_E_clISt17integral_constantIbLb1EES1C_EEDaS17_S18_EUlS17_E_NS1_11comp_targetILNS1_3genE8ELNS1_11target_archE1030ELNS1_3gpuE2ELNS1_3repE0EEENS1_30default_config_static_selectorELNS0_4arch9wavefront6targetE0EEEvT1_.has_recursion, 0
	.set _ZN7rocprim17ROCPRIM_400000_NS6detail17trampoline_kernelINS0_14default_configENS1_25partition_config_selectorILNS1_17partition_subalgoE9EllbEEZZNS1_14partition_implILS5_9ELb0ES3_jPlS8_PNS0_10empty_typeENS0_5tupleIJS8_S9_EEENSB_IJS8_SA_EEENS0_18inequality_wrapperIZN2at6native12_GLOBAL__N_124unique_dim_cuda_templateIN3c108BFloat16EEESt5tupleIJNSF_6TensorESM_SM_EERKSM_lbbbEUlllE0_EEPmJS9_EEE10hipError_tPvRmT3_T4_T5_T6_T7_T9_mT8_P12ihipStream_tbDpT10_ENKUlT_T0_E_clISt17integral_constantIbLb1EES1C_EEDaS17_S18_EUlS17_E_NS1_11comp_targetILNS1_3genE8ELNS1_11target_archE1030ELNS1_3gpuE2ELNS1_3repE0EEENS1_30default_config_static_selectorELNS0_4arch9wavefront6targetE0EEEvT1_.has_indirect_call, 0
	.section	.AMDGPU.csdata,"",@progbits
; Kernel info:
; codeLenInByte = 0
; TotalNumSgprs: 0
; NumVgprs: 0
; ScratchSize: 0
; MemoryBound: 0
; FloatMode: 240
; IeeeMode: 1
; LDSByteSize: 0 bytes/workgroup (compile time only)
; SGPRBlocks: 0
; VGPRBlocks: 0
; NumSGPRsForWavesPerEU: 1
; NumVGPRsForWavesPerEU: 1
; NamedBarCnt: 0
; Occupancy: 16
; WaveLimiterHint : 0
; COMPUTE_PGM_RSRC2:SCRATCH_EN: 0
; COMPUTE_PGM_RSRC2:USER_SGPR: 2
; COMPUTE_PGM_RSRC2:TRAP_HANDLER: 0
; COMPUTE_PGM_RSRC2:TGID_X_EN: 1
; COMPUTE_PGM_RSRC2:TGID_Y_EN: 0
; COMPUTE_PGM_RSRC2:TGID_Z_EN: 0
; COMPUTE_PGM_RSRC2:TIDIG_COMP_CNT: 0
	.section	.text._ZN7rocprim17ROCPRIM_400000_NS6detail17trampoline_kernelINS0_14default_configENS1_25partition_config_selectorILNS1_17partition_subalgoE9EllbEEZZNS1_14partition_implILS5_9ELb0ES3_jPlS8_PNS0_10empty_typeENS0_5tupleIJS8_S9_EEENSB_IJS8_SA_EEENS0_18inequality_wrapperIZN2at6native12_GLOBAL__N_124unique_dim_cuda_templateIN3c108BFloat16EEESt5tupleIJNSF_6TensorESM_SM_EERKSM_lbbbEUlllE0_EEPmJS9_EEE10hipError_tPvRmT3_T4_T5_T6_T7_T9_mT8_P12ihipStream_tbDpT10_ENKUlT_T0_E_clISt17integral_constantIbLb1EES1B_IbLb0EEEEDaS17_S18_EUlS17_E_NS1_11comp_targetILNS1_3genE0ELNS1_11target_archE4294967295ELNS1_3gpuE0ELNS1_3repE0EEENS1_30default_config_static_selectorELNS0_4arch9wavefront6targetE0EEEvT1_,"axG",@progbits,_ZN7rocprim17ROCPRIM_400000_NS6detail17trampoline_kernelINS0_14default_configENS1_25partition_config_selectorILNS1_17partition_subalgoE9EllbEEZZNS1_14partition_implILS5_9ELb0ES3_jPlS8_PNS0_10empty_typeENS0_5tupleIJS8_S9_EEENSB_IJS8_SA_EEENS0_18inequality_wrapperIZN2at6native12_GLOBAL__N_124unique_dim_cuda_templateIN3c108BFloat16EEESt5tupleIJNSF_6TensorESM_SM_EERKSM_lbbbEUlllE0_EEPmJS9_EEE10hipError_tPvRmT3_T4_T5_T6_T7_T9_mT8_P12ihipStream_tbDpT10_ENKUlT_T0_E_clISt17integral_constantIbLb1EES1B_IbLb0EEEEDaS17_S18_EUlS17_E_NS1_11comp_targetILNS1_3genE0ELNS1_11target_archE4294967295ELNS1_3gpuE0ELNS1_3repE0EEENS1_30default_config_static_selectorELNS0_4arch9wavefront6targetE0EEEvT1_,comdat
	.globl	_ZN7rocprim17ROCPRIM_400000_NS6detail17trampoline_kernelINS0_14default_configENS1_25partition_config_selectorILNS1_17partition_subalgoE9EllbEEZZNS1_14partition_implILS5_9ELb0ES3_jPlS8_PNS0_10empty_typeENS0_5tupleIJS8_S9_EEENSB_IJS8_SA_EEENS0_18inequality_wrapperIZN2at6native12_GLOBAL__N_124unique_dim_cuda_templateIN3c108BFloat16EEESt5tupleIJNSF_6TensorESM_SM_EERKSM_lbbbEUlllE0_EEPmJS9_EEE10hipError_tPvRmT3_T4_T5_T6_T7_T9_mT8_P12ihipStream_tbDpT10_ENKUlT_T0_E_clISt17integral_constantIbLb1EES1B_IbLb0EEEEDaS17_S18_EUlS17_E_NS1_11comp_targetILNS1_3genE0ELNS1_11target_archE4294967295ELNS1_3gpuE0ELNS1_3repE0EEENS1_30default_config_static_selectorELNS0_4arch9wavefront6targetE0EEEvT1_ ; -- Begin function _ZN7rocprim17ROCPRIM_400000_NS6detail17trampoline_kernelINS0_14default_configENS1_25partition_config_selectorILNS1_17partition_subalgoE9EllbEEZZNS1_14partition_implILS5_9ELb0ES3_jPlS8_PNS0_10empty_typeENS0_5tupleIJS8_S9_EEENSB_IJS8_SA_EEENS0_18inequality_wrapperIZN2at6native12_GLOBAL__N_124unique_dim_cuda_templateIN3c108BFloat16EEESt5tupleIJNSF_6TensorESM_SM_EERKSM_lbbbEUlllE0_EEPmJS9_EEE10hipError_tPvRmT3_T4_T5_T6_T7_T9_mT8_P12ihipStream_tbDpT10_ENKUlT_T0_E_clISt17integral_constantIbLb1EES1B_IbLb0EEEEDaS17_S18_EUlS17_E_NS1_11comp_targetILNS1_3genE0ELNS1_11target_archE4294967295ELNS1_3gpuE0ELNS1_3repE0EEENS1_30default_config_static_selectorELNS0_4arch9wavefront6targetE0EEEvT1_
	.p2align	8
	.type	_ZN7rocprim17ROCPRIM_400000_NS6detail17trampoline_kernelINS0_14default_configENS1_25partition_config_selectorILNS1_17partition_subalgoE9EllbEEZZNS1_14partition_implILS5_9ELb0ES3_jPlS8_PNS0_10empty_typeENS0_5tupleIJS8_S9_EEENSB_IJS8_SA_EEENS0_18inequality_wrapperIZN2at6native12_GLOBAL__N_124unique_dim_cuda_templateIN3c108BFloat16EEESt5tupleIJNSF_6TensorESM_SM_EERKSM_lbbbEUlllE0_EEPmJS9_EEE10hipError_tPvRmT3_T4_T5_T6_T7_T9_mT8_P12ihipStream_tbDpT10_ENKUlT_T0_E_clISt17integral_constantIbLb1EES1B_IbLb0EEEEDaS17_S18_EUlS17_E_NS1_11comp_targetILNS1_3genE0ELNS1_11target_archE4294967295ELNS1_3gpuE0ELNS1_3repE0EEENS1_30default_config_static_selectorELNS0_4arch9wavefront6targetE0EEEvT1_,@function
_ZN7rocprim17ROCPRIM_400000_NS6detail17trampoline_kernelINS0_14default_configENS1_25partition_config_selectorILNS1_17partition_subalgoE9EllbEEZZNS1_14partition_implILS5_9ELb0ES3_jPlS8_PNS0_10empty_typeENS0_5tupleIJS8_S9_EEENSB_IJS8_SA_EEENS0_18inequality_wrapperIZN2at6native12_GLOBAL__N_124unique_dim_cuda_templateIN3c108BFloat16EEESt5tupleIJNSF_6TensorESM_SM_EERKSM_lbbbEUlllE0_EEPmJS9_EEE10hipError_tPvRmT3_T4_T5_T6_T7_T9_mT8_P12ihipStream_tbDpT10_ENKUlT_T0_E_clISt17integral_constantIbLb1EES1B_IbLb0EEEEDaS17_S18_EUlS17_E_NS1_11comp_targetILNS1_3genE0ELNS1_11target_archE4294967295ELNS1_3gpuE0ELNS1_3repE0EEENS1_30default_config_static_selectorELNS0_4arch9wavefront6targetE0EEEvT1_: ; @_ZN7rocprim17ROCPRIM_400000_NS6detail17trampoline_kernelINS0_14default_configENS1_25partition_config_selectorILNS1_17partition_subalgoE9EllbEEZZNS1_14partition_implILS5_9ELb0ES3_jPlS8_PNS0_10empty_typeENS0_5tupleIJS8_S9_EEENSB_IJS8_SA_EEENS0_18inequality_wrapperIZN2at6native12_GLOBAL__N_124unique_dim_cuda_templateIN3c108BFloat16EEESt5tupleIJNSF_6TensorESM_SM_EERKSM_lbbbEUlllE0_EEPmJS9_EEE10hipError_tPvRmT3_T4_T5_T6_T7_T9_mT8_P12ihipStream_tbDpT10_ENKUlT_T0_E_clISt17integral_constantIbLb1EES1B_IbLb0EEEEDaS17_S18_EUlS17_E_NS1_11comp_targetILNS1_3genE0ELNS1_11target_archE4294967295ELNS1_3gpuE0ELNS1_3repE0EEENS1_30default_config_static_selectorELNS0_4arch9wavefront6targetE0EEEvT1_
; %bb.0:
	s_endpgm
	.section	.rodata,"a",@progbits
	.p2align	6, 0x0
	.amdhsa_kernel _ZN7rocprim17ROCPRIM_400000_NS6detail17trampoline_kernelINS0_14default_configENS1_25partition_config_selectorILNS1_17partition_subalgoE9EllbEEZZNS1_14partition_implILS5_9ELb0ES3_jPlS8_PNS0_10empty_typeENS0_5tupleIJS8_S9_EEENSB_IJS8_SA_EEENS0_18inequality_wrapperIZN2at6native12_GLOBAL__N_124unique_dim_cuda_templateIN3c108BFloat16EEESt5tupleIJNSF_6TensorESM_SM_EERKSM_lbbbEUlllE0_EEPmJS9_EEE10hipError_tPvRmT3_T4_T5_T6_T7_T9_mT8_P12ihipStream_tbDpT10_ENKUlT_T0_E_clISt17integral_constantIbLb1EES1B_IbLb0EEEEDaS17_S18_EUlS17_E_NS1_11comp_targetILNS1_3genE0ELNS1_11target_archE4294967295ELNS1_3gpuE0ELNS1_3repE0EEENS1_30default_config_static_selectorELNS0_4arch9wavefront6targetE0EEEvT1_
		.amdhsa_group_segment_fixed_size 0
		.amdhsa_private_segment_fixed_size 0
		.amdhsa_kernarg_size 120
		.amdhsa_user_sgpr_count 2
		.amdhsa_user_sgpr_dispatch_ptr 0
		.amdhsa_user_sgpr_queue_ptr 0
		.amdhsa_user_sgpr_kernarg_segment_ptr 1
		.amdhsa_user_sgpr_dispatch_id 0
		.amdhsa_user_sgpr_kernarg_preload_length 0
		.amdhsa_user_sgpr_kernarg_preload_offset 0
		.amdhsa_user_sgpr_private_segment_size 0
		.amdhsa_wavefront_size32 1
		.amdhsa_uses_dynamic_stack 0
		.amdhsa_enable_private_segment 0
		.amdhsa_system_sgpr_workgroup_id_x 1
		.amdhsa_system_sgpr_workgroup_id_y 0
		.amdhsa_system_sgpr_workgroup_id_z 0
		.amdhsa_system_sgpr_workgroup_info 0
		.amdhsa_system_vgpr_workitem_id 0
		.amdhsa_next_free_vgpr 1
		.amdhsa_next_free_sgpr 1
		.amdhsa_named_barrier_count 0
		.amdhsa_reserve_vcc 0
		.amdhsa_float_round_mode_32 0
		.amdhsa_float_round_mode_16_64 0
		.amdhsa_float_denorm_mode_32 3
		.amdhsa_float_denorm_mode_16_64 3
		.amdhsa_fp16_overflow 0
		.amdhsa_memory_ordered 1
		.amdhsa_forward_progress 1
		.amdhsa_inst_pref_size 1
		.amdhsa_round_robin_scheduling 0
		.amdhsa_exception_fp_ieee_invalid_op 0
		.amdhsa_exception_fp_denorm_src 0
		.amdhsa_exception_fp_ieee_div_zero 0
		.amdhsa_exception_fp_ieee_overflow 0
		.amdhsa_exception_fp_ieee_underflow 0
		.amdhsa_exception_fp_ieee_inexact 0
		.amdhsa_exception_int_div_zero 0
	.end_amdhsa_kernel
	.section	.text._ZN7rocprim17ROCPRIM_400000_NS6detail17trampoline_kernelINS0_14default_configENS1_25partition_config_selectorILNS1_17partition_subalgoE9EllbEEZZNS1_14partition_implILS5_9ELb0ES3_jPlS8_PNS0_10empty_typeENS0_5tupleIJS8_S9_EEENSB_IJS8_SA_EEENS0_18inequality_wrapperIZN2at6native12_GLOBAL__N_124unique_dim_cuda_templateIN3c108BFloat16EEESt5tupleIJNSF_6TensorESM_SM_EERKSM_lbbbEUlllE0_EEPmJS9_EEE10hipError_tPvRmT3_T4_T5_T6_T7_T9_mT8_P12ihipStream_tbDpT10_ENKUlT_T0_E_clISt17integral_constantIbLb1EES1B_IbLb0EEEEDaS17_S18_EUlS17_E_NS1_11comp_targetILNS1_3genE0ELNS1_11target_archE4294967295ELNS1_3gpuE0ELNS1_3repE0EEENS1_30default_config_static_selectorELNS0_4arch9wavefront6targetE0EEEvT1_,"axG",@progbits,_ZN7rocprim17ROCPRIM_400000_NS6detail17trampoline_kernelINS0_14default_configENS1_25partition_config_selectorILNS1_17partition_subalgoE9EllbEEZZNS1_14partition_implILS5_9ELb0ES3_jPlS8_PNS0_10empty_typeENS0_5tupleIJS8_S9_EEENSB_IJS8_SA_EEENS0_18inequality_wrapperIZN2at6native12_GLOBAL__N_124unique_dim_cuda_templateIN3c108BFloat16EEESt5tupleIJNSF_6TensorESM_SM_EERKSM_lbbbEUlllE0_EEPmJS9_EEE10hipError_tPvRmT3_T4_T5_T6_T7_T9_mT8_P12ihipStream_tbDpT10_ENKUlT_T0_E_clISt17integral_constantIbLb1EES1B_IbLb0EEEEDaS17_S18_EUlS17_E_NS1_11comp_targetILNS1_3genE0ELNS1_11target_archE4294967295ELNS1_3gpuE0ELNS1_3repE0EEENS1_30default_config_static_selectorELNS0_4arch9wavefront6targetE0EEEvT1_,comdat
.Lfunc_end1222:
	.size	_ZN7rocprim17ROCPRIM_400000_NS6detail17trampoline_kernelINS0_14default_configENS1_25partition_config_selectorILNS1_17partition_subalgoE9EllbEEZZNS1_14partition_implILS5_9ELb0ES3_jPlS8_PNS0_10empty_typeENS0_5tupleIJS8_S9_EEENSB_IJS8_SA_EEENS0_18inequality_wrapperIZN2at6native12_GLOBAL__N_124unique_dim_cuda_templateIN3c108BFloat16EEESt5tupleIJNSF_6TensorESM_SM_EERKSM_lbbbEUlllE0_EEPmJS9_EEE10hipError_tPvRmT3_T4_T5_T6_T7_T9_mT8_P12ihipStream_tbDpT10_ENKUlT_T0_E_clISt17integral_constantIbLb1EES1B_IbLb0EEEEDaS17_S18_EUlS17_E_NS1_11comp_targetILNS1_3genE0ELNS1_11target_archE4294967295ELNS1_3gpuE0ELNS1_3repE0EEENS1_30default_config_static_selectorELNS0_4arch9wavefront6targetE0EEEvT1_, .Lfunc_end1222-_ZN7rocprim17ROCPRIM_400000_NS6detail17trampoline_kernelINS0_14default_configENS1_25partition_config_selectorILNS1_17partition_subalgoE9EllbEEZZNS1_14partition_implILS5_9ELb0ES3_jPlS8_PNS0_10empty_typeENS0_5tupleIJS8_S9_EEENSB_IJS8_SA_EEENS0_18inequality_wrapperIZN2at6native12_GLOBAL__N_124unique_dim_cuda_templateIN3c108BFloat16EEESt5tupleIJNSF_6TensorESM_SM_EERKSM_lbbbEUlllE0_EEPmJS9_EEE10hipError_tPvRmT3_T4_T5_T6_T7_T9_mT8_P12ihipStream_tbDpT10_ENKUlT_T0_E_clISt17integral_constantIbLb1EES1B_IbLb0EEEEDaS17_S18_EUlS17_E_NS1_11comp_targetILNS1_3genE0ELNS1_11target_archE4294967295ELNS1_3gpuE0ELNS1_3repE0EEENS1_30default_config_static_selectorELNS0_4arch9wavefront6targetE0EEEvT1_
                                        ; -- End function
	.set _ZN7rocprim17ROCPRIM_400000_NS6detail17trampoline_kernelINS0_14default_configENS1_25partition_config_selectorILNS1_17partition_subalgoE9EllbEEZZNS1_14partition_implILS5_9ELb0ES3_jPlS8_PNS0_10empty_typeENS0_5tupleIJS8_S9_EEENSB_IJS8_SA_EEENS0_18inequality_wrapperIZN2at6native12_GLOBAL__N_124unique_dim_cuda_templateIN3c108BFloat16EEESt5tupleIJNSF_6TensorESM_SM_EERKSM_lbbbEUlllE0_EEPmJS9_EEE10hipError_tPvRmT3_T4_T5_T6_T7_T9_mT8_P12ihipStream_tbDpT10_ENKUlT_T0_E_clISt17integral_constantIbLb1EES1B_IbLb0EEEEDaS17_S18_EUlS17_E_NS1_11comp_targetILNS1_3genE0ELNS1_11target_archE4294967295ELNS1_3gpuE0ELNS1_3repE0EEENS1_30default_config_static_selectorELNS0_4arch9wavefront6targetE0EEEvT1_.num_vgpr, 0
	.set _ZN7rocprim17ROCPRIM_400000_NS6detail17trampoline_kernelINS0_14default_configENS1_25partition_config_selectorILNS1_17partition_subalgoE9EllbEEZZNS1_14partition_implILS5_9ELb0ES3_jPlS8_PNS0_10empty_typeENS0_5tupleIJS8_S9_EEENSB_IJS8_SA_EEENS0_18inequality_wrapperIZN2at6native12_GLOBAL__N_124unique_dim_cuda_templateIN3c108BFloat16EEESt5tupleIJNSF_6TensorESM_SM_EERKSM_lbbbEUlllE0_EEPmJS9_EEE10hipError_tPvRmT3_T4_T5_T6_T7_T9_mT8_P12ihipStream_tbDpT10_ENKUlT_T0_E_clISt17integral_constantIbLb1EES1B_IbLb0EEEEDaS17_S18_EUlS17_E_NS1_11comp_targetILNS1_3genE0ELNS1_11target_archE4294967295ELNS1_3gpuE0ELNS1_3repE0EEENS1_30default_config_static_selectorELNS0_4arch9wavefront6targetE0EEEvT1_.num_agpr, 0
	.set _ZN7rocprim17ROCPRIM_400000_NS6detail17trampoline_kernelINS0_14default_configENS1_25partition_config_selectorILNS1_17partition_subalgoE9EllbEEZZNS1_14partition_implILS5_9ELb0ES3_jPlS8_PNS0_10empty_typeENS0_5tupleIJS8_S9_EEENSB_IJS8_SA_EEENS0_18inequality_wrapperIZN2at6native12_GLOBAL__N_124unique_dim_cuda_templateIN3c108BFloat16EEESt5tupleIJNSF_6TensorESM_SM_EERKSM_lbbbEUlllE0_EEPmJS9_EEE10hipError_tPvRmT3_T4_T5_T6_T7_T9_mT8_P12ihipStream_tbDpT10_ENKUlT_T0_E_clISt17integral_constantIbLb1EES1B_IbLb0EEEEDaS17_S18_EUlS17_E_NS1_11comp_targetILNS1_3genE0ELNS1_11target_archE4294967295ELNS1_3gpuE0ELNS1_3repE0EEENS1_30default_config_static_selectorELNS0_4arch9wavefront6targetE0EEEvT1_.numbered_sgpr, 0
	.set _ZN7rocprim17ROCPRIM_400000_NS6detail17trampoline_kernelINS0_14default_configENS1_25partition_config_selectorILNS1_17partition_subalgoE9EllbEEZZNS1_14partition_implILS5_9ELb0ES3_jPlS8_PNS0_10empty_typeENS0_5tupleIJS8_S9_EEENSB_IJS8_SA_EEENS0_18inequality_wrapperIZN2at6native12_GLOBAL__N_124unique_dim_cuda_templateIN3c108BFloat16EEESt5tupleIJNSF_6TensorESM_SM_EERKSM_lbbbEUlllE0_EEPmJS9_EEE10hipError_tPvRmT3_T4_T5_T6_T7_T9_mT8_P12ihipStream_tbDpT10_ENKUlT_T0_E_clISt17integral_constantIbLb1EES1B_IbLb0EEEEDaS17_S18_EUlS17_E_NS1_11comp_targetILNS1_3genE0ELNS1_11target_archE4294967295ELNS1_3gpuE0ELNS1_3repE0EEENS1_30default_config_static_selectorELNS0_4arch9wavefront6targetE0EEEvT1_.num_named_barrier, 0
	.set _ZN7rocprim17ROCPRIM_400000_NS6detail17trampoline_kernelINS0_14default_configENS1_25partition_config_selectorILNS1_17partition_subalgoE9EllbEEZZNS1_14partition_implILS5_9ELb0ES3_jPlS8_PNS0_10empty_typeENS0_5tupleIJS8_S9_EEENSB_IJS8_SA_EEENS0_18inequality_wrapperIZN2at6native12_GLOBAL__N_124unique_dim_cuda_templateIN3c108BFloat16EEESt5tupleIJNSF_6TensorESM_SM_EERKSM_lbbbEUlllE0_EEPmJS9_EEE10hipError_tPvRmT3_T4_T5_T6_T7_T9_mT8_P12ihipStream_tbDpT10_ENKUlT_T0_E_clISt17integral_constantIbLb1EES1B_IbLb0EEEEDaS17_S18_EUlS17_E_NS1_11comp_targetILNS1_3genE0ELNS1_11target_archE4294967295ELNS1_3gpuE0ELNS1_3repE0EEENS1_30default_config_static_selectorELNS0_4arch9wavefront6targetE0EEEvT1_.private_seg_size, 0
	.set _ZN7rocprim17ROCPRIM_400000_NS6detail17trampoline_kernelINS0_14default_configENS1_25partition_config_selectorILNS1_17partition_subalgoE9EllbEEZZNS1_14partition_implILS5_9ELb0ES3_jPlS8_PNS0_10empty_typeENS0_5tupleIJS8_S9_EEENSB_IJS8_SA_EEENS0_18inequality_wrapperIZN2at6native12_GLOBAL__N_124unique_dim_cuda_templateIN3c108BFloat16EEESt5tupleIJNSF_6TensorESM_SM_EERKSM_lbbbEUlllE0_EEPmJS9_EEE10hipError_tPvRmT3_T4_T5_T6_T7_T9_mT8_P12ihipStream_tbDpT10_ENKUlT_T0_E_clISt17integral_constantIbLb1EES1B_IbLb0EEEEDaS17_S18_EUlS17_E_NS1_11comp_targetILNS1_3genE0ELNS1_11target_archE4294967295ELNS1_3gpuE0ELNS1_3repE0EEENS1_30default_config_static_selectorELNS0_4arch9wavefront6targetE0EEEvT1_.uses_vcc, 0
	.set _ZN7rocprim17ROCPRIM_400000_NS6detail17trampoline_kernelINS0_14default_configENS1_25partition_config_selectorILNS1_17partition_subalgoE9EllbEEZZNS1_14partition_implILS5_9ELb0ES3_jPlS8_PNS0_10empty_typeENS0_5tupleIJS8_S9_EEENSB_IJS8_SA_EEENS0_18inequality_wrapperIZN2at6native12_GLOBAL__N_124unique_dim_cuda_templateIN3c108BFloat16EEESt5tupleIJNSF_6TensorESM_SM_EERKSM_lbbbEUlllE0_EEPmJS9_EEE10hipError_tPvRmT3_T4_T5_T6_T7_T9_mT8_P12ihipStream_tbDpT10_ENKUlT_T0_E_clISt17integral_constantIbLb1EES1B_IbLb0EEEEDaS17_S18_EUlS17_E_NS1_11comp_targetILNS1_3genE0ELNS1_11target_archE4294967295ELNS1_3gpuE0ELNS1_3repE0EEENS1_30default_config_static_selectorELNS0_4arch9wavefront6targetE0EEEvT1_.uses_flat_scratch, 0
	.set _ZN7rocprim17ROCPRIM_400000_NS6detail17trampoline_kernelINS0_14default_configENS1_25partition_config_selectorILNS1_17partition_subalgoE9EllbEEZZNS1_14partition_implILS5_9ELb0ES3_jPlS8_PNS0_10empty_typeENS0_5tupleIJS8_S9_EEENSB_IJS8_SA_EEENS0_18inequality_wrapperIZN2at6native12_GLOBAL__N_124unique_dim_cuda_templateIN3c108BFloat16EEESt5tupleIJNSF_6TensorESM_SM_EERKSM_lbbbEUlllE0_EEPmJS9_EEE10hipError_tPvRmT3_T4_T5_T6_T7_T9_mT8_P12ihipStream_tbDpT10_ENKUlT_T0_E_clISt17integral_constantIbLb1EES1B_IbLb0EEEEDaS17_S18_EUlS17_E_NS1_11comp_targetILNS1_3genE0ELNS1_11target_archE4294967295ELNS1_3gpuE0ELNS1_3repE0EEENS1_30default_config_static_selectorELNS0_4arch9wavefront6targetE0EEEvT1_.has_dyn_sized_stack, 0
	.set _ZN7rocprim17ROCPRIM_400000_NS6detail17trampoline_kernelINS0_14default_configENS1_25partition_config_selectorILNS1_17partition_subalgoE9EllbEEZZNS1_14partition_implILS5_9ELb0ES3_jPlS8_PNS0_10empty_typeENS0_5tupleIJS8_S9_EEENSB_IJS8_SA_EEENS0_18inequality_wrapperIZN2at6native12_GLOBAL__N_124unique_dim_cuda_templateIN3c108BFloat16EEESt5tupleIJNSF_6TensorESM_SM_EERKSM_lbbbEUlllE0_EEPmJS9_EEE10hipError_tPvRmT3_T4_T5_T6_T7_T9_mT8_P12ihipStream_tbDpT10_ENKUlT_T0_E_clISt17integral_constantIbLb1EES1B_IbLb0EEEEDaS17_S18_EUlS17_E_NS1_11comp_targetILNS1_3genE0ELNS1_11target_archE4294967295ELNS1_3gpuE0ELNS1_3repE0EEENS1_30default_config_static_selectorELNS0_4arch9wavefront6targetE0EEEvT1_.has_recursion, 0
	.set _ZN7rocprim17ROCPRIM_400000_NS6detail17trampoline_kernelINS0_14default_configENS1_25partition_config_selectorILNS1_17partition_subalgoE9EllbEEZZNS1_14partition_implILS5_9ELb0ES3_jPlS8_PNS0_10empty_typeENS0_5tupleIJS8_S9_EEENSB_IJS8_SA_EEENS0_18inequality_wrapperIZN2at6native12_GLOBAL__N_124unique_dim_cuda_templateIN3c108BFloat16EEESt5tupleIJNSF_6TensorESM_SM_EERKSM_lbbbEUlllE0_EEPmJS9_EEE10hipError_tPvRmT3_T4_T5_T6_T7_T9_mT8_P12ihipStream_tbDpT10_ENKUlT_T0_E_clISt17integral_constantIbLb1EES1B_IbLb0EEEEDaS17_S18_EUlS17_E_NS1_11comp_targetILNS1_3genE0ELNS1_11target_archE4294967295ELNS1_3gpuE0ELNS1_3repE0EEENS1_30default_config_static_selectorELNS0_4arch9wavefront6targetE0EEEvT1_.has_indirect_call, 0
	.section	.AMDGPU.csdata,"",@progbits
; Kernel info:
; codeLenInByte = 4
; TotalNumSgprs: 0
; NumVgprs: 0
; ScratchSize: 0
; MemoryBound: 0
; FloatMode: 240
; IeeeMode: 1
; LDSByteSize: 0 bytes/workgroup (compile time only)
; SGPRBlocks: 0
; VGPRBlocks: 0
; NumSGPRsForWavesPerEU: 1
; NumVGPRsForWavesPerEU: 1
; NamedBarCnt: 0
; Occupancy: 16
; WaveLimiterHint : 0
; COMPUTE_PGM_RSRC2:SCRATCH_EN: 0
; COMPUTE_PGM_RSRC2:USER_SGPR: 2
; COMPUTE_PGM_RSRC2:TRAP_HANDLER: 0
; COMPUTE_PGM_RSRC2:TGID_X_EN: 1
; COMPUTE_PGM_RSRC2:TGID_Y_EN: 0
; COMPUTE_PGM_RSRC2:TGID_Z_EN: 0
; COMPUTE_PGM_RSRC2:TIDIG_COMP_CNT: 0
	.section	.text._ZN7rocprim17ROCPRIM_400000_NS6detail17trampoline_kernelINS0_14default_configENS1_25partition_config_selectorILNS1_17partition_subalgoE9EllbEEZZNS1_14partition_implILS5_9ELb0ES3_jPlS8_PNS0_10empty_typeENS0_5tupleIJS8_S9_EEENSB_IJS8_SA_EEENS0_18inequality_wrapperIZN2at6native12_GLOBAL__N_124unique_dim_cuda_templateIN3c108BFloat16EEESt5tupleIJNSF_6TensorESM_SM_EERKSM_lbbbEUlllE0_EEPmJS9_EEE10hipError_tPvRmT3_T4_T5_T6_T7_T9_mT8_P12ihipStream_tbDpT10_ENKUlT_T0_E_clISt17integral_constantIbLb1EES1B_IbLb0EEEEDaS17_S18_EUlS17_E_NS1_11comp_targetILNS1_3genE5ELNS1_11target_archE942ELNS1_3gpuE9ELNS1_3repE0EEENS1_30default_config_static_selectorELNS0_4arch9wavefront6targetE0EEEvT1_,"axG",@progbits,_ZN7rocprim17ROCPRIM_400000_NS6detail17trampoline_kernelINS0_14default_configENS1_25partition_config_selectorILNS1_17partition_subalgoE9EllbEEZZNS1_14partition_implILS5_9ELb0ES3_jPlS8_PNS0_10empty_typeENS0_5tupleIJS8_S9_EEENSB_IJS8_SA_EEENS0_18inequality_wrapperIZN2at6native12_GLOBAL__N_124unique_dim_cuda_templateIN3c108BFloat16EEESt5tupleIJNSF_6TensorESM_SM_EERKSM_lbbbEUlllE0_EEPmJS9_EEE10hipError_tPvRmT3_T4_T5_T6_T7_T9_mT8_P12ihipStream_tbDpT10_ENKUlT_T0_E_clISt17integral_constantIbLb1EES1B_IbLb0EEEEDaS17_S18_EUlS17_E_NS1_11comp_targetILNS1_3genE5ELNS1_11target_archE942ELNS1_3gpuE9ELNS1_3repE0EEENS1_30default_config_static_selectorELNS0_4arch9wavefront6targetE0EEEvT1_,comdat
	.globl	_ZN7rocprim17ROCPRIM_400000_NS6detail17trampoline_kernelINS0_14default_configENS1_25partition_config_selectorILNS1_17partition_subalgoE9EllbEEZZNS1_14partition_implILS5_9ELb0ES3_jPlS8_PNS0_10empty_typeENS0_5tupleIJS8_S9_EEENSB_IJS8_SA_EEENS0_18inequality_wrapperIZN2at6native12_GLOBAL__N_124unique_dim_cuda_templateIN3c108BFloat16EEESt5tupleIJNSF_6TensorESM_SM_EERKSM_lbbbEUlllE0_EEPmJS9_EEE10hipError_tPvRmT3_T4_T5_T6_T7_T9_mT8_P12ihipStream_tbDpT10_ENKUlT_T0_E_clISt17integral_constantIbLb1EES1B_IbLb0EEEEDaS17_S18_EUlS17_E_NS1_11comp_targetILNS1_3genE5ELNS1_11target_archE942ELNS1_3gpuE9ELNS1_3repE0EEENS1_30default_config_static_selectorELNS0_4arch9wavefront6targetE0EEEvT1_ ; -- Begin function _ZN7rocprim17ROCPRIM_400000_NS6detail17trampoline_kernelINS0_14default_configENS1_25partition_config_selectorILNS1_17partition_subalgoE9EllbEEZZNS1_14partition_implILS5_9ELb0ES3_jPlS8_PNS0_10empty_typeENS0_5tupleIJS8_S9_EEENSB_IJS8_SA_EEENS0_18inequality_wrapperIZN2at6native12_GLOBAL__N_124unique_dim_cuda_templateIN3c108BFloat16EEESt5tupleIJNSF_6TensorESM_SM_EERKSM_lbbbEUlllE0_EEPmJS9_EEE10hipError_tPvRmT3_T4_T5_T6_T7_T9_mT8_P12ihipStream_tbDpT10_ENKUlT_T0_E_clISt17integral_constantIbLb1EES1B_IbLb0EEEEDaS17_S18_EUlS17_E_NS1_11comp_targetILNS1_3genE5ELNS1_11target_archE942ELNS1_3gpuE9ELNS1_3repE0EEENS1_30default_config_static_selectorELNS0_4arch9wavefront6targetE0EEEvT1_
	.p2align	8
	.type	_ZN7rocprim17ROCPRIM_400000_NS6detail17trampoline_kernelINS0_14default_configENS1_25partition_config_selectorILNS1_17partition_subalgoE9EllbEEZZNS1_14partition_implILS5_9ELb0ES3_jPlS8_PNS0_10empty_typeENS0_5tupleIJS8_S9_EEENSB_IJS8_SA_EEENS0_18inequality_wrapperIZN2at6native12_GLOBAL__N_124unique_dim_cuda_templateIN3c108BFloat16EEESt5tupleIJNSF_6TensorESM_SM_EERKSM_lbbbEUlllE0_EEPmJS9_EEE10hipError_tPvRmT3_T4_T5_T6_T7_T9_mT8_P12ihipStream_tbDpT10_ENKUlT_T0_E_clISt17integral_constantIbLb1EES1B_IbLb0EEEEDaS17_S18_EUlS17_E_NS1_11comp_targetILNS1_3genE5ELNS1_11target_archE942ELNS1_3gpuE9ELNS1_3repE0EEENS1_30default_config_static_selectorELNS0_4arch9wavefront6targetE0EEEvT1_,@function
_ZN7rocprim17ROCPRIM_400000_NS6detail17trampoline_kernelINS0_14default_configENS1_25partition_config_selectorILNS1_17partition_subalgoE9EllbEEZZNS1_14partition_implILS5_9ELb0ES3_jPlS8_PNS0_10empty_typeENS0_5tupleIJS8_S9_EEENSB_IJS8_SA_EEENS0_18inequality_wrapperIZN2at6native12_GLOBAL__N_124unique_dim_cuda_templateIN3c108BFloat16EEESt5tupleIJNSF_6TensorESM_SM_EERKSM_lbbbEUlllE0_EEPmJS9_EEE10hipError_tPvRmT3_T4_T5_T6_T7_T9_mT8_P12ihipStream_tbDpT10_ENKUlT_T0_E_clISt17integral_constantIbLb1EES1B_IbLb0EEEEDaS17_S18_EUlS17_E_NS1_11comp_targetILNS1_3genE5ELNS1_11target_archE942ELNS1_3gpuE9ELNS1_3repE0EEENS1_30default_config_static_selectorELNS0_4arch9wavefront6targetE0EEEvT1_: ; @_ZN7rocprim17ROCPRIM_400000_NS6detail17trampoline_kernelINS0_14default_configENS1_25partition_config_selectorILNS1_17partition_subalgoE9EllbEEZZNS1_14partition_implILS5_9ELb0ES3_jPlS8_PNS0_10empty_typeENS0_5tupleIJS8_S9_EEENSB_IJS8_SA_EEENS0_18inequality_wrapperIZN2at6native12_GLOBAL__N_124unique_dim_cuda_templateIN3c108BFloat16EEESt5tupleIJNSF_6TensorESM_SM_EERKSM_lbbbEUlllE0_EEPmJS9_EEE10hipError_tPvRmT3_T4_T5_T6_T7_T9_mT8_P12ihipStream_tbDpT10_ENKUlT_T0_E_clISt17integral_constantIbLb1EES1B_IbLb0EEEEDaS17_S18_EUlS17_E_NS1_11comp_targetILNS1_3genE5ELNS1_11target_archE942ELNS1_3gpuE9ELNS1_3repE0EEENS1_30default_config_static_selectorELNS0_4arch9wavefront6targetE0EEEvT1_
; %bb.0:
	.section	.rodata,"a",@progbits
	.p2align	6, 0x0
	.amdhsa_kernel _ZN7rocprim17ROCPRIM_400000_NS6detail17trampoline_kernelINS0_14default_configENS1_25partition_config_selectorILNS1_17partition_subalgoE9EllbEEZZNS1_14partition_implILS5_9ELb0ES3_jPlS8_PNS0_10empty_typeENS0_5tupleIJS8_S9_EEENSB_IJS8_SA_EEENS0_18inequality_wrapperIZN2at6native12_GLOBAL__N_124unique_dim_cuda_templateIN3c108BFloat16EEESt5tupleIJNSF_6TensorESM_SM_EERKSM_lbbbEUlllE0_EEPmJS9_EEE10hipError_tPvRmT3_T4_T5_T6_T7_T9_mT8_P12ihipStream_tbDpT10_ENKUlT_T0_E_clISt17integral_constantIbLb1EES1B_IbLb0EEEEDaS17_S18_EUlS17_E_NS1_11comp_targetILNS1_3genE5ELNS1_11target_archE942ELNS1_3gpuE9ELNS1_3repE0EEENS1_30default_config_static_selectorELNS0_4arch9wavefront6targetE0EEEvT1_
		.amdhsa_group_segment_fixed_size 0
		.amdhsa_private_segment_fixed_size 0
		.amdhsa_kernarg_size 120
		.amdhsa_user_sgpr_count 2
		.amdhsa_user_sgpr_dispatch_ptr 0
		.amdhsa_user_sgpr_queue_ptr 0
		.amdhsa_user_sgpr_kernarg_segment_ptr 1
		.amdhsa_user_sgpr_dispatch_id 0
		.amdhsa_user_sgpr_kernarg_preload_length 0
		.amdhsa_user_sgpr_kernarg_preload_offset 0
		.amdhsa_user_sgpr_private_segment_size 0
		.amdhsa_wavefront_size32 1
		.amdhsa_uses_dynamic_stack 0
		.amdhsa_enable_private_segment 0
		.amdhsa_system_sgpr_workgroup_id_x 1
		.amdhsa_system_sgpr_workgroup_id_y 0
		.amdhsa_system_sgpr_workgroup_id_z 0
		.amdhsa_system_sgpr_workgroup_info 0
		.amdhsa_system_vgpr_workitem_id 0
		.amdhsa_next_free_vgpr 1
		.amdhsa_next_free_sgpr 1
		.amdhsa_named_barrier_count 0
		.amdhsa_reserve_vcc 0
		.amdhsa_float_round_mode_32 0
		.amdhsa_float_round_mode_16_64 0
		.amdhsa_float_denorm_mode_32 3
		.amdhsa_float_denorm_mode_16_64 3
		.amdhsa_fp16_overflow 0
		.amdhsa_memory_ordered 1
		.amdhsa_forward_progress 1
		.amdhsa_inst_pref_size 0
		.amdhsa_round_robin_scheduling 0
		.amdhsa_exception_fp_ieee_invalid_op 0
		.amdhsa_exception_fp_denorm_src 0
		.amdhsa_exception_fp_ieee_div_zero 0
		.amdhsa_exception_fp_ieee_overflow 0
		.amdhsa_exception_fp_ieee_underflow 0
		.amdhsa_exception_fp_ieee_inexact 0
		.amdhsa_exception_int_div_zero 0
	.end_amdhsa_kernel
	.section	.text._ZN7rocprim17ROCPRIM_400000_NS6detail17trampoline_kernelINS0_14default_configENS1_25partition_config_selectorILNS1_17partition_subalgoE9EllbEEZZNS1_14partition_implILS5_9ELb0ES3_jPlS8_PNS0_10empty_typeENS0_5tupleIJS8_S9_EEENSB_IJS8_SA_EEENS0_18inequality_wrapperIZN2at6native12_GLOBAL__N_124unique_dim_cuda_templateIN3c108BFloat16EEESt5tupleIJNSF_6TensorESM_SM_EERKSM_lbbbEUlllE0_EEPmJS9_EEE10hipError_tPvRmT3_T4_T5_T6_T7_T9_mT8_P12ihipStream_tbDpT10_ENKUlT_T0_E_clISt17integral_constantIbLb1EES1B_IbLb0EEEEDaS17_S18_EUlS17_E_NS1_11comp_targetILNS1_3genE5ELNS1_11target_archE942ELNS1_3gpuE9ELNS1_3repE0EEENS1_30default_config_static_selectorELNS0_4arch9wavefront6targetE0EEEvT1_,"axG",@progbits,_ZN7rocprim17ROCPRIM_400000_NS6detail17trampoline_kernelINS0_14default_configENS1_25partition_config_selectorILNS1_17partition_subalgoE9EllbEEZZNS1_14partition_implILS5_9ELb0ES3_jPlS8_PNS0_10empty_typeENS0_5tupleIJS8_S9_EEENSB_IJS8_SA_EEENS0_18inequality_wrapperIZN2at6native12_GLOBAL__N_124unique_dim_cuda_templateIN3c108BFloat16EEESt5tupleIJNSF_6TensorESM_SM_EERKSM_lbbbEUlllE0_EEPmJS9_EEE10hipError_tPvRmT3_T4_T5_T6_T7_T9_mT8_P12ihipStream_tbDpT10_ENKUlT_T0_E_clISt17integral_constantIbLb1EES1B_IbLb0EEEEDaS17_S18_EUlS17_E_NS1_11comp_targetILNS1_3genE5ELNS1_11target_archE942ELNS1_3gpuE9ELNS1_3repE0EEENS1_30default_config_static_selectorELNS0_4arch9wavefront6targetE0EEEvT1_,comdat
.Lfunc_end1223:
	.size	_ZN7rocprim17ROCPRIM_400000_NS6detail17trampoline_kernelINS0_14default_configENS1_25partition_config_selectorILNS1_17partition_subalgoE9EllbEEZZNS1_14partition_implILS5_9ELb0ES3_jPlS8_PNS0_10empty_typeENS0_5tupleIJS8_S9_EEENSB_IJS8_SA_EEENS0_18inequality_wrapperIZN2at6native12_GLOBAL__N_124unique_dim_cuda_templateIN3c108BFloat16EEESt5tupleIJNSF_6TensorESM_SM_EERKSM_lbbbEUlllE0_EEPmJS9_EEE10hipError_tPvRmT3_T4_T5_T6_T7_T9_mT8_P12ihipStream_tbDpT10_ENKUlT_T0_E_clISt17integral_constantIbLb1EES1B_IbLb0EEEEDaS17_S18_EUlS17_E_NS1_11comp_targetILNS1_3genE5ELNS1_11target_archE942ELNS1_3gpuE9ELNS1_3repE0EEENS1_30default_config_static_selectorELNS0_4arch9wavefront6targetE0EEEvT1_, .Lfunc_end1223-_ZN7rocprim17ROCPRIM_400000_NS6detail17trampoline_kernelINS0_14default_configENS1_25partition_config_selectorILNS1_17partition_subalgoE9EllbEEZZNS1_14partition_implILS5_9ELb0ES3_jPlS8_PNS0_10empty_typeENS0_5tupleIJS8_S9_EEENSB_IJS8_SA_EEENS0_18inequality_wrapperIZN2at6native12_GLOBAL__N_124unique_dim_cuda_templateIN3c108BFloat16EEESt5tupleIJNSF_6TensorESM_SM_EERKSM_lbbbEUlllE0_EEPmJS9_EEE10hipError_tPvRmT3_T4_T5_T6_T7_T9_mT8_P12ihipStream_tbDpT10_ENKUlT_T0_E_clISt17integral_constantIbLb1EES1B_IbLb0EEEEDaS17_S18_EUlS17_E_NS1_11comp_targetILNS1_3genE5ELNS1_11target_archE942ELNS1_3gpuE9ELNS1_3repE0EEENS1_30default_config_static_selectorELNS0_4arch9wavefront6targetE0EEEvT1_
                                        ; -- End function
	.set _ZN7rocprim17ROCPRIM_400000_NS6detail17trampoline_kernelINS0_14default_configENS1_25partition_config_selectorILNS1_17partition_subalgoE9EllbEEZZNS1_14partition_implILS5_9ELb0ES3_jPlS8_PNS0_10empty_typeENS0_5tupleIJS8_S9_EEENSB_IJS8_SA_EEENS0_18inequality_wrapperIZN2at6native12_GLOBAL__N_124unique_dim_cuda_templateIN3c108BFloat16EEESt5tupleIJNSF_6TensorESM_SM_EERKSM_lbbbEUlllE0_EEPmJS9_EEE10hipError_tPvRmT3_T4_T5_T6_T7_T9_mT8_P12ihipStream_tbDpT10_ENKUlT_T0_E_clISt17integral_constantIbLb1EES1B_IbLb0EEEEDaS17_S18_EUlS17_E_NS1_11comp_targetILNS1_3genE5ELNS1_11target_archE942ELNS1_3gpuE9ELNS1_3repE0EEENS1_30default_config_static_selectorELNS0_4arch9wavefront6targetE0EEEvT1_.num_vgpr, 0
	.set _ZN7rocprim17ROCPRIM_400000_NS6detail17trampoline_kernelINS0_14default_configENS1_25partition_config_selectorILNS1_17partition_subalgoE9EllbEEZZNS1_14partition_implILS5_9ELb0ES3_jPlS8_PNS0_10empty_typeENS0_5tupleIJS8_S9_EEENSB_IJS8_SA_EEENS0_18inequality_wrapperIZN2at6native12_GLOBAL__N_124unique_dim_cuda_templateIN3c108BFloat16EEESt5tupleIJNSF_6TensorESM_SM_EERKSM_lbbbEUlllE0_EEPmJS9_EEE10hipError_tPvRmT3_T4_T5_T6_T7_T9_mT8_P12ihipStream_tbDpT10_ENKUlT_T0_E_clISt17integral_constantIbLb1EES1B_IbLb0EEEEDaS17_S18_EUlS17_E_NS1_11comp_targetILNS1_3genE5ELNS1_11target_archE942ELNS1_3gpuE9ELNS1_3repE0EEENS1_30default_config_static_selectorELNS0_4arch9wavefront6targetE0EEEvT1_.num_agpr, 0
	.set _ZN7rocprim17ROCPRIM_400000_NS6detail17trampoline_kernelINS0_14default_configENS1_25partition_config_selectorILNS1_17partition_subalgoE9EllbEEZZNS1_14partition_implILS5_9ELb0ES3_jPlS8_PNS0_10empty_typeENS0_5tupleIJS8_S9_EEENSB_IJS8_SA_EEENS0_18inequality_wrapperIZN2at6native12_GLOBAL__N_124unique_dim_cuda_templateIN3c108BFloat16EEESt5tupleIJNSF_6TensorESM_SM_EERKSM_lbbbEUlllE0_EEPmJS9_EEE10hipError_tPvRmT3_T4_T5_T6_T7_T9_mT8_P12ihipStream_tbDpT10_ENKUlT_T0_E_clISt17integral_constantIbLb1EES1B_IbLb0EEEEDaS17_S18_EUlS17_E_NS1_11comp_targetILNS1_3genE5ELNS1_11target_archE942ELNS1_3gpuE9ELNS1_3repE0EEENS1_30default_config_static_selectorELNS0_4arch9wavefront6targetE0EEEvT1_.numbered_sgpr, 0
	.set _ZN7rocprim17ROCPRIM_400000_NS6detail17trampoline_kernelINS0_14default_configENS1_25partition_config_selectorILNS1_17partition_subalgoE9EllbEEZZNS1_14partition_implILS5_9ELb0ES3_jPlS8_PNS0_10empty_typeENS0_5tupleIJS8_S9_EEENSB_IJS8_SA_EEENS0_18inequality_wrapperIZN2at6native12_GLOBAL__N_124unique_dim_cuda_templateIN3c108BFloat16EEESt5tupleIJNSF_6TensorESM_SM_EERKSM_lbbbEUlllE0_EEPmJS9_EEE10hipError_tPvRmT3_T4_T5_T6_T7_T9_mT8_P12ihipStream_tbDpT10_ENKUlT_T0_E_clISt17integral_constantIbLb1EES1B_IbLb0EEEEDaS17_S18_EUlS17_E_NS1_11comp_targetILNS1_3genE5ELNS1_11target_archE942ELNS1_3gpuE9ELNS1_3repE0EEENS1_30default_config_static_selectorELNS0_4arch9wavefront6targetE0EEEvT1_.num_named_barrier, 0
	.set _ZN7rocprim17ROCPRIM_400000_NS6detail17trampoline_kernelINS0_14default_configENS1_25partition_config_selectorILNS1_17partition_subalgoE9EllbEEZZNS1_14partition_implILS5_9ELb0ES3_jPlS8_PNS0_10empty_typeENS0_5tupleIJS8_S9_EEENSB_IJS8_SA_EEENS0_18inequality_wrapperIZN2at6native12_GLOBAL__N_124unique_dim_cuda_templateIN3c108BFloat16EEESt5tupleIJNSF_6TensorESM_SM_EERKSM_lbbbEUlllE0_EEPmJS9_EEE10hipError_tPvRmT3_T4_T5_T6_T7_T9_mT8_P12ihipStream_tbDpT10_ENKUlT_T0_E_clISt17integral_constantIbLb1EES1B_IbLb0EEEEDaS17_S18_EUlS17_E_NS1_11comp_targetILNS1_3genE5ELNS1_11target_archE942ELNS1_3gpuE9ELNS1_3repE0EEENS1_30default_config_static_selectorELNS0_4arch9wavefront6targetE0EEEvT1_.private_seg_size, 0
	.set _ZN7rocprim17ROCPRIM_400000_NS6detail17trampoline_kernelINS0_14default_configENS1_25partition_config_selectorILNS1_17partition_subalgoE9EllbEEZZNS1_14partition_implILS5_9ELb0ES3_jPlS8_PNS0_10empty_typeENS0_5tupleIJS8_S9_EEENSB_IJS8_SA_EEENS0_18inequality_wrapperIZN2at6native12_GLOBAL__N_124unique_dim_cuda_templateIN3c108BFloat16EEESt5tupleIJNSF_6TensorESM_SM_EERKSM_lbbbEUlllE0_EEPmJS9_EEE10hipError_tPvRmT3_T4_T5_T6_T7_T9_mT8_P12ihipStream_tbDpT10_ENKUlT_T0_E_clISt17integral_constantIbLb1EES1B_IbLb0EEEEDaS17_S18_EUlS17_E_NS1_11comp_targetILNS1_3genE5ELNS1_11target_archE942ELNS1_3gpuE9ELNS1_3repE0EEENS1_30default_config_static_selectorELNS0_4arch9wavefront6targetE0EEEvT1_.uses_vcc, 0
	.set _ZN7rocprim17ROCPRIM_400000_NS6detail17trampoline_kernelINS0_14default_configENS1_25partition_config_selectorILNS1_17partition_subalgoE9EllbEEZZNS1_14partition_implILS5_9ELb0ES3_jPlS8_PNS0_10empty_typeENS0_5tupleIJS8_S9_EEENSB_IJS8_SA_EEENS0_18inequality_wrapperIZN2at6native12_GLOBAL__N_124unique_dim_cuda_templateIN3c108BFloat16EEESt5tupleIJNSF_6TensorESM_SM_EERKSM_lbbbEUlllE0_EEPmJS9_EEE10hipError_tPvRmT3_T4_T5_T6_T7_T9_mT8_P12ihipStream_tbDpT10_ENKUlT_T0_E_clISt17integral_constantIbLb1EES1B_IbLb0EEEEDaS17_S18_EUlS17_E_NS1_11comp_targetILNS1_3genE5ELNS1_11target_archE942ELNS1_3gpuE9ELNS1_3repE0EEENS1_30default_config_static_selectorELNS0_4arch9wavefront6targetE0EEEvT1_.uses_flat_scratch, 0
	.set _ZN7rocprim17ROCPRIM_400000_NS6detail17trampoline_kernelINS0_14default_configENS1_25partition_config_selectorILNS1_17partition_subalgoE9EllbEEZZNS1_14partition_implILS5_9ELb0ES3_jPlS8_PNS0_10empty_typeENS0_5tupleIJS8_S9_EEENSB_IJS8_SA_EEENS0_18inequality_wrapperIZN2at6native12_GLOBAL__N_124unique_dim_cuda_templateIN3c108BFloat16EEESt5tupleIJNSF_6TensorESM_SM_EERKSM_lbbbEUlllE0_EEPmJS9_EEE10hipError_tPvRmT3_T4_T5_T6_T7_T9_mT8_P12ihipStream_tbDpT10_ENKUlT_T0_E_clISt17integral_constantIbLb1EES1B_IbLb0EEEEDaS17_S18_EUlS17_E_NS1_11comp_targetILNS1_3genE5ELNS1_11target_archE942ELNS1_3gpuE9ELNS1_3repE0EEENS1_30default_config_static_selectorELNS0_4arch9wavefront6targetE0EEEvT1_.has_dyn_sized_stack, 0
	.set _ZN7rocprim17ROCPRIM_400000_NS6detail17trampoline_kernelINS0_14default_configENS1_25partition_config_selectorILNS1_17partition_subalgoE9EllbEEZZNS1_14partition_implILS5_9ELb0ES3_jPlS8_PNS0_10empty_typeENS0_5tupleIJS8_S9_EEENSB_IJS8_SA_EEENS0_18inequality_wrapperIZN2at6native12_GLOBAL__N_124unique_dim_cuda_templateIN3c108BFloat16EEESt5tupleIJNSF_6TensorESM_SM_EERKSM_lbbbEUlllE0_EEPmJS9_EEE10hipError_tPvRmT3_T4_T5_T6_T7_T9_mT8_P12ihipStream_tbDpT10_ENKUlT_T0_E_clISt17integral_constantIbLb1EES1B_IbLb0EEEEDaS17_S18_EUlS17_E_NS1_11comp_targetILNS1_3genE5ELNS1_11target_archE942ELNS1_3gpuE9ELNS1_3repE0EEENS1_30default_config_static_selectorELNS0_4arch9wavefront6targetE0EEEvT1_.has_recursion, 0
	.set _ZN7rocprim17ROCPRIM_400000_NS6detail17trampoline_kernelINS0_14default_configENS1_25partition_config_selectorILNS1_17partition_subalgoE9EllbEEZZNS1_14partition_implILS5_9ELb0ES3_jPlS8_PNS0_10empty_typeENS0_5tupleIJS8_S9_EEENSB_IJS8_SA_EEENS0_18inequality_wrapperIZN2at6native12_GLOBAL__N_124unique_dim_cuda_templateIN3c108BFloat16EEESt5tupleIJNSF_6TensorESM_SM_EERKSM_lbbbEUlllE0_EEPmJS9_EEE10hipError_tPvRmT3_T4_T5_T6_T7_T9_mT8_P12ihipStream_tbDpT10_ENKUlT_T0_E_clISt17integral_constantIbLb1EES1B_IbLb0EEEEDaS17_S18_EUlS17_E_NS1_11comp_targetILNS1_3genE5ELNS1_11target_archE942ELNS1_3gpuE9ELNS1_3repE0EEENS1_30default_config_static_selectorELNS0_4arch9wavefront6targetE0EEEvT1_.has_indirect_call, 0
	.section	.AMDGPU.csdata,"",@progbits
; Kernel info:
; codeLenInByte = 0
; TotalNumSgprs: 0
; NumVgprs: 0
; ScratchSize: 0
; MemoryBound: 0
; FloatMode: 240
; IeeeMode: 1
; LDSByteSize: 0 bytes/workgroup (compile time only)
; SGPRBlocks: 0
; VGPRBlocks: 0
; NumSGPRsForWavesPerEU: 1
; NumVGPRsForWavesPerEU: 1
; NamedBarCnt: 0
; Occupancy: 16
; WaveLimiterHint : 0
; COMPUTE_PGM_RSRC2:SCRATCH_EN: 0
; COMPUTE_PGM_RSRC2:USER_SGPR: 2
; COMPUTE_PGM_RSRC2:TRAP_HANDLER: 0
; COMPUTE_PGM_RSRC2:TGID_X_EN: 1
; COMPUTE_PGM_RSRC2:TGID_Y_EN: 0
; COMPUTE_PGM_RSRC2:TGID_Z_EN: 0
; COMPUTE_PGM_RSRC2:TIDIG_COMP_CNT: 0
	.section	.text._ZN7rocprim17ROCPRIM_400000_NS6detail17trampoline_kernelINS0_14default_configENS1_25partition_config_selectorILNS1_17partition_subalgoE9EllbEEZZNS1_14partition_implILS5_9ELb0ES3_jPlS8_PNS0_10empty_typeENS0_5tupleIJS8_S9_EEENSB_IJS8_SA_EEENS0_18inequality_wrapperIZN2at6native12_GLOBAL__N_124unique_dim_cuda_templateIN3c108BFloat16EEESt5tupleIJNSF_6TensorESM_SM_EERKSM_lbbbEUlllE0_EEPmJS9_EEE10hipError_tPvRmT3_T4_T5_T6_T7_T9_mT8_P12ihipStream_tbDpT10_ENKUlT_T0_E_clISt17integral_constantIbLb1EES1B_IbLb0EEEEDaS17_S18_EUlS17_E_NS1_11comp_targetILNS1_3genE4ELNS1_11target_archE910ELNS1_3gpuE8ELNS1_3repE0EEENS1_30default_config_static_selectorELNS0_4arch9wavefront6targetE0EEEvT1_,"axG",@progbits,_ZN7rocprim17ROCPRIM_400000_NS6detail17trampoline_kernelINS0_14default_configENS1_25partition_config_selectorILNS1_17partition_subalgoE9EllbEEZZNS1_14partition_implILS5_9ELb0ES3_jPlS8_PNS0_10empty_typeENS0_5tupleIJS8_S9_EEENSB_IJS8_SA_EEENS0_18inequality_wrapperIZN2at6native12_GLOBAL__N_124unique_dim_cuda_templateIN3c108BFloat16EEESt5tupleIJNSF_6TensorESM_SM_EERKSM_lbbbEUlllE0_EEPmJS9_EEE10hipError_tPvRmT3_T4_T5_T6_T7_T9_mT8_P12ihipStream_tbDpT10_ENKUlT_T0_E_clISt17integral_constantIbLb1EES1B_IbLb0EEEEDaS17_S18_EUlS17_E_NS1_11comp_targetILNS1_3genE4ELNS1_11target_archE910ELNS1_3gpuE8ELNS1_3repE0EEENS1_30default_config_static_selectorELNS0_4arch9wavefront6targetE0EEEvT1_,comdat
	.globl	_ZN7rocprim17ROCPRIM_400000_NS6detail17trampoline_kernelINS0_14default_configENS1_25partition_config_selectorILNS1_17partition_subalgoE9EllbEEZZNS1_14partition_implILS5_9ELb0ES3_jPlS8_PNS0_10empty_typeENS0_5tupleIJS8_S9_EEENSB_IJS8_SA_EEENS0_18inequality_wrapperIZN2at6native12_GLOBAL__N_124unique_dim_cuda_templateIN3c108BFloat16EEESt5tupleIJNSF_6TensorESM_SM_EERKSM_lbbbEUlllE0_EEPmJS9_EEE10hipError_tPvRmT3_T4_T5_T6_T7_T9_mT8_P12ihipStream_tbDpT10_ENKUlT_T0_E_clISt17integral_constantIbLb1EES1B_IbLb0EEEEDaS17_S18_EUlS17_E_NS1_11comp_targetILNS1_3genE4ELNS1_11target_archE910ELNS1_3gpuE8ELNS1_3repE0EEENS1_30default_config_static_selectorELNS0_4arch9wavefront6targetE0EEEvT1_ ; -- Begin function _ZN7rocprim17ROCPRIM_400000_NS6detail17trampoline_kernelINS0_14default_configENS1_25partition_config_selectorILNS1_17partition_subalgoE9EllbEEZZNS1_14partition_implILS5_9ELb0ES3_jPlS8_PNS0_10empty_typeENS0_5tupleIJS8_S9_EEENSB_IJS8_SA_EEENS0_18inequality_wrapperIZN2at6native12_GLOBAL__N_124unique_dim_cuda_templateIN3c108BFloat16EEESt5tupleIJNSF_6TensorESM_SM_EERKSM_lbbbEUlllE0_EEPmJS9_EEE10hipError_tPvRmT3_T4_T5_T6_T7_T9_mT8_P12ihipStream_tbDpT10_ENKUlT_T0_E_clISt17integral_constantIbLb1EES1B_IbLb0EEEEDaS17_S18_EUlS17_E_NS1_11comp_targetILNS1_3genE4ELNS1_11target_archE910ELNS1_3gpuE8ELNS1_3repE0EEENS1_30default_config_static_selectorELNS0_4arch9wavefront6targetE0EEEvT1_
	.p2align	8
	.type	_ZN7rocprim17ROCPRIM_400000_NS6detail17trampoline_kernelINS0_14default_configENS1_25partition_config_selectorILNS1_17partition_subalgoE9EllbEEZZNS1_14partition_implILS5_9ELb0ES3_jPlS8_PNS0_10empty_typeENS0_5tupleIJS8_S9_EEENSB_IJS8_SA_EEENS0_18inequality_wrapperIZN2at6native12_GLOBAL__N_124unique_dim_cuda_templateIN3c108BFloat16EEESt5tupleIJNSF_6TensorESM_SM_EERKSM_lbbbEUlllE0_EEPmJS9_EEE10hipError_tPvRmT3_T4_T5_T6_T7_T9_mT8_P12ihipStream_tbDpT10_ENKUlT_T0_E_clISt17integral_constantIbLb1EES1B_IbLb0EEEEDaS17_S18_EUlS17_E_NS1_11comp_targetILNS1_3genE4ELNS1_11target_archE910ELNS1_3gpuE8ELNS1_3repE0EEENS1_30default_config_static_selectorELNS0_4arch9wavefront6targetE0EEEvT1_,@function
_ZN7rocprim17ROCPRIM_400000_NS6detail17trampoline_kernelINS0_14default_configENS1_25partition_config_selectorILNS1_17partition_subalgoE9EllbEEZZNS1_14partition_implILS5_9ELb0ES3_jPlS8_PNS0_10empty_typeENS0_5tupleIJS8_S9_EEENSB_IJS8_SA_EEENS0_18inequality_wrapperIZN2at6native12_GLOBAL__N_124unique_dim_cuda_templateIN3c108BFloat16EEESt5tupleIJNSF_6TensorESM_SM_EERKSM_lbbbEUlllE0_EEPmJS9_EEE10hipError_tPvRmT3_T4_T5_T6_T7_T9_mT8_P12ihipStream_tbDpT10_ENKUlT_T0_E_clISt17integral_constantIbLb1EES1B_IbLb0EEEEDaS17_S18_EUlS17_E_NS1_11comp_targetILNS1_3genE4ELNS1_11target_archE910ELNS1_3gpuE8ELNS1_3repE0EEENS1_30default_config_static_selectorELNS0_4arch9wavefront6targetE0EEEvT1_: ; @_ZN7rocprim17ROCPRIM_400000_NS6detail17trampoline_kernelINS0_14default_configENS1_25partition_config_selectorILNS1_17partition_subalgoE9EllbEEZZNS1_14partition_implILS5_9ELb0ES3_jPlS8_PNS0_10empty_typeENS0_5tupleIJS8_S9_EEENSB_IJS8_SA_EEENS0_18inequality_wrapperIZN2at6native12_GLOBAL__N_124unique_dim_cuda_templateIN3c108BFloat16EEESt5tupleIJNSF_6TensorESM_SM_EERKSM_lbbbEUlllE0_EEPmJS9_EEE10hipError_tPvRmT3_T4_T5_T6_T7_T9_mT8_P12ihipStream_tbDpT10_ENKUlT_T0_E_clISt17integral_constantIbLb1EES1B_IbLb0EEEEDaS17_S18_EUlS17_E_NS1_11comp_targetILNS1_3genE4ELNS1_11target_archE910ELNS1_3gpuE8ELNS1_3repE0EEENS1_30default_config_static_selectorELNS0_4arch9wavefront6targetE0EEEvT1_
; %bb.0:
	.section	.rodata,"a",@progbits
	.p2align	6, 0x0
	.amdhsa_kernel _ZN7rocprim17ROCPRIM_400000_NS6detail17trampoline_kernelINS0_14default_configENS1_25partition_config_selectorILNS1_17partition_subalgoE9EllbEEZZNS1_14partition_implILS5_9ELb0ES3_jPlS8_PNS0_10empty_typeENS0_5tupleIJS8_S9_EEENSB_IJS8_SA_EEENS0_18inequality_wrapperIZN2at6native12_GLOBAL__N_124unique_dim_cuda_templateIN3c108BFloat16EEESt5tupleIJNSF_6TensorESM_SM_EERKSM_lbbbEUlllE0_EEPmJS9_EEE10hipError_tPvRmT3_T4_T5_T6_T7_T9_mT8_P12ihipStream_tbDpT10_ENKUlT_T0_E_clISt17integral_constantIbLb1EES1B_IbLb0EEEEDaS17_S18_EUlS17_E_NS1_11comp_targetILNS1_3genE4ELNS1_11target_archE910ELNS1_3gpuE8ELNS1_3repE0EEENS1_30default_config_static_selectorELNS0_4arch9wavefront6targetE0EEEvT1_
		.amdhsa_group_segment_fixed_size 0
		.amdhsa_private_segment_fixed_size 0
		.amdhsa_kernarg_size 120
		.amdhsa_user_sgpr_count 2
		.amdhsa_user_sgpr_dispatch_ptr 0
		.amdhsa_user_sgpr_queue_ptr 0
		.amdhsa_user_sgpr_kernarg_segment_ptr 1
		.amdhsa_user_sgpr_dispatch_id 0
		.amdhsa_user_sgpr_kernarg_preload_length 0
		.amdhsa_user_sgpr_kernarg_preload_offset 0
		.amdhsa_user_sgpr_private_segment_size 0
		.amdhsa_wavefront_size32 1
		.amdhsa_uses_dynamic_stack 0
		.amdhsa_enable_private_segment 0
		.amdhsa_system_sgpr_workgroup_id_x 1
		.amdhsa_system_sgpr_workgroup_id_y 0
		.amdhsa_system_sgpr_workgroup_id_z 0
		.amdhsa_system_sgpr_workgroup_info 0
		.amdhsa_system_vgpr_workitem_id 0
		.amdhsa_next_free_vgpr 1
		.amdhsa_next_free_sgpr 1
		.amdhsa_named_barrier_count 0
		.amdhsa_reserve_vcc 0
		.amdhsa_float_round_mode_32 0
		.amdhsa_float_round_mode_16_64 0
		.amdhsa_float_denorm_mode_32 3
		.amdhsa_float_denorm_mode_16_64 3
		.amdhsa_fp16_overflow 0
		.amdhsa_memory_ordered 1
		.amdhsa_forward_progress 1
		.amdhsa_inst_pref_size 0
		.amdhsa_round_robin_scheduling 0
		.amdhsa_exception_fp_ieee_invalid_op 0
		.amdhsa_exception_fp_denorm_src 0
		.amdhsa_exception_fp_ieee_div_zero 0
		.amdhsa_exception_fp_ieee_overflow 0
		.amdhsa_exception_fp_ieee_underflow 0
		.amdhsa_exception_fp_ieee_inexact 0
		.amdhsa_exception_int_div_zero 0
	.end_amdhsa_kernel
	.section	.text._ZN7rocprim17ROCPRIM_400000_NS6detail17trampoline_kernelINS0_14default_configENS1_25partition_config_selectorILNS1_17partition_subalgoE9EllbEEZZNS1_14partition_implILS5_9ELb0ES3_jPlS8_PNS0_10empty_typeENS0_5tupleIJS8_S9_EEENSB_IJS8_SA_EEENS0_18inequality_wrapperIZN2at6native12_GLOBAL__N_124unique_dim_cuda_templateIN3c108BFloat16EEESt5tupleIJNSF_6TensorESM_SM_EERKSM_lbbbEUlllE0_EEPmJS9_EEE10hipError_tPvRmT3_T4_T5_T6_T7_T9_mT8_P12ihipStream_tbDpT10_ENKUlT_T0_E_clISt17integral_constantIbLb1EES1B_IbLb0EEEEDaS17_S18_EUlS17_E_NS1_11comp_targetILNS1_3genE4ELNS1_11target_archE910ELNS1_3gpuE8ELNS1_3repE0EEENS1_30default_config_static_selectorELNS0_4arch9wavefront6targetE0EEEvT1_,"axG",@progbits,_ZN7rocprim17ROCPRIM_400000_NS6detail17trampoline_kernelINS0_14default_configENS1_25partition_config_selectorILNS1_17partition_subalgoE9EllbEEZZNS1_14partition_implILS5_9ELb0ES3_jPlS8_PNS0_10empty_typeENS0_5tupleIJS8_S9_EEENSB_IJS8_SA_EEENS0_18inequality_wrapperIZN2at6native12_GLOBAL__N_124unique_dim_cuda_templateIN3c108BFloat16EEESt5tupleIJNSF_6TensorESM_SM_EERKSM_lbbbEUlllE0_EEPmJS9_EEE10hipError_tPvRmT3_T4_T5_T6_T7_T9_mT8_P12ihipStream_tbDpT10_ENKUlT_T0_E_clISt17integral_constantIbLb1EES1B_IbLb0EEEEDaS17_S18_EUlS17_E_NS1_11comp_targetILNS1_3genE4ELNS1_11target_archE910ELNS1_3gpuE8ELNS1_3repE0EEENS1_30default_config_static_selectorELNS0_4arch9wavefront6targetE0EEEvT1_,comdat
.Lfunc_end1224:
	.size	_ZN7rocprim17ROCPRIM_400000_NS6detail17trampoline_kernelINS0_14default_configENS1_25partition_config_selectorILNS1_17partition_subalgoE9EllbEEZZNS1_14partition_implILS5_9ELb0ES3_jPlS8_PNS0_10empty_typeENS0_5tupleIJS8_S9_EEENSB_IJS8_SA_EEENS0_18inequality_wrapperIZN2at6native12_GLOBAL__N_124unique_dim_cuda_templateIN3c108BFloat16EEESt5tupleIJNSF_6TensorESM_SM_EERKSM_lbbbEUlllE0_EEPmJS9_EEE10hipError_tPvRmT3_T4_T5_T6_T7_T9_mT8_P12ihipStream_tbDpT10_ENKUlT_T0_E_clISt17integral_constantIbLb1EES1B_IbLb0EEEEDaS17_S18_EUlS17_E_NS1_11comp_targetILNS1_3genE4ELNS1_11target_archE910ELNS1_3gpuE8ELNS1_3repE0EEENS1_30default_config_static_selectorELNS0_4arch9wavefront6targetE0EEEvT1_, .Lfunc_end1224-_ZN7rocprim17ROCPRIM_400000_NS6detail17trampoline_kernelINS0_14default_configENS1_25partition_config_selectorILNS1_17partition_subalgoE9EllbEEZZNS1_14partition_implILS5_9ELb0ES3_jPlS8_PNS0_10empty_typeENS0_5tupleIJS8_S9_EEENSB_IJS8_SA_EEENS0_18inequality_wrapperIZN2at6native12_GLOBAL__N_124unique_dim_cuda_templateIN3c108BFloat16EEESt5tupleIJNSF_6TensorESM_SM_EERKSM_lbbbEUlllE0_EEPmJS9_EEE10hipError_tPvRmT3_T4_T5_T6_T7_T9_mT8_P12ihipStream_tbDpT10_ENKUlT_T0_E_clISt17integral_constantIbLb1EES1B_IbLb0EEEEDaS17_S18_EUlS17_E_NS1_11comp_targetILNS1_3genE4ELNS1_11target_archE910ELNS1_3gpuE8ELNS1_3repE0EEENS1_30default_config_static_selectorELNS0_4arch9wavefront6targetE0EEEvT1_
                                        ; -- End function
	.set _ZN7rocprim17ROCPRIM_400000_NS6detail17trampoline_kernelINS0_14default_configENS1_25partition_config_selectorILNS1_17partition_subalgoE9EllbEEZZNS1_14partition_implILS5_9ELb0ES3_jPlS8_PNS0_10empty_typeENS0_5tupleIJS8_S9_EEENSB_IJS8_SA_EEENS0_18inequality_wrapperIZN2at6native12_GLOBAL__N_124unique_dim_cuda_templateIN3c108BFloat16EEESt5tupleIJNSF_6TensorESM_SM_EERKSM_lbbbEUlllE0_EEPmJS9_EEE10hipError_tPvRmT3_T4_T5_T6_T7_T9_mT8_P12ihipStream_tbDpT10_ENKUlT_T0_E_clISt17integral_constantIbLb1EES1B_IbLb0EEEEDaS17_S18_EUlS17_E_NS1_11comp_targetILNS1_3genE4ELNS1_11target_archE910ELNS1_3gpuE8ELNS1_3repE0EEENS1_30default_config_static_selectorELNS0_4arch9wavefront6targetE0EEEvT1_.num_vgpr, 0
	.set _ZN7rocprim17ROCPRIM_400000_NS6detail17trampoline_kernelINS0_14default_configENS1_25partition_config_selectorILNS1_17partition_subalgoE9EllbEEZZNS1_14partition_implILS5_9ELb0ES3_jPlS8_PNS0_10empty_typeENS0_5tupleIJS8_S9_EEENSB_IJS8_SA_EEENS0_18inequality_wrapperIZN2at6native12_GLOBAL__N_124unique_dim_cuda_templateIN3c108BFloat16EEESt5tupleIJNSF_6TensorESM_SM_EERKSM_lbbbEUlllE0_EEPmJS9_EEE10hipError_tPvRmT3_T4_T5_T6_T7_T9_mT8_P12ihipStream_tbDpT10_ENKUlT_T0_E_clISt17integral_constantIbLb1EES1B_IbLb0EEEEDaS17_S18_EUlS17_E_NS1_11comp_targetILNS1_3genE4ELNS1_11target_archE910ELNS1_3gpuE8ELNS1_3repE0EEENS1_30default_config_static_selectorELNS0_4arch9wavefront6targetE0EEEvT1_.num_agpr, 0
	.set _ZN7rocprim17ROCPRIM_400000_NS6detail17trampoline_kernelINS0_14default_configENS1_25partition_config_selectorILNS1_17partition_subalgoE9EllbEEZZNS1_14partition_implILS5_9ELb0ES3_jPlS8_PNS0_10empty_typeENS0_5tupleIJS8_S9_EEENSB_IJS8_SA_EEENS0_18inequality_wrapperIZN2at6native12_GLOBAL__N_124unique_dim_cuda_templateIN3c108BFloat16EEESt5tupleIJNSF_6TensorESM_SM_EERKSM_lbbbEUlllE0_EEPmJS9_EEE10hipError_tPvRmT3_T4_T5_T6_T7_T9_mT8_P12ihipStream_tbDpT10_ENKUlT_T0_E_clISt17integral_constantIbLb1EES1B_IbLb0EEEEDaS17_S18_EUlS17_E_NS1_11comp_targetILNS1_3genE4ELNS1_11target_archE910ELNS1_3gpuE8ELNS1_3repE0EEENS1_30default_config_static_selectorELNS0_4arch9wavefront6targetE0EEEvT1_.numbered_sgpr, 0
	.set _ZN7rocprim17ROCPRIM_400000_NS6detail17trampoline_kernelINS0_14default_configENS1_25partition_config_selectorILNS1_17partition_subalgoE9EllbEEZZNS1_14partition_implILS5_9ELb0ES3_jPlS8_PNS0_10empty_typeENS0_5tupleIJS8_S9_EEENSB_IJS8_SA_EEENS0_18inequality_wrapperIZN2at6native12_GLOBAL__N_124unique_dim_cuda_templateIN3c108BFloat16EEESt5tupleIJNSF_6TensorESM_SM_EERKSM_lbbbEUlllE0_EEPmJS9_EEE10hipError_tPvRmT3_T4_T5_T6_T7_T9_mT8_P12ihipStream_tbDpT10_ENKUlT_T0_E_clISt17integral_constantIbLb1EES1B_IbLb0EEEEDaS17_S18_EUlS17_E_NS1_11comp_targetILNS1_3genE4ELNS1_11target_archE910ELNS1_3gpuE8ELNS1_3repE0EEENS1_30default_config_static_selectorELNS0_4arch9wavefront6targetE0EEEvT1_.num_named_barrier, 0
	.set _ZN7rocprim17ROCPRIM_400000_NS6detail17trampoline_kernelINS0_14default_configENS1_25partition_config_selectorILNS1_17partition_subalgoE9EllbEEZZNS1_14partition_implILS5_9ELb0ES3_jPlS8_PNS0_10empty_typeENS0_5tupleIJS8_S9_EEENSB_IJS8_SA_EEENS0_18inequality_wrapperIZN2at6native12_GLOBAL__N_124unique_dim_cuda_templateIN3c108BFloat16EEESt5tupleIJNSF_6TensorESM_SM_EERKSM_lbbbEUlllE0_EEPmJS9_EEE10hipError_tPvRmT3_T4_T5_T6_T7_T9_mT8_P12ihipStream_tbDpT10_ENKUlT_T0_E_clISt17integral_constantIbLb1EES1B_IbLb0EEEEDaS17_S18_EUlS17_E_NS1_11comp_targetILNS1_3genE4ELNS1_11target_archE910ELNS1_3gpuE8ELNS1_3repE0EEENS1_30default_config_static_selectorELNS0_4arch9wavefront6targetE0EEEvT1_.private_seg_size, 0
	.set _ZN7rocprim17ROCPRIM_400000_NS6detail17trampoline_kernelINS0_14default_configENS1_25partition_config_selectorILNS1_17partition_subalgoE9EllbEEZZNS1_14partition_implILS5_9ELb0ES3_jPlS8_PNS0_10empty_typeENS0_5tupleIJS8_S9_EEENSB_IJS8_SA_EEENS0_18inequality_wrapperIZN2at6native12_GLOBAL__N_124unique_dim_cuda_templateIN3c108BFloat16EEESt5tupleIJNSF_6TensorESM_SM_EERKSM_lbbbEUlllE0_EEPmJS9_EEE10hipError_tPvRmT3_T4_T5_T6_T7_T9_mT8_P12ihipStream_tbDpT10_ENKUlT_T0_E_clISt17integral_constantIbLb1EES1B_IbLb0EEEEDaS17_S18_EUlS17_E_NS1_11comp_targetILNS1_3genE4ELNS1_11target_archE910ELNS1_3gpuE8ELNS1_3repE0EEENS1_30default_config_static_selectorELNS0_4arch9wavefront6targetE0EEEvT1_.uses_vcc, 0
	.set _ZN7rocprim17ROCPRIM_400000_NS6detail17trampoline_kernelINS0_14default_configENS1_25partition_config_selectorILNS1_17partition_subalgoE9EllbEEZZNS1_14partition_implILS5_9ELb0ES3_jPlS8_PNS0_10empty_typeENS0_5tupleIJS8_S9_EEENSB_IJS8_SA_EEENS0_18inequality_wrapperIZN2at6native12_GLOBAL__N_124unique_dim_cuda_templateIN3c108BFloat16EEESt5tupleIJNSF_6TensorESM_SM_EERKSM_lbbbEUlllE0_EEPmJS9_EEE10hipError_tPvRmT3_T4_T5_T6_T7_T9_mT8_P12ihipStream_tbDpT10_ENKUlT_T0_E_clISt17integral_constantIbLb1EES1B_IbLb0EEEEDaS17_S18_EUlS17_E_NS1_11comp_targetILNS1_3genE4ELNS1_11target_archE910ELNS1_3gpuE8ELNS1_3repE0EEENS1_30default_config_static_selectorELNS0_4arch9wavefront6targetE0EEEvT1_.uses_flat_scratch, 0
	.set _ZN7rocprim17ROCPRIM_400000_NS6detail17trampoline_kernelINS0_14default_configENS1_25partition_config_selectorILNS1_17partition_subalgoE9EllbEEZZNS1_14partition_implILS5_9ELb0ES3_jPlS8_PNS0_10empty_typeENS0_5tupleIJS8_S9_EEENSB_IJS8_SA_EEENS0_18inequality_wrapperIZN2at6native12_GLOBAL__N_124unique_dim_cuda_templateIN3c108BFloat16EEESt5tupleIJNSF_6TensorESM_SM_EERKSM_lbbbEUlllE0_EEPmJS9_EEE10hipError_tPvRmT3_T4_T5_T6_T7_T9_mT8_P12ihipStream_tbDpT10_ENKUlT_T0_E_clISt17integral_constantIbLb1EES1B_IbLb0EEEEDaS17_S18_EUlS17_E_NS1_11comp_targetILNS1_3genE4ELNS1_11target_archE910ELNS1_3gpuE8ELNS1_3repE0EEENS1_30default_config_static_selectorELNS0_4arch9wavefront6targetE0EEEvT1_.has_dyn_sized_stack, 0
	.set _ZN7rocprim17ROCPRIM_400000_NS6detail17trampoline_kernelINS0_14default_configENS1_25partition_config_selectorILNS1_17partition_subalgoE9EllbEEZZNS1_14partition_implILS5_9ELb0ES3_jPlS8_PNS0_10empty_typeENS0_5tupleIJS8_S9_EEENSB_IJS8_SA_EEENS0_18inequality_wrapperIZN2at6native12_GLOBAL__N_124unique_dim_cuda_templateIN3c108BFloat16EEESt5tupleIJNSF_6TensorESM_SM_EERKSM_lbbbEUlllE0_EEPmJS9_EEE10hipError_tPvRmT3_T4_T5_T6_T7_T9_mT8_P12ihipStream_tbDpT10_ENKUlT_T0_E_clISt17integral_constantIbLb1EES1B_IbLb0EEEEDaS17_S18_EUlS17_E_NS1_11comp_targetILNS1_3genE4ELNS1_11target_archE910ELNS1_3gpuE8ELNS1_3repE0EEENS1_30default_config_static_selectorELNS0_4arch9wavefront6targetE0EEEvT1_.has_recursion, 0
	.set _ZN7rocprim17ROCPRIM_400000_NS6detail17trampoline_kernelINS0_14default_configENS1_25partition_config_selectorILNS1_17partition_subalgoE9EllbEEZZNS1_14partition_implILS5_9ELb0ES3_jPlS8_PNS0_10empty_typeENS0_5tupleIJS8_S9_EEENSB_IJS8_SA_EEENS0_18inequality_wrapperIZN2at6native12_GLOBAL__N_124unique_dim_cuda_templateIN3c108BFloat16EEESt5tupleIJNSF_6TensorESM_SM_EERKSM_lbbbEUlllE0_EEPmJS9_EEE10hipError_tPvRmT3_T4_T5_T6_T7_T9_mT8_P12ihipStream_tbDpT10_ENKUlT_T0_E_clISt17integral_constantIbLb1EES1B_IbLb0EEEEDaS17_S18_EUlS17_E_NS1_11comp_targetILNS1_3genE4ELNS1_11target_archE910ELNS1_3gpuE8ELNS1_3repE0EEENS1_30default_config_static_selectorELNS0_4arch9wavefront6targetE0EEEvT1_.has_indirect_call, 0
	.section	.AMDGPU.csdata,"",@progbits
; Kernel info:
; codeLenInByte = 0
; TotalNumSgprs: 0
; NumVgprs: 0
; ScratchSize: 0
; MemoryBound: 0
; FloatMode: 240
; IeeeMode: 1
; LDSByteSize: 0 bytes/workgroup (compile time only)
; SGPRBlocks: 0
; VGPRBlocks: 0
; NumSGPRsForWavesPerEU: 1
; NumVGPRsForWavesPerEU: 1
; NamedBarCnt: 0
; Occupancy: 16
; WaveLimiterHint : 0
; COMPUTE_PGM_RSRC2:SCRATCH_EN: 0
; COMPUTE_PGM_RSRC2:USER_SGPR: 2
; COMPUTE_PGM_RSRC2:TRAP_HANDLER: 0
; COMPUTE_PGM_RSRC2:TGID_X_EN: 1
; COMPUTE_PGM_RSRC2:TGID_Y_EN: 0
; COMPUTE_PGM_RSRC2:TGID_Z_EN: 0
; COMPUTE_PGM_RSRC2:TIDIG_COMP_CNT: 0
	.section	.text._ZN7rocprim17ROCPRIM_400000_NS6detail17trampoline_kernelINS0_14default_configENS1_25partition_config_selectorILNS1_17partition_subalgoE9EllbEEZZNS1_14partition_implILS5_9ELb0ES3_jPlS8_PNS0_10empty_typeENS0_5tupleIJS8_S9_EEENSB_IJS8_SA_EEENS0_18inequality_wrapperIZN2at6native12_GLOBAL__N_124unique_dim_cuda_templateIN3c108BFloat16EEESt5tupleIJNSF_6TensorESM_SM_EERKSM_lbbbEUlllE0_EEPmJS9_EEE10hipError_tPvRmT3_T4_T5_T6_T7_T9_mT8_P12ihipStream_tbDpT10_ENKUlT_T0_E_clISt17integral_constantIbLb1EES1B_IbLb0EEEEDaS17_S18_EUlS17_E_NS1_11comp_targetILNS1_3genE3ELNS1_11target_archE908ELNS1_3gpuE7ELNS1_3repE0EEENS1_30default_config_static_selectorELNS0_4arch9wavefront6targetE0EEEvT1_,"axG",@progbits,_ZN7rocprim17ROCPRIM_400000_NS6detail17trampoline_kernelINS0_14default_configENS1_25partition_config_selectorILNS1_17partition_subalgoE9EllbEEZZNS1_14partition_implILS5_9ELb0ES3_jPlS8_PNS0_10empty_typeENS0_5tupleIJS8_S9_EEENSB_IJS8_SA_EEENS0_18inequality_wrapperIZN2at6native12_GLOBAL__N_124unique_dim_cuda_templateIN3c108BFloat16EEESt5tupleIJNSF_6TensorESM_SM_EERKSM_lbbbEUlllE0_EEPmJS9_EEE10hipError_tPvRmT3_T4_T5_T6_T7_T9_mT8_P12ihipStream_tbDpT10_ENKUlT_T0_E_clISt17integral_constantIbLb1EES1B_IbLb0EEEEDaS17_S18_EUlS17_E_NS1_11comp_targetILNS1_3genE3ELNS1_11target_archE908ELNS1_3gpuE7ELNS1_3repE0EEENS1_30default_config_static_selectorELNS0_4arch9wavefront6targetE0EEEvT1_,comdat
	.globl	_ZN7rocprim17ROCPRIM_400000_NS6detail17trampoline_kernelINS0_14default_configENS1_25partition_config_selectorILNS1_17partition_subalgoE9EllbEEZZNS1_14partition_implILS5_9ELb0ES3_jPlS8_PNS0_10empty_typeENS0_5tupleIJS8_S9_EEENSB_IJS8_SA_EEENS0_18inequality_wrapperIZN2at6native12_GLOBAL__N_124unique_dim_cuda_templateIN3c108BFloat16EEESt5tupleIJNSF_6TensorESM_SM_EERKSM_lbbbEUlllE0_EEPmJS9_EEE10hipError_tPvRmT3_T4_T5_T6_T7_T9_mT8_P12ihipStream_tbDpT10_ENKUlT_T0_E_clISt17integral_constantIbLb1EES1B_IbLb0EEEEDaS17_S18_EUlS17_E_NS1_11comp_targetILNS1_3genE3ELNS1_11target_archE908ELNS1_3gpuE7ELNS1_3repE0EEENS1_30default_config_static_selectorELNS0_4arch9wavefront6targetE0EEEvT1_ ; -- Begin function _ZN7rocprim17ROCPRIM_400000_NS6detail17trampoline_kernelINS0_14default_configENS1_25partition_config_selectorILNS1_17partition_subalgoE9EllbEEZZNS1_14partition_implILS5_9ELb0ES3_jPlS8_PNS0_10empty_typeENS0_5tupleIJS8_S9_EEENSB_IJS8_SA_EEENS0_18inequality_wrapperIZN2at6native12_GLOBAL__N_124unique_dim_cuda_templateIN3c108BFloat16EEESt5tupleIJNSF_6TensorESM_SM_EERKSM_lbbbEUlllE0_EEPmJS9_EEE10hipError_tPvRmT3_T4_T5_T6_T7_T9_mT8_P12ihipStream_tbDpT10_ENKUlT_T0_E_clISt17integral_constantIbLb1EES1B_IbLb0EEEEDaS17_S18_EUlS17_E_NS1_11comp_targetILNS1_3genE3ELNS1_11target_archE908ELNS1_3gpuE7ELNS1_3repE0EEENS1_30default_config_static_selectorELNS0_4arch9wavefront6targetE0EEEvT1_
	.p2align	8
	.type	_ZN7rocprim17ROCPRIM_400000_NS6detail17trampoline_kernelINS0_14default_configENS1_25partition_config_selectorILNS1_17partition_subalgoE9EllbEEZZNS1_14partition_implILS5_9ELb0ES3_jPlS8_PNS0_10empty_typeENS0_5tupleIJS8_S9_EEENSB_IJS8_SA_EEENS0_18inequality_wrapperIZN2at6native12_GLOBAL__N_124unique_dim_cuda_templateIN3c108BFloat16EEESt5tupleIJNSF_6TensorESM_SM_EERKSM_lbbbEUlllE0_EEPmJS9_EEE10hipError_tPvRmT3_T4_T5_T6_T7_T9_mT8_P12ihipStream_tbDpT10_ENKUlT_T0_E_clISt17integral_constantIbLb1EES1B_IbLb0EEEEDaS17_S18_EUlS17_E_NS1_11comp_targetILNS1_3genE3ELNS1_11target_archE908ELNS1_3gpuE7ELNS1_3repE0EEENS1_30default_config_static_selectorELNS0_4arch9wavefront6targetE0EEEvT1_,@function
_ZN7rocprim17ROCPRIM_400000_NS6detail17trampoline_kernelINS0_14default_configENS1_25partition_config_selectorILNS1_17partition_subalgoE9EllbEEZZNS1_14partition_implILS5_9ELb0ES3_jPlS8_PNS0_10empty_typeENS0_5tupleIJS8_S9_EEENSB_IJS8_SA_EEENS0_18inequality_wrapperIZN2at6native12_GLOBAL__N_124unique_dim_cuda_templateIN3c108BFloat16EEESt5tupleIJNSF_6TensorESM_SM_EERKSM_lbbbEUlllE0_EEPmJS9_EEE10hipError_tPvRmT3_T4_T5_T6_T7_T9_mT8_P12ihipStream_tbDpT10_ENKUlT_T0_E_clISt17integral_constantIbLb1EES1B_IbLb0EEEEDaS17_S18_EUlS17_E_NS1_11comp_targetILNS1_3genE3ELNS1_11target_archE908ELNS1_3gpuE7ELNS1_3repE0EEENS1_30default_config_static_selectorELNS0_4arch9wavefront6targetE0EEEvT1_: ; @_ZN7rocprim17ROCPRIM_400000_NS6detail17trampoline_kernelINS0_14default_configENS1_25partition_config_selectorILNS1_17partition_subalgoE9EllbEEZZNS1_14partition_implILS5_9ELb0ES3_jPlS8_PNS0_10empty_typeENS0_5tupleIJS8_S9_EEENSB_IJS8_SA_EEENS0_18inequality_wrapperIZN2at6native12_GLOBAL__N_124unique_dim_cuda_templateIN3c108BFloat16EEESt5tupleIJNSF_6TensorESM_SM_EERKSM_lbbbEUlllE0_EEPmJS9_EEE10hipError_tPvRmT3_T4_T5_T6_T7_T9_mT8_P12ihipStream_tbDpT10_ENKUlT_T0_E_clISt17integral_constantIbLb1EES1B_IbLb0EEEEDaS17_S18_EUlS17_E_NS1_11comp_targetILNS1_3genE3ELNS1_11target_archE908ELNS1_3gpuE7ELNS1_3repE0EEENS1_30default_config_static_selectorELNS0_4arch9wavefront6targetE0EEEvT1_
; %bb.0:
	.section	.rodata,"a",@progbits
	.p2align	6, 0x0
	.amdhsa_kernel _ZN7rocprim17ROCPRIM_400000_NS6detail17trampoline_kernelINS0_14default_configENS1_25partition_config_selectorILNS1_17partition_subalgoE9EllbEEZZNS1_14partition_implILS5_9ELb0ES3_jPlS8_PNS0_10empty_typeENS0_5tupleIJS8_S9_EEENSB_IJS8_SA_EEENS0_18inequality_wrapperIZN2at6native12_GLOBAL__N_124unique_dim_cuda_templateIN3c108BFloat16EEESt5tupleIJNSF_6TensorESM_SM_EERKSM_lbbbEUlllE0_EEPmJS9_EEE10hipError_tPvRmT3_T4_T5_T6_T7_T9_mT8_P12ihipStream_tbDpT10_ENKUlT_T0_E_clISt17integral_constantIbLb1EES1B_IbLb0EEEEDaS17_S18_EUlS17_E_NS1_11comp_targetILNS1_3genE3ELNS1_11target_archE908ELNS1_3gpuE7ELNS1_3repE0EEENS1_30default_config_static_selectorELNS0_4arch9wavefront6targetE0EEEvT1_
		.amdhsa_group_segment_fixed_size 0
		.amdhsa_private_segment_fixed_size 0
		.amdhsa_kernarg_size 120
		.amdhsa_user_sgpr_count 2
		.amdhsa_user_sgpr_dispatch_ptr 0
		.amdhsa_user_sgpr_queue_ptr 0
		.amdhsa_user_sgpr_kernarg_segment_ptr 1
		.amdhsa_user_sgpr_dispatch_id 0
		.amdhsa_user_sgpr_kernarg_preload_length 0
		.amdhsa_user_sgpr_kernarg_preload_offset 0
		.amdhsa_user_sgpr_private_segment_size 0
		.amdhsa_wavefront_size32 1
		.amdhsa_uses_dynamic_stack 0
		.amdhsa_enable_private_segment 0
		.amdhsa_system_sgpr_workgroup_id_x 1
		.amdhsa_system_sgpr_workgroup_id_y 0
		.amdhsa_system_sgpr_workgroup_id_z 0
		.amdhsa_system_sgpr_workgroup_info 0
		.amdhsa_system_vgpr_workitem_id 0
		.amdhsa_next_free_vgpr 1
		.amdhsa_next_free_sgpr 1
		.amdhsa_named_barrier_count 0
		.amdhsa_reserve_vcc 0
		.amdhsa_float_round_mode_32 0
		.amdhsa_float_round_mode_16_64 0
		.amdhsa_float_denorm_mode_32 3
		.amdhsa_float_denorm_mode_16_64 3
		.amdhsa_fp16_overflow 0
		.amdhsa_memory_ordered 1
		.amdhsa_forward_progress 1
		.amdhsa_inst_pref_size 0
		.amdhsa_round_robin_scheduling 0
		.amdhsa_exception_fp_ieee_invalid_op 0
		.amdhsa_exception_fp_denorm_src 0
		.amdhsa_exception_fp_ieee_div_zero 0
		.amdhsa_exception_fp_ieee_overflow 0
		.amdhsa_exception_fp_ieee_underflow 0
		.amdhsa_exception_fp_ieee_inexact 0
		.amdhsa_exception_int_div_zero 0
	.end_amdhsa_kernel
	.section	.text._ZN7rocprim17ROCPRIM_400000_NS6detail17trampoline_kernelINS0_14default_configENS1_25partition_config_selectorILNS1_17partition_subalgoE9EllbEEZZNS1_14partition_implILS5_9ELb0ES3_jPlS8_PNS0_10empty_typeENS0_5tupleIJS8_S9_EEENSB_IJS8_SA_EEENS0_18inequality_wrapperIZN2at6native12_GLOBAL__N_124unique_dim_cuda_templateIN3c108BFloat16EEESt5tupleIJNSF_6TensorESM_SM_EERKSM_lbbbEUlllE0_EEPmJS9_EEE10hipError_tPvRmT3_T4_T5_T6_T7_T9_mT8_P12ihipStream_tbDpT10_ENKUlT_T0_E_clISt17integral_constantIbLb1EES1B_IbLb0EEEEDaS17_S18_EUlS17_E_NS1_11comp_targetILNS1_3genE3ELNS1_11target_archE908ELNS1_3gpuE7ELNS1_3repE0EEENS1_30default_config_static_selectorELNS0_4arch9wavefront6targetE0EEEvT1_,"axG",@progbits,_ZN7rocprim17ROCPRIM_400000_NS6detail17trampoline_kernelINS0_14default_configENS1_25partition_config_selectorILNS1_17partition_subalgoE9EllbEEZZNS1_14partition_implILS5_9ELb0ES3_jPlS8_PNS0_10empty_typeENS0_5tupleIJS8_S9_EEENSB_IJS8_SA_EEENS0_18inequality_wrapperIZN2at6native12_GLOBAL__N_124unique_dim_cuda_templateIN3c108BFloat16EEESt5tupleIJNSF_6TensorESM_SM_EERKSM_lbbbEUlllE0_EEPmJS9_EEE10hipError_tPvRmT3_T4_T5_T6_T7_T9_mT8_P12ihipStream_tbDpT10_ENKUlT_T0_E_clISt17integral_constantIbLb1EES1B_IbLb0EEEEDaS17_S18_EUlS17_E_NS1_11comp_targetILNS1_3genE3ELNS1_11target_archE908ELNS1_3gpuE7ELNS1_3repE0EEENS1_30default_config_static_selectorELNS0_4arch9wavefront6targetE0EEEvT1_,comdat
.Lfunc_end1225:
	.size	_ZN7rocprim17ROCPRIM_400000_NS6detail17trampoline_kernelINS0_14default_configENS1_25partition_config_selectorILNS1_17partition_subalgoE9EllbEEZZNS1_14partition_implILS5_9ELb0ES3_jPlS8_PNS0_10empty_typeENS0_5tupleIJS8_S9_EEENSB_IJS8_SA_EEENS0_18inequality_wrapperIZN2at6native12_GLOBAL__N_124unique_dim_cuda_templateIN3c108BFloat16EEESt5tupleIJNSF_6TensorESM_SM_EERKSM_lbbbEUlllE0_EEPmJS9_EEE10hipError_tPvRmT3_T4_T5_T6_T7_T9_mT8_P12ihipStream_tbDpT10_ENKUlT_T0_E_clISt17integral_constantIbLb1EES1B_IbLb0EEEEDaS17_S18_EUlS17_E_NS1_11comp_targetILNS1_3genE3ELNS1_11target_archE908ELNS1_3gpuE7ELNS1_3repE0EEENS1_30default_config_static_selectorELNS0_4arch9wavefront6targetE0EEEvT1_, .Lfunc_end1225-_ZN7rocprim17ROCPRIM_400000_NS6detail17trampoline_kernelINS0_14default_configENS1_25partition_config_selectorILNS1_17partition_subalgoE9EllbEEZZNS1_14partition_implILS5_9ELb0ES3_jPlS8_PNS0_10empty_typeENS0_5tupleIJS8_S9_EEENSB_IJS8_SA_EEENS0_18inequality_wrapperIZN2at6native12_GLOBAL__N_124unique_dim_cuda_templateIN3c108BFloat16EEESt5tupleIJNSF_6TensorESM_SM_EERKSM_lbbbEUlllE0_EEPmJS9_EEE10hipError_tPvRmT3_T4_T5_T6_T7_T9_mT8_P12ihipStream_tbDpT10_ENKUlT_T0_E_clISt17integral_constantIbLb1EES1B_IbLb0EEEEDaS17_S18_EUlS17_E_NS1_11comp_targetILNS1_3genE3ELNS1_11target_archE908ELNS1_3gpuE7ELNS1_3repE0EEENS1_30default_config_static_selectorELNS0_4arch9wavefront6targetE0EEEvT1_
                                        ; -- End function
	.set _ZN7rocprim17ROCPRIM_400000_NS6detail17trampoline_kernelINS0_14default_configENS1_25partition_config_selectorILNS1_17partition_subalgoE9EllbEEZZNS1_14partition_implILS5_9ELb0ES3_jPlS8_PNS0_10empty_typeENS0_5tupleIJS8_S9_EEENSB_IJS8_SA_EEENS0_18inequality_wrapperIZN2at6native12_GLOBAL__N_124unique_dim_cuda_templateIN3c108BFloat16EEESt5tupleIJNSF_6TensorESM_SM_EERKSM_lbbbEUlllE0_EEPmJS9_EEE10hipError_tPvRmT3_T4_T5_T6_T7_T9_mT8_P12ihipStream_tbDpT10_ENKUlT_T0_E_clISt17integral_constantIbLb1EES1B_IbLb0EEEEDaS17_S18_EUlS17_E_NS1_11comp_targetILNS1_3genE3ELNS1_11target_archE908ELNS1_3gpuE7ELNS1_3repE0EEENS1_30default_config_static_selectorELNS0_4arch9wavefront6targetE0EEEvT1_.num_vgpr, 0
	.set _ZN7rocprim17ROCPRIM_400000_NS6detail17trampoline_kernelINS0_14default_configENS1_25partition_config_selectorILNS1_17partition_subalgoE9EllbEEZZNS1_14partition_implILS5_9ELb0ES3_jPlS8_PNS0_10empty_typeENS0_5tupleIJS8_S9_EEENSB_IJS8_SA_EEENS0_18inequality_wrapperIZN2at6native12_GLOBAL__N_124unique_dim_cuda_templateIN3c108BFloat16EEESt5tupleIJNSF_6TensorESM_SM_EERKSM_lbbbEUlllE0_EEPmJS9_EEE10hipError_tPvRmT3_T4_T5_T6_T7_T9_mT8_P12ihipStream_tbDpT10_ENKUlT_T0_E_clISt17integral_constantIbLb1EES1B_IbLb0EEEEDaS17_S18_EUlS17_E_NS1_11comp_targetILNS1_3genE3ELNS1_11target_archE908ELNS1_3gpuE7ELNS1_3repE0EEENS1_30default_config_static_selectorELNS0_4arch9wavefront6targetE0EEEvT1_.num_agpr, 0
	.set _ZN7rocprim17ROCPRIM_400000_NS6detail17trampoline_kernelINS0_14default_configENS1_25partition_config_selectorILNS1_17partition_subalgoE9EllbEEZZNS1_14partition_implILS5_9ELb0ES3_jPlS8_PNS0_10empty_typeENS0_5tupleIJS8_S9_EEENSB_IJS8_SA_EEENS0_18inequality_wrapperIZN2at6native12_GLOBAL__N_124unique_dim_cuda_templateIN3c108BFloat16EEESt5tupleIJNSF_6TensorESM_SM_EERKSM_lbbbEUlllE0_EEPmJS9_EEE10hipError_tPvRmT3_T4_T5_T6_T7_T9_mT8_P12ihipStream_tbDpT10_ENKUlT_T0_E_clISt17integral_constantIbLb1EES1B_IbLb0EEEEDaS17_S18_EUlS17_E_NS1_11comp_targetILNS1_3genE3ELNS1_11target_archE908ELNS1_3gpuE7ELNS1_3repE0EEENS1_30default_config_static_selectorELNS0_4arch9wavefront6targetE0EEEvT1_.numbered_sgpr, 0
	.set _ZN7rocprim17ROCPRIM_400000_NS6detail17trampoline_kernelINS0_14default_configENS1_25partition_config_selectorILNS1_17partition_subalgoE9EllbEEZZNS1_14partition_implILS5_9ELb0ES3_jPlS8_PNS0_10empty_typeENS0_5tupleIJS8_S9_EEENSB_IJS8_SA_EEENS0_18inequality_wrapperIZN2at6native12_GLOBAL__N_124unique_dim_cuda_templateIN3c108BFloat16EEESt5tupleIJNSF_6TensorESM_SM_EERKSM_lbbbEUlllE0_EEPmJS9_EEE10hipError_tPvRmT3_T4_T5_T6_T7_T9_mT8_P12ihipStream_tbDpT10_ENKUlT_T0_E_clISt17integral_constantIbLb1EES1B_IbLb0EEEEDaS17_S18_EUlS17_E_NS1_11comp_targetILNS1_3genE3ELNS1_11target_archE908ELNS1_3gpuE7ELNS1_3repE0EEENS1_30default_config_static_selectorELNS0_4arch9wavefront6targetE0EEEvT1_.num_named_barrier, 0
	.set _ZN7rocprim17ROCPRIM_400000_NS6detail17trampoline_kernelINS0_14default_configENS1_25partition_config_selectorILNS1_17partition_subalgoE9EllbEEZZNS1_14partition_implILS5_9ELb0ES3_jPlS8_PNS0_10empty_typeENS0_5tupleIJS8_S9_EEENSB_IJS8_SA_EEENS0_18inequality_wrapperIZN2at6native12_GLOBAL__N_124unique_dim_cuda_templateIN3c108BFloat16EEESt5tupleIJNSF_6TensorESM_SM_EERKSM_lbbbEUlllE0_EEPmJS9_EEE10hipError_tPvRmT3_T4_T5_T6_T7_T9_mT8_P12ihipStream_tbDpT10_ENKUlT_T0_E_clISt17integral_constantIbLb1EES1B_IbLb0EEEEDaS17_S18_EUlS17_E_NS1_11comp_targetILNS1_3genE3ELNS1_11target_archE908ELNS1_3gpuE7ELNS1_3repE0EEENS1_30default_config_static_selectorELNS0_4arch9wavefront6targetE0EEEvT1_.private_seg_size, 0
	.set _ZN7rocprim17ROCPRIM_400000_NS6detail17trampoline_kernelINS0_14default_configENS1_25partition_config_selectorILNS1_17partition_subalgoE9EllbEEZZNS1_14partition_implILS5_9ELb0ES3_jPlS8_PNS0_10empty_typeENS0_5tupleIJS8_S9_EEENSB_IJS8_SA_EEENS0_18inequality_wrapperIZN2at6native12_GLOBAL__N_124unique_dim_cuda_templateIN3c108BFloat16EEESt5tupleIJNSF_6TensorESM_SM_EERKSM_lbbbEUlllE0_EEPmJS9_EEE10hipError_tPvRmT3_T4_T5_T6_T7_T9_mT8_P12ihipStream_tbDpT10_ENKUlT_T0_E_clISt17integral_constantIbLb1EES1B_IbLb0EEEEDaS17_S18_EUlS17_E_NS1_11comp_targetILNS1_3genE3ELNS1_11target_archE908ELNS1_3gpuE7ELNS1_3repE0EEENS1_30default_config_static_selectorELNS0_4arch9wavefront6targetE0EEEvT1_.uses_vcc, 0
	.set _ZN7rocprim17ROCPRIM_400000_NS6detail17trampoline_kernelINS0_14default_configENS1_25partition_config_selectorILNS1_17partition_subalgoE9EllbEEZZNS1_14partition_implILS5_9ELb0ES3_jPlS8_PNS0_10empty_typeENS0_5tupleIJS8_S9_EEENSB_IJS8_SA_EEENS0_18inequality_wrapperIZN2at6native12_GLOBAL__N_124unique_dim_cuda_templateIN3c108BFloat16EEESt5tupleIJNSF_6TensorESM_SM_EERKSM_lbbbEUlllE0_EEPmJS9_EEE10hipError_tPvRmT3_T4_T5_T6_T7_T9_mT8_P12ihipStream_tbDpT10_ENKUlT_T0_E_clISt17integral_constantIbLb1EES1B_IbLb0EEEEDaS17_S18_EUlS17_E_NS1_11comp_targetILNS1_3genE3ELNS1_11target_archE908ELNS1_3gpuE7ELNS1_3repE0EEENS1_30default_config_static_selectorELNS0_4arch9wavefront6targetE0EEEvT1_.uses_flat_scratch, 0
	.set _ZN7rocprim17ROCPRIM_400000_NS6detail17trampoline_kernelINS0_14default_configENS1_25partition_config_selectorILNS1_17partition_subalgoE9EllbEEZZNS1_14partition_implILS5_9ELb0ES3_jPlS8_PNS0_10empty_typeENS0_5tupleIJS8_S9_EEENSB_IJS8_SA_EEENS0_18inequality_wrapperIZN2at6native12_GLOBAL__N_124unique_dim_cuda_templateIN3c108BFloat16EEESt5tupleIJNSF_6TensorESM_SM_EERKSM_lbbbEUlllE0_EEPmJS9_EEE10hipError_tPvRmT3_T4_T5_T6_T7_T9_mT8_P12ihipStream_tbDpT10_ENKUlT_T0_E_clISt17integral_constantIbLb1EES1B_IbLb0EEEEDaS17_S18_EUlS17_E_NS1_11comp_targetILNS1_3genE3ELNS1_11target_archE908ELNS1_3gpuE7ELNS1_3repE0EEENS1_30default_config_static_selectorELNS0_4arch9wavefront6targetE0EEEvT1_.has_dyn_sized_stack, 0
	.set _ZN7rocprim17ROCPRIM_400000_NS6detail17trampoline_kernelINS0_14default_configENS1_25partition_config_selectorILNS1_17partition_subalgoE9EllbEEZZNS1_14partition_implILS5_9ELb0ES3_jPlS8_PNS0_10empty_typeENS0_5tupleIJS8_S9_EEENSB_IJS8_SA_EEENS0_18inequality_wrapperIZN2at6native12_GLOBAL__N_124unique_dim_cuda_templateIN3c108BFloat16EEESt5tupleIJNSF_6TensorESM_SM_EERKSM_lbbbEUlllE0_EEPmJS9_EEE10hipError_tPvRmT3_T4_T5_T6_T7_T9_mT8_P12ihipStream_tbDpT10_ENKUlT_T0_E_clISt17integral_constantIbLb1EES1B_IbLb0EEEEDaS17_S18_EUlS17_E_NS1_11comp_targetILNS1_3genE3ELNS1_11target_archE908ELNS1_3gpuE7ELNS1_3repE0EEENS1_30default_config_static_selectorELNS0_4arch9wavefront6targetE0EEEvT1_.has_recursion, 0
	.set _ZN7rocprim17ROCPRIM_400000_NS6detail17trampoline_kernelINS0_14default_configENS1_25partition_config_selectorILNS1_17partition_subalgoE9EllbEEZZNS1_14partition_implILS5_9ELb0ES3_jPlS8_PNS0_10empty_typeENS0_5tupleIJS8_S9_EEENSB_IJS8_SA_EEENS0_18inequality_wrapperIZN2at6native12_GLOBAL__N_124unique_dim_cuda_templateIN3c108BFloat16EEESt5tupleIJNSF_6TensorESM_SM_EERKSM_lbbbEUlllE0_EEPmJS9_EEE10hipError_tPvRmT3_T4_T5_T6_T7_T9_mT8_P12ihipStream_tbDpT10_ENKUlT_T0_E_clISt17integral_constantIbLb1EES1B_IbLb0EEEEDaS17_S18_EUlS17_E_NS1_11comp_targetILNS1_3genE3ELNS1_11target_archE908ELNS1_3gpuE7ELNS1_3repE0EEENS1_30default_config_static_selectorELNS0_4arch9wavefront6targetE0EEEvT1_.has_indirect_call, 0
	.section	.AMDGPU.csdata,"",@progbits
; Kernel info:
; codeLenInByte = 0
; TotalNumSgprs: 0
; NumVgprs: 0
; ScratchSize: 0
; MemoryBound: 0
; FloatMode: 240
; IeeeMode: 1
; LDSByteSize: 0 bytes/workgroup (compile time only)
; SGPRBlocks: 0
; VGPRBlocks: 0
; NumSGPRsForWavesPerEU: 1
; NumVGPRsForWavesPerEU: 1
; NamedBarCnt: 0
; Occupancy: 16
; WaveLimiterHint : 0
; COMPUTE_PGM_RSRC2:SCRATCH_EN: 0
; COMPUTE_PGM_RSRC2:USER_SGPR: 2
; COMPUTE_PGM_RSRC2:TRAP_HANDLER: 0
; COMPUTE_PGM_RSRC2:TGID_X_EN: 1
; COMPUTE_PGM_RSRC2:TGID_Y_EN: 0
; COMPUTE_PGM_RSRC2:TGID_Z_EN: 0
; COMPUTE_PGM_RSRC2:TIDIG_COMP_CNT: 0
	.section	.text._ZN7rocprim17ROCPRIM_400000_NS6detail17trampoline_kernelINS0_14default_configENS1_25partition_config_selectorILNS1_17partition_subalgoE9EllbEEZZNS1_14partition_implILS5_9ELb0ES3_jPlS8_PNS0_10empty_typeENS0_5tupleIJS8_S9_EEENSB_IJS8_SA_EEENS0_18inequality_wrapperIZN2at6native12_GLOBAL__N_124unique_dim_cuda_templateIN3c108BFloat16EEESt5tupleIJNSF_6TensorESM_SM_EERKSM_lbbbEUlllE0_EEPmJS9_EEE10hipError_tPvRmT3_T4_T5_T6_T7_T9_mT8_P12ihipStream_tbDpT10_ENKUlT_T0_E_clISt17integral_constantIbLb1EES1B_IbLb0EEEEDaS17_S18_EUlS17_E_NS1_11comp_targetILNS1_3genE2ELNS1_11target_archE906ELNS1_3gpuE6ELNS1_3repE0EEENS1_30default_config_static_selectorELNS0_4arch9wavefront6targetE0EEEvT1_,"axG",@progbits,_ZN7rocprim17ROCPRIM_400000_NS6detail17trampoline_kernelINS0_14default_configENS1_25partition_config_selectorILNS1_17partition_subalgoE9EllbEEZZNS1_14partition_implILS5_9ELb0ES3_jPlS8_PNS0_10empty_typeENS0_5tupleIJS8_S9_EEENSB_IJS8_SA_EEENS0_18inequality_wrapperIZN2at6native12_GLOBAL__N_124unique_dim_cuda_templateIN3c108BFloat16EEESt5tupleIJNSF_6TensorESM_SM_EERKSM_lbbbEUlllE0_EEPmJS9_EEE10hipError_tPvRmT3_T4_T5_T6_T7_T9_mT8_P12ihipStream_tbDpT10_ENKUlT_T0_E_clISt17integral_constantIbLb1EES1B_IbLb0EEEEDaS17_S18_EUlS17_E_NS1_11comp_targetILNS1_3genE2ELNS1_11target_archE906ELNS1_3gpuE6ELNS1_3repE0EEENS1_30default_config_static_selectorELNS0_4arch9wavefront6targetE0EEEvT1_,comdat
	.globl	_ZN7rocprim17ROCPRIM_400000_NS6detail17trampoline_kernelINS0_14default_configENS1_25partition_config_selectorILNS1_17partition_subalgoE9EllbEEZZNS1_14partition_implILS5_9ELb0ES3_jPlS8_PNS0_10empty_typeENS0_5tupleIJS8_S9_EEENSB_IJS8_SA_EEENS0_18inequality_wrapperIZN2at6native12_GLOBAL__N_124unique_dim_cuda_templateIN3c108BFloat16EEESt5tupleIJNSF_6TensorESM_SM_EERKSM_lbbbEUlllE0_EEPmJS9_EEE10hipError_tPvRmT3_T4_T5_T6_T7_T9_mT8_P12ihipStream_tbDpT10_ENKUlT_T0_E_clISt17integral_constantIbLb1EES1B_IbLb0EEEEDaS17_S18_EUlS17_E_NS1_11comp_targetILNS1_3genE2ELNS1_11target_archE906ELNS1_3gpuE6ELNS1_3repE0EEENS1_30default_config_static_selectorELNS0_4arch9wavefront6targetE0EEEvT1_ ; -- Begin function _ZN7rocprim17ROCPRIM_400000_NS6detail17trampoline_kernelINS0_14default_configENS1_25partition_config_selectorILNS1_17partition_subalgoE9EllbEEZZNS1_14partition_implILS5_9ELb0ES3_jPlS8_PNS0_10empty_typeENS0_5tupleIJS8_S9_EEENSB_IJS8_SA_EEENS0_18inequality_wrapperIZN2at6native12_GLOBAL__N_124unique_dim_cuda_templateIN3c108BFloat16EEESt5tupleIJNSF_6TensorESM_SM_EERKSM_lbbbEUlllE0_EEPmJS9_EEE10hipError_tPvRmT3_T4_T5_T6_T7_T9_mT8_P12ihipStream_tbDpT10_ENKUlT_T0_E_clISt17integral_constantIbLb1EES1B_IbLb0EEEEDaS17_S18_EUlS17_E_NS1_11comp_targetILNS1_3genE2ELNS1_11target_archE906ELNS1_3gpuE6ELNS1_3repE0EEENS1_30default_config_static_selectorELNS0_4arch9wavefront6targetE0EEEvT1_
	.p2align	8
	.type	_ZN7rocprim17ROCPRIM_400000_NS6detail17trampoline_kernelINS0_14default_configENS1_25partition_config_selectorILNS1_17partition_subalgoE9EllbEEZZNS1_14partition_implILS5_9ELb0ES3_jPlS8_PNS0_10empty_typeENS0_5tupleIJS8_S9_EEENSB_IJS8_SA_EEENS0_18inequality_wrapperIZN2at6native12_GLOBAL__N_124unique_dim_cuda_templateIN3c108BFloat16EEESt5tupleIJNSF_6TensorESM_SM_EERKSM_lbbbEUlllE0_EEPmJS9_EEE10hipError_tPvRmT3_T4_T5_T6_T7_T9_mT8_P12ihipStream_tbDpT10_ENKUlT_T0_E_clISt17integral_constantIbLb1EES1B_IbLb0EEEEDaS17_S18_EUlS17_E_NS1_11comp_targetILNS1_3genE2ELNS1_11target_archE906ELNS1_3gpuE6ELNS1_3repE0EEENS1_30default_config_static_selectorELNS0_4arch9wavefront6targetE0EEEvT1_,@function
_ZN7rocprim17ROCPRIM_400000_NS6detail17trampoline_kernelINS0_14default_configENS1_25partition_config_selectorILNS1_17partition_subalgoE9EllbEEZZNS1_14partition_implILS5_9ELb0ES3_jPlS8_PNS0_10empty_typeENS0_5tupleIJS8_S9_EEENSB_IJS8_SA_EEENS0_18inequality_wrapperIZN2at6native12_GLOBAL__N_124unique_dim_cuda_templateIN3c108BFloat16EEESt5tupleIJNSF_6TensorESM_SM_EERKSM_lbbbEUlllE0_EEPmJS9_EEE10hipError_tPvRmT3_T4_T5_T6_T7_T9_mT8_P12ihipStream_tbDpT10_ENKUlT_T0_E_clISt17integral_constantIbLb1EES1B_IbLb0EEEEDaS17_S18_EUlS17_E_NS1_11comp_targetILNS1_3genE2ELNS1_11target_archE906ELNS1_3gpuE6ELNS1_3repE0EEENS1_30default_config_static_selectorELNS0_4arch9wavefront6targetE0EEEvT1_: ; @_ZN7rocprim17ROCPRIM_400000_NS6detail17trampoline_kernelINS0_14default_configENS1_25partition_config_selectorILNS1_17partition_subalgoE9EllbEEZZNS1_14partition_implILS5_9ELb0ES3_jPlS8_PNS0_10empty_typeENS0_5tupleIJS8_S9_EEENSB_IJS8_SA_EEENS0_18inequality_wrapperIZN2at6native12_GLOBAL__N_124unique_dim_cuda_templateIN3c108BFloat16EEESt5tupleIJNSF_6TensorESM_SM_EERKSM_lbbbEUlllE0_EEPmJS9_EEE10hipError_tPvRmT3_T4_T5_T6_T7_T9_mT8_P12ihipStream_tbDpT10_ENKUlT_T0_E_clISt17integral_constantIbLb1EES1B_IbLb0EEEEDaS17_S18_EUlS17_E_NS1_11comp_targetILNS1_3genE2ELNS1_11target_archE906ELNS1_3gpuE6ELNS1_3repE0EEENS1_30default_config_static_selectorELNS0_4arch9wavefront6targetE0EEEvT1_
; %bb.0:
	.section	.rodata,"a",@progbits
	.p2align	6, 0x0
	.amdhsa_kernel _ZN7rocprim17ROCPRIM_400000_NS6detail17trampoline_kernelINS0_14default_configENS1_25partition_config_selectorILNS1_17partition_subalgoE9EllbEEZZNS1_14partition_implILS5_9ELb0ES3_jPlS8_PNS0_10empty_typeENS0_5tupleIJS8_S9_EEENSB_IJS8_SA_EEENS0_18inequality_wrapperIZN2at6native12_GLOBAL__N_124unique_dim_cuda_templateIN3c108BFloat16EEESt5tupleIJNSF_6TensorESM_SM_EERKSM_lbbbEUlllE0_EEPmJS9_EEE10hipError_tPvRmT3_T4_T5_T6_T7_T9_mT8_P12ihipStream_tbDpT10_ENKUlT_T0_E_clISt17integral_constantIbLb1EES1B_IbLb0EEEEDaS17_S18_EUlS17_E_NS1_11comp_targetILNS1_3genE2ELNS1_11target_archE906ELNS1_3gpuE6ELNS1_3repE0EEENS1_30default_config_static_selectorELNS0_4arch9wavefront6targetE0EEEvT1_
		.amdhsa_group_segment_fixed_size 0
		.amdhsa_private_segment_fixed_size 0
		.amdhsa_kernarg_size 120
		.amdhsa_user_sgpr_count 2
		.amdhsa_user_sgpr_dispatch_ptr 0
		.amdhsa_user_sgpr_queue_ptr 0
		.amdhsa_user_sgpr_kernarg_segment_ptr 1
		.amdhsa_user_sgpr_dispatch_id 0
		.amdhsa_user_sgpr_kernarg_preload_length 0
		.amdhsa_user_sgpr_kernarg_preload_offset 0
		.amdhsa_user_sgpr_private_segment_size 0
		.amdhsa_wavefront_size32 1
		.amdhsa_uses_dynamic_stack 0
		.amdhsa_enable_private_segment 0
		.amdhsa_system_sgpr_workgroup_id_x 1
		.amdhsa_system_sgpr_workgroup_id_y 0
		.amdhsa_system_sgpr_workgroup_id_z 0
		.amdhsa_system_sgpr_workgroup_info 0
		.amdhsa_system_vgpr_workitem_id 0
		.amdhsa_next_free_vgpr 1
		.amdhsa_next_free_sgpr 1
		.amdhsa_named_barrier_count 0
		.amdhsa_reserve_vcc 0
		.amdhsa_float_round_mode_32 0
		.amdhsa_float_round_mode_16_64 0
		.amdhsa_float_denorm_mode_32 3
		.amdhsa_float_denorm_mode_16_64 3
		.amdhsa_fp16_overflow 0
		.amdhsa_memory_ordered 1
		.amdhsa_forward_progress 1
		.amdhsa_inst_pref_size 0
		.amdhsa_round_robin_scheduling 0
		.amdhsa_exception_fp_ieee_invalid_op 0
		.amdhsa_exception_fp_denorm_src 0
		.amdhsa_exception_fp_ieee_div_zero 0
		.amdhsa_exception_fp_ieee_overflow 0
		.amdhsa_exception_fp_ieee_underflow 0
		.amdhsa_exception_fp_ieee_inexact 0
		.amdhsa_exception_int_div_zero 0
	.end_amdhsa_kernel
	.section	.text._ZN7rocprim17ROCPRIM_400000_NS6detail17trampoline_kernelINS0_14default_configENS1_25partition_config_selectorILNS1_17partition_subalgoE9EllbEEZZNS1_14partition_implILS5_9ELb0ES3_jPlS8_PNS0_10empty_typeENS0_5tupleIJS8_S9_EEENSB_IJS8_SA_EEENS0_18inequality_wrapperIZN2at6native12_GLOBAL__N_124unique_dim_cuda_templateIN3c108BFloat16EEESt5tupleIJNSF_6TensorESM_SM_EERKSM_lbbbEUlllE0_EEPmJS9_EEE10hipError_tPvRmT3_T4_T5_T6_T7_T9_mT8_P12ihipStream_tbDpT10_ENKUlT_T0_E_clISt17integral_constantIbLb1EES1B_IbLb0EEEEDaS17_S18_EUlS17_E_NS1_11comp_targetILNS1_3genE2ELNS1_11target_archE906ELNS1_3gpuE6ELNS1_3repE0EEENS1_30default_config_static_selectorELNS0_4arch9wavefront6targetE0EEEvT1_,"axG",@progbits,_ZN7rocprim17ROCPRIM_400000_NS6detail17trampoline_kernelINS0_14default_configENS1_25partition_config_selectorILNS1_17partition_subalgoE9EllbEEZZNS1_14partition_implILS5_9ELb0ES3_jPlS8_PNS0_10empty_typeENS0_5tupleIJS8_S9_EEENSB_IJS8_SA_EEENS0_18inequality_wrapperIZN2at6native12_GLOBAL__N_124unique_dim_cuda_templateIN3c108BFloat16EEESt5tupleIJNSF_6TensorESM_SM_EERKSM_lbbbEUlllE0_EEPmJS9_EEE10hipError_tPvRmT3_T4_T5_T6_T7_T9_mT8_P12ihipStream_tbDpT10_ENKUlT_T0_E_clISt17integral_constantIbLb1EES1B_IbLb0EEEEDaS17_S18_EUlS17_E_NS1_11comp_targetILNS1_3genE2ELNS1_11target_archE906ELNS1_3gpuE6ELNS1_3repE0EEENS1_30default_config_static_selectorELNS0_4arch9wavefront6targetE0EEEvT1_,comdat
.Lfunc_end1226:
	.size	_ZN7rocprim17ROCPRIM_400000_NS6detail17trampoline_kernelINS0_14default_configENS1_25partition_config_selectorILNS1_17partition_subalgoE9EllbEEZZNS1_14partition_implILS5_9ELb0ES3_jPlS8_PNS0_10empty_typeENS0_5tupleIJS8_S9_EEENSB_IJS8_SA_EEENS0_18inequality_wrapperIZN2at6native12_GLOBAL__N_124unique_dim_cuda_templateIN3c108BFloat16EEESt5tupleIJNSF_6TensorESM_SM_EERKSM_lbbbEUlllE0_EEPmJS9_EEE10hipError_tPvRmT3_T4_T5_T6_T7_T9_mT8_P12ihipStream_tbDpT10_ENKUlT_T0_E_clISt17integral_constantIbLb1EES1B_IbLb0EEEEDaS17_S18_EUlS17_E_NS1_11comp_targetILNS1_3genE2ELNS1_11target_archE906ELNS1_3gpuE6ELNS1_3repE0EEENS1_30default_config_static_selectorELNS0_4arch9wavefront6targetE0EEEvT1_, .Lfunc_end1226-_ZN7rocprim17ROCPRIM_400000_NS6detail17trampoline_kernelINS0_14default_configENS1_25partition_config_selectorILNS1_17partition_subalgoE9EllbEEZZNS1_14partition_implILS5_9ELb0ES3_jPlS8_PNS0_10empty_typeENS0_5tupleIJS8_S9_EEENSB_IJS8_SA_EEENS0_18inequality_wrapperIZN2at6native12_GLOBAL__N_124unique_dim_cuda_templateIN3c108BFloat16EEESt5tupleIJNSF_6TensorESM_SM_EERKSM_lbbbEUlllE0_EEPmJS9_EEE10hipError_tPvRmT3_T4_T5_T6_T7_T9_mT8_P12ihipStream_tbDpT10_ENKUlT_T0_E_clISt17integral_constantIbLb1EES1B_IbLb0EEEEDaS17_S18_EUlS17_E_NS1_11comp_targetILNS1_3genE2ELNS1_11target_archE906ELNS1_3gpuE6ELNS1_3repE0EEENS1_30default_config_static_selectorELNS0_4arch9wavefront6targetE0EEEvT1_
                                        ; -- End function
	.set _ZN7rocprim17ROCPRIM_400000_NS6detail17trampoline_kernelINS0_14default_configENS1_25partition_config_selectorILNS1_17partition_subalgoE9EllbEEZZNS1_14partition_implILS5_9ELb0ES3_jPlS8_PNS0_10empty_typeENS0_5tupleIJS8_S9_EEENSB_IJS8_SA_EEENS0_18inequality_wrapperIZN2at6native12_GLOBAL__N_124unique_dim_cuda_templateIN3c108BFloat16EEESt5tupleIJNSF_6TensorESM_SM_EERKSM_lbbbEUlllE0_EEPmJS9_EEE10hipError_tPvRmT3_T4_T5_T6_T7_T9_mT8_P12ihipStream_tbDpT10_ENKUlT_T0_E_clISt17integral_constantIbLb1EES1B_IbLb0EEEEDaS17_S18_EUlS17_E_NS1_11comp_targetILNS1_3genE2ELNS1_11target_archE906ELNS1_3gpuE6ELNS1_3repE0EEENS1_30default_config_static_selectorELNS0_4arch9wavefront6targetE0EEEvT1_.num_vgpr, 0
	.set _ZN7rocprim17ROCPRIM_400000_NS6detail17trampoline_kernelINS0_14default_configENS1_25partition_config_selectorILNS1_17partition_subalgoE9EllbEEZZNS1_14partition_implILS5_9ELb0ES3_jPlS8_PNS0_10empty_typeENS0_5tupleIJS8_S9_EEENSB_IJS8_SA_EEENS0_18inequality_wrapperIZN2at6native12_GLOBAL__N_124unique_dim_cuda_templateIN3c108BFloat16EEESt5tupleIJNSF_6TensorESM_SM_EERKSM_lbbbEUlllE0_EEPmJS9_EEE10hipError_tPvRmT3_T4_T5_T6_T7_T9_mT8_P12ihipStream_tbDpT10_ENKUlT_T0_E_clISt17integral_constantIbLb1EES1B_IbLb0EEEEDaS17_S18_EUlS17_E_NS1_11comp_targetILNS1_3genE2ELNS1_11target_archE906ELNS1_3gpuE6ELNS1_3repE0EEENS1_30default_config_static_selectorELNS0_4arch9wavefront6targetE0EEEvT1_.num_agpr, 0
	.set _ZN7rocprim17ROCPRIM_400000_NS6detail17trampoline_kernelINS0_14default_configENS1_25partition_config_selectorILNS1_17partition_subalgoE9EllbEEZZNS1_14partition_implILS5_9ELb0ES3_jPlS8_PNS0_10empty_typeENS0_5tupleIJS8_S9_EEENSB_IJS8_SA_EEENS0_18inequality_wrapperIZN2at6native12_GLOBAL__N_124unique_dim_cuda_templateIN3c108BFloat16EEESt5tupleIJNSF_6TensorESM_SM_EERKSM_lbbbEUlllE0_EEPmJS9_EEE10hipError_tPvRmT3_T4_T5_T6_T7_T9_mT8_P12ihipStream_tbDpT10_ENKUlT_T0_E_clISt17integral_constantIbLb1EES1B_IbLb0EEEEDaS17_S18_EUlS17_E_NS1_11comp_targetILNS1_3genE2ELNS1_11target_archE906ELNS1_3gpuE6ELNS1_3repE0EEENS1_30default_config_static_selectorELNS0_4arch9wavefront6targetE0EEEvT1_.numbered_sgpr, 0
	.set _ZN7rocprim17ROCPRIM_400000_NS6detail17trampoline_kernelINS0_14default_configENS1_25partition_config_selectorILNS1_17partition_subalgoE9EllbEEZZNS1_14partition_implILS5_9ELb0ES3_jPlS8_PNS0_10empty_typeENS0_5tupleIJS8_S9_EEENSB_IJS8_SA_EEENS0_18inequality_wrapperIZN2at6native12_GLOBAL__N_124unique_dim_cuda_templateIN3c108BFloat16EEESt5tupleIJNSF_6TensorESM_SM_EERKSM_lbbbEUlllE0_EEPmJS9_EEE10hipError_tPvRmT3_T4_T5_T6_T7_T9_mT8_P12ihipStream_tbDpT10_ENKUlT_T0_E_clISt17integral_constantIbLb1EES1B_IbLb0EEEEDaS17_S18_EUlS17_E_NS1_11comp_targetILNS1_3genE2ELNS1_11target_archE906ELNS1_3gpuE6ELNS1_3repE0EEENS1_30default_config_static_selectorELNS0_4arch9wavefront6targetE0EEEvT1_.num_named_barrier, 0
	.set _ZN7rocprim17ROCPRIM_400000_NS6detail17trampoline_kernelINS0_14default_configENS1_25partition_config_selectorILNS1_17partition_subalgoE9EllbEEZZNS1_14partition_implILS5_9ELb0ES3_jPlS8_PNS0_10empty_typeENS0_5tupleIJS8_S9_EEENSB_IJS8_SA_EEENS0_18inequality_wrapperIZN2at6native12_GLOBAL__N_124unique_dim_cuda_templateIN3c108BFloat16EEESt5tupleIJNSF_6TensorESM_SM_EERKSM_lbbbEUlllE0_EEPmJS9_EEE10hipError_tPvRmT3_T4_T5_T6_T7_T9_mT8_P12ihipStream_tbDpT10_ENKUlT_T0_E_clISt17integral_constantIbLb1EES1B_IbLb0EEEEDaS17_S18_EUlS17_E_NS1_11comp_targetILNS1_3genE2ELNS1_11target_archE906ELNS1_3gpuE6ELNS1_3repE0EEENS1_30default_config_static_selectorELNS0_4arch9wavefront6targetE0EEEvT1_.private_seg_size, 0
	.set _ZN7rocprim17ROCPRIM_400000_NS6detail17trampoline_kernelINS0_14default_configENS1_25partition_config_selectorILNS1_17partition_subalgoE9EllbEEZZNS1_14partition_implILS5_9ELb0ES3_jPlS8_PNS0_10empty_typeENS0_5tupleIJS8_S9_EEENSB_IJS8_SA_EEENS0_18inequality_wrapperIZN2at6native12_GLOBAL__N_124unique_dim_cuda_templateIN3c108BFloat16EEESt5tupleIJNSF_6TensorESM_SM_EERKSM_lbbbEUlllE0_EEPmJS9_EEE10hipError_tPvRmT3_T4_T5_T6_T7_T9_mT8_P12ihipStream_tbDpT10_ENKUlT_T0_E_clISt17integral_constantIbLb1EES1B_IbLb0EEEEDaS17_S18_EUlS17_E_NS1_11comp_targetILNS1_3genE2ELNS1_11target_archE906ELNS1_3gpuE6ELNS1_3repE0EEENS1_30default_config_static_selectorELNS0_4arch9wavefront6targetE0EEEvT1_.uses_vcc, 0
	.set _ZN7rocprim17ROCPRIM_400000_NS6detail17trampoline_kernelINS0_14default_configENS1_25partition_config_selectorILNS1_17partition_subalgoE9EllbEEZZNS1_14partition_implILS5_9ELb0ES3_jPlS8_PNS0_10empty_typeENS0_5tupleIJS8_S9_EEENSB_IJS8_SA_EEENS0_18inequality_wrapperIZN2at6native12_GLOBAL__N_124unique_dim_cuda_templateIN3c108BFloat16EEESt5tupleIJNSF_6TensorESM_SM_EERKSM_lbbbEUlllE0_EEPmJS9_EEE10hipError_tPvRmT3_T4_T5_T6_T7_T9_mT8_P12ihipStream_tbDpT10_ENKUlT_T0_E_clISt17integral_constantIbLb1EES1B_IbLb0EEEEDaS17_S18_EUlS17_E_NS1_11comp_targetILNS1_3genE2ELNS1_11target_archE906ELNS1_3gpuE6ELNS1_3repE0EEENS1_30default_config_static_selectorELNS0_4arch9wavefront6targetE0EEEvT1_.uses_flat_scratch, 0
	.set _ZN7rocprim17ROCPRIM_400000_NS6detail17trampoline_kernelINS0_14default_configENS1_25partition_config_selectorILNS1_17partition_subalgoE9EllbEEZZNS1_14partition_implILS5_9ELb0ES3_jPlS8_PNS0_10empty_typeENS0_5tupleIJS8_S9_EEENSB_IJS8_SA_EEENS0_18inequality_wrapperIZN2at6native12_GLOBAL__N_124unique_dim_cuda_templateIN3c108BFloat16EEESt5tupleIJNSF_6TensorESM_SM_EERKSM_lbbbEUlllE0_EEPmJS9_EEE10hipError_tPvRmT3_T4_T5_T6_T7_T9_mT8_P12ihipStream_tbDpT10_ENKUlT_T0_E_clISt17integral_constantIbLb1EES1B_IbLb0EEEEDaS17_S18_EUlS17_E_NS1_11comp_targetILNS1_3genE2ELNS1_11target_archE906ELNS1_3gpuE6ELNS1_3repE0EEENS1_30default_config_static_selectorELNS0_4arch9wavefront6targetE0EEEvT1_.has_dyn_sized_stack, 0
	.set _ZN7rocprim17ROCPRIM_400000_NS6detail17trampoline_kernelINS0_14default_configENS1_25partition_config_selectorILNS1_17partition_subalgoE9EllbEEZZNS1_14partition_implILS5_9ELb0ES3_jPlS8_PNS0_10empty_typeENS0_5tupleIJS8_S9_EEENSB_IJS8_SA_EEENS0_18inequality_wrapperIZN2at6native12_GLOBAL__N_124unique_dim_cuda_templateIN3c108BFloat16EEESt5tupleIJNSF_6TensorESM_SM_EERKSM_lbbbEUlllE0_EEPmJS9_EEE10hipError_tPvRmT3_T4_T5_T6_T7_T9_mT8_P12ihipStream_tbDpT10_ENKUlT_T0_E_clISt17integral_constantIbLb1EES1B_IbLb0EEEEDaS17_S18_EUlS17_E_NS1_11comp_targetILNS1_3genE2ELNS1_11target_archE906ELNS1_3gpuE6ELNS1_3repE0EEENS1_30default_config_static_selectorELNS0_4arch9wavefront6targetE0EEEvT1_.has_recursion, 0
	.set _ZN7rocprim17ROCPRIM_400000_NS6detail17trampoline_kernelINS0_14default_configENS1_25partition_config_selectorILNS1_17partition_subalgoE9EllbEEZZNS1_14partition_implILS5_9ELb0ES3_jPlS8_PNS0_10empty_typeENS0_5tupleIJS8_S9_EEENSB_IJS8_SA_EEENS0_18inequality_wrapperIZN2at6native12_GLOBAL__N_124unique_dim_cuda_templateIN3c108BFloat16EEESt5tupleIJNSF_6TensorESM_SM_EERKSM_lbbbEUlllE0_EEPmJS9_EEE10hipError_tPvRmT3_T4_T5_T6_T7_T9_mT8_P12ihipStream_tbDpT10_ENKUlT_T0_E_clISt17integral_constantIbLb1EES1B_IbLb0EEEEDaS17_S18_EUlS17_E_NS1_11comp_targetILNS1_3genE2ELNS1_11target_archE906ELNS1_3gpuE6ELNS1_3repE0EEENS1_30default_config_static_selectorELNS0_4arch9wavefront6targetE0EEEvT1_.has_indirect_call, 0
	.section	.AMDGPU.csdata,"",@progbits
; Kernel info:
; codeLenInByte = 0
; TotalNumSgprs: 0
; NumVgprs: 0
; ScratchSize: 0
; MemoryBound: 0
; FloatMode: 240
; IeeeMode: 1
; LDSByteSize: 0 bytes/workgroup (compile time only)
; SGPRBlocks: 0
; VGPRBlocks: 0
; NumSGPRsForWavesPerEU: 1
; NumVGPRsForWavesPerEU: 1
; NamedBarCnt: 0
; Occupancy: 16
; WaveLimiterHint : 0
; COMPUTE_PGM_RSRC2:SCRATCH_EN: 0
; COMPUTE_PGM_RSRC2:USER_SGPR: 2
; COMPUTE_PGM_RSRC2:TRAP_HANDLER: 0
; COMPUTE_PGM_RSRC2:TGID_X_EN: 1
; COMPUTE_PGM_RSRC2:TGID_Y_EN: 0
; COMPUTE_PGM_RSRC2:TGID_Z_EN: 0
; COMPUTE_PGM_RSRC2:TIDIG_COMP_CNT: 0
	.section	.text._ZN7rocprim17ROCPRIM_400000_NS6detail17trampoline_kernelINS0_14default_configENS1_25partition_config_selectorILNS1_17partition_subalgoE9EllbEEZZNS1_14partition_implILS5_9ELb0ES3_jPlS8_PNS0_10empty_typeENS0_5tupleIJS8_S9_EEENSB_IJS8_SA_EEENS0_18inequality_wrapperIZN2at6native12_GLOBAL__N_124unique_dim_cuda_templateIN3c108BFloat16EEESt5tupleIJNSF_6TensorESM_SM_EERKSM_lbbbEUlllE0_EEPmJS9_EEE10hipError_tPvRmT3_T4_T5_T6_T7_T9_mT8_P12ihipStream_tbDpT10_ENKUlT_T0_E_clISt17integral_constantIbLb1EES1B_IbLb0EEEEDaS17_S18_EUlS17_E_NS1_11comp_targetILNS1_3genE10ELNS1_11target_archE1200ELNS1_3gpuE4ELNS1_3repE0EEENS1_30default_config_static_selectorELNS0_4arch9wavefront6targetE0EEEvT1_,"axG",@progbits,_ZN7rocprim17ROCPRIM_400000_NS6detail17trampoline_kernelINS0_14default_configENS1_25partition_config_selectorILNS1_17partition_subalgoE9EllbEEZZNS1_14partition_implILS5_9ELb0ES3_jPlS8_PNS0_10empty_typeENS0_5tupleIJS8_S9_EEENSB_IJS8_SA_EEENS0_18inequality_wrapperIZN2at6native12_GLOBAL__N_124unique_dim_cuda_templateIN3c108BFloat16EEESt5tupleIJNSF_6TensorESM_SM_EERKSM_lbbbEUlllE0_EEPmJS9_EEE10hipError_tPvRmT3_T4_T5_T6_T7_T9_mT8_P12ihipStream_tbDpT10_ENKUlT_T0_E_clISt17integral_constantIbLb1EES1B_IbLb0EEEEDaS17_S18_EUlS17_E_NS1_11comp_targetILNS1_3genE10ELNS1_11target_archE1200ELNS1_3gpuE4ELNS1_3repE0EEENS1_30default_config_static_selectorELNS0_4arch9wavefront6targetE0EEEvT1_,comdat
	.globl	_ZN7rocprim17ROCPRIM_400000_NS6detail17trampoline_kernelINS0_14default_configENS1_25partition_config_selectorILNS1_17partition_subalgoE9EllbEEZZNS1_14partition_implILS5_9ELb0ES3_jPlS8_PNS0_10empty_typeENS0_5tupleIJS8_S9_EEENSB_IJS8_SA_EEENS0_18inequality_wrapperIZN2at6native12_GLOBAL__N_124unique_dim_cuda_templateIN3c108BFloat16EEESt5tupleIJNSF_6TensorESM_SM_EERKSM_lbbbEUlllE0_EEPmJS9_EEE10hipError_tPvRmT3_T4_T5_T6_T7_T9_mT8_P12ihipStream_tbDpT10_ENKUlT_T0_E_clISt17integral_constantIbLb1EES1B_IbLb0EEEEDaS17_S18_EUlS17_E_NS1_11comp_targetILNS1_3genE10ELNS1_11target_archE1200ELNS1_3gpuE4ELNS1_3repE0EEENS1_30default_config_static_selectorELNS0_4arch9wavefront6targetE0EEEvT1_ ; -- Begin function _ZN7rocprim17ROCPRIM_400000_NS6detail17trampoline_kernelINS0_14default_configENS1_25partition_config_selectorILNS1_17partition_subalgoE9EllbEEZZNS1_14partition_implILS5_9ELb0ES3_jPlS8_PNS0_10empty_typeENS0_5tupleIJS8_S9_EEENSB_IJS8_SA_EEENS0_18inequality_wrapperIZN2at6native12_GLOBAL__N_124unique_dim_cuda_templateIN3c108BFloat16EEESt5tupleIJNSF_6TensorESM_SM_EERKSM_lbbbEUlllE0_EEPmJS9_EEE10hipError_tPvRmT3_T4_T5_T6_T7_T9_mT8_P12ihipStream_tbDpT10_ENKUlT_T0_E_clISt17integral_constantIbLb1EES1B_IbLb0EEEEDaS17_S18_EUlS17_E_NS1_11comp_targetILNS1_3genE10ELNS1_11target_archE1200ELNS1_3gpuE4ELNS1_3repE0EEENS1_30default_config_static_selectorELNS0_4arch9wavefront6targetE0EEEvT1_
	.p2align	8
	.type	_ZN7rocprim17ROCPRIM_400000_NS6detail17trampoline_kernelINS0_14default_configENS1_25partition_config_selectorILNS1_17partition_subalgoE9EllbEEZZNS1_14partition_implILS5_9ELb0ES3_jPlS8_PNS0_10empty_typeENS0_5tupleIJS8_S9_EEENSB_IJS8_SA_EEENS0_18inequality_wrapperIZN2at6native12_GLOBAL__N_124unique_dim_cuda_templateIN3c108BFloat16EEESt5tupleIJNSF_6TensorESM_SM_EERKSM_lbbbEUlllE0_EEPmJS9_EEE10hipError_tPvRmT3_T4_T5_T6_T7_T9_mT8_P12ihipStream_tbDpT10_ENKUlT_T0_E_clISt17integral_constantIbLb1EES1B_IbLb0EEEEDaS17_S18_EUlS17_E_NS1_11comp_targetILNS1_3genE10ELNS1_11target_archE1200ELNS1_3gpuE4ELNS1_3repE0EEENS1_30default_config_static_selectorELNS0_4arch9wavefront6targetE0EEEvT1_,@function
_ZN7rocprim17ROCPRIM_400000_NS6detail17trampoline_kernelINS0_14default_configENS1_25partition_config_selectorILNS1_17partition_subalgoE9EllbEEZZNS1_14partition_implILS5_9ELb0ES3_jPlS8_PNS0_10empty_typeENS0_5tupleIJS8_S9_EEENSB_IJS8_SA_EEENS0_18inequality_wrapperIZN2at6native12_GLOBAL__N_124unique_dim_cuda_templateIN3c108BFloat16EEESt5tupleIJNSF_6TensorESM_SM_EERKSM_lbbbEUlllE0_EEPmJS9_EEE10hipError_tPvRmT3_T4_T5_T6_T7_T9_mT8_P12ihipStream_tbDpT10_ENKUlT_T0_E_clISt17integral_constantIbLb1EES1B_IbLb0EEEEDaS17_S18_EUlS17_E_NS1_11comp_targetILNS1_3genE10ELNS1_11target_archE1200ELNS1_3gpuE4ELNS1_3repE0EEENS1_30default_config_static_selectorELNS0_4arch9wavefront6targetE0EEEvT1_: ; @_ZN7rocprim17ROCPRIM_400000_NS6detail17trampoline_kernelINS0_14default_configENS1_25partition_config_selectorILNS1_17partition_subalgoE9EllbEEZZNS1_14partition_implILS5_9ELb0ES3_jPlS8_PNS0_10empty_typeENS0_5tupleIJS8_S9_EEENSB_IJS8_SA_EEENS0_18inequality_wrapperIZN2at6native12_GLOBAL__N_124unique_dim_cuda_templateIN3c108BFloat16EEESt5tupleIJNSF_6TensorESM_SM_EERKSM_lbbbEUlllE0_EEPmJS9_EEE10hipError_tPvRmT3_T4_T5_T6_T7_T9_mT8_P12ihipStream_tbDpT10_ENKUlT_T0_E_clISt17integral_constantIbLb1EES1B_IbLb0EEEEDaS17_S18_EUlS17_E_NS1_11comp_targetILNS1_3genE10ELNS1_11target_archE1200ELNS1_3gpuE4ELNS1_3repE0EEENS1_30default_config_static_selectorELNS0_4arch9wavefront6targetE0EEEvT1_
; %bb.0:
	.section	.rodata,"a",@progbits
	.p2align	6, 0x0
	.amdhsa_kernel _ZN7rocprim17ROCPRIM_400000_NS6detail17trampoline_kernelINS0_14default_configENS1_25partition_config_selectorILNS1_17partition_subalgoE9EllbEEZZNS1_14partition_implILS5_9ELb0ES3_jPlS8_PNS0_10empty_typeENS0_5tupleIJS8_S9_EEENSB_IJS8_SA_EEENS0_18inequality_wrapperIZN2at6native12_GLOBAL__N_124unique_dim_cuda_templateIN3c108BFloat16EEESt5tupleIJNSF_6TensorESM_SM_EERKSM_lbbbEUlllE0_EEPmJS9_EEE10hipError_tPvRmT3_T4_T5_T6_T7_T9_mT8_P12ihipStream_tbDpT10_ENKUlT_T0_E_clISt17integral_constantIbLb1EES1B_IbLb0EEEEDaS17_S18_EUlS17_E_NS1_11comp_targetILNS1_3genE10ELNS1_11target_archE1200ELNS1_3gpuE4ELNS1_3repE0EEENS1_30default_config_static_selectorELNS0_4arch9wavefront6targetE0EEEvT1_
		.amdhsa_group_segment_fixed_size 0
		.amdhsa_private_segment_fixed_size 0
		.amdhsa_kernarg_size 120
		.amdhsa_user_sgpr_count 2
		.amdhsa_user_sgpr_dispatch_ptr 0
		.amdhsa_user_sgpr_queue_ptr 0
		.amdhsa_user_sgpr_kernarg_segment_ptr 1
		.amdhsa_user_sgpr_dispatch_id 0
		.amdhsa_user_sgpr_kernarg_preload_length 0
		.amdhsa_user_sgpr_kernarg_preload_offset 0
		.amdhsa_user_sgpr_private_segment_size 0
		.amdhsa_wavefront_size32 1
		.amdhsa_uses_dynamic_stack 0
		.amdhsa_enable_private_segment 0
		.amdhsa_system_sgpr_workgroup_id_x 1
		.amdhsa_system_sgpr_workgroup_id_y 0
		.amdhsa_system_sgpr_workgroup_id_z 0
		.amdhsa_system_sgpr_workgroup_info 0
		.amdhsa_system_vgpr_workitem_id 0
		.amdhsa_next_free_vgpr 1
		.amdhsa_next_free_sgpr 1
		.amdhsa_named_barrier_count 0
		.amdhsa_reserve_vcc 0
		.amdhsa_float_round_mode_32 0
		.amdhsa_float_round_mode_16_64 0
		.amdhsa_float_denorm_mode_32 3
		.amdhsa_float_denorm_mode_16_64 3
		.amdhsa_fp16_overflow 0
		.amdhsa_memory_ordered 1
		.amdhsa_forward_progress 1
		.amdhsa_inst_pref_size 0
		.amdhsa_round_robin_scheduling 0
		.amdhsa_exception_fp_ieee_invalid_op 0
		.amdhsa_exception_fp_denorm_src 0
		.amdhsa_exception_fp_ieee_div_zero 0
		.amdhsa_exception_fp_ieee_overflow 0
		.amdhsa_exception_fp_ieee_underflow 0
		.amdhsa_exception_fp_ieee_inexact 0
		.amdhsa_exception_int_div_zero 0
	.end_amdhsa_kernel
	.section	.text._ZN7rocprim17ROCPRIM_400000_NS6detail17trampoline_kernelINS0_14default_configENS1_25partition_config_selectorILNS1_17partition_subalgoE9EllbEEZZNS1_14partition_implILS5_9ELb0ES3_jPlS8_PNS0_10empty_typeENS0_5tupleIJS8_S9_EEENSB_IJS8_SA_EEENS0_18inequality_wrapperIZN2at6native12_GLOBAL__N_124unique_dim_cuda_templateIN3c108BFloat16EEESt5tupleIJNSF_6TensorESM_SM_EERKSM_lbbbEUlllE0_EEPmJS9_EEE10hipError_tPvRmT3_T4_T5_T6_T7_T9_mT8_P12ihipStream_tbDpT10_ENKUlT_T0_E_clISt17integral_constantIbLb1EES1B_IbLb0EEEEDaS17_S18_EUlS17_E_NS1_11comp_targetILNS1_3genE10ELNS1_11target_archE1200ELNS1_3gpuE4ELNS1_3repE0EEENS1_30default_config_static_selectorELNS0_4arch9wavefront6targetE0EEEvT1_,"axG",@progbits,_ZN7rocprim17ROCPRIM_400000_NS6detail17trampoline_kernelINS0_14default_configENS1_25partition_config_selectorILNS1_17partition_subalgoE9EllbEEZZNS1_14partition_implILS5_9ELb0ES3_jPlS8_PNS0_10empty_typeENS0_5tupleIJS8_S9_EEENSB_IJS8_SA_EEENS0_18inequality_wrapperIZN2at6native12_GLOBAL__N_124unique_dim_cuda_templateIN3c108BFloat16EEESt5tupleIJNSF_6TensorESM_SM_EERKSM_lbbbEUlllE0_EEPmJS9_EEE10hipError_tPvRmT3_T4_T5_T6_T7_T9_mT8_P12ihipStream_tbDpT10_ENKUlT_T0_E_clISt17integral_constantIbLb1EES1B_IbLb0EEEEDaS17_S18_EUlS17_E_NS1_11comp_targetILNS1_3genE10ELNS1_11target_archE1200ELNS1_3gpuE4ELNS1_3repE0EEENS1_30default_config_static_selectorELNS0_4arch9wavefront6targetE0EEEvT1_,comdat
.Lfunc_end1227:
	.size	_ZN7rocprim17ROCPRIM_400000_NS6detail17trampoline_kernelINS0_14default_configENS1_25partition_config_selectorILNS1_17partition_subalgoE9EllbEEZZNS1_14partition_implILS5_9ELb0ES3_jPlS8_PNS0_10empty_typeENS0_5tupleIJS8_S9_EEENSB_IJS8_SA_EEENS0_18inequality_wrapperIZN2at6native12_GLOBAL__N_124unique_dim_cuda_templateIN3c108BFloat16EEESt5tupleIJNSF_6TensorESM_SM_EERKSM_lbbbEUlllE0_EEPmJS9_EEE10hipError_tPvRmT3_T4_T5_T6_T7_T9_mT8_P12ihipStream_tbDpT10_ENKUlT_T0_E_clISt17integral_constantIbLb1EES1B_IbLb0EEEEDaS17_S18_EUlS17_E_NS1_11comp_targetILNS1_3genE10ELNS1_11target_archE1200ELNS1_3gpuE4ELNS1_3repE0EEENS1_30default_config_static_selectorELNS0_4arch9wavefront6targetE0EEEvT1_, .Lfunc_end1227-_ZN7rocprim17ROCPRIM_400000_NS6detail17trampoline_kernelINS0_14default_configENS1_25partition_config_selectorILNS1_17partition_subalgoE9EllbEEZZNS1_14partition_implILS5_9ELb0ES3_jPlS8_PNS0_10empty_typeENS0_5tupleIJS8_S9_EEENSB_IJS8_SA_EEENS0_18inequality_wrapperIZN2at6native12_GLOBAL__N_124unique_dim_cuda_templateIN3c108BFloat16EEESt5tupleIJNSF_6TensorESM_SM_EERKSM_lbbbEUlllE0_EEPmJS9_EEE10hipError_tPvRmT3_T4_T5_T6_T7_T9_mT8_P12ihipStream_tbDpT10_ENKUlT_T0_E_clISt17integral_constantIbLb1EES1B_IbLb0EEEEDaS17_S18_EUlS17_E_NS1_11comp_targetILNS1_3genE10ELNS1_11target_archE1200ELNS1_3gpuE4ELNS1_3repE0EEENS1_30default_config_static_selectorELNS0_4arch9wavefront6targetE0EEEvT1_
                                        ; -- End function
	.set _ZN7rocprim17ROCPRIM_400000_NS6detail17trampoline_kernelINS0_14default_configENS1_25partition_config_selectorILNS1_17partition_subalgoE9EllbEEZZNS1_14partition_implILS5_9ELb0ES3_jPlS8_PNS0_10empty_typeENS0_5tupleIJS8_S9_EEENSB_IJS8_SA_EEENS0_18inequality_wrapperIZN2at6native12_GLOBAL__N_124unique_dim_cuda_templateIN3c108BFloat16EEESt5tupleIJNSF_6TensorESM_SM_EERKSM_lbbbEUlllE0_EEPmJS9_EEE10hipError_tPvRmT3_T4_T5_T6_T7_T9_mT8_P12ihipStream_tbDpT10_ENKUlT_T0_E_clISt17integral_constantIbLb1EES1B_IbLb0EEEEDaS17_S18_EUlS17_E_NS1_11comp_targetILNS1_3genE10ELNS1_11target_archE1200ELNS1_3gpuE4ELNS1_3repE0EEENS1_30default_config_static_selectorELNS0_4arch9wavefront6targetE0EEEvT1_.num_vgpr, 0
	.set _ZN7rocprim17ROCPRIM_400000_NS6detail17trampoline_kernelINS0_14default_configENS1_25partition_config_selectorILNS1_17partition_subalgoE9EllbEEZZNS1_14partition_implILS5_9ELb0ES3_jPlS8_PNS0_10empty_typeENS0_5tupleIJS8_S9_EEENSB_IJS8_SA_EEENS0_18inequality_wrapperIZN2at6native12_GLOBAL__N_124unique_dim_cuda_templateIN3c108BFloat16EEESt5tupleIJNSF_6TensorESM_SM_EERKSM_lbbbEUlllE0_EEPmJS9_EEE10hipError_tPvRmT3_T4_T5_T6_T7_T9_mT8_P12ihipStream_tbDpT10_ENKUlT_T0_E_clISt17integral_constantIbLb1EES1B_IbLb0EEEEDaS17_S18_EUlS17_E_NS1_11comp_targetILNS1_3genE10ELNS1_11target_archE1200ELNS1_3gpuE4ELNS1_3repE0EEENS1_30default_config_static_selectorELNS0_4arch9wavefront6targetE0EEEvT1_.num_agpr, 0
	.set _ZN7rocprim17ROCPRIM_400000_NS6detail17trampoline_kernelINS0_14default_configENS1_25partition_config_selectorILNS1_17partition_subalgoE9EllbEEZZNS1_14partition_implILS5_9ELb0ES3_jPlS8_PNS0_10empty_typeENS0_5tupleIJS8_S9_EEENSB_IJS8_SA_EEENS0_18inequality_wrapperIZN2at6native12_GLOBAL__N_124unique_dim_cuda_templateIN3c108BFloat16EEESt5tupleIJNSF_6TensorESM_SM_EERKSM_lbbbEUlllE0_EEPmJS9_EEE10hipError_tPvRmT3_T4_T5_T6_T7_T9_mT8_P12ihipStream_tbDpT10_ENKUlT_T0_E_clISt17integral_constantIbLb1EES1B_IbLb0EEEEDaS17_S18_EUlS17_E_NS1_11comp_targetILNS1_3genE10ELNS1_11target_archE1200ELNS1_3gpuE4ELNS1_3repE0EEENS1_30default_config_static_selectorELNS0_4arch9wavefront6targetE0EEEvT1_.numbered_sgpr, 0
	.set _ZN7rocprim17ROCPRIM_400000_NS6detail17trampoline_kernelINS0_14default_configENS1_25partition_config_selectorILNS1_17partition_subalgoE9EllbEEZZNS1_14partition_implILS5_9ELb0ES3_jPlS8_PNS0_10empty_typeENS0_5tupleIJS8_S9_EEENSB_IJS8_SA_EEENS0_18inequality_wrapperIZN2at6native12_GLOBAL__N_124unique_dim_cuda_templateIN3c108BFloat16EEESt5tupleIJNSF_6TensorESM_SM_EERKSM_lbbbEUlllE0_EEPmJS9_EEE10hipError_tPvRmT3_T4_T5_T6_T7_T9_mT8_P12ihipStream_tbDpT10_ENKUlT_T0_E_clISt17integral_constantIbLb1EES1B_IbLb0EEEEDaS17_S18_EUlS17_E_NS1_11comp_targetILNS1_3genE10ELNS1_11target_archE1200ELNS1_3gpuE4ELNS1_3repE0EEENS1_30default_config_static_selectorELNS0_4arch9wavefront6targetE0EEEvT1_.num_named_barrier, 0
	.set _ZN7rocprim17ROCPRIM_400000_NS6detail17trampoline_kernelINS0_14default_configENS1_25partition_config_selectorILNS1_17partition_subalgoE9EllbEEZZNS1_14partition_implILS5_9ELb0ES3_jPlS8_PNS0_10empty_typeENS0_5tupleIJS8_S9_EEENSB_IJS8_SA_EEENS0_18inequality_wrapperIZN2at6native12_GLOBAL__N_124unique_dim_cuda_templateIN3c108BFloat16EEESt5tupleIJNSF_6TensorESM_SM_EERKSM_lbbbEUlllE0_EEPmJS9_EEE10hipError_tPvRmT3_T4_T5_T6_T7_T9_mT8_P12ihipStream_tbDpT10_ENKUlT_T0_E_clISt17integral_constantIbLb1EES1B_IbLb0EEEEDaS17_S18_EUlS17_E_NS1_11comp_targetILNS1_3genE10ELNS1_11target_archE1200ELNS1_3gpuE4ELNS1_3repE0EEENS1_30default_config_static_selectorELNS0_4arch9wavefront6targetE0EEEvT1_.private_seg_size, 0
	.set _ZN7rocprim17ROCPRIM_400000_NS6detail17trampoline_kernelINS0_14default_configENS1_25partition_config_selectorILNS1_17partition_subalgoE9EllbEEZZNS1_14partition_implILS5_9ELb0ES3_jPlS8_PNS0_10empty_typeENS0_5tupleIJS8_S9_EEENSB_IJS8_SA_EEENS0_18inequality_wrapperIZN2at6native12_GLOBAL__N_124unique_dim_cuda_templateIN3c108BFloat16EEESt5tupleIJNSF_6TensorESM_SM_EERKSM_lbbbEUlllE0_EEPmJS9_EEE10hipError_tPvRmT3_T4_T5_T6_T7_T9_mT8_P12ihipStream_tbDpT10_ENKUlT_T0_E_clISt17integral_constantIbLb1EES1B_IbLb0EEEEDaS17_S18_EUlS17_E_NS1_11comp_targetILNS1_3genE10ELNS1_11target_archE1200ELNS1_3gpuE4ELNS1_3repE0EEENS1_30default_config_static_selectorELNS0_4arch9wavefront6targetE0EEEvT1_.uses_vcc, 0
	.set _ZN7rocprim17ROCPRIM_400000_NS6detail17trampoline_kernelINS0_14default_configENS1_25partition_config_selectorILNS1_17partition_subalgoE9EllbEEZZNS1_14partition_implILS5_9ELb0ES3_jPlS8_PNS0_10empty_typeENS0_5tupleIJS8_S9_EEENSB_IJS8_SA_EEENS0_18inequality_wrapperIZN2at6native12_GLOBAL__N_124unique_dim_cuda_templateIN3c108BFloat16EEESt5tupleIJNSF_6TensorESM_SM_EERKSM_lbbbEUlllE0_EEPmJS9_EEE10hipError_tPvRmT3_T4_T5_T6_T7_T9_mT8_P12ihipStream_tbDpT10_ENKUlT_T0_E_clISt17integral_constantIbLb1EES1B_IbLb0EEEEDaS17_S18_EUlS17_E_NS1_11comp_targetILNS1_3genE10ELNS1_11target_archE1200ELNS1_3gpuE4ELNS1_3repE0EEENS1_30default_config_static_selectorELNS0_4arch9wavefront6targetE0EEEvT1_.uses_flat_scratch, 0
	.set _ZN7rocprim17ROCPRIM_400000_NS6detail17trampoline_kernelINS0_14default_configENS1_25partition_config_selectorILNS1_17partition_subalgoE9EllbEEZZNS1_14partition_implILS5_9ELb0ES3_jPlS8_PNS0_10empty_typeENS0_5tupleIJS8_S9_EEENSB_IJS8_SA_EEENS0_18inequality_wrapperIZN2at6native12_GLOBAL__N_124unique_dim_cuda_templateIN3c108BFloat16EEESt5tupleIJNSF_6TensorESM_SM_EERKSM_lbbbEUlllE0_EEPmJS9_EEE10hipError_tPvRmT3_T4_T5_T6_T7_T9_mT8_P12ihipStream_tbDpT10_ENKUlT_T0_E_clISt17integral_constantIbLb1EES1B_IbLb0EEEEDaS17_S18_EUlS17_E_NS1_11comp_targetILNS1_3genE10ELNS1_11target_archE1200ELNS1_3gpuE4ELNS1_3repE0EEENS1_30default_config_static_selectorELNS0_4arch9wavefront6targetE0EEEvT1_.has_dyn_sized_stack, 0
	.set _ZN7rocprim17ROCPRIM_400000_NS6detail17trampoline_kernelINS0_14default_configENS1_25partition_config_selectorILNS1_17partition_subalgoE9EllbEEZZNS1_14partition_implILS5_9ELb0ES3_jPlS8_PNS0_10empty_typeENS0_5tupleIJS8_S9_EEENSB_IJS8_SA_EEENS0_18inequality_wrapperIZN2at6native12_GLOBAL__N_124unique_dim_cuda_templateIN3c108BFloat16EEESt5tupleIJNSF_6TensorESM_SM_EERKSM_lbbbEUlllE0_EEPmJS9_EEE10hipError_tPvRmT3_T4_T5_T6_T7_T9_mT8_P12ihipStream_tbDpT10_ENKUlT_T0_E_clISt17integral_constantIbLb1EES1B_IbLb0EEEEDaS17_S18_EUlS17_E_NS1_11comp_targetILNS1_3genE10ELNS1_11target_archE1200ELNS1_3gpuE4ELNS1_3repE0EEENS1_30default_config_static_selectorELNS0_4arch9wavefront6targetE0EEEvT1_.has_recursion, 0
	.set _ZN7rocprim17ROCPRIM_400000_NS6detail17trampoline_kernelINS0_14default_configENS1_25partition_config_selectorILNS1_17partition_subalgoE9EllbEEZZNS1_14partition_implILS5_9ELb0ES3_jPlS8_PNS0_10empty_typeENS0_5tupleIJS8_S9_EEENSB_IJS8_SA_EEENS0_18inequality_wrapperIZN2at6native12_GLOBAL__N_124unique_dim_cuda_templateIN3c108BFloat16EEESt5tupleIJNSF_6TensorESM_SM_EERKSM_lbbbEUlllE0_EEPmJS9_EEE10hipError_tPvRmT3_T4_T5_T6_T7_T9_mT8_P12ihipStream_tbDpT10_ENKUlT_T0_E_clISt17integral_constantIbLb1EES1B_IbLb0EEEEDaS17_S18_EUlS17_E_NS1_11comp_targetILNS1_3genE10ELNS1_11target_archE1200ELNS1_3gpuE4ELNS1_3repE0EEENS1_30default_config_static_selectorELNS0_4arch9wavefront6targetE0EEEvT1_.has_indirect_call, 0
	.section	.AMDGPU.csdata,"",@progbits
; Kernel info:
; codeLenInByte = 0
; TotalNumSgprs: 0
; NumVgprs: 0
; ScratchSize: 0
; MemoryBound: 0
; FloatMode: 240
; IeeeMode: 1
; LDSByteSize: 0 bytes/workgroup (compile time only)
; SGPRBlocks: 0
; VGPRBlocks: 0
; NumSGPRsForWavesPerEU: 1
; NumVGPRsForWavesPerEU: 1
; NamedBarCnt: 0
; Occupancy: 16
; WaveLimiterHint : 0
; COMPUTE_PGM_RSRC2:SCRATCH_EN: 0
; COMPUTE_PGM_RSRC2:USER_SGPR: 2
; COMPUTE_PGM_RSRC2:TRAP_HANDLER: 0
; COMPUTE_PGM_RSRC2:TGID_X_EN: 1
; COMPUTE_PGM_RSRC2:TGID_Y_EN: 0
; COMPUTE_PGM_RSRC2:TGID_Z_EN: 0
; COMPUTE_PGM_RSRC2:TIDIG_COMP_CNT: 0
	.section	.text._ZN7rocprim17ROCPRIM_400000_NS6detail17trampoline_kernelINS0_14default_configENS1_25partition_config_selectorILNS1_17partition_subalgoE9EllbEEZZNS1_14partition_implILS5_9ELb0ES3_jPlS8_PNS0_10empty_typeENS0_5tupleIJS8_S9_EEENSB_IJS8_SA_EEENS0_18inequality_wrapperIZN2at6native12_GLOBAL__N_124unique_dim_cuda_templateIN3c108BFloat16EEESt5tupleIJNSF_6TensorESM_SM_EERKSM_lbbbEUlllE0_EEPmJS9_EEE10hipError_tPvRmT3_T4_T5_T6_T7_T9_mT8_P12ihipStream_tbDpT10_ENKUlT_T0_E_clISt17integral_constantIbLb1EES1B_IbLb0EEEEDaS17_S18_EUlS17_E_NS1_11comp_targetILNS1_3genE9ELNS1_11target_archE1100ELNS1_3gpuE3ELNS1_3repE0EEENS1_30default_config_static_selectorELNS0_4arch9wavefront6targetE0EEEvT1_,"axG",@progbits,_ZN7rocprim17ROCPRIM_400000_NS6detail17trampoline_kernelINS0_14default_configENS1_25partition_config_selectorILNS1_17partition_subalgoE9EllbEEZZNS1_14partition_implILS5_9ELb0ES3_jPlS8_PNS0_10empty_typeENS0_5tupleIJS8_S9_EEENSB_IJS8_SA_EEENS0_18inequality_wrapperIZN2at6native12_GLOBAL__N_124unique_dim_cuda_templateIN3c108BFloat16EEESt5tupleIJNSF_6TensorESM_SM_EERKSM_lbbbEUlllE0_EEPmJS9_EEE10hipError_tPvRmT3_T4_T5_T6_T7_T9_mT8_P12ihipStream_tbDpT10_ENKUlT_T0_E_clISt17integral_constantIbLb1EES1B_IbLb0EEEEDaS17_S18_EUlS17_E_NS1_11comp_targetILNS1_3genE9ELNS1_11target_archE1100ELNS1_3gpuE3ELNS1_3repE0EEENS1_30default_config_static_selectorELNS0_4arch9wavefront6targetE0EEEvT1_,comdat
	.globl	_ZN7rocprim17ROCPRIM_400000_NS6detail17trampoline_kernelINS0_14default_configENS1_25partition_config_selectorILNS1_17partition_subalgoE9EllbEEZZNS1_14partition_implILS5_9ELb0ES3_jPlS8_PNS0_10empty_typeENS0_5tupleIJS8_S9_EEENSB_IJS8_SA_EEENS0_18inequality_wrapperIZN2at6native12_GLOBAL__N_124unique_dim_cuda_templateIN3c108BFloat16EEESt5tupleIJNSF_6TensorESM_SM_EERKSM_lbbbEUlllE0_EEPmJS9_EEE10hipError_tPvRmT3_T4_T5_T6_T7_T9_mT8_P12ihipStream_tbDpT10_ENKUlT_T0_E_clISt17integral_constantIbLb1EES1B_IbLb0EEEEDaS17_S18_EUlS17_E_NS1_11comp_targetILNS1_3genE9ELNS1_11target_archE1100ELNS1_3gpuE3ELNS1_3repE0EEENS1_30default_config_static_selectorELNS0_4arch9wavefront6targetE0EEEvT1_ ; -- Begin function _ZN7rocprim17ROCPRIM_400000_NS6detail17trampoline_kernelINS0_14default_configENS1_25partition_config_selectorILNS1_17partition_subalgoE9EllbEEZZNS1_14partition_implILS5_9ELb0ES3_jPlS8_PNS0_10empty_typeENS0_5tupleIJS8_S9_EEENSB_IJS8_SA_EEENS0_18inequality_wrapperIZN2at6native12_GLOBAL__N_124unique_dim_cuda_templateIN3c108BFloat16EEESt5tupleIJNSF_6TensorESM_SM_EERKSM_lbbbEUlllE0_EEPmJS9_EEE10hipError_tPvRmT3_T4_T5_T6_T7_T9_mT8_P12ihipStream_tbDpT10_ENKUlT_T0_E_clISt17integral_constantIbLb1EES1B_IbLb0EEEEDaS17_S18_EUlS17_E_NS1_11comp_targetILNS1_3genE9ELNS1_11target_archE1100ELNS1_3gpuE3ELNS1_3repE0EEENS1_30default_config_static_selectorELNS0_4arch9wavefront6targetE0EEEvT1_
	.p2align	8
	.type	_ZN7rocprim17ROCPRIM_400000_NS6detail17trampoline_kernelINS0_14default_configENS1_25partition_config_selectorILNS1_17partition_subalgoE9EllbEEZZNS1_14partition_implILS5_9ELb0ES3_jPlS8_PNS0_10empty_typeENS0_5tupleIJS8_S9_EEENSB_IJS8_SA_EEENS0_18inequality_wrapperIZN2at6native12_GLOBAL__N_124unique_dim_cuda_templateIN3c108BFloat16EEESt5tupleIJNSF_6TensorESM_SM_EERKSM_lbbbEUlllE0_EEPmJS9_EEE10hipError_tPvRmT3_T4_T5_T6_T7_T9_mT8_P12ihipStream_tbDpT10_ENKUlT_T0_E_clISt17integral_constantIbLb1EES1B_IbLb0EEEEDaS17_S18_EUlS17_E_NS1_11comp_targetILNS1_3genE9ELNS1_11target_archE1100ELNS1_3gpuE3ELNS1_3repE0EEENS1_30default_config_static_selectorELNS0_4arch9wavefront6targetE0EEEvT1_,@function
_ZN7rocprim17ROCPRIM_400000_NS6detail17trampoline_kernelINS0_14default_configENS1_25partition_config_selectorILNS1_17partition_subalgoE9EllbEEZZNS1_14partition_implILS5_9ELb0ES3_jPlS8_PNS0_10empty_typeENS0_5tupleIJS8_S9_EEENSB_IJS8_SA_EEENS0_18inequality_wrapperIZN2at6native12_GLOBAL__N_124unique_dim_cuda_templateIN3c108BFloat16EEESt5tupleIJNSF_6TensorESM_SM_EERKSM_lbbbEUlllE0_EEPmJS9_EEE10hipError_tPvRmT3_T4_T5_T6_T7_T9_mT8_P12ihipStream_tbDpT10_ENKUlT_T0_E_clISt17integral_constantIbLb1EES1B_IbLb0EEEEDaS17_S18_EUlS17_E_NS1_11comp_targetILNS1_3genE9ELNS1_11target_archE1100ELNS1_3gpuE3ELNS1_3repE0EEENS1_30default_config_static_selectorELNS0_4arch9wavefront6targetE0EEEvT1_: ; @_ZN7rocprim17ROCPRIM_400000_NS6detail17trampoline_kernelINS0_14default_configENS1_25partition_config_selectorILNS1_17partition_subalgoE9EllbEEZZNS1_14partition_implILS5_9ELb0ES3_jPlS8_PNS0_10empty_typeENS0_5tupleIJS8_S9_EEENSB_IJS8_SA_EEENS0_18inequality_wrapperIZN2at6native12_GLOBAL__N_124unique_dim_cuda_templateIN3c108BFloat16EEESt5tupleIJNSF_6TensorESM_SM_EERKSM_lbbbEUlllE0_EEPmJS9_EEE10hipError_tPvRmT3_T4_T5_T6_T7_T9_mT8_P12ihipStream_tbDpT10_ENKUlT_T0_E_clISt17integral_constantIbLb1EES1B_IbLb0EEEEDaS17_S18_EUlS17_E_NS1_11comp_targetILNS1_3genE9ELNS1_11target_archE1100ELNS1_3gpuE3ELNS1_3repE0EEENS1_30default_config_static_selectorELNS0_4arch9wavefront6targetE0EEEvT1_
; %bb.0:
	.section	.rodata,"a",@progbits
	.p2align	6, 0x0
	.amdhsa_kernel _ZN7rocprim17ROCPRIM_400000_NS6detail17trampoline_kernelINS0_14default_configENS1_25partition_config_selectorILNS1_17partition_subalgoE9EllbEEZZNS1_14partition_implILS5_9ELb0ES3_jPlS8_PNS0_10empty_typeENS0_5tupleIJS8_S9_EEENSB_IJS8_SA_EEENS0_18inequality_wrapperIZN2at6native12_GLOBAL__N_124unique_dim_cuda_templateIN3c108BFloat16EEESt5tupleIJNSF_6TensorESM_SM_EERKSM_lbbbEUlllE0_EEPmJS9_EEE10hipError_tPvRmT3_T4_T5_T6_T7_T9_mT8_P12ihipStream_tbDpT10_ENKUlT_T0_E_clISt17integral_constantIbLb1EES1B_IbLb0EEEEDaS17_S18_EUlS17_E_NS1_11comp_targetILNS1_3genE9ELNS1_11target_archE1100ELNS1_3gpuE3ELNS1_3repE0EEENS1_30default_config_static_selectorELNS0_4arch9wavefront6targetE0EEEvT1_
		.amdhsa_group_segment_fixed_size 0
		.amdhsa_private_segment_fixed_size 0
		.amdhsa_kernarg_size 120
		.amdhsa_user_sgpr_count 2
		.amdhsa_user_sgpr_dispatch_ptr 0
		.amdhsa_user_sgpr_queue_ptr 0
		.amdhsa_user_sgpr_kernarg_segment_ptr 1
		.amdhsa_user_sgpr_dispatch_id 0
		.amdhsa_user_sgpr_kernarg_preload_length 0
		.amdhsa_user_sgpr_kernarg_preload_offset 0
		.amdhsa_user_sgpr_private_segment_size 0
		.amdhsa_wavefront_size32 1
		.amdhsa_uses_dynamic_stack 0
		.amdhsa_enable_private_segment 0
		.amdhsa_system_sgpr_workgroup_id_x 1
		.amdhsa_system_sgpr_workgroup_id_y 0
		.amdhsa_system_sgpr_workgroup_id_z 0
		.amdhsa_system_sgpr_workgroup_info 0
		.amdhsa_system_vgpr_workitem_id 0
		.amdhsa_next_free_vgpr 1
		.amdhsa_next_free_sgpr 1
		.amdhsa_named_barrier_count 0
		.amdhsa_reserve_vcc 0
		.amdhsa_float_round_mode_32 0
		.amdhsa_float_round_mode_16_64 0
		.amdhsa_float_denorm_mode_32 3
		.amdhsa_float_denorm_mode_16_64 3
		.amdhsa_fp16_overflow 0
		.amdhsa_memory_ordered 1
		.amdhsa_forward_progress 1
		.amdhsa_inst_pref_size 0
		.amdhsa_round_robin_scheduling 0
		.amdhsa_exception_fp_ieee_invalid_op 0
		.amdhsa_exception_fp_denorm_src 0
		.amdhsa_exception_fp_ieee_div_zero 0
		.amdhsa_exception_fp_ieee_overflow 0
		.amdhsa_exception_fp_ieee_underflow 0
		.amdhsa_exception_fp_ieee_inexact 0
		.amdhsa_exception_int_div_zero 0
	.end_amdhsa_kernel
	.section	.text._ZN7rocprim17ROCPRIM_400000_NS6detail17trampoline_kernelINS0_14default_configENS1_25partition_config_selectorILNS1_17partition_subalgoE9EllbEEZZNS1_14partition_implILS5_9ELb0ES3_jPlS8_PNS0_10empty_typeENS0_5tupleIJS8_S9_EEENSB_IJS8_SA_EEENS0_18inequality_wrapperIZN2at6native12_GLOBAL__N_124unique_dim_cuda_templateIN3c108BFloat16EEESt5tupleIJNSF_6TensorESM_SM_EERKSM_lbbbEUlllE0_EEPmJS9_EEE10hipError_tPvRmT3_T4_T5_T6_T7_T9_mT8_P12ihipStream_tbDpT10_ENKUlT_T0_E_clISt17integral_constantIbLb1EES1B_IbLb0EEEEDaS17_S18_EUlS17_E_NS1_11comp_targetILNS1_3genE9ELNS1_11target_archE1100ELNS1_3gpuE3ELNS1_3repE0EEENS1_30default_config_static_selectorELNS0_4arch9wavefront6targetE0EEEvT1_,"axG",@progbits,_ZN7rocprim17ROCPRIM_400000_NS6detail17trampoline_kernelINS0_14default_configENS1_25partition_config_selectorILNS1_17partition_subalgoE9EllbEEZZNS1_14partition_implILS5_9ELb0ES3_jPlS8_PNS0_10empty_typeENS0_5tupleIJS8_S9_EEENSB_IJS8_SA_EEENS0_18inequality_wrapperIZN2at6native12_GLOBAL__N_124unique_dim_cuda_templateIN3c108BFloat16EEESt5tupleIJNSF_6TensorESM_SM_EERKSM_lbbbEUlllE0_EEPmJS9_EEE10hipError_tPvRmT3_T4_T5_T6_T7_T9_mT8_P12ihipStream_tbDpT10_ENKUlT_T0_E_clISt17integral_constantIbLb1EES1B_IbLb0EEEEDaS17_S18_EUlS17_E_NS1_11comp_targetILNS1_3genE9ELNS1_11target_archE1100ELNS1_3gpuE3ELNS1_3repE0EEENS1_30default_config_static_selectorELNS0_4arch9wavefront6targetE0EEEvT1_,comdat
.Lfunc_end1228:
	.size	_ZN7rocprim17ROCPRIM_400000_NS6detail17trampoline_kernelINS0_14default_configENS1_25partition_config_selectorILNS1_17partition_subalgoE9EllbEEZZNS1_14partition_implILS5_9ELb0ES3_jPlS8_PNS0_10empty_typeENS0_5tupleIJS8_S9_EEENSB_IJS8_SA_EEENS0_18inequality_wrapperIZN2at6native12_GLOBAL__N_124unique_dim_cuda_templateIN3c108BFloat16EEESt5tupleIJNSF_6TensorESM_SM_EERKSM_lbbbEUlllE0_EEPmJS9_EEE10hipError_tPvRmT3_T4_T5_T6_T7_T9_mT8_P12ihipStream_tbDpT10_ENKUlT_T0_E_clISt17integral_constantIbLb1EES1B_IbLb0EEEEDaS17_S18_EUlS17_E_NS1_11comp_targetILNS1_3genE9ELNS1_11target_archE1100ELNS1_3gpuE3ELNS1_3repE0EEENS1_30default_config_static_selectorELNS0_4arch9wavefront6targetE0EEEvT1_, .Lfunc_end1228-_ZN7rocprim17ROCPRIM_400000_NS6detail17trampoline_kernelINS0_14default_configENS1_25partition_config_selectorILNS1_17partition_subalgoE9EllbEEZZNS1_14partition_implILS5_9ELb0ES3_jPlS8_PNS0_10empty_typeENS0_5tupleIJS8_S9_EEENSB_IJS8_SA_EEENS0_18inequality_wrapperIZN2at6native12_GLOBAL__N_124unique_dim_cuda_templateIN3c108BFloat16EEESt5tupleIJNSF_6TensorESM_SM_EERKSM_lbbbEUlllE0_EEPmJS9_EEE10hipError_tPvRmT3_T4_T5_T6_T7_T9_mT8_P12ihipStream_tbDpT10_ENKUlT_T0_E_clISt17integral_constantIbLb1EES1B_IbLb0EEEEDaS17_S18_EUlS17_E_NS1_11comp_targetILNS1_3genE9ELNS1_11target_archE1100ELNS1_3gpuE3ELNS1_3repE0EEENS1_30default_config_static_selectorELNS0_4arch9wavefront6targetE0EEEvT1_
                                        ; -- End function
	.set _ZN7rocprim17ROCPRIM_400000_NS6detail17trampoline_kernelINS0_14default_configENS1_25partition_config_selectorILNS1_17partition_subalgoE9EllbEEZZNS1_14partition_implILS5_9ELb0ES3_jPlS8_PNS0_10empty_typeENS0_5tupleIJS8_S9_EEENSB_IJS8_SA_EEENS0_18inequality_wrapperIZN2at6native12_GLOBAL__N_124unique_dim_cuda_templateIN3c108BFloat16EEESt5tupleIJNSF_6TensorESM_SM_EERKSM_lbbbEUlllE0_EEPmJS9_EEE10hipError_tPvRmT3_T4_T5_T6_T7_T9_mT8_P12ihipStream_tbDpT10_ENKUlT_T0_E_clISt17integral_constantIbLb1EES1B_IbLb0EEEEDaS17_S18_EUlS17_E_NS1_11comp_targetILNS1_3genE9ELNS1_11target_archE1100ELNS1_3gpuE3ELNS1_3repE0EEENS1_30default_config_static_selectorELNS0_4arch9wavefront6targetE0EEEvT1_.num_vgpr, 0
	.set _ZN7rocprim17ROCPRIM_400000_NS6detail17trampoline_kernelINS0_14default_configENS1_25partition_config_selectorILNS1_17partition_subalgoE9EllbEEZZNS1_14partition_implILS5_9ELb0ES3_jPlS8_PNS0_10empty_typeENS0_5tupleIJS8_S9_EEENSB_IJS8_SA_EEENS0_18inequality_wrapperIZN2at6native12_GLOBAL__N_124unique_dim_cuda_templateIN3c108BFloat16EEESt5tupleIJNSF_6TensorESM_SM_EERKSM_lbbbEUlllE0_EEPmJS9_EEE10hipError_tPvRmT3_T4_T5_T6_T7_T9_mT8_P12ihipStream_tbDpT10_ENKUlT_T0_E_clISt17integral_constantIbLb1EES1B_IbLb0EEEEDaS17_S18_EUlS17_E_NS1_11comp_targetILNS1_3genE9ELNS1_11target_archE1100ELNS1_3gpuE3ELNS1_3repE0EEENS1_30default_config_static_selectorELNS0_4arch9wavefront6targetE0EEEvT1_.num_agpr, 0
	.set _ZN7rocprim17ROCPRIM_400000_NS6detail17trampoline_kernelINS0_14default_configENS1_25partition_config_selectorILNS1_17partition_subalgoE9EllbEEZZNS1_14partition_implILS5_9ELb0ES3_jPlS8_PNS0_10empty_typeENS0_5tupleIJS8_S9_EEENSB_IJS8_SA_EEENS0_18inequality_wrapperIZN2at6native12_GLOBAL__N_124unique_dim_cuda_templateIN3c108BFloat16EEESt5tupleIJNSF_6TensorESM_SM_EERKSM_lbbbEUlllE0_EEPmJS9_EEE10hipError_tPvRmT3_T4_T5_T6_T7_T9_mT8_P12ihipStream_tbDpT10_ENKUlT_T0_E_clISt17integral_constantIbLb1EES1B_IbLb0EEEEDaS17_S18_EUlS17_E_NS1_11comp_targetILNS1_3genE9ELNS1_11target_archE1100ELNS1_3gpuE3ELNS1_3repE0EEENS1_30default_config_static_selectorELNS0_4arch9wavefront6targetE0EEEvT1_.numbered_sgpr, 0
	.set _ZN7rocprim17ROCPRIM_400000_NS6detail17trampoline_kernelINS0_14default_configENS1_25partition_config_selectorILNS1_17partition_subalgoE9EllbEEZZNS1_14partition_implILS5_9ELb0ES3_jPlS8_PNS0_10empty_typeENS0_5tupleIJS8_S9_EEENSB_IJS8_SA_EEENS0_18inequality_wrapperIZN2at6native12_GLOBAL__N_124unique_dim_cuda_templateIN3c108BFloat16EEESt5tupleIJNSF_6TensorESM_SM_EERKSM_lbbbEUlllE0_EEPmJS9_EEE10hipError_tPvRmT3_T4_T5_T6_T7_T9_mT8_P12ihipStream_tbDpT10_ENKUlT_T0_E_clISt17integral_constantIbLb1EES1B_IbLb0EEEEDaS17_S18_EUlS17_E_NS1_11comp_targetILNS1_3genE9ELNS1_11target_archE1100ELNS1_3gpuE3ELNS1_3repE0EEENS1_30default_config_static_selectorELNS0_4arch9wavefront6targetE0EEEvT1_.num_named_barrier, 0
	.set _ZN7rocprim17ROCPRIM_400000_NS6detail17trampoline_kernelINS0_14default_configENS1_25partition_config_selectorILNS1_17partition_subalgoE9EllbEEZZNS1_14partition_implILS5_9ELb0ES3_jPlS8_PNS0_10empty_typeENS0_5tupleIJS8_S9_EEENSB_IJS8_SA_EEENS0_18inequality_wrapperIZN2at6native12_GLOBAL__N_124unique_dim_cuda_templateIN3c108BFloat16EEESt5tupleIJNSF_6TensorESM_SM_EERKSM_lbbbEUlllE0_EEPmJS9_EEE10hipError_tPvRmT3_T4_T5_T6_T7_T9_mT8_P12ihipStream_tbDpT10_ENKUlT_T0_E_clISt17integral_constantIbLb1EES1B_IbLb0EEEEDaS17_S18_EUlS17_E_NS1_11comp_targetILNS1_3genE9ELNS1_11target_archE1100ELNS1_3gpuE3ELNS1_3repE0EEENS1_30default_config_static_selectorELNS0_4arch9wavefront6targetE0EEEvT1_.private_seg_size, 0
	.set _ZN7rocprim17ROCPRIM_400000_NS6detail17trampoline_kernelINS0_14default_configENS1_25partition_config_selectorILNS1_17partition_subalgoE9EllbEEZZNS1_14partition_implILS5_9ELb0ES3_jPlS8_PNS0_10empty_typeENS0_5tupleIJS8_S9_EEENSB_IJS8_SA_EEENS0_18inequality_wrapperIZN2at6native12_GLOBAL__N_124unique_dim_cuda_templateIN3c108BFloat16EEESt5tupleIJNSF_6TensorESM_SM_EERKSM_lbbbEUlllE0_EEPmJS9_EEE10hipError_tPvRmT3_T4_T5_T6_T7_T9_mT8_P12ihipStream_tbDpT10_ENKUlT_T0_E_clISt17integral_constantIbLb1EES1B_IbLb0EEEEDaS17_S18_EUlS17_E_NS1_11comp_targetILNS1_3genE9ELNS1_11target_archE1100ELNS1_3gpuE3ELNS1_3repE0EEENS1_30default_config_static_selectorELNS0_4arch9wavefront6targetE0EEEvT1_.uses_vcc, 0
	.set _ZN7rocprim17ROCPRIM_400000_NS6detail17trampoline_kernelINS0_14default_configENS1_25partition_config_selectorILNS1_17partition_subalgoE9EllbEEZZNS1_14partition_implILS5_9ELb0ES3_jPlS8_PNS0_10empty_typeENS0_5tupleIJS8_S9_EEENSB_IJS8_SA_EEENS0_18inequality_wrapperIZN2at6native12_GLOBAL__N_124unique_dim_cuda_templateIN3c108BFloat16EEESt5tupleIJNSF_6TensorESM_SM_EERKSM_lbbbEUlllE0_EEPmJS9_EEE10hipError_tPvRmT3_T4_T5_T6_T7_T9_mT8_P12ihipStream_tbDpT10_ENKUlT_T0_E_clISt17integral_constantIbLb1EES1B_IbLb0EEEEDaS17_S18_EUlS17_E_NS1_11comp_targetILNS1_3genE9ELNS1_11target_archE1100ELNS1_3gpuE3ELNS1_3repE0EEENS1_30default_config_static_selectorELNS0_4arch9wavefront6targetE0EEEvT1_.uses_flat_scratch, 0
	.set _ZN7rocprim17ROCPRIM_400000_NS6detail17trampoline_kernelINS0_14default_configENS1_25partition_config_selectorILNS1_17partition_subalgoE9EllbEEZZNS1_14partition_implILS5_9ELb0ES3_jPlS8_PNS0_10empty_typeENS0_5tupleIJS8_S9_EEENSB_IJS8_SA_EEENS0_18inequality_wrapperIZN2at6native12_GLOBAL__N_124unique_dim_cuda_templateIN3c108BFloat16EEESt5tupleIJNSF_6TensorESM_SM_EERKSM_lbbbEUlllE0_EEPmJS9_EEE10hipError_tPvRmT3_T4_T5_T6_T7_T9_mT8_P12ihipStream_tbDpT10_ENKUlT_T0_E_clISt17integral_constantIbLb1EES1B_IbLb0EEEEDaS17_S18_EUlS17_E_NS1_11comp_targetILNS1_3genE9ELNS1_11target_archE1100ELNS1_3gpuE3ELNS1_3repE0EEENS1_30default_config_static_selectorELNS0_4arch9wavefront6targetE0EEEvT1_.has_dyn_sized_stack, 0
	.set _ZN7rocprim17ROCPRIM_400000_NS6detail17trampoline_kernelINS0_14default_configENS1_25partition_config_selectorILNS1_17partition_subalgoE9EllbEEZZNS1_14partition_implILS5_9ELb0ES3_jPlS8_PNS0_10empty_typeENS0_5tupleIJS8_S9_EEENSB_IJS8_SA_EEENS0_18inequality_wrapperIZN2at6native12_GLOBAL__N_124unique_dim_cuda_templateIN3c108BFloat16EEESt5tupleIJNSF_6TensorESM_SM_EERKSM_lbbbEUlllE0_EEPmJS9_EEE10hipError_tPvRmT3_T4_T5_T6_T7_T9_mT8_P12ihipStream_tbDpT10_ENKUlT_T0_E_clISt17integral_constantIbLb1EES1B_IbLb0EEEEDaS17_S18_EUlS17_E_NS1_11comp_targetILNS1_3genE9ELNS1_11target_archE1100ELNS1_3gpuE3ELNS1_3repE0EEENS1_30default_config_static_selectorELNS0_4arch9wavefront6targetE0EEEvT1_.has_recursion, 0
	.set _ZN7rocprim17ROCPRIM_400000_NS6detail17trampoline_kernelINS0_14default_configENS1_25partition_config_selectorILNS1_17partition_subalgoE9EllbEEZZNS1_14partition_implILS5_9ELb0ES3_jPlS8_PNS0_10empty_typeENS0_5tupleIJS8_S9_EEENSB_IJS8_SA_EEENS0_18inequality_wrapperIZN2at6native12_GLOBAL__N_124unique_dim_cuda_templateIN3c108BFloat16EEESt5tupleIJNSF_6TensorESM_SM_EERKSM_lbbbEUlllE0_EEPmJS9_EEE10hipError_tPvRmT3_T4_T5_T6_T7_T9_mT8_P12ihipStream_tbDpT10_ENKUlT_T0_E_clISt17integral_constantIbLb1EES1B_IbLb0EEEEDaS17_S18_EUlS17_E_NS1_11comp_targetILNS1_3genE9ELNS1_11target_archE1100ELNS1_3gpuE3ELNS1_3repE0EEENS1_30default_config_static_selectorELNS0_4arch9wavefront6targetE0EEEvT1_.has_indirect_call, 0
	.section	.AMDGPU.csdata,"",@progbits
; Kernel info:
; codeLenInByte = 0
; TotalNumSgprs: 0
; NumVgprs: 0
; ScratchSize: 0
; MemoryBound: 0
; FloatMode: 240
; IeeeMode: 1
; LDSByteSize: 0 bytes/workgroup (compile time only)
; SGPRBlocks: 0
; VGPRBlocks: 0
; NumSGPRsForWavesPerEU: 1
; NumVGPRsForWavesPerEU: 1
; NamedBarCnt: 0
; Occupancy: 16
; WaveLimiterHint : 0
; COMPUTE_PGM_RSRC2:SCRATCH_EN: 0
; COMPUTE_PGM_RSRC2:USER_SGPR: 2
; COMPUTE_PGM_RSRC2:TRAP_HANDLER: 0
; COMPUTE_PGM_RSRC2:TGID_X_EN: 1
; COMPUTE_PGM_RSRC2:TGID_Y_EN: 0
; COMPUTE_PGM_RSRC2:TGID_Z_EN: 0
; COMPUTE_PGM_RSRC2:TIDIG_COMP_CNT: 0
	.section	.text._ZN7rocprim17ROCPRIM_400000_NS6detail17trampoline_kernelINS0_14default_configENS1_25partition_config_selectorILNS1_17partition_subalgoE9EllbEEZZNS1_14partition_implILS5_9ELb0ES3_jPlS8_PNS0_10empty_typeENS0_5tupleIJS8_S9_EEENSB_IJS8_SA_EEENS0_18inequality_wrapperIZN2at6native12_GLOBAL__N_124unique_dim_cuda_templateIN3c108BFloat16EEESt5tupleIJNSF_6TensorESM_SM_EERKSM_lbbbEUlllE0_EEPmJS9_EEE10hipError_tPvRmT3_T4_T5_T6_T7_T9_mT8_P12ihipStream_tbDpT10_ENKUlT_T0_E_clISt17integral_constantIbLb1EES1B_IbLb0EEEEDaS17_S18_EUlS17_E_NS1_11comp_targetILNS1_3genE8ELNS1_11target_archE1030ELNS1_3gpuE2ELNS1_3repE0EEENS1_30default_config_static_selectorELNS0_4arch9wavefront6targetE0EEEvT1_,"axG",@progbits,_ZN7rocprim17ROCPRIM_400000_NS6detail17trampoline_kernelINS0_14default_configENS1_25partition_config_selectorILNS1_17partition_subalgoE9EllbEEZZNS1_14partition_implILS5_9ELb0ES3_jPlS8_PNS0_10empty_typeENS0_5tupleIJS8_S9_EEENSB_IJS8_SA_EEENS0_18inequality_wrapperIZN2at6native12_GLOBAL__N_124unique_dim_cuda_templateIN3c108BFloat16EEESt5tupleIJNSF_6TensorESM_SM_EERKSM_lbbbEUlllE0_EEPmJS9_EEE10hipError_tPvRmT3_T4_T5_T6_T7_T9_mT8_P12ihipStream_tbDpT10_ENKUlT_T0_E_clISt17integral_constantIbLb1EES1B_IbLb0EEEEDaS17_S18_EUlS17_E_NS1_11comp_targetILNS1_3genE8ELNS1_11target_archE1030ELNS1_3gpuE2ELNS1_3repE0EEENS1_30default_config_static_selectorELNS0_4arch9wavefront6targetE0EEEvT1_,comdat
	.globl	_ZN7rocprim17ROCPRIM_400000_NS6detail17trampoline_kernelINS0_14default_configENS1_25partition_config_selectorILNS1_17partition_subalgoE9EllbEEZZNS1_14partition_implILS5_9ELb0ES3_jPlS8_PNS0_10empty_typeENS0_5tupleIJS8_S9_EEENSB_IJS8_SA_EEENS0_18inequality_wrapperIZN2at6native12_GLOBAL__N_124unique_dim_cuda_templateIN3c108BFloat16EEESt5tupleIJNSF_6TensorESM_SM_EERKSM_lbbbEUlllE0_EEPmJS9_EEE10hipError_tPvRmT3_T4_T5_T6_T7_T9_mT8_P12ihipStream_tbDpT10_ENKUlT_T0_E_clISt17integral_constantIbLb1EES1B_IbLb0EEEEDaS17_S18_EUlS17_E_NS1_11comp_targetILNS1_3genE8ELNS1_11target_archE1030ELNS1_3gpuE2ELNS1_3repE0EEENS1_30default_config_static_selectorELNS0_4arch9wavefront6targetE0EEEvT1_ ; -- Begin function _ZN7rocprim17ROCPRIM_400000_NS6detail17trampoline_kernelINS0_14default_configENS1_25partition_config_selectorILNS1_17partition_subalgoE9EllbEEZZNS1_14partition_implILS5_9ELb0ES3_jPlS8_PNS0_10empty_typeENS0_5tupleIJS8_S9_EEENSB_IJS8_SA_EEENS0_18inequality_wrapperIZN2at6native12_GLOBAL__N_124unique_dim_cuda_templateIN3c108BFloat16EEESt5tupleIJNSF_6TensorESM_SM_EERKSM_lbbbEUlllE0_EEPmJS9_EEE10hipError_tPvRmT3_T4_T5_T6_T7_T9_mT8_P12ihipStream_tbDpT10_ENKUlT_T0_E_clISt17integral_constantIbLb1EES1B_IbLb0EEEEDaS17_S18_EUlS17_E_NS1_11comp_targetILNS1_3genE8ELNS1_11target_archE1030ELNS1_3gpuE2ELNS1_3repE0EEENS1_30default_config_static_selectorELNS0_4arch9wavefront6targetE0EEEvT1_
	.p2align	8
	.type	_ZN7rocprim17ROCPRIM_400000_NS6detail17trampoline_kernelINS0_14default_configENS1_25partition_config_selectorILNS1_17partition_subalgoE9EllbEEZZNS1_14partition_implILS5_9ELb0ES3_jPlS8_PNS0_10empty_typeENS0_5tupleIJS8_S9_EEENSB_IJS8_SA_EEENS0_18inequality_wrapperIZN2at6native12_GLOBAL__N_124unique_dim_cuda_templateIN3c108BFloat16EEESt5tupleIJNSF_6TensorESM_SM_EERKSM_lbbbEUlllE0_EEPmJS9_EEE10hipError_tPvRmT3_T4_T5_T6_T7_T9_mT8_P12ihipStream_tbDpT10_ENKUlT_T0_E_clISt17integral_constantIbLb1EES1B_IbLb0EEEEDaS17_S18_EUlS17_E_NS1_11comp_targetILNS1_3genE8ELNS1_11target_archE1030ELNS1_3gpuE2ELNS1_3repE0EEENS1_30default_config_static_selectorELNS0_4arch9wavefront6targetE0EEEvT1_,@function
_ZN7rocprim17ROCPRIM_400000_NS6detail17trampoline_kernelINS0_14default_configENS1_25partition_config_selectorILNS1_17partition_subalgoE9EllbEEZZNS1_14partition_implILS5_9ELb0ES3_jPlS8_PNS0_10empty_typeENS0_5tupleIJS8_S9_EEENSB_IJS8_SA_EEENS0_18inequality_wrapperIZN2at6native12_GLOBAL__N_124unique_dim_cuda_templateIN3c108BFloat16EEESt5tupleIJNSF_6TensorESM_SM_EERKSM_lbbbEUlllE0_EEPmJS9_EEE10hipError_tPvRmT3_T4_T5_T6_T7_T9_mT8_P12ihipStream_tbDpT10_ENKUlT_T0_E_clISt17integral_constantIbLb1EES1B_IbLb0EEEEDaS17_S18_EUlS17_E_NS1_11comp_targetILNS1_3genE8ELNS1_11target_archE1030ELNS1_3gpuE2ELNS1_3repE0EEENS1_30default_config_static_selectorELNS0_4arch9wavefront6targetE0EEEvT1_: ; @_ZN7rocprim17ROCPRIM_400000_NS6detail17trampoline_kernelINS0_14default_configENS1_25partition_config_selectorILNS1_17partition_subalgoE9EllbEEZZNS1_14partition_implILS5_9ELb0ES3_jPlS8_PNS0_10empty_typeENS0_5tupleIJS8_S9_EEENSB_IJS8_SA_EEENS0_18inequality_wrapperIZN2at6native12_GLOBAL__N_124unique_dim_cuda_templateIN3c108BFloat16EEESt5tupleIJNSF_6TensorESM_SM_EERKSM_lbbbEUlllE0_EEPmJS9_EEE10hipError_tPvRmT3_T4_T5_T6_T7_T9_mT8_P12ihipStream_tbDpT10_ENKUlT_T0_E_clISt17integral_constantIbLb1EES1B_IbLb0EEEEDaS17_S18_EUlS17_E_NS1_11comp_targetILNS1_3genE8ELNS1_11target_archE1030ELNS1_3gpuE2ELNS1_3repE0EEENS1_30default_config_static_selectorELNS0_4arch9wavefront6targetE0EEEvT1_
; %bb.0:
	.section	.rodata,"a",@progbits
	.p2align	6, 0x0
	.amdhsa_kernel _ZN7rocprim17ROCPRIM_400000_NS6detail17trampoline_kernelINS0_14default_configENS1_25partition_config_selectorILNS1_17partition_subalgoE9EllbEEZZNS1_14partition_implILS5_9ELb0ES3_jPlS8_PNS0_10empty_typeENS0_5tupleIJS8_S9_EEENSB_IJS8_SA_EEENS0_18inequality_wrapperIZN2at6native12_GLOBAL__N_124unique_dim_cuda_templateIN3c108BFloat16EEESt5tupleIJNSF_6TensorESM_SM_EERKSM_lbbbEUlllE0_EEPmJS9_EEE10hipError_tPvRmT3_T4_T5_T6_T7_T9_mT8_P12ihipStream_tbDpT10_ENKUlT_T0_E_clISt17integral_constantIbLb1EES1B_IbLb0EEEEDaS17_S18_EUlS17_E_NS1_11comp_targetILNS1_3genE8ELNS1_11target_archE1030ELNS1_3gpuE2ELNS1_3repE0EEENS1_30default_config_static_selectorELNS0_4arch9wavefront6targetE0EEEvT1_
		.amdhsa_group_segment_fixed_size 0
		.amdhsa_private_segment_fixed_size 0
		.amdhsa_kernarg_size 120
		.amdhsa_user_sgpr_count 2
		.amdhsa_user_sgpr_dispatch_ptr 0
		.amdhsa_user_sgpr_queue_ptr 0
		.amdhsa_user_sgpr_kernarg_segment_ptr 1
		.amdhsa_user_sgpr_dispatch_id 0
		.amdhsa_user_sgpr_kernarg_preload_length 0
		.amdhsa_user_sgpr_kernarg_preload_offset 0
		.amdhsa_user_sgpr_private_segment_size 0
		.amdhsa_wavefront_size32 1
		.amdhsa_uses_dynamic_stack 0
		.amdhsa_enable_private_segment 0
		.amdhsa_system_sgpr_workgroup_id_x 1
		.amdhsa_system_sgpr_workgroup_id_y 0
		.amdhsa_system_sgpr_workgroup_id_z 0
		.amdhsa_system_sgpr_workgroup_info 0
		.amdhsa_system_vgpr_workitem_id 0
		.amdhsa_next_free_vgpr 1
		.amdhsa_next_free_sgpr 1
		.amdhsa_named_barrier_count 0
		.amdhsa_reserve_vcc 0
		.amdhsa_float_round_mode_32 0
		.amdhsa_float_round_mode_16_64 0
		.amdhsa_float_denorm_mode_32 3
		.amdhsa_float_denorm_mode_16_64 3
		.amdhsa_fp16_overflow 0
		.amdhsa_memory_ordered 1
		.amdhsa_forward_progress 1
		.amdhsa_inst_pref_size 0
		.amdhsa_round_robin_scheduling 0
		.amdhsa_exception_fp_ieee_invalid_op 0
		.amdhsa_exception_fp_denorm_src 0
		.amdhsa_exception_fp_ieee_div_zero 0
		.amdhsa_exception_fp_ieee_overflow 0
		.amdhsa_exception_fp_ieee_underflow 0
		.amdhsa_exception_fp_ieee_inexact 0
		.amdhsa_exception_int_div_zero 0
	.end_amdhsa_kernel
	.section	.text._ZN7rocprim17ROCPRIM_400000_NS6detail17trampoline_kernelINS0_14default_configENS1_25partition_config_selectorILNS1_17partition_subalgoE9EllbEEZZNS1_14partition_implILS5_9ELb0ES3_jPlS8_PNS0_10empty_typeENS0_5tupleIJS8_S9_EEENSB_IJS8_SA_EEENS0_18inequality_wrapperIZN2at6native12_GLOBAL__N_124unique_dim_cuda_templateIN3c108BFloat16EEESt5tupleIJNSF_6TensorESM_SM_EERKSM_lbbbEUlllE0_EEPmJS9_EEE10hipError_tPvRmT3_T4_T5_T6_T7_T9_mT8_P12ihipStream_tbDpT10_ENKUlT_T0_E_clISt17integral_constantIbLb1EES1B_IbLb0EEEEDaS17_S18_EUlS17_E_NS1_11comp_targetILNS1_3genE8ELNS1_11target_archE1030ELNS1_3gpuE2ELNS1_3repE0EEENS1_30default_config_static_selectorELNS0_4arch9wavefront6targetE0EEEvT1_,"axG",@progbits,_ZN7rocprim17ROCPRIM_400000_NS6detail17trampoline_kernelINS0_14default_configENS1_25partition_config_selectorILNS1_17partition_subalgoE9EllbEEZZNS1_14partition_implILS5_9ELb0ES3_jPlS8_PNS0_10empty_typeENS0_5tupleIJS8_S9_EEENSB_IJS8_SA_EEENS0_18inequality_wrapperIZN2at6native12_GLOBAL__N_124unique_dim_cuda_templateIN3c108BFloat16EEESt5tupleIJNSF_6TensorESM_SM_EERKSM_lbbbEUlllE0_EEPmJS9_EEE10hipError_tPvRmT3_T4_T5_T6_T7_T9_mT8_P12ihipStream_tbDpT10_ENKUlT_T0_E_clISt17integral_constantIbLb1EES1B_IbLb0EEEEDaS17_S18_EUlS17_E_NS1_11comp_targetILNS1_3genE8ELNS1_11target_archE1030ELNS1_3gpuE2ELNS1_3repE0EEENS1_30default_config_static_selectorELNS0_4arch9wavefront6targetE0EEEvT1_,comdat
.Lfunc_end1229:
	.size	_ZN7rocprim17ROCPRIM_400000_NS6detail17trampoline_kernelINS0_14default_configENS1_25partition_config_selectorILNS1_17partition_subalgoE9EllbEEZZNS1_14partition_implILS5_9ELb0ES3_jPlS8_PNS0_10empty_typeENS0_5tupleIJS8_S9_EEENSB_IJS8_SA_EEENS0_18inequality_wrapperIZN2at6native12_GLOBAL__N_124unique_dim_cuda_templateIN3c108BFloat16EEESt5tupleIJNSF_6TensorESM_SM_EERKSM_lbbbEUlllE0_EEPmJS9_EEE10hipError_tPvRmT3_T4_T5_T6_T7_T9_mT8_P12ihipStream_tbDpT10_ENKUlT_T0_E_clISt17integral_constantIbLb1EES1B_IbLb0EEEEDaS17_S18_EUlS17_E_NS1_11comp_targetILNS1_3genE8ELNS1_11target_archE1030ELNS1_3gpuE2ELNS1_3repE0EEENS1_30default_config_static_selectorELNS0_4arch9wavefront6targetE0EEEvT1_, .Lfunc_end1229-_ZN7rocprim17ROCPRIM_400000_NS6detail17trampoline_kernelINS0_14default_configENS1_25partition_config_selectorILNS1_17partition_subalgoE9EllbEEZZNS1_14partition_implILS5_9ELb0ES3_jPlS8_PNS0_10empty_typeENS0_5tupleIJS8_S9_EEENSB_IJS8_SA_EEENS0_18inequality_wrapperIZN2at6native12_GLOBAL__N_124unique_dim_cuda_templateIN3c108BFloat16EEESt5tupleIJNSF_6TensorESM_SM_EERKSM_lbbbEUlllE0_EEPmJS9_EEE10hipError_tPvRmT3_T4_T5_T6_T7_T9_mT8_P12ihipStream_tbDpT10_ENKUlT_T0_E_clISt17integral_constantIbLb1EES1B_IbLb0EEEEDaS17_S18_EUlS17_E_NS1_11comp_targetILNS1_3genE8ELNS1_11target_archE1030ELNS1_3gpuE2ELNS1_3repE0EEENS1_30default_config_static_selectorELNS0_4arch9wavefront6targetE0EEEvT1_
                                        ; -- End function
	.set _ZN7rocprim17ROCPRIM_400000_NS6detail17trampoline_kernelINS0_14default_configENS1_25partition_config_selectorILNS1_17partition_subalgoE9EllbEEZZNS1_14partition_implILS5_9ELb0ES3_jPlS8_PNS0_10empty_typeENS0_5tupleIJS8_S9_EEENSB_IJS8_SA_EEENS0_18inequality_wrapperIZN2at6native12_GLOBAL__N_124unique_dim_cuda_templateIN3c108BFloat16EEESt5tupleIJNSF_6TensorESM_SM_EERKSM_lbbbEUlllE0_EEPmJS9_EEE10hipError_tPvRmT3_T4_T5_T6_T7_T9_mT8_P12ihipStream_tbDpT10_ENKUlT_T0_E_clISt17integral_constantIbLb1EES1B_IbLb0EEEEDaS17_S18_EUlS17_E_NS1_11comp_targetILNS1_3genE8ELNS1_11target_archE1030ELNS1_3gpuE2ELNS1_3repE0EEENS1_30default_config_static_selectorELNS0_4arch9wavefront6targetE0EEEvT1_.num_vgpr, 0
	.set _ZN7rocprim17ROCPRIM_400000_NS6detail17trampoline_kernelINS0_14default_configENS1_25partition_config_selectorILNS1_17partition_subalgoE9EllbEEZZNS1_14partition_implILS5_9ELb0ES3_jPlS8_PNS0_10empty_typeENS0_5tupleIJS8_S9_EEENSB_IJS8_SA_EEENS0_18inequality_wrapperIZN2at6native12_GLOBAL__N_124unique_dim_cuda_templateIN3c108BFloat16EEESt5tupleIJNSF_6TensorESM_SM_EERKSM_lbbbEUlllE0_EEPmJS9_EEE10hipError_tPvRmT3_T4_T5_T6_T7_T9_mT8_P12ihipStream_tbDpT10_ENKUlT_T0_E_clISt17integral_constantIbLb1EES1B_IbLb0EEEEDaS17_S18_EUlS17_E_NS1_11comp_targetILNS1_3genE8ELNS1_11target_archE1030ELNS1_3gpuE2ELNS1_3repE0EEENS1_30default_config_static_selectorELNS0_4arch9wavefront6targetE0EEEvT1_.num_agpr, 0
	.set _ZN7rocprim17ROCPRIM_400000_NS6detail17trampoline_kernelINS0_14default_configENS1_25partition_config_selectorILNS1_17partition_subalgoE9EllbEEZZNS1_14partition_implILS5_9ELb0ES3_jPlS8_PNS0_10empty_typeENS0_5tupleIJS8_S9_EEENSB_IJS8_SA_EEENS0_18inequality_wrapperIZN2at6native12_GLOBAL__N_124unique_dim_cuda_templateIN3c108BFloat16EEESt5tupleIJNSF_6TensorESM_SM_EERKSM_lbbbEUlllE0_EEPmJS9_EEE10hipError_tPvRmT3_T4_T5_T6_T7_T9_mT8_P12ihipStream_tbDpT10_ENKUlT_T0_E_clISt17integral_constantIbLb1EES1B_IbLb0EEEEDaS17_S18_EUlS17_E_NS1_11comp_targetILNS1_3genE8ELNS1_11target_archE1030ELNS1_3gpuE2ELNS1_3repE0EEENS1_30default_config_static_selectorELNS0_4arch9wavefront6targetE0EEEvT1_.numbered_sgpr, 0
	.set _ZN7rocprim17ROCPRIM_400000_NS6detail17trampoline_kernelINS0_14default_configENS1_25partition_config_selectorILNS1_17partition_subalgoE9EllbEEZZNS1_14partition_implILS5_9ELb0ES3_jPlS8_PNS0_10empty_typeENS0_5tupleIJS8_S9_EEENSB_IJS8_SA_EEENS0_18inequality_wrapperIZN2at6native12_GLOBAL__N_124unique_dim_cuda_templateIN3c108BFloat16EEESt5tupleIJNSF_6TensorESM_SM_EERKSM_lbbbEUlllE0_EEPmJS9_EEE10hipError_tPvRmT3_T4_T5_T6_T7_T9_mT8_P12ihipStream_tbDpT10_ENKUlT_T0_E_clISt17integral_constantIbLb1EES1B_IbLb0EEEEDaS17_S18_EUlS17_E_NS1_11comp_targetILNS1_3genE8ELNS1_11target_archE1030ELNS1_3gpuE2ELNS1_3repE0EEENS1_30default_config_static_selectorELNS0_4arch9wavefront6targetE0EEEvT1_.num_named_barrier, 0
	.set _ZN7rocprim17ROCPRIM_400000_NS6detail17trampoline_kernelINS0_14default_configENS1_25partition_config_selectorILNS1_17partition_subalgoE9EllbEEZZNS1_14partition_implILS5_9ELb0ES3_jPlS8_PNS0_10empty_typeENS0_5tupleIJS8_S9_EEENSB_IJS8_SA_EEENS0_18inequality_wrapperIZN2at6native12_GLOBAL__N_124unique_dim_cuda_templateIN3c108BFloat16EEESt5tupleIJNSF_6TensorESM_SM_EERKSM_lbbbEUlllE0_EEPmJS9_EEE10hipError_tPvRmT3_T4_T5_T6_T7_T9_mT8_P12ihipStream_tbDpT10_ENKUlT_T0_E_clISt17integral_constantIbLb1EES1B_IbLb0EEEEDaS17_S18_EUlS17_E_NS1_11comp_targetILNS1_3genE8ELNS1_11target_archE1030ELNS1_3gpuE2ELNS1_3repE0EEENS1_30default_config_static_selectorELNS0_4arch9wavefront6targetE0EEEvT1_.private_seg_size, 0
	.set _ZN7rocprim17ROCPRIM_400000_NS6detail17trampoline_kernelINS0_14default_configENS1_25partition_config_selectorILNS1_17partition_subalgoE9EllbEEZZNS1_14partition_implILS5_9ELb0ES3_jPlS8_PNS0_10empty_typeENS0_5tupleIJS8_S9_EEENSB_IJS8_SA_EEENS0_18inequality_wrapperIZN2at6native12_GLOBAL__N_124unique_dim_cuda_templateIN3c108BFloat16EEESt5tupleIJNSF_6TensorESM_SM_EERKSM_lbbbEUlllE0_EEPmJS9_EEE10hipError_tPvRmT3_T4_T5_T6_T7_T9_mT8_P12ihipStream_tbDpT10_ENKUlT_T0_E_clISt17integral_constantIbLb1EES1B_IbLb0EEEEDaS17_S18_EUlS17_E_NS1_11comp_targetILNS1_3genE8ELNS1_11target_archE1030ELNS1_3gpuE2ELNS1_3repE0EEENS1_30default_config_static_selectorELNS0_4arch9wavefront6targetE0EEEvT1_.uses_vcc, 0
	.set _ZN7rocprim17ROCPRIM_400000_NS6detail17trampoline_kernelINS0_14default_configENS1_25partition_config_selectorILNS1_17partition_subalgoE9EllbEEZZNS1_14partition_implILS5_9ELb0ES3_jPlS8_PNS0_10empty_typeENS0_5tupleIJS8_S9_EEENSB_IJS8_SA_EEENS0_18inequality_wrapperIZN2at6native12_GLOBAL__N_124unique_dim_cuda_templateIN3c108BFloat16EEESt5tupleIJNSF_6TensorESM_SM_EERKSM_lbbbEUlllE0_EEPmJS9_EEE10hipError_tPvRmT3_T4_T5_T6_T7_T9_mT8_P12ihipStream_tbDpT10_ENKUlT_T0_E_clISt17integral_constantIbLb1EES1B_IbLb0EEEEDaS17_S18_EUlS17_E_NS1_11comp_targetILNS1_3genE8ELNS1_11target_archE1030ELNS1_3gpuE2ELNS1_3repE0EEENS1_30default_config_static_selectorELNS0_4arch9wavefront6targetE0EEEvT1_.uses_flat_scratch, 0
	.set _ZN7rocprim17ROCPRIM_400000_NS6detail17trampoline_kernelINS0_14default_configENS1_25partition_config_selectorILNS1_17partition_subalgoE9EllbEEZZNS1_14partition_implILS5_9ELb0ES3_jPlS8_PNS0_10empty_typeENS0_5tupleIJS8_S9_EEENSB_IJS8_SA_EEENS0_18inequality_wrapperIZN2at6native12_GLOBAL__N_124unique_dim_cuda_templateIN3c108BFloat16EEESt5tupleIJNSF_6TensorESM_SM_EERKSM_lbbbEUlllE0_EEPmJS9_EEE10hipError_tPvRmT3_T4_T5_T6_T7_T9_mT8_P12ihipStream_tbDpT10_ENKUlT_T0_E_clISt17integral_constantIbLb1EES1B_IbLb0EEEEDaS17_S18_EUlS17_E_NS1_11comp_targetILNS1_3genE8ELNS1_11target_archE1030ELNS1_3gpuE2ELNS1_3repE0EEENS1_30default_config_static_selectorELNS0_4arch9wavefront6targetE0EEEvT1_.has_dyn_sized_stack, 0
	.set _ZN7rocprim17ROCPRIM_400000_NS6detail17trampoline_kernelINS0_14default_configENS1_25partition_config_selectorILNS1_17partition_subalgoE9EllbEEZZNS1_14partition_implILS5_9ELb0ES3_jPlS8_PNS0_10empty_typeENS0_5tupleIJS8_S9_EEENSB_IJS8_SA_EEENS0_18inequality_wrapperIZN2at6native12_GLOBAL__N_124unique_dim_cuda_templateIN3c108BFloat16EEESt5tupleIJNSF_6TensorESM_SM_EERKSM_lbbbEUlllE0_EEPmJS9_EEE10hipError_tPvRmT3_T4_T5_T6_T7_T9_mT8_P12ihipStream_tbDpT10_ENKUlT_T0_E_clISt17integral_constantIbLb1EES1B_IbLb0EEEEDaS17_S18_EUlS17_E_NS1_11comp_targetILNS1_3genE8ELNS1_11target_archE1030ELNS1_3gpuE2ELNS1_3repE0EEENS1_30default_config_static_selectorELNS0_4arch9wavefront6targetE0EEEvT1_.has_recursion, 0
	.set _ZN7rocprim17ROCPRIM_400000_NS6detail17trampoline_kernelINS0_14default_configENS1_25partition_config_selectorILNS1_17partition_subalgoE9EllbEEZZNS1_14partition_implILS5_9ELb0ES3_jPlS8_PNS0_10empty_typeENS0_5tupleIJS8_S9_EEENSB_IJS8_SA_EEENS0_18inequality_wrapperIZN2at6native12_GLOBAL__N_124unique_dim_cuda_templateIN3c108BFloat16EEESt5tupleIJNSF_6TensorESM_SM_EERKSM_lbbbEUlllE0_EEPmJS9_EEE10hipError_tPvRmT3_T4_T5_T6_T7_T9_mT8_P12ihipStream_tbDpT10_ENKUlT_T0_E_clISt17integral_constantIbLb1EES1B_IbLb0EEEEDaS17_S18_EUlS17_E_NS1_11comp_targetILNS1_3genE8ELNS1_11target_archE1030ELNS1_3gpuE2ELNS1_3repE0EEENS1_30default_config_static_selectorELNS0_4arch9wavefront6targetE0EEEvT1_.has_indirect_call, 0
	.section	.AMDGPU.csdata,"",@progbits
; Kernel info:
; codeLenInByte = 0
; TotalNumSgprs: 0
; NumVgprs: 0
; ScratchSize: 0
; MemoryBound: 0
; FloatMode: 240
; IeeeMode: 1
; LDSByteSize: 0 bytes/workgroup (compile time only)
; SGPRBlocks: 0
; VGPRBlocks: 0
; NumSGPRsForWavesPerEU: 1
; NumVGPRsForWavesPerEU: 1
; NamedBarCnt: 0
; Occupancy: 16
; WaveLimiterHint : 0
; COMPUTE_PGM_RSRC2:SCRATCH_EN: 0
; COMPUTE_PGM_RSRC2:USER_SGPR: 2
; COMPUTE_PGM_RSRC2:TRAP_HANDLER: 0
; COMPUTE_PGM_RSRC2:TGID_X_EN: 1
; COMPUTE_PGM_RSRC2:TGID_Y_EN: 0
; COMPUTE_PGM_RSRC2:TGID_Z_EN: 0
; COMPUTE_PGM_RSRC2:TIDIG_COMP_CNT: 0
	.section	.text._ZN7rocprim17ROCPRIM_400000_NS6detail17trampoline_kernelINS0_14default_configENS1_25partition_config_selectorILNS1_17partition_subalgoE9EllbEEZZNS1_14partition_implILS5_9ELb0ES3_jPlS8_PNS0_10empty_typeENS0_5tupleIJS8_S9_EEENSB_IJS8_SA_EEENS0_18inequality_wrapperIZN2at6native12_GLOBAL__N_124unique_dim_cuda_templateIN3c108BFloat16EEESt5tupleIJNSF_6TensorESM_SM_EERKSM_lbbbEUlllE0_EEPmJS9_EEE10hipError_tPvRmT3_T4_T5_T6_T7_T9_mT8_P12ihipStream_tbDpT10_ENKUlT_T0_E_clISt17integral_constantIbLb0EES1B_IbLb1EEEEDaS17_S18_EUlS17_E_NS1_11comp_targetILNS1_3genE0ELNS1_11target_archE4294967295ELNS1_3gpuE0ELNS1_3repE0EEENS1_30default_config_static_selectorELNS0_4arch9wavefront6targetE0EEEvT1_,"axG",@progbits,_ZN7rocprim17ROCPRIM_400000_NS6detail17trampoline_kernelINS0_14default_configENS1_25partition_config_selectorILNS1_17partition_subalgoE9EllbEEZZNS1_14partition_implILS5_9ELb0ES3_jPlS8_PNS0_10empty_typeENS0_5tupleIJS8_S9_EEENSB_IJS8_SA_EEENS0_18inequality_wrapperIZN2at6native12_GLOBAL__N_124unique_dim_cuda_templateIN3c108BFloat16EEESt5tupleIJNSF_6TensorESM_SM_EERKSM_lbbbEUlllE0_EEPmJS9_EEE10hipError_tPvRmT3_T4_T5_T6_T7_T9_mT8_P12ihipStream_tbDpT10_ENKUlT_T0_E_clISt17integral_constantIbLb0EES1B_IbLb1EEEEDaS17_S18_EUlS17_E_NS1_11comp_targetILNS1_3genE0ELNS1_11target_archE4294967295ELNS1_3gpuE0ELNS1_3repE0EEENS1_30default_config_static_selectorELNS0_4arch9wavefront6targetE0EEEvT1_,comdat
	.globl	_ZN7rocprim17ROCPRIM_400000_NS6detail17trampoline_kernelINS0_14default_configENS1_25partition_config_selectorILNS1_17partition_subalgoE9EllbEEZZNS1_14partition_implILS5_9ELb0ES3_jPlS8_PNS0_10empty_typeENS0_5tupleIJS8_S9_EEENSB_IJS8_SA_EEENS0_18inequality_wrapperIZN2at6native12_GLOBAL__N_124unique_dim_cuda_templateIN3c108BFloat16EEESt5tupleIJNSF_6TensorESM_SM_EERKSM_lbbbEUlllE0_EEPmJS9_EEE10hipError_tPvRmT3_T4_T5_T6_T7_T9_mT8_P12ihipStream_tbDpT10_ENKUlT_T0_E_clISt17integral_constantIbLb0EES1B_IbLb1EEEEDaS17_S18_EUlS17_E_NS1_11comp_targetILNS1_3genE0ELNS1_11target_archE4294967295ELNS1_3gpuE0ELNS1_3repE0EEENS1_30default_config_static_selectorELNS0_4arch9wavefront6targetE0EEEvT1_ ; -- Begin function _ZN7rocprim17ROCPRIM_400000_NS6detail17trampoline_kernelINS0_14default_configENS1_25partition_config_selectorILNS1_17partition_subalgoE9EllbEEZZNS1_14partition_implILS5_9ELb0ES3_jPlS8_PNS0_10empty_typeENS0_5tupleIJS8_S9_EEENSB_IJS8_SA_EEENS0_18inequality_wrapperIZN2at6native12_GLOBAL__N_124unique_dim_cuda_templateIN3c108BFloat16EEESt5tupleIJNSF_6TensorESM_SM_EERKSM_lbbbEUlllE0_EEPmJS9_EEE10hipError_tPvRmT3_T4_T5_T6_T7_T9_mT8_P12ihipStream_tbDpT10_ENKUlT_T0_E_clISt17integral_constantIbLb0EES1B_IbLb1EEEEDaS17_S18_EUlS17_E_NS1_11comp_targetILNS1_3genE0ELNS1_11target_archE4294967295ELNS1_3gpuE0ELNS1_3repE0EEENS1_30default_config_static_selectorELNS0_4arch9wavefront6targetE0EEEvT1_
	.p2align	8
	.type	_ZN7rocprim17ROCPRIM_400000_NS6detail17trampoline_kernelINS0_14default_configENS1_25partition_config_selectorILNS1_17partition_subalgoE9EllbEEZZNS1_14partition_implILS5_9ELb0ES3_jPlS8_PNS0_10empty_typeENS0_5tupleIJS8_S9_EEENSB_IJS8_SA_EEENS0_18inequality_wrapperIZN2at6native12_GLOBAL__N_124unique_dim_cuda_templateIN3c108BFloat16EEESt5tupleIJNSF_6TensorESM_SM_EERKSM_lbbbEUlllE0_EEPmJS9_EEE10hipError_tPvRmT3_T4_T5_T6_T7_T9_mT8_P12ihipStream_tbDpT10_ENKUlT_T0_E_clISt17integral_constantIbLb0EES1B_IbLb1EEEEDaS17_S18_EUlS17_E_NS1_11comp_targetILNS1_3genE0ELNS1_11target_archE4294967295ELNS1_3gpuE0ELNS1_3repE0EEENS1_30default_config_static_selectorELNS0_4arch9wavefront6targetE0EEEvT1_,@function
_ZN7rocprim17ROCPRIM_400000_NS6detail17trampoline_kernelINS0_14default_configENS1_25partition_config_selectorILNS1_17partition_subalgoE9EllbEEZZNS1_14partition_implILS5_9ELb0ES3_jPlS8_PNS0_10empty_typeENS0_5tupleIJS8_S9_EEENSB_IJS8_SA_EEENS0_18inequality_wrapperIZN2at6native12_GLOBAL__N_124unique_dim_cuda_templateIN3c108BFloat16EEESt5tupleIJNSF_6TensorESM_SM_EERKSM_lbbbEUlllE0_EEPmJS9_EEE10hipError_tPvRmT3_T4_T5_T6_T7_T9_mT8_P12ihipStream_tbDpT10_ENKUlT_T0_E_clISt17integral_constantIbLb0EES1B_IbLb1EEEEDaS17_S18_EUlS17_E_NS1_11comp_targetILNS1_3genE0ELNS1_11target_archE4294967295ELNS1_3gpuE0ELNS1_3repE0EEENS1_30default_config_static_selectorELNS0_4arch9wavefront6targetE0EEEvT1_: ; @_ZN7rocprim17ROCPRIM_400000_NS6detail17trampoline_kernelINS0_14default_configENS1_25partition_config_selectorILNS1_17partition_subalgoE9EllbEEZZNS1_14partition_implILS5_9ELb0ES3_jPlS8_PNS0_10empty_typeENS0_5tupleIJS8_S9_EEENSB_IJS8_SA_EEENS0_18inequality_wrapperIZN2at6native12_GLOBAL__N_124unique_dim_cuda_templateIN3c108BFloat16EEESt5tupleIJNSF_6TensorESM_SM_EERKSM_lbbbEUlllE0_EEPmJS9_EEE10hipError_tPvRmT3_T4_T5_T6_T7_T9_mT8_P12ihipStream_tbDpT10_ENKUlT_T0_E_clISt17integral_constantIbLb0EES1B_IbLb1EEEEDaS17_S18_EUlS17_E_NS1_11comp_targetILNS1_3genE0ELNS1_11target_archE4294967295ELNS1_3gpuE0ELNS1_3repE0EEENS1_30default_config_static_selectorELNS0_4arch9wavefront6targetE0EEEvT1_
; %bb.0:
	s_clause 0x3
	s_load_b128 s[4:7], s[0:1], 0x8
	s_load_b64 s[24:25], s[0:1], 0x18
	s_load_b256 s[12:19], s[0:1], 0x40
	s_load_b128 s[8:11], s[0:1], 0x60
	v_cmp_ne_u32_e64 s3, 0, v0
	v_cmp_eq_u32_e64 s2, 0, v0
	s_and_saveexec_b32 s20, s2
	s_cbranch_execz .LBB1230_4
; %bb.1:
	s_mov_b32 s22, exec_lo
	s_mov_b32 s21, exec_lo
	v_mbcnt_lo_u32_b32 v1, s22, 0
                                        ; implicit-def: $vgpr2
	s_delay_alu instid0(VALU_DEP_1)
	v_cmpx_eq_u32_e32 0, v1
	s_cbranch_execz .LBB1230_3
; %bb.2:
	s_load_b64 s[26:27], s[0:1], 0x78
	s_bcnt1_i32_b32 s22, s22
	s_delay_alu instid0(SALU_CYCLE_1)
	v_dual_mov_b32 v2, 0 :: v_dual_mov_b32 v3, s22
	s_wait_xcnt 0x0
	s_wait_kmcnt 0x0
	global_atomic_add_u32 v2, v2, v3, s[26:27] th:TH_ATOMIC_RETURN scope:SCOPE_DEV
.LBB1230_3:
	s_wait_xcnt 0x0
	s_or_b32 exec_lo, exec_lo, s21
	s_wait_loadcnt 0x0
	v_readfirstlane_b32 s21, v2
	s_delay_alu instid0(VALU_DEP_1)
	v_dual_mov_b32 v2, 0 :: v_dual_add_nc_u32 v1, s21, v1
	ds_store_b32 v2, v1
.LBB1230_4:
	s_or_b32 exec_lo, exec_lo, s20
	v_mov_b32_e32 v1, 0
	s_clause 0x1
	s_load_b128 s[20:23], s[0:1], 0x28
	s_load_b32 s28, s[0:1], 0x70
	s_wait_dscnt 0x0
	s_barrier_signal -1
	s_barrier_wait -1
	ds_load_b32 v4, v1
	s_wait_dscnt 0x0
	s_barrier_signal -1
	s_barrier_wait -1
	s_wait_kmcnt 0x0
	global_load_b64 v[2:3], v1, s[14:15]
	s_wait_xcnt 0x0
	s_mov_b32 s15, 0
	s_lshl_b64 s[26:27], s[6:7], 3
	v_lshlrev_b32_e32 v1, 3, v0
	s_add_nc_u64 s[4:5], s[4:5], s[26:27]
	s_mov_b32 s1, -1
	s_mul_i32 s14, s28, 0x280
	s_add_co_i32 s28, s28, -1
	s_add_co_i32 s0, s14, s6
	s_add_nc_u64 s[34:35], s[6:7], s[14:15]
	s_sub_co_i32 s31, s16, s0
	v_readfirstlane_b32 s30, v4
	v_cmp_le_u64_e64 s0, s[16:17], s[34:35]
	s_addk_co_i32 s31, 0x280
	s_cmp_eq_u32 s30, s28
	s_mul_i32 s14, s30, 0x280
	s_cselect_b32 s28, -1, 0
	s_lshl_b64 s[16:17], s[14:15], 3
	s_and_b32 s33, s0, s28
	s_add_nc_u64 s[4:5], s[4:5], s[16:17]
	s_xor_b32 s29, s33, -1
	s_delay_alu instid0(SALU_CYCLE_1)
	s_and_b32 vcc_lo, exec_lo, s29
	s_wait_loadcnt 0x0
	v_readfirstlane_b32 s14, v2
	v_readfirstlane_b32 s15, v3
	s_cbranch_vccz .LBB1230_6
; %bb.5:
	s_clause 0x4
	global_load_b64 v[2:3], v0, s[4:5] scale_offset
	global_load_b64 v[4:5], v0, s[4:5] offset:1024 scale_offset
	global_load_b64 v[6:7], v0, s[4:5] offset:2048 scale_offset
	global_load_b64 v[8:9], v0, s[4:5] offset:3072 scale_offset
	global_load_b64 v[10:11], v0, s[4:5] offset:4096 scale_offset
	v_lshlrev_b32_e32 v12, 3, v0
	s_mov_b32 s1, 0
	s_wait_loadcnt 0x3
	ds_store_2addr_stride64_b64 v12, v[2:3], v[4:5] offset1:2
	s_wait_loadcnt 0x1
	ds_store_2addr_stride64_b64 v12, v[6:7], v[8:9] offset0:4 offset1:6
	s_wait_loadcnt 0x0
	ds_store_b64 v12, v[10:11] offset:4096
	s_wait_dscnt 0x0
	s_barrier_signal -1
	s_barrier_wait -1
.LBB1230_6:
	v_cmp_gt_u32_e64 s0, s31, v0
	s_and_not1_b32 vcc_lo, exec_lo, s1
	s_cbranch_vccnz .LBB1230_18
; %bb.7:
	v_mov_b32_e32 v2, 0
	s_delay_alu instid0(VALU_DEP_1)
	v_dual_mov_b32 v3, v2 :: v_dual_mov_b32 v4, v2
	v_dual_mov_b32 v5, v2 :: v_dual_mov_b32 v6, v2
	;; [unrolled: 1-line block ×4, first 2 shown]
	v_mov_b32_e32 v11, v2
	s_and_saveexec_b32 s1, s0
	s_cbranch_execz .LBB1230_9
; %bb.8:
	global_load_b64 v[4:5], v0, s[4:5] scale_offset
	v_dual_mov_b32 v6, v2 :: v_dual_mov_b32 v7, v2
	v_dual_mov_b32 v8, v2 :: v_dual_mov_b32 v9, v2
	;; [unrolled: 1-line block ×4, first 2 shown]
	s_wait_loadcnt 0x0
	v_mov_b64_e32 v[2:3], v[4:5]
	v_mov_b64_e32 v[4:5], v[6:7]
	;; [unrolled: 1-line block ×8, first 2 shown]
.LBB1230_9:
	s_or_b32 exec_lo, exec_lo, s1
	v_or_b32_e32 v12, 0x80, v0
	s_mov_b32 s0, exec_lo
	s_delay_alu instid0(VALU_DEP_1)
	v_cmpx_gt_u32_e64 s31, v12
	s_cbranch_execz .LBB1230_11
; %bb.10:
	global_load_b64 v[4:5], v0, s[4:5] offset:1024 scale_offset
.LBB1230_11:
	s_wait_xcnt 0x0
	s_or_b32 exec_lo, exec_lo, s0
	v_or_b32_e32 v12, 0x100, v0
	s_mov_b32 s0, exec_lo
	s_delay_alu instid0(VALU_DEP_1)
	v_cmpx_gt_u32_e64 s31, v12
	s_cbranch_execz .LBB1230_13
; %bb.12:
	global_load_b64 v[6:7], v0, s[4:5] offset:2048 scale_offset
.LBB1230_13:
	s_wait_xcnt 0x0
	;; [unrolled: 10-line block ×4, first 2 shown]
	s_or_b32 exec_lo, exec_lo, s0
	v_lshlrev_b32_e32 v12, 3, v0
	s_wait_loadcnt 0x0
	ds_store_2addr_stride64_b64 v12, v[2:3], v[4:5] offset1:2
	ds_store_2addr_stride64_b64 v12, v[6:7], v[8:9] offset0:4 offset1:6
	ds_store_b64 v12, v[10:11] offset:4096
	s_wait_dscnt 0x0
	s_barrier_signal -1
	s_barrier_wait -1
.LBB1230_18:
	v_mul_u32_u24_e32 v30, 5, v0
	s_add_nc_u64 s[0:1], s[24:25], s[26:27]
	s_and_b32 vcc_lo, exec_lo, s29
	s_add_nc_u64 s[0:1], s[0:1], s[16:17]
	s_delay_alu instid0(VALU_DEP_1)
	v_lshlrev_b32_e32 v31, 3, v30
	s_mov_b32 s16, -1
	ds_load_2addr_b64 v[14:17], v31 offset1:1
	ds_load_2addr_b64 v[10:13], v31 offset0:2 offset1:3
	ds_load_b64 v[20:21], v31 offset:32
	s_wait_dscnt 0x0
	s_barrier_signal -1
	s_barrier_wait -1
	s_cbranch_vccz .LBB1230_20
; %bb.19:
	s_clause 0x4
	global_load_b64 v[2:3], v0, s[0:1] scale_offset
	global_load_b64 v[4:5], v0, s[0:1] offset:1024 scale_offset
	global_load_b64 v[6:7], v0, s[0:1] offset:2048 scale_offset
	;; [unrolled: 1-line block ×4, first 2 shown]
	v_lshlrev_b32_e32 v22, 3, v0
	s_mov_b32 s16, 0
	s_wait_loadcnt 0x3
	ds_store_2addr_stride64_b64 v22, v[2:3], v[4:5] offset1:2
	s_wait_loadcnt 0x1
	ds_store_2addr_stride64_b64 v22, v[6:7], v[8:9] offset0:4 offset1:6
	s_wait_loadcnt 0x0
	ds_store_b64 v22, v[18:19] offset:4096
	s_wait_dscnt 0x0
	s_barrier_signal -1
	s_barrier_wait -1
.LBB1230_20:
	s_and_not1_b32 vcc_lo, exec_lo, s16
	s_cbranch_vccnz .LBB1230_32
; %bb.21:
	s_mov_b32 s16, exec_lo
                                        ; implicit-def: $vgpr2_vgpr3
	v_cmpx_gt_u32_e64 s31, v0
	s_cbranch_execz .LBB1230_23
; %bb.22:
	global_load_b64 v[2:3], v0, s[0:1] scale_offset
.LBB1230_23:
	s_wait_xcnt 0x0
	s_or_b32 exec_lo, exec_lo, s16
	v_or_b32_e32 v4, 0x80, v0
	s_delay_alu instid0(VALU_DEP_1)
	v_cmp_gt_u32_e32 vcc_lo, s31, v4
                                        ; implicit-def: $vgpr4_vgpr5
	s_and_saveexec_b32 s16, vcc_lo
	s_cbranch_execz .LBB1230_25
; %bb.24:
	global_load_b64 v[4:5], v0, s[0:1] offset:1024 scale_offset
.LBB1230_25:
	s_wait_xcnt 0x0
	s_or_b32 exec_lo, exec_lo, s16
	v_or_b32_e32 v6, 0x100, v0
	s_delay_alu instid0(VALU_DEP_1)
	v_cmp_gt_u32_e32 vcc_lo, s31, v6
                                        ; implicit-def: $vgpr6_vgpr7
	s_and_saveexec_b32 s16, vcc_lo
	s_cbranch_execz .LBB1230_27
; %bb.26:
	global_load_b64 v[6:7], v0, s[0:1] offset:2048 scale_offset
.LBB1230_27:
	s_wait_xcnt 0x0
	s_or_b32 exec_lo, exec_lo, s16
	v_or_b32_e32 v8, 0x180, v0
	s_delay_alu instid0(VALU_DEP_1)
	v_cmp_gt_u32_e32 vcc_lo, s31, v8
                                        ; implicit-def: $vgpr8_vgpr9
	s_and_saveexec_b32 s16, vcc_lo
	s_cbranch_execz .LBB1230_29
; %bb.28:
	global_load_b64 v[8:9], v0, s[0:1] offset:3072 scale_offset
.LBB1230_29:
	s_wait_xcnt 0x0
	s_or_b32 exec_lo, exec_lo, s16
	v_or_b32_e32 v18, 0x200, v0
	s_delay_alu instid0(VALU_DEP_1)
	v_cmp_gt_u32_e32 vcc_lo, s31, v18
                                        ; implicit-def: $vgpr18_vgpr19
	s_and_saveexec_b32 s16, vcc_lo
	s_cbranch_execz .LBB1230_31
; %bb.30:
	global_load_b64 v[18:19], v0, s[0:1] offset:4096 scale_offset
.LBB1230_31:
	s_wait_xcnt 0x0
	s_or_b32 exec_lo, exec_lo, s16
	v_lshlrev_b32_e32 v22, 5, v0
	s_delay_alu instid0(VALU_DEP_1)
	v_sub_nc_u32_e32 v22, v31, v22
	s_wait_loadcnt 0x0
	ds_store_2addr_stride64_b64 v22, v[2:3], v[4:5] offset1:2
	ds_store_2addr_stride64_b64 v22, v[6:7], v[8:9] offset0:4 offset1:6
	ds_store_b64 v22, v[18:19] offset:4096
	s_wait_dscnt 0x0
	s_barrier_signal -1
	s_barrier_wait -1
.LBB1230_32:
	ds_load_b64 v[18:19], v31 offset:32
	ds_load_2addr_b64 v[2:5], v31 offset0:2 offset1:3
	ds_load_2addr_b64 v[6:9], v31 offset1:1
	s_cmp_lg_u32 s30, 0
	s_wait_dscnt 0x0
	s_cselect_b32 s16, -1, 0
	s_cmp_lg_u64 s[6:7], 0
	v_cmp_gt_i64_e64 s7, s[18:19], 0
	s_cselect_b32 s0, -1, 0
	s_mov_b32 s6, 0
	s_or_b32 s0, s0, s16
	s_barrier_signal -1
	s_and_b32 vcc_lo, exec_lo, s0
	s_barrier_wait -1
	s_cbranch_vccz .LBB1230_44
; %bb.33:
	v_dual_mov_b32 v26, 0 :: v_dual_lshlrev_b32 v33, 3, v0
	v_cndmask_b32_e64 v32, 0, 1, s7
	s_and_b32 vcc_lo, exec_lo, s29
	global_load_b64 v[22:23], v26, s[4:5] offset:-8
	ds_store_b64 v33, v[20:21]
	v_cmp_ne_u32_e64 s0, 1, v32
	s_cbranch_vccz .LBB1230_46
; %bb.34:
	s_and_b32 vcc_lo, exec_lo, s0
	s_cbranch_vccnz .LBB1230_47
; %bb.35:
	v_mul_u64_e32 v[24:25], s[18:19], v[12:13]
	s_wait_xcnt 0x0
	v_mul_u64_e32 v[26:27], s[18:19], v[20:21]
	s_add_nc_u64 s[4:5], s[18:19], -1
	s_mov_b32 s17, 0
	s_mov_b64 s[0:1], s[4:5]
                                        ; implicit-def: $sgpr6
	s_delay_alu instid0(VALU_DEP_2) | instskip(NEXT) | instid1(VALU_DEP_2)
	v_lshl_add_u64 v[24:25], v[24:25], 1, s[8:9]
	v_lshl_add_u64 v[26:27], v[26:27], 1, s[8:9]
	s_delay_alu instid0(VALU_DEP_2)
	v_mov_b64_e32 v[28:29], v[24:25]
.LBB1230_36:                            ; =>This Inner Loop Header: Depth=1
	global_load_u16 v34, v[26:27], off
	global_load_u16 v35, v[28:29], off
	s_cmp_eq_u64 s[0:1], 0
	s_add_nc_u64 s[24:25], s[0:1], -1
	s_cselect_b32 s1, -1, 0
	s_wait_xcnt 0x0
	v_add_nc_u64_e32 v[28:29], 2, v[28:29]
	v_add_nc_u64_e32 v[26:27], 2, v[26:27]
	s_wait_loadcnt 0x0
	v_dual_lshlrev_b32 v34, 16, v34 :: v_dual_lshlrev_b32 v35, 16, v35
	s_delay_alu instid0(VALU_DEP_1) | instskip(SKIP_2) | instid1(SALU_CYCLE_1)
	v_cmp_neq_f32_e32 vcc_lo, v35, v34
	v_cmp_eq_f32_e64 s0, v35, v34
	s_or_b32 s1, vcc_lo, s1
	s_and_b32 s1, exec_lo, s1
	s_delay_alu instid0(SALU_CYCLE_1)
	s_or_b32 s17, s1, s17
	s_and_not1_b32 s6, s6, exec_lo
	s_and_b32 s26, s0, exec_lo
	s_mov_b64 s[0:1], s[24:25]
	s_or_b32 s6, s6, s26
	s_and_not1_b32 exec_lo, exec_lo, s17
	s_cbranch_execnz .LBB1230_36
; %bb.37:
	s_or_b32 exec_lo, exec_lo, s17
	v_mul_u64_e32 v[26:27], s[18:19], v[10:11]
	s_mov_b32 s24, 0
	s_mov_b64 s[0:1], s[4:5]
                                        ; implicit-def: $sgpr17
	s_delay_alu instid0(VALU_DEP_1) | instskip(NEXT) | instid1(VALU_DEP_1)
	v_lshl_add_u64 v[26:27], v[26:27], 1, s[8:9]
	v_mov_b64_e32 v[28:29], v[26:27]
.LBB1230_38:                            ; =>This Inner Loop Header: Depth=1
	global_load_u16 v34, v[24:25], off
	global_load_u16 v35, v[28:29], off
	s_cmp_eq_u64 s[0:1], 0
	s_add_nc_u64 s[26:27], s[0:1], -1
	s_cselect_b32 s1, -1, 0
	s_wait_xcnt 0x0
	v_add_nc_u64_e32 v[28:29], 2, v[28:29]
	v_add_nc_u64_e32 v[24:25], 2, v[24:25]
	s_wait_loadcnt 0x0
	v_dual_lshlrev_b32 v34, 16, v34 :: v_dual_lshlrev_b32 v35, 16, v35
	s_delay_alu instid0(VALU_DEP_1) | instskip(SKIP_2) | instid1(SALU_CYCLE_1)
	v_cmp_neq_f32_e32 vcc_lo, v35, v34
	v_cmp_eq_f32_e64 s0, v35, v34
	s_or_b32 s1, vcc_lo, s1
	s_and_b32 s1, exec_lo, s1
	s_delay_alu instid0(SALU_CYCLE_1)
	s_or_b32 s24, s1, s24
	s_and_not1_b32 s17, s17, exec_lo
	s_and_b32 s25, s0, exec_lo
	s_mov_b64 s[0:1], s[26:27]
	s_or_b32 s17, s17, s25
	s_and_not1_b32 exec_lo, exec_lo, s24
	s_cbranch_execnz .LBB1230_38
; %bb.39:
	s_or_b32 exec_lo, exec_lo, s24
	v_mul_u64_e32 v[24:25], s[18:19], v[16:17]
	s_mov_b32 s25, 0
	s_mov_b64 s[0:1], s[4:5]
                                        ; implicit-def: $sgpr24
	s_delay_alu instid0(VALU_DEP_1) | instskip(NEXT) | instid1(VALU_DEP_1)
	v_lshl_add_u64 v[24:25], v[24:25], 1, s[8:9]
	v_mov_b64_e32 v[28:29], v[24:25]
.LBB1230_40:                            ; =>This Inner Loop Header: Depth=1
	global_load_u16 v34, v[26:27], off
	global_load_u16 v35, v[28:29], off
	s_cmp_eq_u64 s[0:1], 0
	s_add_nc_u64 s[26:27], s[0:1], -1
	s_cselect_b32 s1, -1, 0
	s_wait_xcnt 0x0
	v_add_nc_u64_e32 v[28:29], 2, v[28:29]
	v_add_nc_u64_e32 v[26:27], 2, v[26:27]
	s_wait_loadcnt 0x0
	v_dual_lshlrev_b32 v34, 16, v34 :: v_dual_lshlrev_b32 v35, 16, v35
	s_delay_alu instid0(VALU_DEP_1) | instskip(SKIP_2) | instid1(SALU_CYCLE_1)
	v_cmp_neq_f32_e32 vcc_lo, v35, v34
	v_cmp_eq_f32_e64 s0, v35, v34
	s_or_b32 s1, vcc_lo, s1
	s_and_b32 s1, exec_lo, s1
	s_delay_alu instid0(SALU_CYCLE_1)
	s_or_b32 s25, s1, s25
	s_and_not1_b32 s24, s24, exec_lo
	s_and_b32 s34, s0, exec_lo
	s_mov_b64 s[0:1], s[26:27]
	s_or_b32 s24, s24, s34
	s_and_not1_b32 exec_lo, exec_lo, s25
	s_cbranch_execnz .LBB1230_40
; %bb.41:
	s_or_b32 exec_lo, exec_lo, s25
	v_mul_u64_e32 v[26:27], s[18:19], v[14:15]
	s_mov_b32 s25, 0
                                        ; implicit-def: $sgpr1
	s_delay_alu instid0(VALU_DEP_1)
	v_lshl_add_u64 v[26:27], v[26:27], 1, s[8:9]
.LBB1230_42:                            ; =>This Inner Loop Header: Depth=1
	global_load_u16 v28, v[24:25], off
	global_load_u16 v29, v[26:27], off
	s_cmp_eq_u64 s[4:5], 0
	s_add_nc_u64 s[26:27], s[4:5], -1
	s_cselect_b32 s4, -1, 0
	s_wait_xcnt 0x0
	v_add_nc_u64_e32 v[26:27], 2, v[26:27]
	v_add_nc_u64_e32 v[24:25], 2, v[24:25]
	s_wait_loadcnt 0x0
	v_dual_lshlrev_b32 v28, 16, v28 :: v_dual_lshlrev_b32 v29, 16, v29
	s_delay_alu instid0(VALU_DEP_1) | instskip(SKIP_2) | instid1(SALU_CYCLE_1)
	v_cmp_neq_f32_e32 vcc_lo, v29, v28
	v_cmp_eq_f32_e64 s0, v29, v28
	s_or_b32 s4, vcc_lo, s4
	s_and_b32 s4, exec_lo, s4
	s_delay_alu instid0(SALU_CYCLE_1)
	s_or_b32 s25, s4, s25
	s_and_not1_b32 s1, s1, exec_lo
	s_and_b32 s0, s0, exec_lo
	s_mov_b64 s[4:5], s[26:27]
	s_or_b32 s1, s1, s0
	s_and_not1_b32 exec_lo, exec_lo, s25
	s_cbranch_execnz .LBB1230_42
; %bb.43:
	s_or_b32 exec_lo, exec_lo, s25
	s_xor_b32 s0, s17, -1
	s_delay_alu instid0(SALU_CYCLE_1) | instskip(SKIP_1) | instid1(SALU_CYCLE_1)
	v_cndmask_b32_e64 v24, 0, 1, s0
	s_xor_b32 s0, s24, -1
	v_cndmask_b32_e64 v25, 0, 1, s0
	s_xor_b32 s0, s6, -1
	s_delay_alu instid0(VALU_DEP_2) | instskip(SKIP_2) | instid1(VALU_DEP_2)
	v_lshlrev_b16 v24, 8, v24
	v_cndmask_b32_e64 v34, 0, 1, s0
	s_xor_b32 s0, s1, -1
	v_lshrrev_b32_e32 v24, 8, v24
	s_delay_alu instid0(VALU_DEP_1) | instskip(NEXT) | instid1(VALU_DEP_1)
	v_lshlrev_b16 v24, 8, v24
	v_or_b32_e32 v24, v25, v24
	s_delay_alu instid0(VALU_DEP_1)
	v_lshlrev_b32_e32 v26, 16, v24
	s_branch .LBB1230_48
.LBB1230_44:
                                        ; implicit-def: $sgpr0
                                        ; implicit-def: $vgpr34
                                        ; implicit-def: $vgpr25
	s_branch .LBB1230_89
.LBB1230_45:
                                        ; implicit-def: $vgpr24
                                        ; implicit-def: $vgpr23
                                        ; implicit-def: $vgpr35
                                        ; implicit-def: $vgpr22
	s_branch .LBB1230_142
.LBB1230_46:
	s_wait_xcnt 0x0
                                        ; implicit-def: $sgpr0
                                        ; implicit-def: $vgpr34
                                        ; implicit-def: $vgpr25
	s_cbranch_execnz .LBB1230_55
	s_branch .LBB1230_88
.LBB1230_47:
	v_mov_b32_e32 v34, 0
	s_mov_b32 s0, 0
.LBB1230_48:
	s_wait_loadcnt 0x0
	v_mov_b64_e32 v[24:25], v[22:23]
	s_wait_dscnt 0x0
	s_barrier_signal -1
	s_barrier_wait -1
	s_and_saveexec_b32 s1, s3
; %bb.49:
	v_add_nc_u32_e32 v24, -8, v33
	ds_load_b64 v[24:25], v24
; %bb.50:
	s_or_b32 exec_lo, exec_lo, s1
	v_cndmask_b32_e64 v27, 0, 1, s0
	v_lshrrev_b32_e32 v28, 16, v26
	s_mov_b32 s4, 0
	s_and_not1_b32 vcc_lo, exec_lo, s7
	s_mov_b32 s0, 0
	v_lshlrev_b16 v27, 8, v27
	v_perm_b32 v28, v28, v26, 0xc0c0304
	s_delay_alu instid0(VALU_DEP_2) | instskip(NEXT) | instid1(VALU_DEP_1)
	v_bitop3_b16 v27, v26, v27, 0xff bitop3:0xec
	v_and_b32_e32 v29, 0xffff, v27
	s_cbranch_vccnz .LBB1230_54
; %bb.51:
	s_wait_dscnt 0x0
	v_mul_u64_e32 v[24:25], s[18:19], v[24:25]
	v_mul_u64_e32 v[26:27], s[18:19], v[14:15]
	s_add_nc_u64 s[0:1], s[18:19], -1
	s_mov_b32 s5, 0
                                        ; implicit-def: $sgpr6
	s_delay_alu instid0(VALU_DEP_2) | instskip(NEXT) | instid1(VALU_DEP_2)
	v_lshl_add_u64 v[24:25], v[24:25], 1, s[8:9]
	v_lshl_add_u64 v[26:27], v[26:27], 1, s[8:9]
.LBB1230_52:                            ; =>This Inner Loop Header: Depth=1
	global_load_u16 v35, v[26:27], off
	global_load_u16 v36, v[24:25], off
	s_cmp_eq_u64 s[0:1], 0
	s_add_nc_u64 s[24:25], s[0:1], -1
	s_cselect_b32 s1, -1, 0
	s_wait_xcnt 0x0
	v_add_nc_u64_e32 v[24:25], 2, v[24:25]
	v_add_nc_u64_e32 v[26:27], 2, v[26:27]
	s_wait_loadcnt 0x0
	v_dual_lshlrev_b32 v35, 16, v35 :: v_dual_lshlrev_b32 v36, 16, v36
	s_delay_alu instid0(VALU_DEP_1) | instskip(SKIP_2) | instid1(SALU_CYCLE_1)
	v_cmp_neq_f32_e32 vcc_lo, v36, v35
	v_cmp_eq_f32_e64 s0, v36, v35
	s_or_b32 s1, vcc_lo, s1
	s_and_b32 s1, exec_lo, s1
	s_delay_alu instid0(SALU_CYCLE_1)
	s_or_b32 s5, s1, s5
	s_and_not1_b32 s6, s6, exec_lo
	s_and_b32 s17, s0, exec_lo
	s_mov_b64 s[0:1], s[24:25]
	s_or_b32 s6, s6, s17
	s_and_not1_b32 exec_lo, exec_lo, s5
	s_cbranch_execnz .LBB1230_52
; %bb.53:
	s_or_b32 exec_lo, exec_lo, s5
	s_xor_b32 s0, s6, -1
.LBB1230_54:
	s_wait_dscnt 0x0
	s_delay_alu instid0(VALU_DEP_1)
	v_lshl_or_b32 v25, v28, 16, v29
	s_and_b32 vcc_lo, exec_lo, s4
	s_cbranch_vccz .LBB1230_88
.LBB1230_55:
	v_add_nc_u32_e32 v24, 4, v30
	s_mov_b32 s5, 0
	s_mov_b32 s4, 0
	s_mov_b32 s6, exec_lo
	s_delay_alu instid0(VALU_DEP_1)
	v_cmpx_gt_u32_e64 s31, v24
	s_cbranch_execz .LBB1230_61
; %bb.56:
	s_and_not1_b32 vcc_lo, exec_lo, s7
	s_mov_b32 s0, 0
	s_cbranch_vccnz .LBB1230_60
; %bb.57:
	v_mul_u64_e32 v[24:25], s[18:19], v[12:13]
	v_mul_u64_e32 v[26:27], s[18:19], v[20:21]
	s_add_nc_u64 s[0:1], s[18:19], -1
                                        ; implicit-def: $sgpr7
	s_delay_alu instid0(VALU_DEP_2) | instskip(NEXT) | instid1(VALU_DEP_2)
	v_lshl_add_u64 v[24:25], v[24:25], 1, s[8:9]
	v_lshl_add_u64 v[26:27], v[26:27], 1, s[8:9]
.LBB1230_58:                            ; =>This Inner Loop Header: Depth=1
	global_load_u16 v28, v[26:27], off
	global_load_u16 v29, v[24:25], off
	s_cmp_eq_u64 s[0:1], 0
	s_add_nc_u64 s[24:25], s[0:1], -1
	s_cselect_b32 s1, -1, 0
	s_wait_xcnt 0x0
	v_add_nc_u64_e32 v[24:25], 2, v[24:25]
	v_add_nc_u64_e32 v[26:27], 2, v[26:27]
	s_wait_loadcnt 0x0
	v_dual_lshlrev_b32 v28, 16, v28 :: v_dual_lshlrev_b32 v29, 16, v29
	s_delay_alu instid0(VALU_DEP_1) | instskip(SKIP_2) | instid1(SALU_CYCLE_1)
	v_cmp_neq_f32_e32 vcc_lo, v29, v28
	v_cmp_eq_f32_e64 s0, v29, v28
	s_or_b32 s1, vcc_lo, s1
	s_and_b32 s1, exec_lo, s1
	s_delay_alu instid0(SALU_CYCLE_1)
	s_or_b32 s4, s1, s4
	s_and_not1_b32 s7, s7, exec_lo
	s_and_b32 s17, s0, exec_lo
	s_mov_b64 s[0:1], s[24:25]
	s_or_b32 s7, s7, s17
	s_and_not1_b32 exec_lo, exec_lo, s4
	s_cbranch_execnz .LBB1230_58
; %bb.59:
	s_or_b32 exec_lo, exec_lo, s4
	s_xor_b32 s0, s7, -1
.LBB1230_60:
	s_delay_alu instid0(SALU_CYCLE_1)
	s_and_b32 s4, s0, exec_lo
.LBB1230_61:
	s_or_b32 exec_lo, exec_lo, s6
	v_add_nc_u32_e32 v24, 3, v30
	s_mov_b32 s6, exec_lo
	s_delay_alu instid0(VALU_DEP_1)
	v_cmpx_gt_u32_e64 s31, v24
	s_cbranch_execz .LBB1230_67
; %bb.62:
	v_cmp_ne_u32_e32 vcc_lo, 1, v32
	s_mov_b32 s0, 0
	s_cbranch_vccnz .LBB1230_66
; %bb.63:
	v_mul_u64_e32 v[24:25], s[18:19], v[10:11]
	v_mul_u64_e32 v[26:27], s[18:19], v[12:13]
	s_add_nc_u64 s[0:1], s[18:19], -1
	s_mov_b32 s5, 0
                                        ; implicit-def: $sgpr7
	s_delay_alu instid0(VALU_DEP_2) | instskip(NEXT) | instid1(VALU_DEP_2)
	v_lshl_add_u64 v[24:25], v[24:25], 1, s[8:9]
	v_lshl_add_u64 v[26:27], v[26:27], 1, s[8:9]
.LBB1230_64:                            ; =>This Inner Loop Header: Depth=1
	global_load_u16 v28, v[26:27], off
	global_load_u16 v29, v[24:25], off
	s_cmp_eq_u64 s[0:1], 0
	s_add_nc_u64 s[24:25], s[0:1], -1
	s_cselect_b32 s1, -1, 0
	s_wait_xcnt 0x0
	v_add_nc_u64_e32 v[24:25], 2, v[24:25]
	v_add_nc_u64_e32 v[26:27], 2, v[26:27]
	s_wait_loadcnt 0x0
	v_dual_lshlrev_b32 v28, 16, v28 :: v_dual_lshlrev_b32 v29, 16, v29
	s_delay_alu instid0(VALU_DEP_1) | instskip(SKIP_2) | instid1(SALU_CYCLE_1)
	v_cmp_neq_f32_e32 vcc_lo, v29, v28
	v_cmp_eq_f32_e64 s0, v29, v28
	s_or_b32 s1, vcc_lo, s1
	s_and_b32 s1, exec_lo, s1
	s_delay_alu instid0(SALU_CYCLE_1)
	s_or_b32 s5, s1, s5
	s_and_not1_b32 s7, s7, exec_lo
	s_and_b32 s17, s0, exec_lo
	s_mov_b64 s[0:1], s[24:25]
	s_or_b32 s7, s7, s17
	s_and_not1_b32 exec_lo, exec_lo, s5
	s_cbranch_execnz .LBB1230_64
; %bb.65:
	s_or_b32 exec_lo, exec_lo, s5
	s_xor_b32 s0, s7, -1
.LBB1230_66:
	s_delay_alu instid0(SALU_CYCLE_1)
	s_and_b32 s5, s0, exec_lo
.LBB1230_67:
	s_or_b32 exec_lo, exec_lo, s6
	v_add_nc_u32_e32 v24, 2, v30
	s_mov_b32 s6, 0
	s_mov_b32 s7, 0
	s_mov_b32 s17, exec_lo
	s_delay_alu instid0(VALU_DEP_1)
	v_cmpx_gt_u32_e64 s31, v24
	s_cbranch_execz .LBB1230_73
; %bb.68:
	v_cmp_ne_u32_e32 vcc_lo, 1, v32
	s_mov_b32 s0, 0
	s_cbranch_vccnz .LBB1230_72
; %bb.69:
	v_mul_u64_e32 v[24:25], s[18:19], v[16:17]
	v_mul_u64_e32 v[26:27], s[18:19], v[10:11]
	s_add_nc_u64 s[0:1], s[18:19], -1
                                        ; implicit-def: $sgpr24
	s_delay_alu instid0(VALU_DEP_2) | instskip(NEXT) | instid1(VALU_DEP_2)
	v_lshl_add_u64 v[24:25], v[24:25], 1, s[8:9]
	v_lshl_add_u64 v[26:27], v[26:27], 1, s[8:9]
.LBB1230_70:                            ; =>This Inner Loop Header: Depth=1
	global_load_u16 v28, v[26:27], off
	global_load_u16 v29, v[24:25], off
	s_cmp_eq_u64 s[0:1], 0
	s_add_nc_u64 s[26:27], s[0:1], -1
	s_cselect_b32 s1, -1, 0
	s_wait_xcnt 0x0
	v_add_nc_u64_e32 v[24:25], 2, v[24:25]
	v_add_nc_u64_e32 v[26:27], 2, v[26:27]
	s_wait_loadcnt 0x0
	v_dual_lshlrev_b32 v28, 16, v28 :: v_dual_lshlrev_b32 v29, 16, v29
	s_delay_alu instid0(VALU_DEP_1) | instskip(SKIP_2) | instid1(SALU_CYCLE_1)
	v_cmp_neq_f32_e32 vcc_lo, v29, v28
	v_cmp_eq_f32_e64 s0, v29, v28
	s_or_b32 s1, vcc_lo, s1
	s_and_b32 s1, exec_lo, s1
	s_delay_alu instid0(SALU_CYCLE_1)
	s_or_b32 s7, s1, s7
	s_and_not1_b32 s24, s24, exec_lo
	s_and_b32 s25, s0, exec_lo
	s_mov_b64 s[0:1], s[26:27]
	s_or_b32 s24, s24, s25
	s_and_not1_b32 exec_lo, exec_lo, s7
	s_cbranch_execnz .LBB1230_70
; %bb.71:
	s_or_b32 exec_lo, exec_lo, s7
	s_xor_b32 s0, s24, -1
.LBB1230_72:
	s_delay_alu instid0(SALU_CYCLE_1)
	s_and_b32 s7, s0, exec_lo
.LBB1230_73:
	s_or_b32 exec_lo, exec_lo, s17
	v_add_nc_u32_e32 v24, 1, v30
	s_mov_b32 s17, exec_lo
	s_delay_alu instid0(VALU_DEP_1)
	v_cmpx_gt_u32_e64 s31, v24
	s_cbranch_execz .LBB1230_79
; %bb.74:
	v_cmp_ne_u32_e32 vcc_lo, 1, v32
	s_mov_b32 s0, 0
	s_cbranch_vccnz .LBB1230_78
; %bb.75:
	v_mul_u64_e32 v[24:25], s[18:19], v[14:15]
	v_mul_u64_e32 v[26:27], s[18:19], v[16:17]
	s_add_nc_u64 s[0:1], s[18:19], -1
	s_mov_b32 s6, 0
                                        ; implicit-def: $sgpr24
	s_delay_alu instid0(VALU_DEP_2) | instskip(NEXT) | instid1(VALU_DEP_2)
	v_lshl_add_u64 v[24:25], v[24:25], 1, s[8:9]
	v_lshl_add_u64 v[26:27], v[26:27], 1, s[8:9]
.LBB1230_76:                            ; =>This Inner Loop Header: Depth=1
	global_load_u16 v28, v[26:27], off
	global_load_u16 v29, v[24:25], off
	s_cmp_eq_u64 s[0:1], 0
	s_add_nc_u64 s[26:27], s[0:1], -1
	s_cselect_b32 s1, -1, 0
	s_wait_xcnt 0x0
	v_add_nc_u64_e32 v[24:25], 2, v[24:25]
	v_add_nc_u64_e32 v[26:27], 2, v[26:27]
	s_wait_loadcnt 0x0
	v_dual_lshlrev_b32 v28, 16, v28 :: v_dual_lshlrev_b32 v29, 16, v29
	s_delay_alu instid0(VALU_DEP_1) | instskip(SKIP_2) | instid1(SALU_CYCLE_1)
	v_cmp_neq_f32_e32 vcc_lo, v29, v28
	v_cmp_eq_f32_e64 s0, v29, v28
	s_or_b32 s1, vcc_lo, s1
	s_and_b32 s1, exec_lo, s1
	s_delay_alu instid0(SALU_CYCLE_1)
	s_or_b32 s6, s1, s6
	s_and_not1_b32 s24, s24, exec_lo
	s_and_b32 s25, s0, exec_lo
	s_mov_b64 s[0:1], s[26:27]
	s_or_b32 s24, s24, s25
	s_and_not1_b32 exec_lo, exec_lo, s6
	s_cbranch_execnz .LBB1230_76
; %bb.77:
	s_or_b32 exec_lo, exec_lo, s6
	s_xor_b32 s0, s24, -1
.LBB1230_78:
	s_delay_alu instid0(SALU_CYCLE_1)
	s_and_b32 s6, s0, exec_lo
.LBB1230_79:
	s_or_b32 exec_lo, exec_lo, s17
	s_wait_loadcnt_dscnt 0x0
	s_barrier_signal -1
	s_barrier_wait -1
	s_and_saveexec_b32 s0, s3
; %bb.80:
	v_add_nc_u32_e32 v22, -8, v33
	ds_load_b64 v[22:23], v22
; %bb.81:
	s_or_b32 exec_lo, exec_lo, s0
	v_cndmask_b32_e64 v24, 0, 1, s5
	v_cndmask_b32_e64 v25, 0, 1, s7
	;; [unrolled: 1-line block ×3, first 2 shown]
	s_mov_b32 s0, 0
	s_mov_b32 s5, exec_lo
	v_lshlrev_b16 v24, 8, v24
	s_delay_alu instid0(VALU_DEP_2) | instskip(NEXT) | instid1(VALU_DEP_2)
	v_lshlrev_b16 v26, 8, v26
	v_or_b32_e32 v24, v25, v24
	s_delay_alu instid0(VALU_DEP_2) | instskip(NEXT) | instid1(VALU_DEP_2)
	v_and_b32_e32 v26, 0xffff, v26
	v_lshlrev_b32_e32 v27, 16, v24
	v_cmpx_gt_u32_e64 s31, v30
	s_cbranch_execz .LBB1230_87
; %bb.82:
	v_cmp_ne_u32_e32 vcc_lo, 1, v32
	s_cbranch_vccnz .LBB1230_86
; %bb.83:
	s_wait_dscnt 0x0
	v_mul_u64_e32 v[22:23], s[18:19], v[22:23]
	v_mul_u64_e32 v[24:25], s[18:19], v[14:15]
	s_add_nc_u64 s[0:1], s[18:19], -1
	s_mov_b32 s6, 0
                                        ; implicit-def: $sgpr7
	s_delay_alu instid0(VALU_DEP_2) | instskip(NEXT) | instid1(VALU_DEP_2)
	v_lshl_add_u64 v[22:23], v[22:23], 1, s[8:9]
	v_lshl_add_u64 v[24:25], v[24:25], 1, s[8:9]
.LBB1230_84:                            ; =>This Inner Loop Header: Depth=1
	global_load_u16 v28, v[24:25], off
	global_load_u16 v29, v[22:23], off
	s_cmp_eq_u64 s[0:1], 0
	s_add_nc_u64 s[24:25], s[0:1], -1
	s_cselect_b32 s1, -1, 0
	s_wait_xcnt 0x0
	v_add_nc_u64_e32 v[22:23], 2, v[22:23]
	v_add_nc_u64_e32 v[24:25], 2, v[24:25]
	s_wait_loadcnt 0x0
	v_dual_lshlrev_b32 v28, 16, v28 :: v_dual_lshlrev_b32 v29, 16, v29
	s_delay_alu instid0(VALU_DEP_1) | instskip(SKIP_2) | instid1(SALU_CYCLE_1)
	v_cmp_neq_f32_e32 vcc_lo, v29, v28
	v_cmp_eq_f32_e64 s0, v29, v28
	s_or_b32 s1, vcc_lo, s1
	s_and_b32 s1, exec_lo, s1
	s_delay_alu instid0(SALU_CYCLE_1)
	s_or_b32 s6, s1, s6
	s_and_not1_b32 s7, s7, exec_lo
	s_and_b32 s17, s0, exec_lo
	s_mov_b64 s[0:1], s[24:25]
	s_or_b32 s7, s7, s17
	s_and_not1_b32 exec_lo, exec_lo, s6
	s_cbranch_execnz .LBB1230_84
; %bb.85:
	s_or_b32 exec_lo, exec_lo, s6
	s_xor_b32 s0, s7, -1
.LBB1230_86:
	s_delay_alu instid0(SALU_CYCLE_1)
	s_and_b32 s0, s0, exec_lo
.LBB1230_87:
	s_or_b32 exec_lo, exec_lo, s5
	v_cndmask_b32_e64 v34, 0, 1, s4
	v_or_b32_e32 v25, v26, v27
.LBB1230_88:
	s_mov_b32 s6, -1
	s_cbranch_execnz .LBB1230_45
.LBB1230_89:
	s_wait_loadcnt_dscnt 0x0
	v_lshlrev_b32_e32 v22, 5, v0
	v_cmp_gt_i64_e64 s7, s[18:19], 0
	s_and_b32 vcc_lo, exec_lo, s29
	v_sub_nc_u32_e32 v31, v31, v22
	ds_store_b64 v31, v[20:21]
	s_cbranch_vccz .LBB1230_100
; %bb.90:
	s_and_not1_b32 vcc_lo, exec_lo, s7
	s_cbranch_vccnz .LBB1230_101
; %bb.91:
	v_mul_u64_e32 v[22:23], s[18:19], v[12:13]
	v_mul_u64_e32 v[24:25], s[18:19], v[20:21]
	s_add_nc_u64 s[4:5], s[18:19], -1
	s_mov_b32 s24, 0
	s_mov_b64 s[0:1], s[4:5]
                                        ; implicit-def: $sgpr17
	s_delay_alu instid0(VALU_DEP_2) | instskip(NEXT) | instid1(VALU_DEP_2)
	v_lshl_add_u64 v[22:23], v[22:23], 1, s[8:9]
	v_lshl_add_u64 v[24:25], v[24:25], 1, s[8:9]
	s_delay_alu instid0(VALU_DEP_2)
	v_mov_b64_e32 v[26:27], v[22:23]
.LBB1230_92:                            ; =>This Inner Loop Header: Depth=1
	global_load_u16 v28, v[24:25], off
	global_load_u16 v29, v[26:27], off
	s_cmp_eq_u64 s[0:1], 0
	s_add_nc_u64 s[26:27], s[0:1], -1
	s_cselect_b32 s1, -1, 0
	s_wait_xcnt 0x0
	v_add_nc_u64_e32 v[26:27], 2, v[26:27]
	v_add_nc_u64_e32 v[24:25], 2, v[24:25]
	s_wait_loadcnt 0x0
	v_dual_lshlrev_b32 v28, 16, v28 :: v_dual_lshlrev_b32 v29, 16, v29
	s_delay_alu instid0(VALU_DEP_1) | instskip(SKIP_2) | instid1(SALU_CYCLE_1)
	v_cmp_neq_f32_e32 vcc_lo, v29, v28
	v_cmp_eq_f32_e64 s0, v29, v28
	s_or_b32 s1, vcc_lo, s1
	s_and_b32 s1, exec_lo, s1
	s_delay_alu instid0(SALU_CYCLE_1)
	s_or_b32 s24, s1, s24
	s_and_not1_b32 s17, s17, exec_lo
	s_and_b32 s25, s0, exec_lo
	s_mov_b64 s[0:1], s[26:27]
	s_or_b32 s17, s17, s25
	s_and_not1_b32 exec_lo, exec_lo, s24
	s_cbranch_execnz .LBB1230_92
; %bb.93:
	s_or_b32 exec_lo, exec_lo, s24
	v_mul_u64_e32 v[24:25], s[18:19], v[10:11]
	s_mov_b32 s25, 0
	s_mov_b64 s[0:1], s[4:5]
                                        ; implicit-def: $sgpr24
	s_delay_alu instid0(VALU_DEP_1) | instskip(NEXT) | instid1(VALU_DEP_1)
	v_lshl_add_u64 v[24:25], v[24:25], 1, s[8:9]
	v_mov_b64_e32 v[26:27], v[24:25]
.LBB1230_94:                            ; =>This Inner Loop Header: Depth=1
	global_load_u16 v28, v[22:23], off
	global_load_u16 v29, v[26:27], off
	s_cmp_eq_u64 s[0:1], 0
	s_add_nc_u64 s[26:27], s[0:1], -1
	s_cselect_b32 s1, -1, 0
	s_wait_xcnt 0x0
	v_add_nc_u64_e32 v[26:27], 2, v[26:27]
	v_add_nc_u64_e32 v[22:23], 2, v[22:23]
	s_wait_loadcnt 0x0
	v_dual_lshlrev_b32 v28, 16, v28 :: v_dual_lshlrev_b32 v29, 16, v29
	s_delay_alu instid0(VALU_DEP_1) | instskip(SKIP_2) | instid1(SALU_CYCLE_1)
	v_cmp_neq_f32_e32 vcc_lo, v29, v28
	v_cmp_eq_f32_e64 s0, v29, v28
	s_or_b32 s1, vcc_lo, s1
	s_and_b32 s1, exec_lo, s1
	s_delay_alu instid0(SALU_CYCLE_1)
	s_or_b32 s25, s1, s25
	s_and_not1_b32 s24, s24, exec_lo
	s_and_b32 s34, s0, exec_lo
	s_mov_b64 s[0:1], s[26:27]
	s_or_b32 s24, s24, s34
	s_and_not1_b32 exec_lo, exec_lo, s25
	s_cbranch_execnz .LBB1230_94
; %bb.95:
	s_or_b32 exec_lo, exec_lo, s25
	v_mul_u64_e32 v[22:23], s[18:19], v[16:17]
	s_mov_b32 s26, 0
	s_mov_b64 s[0:1], s[4:5]
                                        ; implicit-def: $sgpr25
	s_delay_alu instid0(VALU_DEP_1) | instskip(NEXT) | instid1(VALU_DEP_1)
	v_lshl_add_u64 v[22:23], v[22:23], 1, s[8:9]
	v_mov_b64_e32 v[26:27], v[22:23]
.LBB1230_96:                            ; =>This Inner Loop Header: Depth=1
	global_load_u16 v28, v[24:25], off
	global_load_u16 v29, v[26:27], off
	s_cmp_eq_u64 s[0:1], 0
	s_add_nc_u64 s[34:35], s[0:1], -1
	s_cselect_b32 s1, -1, 0
	s_wait_xcnt 0x0
	v_add_nc_u64_e32 v[26:27], 2, v[26:27]
	v_add_nc_u64_e32 v[24:25], 2, v[24:25]
	s_wait_loadcnt 0x0
	v_dual_lshlrev_b32 v28, 16, v28 :: v_dual_lshlrev_b32 v29, 16, v29
	s_delay_alu instid0(VALU_DEP_1) | instskip(SKIP_2) | instid1(SALU_CYCLE_1)
	v_cmp_neq_f32_e32 vcc_lo, v29, v28
	v_cmp_eq_f32_e64 s0, v29, v28
	s_or_b32 s1, vcc_lo, s1
	s_and_b32 s1, exec_lo, s1
	s_delay_alu instid0(SALU_CYCLE_1)
	s_or_b32 s26, s1, s26
	s_and_not1_b32 s25, s25, exec_lo
	s_and_b32 s27, s0, exec_lo
	s_mov_b64 s[0:1], s[34:35]
	s_or_b32 s25, s25, s27
	s_and_not1_b32 exec_lo, exec_lo, s26
	s_cbranch_execnz .LBB1230_96
; %bb.97:
	s_or_b32 exec_lo, exec_lo, s26
	v_mul_u64_e32 v[24:25], s[18:19], v[14:15]
	s_mov_b32 s26, 0
                                        ; implicit-def: $sgpr1
	s_delay_alu instid0(VALU_DEP_1)
	v_lshl_add_u64 v[24:25], v[24:25], 1, s[8:9]
.LBB1230_98:                            ; =>This Inner Loop Header: Depth=1
	global_load_u16 v26, v[22:23], off
	global_load_u16 v27, v[24:25], off
	s_cmp_eq_u64 s[4:5], 0
	s_add_nc_u64 s[34:35], s[4:5], -1
	s_cselect_b32 s4, -1, 0
	s_wait_xcnt 0x0
	v_add_nc_u64_e32 v[24:25], 2, v[24:25]
	v_add_nc_u64_e32 v[22:23], 2, v[22:23]
	s_wait_loadcnt 0x0
	v_dual_lshlrev_b32 v26, 16, v26 :: v_dual_lshlrev_b32 v27, 16, v27
	s_delay_alu instid0(VALU_DEP_1) | instskip(SKIP_2) | instid1(SALU_CYCLE_1)
	v_cmp_neq_f32_e32 vcc_lo, v27, v26
	v_cmp_eq_f32_e64 s0, v27, v26
	s_or_b32 s4, vcc_lo, s4
	s_and_b32 s4, exec_lo, s4
	s_delay_alu instid0(SALU_CYCLE_1)
	s_or_b32 s26, s4, s26
	s_and_not1_b32 s1, s1, exec_lo
	s_and_b32 s0, s0, exec_lo
	s_mov_b64 s[4:5], s[34:35]
	s_or_b32 s1, s1, s0
	s_and_not1_b32 exec_lo, exec_lo, s26
	s_cbranch_execnz .LBB1230_98
; %bb.99:
	s_or_b32 exec_lo, exec_lo, s26
	s_xor_b32 s0, s24, -1
	s_delay_alu instid0(SALU_CYCLE_1) | instskip(SKIP_1) | instid1(SALU_CYCLE_1)
	v_cndmask_b32_e64 v22, 0, 1, s0
	s_xor_b32 s0, s25, -1
	v_cndmask_b32_e64 v23, 0, 1, s0
	s_xor_b32 s0, s17, -1
	s_delay_alu instid0(VALU_DEP_2) | instskip(SKIP_2) | instid1(VALU_DEP_2)
	v_lshlrev_b16 v22, 8, v22
	v_cndmask_b32_e64 v34, 0, 1, s0
	s_xor_b32 s0, s1, -1
	v_lshrrev_b32_e32 v22, 8, v22
	s_delay_alu instid0(VALU_DEP_1) | instskip(NEXT) | instid1(VALU_DEP_1)
	v_lshlrev_b16 v22, 8, v22
	v_or_b32_e32 v22, v23, v22
	s_delay_alu instid0(VALU_DEP_1)
	v_lshlrev_b32_e32 v22, 16, v22
	s_branch .LBB1230_102
.LBB1230_100:
                                        ; implicit-def: $sgpr0
                                        ; implicit-def: $vgpr34
                                        ; implicit-def: $vgpr25
                                        ; implicit-def: $vgpr24
                                        ; implicit-def: $vgpr23
                                        ; implicit-def: $vgpr35
                                        ; implicit-def: $vgpr22
	s_cbranch_execnz .LBB1230_109
	s_branch .LBB1230_142
.LBB1230_101:
	v_dual_mov_b32 v22, 0 :: v_dual_mov_b32 v34, 0
	s_mov_b32 s0, 0
.LBB1230_102:
	s_delay_alu instid0(VALU_DEP_1)
	v_dual_lshrrev_b32 v35, 16, v22 :: v_dual_lshrrev_b32 v22, 24, v22
	v_cndmask_b32_e64 v23, 0, 1, s0
	v_mov_b32_e32 v24, 1
	s_wait_dscnt 0x0
	s_barrier_signal -1
	s_barrier_wait -1
                                        ; implicit-def: $sgpr0
                                        ; implicit-def: $vgpr25
	s_and_saveexec_b32 s1, s3
	s_delay_alu instid0(SALU_CYCLE_1)
	s_xor_b32 s4, exec_lo, s1
	s_cbranch_execz .LBB1230_108
; %bb.103:
	v_lshlrev_b16 v25, 8, v22
	v_lshlrev_b16 v26, 8, v23
	s_and_not1_b32 vcc_lo, exec_lo, s7
	s_mov_b32 s0, 0
	s_delay_alu instid0(VALU_DEP_2) | instskip(NEXT) | instid1(VALU_DEP_1)
	v_bitop3_b16 v25, v35, v25, 0xff bitop3:0xec
	v_dual_lshlrev_b32 v25, 16, v25 :: v_dual_bitop2_b32 v26, 1, v26 bitop3:0x54
	s_delay_alu instid0(VALU_DEP_1) | instskip(NEXT) | instid1(VALU_DEP_1)
	v_and_b32_e32 v26, 0xffff, v26
	v_or_b32_e32 v25, v26, v25
	s_cbranch_vccnz .LBB1230_107
; %bb.104:
	v_add_nc_u32_e32 v26, -8, v31
	v_mul_u64_e32 v[28:29], s[18:19], v[14:15]
	s_add_nc_u64 s[0:1], s[18:19], -1
	s_mov_b32 s5, 0
                                        ; implicit-def: $sgpr17
	ds_load_b64 v[26:27], v26
	s_wait_dscnt 0x0
	v_mul_u64_e32 v[26:27], s[18:19], v[26:27]
	v_lshl_add_u64 v[28:29], v[28:29], 1, s[8:9]
	s_delay_alu instid0(VALU_DEP_2)
	v_lshl_add_u64 v[26:27], v[26:27], 1, s[8:9]
.LBB1230_105:                           ; =>This Inner Loop Header: Depth=1
	global_load_u16 v32, v[28:29], off
	global_load_u16 v33, v[26:27], off
	s_cmp_eq_u64 s[0:1], 0
	s_add_nc_u64 s[24:25], s[0:1], -1
	s_cselect_b32 s1, -1, 0
	s_wait_xcnt 0x0
	v_add_nc_u64_e32 v[26:27], 2, v[26:27]
	v_add_nc_u64_e32 v[28:29], 2, v[28:29]
	s_wait_loadcnt 0x0
	v_dual_lshlrev_b32 v32, 16, v32 :: v_dual_lshlrev_b32 v33, 16, v33
	s_delay_alu instid0(VALU_DEP_1) | instskip(SKIP_2) | instid1(SALU_CYCLE_1)
	v_cmp_neq_f32_e32 vcc_lo, v33, v32
	v_cmp_eq_f32_e64 s0, v33, v32
	s_or_b32 s1, vcc_lo, s1
	s_and_b32 s1, exec_lo, s1
	s_delay_alu instid0(SALU_CYCLE_1)
	s_or_b32 s5, s1, s5
	s_and_not1_b32 s17, s17, exec_lo
	s_and_b32 s26, s0, exec_lo
	s_mov_b64 s[0:1], s[24:25]
	s_or_b32 s17, s17, s26
	s_and_not1_b32 exec_lo, exec_lo, s5
	s_cbranch_execnz .LBB1230_105
; %bb.106:
	s_or_b32 exec_lo, exec_lo, s5
	s_xor_b32 s0, s17, -1
.LBB1230_107:
	s_delay_alu instid0(VALU_DEP_1)
	v_perm_b32 v25, v25, v25, 0x3020104
	s_or_b32 s6, s6, exec_lo
.LBB1230_108:
	s_or_b32 exec_lo, exec_lo, s4
	s_branch .LBB1230_142
.LBB1230_109:
	v_add_nc_u32_e32 v22, 4, v30
	s_mov_b32 s4, 0
	s_mov_b32 s5, 0
	s_mov_b32 s17, exec_lo
	s_delay_alu instid0(VALU_DEP_1)
	v_cmpx_gt_u32_e64 s31, v22
	s_cbranch_execz .LBB1230_115
; %bb.110:
	s_and_not1_b32 vcc_lo, exec_lo, s7
	s_mov_b32 s0, 0
	s_cbranch_vccnz .LBB1230_114
; %bb.111:
	v_mul_u64_e32 v[22:23], s[18:19], v[12:13]
	v_mul_u64_e32 v[24:25], s[18:19], v[20:21]
	s_add_nc_u64 s[0:1], s[18:19], -1
                                        ; implicit-def: $sgpr24
	s_delay_alu instid0(VALU_DEP_2) | instskip(NEXT) | instid1(VALU_DEP_2)
	v_lshl_add_u64 v[22:23], v[22:23], 1, s[8:9]
	v_lshl_add_u64 v[24:25], v[24:25], 1, s[8:9]
.LBB1230_112:                           ; =>This Inner Loop Header: Depth=1
	global_load_u16 v26, v[24:25], off
	global_load_u16 v27, v[22:23], off
	s_cmp_eq_u64 s[0:1], 0
	s_add_nc_u64 s[26:27], s[0:1], -1
	s_cselect_b32 s1, -1, 0
	s_wait_xcnt 0x0
	v_add_nc_u64_e32 v[22:23], 2, v[22:23]
	v_add_nc_u64_e32 v[24:25], 2, v[24:25]
	s_wait_loadcnt 0x0
	v_dual_lshlrev_b32 v26, 16, v26 :: v_dual_lshlrev_b32 v27, 16, v27
	s_delay_alu instid0(VALU_DEP_1) | instskip(SKIP_2) | instid1(SALU_CYCLE_1)
	v_cmp_neq_f32_e32 vcc_lo, v27, v26
	v_cmp_eq_f32_e64 s0, v27, v26
	s_or_b32 s1, vcc_lo, s1
	s_and_b32 s1, exec_lo, s1
	s_delay_alu instid0(SALU_CYCLE_1)
	s_or_b32 s5, s1, s5
	s_and_not1_b32 s24, s24, exec_lo
	s_and_b32 s25, s0, exec_lo
	s_mov_b64 s[0:1], s[26:27]
	s_or_b32 s24, s24, s25
	s_and_not1_b32 exec_lo, exec_lo, s5
	s_cbranch_execnz .LBB1230_112
; %bb.113:
	s_or_b32 exec_lo, exec_lo, s5
	s_xor_b32 s0, s24, -1
.LBB1230_114:
	s_delay_alu instid0(SALU_CYCLE_1)
	s_and_b32 s5, s0, exec_lo
.LBB1230_115:
	s_or_b32 exec_lo, exec_lo, s17
	v_add_nc_u32_e32 v22, 3, v30
	s_mov_b32 s17, exec_lo
	s_delay_alu instid0(VALU_DEP_1)
	v_cmpx_gt_u32_e64 s31, v22
	s_cbranch_execz .LBB1230_121
; %bb.116:
	s_and_not1_b32 vcc_lo, exec_lo, s7
	s_mov_b32 s0, 0
	s_cbranch_vccnz .LBB1230_120
; %bb.117:
	v_mul_u64_e32 v[22:23], s[18:19], v[10:11]
	v_mul_u64_e32 v[24:25], s[18:19], v[12:13]
	s_add_nc_u64 s[0:1], s[18:19], -1
	s_mov_b32 s4, 0
                                        ; implicit-def: $sgpr24
	s_delay_alu instid0(VALU_DEP_2) | instskip(NEXT) | instid1(VALU_DEP_2)
	v_lshl_add_u64 v[22:23], v[22:23], 1, s[8:9]
	v_lshl_add_u64 v[24:25], v[24:25], 1, s[8:9]
.LBB1230_118:                           ; =>This Inner Loop Header: Depth=1
	global_load_u16 v26, v[24:25], off
	global_load_u16 v27, v[22:23], off
	s_cmp_eq_u64 s[0:1], 0
	s_add_nc_u64 s[26:27], s[0:1], -1
	s_cselect_b32 s1, -1, 0
	s_wait_xcnt 0x0
	v_add_nc_u64_e32 v[22:23], 2, v[22:23]
	v_add_nc_u64_e32 v[24:25], 2, v[24:25]
	s_wait_loadcnt 0x0
	v_dual_lshlrev_b32 v26, 16, v26 :: v_dual_lshlrev_b32 v27, 16, v27
	s_delay_alu instid0(VALU_DEP_1) | instskip(SKIP_2) | instid1(SALU_CYCLE_1)
	v_cmp_neq_f32_e32 vcc_lo, v27, v26
	v_cmp_eq_f32_e64 s0, v27, v26
	s_or_b32 s1, vcc_lo, s1
	s_and_b32 s1, exec_lo, s1
	s_delay_alu instid0(SALU_CYCLE_1)
	s_or_b32 s4, s1, s4
	s_and_not1_b32 s24, s24, exec_lo
	s_and_b32 s25, s0, exec_lo
	s_mov_b64 s[0:1], s[26:27]
	s_or_b32 s24, s24, s25
	s_and_not1_b32 exec_lo, exec_lo, s4
	s_cbranch_execnz .LBB1230_118
; %bb.119:
	s_or_b32 exec_lo, exec_lo, s4
	s_xor_b32 s0, s24, -1
.LBB1230_120:
	s_delay_alu instid0(SALU_CYCLE_1)
	s_and_b32 s4, s0, exec_lo
.LBB1230_121:
	s_or_b32 exec_lo, exec_lo, s17
	v_add_nc_u32_e32 v22, 2, v30
	s_mov_b32 s17, 0
	s_mov_b32 s24, 0
	s_mov_b32 s25, exec_lo
	s_delay_alu instid0(VALU_DEP_1)
	v_cmpx_gt_u32_e64 s31, v22
	s_cbranch_execz .LBB1230_127
; %bb.122:
	s_and_not1_b32 vcc_lo, exec_lo, s7
	s_mov_b32 s0, 0
	s_cbranch_vccnz .LBB1230_126
; %bb.123:
	v_mul_u64_e32 v[22:23], s[18:19], v[16:17]
	v_mul_u64_e32 v[24:25], s[18:19], v[10:11]
	s_add_nc_u64 s[0:1], s[18:19], -1
                                        ; implicit-def: $sgpr26
	s_delay_alu instid0(VALU_DEP_2) | instskip(NEXT) | instid1(VALU_DEP_2)
	v_lshl_add_u64 v[22:23], v[22:23], 1, s[8:9]
	v_lshl_add_u64 v[24:25], v[24:25], 1, s[8:9]
.LBB1230_124:                           ; =>This Inner Loop Header: Depth=1
	global_load_u16 v26, v[24:25], off
	global_load_u16 v27, v[22:23], off
	s_cmp_eq_u64 s[0:1], 0
	s_add_nc_u64 s[34:35], s[0:1], -1
	s_cselect_b32 s1, -1, 0
	s_wait_xcnt 0x0
	v_add_nc_u64_e32 v[22:23], 2, v[22:23]
	v_add_nc_u64_e32 v[24:25], 2, v[24:25]
	s_wait_loadcnt 0x0
	v_dual_lshlrev_b32 v26, 16, v26 :: v_dual_lshlrev_b32 v27, 16, v27
	s_delay_alu instid0(VALU_DEP_1) | instskip(SKIP_2) | instid1(SALU_CYCLE_1)
	v_cmp_neq_f32_e32 vcc_lo, v27, v26
	v_cmp_eq_f32_e64 s0, v27, v26
	s_or_b32 s1, vcc_lo, s1
	s_and_b32 s1, exec_lo, s1
	s_delay_alu instid0(SALU_CYCLE_1)
	s_or_b32 s24, s1, s24
	s_and_not1_b32 s26, s26, exec_lo
	s_and_b32 s27, s0, exec_lo
	s_mov_b64 s[0:1], s[34:35]
	s_or_b32 s26, s26, s27
	s_and_not1_b32 exec_lo, exec_lo, s24
	s_cbranch_execnz .LBB1230_124
; %bb.125:
	s_or_b32 exec_lo, exec_lo, s24
	s_xor_b32 s0, s26, -1
.LBB1230_126:
	s_delay_alu instid0(SALU_CYCLE_1)
	s_and_b32 s24, s0, exec_lo
.LBB1230_127:
	s_or_b32 exec_lo, exec_lo, s25
	v_add_nc_u32_e32 v22, 1, v30
	s_mov_b32 s25, exec_lo
	s_delay_alu instid0(VALU_DEP_1)
	v_cmpx_gt_u32_e64 s31, v22
	s_cbranch_execz .LBB1230_133
; %bb.128:
	s_and_not1_b32 vcc_lo, exec_lo, s7
	s_mov_b32 s0, 0
	s_cbranch_vccnz .LBB1230_132
; %bb.129:
	v_mul_u64_e32 v[22:23], s[18:19], v[14:15]
	v_mul_u64_e32 v[24:25], s[18:19], v[16:17]
	s_add_nc_u64 s[0:1], s[18:19], -1
	s_mov_b32 s17, 0
                                        ; implicit-def: $sgpr26
	s_delay_alu instid0(VALU_DEP_2) | instskip(NEXT) | instid1(VALU_DEP_2)
	v_lshl_add_u64 v[22:23], v[22:23], 1, s[8:9]
	v_lshl_add_u64 v[24:25], v[24:25], 1, s[8:9]
.LBB1230_130:                           ; =>This Inner Loop Header: Depth=1
	global_load_u16 v26, v[24:25], off
	global_load_u16 v27, v[22:23], off
	s_cmp_eq_u64 s[0:1], 0
	s_add_nc_u64 s[34:35], s[0:1], -1
	s_cselect_b32 s1, -1, 0
	s_wait_xcnt 0x0
	v_add_nc_u64_e32 v[22:23], 2, v[22:23]
	v_add_nc_u64_e32 v[24:25], 2, v[24:25]
	s_wait_loadcnt 0x0
	v_dual_lshlrev_b32 v26, 16, v26 :: v_dual_lshlrev_b32 v27, 16, v27
	s_delay_alu instid0(VALU_DEP_1) | instskip(SKIP_2) | instid1(SALU_CYCLE_1)
	v_cmp_neq_f32_e32 vcc_lo, v27, v26
	v_cmp_eq_f32_e64 s0, v27, v26
	s_or_b32 s1, vcc_lo, s1
	s_and_b32 s1, exec_lo, s1
	s_delay_alu instid0(SALU_CYCLE_1)
	s_or_b32 s17, s1, s17
	s_and_not1_b32 s26, s26, exec_lo
	s_and_b32 s27, s0, exec_lo
	s_mov_b64 s[0:1], s[34:35]
	s_or_b32 s26, s26, s27
	s_and_not1_b32 exec_lo, exec_lo, s17
	s_cbranch_execnz .LBB1230_130
; %bb.131:
	s_or_b32 exec_lo, exec_lo, s17
	s_xor_b32 s0, s26, -1
.LBB1230_132:
	s_delay_alu instid0(SALU_CYCLE_1)
	s_and_b32 s17, s0, exec_lo
.LBB1230_133:
	s_or_b32 exec_lo, exec_lo, s25
	v_cndmask_b32_e64 v34, 0, 1, s5
	v_cndmask_b32_e64 v35, 0, 1, s24
	v_cndmask_b32_e64 v22, 0, 1, s4
	v_cndmask_b32_e64 v23, 0, 1, s17
	v_mov_b32_e32 v24, 1
	s_wait_dscnt 0x0
	s_barrier_signal -1
	s_barrier_wait -1
                                        ; implicit-def: $sgpr0
                                        ; implicit-def: $vgpr25
	s_and_saveexec_b32 s4, s3
	s_cbranch_execz .LBB1230_141
; %bb.134:
	v_lshlrev_b16 v25, 8, v23
	v_lshlrev_b16 v26, 8, v22
	s_mov_b32 s0, 0
	s_mov_b32 s3, exec_lo
	s_delay_alu instid0(VALU_DEP_1) | instskip(NEXT) | instid1(VALU_DEP_1)
	v_or_b32_e32 v26, v35, v26
	v_dual_lshlrev_b32 v26, 16, v26 :: v_dual_bitop2_b32 v25, 1, v25 bitop3:0x54
	s_delay_alu instid0(VALU_DEP_1) | instskip(NEXT) | instid1(VALU_DEP_1)
	v_and_b32_e32 v25, 0xffff, v25
	v_or_b32_e32 v25, v25, v26
	v_cmpx_gt_u32_e64 s31, v30
	s_cbranch_execz .LBB1230_140
; %bb.135:
	s_and_not1_b32 vcc_lo, exec_lo, s7
	s_cbranch_vccnz .LBB1230_139
; %bb.136:
	v_add_nc_u32_e32 v26, -8, v31
	v_mul_u64_e32 v[28:29], s[18:19], v[14:15]
	s_add_nc_u64 s[0:1], s[18:19], -1
	s_mov_b32 s5, 0
                                        ; implicit-def: $sgpr7
	ds_load_b64 v[26:27], v26
	s_wait_dscnt 0x0
	v_mul_u64_e32 v[26:27], s[18:19], v[26:27]
	v_lshl_add_u64 v[28:29], v[28:29], 1, s[8:9]
	s_delay_alu instid0(VALU_DEP_2)
	v_lshl_add_u64 v[26:27], v[26:27], 1, s[8:9]
.LBB1230_137:                           ; =>This Inner Loop Header: Depth=1
	global_load_u16 v31, v[28:29], off
	global_load_u16 v32, v[26:27], off
	s_cmp_eq_u64 s[0:1], 0
	s_add_nc_u64 s[8:9], s[0:1], -1
	s_cselect_b32 s1, -1, 0
	s_wait_xcnt 0x0
	v_add_nc_u64_e32 v[26:27], 2, v[26:27]
	v_add_nc_u64_e32 v[28:29], 2, v[28:29]
	s_wait_loadcnt 0x0
	v_dual_lshlrev_b32 v31, 16, v31 :: v_dual_lshlrev_b32 v32, 16, v32
	s_delay_alu instid0(VALU_DEP_1) | instskip(SKIP_2) | instid1(SALU_CYCLE_1)
	v_cmp_neq_f32_e32 vcc_lo, v32, v31
	v_cmp_eq_f32_e64 s0, v32, v31
	s_or_b32 s1, vcc_lo, s1
	s_and_b32 s1, exec_lo, s1
	s_delay_alu instid0(SALU_CYCLE_1)
	s_or_b32 s5, s1, s5
	s_and_not1_b32 s7, s7, exec_lo
	s_and_b32 s17, s0, exec_lo
	s_mov_b64 s[0:1], s[8:9]
	s_or_b32 s7, s7, s17
	s_and_not1_b32 exec_lo, exec_lo, s5
	s_cbranch_execnz .LBB1230_137
; %bb.138:
	s_or_b32 exec_lo, exec_lo, s5
	s_xor_b32 s0, s7, -1
.LBB1230_139:
	s_delay_alu instid0(SALU_CYCLE_1)
	s_and_b32 s0, s0, exec_lo
.LBB1230_140:
	s_or_b32 exec_lo, exec_lo, s3
	s_delay_alu instid0(VALU_DEP_2)
	v_perm_b32 v25, v25, v25, 0x3020104
	s_or_b32 s6, s6, exec_lo
.LBB1230_141:
	s_or_b32 exec_lo, exec_lo, s4
.LBB1230_142:
	s_and_saveexec_b32 s1, s6
	s_cbranch_execz .LBB1230_144
; %bb.143:
	s_wait_loadcnt_dscnt 0x0
	v_dual_lshrrev_b32 v22, 24, v25 :: v_dual_lshrrev_b32 v35, 16, v25
	v_lshrrev_b32_e32 v23, 8, v25
	v_cndmask_b32_e64 v24, 0, 1, s0
.LBB1230_144:
	s_or_b32 exec_lo, exec_lo, s1
	s_delay_alu instid0(SALU_CYCLE_1)
	s_and_not1_b32 vcc_lo, exec_lo, s33
	s_cbranch_vccnz .LBB1230_148
; %bb.145:
	s_wait_loadcnt_dscnt 0x0
	v_perm_b32 v23, v24, v23, 0xc0c0004
	v_perm_b32 v22, v35, v22, 0xc0c0004
	v_cmp_gt_u32_e32 vcc_lo, s31, v30
	v_dual_add_nc_u32 v24, 1, v30 :: v_dual_add_nc_u32 v26, 4, v30
	v_and_b32_e32 v34, 0xff, v34
	s_delay_alu instid0(VALU_DEP_4) | instskip(SKIP_1) | instid1(VALU_DEP_2)
	v_lshl_or_b32 v22, v22, 16, v23
	s_mov_b32 s0, exec_lo
	v_and_b32_e32 v25, 0xffff, v34
	s_delay_alu instid0(VALU_DEP_2) | instskip(SKIP_2) | instid1(VALU_DEP_3)
	v_cndmask_b32_e32 v23, 0, v22, vcc_lo
	v_cmp_gt_u32_e32 vcc_lo, s31, v24
	v_add_nc_u32_e32 v24, 2, v30
	v_and_b32_e32 v23, 0xff, v23
	s_delay_alu instid0(VALU_DEP_1) | instskip(NEXT) | instid1(VALU_DEP_3)
	v_cndmask_b32_e32 v23, v23, v22, vcc_lo
	v_cmp_gt_u32_e32 vcc_lo, s31, v24
	v_add_nc_u32_e32 v24, 3, v30
	s_delay_alu instid0(VALU_DEP_3) | instskip(NEXT) | instid1(VALU_DEP_1)
	v_and_b32_e32 v23, 0xffff, v23
	v_cndmask_b32_e32 v23, v23, v22, vcc_lo
	s_delay_alu instid0(VALU_DEP_3) | instskip(NEXT) | instid1(VALU_DEP_2)
	v_cmp_gt_u32_e32 vcc_lo, s31, v24
	v_and_b32_e32 v23, 0xffffff, v23
	s_delay_alu instid0(VALU_DEP_1) | instskip(NEXT) | instid1(VALU_DEP_1)
	v_cndmask_b32_e32 v24, v23, v22, vcc_lo
	v_lshrrev_b64 v[22:23], 24, v[24:25]
	v_dual_lshrrev_b32 v35, 16, v24 :: v_dual_lshrrev_b32 v23, 8, v24
	v_cmpx_le_u32_e64 s31, v26
; %bb.146:
	v_mov_b32_e32 v34, 0
; %bb.147:
	s_or_b32 exec_lo, exec_lo, s0
.LBB1230_148:
	s_delay_alu instid0(VALU_DEP_1)
	v_and_b32_e32 v25, 0xff, v24
	s_wait_loadcnt_dscnt 0x0
	v_and_b32_e32 v36, 0xff, v23
	v_and_b32_e32 v37, 0xff, v35
	v_mbcnt_lo_u32_b32 v39, -1, 0
	v_and_b32_e32 v38, 0xff, v22
	v_and_b32_e32 v26, 0xff, v34
	v_lshrrev_b32_e32 v40, 5, v0
	v_add3_u32 v27, v36, v25, v37
	v_and_b32_e32 v28, 15, v39
	s_and_b32 vcc_lo, exec_lo, s16
	s_mov_b32 s7, -1
	s_delay_alu instid0(VALU_DEP_2)
	v_add3_u32 v41, v27, v38, v26
	v_and_b32_e32 v26, 16, v39
	v_or_b32_e32 v27, 31, v0
	v_cmp_eq_u32_e64 s3, 0, v28
	v_cmp_lt_u32_e64 s5, 1, v28
	v_cmp_lt_u32_e64 s6, 3, v28
	;; [unrolled: 1-line block ×3, first 2 shown]
	v_cmp_eq_u32_e64 s1, 0, v26
	v_cmp_eq_u32_e64 s0, v0, v27
	s_barrier_signal -1
	s_barrier_wait -1
                                        ; implicit-def: $vgpr30
                                        ; implicit-def: $vgpr31
                                        ; implicit-def: $vgpr32
                                        ; implicit-def: $vgpr33
                                        ; implicit-def: $vgpr42
                                        ; implicit-def: $vgpr28
                                        ; implicit-def: $vgpr26
	s_cbranch_vccz .LBB1230_175
; %bb.149:
	v_mov_b32_dpp v26, v41 row_shr:1 row_mask:0xf bank_mask:0xf
	s_delay_alu instid0(VALU_DEP_1) | instskip(NEXT) | instid1(VALU_DEP_1)
	v_cndmask_b32_e64 v26, v26, 0, s3
	v_add_nc_u32_e32 v26, v26, v41
	s_delay_alu instid0(VALU_DEP_1) | instskip(NEXT) | instid1(VALU_DEP_1)
	v_mov_b32_dpp v27, v26 row_shr:2 row_mask:0xf bank_mask:0xf
	v_cndmask_b32_e64 v27, 0, v27, s5
	s_delay_alu instid0(VALU_DEP_1) | instskip(NEXT) | instid1(VALU_DEP_1)
	v_add_nc_u32_e32 v26, v26, v27
	v_mov_b32_dpp v27, v26 row_shr:4 row_mask:0xf bank_mask:0xf
	s_delay_alu instid0(VALU_DEP_1) | instskip(NEXT) | instid1(VALU_DEP_1)
	v_cndmask_b32_e64 v27, 0, v27, s6
	v_add_nc_u32_e32 v26, v26, v27
	s_delay_alu instid0(VALU_DEP_1) | instskip(NEXT) | instid1(VALU_DEP_1)
	v_mov_b32_dpp v27, v26 row_shr:8 row_mask:0xf bank_mask:0xf
	v_cndmask_b32_e64 v27, 0, v27, s4
	s_delay_alu instid0(VALU_DEP_1) | instskip(SKIP_3) | instid1(VALU_DEP_1)
	v_add_nc_u32_e32 v26, v26, v27
	ds_swizzle_b32 v27, v26 offset:swizzle(BROADCAST,32,15)
	s_wait_dscnt 0x0
	v_cndmask_b32_e64 v27, v27, 0, s1
	v_add_nc_u32_e32 v26, v26, v27
	s_and_saveexec_b32 s7, s0
; %bb.150:
	v_lshlrev_b32_e32 v27, 2, v40
	ds_store_b32 v27, v26
; %bb.151:
	s_or_b32 exec_lo, exec_lo, s7
	s_delay_alu instid0(SALU_CYCLE_1)
	s_mov_b32 s7, exec_lo
	s_wait_dscnt 0x0
	s_barrier_signal -1
	s_barrier_wait -1
	v_cmpx_gt_u32_e32 4, v0
	s_cbranch_execz .LBB1230_153
; %bb.152:
	v_dual_lshlrev_b32 v27, 2, v0 :: v_dual_bitop2_b32 v29, 3, v39 bitop3:0x40
	ds_load_b32 v28, v27
	v_cmp_ne_u32_e32 vcc_lo, 0, v29
	s_wait_dscnt 0x0
	v_mov_b32_dpp v30, v28 row_shr:1 row_mask:0xf bank_mask:0xf
	s_delay_alu instid0(VALU_DEP_1) | instskip(SKIP_1) | instid1(VALU_DEP_2)
	v_cndmask_b32_e32 v30, 0, v30, vcc_lo
	v_cmp_lt_u32_e32 vcc_lo, 1, v29
	v_add_nc_u32_e32 v28, v30, v28
	s_delay_alu instid0(VALU_DEP_1) | instskip(NEXT) | instid1(VALU_DEP_1)
	v_mov_b32_dpp v30, v28 row_shr:2 row_mask:0xf bank_mask:0xf
	v_cndmask_b32_e32 v29, 0, v30, vcc_lo
	s_delay_alu instid0(VALU_DEP_1)
	v_add_nc_u32_e32 v28, v28, v29
	ds_store_b32 v27, v28
.LBB1230_153:
	s_or_b32 exec_lo, exec_lo, s7
	s_delay_alu instid0(SALU_CYCLE_1)
	s_mov_b32 s8, exec_lo
	v_cmp_gt_u32_e32 vcc_lo, 32, v0
	s_wait_dscnt 0x0
	s_barrier_signal -1
	s_barrier_wait -1
                                        ; implicit-def: $vgpr42
	v_cmpx_lt_u32_e32 31, v0
	s_cbranch_execz .LBB1230_155
; %bb.154:
	v_lshl_add_u32 v27, v40, 2, -4
	ds_load_b32 v42, v27
	s_wait_dscnt 0x0
	v_add_nc_u32_e32 v26, v42, v26
.LBB1230_155:
	s_or_b32 exec_lo, exec_lo, s8
	v_sub_co_u32 v27, s7, v39, 1
	s_delay_alu instid0(VALU_DEP_1) | instskip(NEXT) | instid1(VALU_DEP_1)
	v_cmp_gt_i32_e64 s8, 0, v27
	v_cndmask_b32_e64 v27, v27, v39, s8
	s_delay_alu instid0(VALU_DEP_1)
	v_lshlrev_b32_e32 v27, 2, v27
	ds_bpermute_b32 v43, v27, v26
	s_and_saveexec_b32 s8, vcc_lo
	s_cbranch_execz .LBB1230_174
; %bb.156:
	v_mov_b32_e32 v33, 0
	ds_load_b32 v26, v33 offset:12
	s_and_saveexec_b32 s9, s7
	s_cbranch_execz .LBB1230_158
; %bb.157:
	s_add_co_i32 s16, s30, 32
	s_delay_alu instid0(SALU_CYCLE_1)
	v_dual_mov_b32 v27, 1 :: v_dual_mov_b32 v28, s16
	s_wait_dscnt 0x0
	global_store_b64 v28, v[26:27], s[10:11] scale_offset scope:SCOPE_DEV
.LBB1230_158:
	s_wait_xcnt 0x0
	s_or_b32 exec_lo, exec_lo, s9
	v_xad_u32 v28, v39, -1, s30
	s_mov_b32 s16, 0
	s_mov_b32 s9, exec_lo
	s_delay_alu instid0(VALU_DEP_1) | instskip(SKIP_4) | instid1(VALU_DEP_1)
	v_add_nc_u32_e32 v32, 32, v28
	global_load_b64 v[30:31], v32, s[10:11] scale_offset scope:SCOPE_DEV
	s_wait_loadcnt 0x0
	v_and_b32_e32 v27, 0xff, v31
	s_wait_xcnt 0x0
	v_cmpx_eq_u16_e32 0, v27
	s_cbranch_execz .LBB1230_162
; %bb.159:
	v_lshl_add_u64 v[32:33], v[32:33], 3, s[10:11]
.LBB1230_160:                           ; =>This Inner Loop Header: Depth=1
	global_load_b64 v[30:31], v[32:33], off scope:SCOPE_DEV
	s_wait_loadcnt 0x0
	v_and_b32_e32 v27, 0xff, v31
	s_delay_alu instid0(VALU_DEP_1)
	v_cmp_ne_u16_e32 vcc_lo, 0, v27
	s_or_b32 s16, vcc_lo, s16
	s_wait_xcnt 0x0
	s_and_not1_b32 exec_lo, exec_lo, s16
	s_cbranch_execnz .LBB1230_160
; %bb.161:
	s_or_b32 exec_lo, exec_lo, s16
.LBB1230_162:
	s_delay_alu instid0(SALU_CYCLE_1)
	s_or_b32 exec_lo, exec_lo, s9
	v_cmp_ne_u32_e32 vcc_lo, 31, v39
	v_lshlrev_b32_e64 v45, v39, -1
	v_lshl_or_b32 v52, v39, 2, 64
	v_dual_add_nc_u32 v47, 2, v39 :: v_dual_add_nc_u32 v49, 4, v39
	v_add_co_ci_u32_e64 v27, null, 0, v39, vcc_lo
	v_dual_add_nc_u32 v51, 8, v39 :: v_dual_add_nc_u32 v53, 16, v39
	s_delay_alu instid0(VALU_DEP_2)
	v_lshlrev_b32_e32 v44, 2, v27
	v_and_b32_e32 v27, 0xff, v31
	ds_bpermute_b32 v29, v44, v30
	v_cmp_eq_u16_e32 vcc_lo, 2, v27
	v_and_or_b32 v27, vcc_lo, v45, 0x80000000
	v_cmp_gt_u32_e32 vcc_lo, 30, v39
	s_delay_alu instid0(VALU_DEP_2) | instskip(SKIP_1) | instid1(VALU_DEP_2)
	v_ctz_i32_b32_e32 v27, v27
	v_cndmask_b32_e64 v32, 0, 2, vcc_lo
	v_cmp_lt_u32_e32 vcc_lo, v39, v27
	s_delay_alu instid0(VALU_DEP_2) | instskip(SKIP_3) | instid1(VALU_DEP_2)
	v_add_lshl_u32 v46, v32, v39, 2
	s_wait_dscnt 0x0
	v_cndmask_b32_e32 v29, 0, v29, vcc_lo
	v_cmp_gt_u32_e32 vcc_lo, 28, v39
	v_add_nc_u32_e32 v29, v29, v30
	v_cndmask_b32_e64 v32, 0, 4, vcc_lo
	v_cmp_le_u32_e32 vcc_lo, v47, v27
	ds_bpermute_b32 v30, v46, v29
	v_add_lshl_u32 v48, v32, v39, 2
	s_wait_dscnt 0x0
	v_cndmask_b32_e32 v30, 0, v30, vcc_lo
	v_cmp_gt_u32_e32 vcc_lo, 24, v39
	v_cndmask_b32_e64 v32, 0, 8, vcc_lo
	v_cmp_le_u32_e32 vcc_lo, v49, v27
	s_delay_alu instid0(VALU_DEP_4) | instskip(NEXT) | instid1(VALU_DEP_3)
	v_add_nc_u32_e32 v29, v29, v30
	v_add_lshl_u32 v50, v32, v39, 2
	ds_bpermute_b32 v30, v48, v29
	s_wait_dscnt 0x0
	v_cndmask_b32_e32 v30, 0, v30, vcc_lo
	v_cmp_le_u32_e32 vcc_lo, v51, v27
	s_delay_alu instid0(VALU_DEP_2) | instskip(SKIP_4) | instid1(VALU_DEP_2)
	v_add_nc_u32_e32 v29, v29, v30
	ds_bpermute_b32 v30, v50, v29
	s_wait_dscnt 0x0
	v_cndmask_b32_e32 v30, 0, v30, vcc_lo
	v_cmp_le_u32_e32 vcc_lo, v53, v27
	v_add_nc_u32_e32 v29, v29, v30
	ds_bpermute_b32 v30, v52, v29
	s_wait_dscnt 0x0
	v_cndmask_b32_e32 v27, 0, v30, vcc_lo
	s_delay_alu instid0(VALU_DEP_1)
	v_dual_mov_b32 v29, 0 :: v_dual_add_nc_u32 v30, v29, v27
	s_branch .LBB1230_165
.LBB1230_163:                           ;   in Loop: Header=BB1230_165 Depth=1
	s_or_b32 exec_lo, exec_lo, s9
	v_and_b32_e32 v32, 0xff, v31
	ds_bpermute_b32 v33, v44, v30
	v_subrev_nc_u32_e32 v28, 32, v28
	s_mov_b32 s9, 0
	v_cmp_eq_u16_e32 vcc_lo, 2, v32
	v_and_or_b32 v32, vcc_lo, v45, 0x80000000
	s_delay_alu instid0(VALU_DEP_1) | instskip(NEXT) | instid1(VALU_DEP_1)
	v_ctz_i32_b32_e32 v32, v32
	v_cmp_lt_u32_e32 vcc_lo, v39, v32
	s_wait_dscnt 0x0
	v_cndmask_b32_e32 v33, 0, v33, vcc_lo
	v_cmp_le_u32_e32 vcc_lo, v47, v32
	s_delay_alu instid0(VALU_DEP_2) | instskip(SKIP_4) | instid1(VALU_DEP_2)
	v_add_nc_u32_e32 v30, v33, v30
	ds_bpermute_b32 v33, v46, v30
	s_wait_dscnt 0x0
	v_cndmask_b32_e32 v33, 0, v33, vcc_lo
	v_cmp_le_u32_e32 vcc_lo, v49, v32
	v_add_nc_u32_e32 v30, v30, v33
	ds_bpermute_b32 v33, v48, v30
	s_wait_dscnt 0x0
	v_cndmask_b32_e32 v33, 0, v33, vcc_lo
	v_cmp_le_u32_e32 vcc_lo, v51, v32
	s_delay_alu instid0(VALU_DEP_2) | instskip(SKIP_4) | instid1(VALU_DEP_2)
	v_add_nc_u32_e32 v30, v30, v33
	ds_bpermute_b32 v33, v50, v30
	s_wait_dscnt 0x0
	v_cndmask_b32_e32 v33, 0, v33, vcc_lo
	v_cmp_le_u32_e32 vcc_lo, v53, v32
	v_add_nc_u32_e32 v30, v30, v33
	ds_bpermute_b32 v33, v52, v30
	s_wait_dscnt 0x0
	v_cndmask_b32_e32 v32, 0, v33, vcc_lo
	s_delay_alu instid0(VALU_DEP_1)
	v_add3_u32 v30, v32, v27, v30
.LBB1230_164:                           ;   in Loop: Header=BB1230_165 Depth=1
	s_and_b32 vcc_lo, exec_lo, s9
	s_cbranch_vccnz .LBB1230_170
.LBB1230_165:                           ; =>This Loop Header: Depth=1
                                        ;     Child Loop BB1230_168 Depth 2
	v_and_b32_e32 v27, 0xff, v31
	s_mov_b32 s9, -1
                                        ; implicit-def: $vgpr31
	s_delay_alu instid0(VALU_DEP_1)
	v_cmp_ne_u16_e32 vcc_lo, 2, v27
	v_mov_b32_e32 v27, v30
                                        ; implicit-def: $vgpr30
	s_cmp_lg_u32 vcc_lo, exec_lo
	s_cbranch_scc1 .LBB1230_164
; %bb.166:                              ;   in Loop: Header=BB1230_165 Depth=1
	global_load_b64 v[30:31], v28, s[10:11] scale_offset scope:SCOPE_DEV
	s_mov_b32 s9, exec_lo
	s_wait_loadcnt 0x0
	v_and_b32_e32 v32, 0xff, v31
	s_wait_xcnt 0x0
	s_delay_alu instid0(VALU_DEP_1)
	v_cmpx_eq_u16_e32 0, v32
	s_cbranch_execz .LBB1230_163
; %bb.167:                              ;   in Loop: Header=BB1230_165 Depth=1
	v_lshl_add_u64 v[32:33], v[28:29], 3, s[10:11]
	s_mov_b32 s16, 0
.LBB1230_168:                           ;   Parent Loop BB1230_165 Depth=1
                                        ; =>  This Inner Loop Header: Depth=2
	global_load_b64 v[30:31], v[32:33], off scope:SCOPE_DEV
	s_wait_loadcnt 0x0
	v_and_b32_e32 v54, 0xff, v31
	s_delay_alu instid0(VALU_DEP_1)
	v_cmp_ne_u16_e32 vcc_lo, 0, v54
	s_or_b32 s16, vcc_lo, s16
	s_wait_xcnt 0x0
	s_and_not1_b32 exec_lo, exec_lo, s16
	s_cbranch_execnz .LBB1230_168
; %bb.169:                              ;   in Loop: Header=BB1230_165 Depth=1
	s_or_b32 exec_lo, exec_lo, s16
	s_branch .LBB1230_163
.LBB1230_170:
	s_and_saveexec_b32 s9, s7
	s_cbranch_execz .LBB1230_172
; %bb.171:
	s_add_co_i32 s16, s30, 32
	v_dual_mov_b32 v29, 2 :: v_dual_add_nc_u32 v28, v27, v26
	v_dual_mov_b32 v30, s16 :: v_dual_mov_b32 v31, 0
	global_store_b64 v30, v[28:29], s[10:11] scale_offset scope:SCOPE_DEV
	ds_store_b64 v31, v[26:27] offset:5120
.LBB1230_172:
	s_wait_xcnt 0x0
	s_or_b32 exec_lo, exec_lo, s9
	s_delay_alu instid0(SALU_CYCLE_1)
	s_and_b32 exec_lo, exec_lo, s2
; %bb.173:
	v_mov_b32_e32 v26, 0
	ds_store_b32 v26, v27 offset:12
.LBB1230_174:
	s_or_b32 exec_lo, exec_lo, s8
	s_wait_dscnt 0x0
	v_dual_mov_b32 v26, 0 :: v_dual_cndmask_b32 v28, v43, v42, s7
	s_wait_storecnt 0x0
	s_barrier_signal -1
	s_barrier_wait -1
	ds_load_b32 v27, v26 offset:12
	v_cndmask_b32_e64 v28, v28, 0, s2
	s_wait_dscnt 0x0
	s_barrier_signal -1
	s_barrier_wait -1
	s_mov_b32 s7, 0
	v_add_nc_u32_e32 v42, v27, v28
	ds_load_b64 v[26:27], v26 offset:5120
	v_add_nc_u32_e32 v33, v42, v25
	s_wait_dscnt 0x0
	s_delay_alu instid0(VALU_DEP_1) | instskip(NEXT) | instid1(VALU_DEP_1)
	v_dual_add_nc_u32 v32, v33, v36 :: v_dual_mov_b32 v28, v27
	v_add_nc_u32_e32 v31, v32, v37
	s_delay_alu instid0(VALU_DEP_1)
	v_add_nc_u32_e32 v30, v31, v38
.LBB1230_175:
	s_and_b32 vcc_lo, exec_lo, s7
	s_cbranch_vccz .LBB1230_185
; %bb.176:
	v_mov_b32_dpp v26, v41 row_shr:1 row_mask:0xf bank_mask:0xf
	s_delay_alu instid0(VALU_DEP_1) | instskip(NEXT) | instid1(VALU_DEP_1)
	v_cndmask_b32_e64 v26, v26, 0, s3
	v_add_nc_u32_e32 v26, v26, v41
	s_delay_alu instid0(VALU_DEP_1) | instskip(NEXT) | instid1(VALU_DEP_1)
	v_mov_b32_dpp v27, v26 row_shr:2 row_mask:0xf bank_mask:0xf
	v_cndmask_b32_e64 v27, 0, v27, s5
	s_delay_alu instid0(VALU_DEP_1) | instskip(NEXT) | instid1(VALU_DEP_1)
	v_add_nc_u32_e32 v26, v26, v27
	v_mov_b32_dpp v27, v26 row_shr:4 row_mask:0xf bank_mask:0xf
	s_delay_alu instid0(VALU_DEP_1) | instskip(NEXT) | instid1(VALU_DEP_1)
	v_cndmask_b32_e64 v27, 0, v27, s6
	v_add_nc_u32_e32 v26, v26, v27
	s_delay_alu instid0(VALU_DEP_1) | instskip(NEXT) | instid1(VALU_DEP_1)
	v_mov_b32_dpp v27, v26 row_shr:8 row_mask:0xf bank_mask:0xf
	v_cndmask_b32_e64 v27, 0, v27, s4
	s_delay_alu instid0(VALU_DEP_1) | instskip(SKIP_3) | instid1(VALU_DEP_1)
	v_add_nc_u32_e32 v26, v26, v27
	ds_swizzle_b32 v27, v26 offset:swizzle(BROADCAST,32,15)
	s_wait_dscnt 0x0
	v_cndmask_b32_e64 v27, v27, 0, s1
	v_add_nc_u32_e32 v26, v26, v27
	s_and_saveexec_b32 s1, s0
; %bb.177:
	v_lshlrev_b32_e32 v27, 2, v40
	ds_store_b32 v27, v26
; %bb.178:
	s_or_b32 exec_lo, exec_lo, s1
	s_delay_alu instid0(SALU_CYCLE_1)
	s_mov_b32 s0, exec_lo
	s_wait_dscnt 0x0
	s_barrier_signal -1
	s_barrier_wait -1
	v_cmpx_gt_u32_e32 4, v0
	s_cbranch_execz .LBB1230_180
; %bb.179:
	v_dual_lshlrev_b32 v27, 2, v0 :: v_dual_bitop2_b32 v29, 3, v39 bitop3:0x40
	ds_load_b32 v28, v27
	v_cmp_ne_u32_e32 vcc_lo, 0, v29
	s_wait_dscnt 0x0
	v_mov_b32_dpp v30, v28 row_shr:1 row_mask:0xf bank_mask:0xf
	s_delay_alu instid0(VALU_DEP_1) | instskip(SKIP_1) | instid1(VALU_DEP_2)
	v_cndmask_b32_e32 v30, 0, v30, vcc_lo
	v_cmp_lt_u32_e32 vcc_lo, 1, v29
	v_add_nc_u32_e32 v28, v30, v28
	s_delay_alu instid0(VALU_DEP_1) | instskip(NEXT) | instid1(VALU_DEP_1)
	v_mov_b32_dpp v30, v28 row_shr:2 row_mask:0xf bank_mask:0xf
	v_cndmask_b32_e32 v29, 0, v30, vcc_lo
	s_delay_alu instid0(VALU_DEP_1)
	v_add_nc_u32_e32 v28, v28, v29
	ds_store_b32 v27, v28
.LBB1230_180:
	s_or_b32 exec_lo, exec_lo, s0
	v_dual_mov_b32 v27, 0 :: v_dual_mov_b32 v28, 0
	s_mov_b32 s0, exec_lo
	s_wait_dscnt 0x0
	s_barrier_signal -1
	s_barrier_wait -1
	v_cmpx_lt_u32_e32 31, v0
; %bb.181:
	v_lshl_add_u32 v28, v40, 2, -4
	ds_load_b32 v28, v28
; %bb.182:
	s_or_b32 exec_lo, exec_lo, s0
	v_sub_co_u32 v29, vcc_lo, v39, 1
	s_wait_dscnt 0x0
	v_add_nc_u32_e32 v26, v28, v26
	s_delay_alu instid0(VALU_DEP_2) | instskip(NEXT) | instid1(VALU_DEP_1)
	v_cmp_gt_i32_e64 s0, 0, v29
	v_cndmask_b32_e64 v29, v29, v39, s0
	s_delay_alu instid0(VALU_DEP_1)
	v_lshlrev_b32_e32 v29, 2, v29
	ds_bpermute_b32 v29, v29, v26
	ds_load_b32 v26, v27 offset:12
	s_and_saveexec_b32 s0, s2
	s_cbranch_execz .LBB1230_184
; %bb.183:
	v_dual_mov_b32 v30, 0 :: v_dual_mov_b32 v27, 2
	s_wait_dscnt 0x0
	global_store_b64 v30, v[26:27], s[10:11] offset:256 scope:SCOPE_DEV
.LBB1230_184:
	s_wait_xcnt 0x0
	s_or_b32 exec_lo, exec_lo, s0
	s_wait_dscnt 0x1
	v_cndmask_b32_e32 v27, v29, v28, vcc_lo
	s_wait_storecnt_dscnt 0x0
	s_barrier_signal -1
	s_barrier_wait -1
	s_delay_alu instid0(VALU_DEP_1) | instskip(NEXT) | instid1(VALU_DEP_1)
	v_cndmask_b32_e64 v42, v27, 0, s2
	v_dual_mov_b32 v28, 0 :: v_dual_add_nc_u32 v33, v42, v25
	s_delay_alu instid0(VALU_DEP_1) | instskip(NEXT) | instid1(VALU_DEP_1)
	v_add_nc_u32_e32 v32, v33, v36
	v_add_nc_u32_e32 v31, v32, v37
	s_delay_alu instid0(VALU_DEP_1)
	v_add_nc_u32_e32 v30, v31, v38
.LBB1230_185:
	s_delay_alu instid0(VALU_DEP_4)
	v_dual_add_nc_u32 v25, v28, v26 :: v_dual_bitop2_b32 v24, 1, v24 bitop3:0x40
	v_cmp_gt_u32_e64 s0, 0x81, v26
	s_mov_b32 s4, -1
	v_cmp_lt_u32_e64 s1, v42, v25
	v_cmp_eq_u32_e64 s3, 1, v24
	s_and_b32 vcc_lo, exec_lo, s0
	s_cbranch_vccz .LBB1230_197
; %bb.186:
	s_or_b32 s1, s29, s1
	s_delay_alu instid0(SALU_CYCLE_1) | instskip(NEXT) | instid1(SALU_CYCLE_1)
	s_and_b32 s3, s1, s3
	s_and_saveexec_b32 s1, s3
	s_cbranch_execz .LBB1230_188
; %bb.187:
	s_lshl_b64 s[4:5], s[14:15], 3
	s_delay_alu instid0(SALU_CYCLE_1)
	s_add_nc_u64 s[4:5], s[20:21], s[4:5]
	global_store_b64 v42, v[14:15], s[4:5] scale_offset
.LBB1230_188:
	s_wait_xcnt 0x0
	s_or_b32 exec_lo, exec_lo, s1
	v_and_b32_e32 v27, 1, v23
	v_cmp_lt_u32_e32 vcc_lo, v33, v25
	s_delay_alu instid0(VALU_DEP_2) | instskip(SKIP_1) | instid1(SALU_CYCLE_1)
	v_cmp_eq_u32_e64 s1, 1, v27
	s_or_b32 s3, s29, vcc_lo
	s_and_b32 s3, s3, s1
	s_delay_alu instid0(SALU_CYCLE_1)
	s_and_saveexec_b32 s1, s3
	s_cbranch_execz .LBB1230_190
; %bb.189:
	s_lshl_b64 s[4:5], s[14:15], 3
	s_delay_alu instid0(SALU_CYCLE_1)
	s_add_nc_u64 s[4:5], s[20:21], s[4:5]
	global_store_b64 v33, v[16:17], s[4:5] scale_offset
.LBB1230_190:
	s_wait_xcnt 0x0
	s_or_b32 exec_lo, exec_lo, s1
	v_and_b32_e32 v27, 1, v35
	v_cmp_lt_u32_e32 vcc_lo, v32, v25
	s_delay_alu instid0(VALU_DEP_2) | instskip(SKIP_1) | instid1(SALU_CYCLE_1)
	v_cmp_eq_u32_e64 s1, 1, v27
	s_or_b32 s3, s29, vcc_lo
	s_and_b32 s3, s3, s1
	s_delay_alu instid0(SALU_CYCLE_1)
	;; [unrolled: 17-line block ×4, first 2 shown]
	s_and_saveexec_b32 s1, s3
	s_cbranch_execz .LBB1230_196
; %bb.195:
	s_lshl_b64 s[4:5], s[14:15], 3
	s_delay_alu instid0(SALU_CYCLE_1)
	s_add_nc_u64 s[4:5], s[20:21], s[4:5]
	global_store_b64 v30, v[20:21], s[4:5] scale_offset
.LBB1230_196:
	s_wait_xcnt 0x0
	s_or_b32 exec_lo, exec_lo, s1
	s_mov_b32 s4, 0
.LBB1230_197:
	s_delay_alu instid0(SALU_CYCLE_1)
	s_and_b32 vcc_lo, exec_lo, s4
	s_cbranch_vccz .LBB1230_211
; %bb.198:
	s_mov_b32 s1, exec_lo
	v_cmpx_eq_u32_e32 1, v24
; %bb.199:
	v_sub_nc_u32_e32 v27, v42, v28
	s_delay_alu instid0(VALU_DEP_1)
	v_lshlrev_b32_e32 v27, 3, v27
	ds_store_b64 v27, v[14:15]
; %bb.200:
	s_or_b32 exec_lo, exec_lo, s1
	v_and_b32_e32 v14, 1, v23
	s_mov_b32 s1, exec_lo
	s_delay_alu instid0(VALU_DEP_1)
	v_cmpx_eq_u32_e32 1, v14
; %bb.201:
	v_sub_nc_u32_e32 v14, v33, v28
	s_delay_alu instid0(VALU_DEP_1)
	v_lshlrev_b32_e32 v14, 3, v14
	ds_store_b64 v14, v[16:17]
; %bb.202:
	s_or_b32 exec_lo, exec_lo, s1
	v_and_b32_e32 v14, 1, v35
	s_mov_b32 s1, exec_lo
	s_delay_alu instid0(VALU_DEP_1)
	;; [unrolled: 11-line block ×4, first 2 shown]
	v_cmpx_eq_u32_e32 1, v10
; %bb.207:
	v_sub_nc_u32_e32 v10, v30, v28
	s_delay_alu instid0(VALU_DEP_1)
	v_lshlrev_b32_e32 v10, 3, v10
	ds_store_b64 v10, v[20:21]
; %bb.208:
	s_or_b32 exec_lo, exec_lo, s1
	v_dual_mov_b32 v29, 0 :: v_dual_lshlrev_b32 v12, 3, v0
	s_lshl_b64 s[4:5], s[14:15], 3
	v_mov_b32_e32 v13, v0
	s_mov_b32 s1, 0
	s_delay_alu instid0(VALU_DEP_2) | instskip(SKIP_3) | instid1(VALU_DEP_1)
	v_lshlrev_b64_e32 v[10:11], 3, v[28:29]
	s_wait_storecnt_dscnt 0x0
	s_barrier_signal -1
	s_barrier_wait -1
	v_add_nc_u64_e32 v[10:11], s[20:21], v[10:11]
	s_delay_alu instid0(VALU_DEP_1)
	v_add_nc_u64_e32 v[10:11], s[4:5], v[10:11]
.LBB1230_209:                           ; =>This Inner Loop Header: Depth=1
	ds_load_b64 v[14:15], v12
	v_readfirstlane_b32 s4, v10
	v_readfirstlane_b32 s5, v11
	v_add_nc_u32_e32 v12, 0x400, v12
	s_wait_dscnt 0x0
	global_store_b64 v13, v[14:15], s[4:5] scale_offset
	s_wait_xcnt 0x0
	v_add_nc_u32_e32 v13, 0x80, v13
	s_delay_alu instid0(VALU_DEP_1) | instskip(SKIP_1) | instid1(SALU_CYCLE_1)
	v_cmp_ge_u32_e32 vcc_lo, v13, v26
	s_or_b32 s1, vcc_lo, s1
	s_and_not1_b32 exec_lo, exec_lo, s1
	s_cbranch_execnz .LBB1230_209
; %bb.210:
	s_or_b32 exec_lo, exec_lo, s1
.LBB1230_211:
	s_delay_alu instid0(SALU_CYCLE_1)
	s_and_b32 vcc_lo, exec_lo, s0
	s_mov_b32 s0, -1
	s_wait_storecnt 0x0
	s_barrier_signal -1
	s_barrier_wait -1
	s_cbranch_vccnz .LBB1230_215
; %bb.212:
	s_and_b32 vcc_lo, exec_lo, s0
	s_cbranch_vccnz .LBB1230_226
.LBB1230_213:
	s_and_b32 s0, s2, s28
	s_delay_alu instid0(SALU_CYCLE_1)
	s_and_saveexec_b32 s1, s0
	s_cbranch_execnz .LBB1230_239
.LBB1230_214:
	s_endpgm
.LBB1230_215:
	v_cmp_lt_u32_e32 vcc_lo, v42, v25
	v_cmp_eq_u32_e64 s0, 1, v24
	s_or_b32 s1, s29, vcc_lo
	s_delay_alu instid0(SALU_CYCLE_1) | instskip(NEXT) | instid1(SALU_CYCLE_1)
	s_and_b32 s1, s1, s0
	s_and_saveexec_b32 s0, s1
	s_cbranch_execz .LBB1230_217
; %bb.216:
	s_lshl_b64 s[4:5], s[14:15], 3
	s_delay_alu instid0(SALU_CYCLE_1)
	s_add_nc_u64 s[4:5], s[22:23], s[4:5]
	global_store_b64 v42, v[6:7], s[4:5] scale_offset
.LBB1230_217:
	s_wait_xcnt 0x0
	s_or_b32 exec_lo, exec_lo, s0
	v_and_b32_e32 v10, 1, v23
	v_cmp_lt_u32_e32 vcc_lo, v33, v25
	s_delay_alu instid0(VALU_DEP_2) | instskip(SKIP_1) | instid1(SALU_CYCLE_1)
	v_cmp_eq_u32_e64 s0, 1, v10
	s_or_b32 s1, s29, vcc_lo
	s_and_b32 s1, s1, s0
	s_delay_alu instid0(SALU_CYCLE_1)
	s_and_saveexec_b32 s0, s1
	s_cbranch_execz .LBB1230_219
; %bb.218:
	s_lshl_b64 s[4:5], s[14:15], 3
	s_delay_alu instid0(SALU_CYCLE_1)
	s_add_nc_u64 s[4:5], s[22:23], s[4:5]
	global_store_b64 v33, v[8:9], s[4:5] scale_offset
.LBB1230_219:
	s_wait_xcnt 0x0
	s_or_b32 exec_lo, exec_lo, s0
	v_and_b32_e32 v10, 1, v35
	v_cmp_lt_u32_e32 vcc_lo, v32, v25
	s_delay_alu instid0(VALU_DEP_2) | instskip(SKIP_1) | instid1(SALU_CYCLE_1)
	v_cmp_eq_u32_e64 s0, 1, v10
	s_or_b32 s1, s29, vcc_lo
	s_and_b32 s1, s1, s0
	s_delay_alu instid0(SALU_CYCLE_1)
	;; [unrolled: 17-line block ×4, first 2 shown]
	s_and_saveexec_b32 s0, s1
	s_cbranch_execz .LBB1230_225
; %bb.224:
	s_lshl_b64 s[4:5], s[14:15], 3
	s_delay_alu instid0(SALU_CYCLE_1)
	s_add_nc_u64 s[4:5], s[22:23], s[4:5]
	global_store_b64 v30, v[18:19], s[4:5] scale_offset
.LBB1230_225:
	s_wait_xcnt 0x0
	s_or_b32 exec_lo, exec_lo, s0
	s_branch .LBB1230_213
.LBB1230_226:
	s_mov_b32 s0, exec_lo
	v_cmpx_eq_u32_e32 1, v24
; %bb.227:
	v_sub_nc_u32_e32 v10, v42, v28
	s_delay_alu instid0(VALU_DEP_1)
	v_lshlrev_b32_e32 v10, 3, v10
	ds_store_b64 v10, v[6:7]
; %bb.228:
	s_or_b32 exec_lo, exec_lo, s0
	v_and_b32_e32 v6, 1, v23
	s_mov_b32 s0, exec_lo
	s_delay_alu instid0(VALU_DEP_1)
	v_cmpx_eq_u32_e32 1, v6
; %bb.229:
	v_sub_nc_u32_e32 v6, v33, v28
	s_delay_alu instid0(VALU_DEP_1)
	v_lshlrev_b32_e32 v6, 3, v6
	ds_store_b64 v6, v[8:9]
; %bb.230:
	s_or_b32 exec_lo, exec_lo, s0
	v_and_b32_e32 v6, 1, v35
	s_mov_b32 s0, exec_lo
	s_delay_alu instid0(VALU_DEP_1)
	;; [unrolled: 11-line block ×4, first 2 shown]
	v_cmpx_eq_u32_e32 1, v2
; %bb.235:
	v_sub_nc_u32_e32 v2, v30, v28
	s_delay_alu instid0(VALU_DEP_1)
	v_lshlrev_b32_e32 v2, 3, v2
	ds_store_b64 v2, v[18:19]
; %bb.236:
	s_or_b32 exec_lo, exec_lo, s0
	v_mov_b32_e32 v29, 0
	s_lshl_b64 s[0:1], s[14:15], 3
	s_wait_storecnt_dscnt 0x0
	s_barrier_signal -1
	s_barrier_wait -1
	v_lshlrev_b64_e32 v[2:3], 3, v[28:29]
	s_delay_alu instid0(VALU_DEP_1) | instskip(NEXT) | instid1(VALU_DEP_1)
	v_add_nc_u64_e32 v[2:3], s[22:23], v[2:3]
	v_add_nc_u64_e32 v[2:3], s[0:1], v[2:3]
	s_mov_b32 s0, 0
.LBB1230_237:                           ; =>This Inner Loop Header: Depth=1
	ds_load_b64 v[4:5], v1
	v_readfirstlane_b32 s4, v2
	v_readfirstlane_b32 s5, v3
	v_add_nc_u32_e32 v1, 0x400, v1
	s_wait_dscnt 0x0
	global_store_b64 v0, v[4:5], s[4:5] scale_offset
	s_wait_xcnt 0x0
	v_add_nc_u32_e32 v0, 0x80, v0
	s_delay_alu instid0(VALU_DEP_1) | instskip(SKIP_1) | instid1(SALU_CYCLE_1)
	v_cmp_ge_u32_e32 vcc_lo, v0, v26
	s_or_b32 s0, vcc_lo, s0
	s_and_not1_b32 exec_lo, exec_lo, s0
	s_cbranch_execnz .LBB1230_237
; %bb.238:
	s_or_b32 exec_lo, exec_lo, s0
	s_and_b32 s0, s2, s28
	s_delay_alu instid0(SALU_CYCLE_1)
	s_and_saveexec_b32 s1, s0
	s_cbranch_execz .LBB1230_214
.LBB1230_239:
	v_mov_b32_e32 v27, 0
	s_delay_alu instid0(VALU_DEP_1) | instskip(SKIP_1) | instid1(VALU_DEP_1)
	v_add_nc_u64_e32 v[0:1], s[14:15], v[26:27]
	v_mov_b32_e32 v29, v27
	v_add_nc_u64_e32 v[0:1], v[0:1], v[28:29]
	global_store_b64 v27, v[0:1], s[12:13]
	s_endpgm
	.section	.rodata,"a",@progbits
	.p2align	6, 0x0
	.amdhsa_kernel _ZN7rocprim17ROCPRIM_400000_NS6detail17trampoline_kernelINS0_14default_configENS1_25partition_config_selectorILNS1_17partition_subalgoE9EllbEEZZNS1_14partition_implILS5_9ELb0ES3_jPlS8_PNS0_10empty_typeENS0_5tupleIJS8_S9_EEENSB_IJS8_SA_EEENS0_18inequality_wrapperIZN2at6native12_GLOBAL__N_124unique_dim_cuda_templateIN3c108BFloat16EEESt5tupleIJNSF_6TensorESM_SM_EERKSM_lbbbEUlllE0_EEPmJS9_EEE10hipError_tPvRmT3_T4_T5_T6_T7_T9_mT8_P12ihipStream_tbDpT10_ENKUlT_T0_E_clISt17integral_constantIbLb0EES1B_IbLb1EEEEDaS17_S18_EUlS17_E_NS1_11comp_targetILNS1_3genE0ELNS1_11target_archE4294967295ELNS1_3gpuE0ELNS1_3repE0EEENS1_30default_config_static_selectorELNS0_4arch9wavefront6targetE0EEEvT1_
		.amdhsa_group_segment_fixed_size 5128
		.amdhsa_private_segment_fixed_size 0
		.amdhsa_kernarg_size 136
		.amdhsa_user_sgpr_count 2
		.amdhsa_user_sgpr_dispatch_ptr 0
		.amdhsa_user_sgpr_queue_ptr 0
		.amdhsa_user_sgpr_kernarg_segment_ptr 1
		.amdhsa_user_sgpr_dispatch_id 0
		.amdhsa_user_sgpr_kernarg_preload_length 0
		.amdhsa_user_sgpr_kernarg_preload_offset 0
		.amdhsa_user_sgpr_private_segment_size 0
		.amdhsa_wavefront_size32 1
		.amdhsa_uses_dynamic_stack 0
		.amdhsa_enable_private_segment 0
		.amdhsa_system_sgpr_workgroup_id_x 1
		.amdhsa_system_sgpr_workgroup_id_y 0
		.amdhsa_system_sgpr_workgroup_id_z 0
		.amdhsa_system_sgpr_workgroup_info 0
		.amdhsa_system_vgpr_workitem_id 0
		.amdhsa_next_free_vgpr 55
		.amdhsa_next_free_sgpr 36
		.amdhsa_named_barrier_count 0
		.amdhsa_reserve_vcc 1
		.amdhsa_float_round_mode_32 0
		.amdhsa_float_round_mode_16_64 0
		.amdhsa_float_denorm_mode_32 3
		.amdhsa_float_denorm_mode_16_64 3
		.amdhsa_fp16_overflow 0
		.amdhsa_memory_ordered 1
		.amdhsa_forward_progress 1
		.amdhsa_inst_pref_size 77
		.amdhsa_round_robin_scheduling 0
		.amdhsa_exception_fp_ieee_invalid_op 0
		.amdhsa_exception_fp_denorm_src 0
		.amdhsa_exception_fp_ieee_div_zero 0
		.amdhsa_exception_fp_ieee_overflow 0
		.amdhsa_exception_fp_ieee_underflow 0
		.amdhsa_exception_fp_ieee_inexact 0
		.amdhsa_exception_int_div_zero 0
	.end_amdhsa_kernel
	.section	.text._ZN7rocprim17ROCPRIM_400000_NS6detail17trampoline_kernelINS0_14default_configENS1_25partition_config_selectorILNS1_17partition_subalgoE9EllbEEZZNS1_14partition_implILS5_9ELb0ES3_jPlS8_PNS0_10empty_typeENS0_5tupleIJS8_S9_EEENSB_IJS8_SA_EEENS0_18inequality_wrapperIZN2at6native12_GLOBAL__N_124unique_dim_cuda_templateIN3c108BFloat16EEESt5tupleIJNSF_6TensorESM_SM_EERKSM_lbbbEUlllE0_EEPmJS9_EEE10hipError_tPvRmT3_T4_T5_T6_T7_T9_mT8_P12ihipStream_tbDpT10_ENKUlT_T0_E_clISt17integral_constantIbLb0EES1B_IbLb1EEEEDaS17_S18_EUlS17_E_NS1_11comp_targetILNS1_3genE0ELNS1_11target_archE4294967295ELNS1_3gpuE0ELNS1_3repE0EEENS1_30default_config_static_selectorELNS0_4arch9wavefront6targetE0EEEvT1_,"axG",@progbits,_ZN7rocprim17ROCPRIM_400000_NS6detail17trampoline_kernelINS0_14default_configENS1_25partition_config_selectorILNS1_17partition_subalgoE9EllbEEZZNS1_14partition_implILS5_9ELb0ES3_jPlS8_PNS0_10empty_typeENS0_5tupleIJS8_S9_EEENSB_IJS8_SA_EEENS0_18inequality_wrapperIZN2at6native12_GLOBAL__N_124unique_dim_cuda_templateIN3c108BFloat16EEESt5tupleIJNSF_6TensorESM_SM_EERKSM_lbbbEUlllE0_EEPmJS9_EEE10hipError_tPvRmT3_T4_T5_T6_T7_T9_mT8_P12ihipStream_tbDpT10_ENKUlT_T0_E_clISt17integral_constantIbLb0EES1B_IbLb1EEEEDaS17_S18_EUlS17_E_NS1_11comp_targetILNS1_3genE0ELNS1_11target_archE4294967295ELNS1_3gpuE0ELNS1_3repE0EEENS1_30default_config_static_selectorELNS0_4arch9wavefront6targetE0EEEvT1_,comdat
.Lfunc_end1230:
	.size	_ZN7rocprim17ROCPRIM_400000_NS6detail17trampoline_kernelINS0_14default_configENS1_25partition_config_selectorILNS1_17partition_subalgoE9EllbEEZZNS1_14partition_implILS5_9ELb0ES3_jPlS8_PNS0_10empty_typeENS0_5tupleIJS8_S9_EEENSB_IJS8_SA_EEENS0_18inequality_wrapperIZN2at6native12_GLOBAL__N_124unique_dim_cuda_templateIN3c108BFloat16EEESt5tupleIJNSF_6TensorESM_SM_EERKSM_lbbbEUlllE0_EEPmJS9_EEE10hipError_tPvRmT3_T4_T5_T6_T7_T9_mT8_P12ihipStream_tbDpT10_ENKUlT_T0_E_clISt17integral_constantIbLb0EES1B_IbLb1EEEEDaS17_S18_EUlS17_E_NS1_11comp_targetILNS1_3genE0ELNS1_11target_archE4294967295ELNS1_3gpuE0ELNS1_3repE0EEENS1_30default_config_static_selectorELNS0_4arch9wavefront6targetE0EEEvT1_, .Lfunc_end1230-_ZN7rocprim17ROCPRIM_400000_NS6detail17trampoline_kernelINS0_14default_configENS1_25partition_config_selectorILNS1_17partition_subalgoE9EllbEEZZNS1_14partition_implILS5_9ELb0ES3_jPlS8_PNS0_10empty_typeENS0_5tupleIJS8_S9_EEENSB_IJS8_SA_EEENS0_18inequality_wrapperIZN2at6native12_GLOBAL__N_124unique_dim_cuda_templateIN3c108BFloat16EEESt5tupleIJNSF_6TensorESM_SM_EERKSM_lbbbEUlllE0_EEPmJS9_EEE10hipError_tPvRmT3_T4_T5_T6_T7_T9_mT8_P12ihipStream_tbDpT10_ENKUlT_T0_E_clISt17integral_constantIbLb0EES1B_IbLb1EEEEDaS17_S18_EUlS17_E_NS1_11comp_targetILNS1_3genE0ELNS1_11target_archE4294967295ELNS1_3gpuE0ELNS1_3repE0EEENS1_30default_config_static_selectorELNS0_4arch9wavefront6targetE0EEEvT1_
                                        ; -- End function
	.set _ZN7rocprim17ROCPRIM_400000_NS6detail17trampoline_kernelINS0_14default_configENS1_25partition_config_selectorILNS1_17partition_subalgoE9EllbEEZZNS1_14partition_implILS5_9ELb0ES3_jPlS8_PNS0_10empty_typeENS0_5tupleIJS8_S9_EEENSB_IJS8_SA_EEENS0_18inequality_wrapperIZN2at6native12_GLOBAL__N_124unique_dim_cuda_templateIN3c108BFloat16EEESt5tupleIJNSF_6TensorESM_SM_EERKSM_lbbbEUlllE0_EEPmJS9_EEE10hipError_tPvRmT3_T4_T5_T6_T7_T9_mT8_P12ihipStream_tbDpT10_ENKUlT_T0_E_clISt17integral_constantIbLb0EES1B_IbLb1EEEEDaS17_S18_EUlS17_E_NS1_11comp_targetILNS1_3genE0ELNS1_11target_archE4294967295ELNS1_3gpuE0ELNS1_3repE0EEENS1_30default_config_static_selectorELNS0_4arch9wavefront6targetE0EEEvT1_.num_vgpr, 55
	.set _ZN7rocprim17ROCPRIM_400000_NS6detail17trampoline_kernelINS0_14default_configENS1_25partition_config_selectorILNS1_17partition_subalgoE9EllbEEZZNS1_14partition_implILS5_9ELb0ES3_jPlS8_PNS0_10empty_typeENS0_5tupleIJS8_S9_EEENSB_IJS8_SA_EEENS0_18inequality_wrapperIZN2at6native12_GLOBAL__N_124unique_dim_cuda_templateIN3c108BFloat16EEESt5tupleIJNSF_6TensorESM_SM_EERKSM_lbbbEUlllE0_EEPmJS9_EEE10hipError_tPvRmT3_T4_T5_T6_T7_T9_mT8_P12ihipStream_tbDpT10_ENKUlT_T0_E_clISt17integral_constantIbLb0EES1B_IbLb1EEEEDaS17_S18_EUlS17_E_NS1_11comp_targetILNS1_3genE0ELNS1_11target_archE4294967295ELNS1_3gpuE0ELNS1_3repE0EEENS1_30default_config_static_selectorELNS0_4arch9wavefront6targetE0EEEvT1_.num_agpr, 0
	.set _ZN7rocprim17ROCPRIM_400000_NS6detail17trampoline_kernelINS0_14default_configENS1_25partition_config_selectorILNS1_17partition_subalgoE9EllbEEZZNS1_14partition_implILS5_9ELb0ES3_jPlS8_PNS0_10empty_typeENS0_5tupleIJS8_S9_EEENSB_IJS8_SA_EEENS0_18inequality_wrapperIZN2at6native12_GLOBAL__N_124unique_dim_cuda_templateIN3c108BFloat16EEESt5tupleIJNSF_6TensorESM_SM_EERKSM_lbbbEUlllE0_EEPmJS9_EEE10hipError_tPvRmT3_T4_T5_T6_T7_T9_mT8_P12ihipStream_tbDpT10_ENKUlT_T0_E_clISt17integral_constantIbLb0EES1B_IbLb1EEEEDaS17_S18_EUlS17_E_NS1_11comp_targetILNS1_3genE0ELNS1_11target_archE4294967295ELNS1_3gpuE0ELNS1_3repE0EEENS1_30default_config_static_selectorELNS0_4arch9wavefront6targetE0EEEvT1_.numbered_sgpr, 36
	.set _ZN7rocprim17ROCPRIM_400000_NS6detail17trampoline_kernelINS0_14default_configENS1_25partition_config_selectorILNS1_17partition_subalgoE9EllbEEZZNS1_14partition_implILS5_9ELb0ES3_jPlS8_PNS0_10empty_typeENS0_5tupleIJS8_S9_EEENSB_IJS8_SA_EEENS0_18inequality_wrapperIZN2at6native12_GLOBAL__N_124unique_dim_cuda_templateIN3c108BFloat16EEESt5tupleIJNSF_6TensorESM_SM_EERKSM_lbbbEUlllE0_EEPmJS9_EEE10hipError_tPvRmT3_T4_T5_T6_T7_T9_mT8_P12ihipStream_tbDpT10_ENKUlT_T0_E_clISt17integral_constantIbLb0EES1B_IbLb1EEEEDaS17_S18_EUlS17_E_NS1_11comp_targetILNS1_3genE0ELNS1_11target_archE4294967295ELNS1_3gpuE0ELNS1_3repE0EEENS1_30default_config_static_selectorELNS0_4arch9wavefront6targetE0EEEvT1_.num_named_barrier, 0
	.set _ZN7rocprim17ROCPRIM_400000_NS6detail17trampoline_kernelINS0_14default_configENS1_25partition_config_selectorILNS1_17partition_subalgoE9EllbEEZZNS1_14partition_implILS5_9ELb0ES3_jPlS8_PNS0_10empty_typeENS0_5tupleIJS8_S9_EEENSB_IJS8_SA_EEENS0_18inequality_wrapperIZN2at6native12_GLOBAL__N_124unique_dim_cuda_templateIN3c108BFloat16EEESt5tupleIJNSF_6TensorESM_SM_EERKSM_lbbbEUlllE0_EEPmJS9_EEE10hipError_tPvRmT3_T4_T5_T6_T7_T9_mT8_P12ihipStream_tbDpT10_ENKUlT_T0_E_clISt17integral_constantIbLb0EES1B_IbLb1EEEEDaS17_S18_EUlS17_E_NS1_11comp_targetILNS1_3genE0ELNS1_11target_archE4294967295ELNS1_3gpuE0ELNS1_3repE0EEENS1_30default_config_static_selectorELNS0_4arch9wavefront6targetE0EEEvT1_.private_seg_size, 0
	.set _ZN7rocprim17ROCPRIM_400000_NS6detail17trampoline_kernelINS0_14default_configENS1_25partition_config_selectorILNS1_17partition_subalgoE9EllbEEZZNS1_14partition_implILS5_9ELb0ES3_jPlS8_PNS0_10empty_typeENS0_5tupleIJS8_S9_EEENSB_IJS8_SA_EEENS0_18inequality_wrapperIZN2at6native12_GLOBAL__N_124unique_dim_cuda_templateIN3c108BFloat16EEESt5tupleIJNSF_6TensorESM_SM_EERKSM_lbbbEUlllE0_EEPmJS9_EEE10hipError_tPvRmT3_T4_T5_T6_T7_T9_mT8_P12ihipStream_tbDpT10_ENKUlT_T0_E_clISt17integral_constantIbLb0EES1B_IbLb1EEEEDaS17_S18_EUlS17_E_NS1_11comp_targetILNS1_3genE0ELNS1_11target_archE4294967295ELNS1_3gpuE0ELNS1_3repE0EEENS1_30default_config_static_selectorELNS0_4arch9wavefront6targetE0EEEvT1_.uses_vcc, 1
	.set _ZN7rocprim17ROCPRIM_400000_NS6detail17trampoline_kernelINS0_14default_configENS1_25partition_config_selectorILNS1_17partition_subalgoE9EllbEEZZNS1_14partition_implILS5_9ELb0ES3_jPlS8_PNS0_10empty_typeENS0_5tupleIJS8_S9_EEENSB_IJS8_SA_EEENS0_18inequality_wrapperIZN2at6native12_GLOBAL__N_124unique_dim_cuda_templateIN3c108BFloat16EEESt5tupleIJNSF_6TensorESM_SM_EERKSM_lbbbEUlllE0_EEPmJS9_EEE10hipError_tPvRmT3_T4_T5_T6_T7_T9_mT8_P12ihipStream_tbDpT10_ENKUlT_T0_E_clISt17integral_constantIbLb0EES1B_IbLb1EEEEDaS17_S18_EUlS17_E_NS1_11comp_targetILNS1_3genE0ELNS1_11target_archE4294967295ELNS1_3gpuE0ELNS1_3repE0EEENS1_30default_config_static_selectorELNS0_4arch9wavefront6targetE0EEEvT1_.uses_flat_scratch, 0
	.set _ZN7rocprim17ROCPRIM_400000_NS6detail17trampoline_kernelINS0_14default_configENS1_25partition_config_selectorILNS1_17partition_subalgoE9EllbEEZZNS1_14partition_implILS5_9ELb0ES3_jPlS8_PNS0_10empty_typeENS0_5tupleIJS8_S9_EEENSB_IJS8_SA_EEENS0_18inequality_wrapperIZN2at6native12_GLOBAL__N_124unique_dim_cuda_templateIN3c108BFloat16EEESt5tupleIJNSF_6TensorESM_SM_EERKSM_lbbbEUlllE0_EEPmJS9_EEE10hipError_tPvRmT3_T4_T5_T6_T7_T9_mT8_P12ihipStream_tbDpT10_ENKUlT_T0_E_clISt17integral_constantIbLb0EES1B_IbLb1EEEEDaS17_S18_EUlS17_E_NS1_11comp_targetILNS1_3genE0ELNS1_11target_archE4294967295ELNS1_3gpuE0ELNS1_3repE0EEENS1_30default_config_static_selectorELNS0_4arch9wavefront6targetE0EEEvT1_.has_dyn_sized_stack, 0
	.set _ZN7rocprim17ROCPRIM_400000_NS6detail17trampoline_kernelINS0_14default_configENS1_25partition_config_selectorILNS1_17partition_subalgoE9EllbEEZZNS1_14partition_implILS5_9ELb0ES3_jPlS8_PNS0_10empty_typeENS0_5tupleIJS8_S9_EEENSB_IJS8_SA_EEENS0_18inequality_wrapperIZN2at6native12_GLOBAL__N_124unique_dim_cuda_templateIN3c108BFloat16EEESt5tupleIJNSF_6TensorESM_SM_EERKSM_lbbbEUlllE0_EEPmJS9_EEE10hipError_tPvRmT3_T4_T5_T6_T7_T9_mT8_P12ihipStream_tbDpT10_ENKUlT_T0_E_clISt17integral_constantIbLb0EES1B_IbLb1EEEEDaS17_S18_EUlS17_E_NS1_11comp_targetILNS1_3genE0ELNS1_11target_archE4294967295ELNS1_3gpuE0ELNS1_3repE0EEENS1_30default_config_static_selectorELNS0_4arch9wavefront6targetE0EEEvT1_.has_recursion, 0
	.set _ZN7rocprim17ROCPRIM_400000_NS6detail17trampoline_kernelINS0_14default_configENS1_25partition_config_selectorILNS1_17partition_subalgoE9EllbEEZZNS1_14partition_implILS5_9ELb0ES3_jPlS8_PNS0_10empty_typeENS0_5tupleIJS8_S9_EEENSB_IJS8_SA_EEENS0_18inequality_wrapperIZN2at6native12_GLOBAL__N_124unique_dim_cuda_templateIN3c108BFloat16EEESt5tupleIJNSF_6TensorESM_SM_EERKSM_lbbbEUlllE0_EEPmJS9_EEE10hipError_tPvRmT3_T4_T5_T6_T7_T9_mT8_P12ihipStream_tbDpT10_ENKUlT_T0_E_clISt17integral_constantIbLb0EES1B_IbLb1EEEEDaS17_S18_EUlS17_E_NS1_11comp_targetILNS1_3genE0ELNS1_11target_archE4294967295ELNS1_3gpuE0ELNS1_3repE0EEENS1_30default_config_static_selectorELNS0_4arch9wavefront6targetE0EEEvT1_.has_indirect_call, 0
	.section	.AMDGPU.csdata,"",@progbits
; Kernel info:
; codeLenInByte = 9780
; TotalNumSgprs: 38
; NumVgprs: 55
; ScratchSize: 0
; MemoryBound: 0
; FloatMode: 240
; IeeeMode: 1
; LDSByteSize: 5128 bytes/workgroup (compile time only)
; SGPRBlocks: 0
; VGPRBlocks: 3
; NumSGPRsForWavesPerEU: 38
; NumVGPRsForWavesPerEU: 55
; NamedBarCnt: 0
; Occupancy: 16
; WaveLimiterHint : 1
; COMPUTE_PGM_RSRC2:SCRATCH_EN: 0
; COMPUTE_PGM_RSRC2:USER_SGPR: 2
; COMPUTE_PGM_RSRC2:TRAP_HANDLER: 0
; COMPUTE_PGM_RSRC2:TGID_X_EN: 1
; COMPUTE_PGM_RSRC2:TGID_Y_EN: 0
; COMPUTE_PGM_RSRC2:TGID_Z_EN: 0
; COMPUTE_PGM_RSRC2:TIDIG_COMP_CNT: 0
	.section	.text._ZN7rocprim17ROCPRIM_400000_NS6detail17trampoline_kernelINS0_14default_configENS1_25partition_config_selectorILNS1_17partition_subalgoE9EllbEEZZNS1_14partition_implILS5_9ELb0ES3_jPlS8_PNS0_10empty_typeENS0_5tupleIJS8_S9_EEENSB_IJS8_SA_EEENS0_18inequality_wrapperIZN2at6native12_GLOBAL__N_124unique_dim_cuda_templateIN3c108BFloat16EEESt5tupleIJNSF_6TensorESM_SM_EERKSM_lbbbEUlllE0_EEPmJS9_EEE10hipError_tPvRmT3_T4_T5_T6_T7_T9_mT8_P12ihipStream_tbDpT10_ENKUlT_T0_E_clISt17integral_constantIbLb0EES1B_IbLb1EEEEDaS17_S18_EUlS17_E_NS1_11comp_targetILNS1_3genE5ELNS1_11target_archE942ELNS1_3gpuE9ELNS1_3repE0EEENS1_30default_config_static_selectorELNS0_4arch9wavefront6targetE0EEEvT1_,"axG",@progbits,_ZN7rocprim17ROCPRIM_400000_NS6detail17trampoline_kernelINS0_14default_configENS1_25partition_config_selectorILNS1_17partition_subalgoE9EllbEEZZNS1_14partition_implILS5_9ELb0ES3_jPlS8_PNS0_10empty_typeENS0_5tupleIJS8_S9_EEENSB_IJS8_SA_EEENS0_18inequality_wrapperIZN2at6native12_GLOBAL__N_124unique_dim_cuda_templateIN3c108BFloat16EEESt5tupleIJNSF_6TensorESM_SM_EERKSM_lbbbEUlllE0_EEPmJS9_EEE10hipError_tPvRmT3_T4_T5_T6_T7_T9_mT8_P12ihipStream_tbDpT10_ENKUlT_T0_E_clISt17integral_constantIbLb0EES1B_IbLb1EEEEDaS17_S18_EUlS17_E_NS1_11comp_targetILNS1_3genE5ELNS1_11target_archE942ELNS1_3gpuE9ELNS1_3repE0EEENS1_30default_config_static_selectorELNS0_4arch9wavefront6targetE0EEEvT1_,comdat
	.globl	_ZN7rocprim17ROCPRIM_400000_NS6detail17trampoline_kernelINS0_14default_configENS1_25partition_config_selectorILNS1_17partition_subalgoE9EllbEEZZNS1_14partition_implILS5_9ELb0ES3_jPlS8_PNS0_10empty_typeENS0_5tupleIJS8_S9_EEENSB_IJS8_SA_EEENS0_18inequality_wrapperIZN2at6native12_GLOBAL__N_124unique_dim_cuda_templateIN3c108BFloat16EEESt5tupleIJNSF_6TensorESM_SM_EERKSM_lbbbEUlllE0_EEPmJS9_EEE10hipError_tPvRmT3_T4_T5_T6_T7_T9_mT8_P12ihipStream_tbDpT10_ENKUlT_T0_E_clISt17integral_constantIbLb0EES1B_IbLb1EEEEDaS17_S18_EUlS17_E_NS1_11comp_targetILNS1_3genE5ELNS1_11target_archE942ELNS1_3gpuE9ELNS1_3repE0EEENS1_30default_config_static_selectorELNS0_4arch9wavefront6targetE0EEEvT1_ ; -- Begin function _ZN7rocprim17ROCPRIM_400000_NS6detail17trampoline_kernelINS0_14default_configENS1_25partition_config_selectorILNS1_17partition_subalgoE9EllbEEZZNS1_14partition_implILS5_9ELb0ES3_jPlS8_PNS0_10empty_typeENS0_5tupleIJS8_S9_EEENSB_IJS8_SA_EEENS0_18inequality_wrapperIZN2at6native12_GLOBAL__N_124unique_dim_cuda_templateIN3c108BFloat16EEESt5tupleIJNSF_6TensorESM_SM_EERKSM_lbbbEUlllE0_EEPmJS9_EEE10hipError_tPvRmT3_T4_T5_T6_T7_T9_mT8_P12ihipStream_tbDpT10_ENKUlT_T0_E_clISt17integral_constantIbLb0EES1B_IbLb1EEEEDaS17_S18_EUlS17_E_NS1_11comp_targetILNS1_3genE5ELNS1_11target_archE942ELNS1_3gpuE9ELNS1_3repE0EEENS1_30default_config_static_selectorELNS0_4arch9wavefront6targetE0EEEvT1_
	.p2align	8
	.type	_ZN7rocprim17ROCPRIM_400000_NS6detail17trampoline_kernelINS0_14default_configENS1_25partition_config_selectorILNS1_17partition_subalgoE9EllbEEZZNS1_14partition_implILS5_9ELb0ES3_jPlS8_PNS0_10empty_typeENS0_5tupleIJS8_S9_EEENSB_IJS8_SA_EEENS0_18inequality_wrapperIZN2at6native12_GLOBAL__N_124unique_dim_cuda_templateIN3c108BFloat16EEESt5tupleIJNSF_6TensorESM_SM_EERKSM_lbbbEUlllE0_EEPmJS9_EEE10hipError_tPvRmT3_T4_T5_T6_T7_T9_mT8_P12ihipStream_tbDpT10_ENKUlT_T0_E_clISt17integral_constantIbLb0EES1B_IbLb1EEEEDaS17_S18_EUlS17_E_NS1_11comp_targetILNS1_3genE5ELNS1_11target_archE942ELNS1_3gpuE9ELNS1_3repE0EEENS1_30default_config_static_selectorELNS0_4arch9wavefront6targetE0EEEvT1_,@function
_ZN7rocprim17ROCPRIM_400000_NS6detail17trampoline_kernelINS0_14default_configENS1_25partition_config_selectorILNS1_17partition_subalgoE9EllbEEZZNS1_14partition_implILS5_9ELb0ES3_jPlS8_PNS0_10empty_typeENS0_5tupleIJS8_S9_EEENSB_IJS8_SA_EEENS0_18inequality_wrapperIZN2at6native12_GLOBAL__N_124unique_dim_cuda_templateIN3c108BFloat16EEESt5tupleIJNSF_6TensorESM_SM_EERKSM_lbbbEUlllE0_EEPmJS9_EEE10hipError_tPvRmT3_T4_T5_T6_T7_T9_mT8_P12ihipStream_tbDpT10_ENKUlT_T0_E_clISt17integral_constantIbLb0EES1B_IbLb1EEEEDaS17_S18_EUlS17_E_NS1_11comp_targetILNS1_3genE5ELNS1_11target_archE942ELNS1_3gpuE9ELNS1_3repE0EEENS1_30default_config_static_selectorELNS0_4arch9wavefront6targetE0EEEvT1_: ; @_ZN7rocprim17ROCPRIM_400000_NS6detail17trampoline_kernelINS0_14default_configENS1_25partition_config_selectorILNS1_17partition_subalgoE9EllbEEZZNS1_14partition_implILS5_9ELb0ES3_jPlS8_PNS0_10empty_typeENS0_5tupleIJS8_S9_EEENSB_IJS8_SA_EEENS0_18inequality_wrapperIZN2at6native12_GLOBAL__N_124unique_dim_cuda_templateIN3c108BFloat16EEESt5tupleIJNSF_6TensorESM_SM_EERKSM_lbbbEUlllE0_EEPmJS9_EEE10hipError_tPvRmT3_T4_T5_T6_T7_T9_mT8_P12ihipStream_tbDpT10_ENKUlT_T0_E_clISt17integral_constantIbLb0EES1B_IbLb1EEEEDaS17_S18_EUlS17_E_NS1_11comp_targetILNS1_3genE5ELNS1_11target_archE942ELNS1_3gpuE9ELNS1_3repE0EEENS1_30default_config_static_selectorELNS0_4arch9wavefront6targetE0EEEvT1_
; %bb.0:
	.section	.rodata,"a",@progbits
	.p2align	6, 0x0
	.amdhsa_kernel _ZN7rocprim17ROCPRIM_400000_NS6detail17trampoline_kernelINS0_14default_configENS1_25partition_config_selectorILNS1_17partition_subalgoE9EllbEEZZNS1_14partition_implILS5_9ELb0ES3_jPlS8_PNS0_10empty_typeENS0_5tupleIJS8_S9_EEENSB_IJS8_SA_EEENS0_18inequality_wrapperIZN2at6native12_GLOBAL__N_124unique_dim_cuda_templateIN3c108BFloat16EEESt5tupleIJNSF_6TensorESM_SM_EERKSM_lbbbEUlllE0_EEPmJS9_EEE10hipError_tPvRmT3_T4_T5_T6_T7_T9_mT8_P12ihipStream_tbDpT10_ENKUlT_T0_E_clISt17integral_constantIbLb0EES1B_IbLb1EEEEDaS17_S18_EUlS17_E_NS1_11comp_targetILNS1_3genE5ELNS1_11target_archE942ELNS1_3gpuE9ELNS1_3repE0EEENS1_30default_config_static_selectorELNS0_4arch9wavefront6targetE0EEEvT1_
		.amdhsa_group_segment_fixed_size 0
		.amdhsa_private_segment_fixed_size 0
		.amdhsa_kernarg_size 136
		.amdhsa_user_sgpr_count 2
		.amdhsa_user_sgpr_dispatch_ptr 0
		.amdhsa_user_sgpr_queue_ptr 0
		.amdhsa_user_sgpr_kernarg_segment_ptr 1
		.amdhsa_user_sgpr_dispatch_id 0
		.amdhsa_user_sgpr_kernarg_preload_length 0
		.amdhsa_user_sgpr_kernarg_preload_offset 0
		.amdhsa_user_sgpr_private_segment_size 0
		.amdhsa_wavefront_size32 1
		.amdhsa_uses_dynamic_stack 0
		.amdhsa_enable_private_segment 0
		.amdhsa_system_sgpr_workgroup_id_x 1
		.amdhsa_system_sgpr_workgroup_id_y 0
		.amdhsa_system_sgpr_workgroup_id_z 0
		.amdhsa_system_sgpr_workgroup_info 0
		.amdhsa_system_vgpr_workitem_id 0
		.amdhsa_next_free_vgpr 1
		.amdhsa_next_free_sgpr 1
		.amdhsa_named_barrier_count 0
		.amdhsa_reserve_vcc 0
		.amdhsa_float_round_mode_32 0
		.amdhsa_float_round_mode_16_64 0
		.amdhsa_float_denorm_mode_32 3
		.amdhsa_float_denorm_mode_16_64 3
		.amdhsa_fp16_overflow 0
		.amdhsa_memory_ordered 1
		.amdhsa_forward_progress 1
		.amdhsa_inst_pref_size 0
		.amdhsa_round_robin_scheduling 0
		.amdhsa_exception_fp_ieee_invalid_op 0
		.amdhsa_exception_fp_denorm_src 0
		.amdhsa_exception_fp_ieee_div_zero 0
		.amdhsa_exception_fp_ieee_overflow 0
		.amdhsa_exception_fp_ieee_underflow 0
		.amdhsa_exception_fp_ieee_inexact 0
		.amdhsa_exception_int_div_zero 0
	.end_amdhsa_kernel
	.section	.text._ZN7rocprim17ROCPRIM_400000_NS6detail17trampoline_kernelINS0_14default_configENS1_25partition_config_selectorILNS1_17partition_subalgoE9EllbEEZZNS1_14partition_implILS5_9ELb0ES3_jPlS8_PNS0_10empty_typeENS0_5tupleIJS8_S9_EEENSB_IJS8_SA_EEENS0_18inequality_wrapperIZN2at6native12_GLOBAL__N_124unique_dim_cuda_templateIN3c108BFloat16EEESt5tupleIJNSF_6TensorESM_SM_EERKSM_lbbbEUlllE0_EEPmJS9_EEE10hipError_tPvRmT3_T4_T5_T6_T7_T9_mT8_P12ihipStream_tbDpT10_ENKUlT_T0_E_clISt17integral_constantIbLb0EES1B_IbLb1EEEEDaS17_S18_EUlS17_E_NS1_11comp_targetILNS1_3genE5ELNS1_11target_archE942ELNS1_3gpuE9ELNS1_3repE0EEENS1_30default_config_static_selectorELNS0_4arch9wavefront6targetE0EEEvT1_,"axG",@progbits,_ZN7rocprim17ROCPRIM_400000_NS6detail17trampoline_kernelINS0_14default_configENS1_25partition_config_selectorILNS1_17partition_subalgoE9EllbEEZZNS1_14partition_implILS5_9ELb0ES3_jPlS8_PNS0_10empty_typeENS0_5tupleIJS8_S9_EEENSB_IJS8_SA_EEENS0_18inequality_wrapperIZN2at6native12_GLOBAL__N_124unique_dim_cuda_templateIN3c108BFloat16EEESt5tupleIJNSF_6TensorESM_SM_EERKSM_lbbbEUlllE0_EEPmJS9_EEE10hipError_tPvRmT3_T4_T5_T6_T7_T9_mT8_P12ihipStream_tbDpT10_ENKUlT_T0_E_clISt17integral_constantIbLb0EES1B_IbLb1EEEEDaS17_S18_EUlS17_E_NS1_11comp_targetILNS1_3genE5ELNS1_11target_archE942ELNS1_3gpuE9ELNS1_3repE0EEENS1_30default_config_static_selectorELNS0_4arch9wavefront6targetE0EEEvT1_,comdat
.Lfunc_end1231:
	.size	_ZN7rocprim17ROCPRIM_400000_NS6detail17trampoline_kernelINS0_14default_configENS1_25partition_config_selectorILNS1_17partition_subalgoE9EllbEEZZNS1_14partition_implILS5_9ELb0ES3_jPlS8_PNS0_10empty_typeENS0_5tupleIJS8_S9_EEENSB_IJS8_SA_EEENS0_18inequality_wrapperIZN2at6native12_GLOBAL__N_124unique_dim_cuda_templateIN3c108BFloat16EEESt5tupleIJNSF_6TensorESM_SM_EERKSM_lbbbEUlllE0_EEPmJS9_EEE10hipError_tPvRmT3_T4_T5_T6_T7_T9_mT8_P12ihipStream_tbDpT10_ENKUlT_T0_E_clISt17integral_constantIbLb0EES1B_IbLb1EEEEDaS17_S18_EUlS17_E_NS1_11comp_targetILNS1_3genE5ELNS1_11target_archE942ELNS1_3gpuE9ELNS1_3repE0EEENS1_30default_config_static_selectorELNS0_4arch9wavefront6targetE0EEEvT1_, .Lfunc_end1231-_ZN7rocprim17ROCPRIM_400000_NS6detail17trampoline_kernelINS0_14default_configENS1_25partition_config_selectorILNS1_17partition_subalgoE9EllbEEZZNS1_14partition_implILS5_9ELb0ES3_jPlS8_PNS0_10empty_typeENS0_5tupleIJS8_S9_EEENSB_IJS8_SA_EEENS0_18inequality_wrapperIZN2at6native12_GLOBAL__N_124unique_dim_cuda_templateIN3c108BFloat16EEESt5tupleIJNSF_6TensorESM_SM_EERKSM_lbbbEUlllE0_EEPmJS9_EEE10hipError_tPvRmT3_T4_T5_T6_T7_T9_mT8_P12ihipStream_tbDpT10_ENKUlT_T0_E_clISt17integral_constantIbLb0EES1B_IbLb1EEEEDaS17_S18_EUlS17_E_NS1_11comp_targetILNS1_3genE5ELNS1_11target_archE942ELNS1_3gpuE9ELNS1_3repE0EEENS1_30default_config_static_selectorELNS0_4arch9wavefront6targetE0EEEvT1_
                                        ; -- End function
	.set _ZN7rocprim17ROCPRIM_400000_NS6detail17trampoline_kernelINS0_14default_configENS1_25partition_config_selectorILNS1_17partition_subalgoE9EllbEEZZNS1_14partition_implILS5_9ELb0ES3_jPlS8_PNS0_10empty_typeENS0_5tupleIJS8_S9_EEENSB_IJS8_SA_EEENS0_18inequality_wrapperIZN2at6native12_GLOBAL__N_124unique_dim_cuda_templateIN3c108BFloat16EEESt5tupleIJNSF_6TensorESM_SM_EERKSM_lbbbEUlllE0_EEPmJS9_EEE10hipError_tPvRmT3_T4_T5_T6_T7_T9_mT8_P12ihipStream_tbDpT10_ENKUlT_T0_E_clISt17integral_constantIbLb0EES1B_IbLb1EEEEDaS17_S18_EUlS17_E_NS1_11comp_targetILNS1_3genE5ELNS1_11target_archE942ELNS1_3gpuE9ELNS1_3repE0EEENS1_30default_config_static_selectorELNS0_4arch9wavefront6targetE0EEEvT1_.num_vgpr, 0
	.set _ZN7rocprim17ROCPRIM_400000_NS6detail17trampoline_kernelINS0_14default_configENS1_25partition_config_selectorILNS1_17partition_subalgoE9EllbEEZZNS1_14partition_implILS5_9ELb0ES3_jPlS8_PNS0_10empty_typeENS0_5tupleIJS8_S9_EEENSB_IJS8_SA_EEENS0_18inequality_wrapperIZN2at6native12_GLOBAL__N_124unique_dim_cuda_templateIN3c108BFloat16EEESt5tupleIJNSF_6TensorESM_SM_EERKSM_lbbbEUlllE0_EEPmJS9_EEE10hipError_tPvRmT3_T4_T5_T6_T7_T9_mT8_P12ihipStream_tbDpT10_ENKUlT_T0_E_clISt17integral_constantIbLb0EES1B_IbLb1EEEEDaS17_S18_EUlS17_E_NS1_11comp_targetILNS1_3genE5ELNS1_11target_archE942ELNS1_3gpuE9ELNS1_3repE0EEENS1_30default_config_static_selectorELNS0_4arch9wavefront6targetE0EEEvT1_.num_agpr, 0
	.set _ZN7rocprim17ROCPRIM_400000_NS6detail17trampoline_kernelINS0_14default_configENS1_25partition_config_selectorILNS1_17partition_subalgoE9EllbEEZZNS1_14partition_implILS5_9ELb0ES3_jPlS8_PNS0_10empty_typeENS0_5tupleIJS8_S9_EEENSB_IJS8_SA_EEENS0_18inequality_wrapperIZN2at6native12_GLOBAL__N_124unique_dim_cuda_templateIN3c108BFloat16EEESt5tupleIJNSF_6TensorESM_SM_EERKSM_lbbbEUlllE0_EEPmJS9_EEE10hipError_tPvRmT3_T4_T5_T6_T7_T9_mT8_P12ihipStream_tbDpT10_ENKUlT_T0_E_clISt17integral_constantIbLb0EES1B_IbLb1EEEEDaS17_S18_EUlS17_E_NS1_11comp_targetILNS1_3genE5ELNS1_11target_archE942ELNS1_3gpuE9ELNS1_3repE0EEENS1_30default_config_static_selectorELNS0_4arch9wavefront6targetE0EEEvT1_.numbered_sgpr, 0
	.set _ZN7rocprim17ROCPRIM_400000_NS6detail17trampoline_kernelINS0_14default_configENS1_25partition_config_selectorILNS1_17partition_subalgoE9EllbEEZZNS1_14partition_implILS5_9ELb0ES3_jPlS8_PNS0_10empty_typeENS0_5tupleIJS8_S9_EEENSB_IJS8_SA_EEENS0_18inequality_wrapperIZN2at6native12_GLOBAL__N_124unique_dim_cuda_templateIN3c108BFloat16EEESt5tupleIJNSF_6TensorESM_SM_EERKSM_lbbbEUlllE0_EEPmJS9_EEE10hipError_tPvRmT3_T4_T5_T6_T7_T9_mT8_P12ihipStream_tbDpT10_ENKUlT_T0_E_clISt17integral_constantIbLb0EES1B_IbLb1EEEEDaS17_S18_EUlS17_E_NS1_11comp_targetILNS1_3genE5ELNS1_11target_archE942ELNS1_3gpuE9ELNS1_3repE0EEENS1_30default_config_static_selectorELNS0_4arch9wavefront6targetE0EEEvT1_.num_named_barrier, 0
	.set _ZN7rocprim17ROCPRIM_400000_NS6detail17trampoline_kernelINS0_14default_configENS1_25partition_config_selectorILNS1_17partition_subalgoE9EllbEEZZNS1_14partition_implILS5_9ELb0ES3_jPlS8_PNS0_10empty_typeENS0_5tupleIJS8_S9_EEENSB_IJS8_SA_EEENS0_18inequality_wrapperIZN2at6native12_GLOBAL__N_124unique_dim_cuda_templateIN3c108BFloat16EEESt5tupleIJNSF_6TensorESM_SM_EERKSM_lbbbEUlllE0_EEPmJS9_EEE10hipError_tPvRmT3_T4_T5_T6_T7_T9_mT8_P12ihipStream_tbDpT10_ENKUlT_T0_E_clISt17integral_constantIbLb0EES1B_IbLb1EEEEDaS17_S18_EUlS17_E_NS1_11comp_targetILNS1_3genE5ELNS1_11target_archE942ELNS1_3gpuE9ELNS1_3repE0EEENS1_30default_config_static_selectorELNS0_4arch9wavefront6targetE0EEEvT1_.private_seg_size, 0
	.set _ZN7rocprim17ROCPRIM_400000_NS6detail17trampoline_kernelINS0_14default_configENS1_25partition_config_selectorILNS1_17partition_subalgoE9EllbEEZZNS1_14partition_implILS5_9ELb0ES3_jPlS8_PNS0_10empty_typeENS0_5tupleIJS8_S9_EEENSB_IJS8_SA_EEENS0_18inequality_wrapperIZN2at6native12_GLOBAL__N_124unique_dim_cuda_templateIN3c108BFloat16EEESt5tupleIJNSF_6TensorESM_SM_EERKSM_lbbbEUlllE0_EEPmJS9_EEE10hipError_tPvRmT3_T4_T5_T6_T7_T9_mT8_P12ihipStream_tbDpT10_ENKUlT_T0_E_clISt17integral_constantIbLb0EES1B_IbLb1EEEEDaS17_S18_EUlS17_E_NS1_11comp_targetILNS1_3genE5ELNS1_11target_archE942ELNS1_3gpuE9ELNS1_3repE0EEENS1_30default_config_static_selectorELNS0_4arch9wavefront6targetE0EEEvT1_.uses_vcc, 0
	.set _ZN7rocprim17ROCPRIM_400000_NS6detail17trampoline_kernelINS0_14default_configENS1_25partition_config_selectorILNS1_17partition_subalgoE9EllbEEZZNS1_14partition_implILS5_9ELb0ES3_jPlS8_PNS0_10empty_typeENS0_5tupleIJS8_S9_EEENSB_IJS8_SA_EEENS0_18inequality_wrapperIZN2at6native12_GLOBAL__N_124unique_dim_cuda_templateIN3c108BFloat16EEESt5tupleIJNSF_6TensorESM_SM_EERKSM_lbbbEUlllE0_EEPmJS9_EEE10hipError_tPvRmT3_T4_T5_T6_T7_T9_mT8_P12ihipStream_tbDpT10_ENKUlT_T0_E_clISt17integral_constantIbLb0EES1B_IbLb1EEEEDaS17_S18_EUlS17_E_NS1_11comp_targetILNS1_3genE5ELNS1_11target_archE942ELNS1_3gpuE9ELNS1_3repE0EEENS1_30default_config_static_selectorELNS0_4arch9wavefront6targetE0EEEvT1_.uses_flat_scratch, 0
	.set _ZN7rocprim17ROCPRIM_400000_NS6detail17trampoline_kernelINS0_14default_configENS1_25partition_config_selectorILNS1_17partition_subalgoE9EllbEEZZNS1_14partition_implILS5_9ELb0ES3_jPlS8_PNS0_10empty_typeENS0_5tupleIJS8_S9_EEENSB_IJS8_SA_EEENS0_18inequality_wrapperIZN2at6native12_GLOBAL__N_124unique_dim_cuda_templateIN3c108BFloat16EEESt5tupleIJNSF_6TensorESM_SM_EERKSM_lbbbEUlllE0_EEPmJS9_EEE10hipError_tPvRmT3_T4_T5_T6_T7_T9_mT8_P12ihipStream_tbDpT10_ENKUlT_T0_E_clISt17integral_constantIbLb0EES1B_IbLb1EEEEDaS17_S18_EUlS17_E_NS1_11comp_targetILNS1_3genE5ELNS1_11target_archE942ELNS1_3gpuE9ELNS1_3repE0EEENS1_30default_config_static_selectorELNS0_4arch9wavefront6targetE0EEEvT1_.has_dyn_sized_stack, 0
	.set _ZN7rocprim17ROCPRIM_400000_NS6detail17trampoline_kernelINS0_14default_configENS1_25partition_config_selectorILNS1_17partition_subalgoE9EllbEEZZNS1_14partition_implILS5_9ELb0ES3_jPlS8_PNS0_10empty_typeENS0_5tupleIJS8_S9_EEENSB_IJS8_SA_EEENS0_18inequality_wrapperIZN2at6native12_GLOBAL__N_124unique_dim_cuda_templateIN3c108BFloat16EEESt5tupleIJNSF_6TensorESM_SM_EERKSM_lbbbEUlllE0_EEPmJS9_EEE10hipError_tPvRmT3_T4_T5_T6_T7_T9_mT8_P12ihipStream_tbDpT10_ENKUlT_T0_E_clISt17integral_constantIbLb0EES1B_IbLb1EEEEDaS17_S18_EUlS17_E_NS1_11comp_targetILNS1_3genE5ELNS1_11target_archE942ELNS1_3gpuE9ELNS1_3repE0EEENS1_30default_config_static_selectorELNS0_4arch9wavefront6targetE0EEEvT1_.has_recursion, 0
	.set _ZN7rocprim17ROCPRIM_400000_NS6detail17trampoline_kernelINS0_14default_configENS1_25partition_config_selectorILNS1_17partition_subalgoE9EllbEEZZNS1_14partition_implILS5_9ELb0ES3_jPlS8_PNS0_10empty_typeENS0_5tupleIJS8_S9_EEENSB_IJS8_SA_EEENS0_18inequality_wrapperIZN2at6native12_GLOBAL__N_124unique_dim_cuda_templateIN3c108BFloat16EEESt5tupleIJNSF_6TensorESM_SM_EERKSM_lbbbEUlllE0_EEPmJS9_EEE10hipError_tPvRmT3_T4_T5_T6_T7_T9_mT8_P12ihipStream_tbDpT10_ENKUlT_T0_E_clISt17integral_constantIbLb0EES1B_IbLb1EEEEDaS17_S18_EUlS17_E_NS1_11comp_targetILNS1_3genE5ELNS1_11target_archE942ELNS1_3gpuE9ELNS1_3repE0EEENS1_30default_config_static_selectorELNS0_4arch9wavefront6targetE0EEEvT1_.has_indirect_call, 0
	.section	.AMDGPU.csdata,"",@progbits
; Kernel info:
; codeLenInByte = 0
; TotalNumSgprs: 0
; NumVgprs: 0
; ScratchSize: 0
; MemoryBound: 0
; FloatMode: 240
; IeeeMode: 1
; LDSByteSize: 0 bytes/workgroup (compile time only)
; SGPRBlocks: 0
; VGPRBlocks: 0
; NumSGPRsForWavesPerEU: 1
; NumVGPRsForWavesPerEU: 1
; NamedBarCnt: 0
; Occupancy: 16
; WaveLimiterHint : 0
; COMPUTE_PGM_RSRC2:SCRATCH_EN: 0
; COMPUTE_PGM_RSRC2:USER_SGPR: 2
; COMPUTE_PGM_RSRC2:TRAP_HANDLER: 0
; COMPUTE_PGM_RSRC2:TGID_X_EN: 1
; COMPUTE_PGM_RSRC2:TGID_Y_EN: 0
; COMPUTE_PGM_RSRC2:TGID_Z_EN: 0
; COMPUTE_PGM_RSRC2:TIDIG_COMP_CNT: 0
	.section	.text._ZN7rocprim17ROCPRIM_400000_NS6detail17trampoline_kernelINS0_14default_configENS1_25partition_config_selectorILNS1_17partition_subalgoE9EllbEEZZNS1_14partition_implILS5_9ELb0ES3_jPlS8_PNS0_10empty_typeENS0_5tupleIJS8_S9_EEENSB_IJS8_SA_EEENS0_18inequality_wrapperIZN2at6native12_GLOBAL__N_124unique_dim_cuda_templateIN3c108BFloat16EEESt5tupleIJNSF_6TensorESM_SM_EERKSM_lbbbEUlllE0_EEPmJS9_EEE10hipError_tPvRmT3_T4_T5_T6_T7_T9_mT8_P12ihipStream_tbDpT10_ENKUlT_T0_E_clISt17integral_constantIbLb0EES1B_IbLb1EEEEDaS17_S18_EUlS17_E_NS1_11comp_targetILNS1_3genE4ELNS1_11target_archE910ELNS1_3gpuE8ELNS1_3repE0EEENS1_30default_config_static_selectorELNS0_4arch9wavefront6targetE0EEEvT1_,"axG",@progbits,_ZN7rocprim17ROCPRIM_400000_NS6detail17trampoline_kernelINS0_14default_configENS1_25partition_config_selectorILNS1_17partition_subalgoE9EllbEEZZNS1_14partition_implILS5_9ELb0ES3_jPlS8_PNS0_10empty_typeENS0_5tupleIJS8_S9_EEENSB_IJS8_SA_EEENS0_18inequality_wrapperIZN2at6native12_GLOBAL__N_124unique_dim_cuda_templateIN3c108BFloat16EEESt5tupleIJNSF_6TensorESM_SM_EERKSM_lbbbEUlllE0_EEPmJS9_EEE10hipError_tPvRmT3_T4_T5_T6_T7_T9_mT8_P12ihipStream_tbDpT10_ENKUlT_T0_E_clISt17integral_constantIbLb0EES1B_IbLb1EEEEDaS17_S18_EUlS17_E_NS1_11comp_targetILNS1_3genE4ELNS1_11target_archE910ELNS1_3gpuE8ELNS1_3repE0EEENS1_30default_config_static_selectorELNS0_4arch9wavefront6targetE0EEEvT1_,comdat
	.globl	_ZN7rocprim17ROCPRIM_400000_NS6detail17trampoline_kernelINS0_14default_configENS1_25partition_config_selectorILNS1_17partition_subalgoE9EllbEEZZNS1_14partition_implILS5_9ELb0ES3_jPlS8_PNS0_10empty_typeENS0_5tupleIJS8_S9_EEENSB_IJS8_SA_EEENS0_18inequality_wrapperIZN2at6native12_GLOBAL__N_124unique_dim_cuda_templateIN3c108BFloat16EEESt5tupleIJNSF_6TensorESM_SM_EERKSM_lbbbEUlllE0_EEPmJS9_EEE10hipError_tPvRmT3_T4_T5_T6_T7_T9_mT8_P12ihipStream_tbDpT10_ENKUlT_T0_E_clISt17integral_constantIbLb0EES1B_IbLb1EEEEDaS17_S18_EUlS17_E_NS1_11comp_targetILNS1_3genE4ELNS1_11target_archE910ELNS1_3gpuE8ELNS1_3repE0EEENS1_30default_config_static_selectorELNS0_4arch9wavefront6targetE0EEEvT1_ ; -- Begin function _ZN7rocprim17ROCPRIM_400000_NS6detail17trampoline_kernelINS0_14default_configENS1_25partition_config_selectorILNS1_17partition_subalgoE9EllbEEZZNS1_14partition_implILS5_9ELb0ES3_jPlS8_PNS0_10empty_typeENS0_5tupleIJS8_S9_EEENSB_IJS8_SA_EEENS0_18inequality_wrapperIZN2at6native12_GLOBAL__N_124unique_dim_cuda_templateIN3c108BFloat16EEESt5tupleIJNSF_6TensorESM_SM_EERKSM_lbbbEUlllE0_EEPmJS9_EEE10hipError_tPvRmT3_T4_T5_T6_T7_T9_mT8_P12ihipStream_tbDpT10_ENKUlT_T0_E_clISt17integral_constantIbLb0EES1B_IbLb1EEEEDaS17_S18_EUlS17_E_NS1_11comp_targetILNS1_3genE4ELNS1_11target_archE910ELNS1_3gpuE8ELNS1_3repE0EEENS1_30default_config_static_selectorELNS0_4arch9wavefront6targetE0EEEvT1_
	.p2align	8
	.type	_ZN7rocprim17ROCPRIM_400000_NS6detail17trampoline_kernelINS0_14default_configENS1_25partition_config_selectorILNS1_17partition_subalgoE9EllbEEZZNS1_14partition_implILS5_9ELb0ES3_jPlS8_PNS0_10empty_typeENS0_5tupleIJS8_S9_EEENSB_IJS8_SA_EEENS0_18inequality_wrapperIZN2at6native12_GLOBAL__N_124unique_dim_cuda_templateIN3c108BFloat16EEESt5tupleIJNSF_6TensorESM_SM_EERKSM_lbbbEUlllE0_EEPmJS9_EEE10hipError_tPvRmT3_T4_T5_T6_T7_T9_mT8_P12ihipStream_tbDpT10_ENKUlT_T0_E_clISt17integral_constantIbLb0EES1B_IbLb1EEEEDaS17_S18_EUlS17_E_NS1_11comp_targetILNS1_3genE4ELNS1_11target_archE910ELNS1_3gpuE8ELNS1_3repE0EEENS1_30default_config_static_selectorELNS0_4arch9wavefront6targetE0EEEvT1_,@function
_ZN7rocprim17ROCPRIM_400000_NS6detail17trampoline_kernelINS0_14default_configENS1_25partition_config_selectorILNS1_17partition_subalgoE9EllbEEZZNS1_14partition_implILS5_9ELb0ES3_jPlS8_PNS0_10empty_typeENS0_5tupleIJS8_S9_EEENSB_IJS8_SA_EEENS0_18inequality_wrapperIZN2at6native12_GLOBAL__N_124unique_dim_cuda_templateIN3c108BFloat16EEESt5tupleIJNSF_6TensorESM_SM_EERKSM_lbbbEUlllE0_EEPmJS9_EEE10hipError_tPvRmT3_T4_T5_T6_T7_T9_mT8_P12ihipStream_tbDpT10_ENKUlT_T0_E_clISt17integral_constantIbLb0EES1B_IbLb1EEEEDaS17_S18_EUlS17_E_NS1_11comp_targetILNS1_3genE4ELNS1_11target_archE910ELNS1_3gpuE8ELNS1_3repE0EEENS1_30default_config_static_selectorELNS0_4arch9wavefront6targetE0EEEvT1_: ; @_ZN7rocprim17ROCPRIM_400000_NS6detail17trampoline_kernelINS0_14default_configENS1_25partition_config_selectorILNS1_17partition_subalgoE9EllbEEZZNS1_14partition_implILS5_9ELb0ES3_jPlS8_PNS0_10empty_typeENS0_5tupleIJS8_S9_EEENSB_IJS8_SA_EEENS0_18inequality_wrapperIZN2at6native12_GLOBAL__N_124unique_dim_cuda_templateIN3c108BFloat16EEESt5tupleIJNSF_6TensorESM_SM_EERKSM_lbbbEUlllE0_EEPmJS9_EEE10hipError_tPvRmT3_T4_T5_T6_T7_T9_mT8_P12ihipStream_tbDpT10_ENKUlT_T0_E_clISt17integral_constantIbLb0EES1B_IbLb1EEEEDaS17_S18_EUlS17_E_NS1_11comp_targetILNS1_3genE4ELNS1_11target_archE910ELNS1_3gpuE8ELNS1_3repE0EEENS1_30default_config_static_selectorELNS0_4arch9wavefront6targetE0EEEvT1_
; %bb.0:
	.section	.rodata,"a",@progbits
	.p2align	6, 0x0
	.amdhsa_kernel _ZN7rocprim17ROCPRIM_400000_NS6detail17trampoline_kernelINS0_14default_configENS1_25partition_config_selectorILNS1_17partition_subalgoE9EllbEEZZNS1_14partition_implILS5_9ELb0ES3_jPlS8_PNS0_10empty_typeENS0_5tupleIJS8_S9_EEENSB_IJS8_SA_EEENS0_18inequality_wrapperIZN2at6native12_GLOBAL__N_124unique_dim_cuda_templateIN3c108BFloat16EEESt5tupleIJNSF_6TensorESM_SM_EERKSM_lbbbEUlllE0_EEPmJS9_EEE10hipError_tPvRmT3_T4_T5_T6_T7_T9_mT8_P12ihipStream_tbDpT10_ENKUlT_T0_E_clISt17integral_constantIbLb0EES1B_IbLb1EEEEDaS17_S18_EUlS17_E_NS1_11comp_targetILNS1_3genE4ELNS1_11target_archE910ELNS1_3gpuE8ELNS1_3repE0EEENS1_30default_config_static_selectorELNS0_4arch9wavefront6targetE0EEEvT1_
		.amdhsa_group_segment_fixed_size 0
		.amdhsa_private_segment_fixed_size 0
		.amdhsa_kernarg_size 136
		.amdhsa_user_sgpr_count 2
		.amdhsa_user_sgpr_dispatch_ptr 0
		.amdhsa_user_sgpr_queue_ptr 0
		.amdhsa_user_sgpr_kernarg_segment_ptr 1
		.amdhsa_user_sgpr_dispatch_id 0
		.amdhsa_user_sgpr_kernarg_preload_length 0
		.amdhsa_user_sgpr_kernarg_preload_offset 0
		.amdhsa_user_sgpr_private_segment_size 0
		.amdhsa_wavefront_size32 1
		.amdhsa_uses_dynamic_stack 0
		.amdhsa_enable_private_segment 0
		.amdhsa_system_sgpr_workgroup_id_x 1
		.amdhsa_system_sgpr_workgroup_id_y 0
		.amdhsa_system_sgpr_workgroup_id_z 0
		.amdhsa_system_sgpr_workgroup_info 0
		.amdhsa_system_vgpr_workitem_id 0
		.amdhsa_next_free_vgpr 1
		.amdhsa_next_free_sgpr 1
		.amdhsa_named_barrier_count 0
		.amdhsa_reserve_vcc 0
		.amdhsa_float_round_mode_32 0
		.amdhsa_float_round_mode_16_64 0
		.amdhsa_float_denorm_mode_32 3
		.amdhsa_float_denorm_mode_16_64 3
		.amdhsa_fp16_overflow 0
		.amdhsa_memory_ordered 1
		.amdhsa_forward_progress 1
		.amdhsa_inst_pref_size 0
		.amdhsa_round_robin_scheduling 0
		.amdhsa_exception_fp_ieee_invalid_op 0
		.amdhsa_exception_fp_denorm_src 0
		.amdhsa_exception_fp_ieee_div_zero 0
		.amdhsa_exception_fp_ieee_overflow 0
		.amdhsa_exception_fp_ieee_underflow 0
		.amdhsa_exception_fp_ieee_inexact 0
		.amdhsa_exception_int_div_zero 0
	.end_amdhsa_kernel
	.section	.text._ZN7rocprim17ROCPRIM_400000_NS6detail17trampoline_kernelINS0_14default_configENS1_25partition_config_selectorILNS1_17partition_subalgoE9EllbEEZZNS1_14partition_implILS5_9ELb0ES3_jPlS8_PNS0_10empty_typeENS0_5tupleIJS8_S9_EEENSB_IJS8_SA_EEENS0_18inequality_wrapperIZN2at6native12_GLOBAL__N_124unique_dim_cuda_templateIN3c108BFloat16EEESt5tupleIJNSF_6TensorESM_SM_EERKSM_lbbbEUlllE0_EEPmJS9_EEE10hipError_tPvRmT3_T4_T5_T6_T7_T9_mT8_P12ihipStream_tbDpT10_ENKUlT_T0_E_clISt17integral_constantIbLb0EES1B_IbLb1EEEEDaS17_S18_EUlS17_E_NS1_11comp_targetILNS1_3genE4ELNS1_11target_archE910ELNS1_3gpuE8ELNS1_3repE0EEENS1_30default_config_static_selectorELNS0_4arch9wavefront6targetE0EEEvT1_,"axG",@progbits,_ZN7rocprim17ROCPRIM_400000_NS6detail17trampoline_kernelINS0_14default_configENS1_25partition_config_selectorILNS1_17partition_subalgoE9EllbEEZZNS1_14partition_implILS5_9ELb0ES3_jPlS8_PNS0_10empty_typeENS0_5tupleIJS8_S9_EEENSB_IJS8_SA_EEENS0_18inequality_wrapperIZN2at6native12_GLOBAL__N_124unique_dim_cuda_templateIN3c108BFloat16EEESt5tupleIJNSF_6TensorESM_SM_EERKSM_lbbbEUlllE0_EEPmJS9_EEE10hipError_tPvRmT3_T4_T5_T6_T7_T9_mT8_P12ihipStream_tbDpT10_ENKUlT_T0_E_clISt17integral_constantIbLb0EES1B_IbLb1EEEEDaS17_S18_EUlS17_E_NS1_11comp_targetILNS1_3genE4ELNS1_11target_archE910ELNS1_3gpuE8ELNS1_3repE0EEENS1_30default_config_static_selectorELNS0_4arch9wavefront6targetE0EEEvT1_,comdat
.Lfunc_end1232:
	.size	_ZN7rocprim17ROCPRIM_400000_NS6detail17trampoline_kernelINS0_14default_configENS1_25partition_config_selectorILNS1_17partition_subalgoE9EllbEEZZNS1_14partition_implILS5_9ELb0ES3_jPlS8_PNS0_10empty_typeENS0_5tupleIJS8_S9_EEENSB_IJS8_SA_EEENS0_18inequality_wrapperIZN2at6native12_GLOBAL__N_124unique_dim_cuda_templateIN3c108BFloat16EEESt5tupleIJNSF_6TensorESM_SM_EERKSM_lbbbEUlllE0_EEPmJS9_EEE10hipError_tPvRmT3_T4_T5_T6_T7_T9_mT8_P12ihipStream_tbDpT10_ENKUlT_T0_E_clISt17integral_constantIbLb0EES1B_IbLb1EEEEDaS17_S18_EUlS17_E_NS1_11comp_targetILNS1_3genE4ELNS1_11target_archE910ELNS1_3gpuE8ELNS1_3repE0EEENS1_30default_config_static_selectorELNS0_4arch9wavefront6targetE0EEEvT1_, .Lfunc_end1232-_ZN7rocprim17ROCPRIM_400000_NS6detail17trampoline_kernelINS0_14default_configENS1_25partition_config_selectorILNS1_17partition_subalgoE9EllbEEZZNS1_14partition_implILS5_9ELb0ES3_jPlS8_PNS0_10empty_typeENS0_5tupleIJS8_S9_EEENSB_IJS8_SA_EEENS0_18inequality_wrapperIZN2at6native12_GLOBAL__N_124unique_dim_cuda_templateIN3c108BFloat16EEESt5tupleIJNSF_6TensorESM_SM_EERKSM_lbbbEUlllE0_EEPmJS9_EEE10hipError_tPvRmT3_T4_T5_T6_T7_T9_mT8_P12ihipStream_tbDpT10_ENKUlT_T0_E_clISt17integral_constantIbLb0EES1B_IbLb1EEEEDaS17_S18_EUlS17_E_NS1_11comp_targetILNS1_3genE4ELNS1_11target_archE910ELNS1_3gpuE8ELNS1_3repE0EEENS1_30default_config_static_selectorELNS0_4arch9wavefront6targetE0EEEvT1_
                                        ; -- End function
	.set _ZN7rocprim17ROCPRIM_400000_NS6detail17trampoline_kernelINS0_14default_configENS1_25partition_config_selectorILNS1_17partition_subalgoE9EllbEEZZNS1_14partition_implILS5_9ELb0ES3_jPlS8_PNS0_10empty_typeENS0_5tupleIJS8_S9_EEENSB_IJS8_SA_EEENS0_18inequality_wrapperIZN2at6native12_GLOBAL__N_124unique_dim_cuda_templateIN3c108BFloat16EEESt5tupleIJNSF_6TensorESM_SM_EERKSM_lbbbEUlllE0_EEPmJS9_EEE10hipError_tPvRmT3_T4_T5_T6_T7_T9_mT8_P12ihipStream_tbDpT10_ENKUlT_T0_E_clISt17integral_constantIbLb0EES1B_IbLb1EEEEDaS17_S18_EUlS17_E_NS1_11comp_targetILNS1_3genE4ELNS1_11target_archE910ELNS1_3gpuE8ELNS1_3repE0EEENS1_30default_config_static_selectorELNS0_4arch9wavefront6targetE0EEEvT1_.num_vgpr, 0
	.set _ZN7rocprim17ROCPRIM_400000_NS6detail17trampoline_kernelINS0_14default_configENS1_25partition_config_selectorILNS1_17partition_subalgoE9EllbEEZZNS1_14partition_implILS5_9ELb0ES3_jPlS8_PNS0_10empty_typeENS0_5tupleIJS8_S9_EEENSB_IJS8_SA_EEENS0_18inequality_wrapperIZN2at6native12_GLOBAL__N_124unique_dim_cuda_templateIN3c108BFloat16EEESt5tupleIJNSF_6TensorESM_SM_EERKSM_lbbbEUlllE0_EEPmJS9_EEE10hipError_tPvRmT3_T4_T5_T6_T7_T9_mT8_P12ihipStream_tbDpT10_ENKUlT_T0_E_clISt17integral_constantIbLb0EES1B_IbLb1EEEEDaS17_S18_EUlS17_E_NS1_11comp_targetILNS1_3genE4ELNS1_11target_archE910ELNS1_3gpuE8ELNS1_3repE0EEENS1_30default_config_static_selectorELNS0_4arch9wavefront6targetE0EEEvT1_.num_agpr, 0
	.set _ZN7rocprim17ROCPRIM_400000_NS6detail17trampoline_kernelINS0_14default_configENS1_25partition_config_selectorILNS1_17partition_subalgoE9EllbEEZZNS1_14partition_implILS5_9ELb0ES3_jPlS8_PNS0_10empty_typeENS0_5tupleIJS8_S9_EEENSB_IJS8_SA_EEENS0_18inequality_wrapperIZN2at6native12_GLOBAL__N_124unique_dim_cuda_templateIN3c108BFloat16EEESt5tupleIJNSF_6TensorESM_SM_EERKSM_lbbbEUlllE0_EEPmJS9_EEE10hipError_tPvRmT3_T4_T5_T6_T7_T9_mT8_P12ihipStream_tbDpT10_ENKUlT_T0_E_clISt17integral_constantIbLb0EES1B_IbLb1EEEEDaS17_S18_EUlS17_E_NS1_11comp_targetILNS1_3genE4ELNS1_11target_archE910ELNS1_3gpuE8ELNS1_3repE0EEENS1_30default_config_static_selectorELNS0_4arch9wavefront6targetE0EEEvT1_.numbered_sgpr, 0
	.set _ZN7rocprim17ROCPRIM_400000_NS6detail17trampoline_kernelINS0_14default_configENS1_25partition_config_selectorILNS1_17partition_subalgoE9EllbEEZZNS1_14partition_implILS5_9ELb0ES3_jPlS8_PNS0_10empty_typeENS0_5tupleIJS8_S9_EEENSB_IJS8_SA_EEENS0_18inequality_wrapperIZN2at6native12_GLOBAL__N_124unique_dim_cuda_templateIN3c108BFloat16EEESt5tupleIJNSF_6TensorESM_SM_EERKSM_lbbbEUlllE0_EEPmJS9_EEE10hipError_tPvRmT3_T4_T5_T6_T7_T9_mT8_P12ihipStream_tbDpT10_ENKUlT_T0_E_clISt17integral_constantIbLb0EES1B_IbLb1EEEEDaS17_S18_EUlS17_E_NS1_11comp_targetILNS1_3genE4ELNS1_11target_archE910ELNS1_3gpuE8ELNS1_3repE0EEENS1_30default_config_static_selectorELNS0_4arch9wavefront6targetE0EEEvT1_.num_named_barrier, 0
	.set _ZN7rocprim17ROCPRIM_400000_NS6detail17trampoline_kernelINS0_14default_configENS1_25partition_config_selectorILNS1_17partition_subalgoE9EllbEEZZNS1_14partition_implILS5_9ELb0ES3_jPlS8_PNS0_10empty_typeENS0_5tupleIJS8_S9_EEENSB_IJS8_SA_EEENS0_18inequality_wrapperIZN2at6native12_GLOBAL__N_124unique_dim_cuda_templateIN3c108BFloat16EEESt5tupleIJNSF_6TensorESM_SM_EERKSM_lbbbEUlllE0_EEPmJS9_EEE10hipError_tPvRmT3_T4_T5_T6_T7_T9_mT8_P12ihipStream_tbDpT10_ENKUlT_T0_E_clISt17integral_constantIbLb0EES1B_IbLb1EEEEDaS17_S18_EUlS17_E_NS1_11comp_targetILNS1_3genE4ELNS1_11target_archE910ELNS1_3gpuE8ELNS1_3repE0EEENS1_30default_config_static_selectorELNS0_4arch9wavefront6targetE0EEEvT1_.private_seg_size, 0
	.set _ZN7rocprim17ROCPRIM_400000_NS6detail17trampoline_kernelINS0_14default_configENS1_25partition_config_selectorILNS1_17partition_subalgoE9EllbEEZZNS1_14partition_implILS5_9ELb0ES3_jPlS8_PNS0_10empty_typeENS0_5tupleIJS8_S9_EEENSB_IJS8_SA_EEENS0_18inequality_wrapperIZN2at6native12_GLOBAL__N_124unique_dim_cuda_templateIN3c108BFloat16EEESt5tupleIJNSF_6TensorESM_SM_EERKSM_lbbbEUlllE0_EEPmJS9_EEE10hipError_tPvRmT3_T4_T5_T6_T7_T9_mT8_P12ihipStream_tbDpT10_ENKUlT_T0_E_clISt17integral_constantIbLb0EES1B_IbLb1EEEEDaS17_S18_EUlS17_E_NS1_11comp_targetILNS1_3genE4ELNS1_11target_archE910ELNS1_3gpuE8ELNS1_3repE0EEENS1_30default_config_static_selectorELNS0_4arch9wavefront6targetE0EEEvT1_.uses_vcc, 0
	.set _ZN7rocprim17ROCPRIM_400000_NS6detail17trampoline_kernelINS0_14default_configENS1_25partition_config_selectorILNS1_17partition_subalgoE9EllbEEZZNS1_14partition_implILS5_9ELb0ES3_jPlS8_PNS0_10empty_typeENS0_5tupleIJS8_S9_EEENSB_IJS8_SA_EEENS0_18inequality_wrapperIZN2at6native12_GLOBAL__N_124unique_dim_cuda_templateIN3c108BFloat16EEESt5tupleIJNSF_6TensorESM_SM_EERKSM_lbbbEUlllE0_EEPmJS9_EEE10hipError_tPvRmT3_T4_T5_T6_T7_T9_mT8_P12ihipStream_tbDpT10_ENKUlT_T0_E_clISt17integral_constantIbLb0EES1B_IbLb1EEEEDaS17_S18_EUlS17_E_NS1_11comp_targetILNS1_3genE4ELNS1_11target_archE910ELNS1_3gpuE8ELNS1_3repE0EEENS1_30default_config_static_selectorELNS0_4arch9wavefront6targetE0EEEvT1_.uses_flat_scratch, 0
	.set _ZN7rocprim17ROCPRIM_400000_NS6detail17trampoline_kernelINS0_14default_configENS1_25partition_config_selectorILNS1_17partition_subalgoE9EllbEEZZNS1_14partition_implILS5_9ELb0ES3_jPlS8_PNS0_10empty_typeENS0_5tupleIJS8_S9_EEENSB_IJS8_SA_EEENS0_18inequality_wrapperIZN2at6native12_GLOBAL__N_124unique_dim_cuda_templateIN3c108BFloat16EEESt5tupleIJNSF_6TensorESM_SM_EERKSM_lbbbEUlllE0_EEPmJS9_EEE10hipError_tPvRmT3_T4_T5_T6_T7_T9_mT8_P12ihipStream_tbDpT10_ENKUlT_T0_E_clISt17integral_constantIbLb0EES1B_IbLb1EEEEDaS17_S18_EUlS17_E_NS1_11comp_targetILNS1_3genE4ELNS1_11target_archE910ELNS1_3gpuE8ELNS1_3repE0EEENS1_30default_config_static_selectorELNS0_4arch9wavefront6targetE0EEEvT1_.has_dyn_sized_stack, 0
	.set _ZN7rocprim17ROCPRIM_400000_NS6detail17trampoline_kernelINS0_14default_configENS1_25partition_config_selectorILNS1_17partition_subalgoE9EllbEEZZNS1_14partition_implILS5_9ELb0ES3_jPlS8_PNS0_10empty_typeENS0_5tupleIJS8_S9_EEENSB_IJS8_SA_EEENS0_18inequality_wrapperIZN2at6native12_GLOBAL__N_124unique_dim_cuda_templateIN3c108BFloat16EEESt5tupleIJNSF_6TensorESM_SM_EERKSM_lbbbEUlllE0_EEPmJS9_EEE10hipError_tPvRmT3_T4_T5_T6_T7_T9_mT8_P12ihipStream_tbDpT10_ENKUlT_T0_E_clISt17integral_constantIbLb0EES1B_IbLb1EEEEDaS17_S18_EUlS17_E_NS1_11comp_targetILNS1_3genE4ELNS1_11target_archE910ELNS1_3gpuE8ELNS1_3repE0EEENS1_30default_config_static_selectorELNS0_4arch9wavefront6targetE0EEEvT1_.has_recursion, 0
	.set _ZN7rocprim17ROCPRIM_400000_NS6detail17trampoline_kernelINS0_14default_configENS1_25partition_config_selectorILNS1_17partition_subalgoE9EllbEEZZNS1_14partition_implILS5_9ELb0ES3_jPlS8_PNS0_10empty_typeENS0_5tupleIJS8_S9_EEENSB_IJS8_SA_EEENS0_18inequality_wrapperIZN2at6native12_GLOBAL__N_124unique_dim_cuda_templateIN3c108BFloat16EEESt5tupleIJNSF_6TensorESM_SM_EERKSM_lbbbEUlllE0_EEPmJS9_EEE10hipError_tPvRmT3_T4_T5_T6_T7_T9_mT8_P12ihipStream_tbDpT10_ENKUlT_T0_E_clISt17integral_constantIbLb0EES1B_IbLb1EEEEDaS17_S18_EUlS17_E_NS1_11comp_targetILNS1_3genE4ELNS1_11target_archE910ELNS1_3gpuE8ELNS1_3repE0EEENS1_30default_config_static_selectorELNS0_4arch9wavefront6targetE0EEEvT1_.has_indirect_call, 0
	.section	.AMDGPU.csdata,"",@progbits
; Kernel info:
; codeLenInByte = 0
; TotalNumSgprs: 0
; NumVgprs: 0
; ScratchSize: 0
; MemoryBound: 0
; FloatMode: 240
; IeeeMode: 1
; LDSByteSize: 0 bytes/workgroup (compile time only)
; SGPRBlocks: 0
; VGPRBlocks: 0
; NumSGPRsForWavesPerEU: 1
; NumVGPRsForWavesPerEU: 1
; NamedBarCnt: 0
; Occupancy: 16
; WaveLimiterHint : 0
; COMPUTE_PGM_RSRC2:SCRATCH_EN: 0
; COMPUTE_PGM_RSRC2:USER_SGPR: 2
; COMPUTE_PGM_RSRC2:TRAP_HANDLER: 0
; COMPUTE_PGM_RSRC2:TGID_X_EN: 1
; COMPUTE_PGM_RSRC2:TGID_Y_EN: 0
; COMPUTE_PGM_RSRC2:TGID_Z_EN: 0
; COMPUTE_PGM_RSRC2:TIDIG_COMP_CNT: 0
	.section	.text._ZN7rocprim17ROCPRIM_400000_NS6detail17trampoline_kernelINS0_14default_configENS1_25partition_config_selectorILNS1_17partition_subalgoE9EllbEEZZNS1_14partition_implILS5_9ELb0ES3_jPlS8_PNS0_10empty_typeENS0_5tupleIJS8_S9_EEENSB_IJS8_SA_EEENS0_18inequality_wrapperIZN2at6native12_GLOBAL__N_124unique_dim_cuda_templateIN3c108BFloat16EEESt5tupleIJNSF_6TensorESM_SM_EERKSM_lbbbEUlllE0_EEPmJS9_EEE10hipError_tPvRmT3_T4_T5_T6_T7_T9_mT8_P12ihipStream_tbDpT10_ENKUlT_T0_E_clISt17integral_constantIbLb0EES1B_IbLb1EEEEDaS17_S18_EUlS17_E_NS1_11comp_targetILNS1_3genE3ELNS1_11target_archE908ELNS1_3gpuE7ELNS1_3repE0EEENS1_30default_config_static_selectorELNS0_4arch9wavefront6targetE0EEEvT1_,"axG",@progbits,_ZN7rocprim17ROCPRIM_400000_NS6detail17trampoline_kernelINS0_14default_configENS1_25partition_config_selectorILNS1_17partition_subalgoE9EllbEEZZNS1_14partition_implILS5_9ELb0ES3_jPlS8_PNS0_10empty_typeENS0_5tupleIJS8_S9_EEENSB_IJS8_SA_EEENS0_18inequality_wrapperIZN2at6native12_GLOBAL__N_124unique_dim_cuda_templateIN3c108BFloat16EEESt5tupleIJNSF_6TensorESM_SM_EERKSM_lbbbEUlllE0_EEPmJS9_EEE10hipError_tPvRmT3_T4_T5_T6_T7_T9_mT8_P12ihipStream_tbDpT10_ENKUlT_T0_E_clISt17integral_constantIbLb0EES1B_IbLb1EEEEDaS17_S18_EUlS17_E_NS1_11comp_targetILNS1_3genE3ELNS1_11target_archE908ELNS1_3gpuE7ELNS1_3repE0EEENS1_30default_config_static_selectorELNS0_4arch9wavefront6targetE0EEEvT1_,comdat
	.globl	_ZN7rocprim17ROCPRIM_400000_NS6detail17trampoline_kernelINS0_14default_configENS1_25partition_config_selectorILNS1_17partition_subalgoE9EllbEEZZNS1_14partition_implILS5_9ELb0ES3_jPlS8_PNS0_10empty_typeENS0_5tupleIJS8_S9_EEENSB_IJS8_SA_EEENS0_18inequality_wrapperIZN2at6native12_GLOBAL__N_124unique_dim_cuda_templateIN3c108BFloat16EEESt5tupleIJNSF_6TensorESM_SM_EERKSM_lbbbEUlllE0_EEPmJS9_EEE10hipError_tPvRmT3_T4_T5_T6_T7_T9_mT8_P12ihipStream_tbDpT10_ENKUlT_T0_E_clISt17integral_constantIbLb0EES1B_IbLb1EEEEDaS17_S18_EUlS17_E_NS1_11comp_targetILNS1_3genE3ELNS1_11target_archE908ELNS1_3gpuE7ELNS1_3repE0EEENS1_30default_config_static_selectorELNS0_4arch9wavefront6targetE0EEEvT1_ ; -- Begin function _ZN7rocprim17ROCPRIM_400000_NS6detail17trampoline_kernelINS0_14default_configENS1_25partition_config_selectorILNS1_17partition_subalgoE9EllbEEZZNS1_14partition_implILS5_9ELb0ES3_jPlS8_PNS0_10empty_typeENS0_5tupleIJS8_S9_EEENSB_IJS8_SA_EEENS0_18inequality_wrapperIZN2at6native12_GLOBAL__N_124unique_dim_cuda_templateIN3c108BFloat16EEESt5tupleIJNSF_6TensorESM_SM_EERKSM_lbbbEUlllE0_EEPmJS9_EEE10hipError_tPvRmT3_T4_T5_T6_T7_T9_mT8_P12ihipStream_tbDpT10_ENKUlT_T0_E_clISt17integral_constantIbLb0EES1B_IbLb1EEEEDaS17_S18_EUlS17_E_NS1_11comp_targetILNS1_3genE3ELNS1_11target_archE908ELNS1_3gpuE7ELNS1_3repE0EEENS1_30default_config_static_selectorELNS0_4arch9wavefront6targetE0EEEvT1_
	.p2align	8
	.type	_ZN7rocprim17ROCPRIM_400000_NS6detail17trampoline_kernelINS0_14default_configENS1_25partition_config_selectorILNS1_17partition_subalgoE9EllbEEZZNS1_14partition_implILS5_9ELb0ES3_jPlS8_PNS0_10empty_typeENS0_5tupleIJS8_S9_EEENSB_IJS8_SA_EEENS0_18inequality_wrapperIZN2at6native12_GLOBAL__N_124unique_dim_cuda_templateIN3c108BFloat16EEESt5tupleIJNSF_6TensorESM_SM_EERKSM_lbbbEUlllE0_EEPmJS9_EEE10hipError_tPvRmT3_T4_T5_T6_T7_T9_mT8_P12ihipStream_tbDpT10_ENKUlT_T0_E_clISt17integral_constantIbLb0EES1B_IbLb1EEEEDaS17_S18_EUlS17_E_NS1_11comp_targetILNS1_3genE3ELNS1_11target_archE908ELNS1_3gpuE7ELNS1_3repE0EEENS1_30default_config_static_selectorELNS0_4arch9wavefront6targetE0EEEvT1_,@function
_ZN7rocprim17ROCPRIM_400000_NS6detail17trampoline_kernelINS0_14default_configENS1_25partition_config_selectorILNS1_17partition_subalgoE9EllbEEZZNS1_14partition_implILS5_9ELb0ES3_jPlS8_PNS0_10empty_typeENS0_5tupleIJS8_S9_EEENSB_IJS8_SA_EEENS0_18inequality_wrapperIZN2at6native12_GLOBAL__N_124unique_dim_cuda_templateIN3c108BFloat16EEESt5tupleIJNSF_6TensorESM_SM_EERKSM_lbbbEUlllE0_EEPmJS9_EEE10hipError_tPvRmT3_T4_T5_T6_T7_T9_mT8_P12ihipStream_tbDpT10_ENKUlT_T0_E_clISt17integral_constantIbLb0EES1B_IbLb1EEEEDaS17_S18_EUlS17_E_NS1_11comp_targetILNS1_3genE3ELNS1_11target_archE908ELNS1_3gpuE7ELNS1_3repE0EEENS1_30default_config_static_selectorELNS0_4arch9wavefront6targetE0EEEvT1_: ; @_ZN7rocprim17ROCPRIM_400000_NS6detail17trampoline_kernelINS0_14default_configENS1_25partition_config_selectorILNS1_17partition_subalgoE9EllbEEZZNS1_14partition_implILS5_9ELb0ES3_jPlS8_PNS0_10empty_typeENS0_5tupleIJS8_S9_EEENSB_IJS8_SA_EEENS0_18inequality_wrapperIZN2at6native12_GLOBAL__N_124unique_dim_cuda_templateIN3c108BFloat16EEESt5tupleIJNSF_6TensorESM_SM_EERKSM_lbbbEUlllE0_EEPmJS9_EEE10hipError_tPvRmT3_T4_T5_T6_T7_T9_mT8_P12ihipStream_tbDpT10_ENKUlT_T0_E_clISt17integral_constantIbLb0EES1B_IbLb1EEEEDaS17_S18_EUlS17_E_NS1_11comp_targetILNS1_3genE3ELNS1_11target_archE908ELNS1_3gpuE7ELNS1_3repE0EEENS1_30default_config_static_selectorELNS0_4arch9wavefront6targetE0EEEvT1_
; %bb.0:
	.section	.rodata,"a",@progbits
	.p2align	6, 0x0
	.amdhsa_kernel _ZN7rocprim17ROCPRIM_400000_NS6detail17trampoline_kernelINS0_14default_configENS1_25partition_config_selectorILNS1_17partition_subalgoE9EllbEEZZNS1_14partition_implILS5_9ELb0ES3_jPlS8_PNS0_10empty_typeENS0_5tupleIJS8_S9_EEENSB_IJS8_SA_EEENS0_18inequality_wrapperIZN2at6native12_GLOBAL__N_124unique_dim_cuda_templateIN3c108BFloat16EEESt5tupleIJNSF_6TensorESM_SM_EERKSM_lbbbEUlllE0_EEPmJS9_EEE10hipError_tPvRmT3_T4_T5_T6_T7_T9_mT8_P12ihipStream_tbDpT10_ENKUlT_T0_E_clISt17integral_constantIbLb0EES1B_IbLb1EEEEDaS17_S18_EUlS17_E_NS1_11comp_targetILNS1_3genE3ELNS1_11target_archE908ELNS1_3gpuE7ELNS1_3repE0EEENS1_30default_config_static_selectorELNS0_4arch9wavefront6targetE0EEEvT1_
		.amdhsa_group_segment_fixed_size 0
		.amdhsa_private_segment_fixed_size 0
		.amdhsa_kernarg_size 136
		.amdhsa_user_sgpr_count 2
		.amdhsa_user_sgpr_dispatch_ptr 0
		.amdhsa_user_sgpr_queue_ptr 0
		.amdhsa_user_sgpr_kernarg_segment_ptr 1
		.amdhsa_user_sgpr_dispatch_id 0
		.amdhsa_user_sgpr_kernarg_preload_length 0
		.amdhsa_user_sgpr_kernarg_preload_offset 0
		.amdhsa_user_sgpr_private_segment_size 0
		.amdhsa_wavefront_size32 1
		.amdhsa_uses_dynamic_stack 0
		.amdhsa_enable_private_segment 0
		.amdhsa_system_sgpr_workgroup_id_x 1
		.amdhsa_system_sgpr_workgroup_id_y 0
		.amdhsa_system_sgpr_workgroup_id_z 0
		.amdhsa_system_sgpr_workgroup_info 0
		.amdhsa_system_vgpr_workitem_id 0
		.amdhsa_next_free_vgpr 1
		.amdhsa_next_free_sgpr 1
		.amdhsa_named_barrier_count 0
		.amdhsa_reserve_vcc 0
		.amdhsa_float_round_mode_32 0
		.amdhsa_float_round_mode_16_64 0
		.amdhsa_float_denorm_mode_32 3
		.amdhsa_float_denorm_mode_16_64 3
		.amdhsa_fp16_overflow 0
		.amdhsa_memory_ordered 1
		.amdhsa_forward_progress 1
		.amdhsa_inst_pref_size 0
		.amdhsa_round_robin_scheduling 0
		.amdhsa_exception_fp_ieee_invalid_op 0
		.amdhsa_exception_fp_denorm_src 0
		.amdhsa_exception_fp_ieee_div_zero 0
		.amdhsa_exception_fp_ieee_overflow 0
		.amdhsa_exception_fp_ieee_underflow 0
		.amdhsa_exception_fp_ieee_inexact 0
		.amdhsa_exception_int_div_zero 0
	.end_amdhsa_kernel
	.section	.text._ZN7rocprim17ROCPRIM_400000_NS6detail17trampoline_kernelINS0_14default_configENS1_25partition_config_selectorILNS1_17partition_subalgoE9EllbEEZZNS1_14partition_implILS5_9ELb0ES3_jPlS8_PNS0_10empty_typeENS0_5tupleIJS8_S9_EEENSB_IJS8_SA_EEENS0_18inequality_wrapperIZN2at6native12_GLOBAL__N_124unique_dim_cuda_templateIN3c108BFloat16EEESt5tupleIJNSF_6TensorESM_SM_EERKSM_lbbbEUlllE0_EEPmJS9_EEE10hipError_tPvRmT3_T4_T5_T6_T7_T9_mT8_P12ihipStream_tbDpT10_ENKUlT_T0_E_clISt17integral_constantIbLb0EES1B_IbLb1EEEEDaS17_S18_EUlS17_E_NS1_11comp_targetILNS1_3genE3ELNS1_11target_archE908ELNS1_3gpuE7ELNS1_3repE0EEENS1_30default_config_static_selectorELNS0_4arch9wavefront6targetE0EEEvT1_,"axG",@progbits,_ZN7rocprim17ROCPRIM_400000_NS6detail17trampoline_kernelINS0_14default_configENS1_25partition_config_selectorILNS1_17partition_subalgoE9EllbEEZZNS1_14partition_implILS5_9ELb0ES3_jPlS8_PNS0_10empty_typeENS0_5tupleIJS8_S9_EEENSB_IJS8_SA_EEENS0_18inequality_wrapperIZN2at6native12_GLOBAL__N_124unique_dim_cuda_templateIN3c108BFloat16EEESt5tupleIJNSF_6TensorESM_SM_EERKSM_lbbbEUlllE0_EEPmJS9_EEE10hipError_tPvRmT3_T4_T5_T6_T7_T9_mT8_P12ihipStream_tbDpT10_ENKUlT_T0_E_clISt17integral_constantIbLb0EES1B_IbLb1EEEEDaS17_S18_EUlS17_E_NS1_11comp_targetILNS1_3genE3ELNS1_11target_archE908ELNS1_3gpuE7ELNS1_3repE0EEENS1_30default_config_static_selectorELNS0_4arch9wavefront6targetE0EEEvT1_,comdat
.Lfunc_end1233:
	.size	_ZN7rocprim17ROCPRIM_400000_NS6detail17trampoline_kernelINS0_14default_configENS1_25partition_config_selectorILNS1_17partition_subalgoE9EllbEEZZNS1_14partition_implILS5_9ELb0ES3_jPlS8_PNS0_10empty_typeENS0_5tupleIJS8_S9_EEENSB_IJS8_SA_EEENS0_18inequality_wrapperIZN2at6native12_GLOBAL__N_124unique_dim_cuda_templateIN3c108BFloat16EEESt5tupleIJNSF_6TensorESM_SM_EERKSM_lbbbEUlllE0_EEPmJS9_EEE10hipError_tPvRmT3_T4_T5_T6_T7_T9_mT8_P12ihipStream_tbDpT10_ENKUlT_T0_E_clISt17integral_constantIbLb0EES1B_IbLb1EEEEDaS17_S18_EUlS17_E_NS1_11comp_targetILNS1_3genE3ELNS1_11target_archE908ELNS1_3gpuE7ELNS1_3repE0EEENS1_30default_config_static_selectorELNS0_4arch9wavefront6targetE0EEEvT1_, .Lfunc_end1233-_ZN7rocprim17ROCPRIM_400000_NS6detail17trampoline_kernelINS0_14default_configENS1_25partition_config_selectorILNS1_17partition_subalgoE9EllbEEZZNS1_14partition_implILS5_9ELb0ES3_jPlS8_PNS0_10empty_typeENS0_5tupleIJS8_S9_EEENSB_IJS8_SA_EEENS0_18inequality_wrapperIZN2at6native12_GLOBAL__N_124unique_dim_cuda_templateIN3c108BFloat16EEESt5tupleIJNSF_6TensorESM_SM_EERKSM_lbbbEUlllE0_EEPmJS9_EEE10hipError_tPvRmT3_T4_T5_T6_T7_T9_mT8_P12ihipStream_tbDpT10_ENKUlT_T0_E_clISt17integral_constantIbLb0EES1B_IbLb1EEEEDaS17_S18_EUlS17_E_NS1_11comp_targetILNS1_3genE3ELNS1_11target_archE908ELNS1_3gpuE7ELNS1_3repE0EEENS1_30default_config_static_selectorELNS0_4arch9wavefront6targetE0EEEvT1_
                                        ; -- End function
	.set _ZN7rocprim17ROCPRIM_400000_NS6detail17trampoline_kernelINS0_14default_configENS1_25partition_config_selectorILNS1_17partition_subalgoE9EllbEEZZNS1_14partition_implILS5_9ELb0ES3_jPlS8_PNS0_10empty_typeENS0_5tupleIJS8_S9_EEENSB_IJS8_SA_EEENS0_18inequality_wrapperIZN2at6native12_GLOBAL__N_124unique_dim_cuda_templateIN3c108BFloat16EEESt5tupleIJNSF_6TensorESM_SM_EERKSM_lbbbEUlllE0_EEPmJS9_EEE10hipError_tPvRmT3_T4_T5_T6_T7_T9_mT8_P12ihipStream_tbDpT10_ENKUlT_T0_E_clISt17integral_constantIbLb0EES1B_IbLb1EEEEDaS17_S18_EUlS17_E_NS1_11comp_targetILNS1_3genE3ELNS1_11target_archE908ELNS1_3gpuE7ELNS1_3repE0EEENS1_30default_config_static_selectorELNS0_4arch9wavefront6targetE0EEEvT1_.num_vgpr, 0
	.set _ZN7rocprim17ROCPRIM_400000_NS6detail17trampoline_kernelINS0_14default_configENS1_25partition_config_selectorILNS1_17partition_subalgoE9EllbEEZZNS1_14partition_implILS5_9ELb0ES3_jPlS8_PNS0_10empty_typeENS0_5tupleIJS8_S9_EEENSB_IJS8_SA_EEENS0_18inequality_wrapperIZN2at6native12_GLOBAL__N_124unique_dim_cuda_templateIN3c108BFloat16EEESt5tupleIJNSF_6TensorESM_SM_EERKSM_lbbbEUlllE0_EEPmJS9_EEE10hipError_tPvRmT3_T4_T5_T6_T7_T9_mT8_P12ihipStream_tbDpT10_ENKUlT_T0_E_clISt17integral_constantIbLb0EES1B_IbLb1EEEEDaS17_S18_EUlS17_E_NS1_11comp_targetILNS1_3genE3ELNS1_11target_archE908ELNS1_3gpuE7ELNS1_3repE0EEENS1_30default_config_static_selectorELNS0_4arch9wavefront6targetE0EEEvT1_.num_agpr, 0
	.set _ZN7rocprim17ROCPRIM_400000_NS6detail17trampoline_kernelINS0_14default_configENS1_25partition_config_selectorILNS1_17partition_subalgoE9EllbEEZZNS1_14partition_implILS5_9ELb0ES3_jPlS8_PNS0_10empty_typeENS0_5tupleIJS8_S9_EEENSB_IJS8_SA_EEENS0_18inequality_wrapperIZN2at6native12_GLOBAL__N_124unique_dim_cuda_templateIN3c108BFloat16EEESt5tupleIJNSF_6TensorESM_SM_EERKSM_lbbbEUlllE0_EEPmJS9_EEE10hipError_tPvRmT3_T4_T5_T6_T7_T9_mT8_P12ihipStream_tbDpT10_ENKUlT_T0_E_clISt17integral_constantIbLb0EES1B_IbLb1EEEEDaS17_S18_EUlS17_E_NS1_11comp_targetILNS1_3genE3ELNS1_11target_archE908ELNS1_3gpuE7ELNS1_3repE0EEENS1_30default_config_static_selectorELNS0_4arch9wavefront6targetE0EEEvT1_.numbered_sgpr, 0
	.set _ZN7rocprim17ROCPRIM_400000_NS6detail17trampoline_kernelINS0_14default_configENS1_25partition_config_selectorILNS1_17partition_subalgoE9EllbEEZZNS1_14partition_implILS5_9ELb0ES3_jPlS8_PNS0_10empty_typeENS0_5tupleIJS8_S9_EEENSB_IJS8_SA_EEENS0_18inequality_wrapperIZN2at6native12_GLOBAL__N_124unique_dim_cuda_templateIN3c108BFloat16EEESt5tupleIJNSF_6TensorESM_SM_EERKSM_lbbbEUlllE0_EEPmJS9_EEE10hipError_tPvRmT3_T4_T5_T6_T7_T9_mT8_P12ihipStream_tbDpT10_ENKUlT_T0_E_clISt17integral_constantIbLb0EES1B_IbLb1EEEEDaS17_S18_EUlS17_E_NS1_11comp_targetILNS1_3genE3ELNS1_11target_archE908ELNS1_3gpuE7ELNS1_3repE0EEENS1_30default_config_static_selectorELNS0_4arch9wavefront6targetE0EEEvT1_.num_named_barrier, 0
	.set _ZN7rocprim17ROCPRIM_400000_NS6detail17trampoline_kernelINS0_14default_configENS1_25partition_config_selectorILNS1_17partition_subalgoE9EllbEEZZNS1_14partition_implILS5_9ELb0ES3_jPlS8_PNS0_10empty_typeENS0_5tupleIJS8_S9_EEENSB_IJS8_SA_EEENS0_18inequality_wrapperIZN2at6native12_GLOBAL__N_124unique_dim_cuda_templateIN3c108BFloat16EEESt5tupleIJNSF_6TensorESM_SM_EERKSM_lbbbEUlllE0_EEPmJS9_EEE10hipError_tPvRmT3_T4_T5_T6_T7_T9_mT8_P12ihipStream_tbDpT10_ENKUlT_T0_E_clISt17integral_constantIbLb0EES1B_IbLb1EEEEDaS17_S18_EUlS17_E_NS1_11comp_targetILNS1_3genE3ELNS1_11target_archE908ELNS1_3gpuE7ELNS1_3repE0EEENS1_30default_config_static_selectorELNS0_4arch9wavefront6targetE0EEEvT1_.private_seg_size, 0
	.set _ZN7rocprim17ROCPRIM_400000_NS6detail17trampoline_kernelINS0_14default_configENS1_25partition_config_selectorILNS1_17partition_subalgoE9EllbEEZZNS1_14partition_implILS5_9ELb0ES3_jPlS8_PNS0_10empty_typeENS0_5tupleIJS8_S9_EEENSB_IJS8_SA_EEENS0_18inequality_wrapperIZN2at6native12_GLOBAL__N_124unique_dim_cuda_templateIN3c108BFloat16EEESt5tupleIJNSF_6TensorESM_SM_EERKSM_lbbbEUlllE0_EEPmJS9_EEE10hipError_tPvRmT3_T4_T5_T6_T7_T9_mT8_P12ihipStream_tbDpT10_ENKUlT_T0_E_clISt17integral_constantIbLb0EES1B_IbLb1EEEEDaS17_S18_EUlS17_E_NS1_11comp_targetILNS1_3genE3ELNS1_11target_archE908ELNS1_3gpuE7ELNS1_3repE0EEENS1_30default_config_static_selectorELNS0_4arch9wavefront6targetE0EEEvT1_.uses_vcc, 0
	.set _ZN7rocprim17ROCPRIM_400000_NS6detail17trampoline_kernelINS0_14default_configENS1_25partition_config_selectorILNS1_17partition_subalgoE9EllbEEZZNS1_14partition_implILS5_9ELb0ES3_jPlS8_PNS0_10empty_typeENS0_5tupleIJS8_S9_EEENSB_IJS8_SA_EEENS0_18inequality_wrapperIZN2at6native12_GLOBAL__N_124unique_dim_cuda_templateIN3c108BFloat16EEESt5tupleIJNSF_6TensorESM_SM_EERKSM_lbbbEUlllE0_EEPmJS9_EEE10hipError_tPvRmT3_T4_T5_T6_T7_T9_mT8_P12ihipStream_tbDpT10_ENKUlT_T0_E_clISt17integral_constantIbLb0EES1B_IbLb1EEEEDaS17_S18_EUlS17_E_NS1_11comp_targetILNS1_3genE3ELNS1_11target_archE908ELNS1_3gpuE7ELNS1_3repE0EEENS1_30default_config_static_selectorELNS0_4arch9wavefront6targetE0EEEvT1_.uses_flat_scratch, 0
	.set _ZN7rocprim17ROCPRIM_400000_NS6detail17trampoline_kernelINS0_14default_configENS1_25partition_config_selectorILNS1_17partition_subalgoE9EllbEEZZNS1_14partition_implILS5_9ELb0ES3_jPlS8_PNS0_10empty_typeENS0_5tupleIJS8_S9_EEENSB_IJS8_SA_EEENS0_18inequality_wrapperIZN2at6native12_GLOBAL__N_124unique_dim_cuda_templateIN3c108BFloat16EEESt5tupleIJNSF_6TensorESM_SM_EERKSM_lbbbEUlllE0_EEPmJS9_EEE10hipError_tPvRmT3_T4_T5_T6_T7_T9_mT8_P12ihipStream_tbDpT10_ENKUlT_T0_E_clISt17integral_constantIbLb0EES1B_IbLb1EEEEDaS17_S18_EUlS17_E_NS1_11comp_targetILNS1_3genE3ELNS1_11target_archE908ELNS1_3gpuE7ELNS1_3repE0EEENS1_30default_config_static_selectorELNS0_4arch9wavefront6targetE0EEEvT1_.has_dyn_sized_stack, 0
	.set _ZN7rocprim17ROCPRIM_400000_NS6detail17trampoline_kernelINS0_14default_configENS1_25partition_config_selectorILNS1_17partition_subalgoE9EllbEEZZNS1_14partition_implILS5_9ELb0ES3_jPlS8_PNS0_10empty_typeENS0_5tupleIJS8_S9_EEENSB_IJS8_SA_EEENS0_18inequality_wrapperIZN2at6native12_GLOBAL__N_124unique_dim_cuda_templateIN3c108BFloat16EEESt5tupleIJNSF_6TensorESM_SM_EERKSM_lbbbEUlllE0_EEPmJS9_EEE10hipError_tPvRmT3_T4_T5_T6_T7_T9_mT8_P12ihipStream_tbDpT10_ENKUlT_T0_E_clISt17integral_constantIbLb0EES1B_IbLb1EEEEDaS17_S18_EUlS17_E_NS1_11comp_targetILNS1_3genE3ELNS1_11target_archE908ELNS1_3gpuE7ELNS1_3repE0EEENS1_30default_config_static_selectorELNS0_4arch9wavefront6targetE0EEEvT1_.has_recursion, 0
	.set _ZN7rocprim17ROCPRIM_400000_NS6detail17trampoline_kernelINS0_14default_configENS1_25partition_config_selectorILNS1_17partition_subalgoE9EllbEEZZNS1_14partition_implILS5_9ELb0ES3_jPlS8_PNS0_10empty_typeENS0_5tupleIJS8_S9_EEENSB_IJS8_SA_EEENS0_18inequality_wrapperIZN2at6native12_GLOBAL__N_124unique_dim_cuda_templateIN3c108BFloat16EEESt5tupleIJNSF_6TensorESM_SM_EERKSM_lbbbEUlllE0_EEPmJS9_EEE10hipError_tPvRmT3_T4_T5_T6_T7_T9_mT8_P12ihipStream_tbDpT10_ENKUlT_T0_E_clISt17integral_constantIbLb0EES1B_IbLb1EEEEDaS17_S18_EUlS17_E_NS1_11comp_targetILNS1_3genE3ELNS1_11target_archE908ELNS1_3gpuE7ELNS1_3repE0EEENS1_30default_config_static_selectorELNS0_4arch9wavefront6targetE0EEEvT1_.has_indirect_call, 0
	.section	.AMDGPU.csdata,"",@progbits
; Kernel info:
; codeLenInByte = 0
; TotalNumSgprs: 0
; NumVgprs: 0
; ScratchSize: 0
; MemoryBound: 0
; FloatMode: 240
; IeeeMode: 1
; LDSByteSize: 0 bytes/workgroup (compile time only)
; SGPRBlocks: 0
; VGPRBlocks: 0
; NumSGPRsForWavesPerEU: 1
; NumVGPRsForWavesPerEU: 1
; NamedBarCnt: 0
; Occupancy: 16
; WaveLimiterHint : 0
; COMPUTE_PGM_RSRC2:SCRATCH_EN: 0
; COMPUTE_PGM_RSRC2:USER_SGPR: 2
; COMPUTE_PGM_RSRC2:TRAP_HANDLER: 0
; COMPUTE_PGM_RSRC2:TGID_X_EN: 1
; COMPUTE_PGM_RSRC2:TGID_Y_EN: 0
; COMPUTE_PGM_RSRC2:TGID_Z_EN: 0
; COMPUTE_PGM_RSRC2:TIDIG_COMP_CNT: 0
	.section	.text._ZN7rocprim17ROCPRIM_400000_NS6detail17trampoline_kernelINS0_14default_configENS1_25partition_config_selectorILNS1_17partition_subalgoE9EllbEEZZNS1_14partition_implILS5_9ELb0ES3_jPlS8_PNS0_10empty_typeENS0_5tupleIJS8_S9_EEENSB_IJS8_SA_EEENS0_18inequality_wrapperIZN2at6native12_GLOBAL__N_124unique_dim_cuda_templateIN3c108BFloat16EEESt5tupleIJNSF_6TensorESM_SM_EERKSM_lbbbEUlllE0_EEPmJS9_EEE10hipError_tPvRmT3_T4_T5_T6_T7_T9_mT8_P12ihipStream_tbDpT10_ENKUlT_T0_E_clISt17integral_constantIbLb0EES1B_IbLb1EEEEDaS17_S18_EUlS17_E_NS1_11comp_targetILNS1_3genE2ELNS1_11target_archE906ELNS1_3gpuE6ELNS1_3repE0EEENS1_30default_config_static_selectorELNS0_4arch9wavefront6targetE0EEEvT1_,"axG",@progbits,_ZN7rocprim17ROCPRIM_400000_NS6detail17trampoline_kernelINS0_14default_configENS1_25partition_config_selectorILNS1_17partition_subalgoE9EllbEEZZNS1_14partition_implILS5_9ELb0ES3_jPlS8_PNS0_10empty_typeENS0_5tupleIJS8_S9_EEENSB_IJS8_SA_EEENS0_18inequality_wrapperIZN2at6native12_GLOBAL__N_124unique_dim_cuda_templateIN3c108BFloat16EEESt5tupleIJNSF_6TensorESM_SM_EERKSM_lbbbEUlllE0_EEPmJS9_EEE10hipError_tPvRmT3_T4_T5_T6_T7_T9_mT8_P12ihipStream_tbDpT10_ENKUlT_T0_E_clISt17integral_constantIbLb0EES1B_IbLb1EEEEDaS17_S18_EUlS17_E_NS1_11comp_targetILNS1_3genE2ELNS1_11target_archE906ELNS1_3gpuE6ELNS1_3repE0EEENS1_30default_config_static_selectorELNS0_4arch9wavefront6targetE0EEEvT1_,comdat
	.globl	_ZN7rocprim17ROCPRIM_400000_NS6detail17trampoline_kernelINS0_14default_configENS1_25partition_config_selectorILNS1_17partition_subalgoE9EllbEEZZNS1_14partition_implILS5_9ELb0ES3_jPlS8_PNS0_10empty_typeENS0_5tupleIJS8_S9_EEENSB_IJS8_SA_EEENS0_18inequality_wrapperIZN2at6native12_GLOBAL__N_124unique_dim_cuda_templateIN3c108BFloat16EEESt5tupleIJNSF_6TensorESM_SM_EERKSM_lbbbEUlllE0_EEPmJS9_EEE10hipError_tPvRmT3_T4_T5_T6_T7_T9_mT8_P12ihipStream_tbDpT10_ENKUlT_T0_E_clISt17integral_constantIbLb0EES1B_IbLb1EEEEDaS17_S18_EUlS17_E_NS1_11comp_targetILNS1_3genE2ELNS1_11target_archE906ELNS1_3gpuE6ELNS1_3repE0EEENS1_30default_config_static_selectorELNS0_4arch9wavefront6targetE0EEEvT1_ ; -- Begin function _ZN7rocprim17ROCPRIM_400000_NS6detail17trampoline_kernelINS0_14default_configENS1_25partition_config_selectorILNS1_17partition_subalgoE9EllbEEZZNS1_14partition_implILS5_9ELb0ES3_jPlS8_PNS0_10empty_typeENS0_5tupleIJS8_S9_EEENSB_IJS8_SA_EEENS0_18inequality_wrapperIZN2at6native12_GLOBAL__N_124unique_dim_cuda_templateIN3c108BFloat16EEESt5tupleIJNSF_6TensorESM_SM_EERKSM_lbbbEUlllE0_EEPmJS9_EEE10hipError_tPvRmT3_T4_T5_T6_T7_T9_mT8_P12ihipStream_tbDpT10_ENKUlT_T0_E_clISt17integral_constantIbLb0EES1B_IbLb1EEEEDaS17_S18_EUlS17_E_NS1_11comp_targetILNS1_3genE2ELNS1_11target_archE906ELNS1_3gpuE6ELNS1_3repE0EEENS1_30default_config_static_selectorELNS0_4arch9wavefront6targetE0EEEvT1_
	.p2align	8
	.type	_ZN7rocprim17ROCPRIM_400000_NS6detail17trampoline_kernelINS0_14default_configENS1_25partition_config_selectorILNS1_17partition_subalgoE9EllbEEZZNS1_14partition_implILS5_9ELb0ES3_jPlS8_PNS0_10empty_typeENS0_5tupleIJS8_S9_EEENSB_IJS8_SA_EEENS0_18inequality_wrapperIZN2at6native12_GLOBAL__N_124unique_dim_cuda_templateIN3c108BFloat16EEESt5tupleIJNSF_6TensorESM_SM_EERKSM_lbbbEUlllE0_EEPmJS9_EEE10hipError_tPvRmT3_T4_T5_T6_T7_T9_mT8_P12ihipStream_tbDpT10_ENKUlT_T0_E_clISt17integral_constantIbLb0EES1B_IbLb1EEEEDaS17_S18_EUlS17_E_NS1_11comp_targetILNS1_3genE2ELNS1_11target_archE906ELNS1_3gpuE6ELNS1_3repE0EEENS1_30default_config_static_selectorELNS0_4arch9wavefront6targetE0EEEvT1_,@function
_ZN7rocprim17ROCPRIM_400000_NS6detail17trampoline_kernelINS0_14default_configENS1_25partition_config_selectorILNS1_17partition_subalgoE9EllbEEZZNS1_14partition_implILS5_9ELb0ES3_jPlS8_PNS0_10empty_typeENS0_5tupleIJS8_S9_EEENSB_IJS8_SA_EEENS0_18inequality_wrapperIZN2at6native12_GLOBAL__N_124unique_dim_cuda_templateIN3c108BFloat16EEESt5tupleIJNSF_6TensorESM_SM_EERKSM_lbbbEUlllE0_EEPmJS9_EEE10hipError_tPvRmT3_T4_T5_T6_T7_T9_mT8_P12ihipStream_tbDpT10_ENKUlT_T0_E_clISt17integral_constantIbLb0EES1B_IbLb1EEEEDaS17_S18_EUlS17_E_NS1_11comp_targetILNS1_3genE2ELNS1_11target_archE906ELNS1_3gpuE6ELNS1_3repE0EEENS1_30default_config_static_selectorELNS0_4arch9wavefront6targetE0EEEvT1_: ; @_ZN7rocprim17ROCPRIM_400000_NS6detail17trampoline_kernelINS0_14default_configENS1_25partition_config_selectorILNS1_17partition_subalgoE9EllbEEZZNS1_14partition_implILS5_9ELb0ES3_jPlS8_PNS0_10empty_typeENS0_5tupleIJS8_S9_EEENSB_IJS8_SA_EEENS0_18inequality_wrapperIZN2at6native12_GLOBAL__N_124unique_dim_cuda_templateIN3c108BFloat16EEESt5tupleIJNSF_6TensorESM_SM_EERKSM_lbbbEUlllE0_EEPmJS9_EEE10hipError_tPvRmT3_T4_T5_T6_T7_T9_mT8_P12ihipStream_tbDpT10_ENKUlT_T0_E_clISt17integral_constantIbLb0EES1B_IbLb1EEEEDaS17_S18_EUlS17_E_NS1_11comp_targetILNS1_3genE2ELNS1_11target_archE906ELNS1_3gpuE6ELNS1_3repE0EEENS1_30default_config_static_selectorELNS0_4arch9wavefront6targetE0EEEvT1_
; %bb.0:
	.section	.rodata,"a",@progbits
	.p2align	6, 0x0
	.amdhsa_kernel _ZN7rocprim17ROCPRIM_400000_NS6detail17trampoline_kernelINS0_14default_configENS1_25partition_config_selectorILNS1_17partition_subalgoE9EllbEEZZNS1_14partition_implILS5_9ELb0ES3_jPlS8_PNS0_10empty_typeENS0_5tupleIJS8_S9_EEENSB_IJS8_SA_EEENS0_18inequality_wrapperIZN2at6native12_GLOBAL__N_124unique_dim_cuda_templateIN3c108BFloat16EEESt5tupleIJNSF_6TensorESM_SM_EERKSM_lbbbEUlllE0_EEPmJS9_EEE10hipError_tPvRmT3_T4_T5_T6_T7_T9_mT8_P12ihipStream_tbDpT10_ENKUlT_T0_E_clISt17integral_constantIbLb0EES1B_IbLb1EEEEDaS17_S18_EUlS17_E_NS1_11comp_targetILNS1_3genE2ELNS1_11target_archE906ELNS1_3gpuE6ELNS1_3repE0EEENS1_30default_config_static_selectorELNS0_4arch9wavefront6targetE0EEEvT1_
		.amdhsa_group_segment_fixed_size 0
		.amdhsa_private_segment_fixed_size 0
		.amdhsa_kernarg_size 136
		.amdhsa_user_sgpr_count 2
		.amdhsa_user_sgpr_dispatch_ptr 0
		.amdhsa_user_sgpr_queue_ptr 0
		.amdhsa_user_sgpr_kernarg_segment_ptr 1
		.amdhsa_user_sgpr_dispatch_id 0
		.amdhsa_user_sgpr_kernarg_preload_length 0
		.amdhsa_user_sgpr_kernarg_preload_offset 0
		.amdhsa_user_sgpr_private_segment_size 0
		.amdhsa_wavefront_size32 1
		.amdhsa_uses_dynamic_stack 0
		.amdhsa_enable_private_segment 0
		.amdhsa_system_sgpr_workgroup_id_x 1
		.amdhsa_system_sgpr_workgroup_id_y 0
		.amdhsa_system_sgpr_workgroup_id_z 0
		.amdhsa_system_sgpr_workgroup_info 0
		.amdhsa_system_vgpr_workitem_id 0
		.amdhsa_next_free_vgpr 1
		.amdhsa_next_free_sgpr 1
		.amdhsa_named_barrier_count 0
		.amdhsa_reserve_vcc 0
		.amdhsa_float_round_mode_32 0
		.amdhsa_float_round_mode_16_64 0
		.amdhsa_float_denorm_mode_32 3
		.amdhsa_float_denorm_mode_16_64 3
		.amdhsa_fp16_overflow 0
		.amdhsa_memory_ordered 1
		.amdhsa_forward_progress 1
		.amdhsa_inst_pref_size 0
		.amdhsa_round_robin_scheduling 0
		.amdhsa_exception_fp_ieee_invalid_op 0
		.amdhsa_exception_fp_denorm_src 0
		.amdhsa_exception_fp_ieee_div_zero 0
		.amdhsa_exception_fp_ieee_overflow 0
		.amdhsa_exception_fp_ieee_underflow 0
		.amdhsa_exception_fp_ieee_inexact 0
		.amdhsa_exception_int_div_zero 0
	.end_amdhsa_kernel
	.section	.text._ZN7rocprim17ROCPRIM_400000_NS6detail17trampoline_kernelINS0_14default_configENS1_25partition_config_selectorILNS1_17partition_subalgoE9EllbEEZZNS1_14partition_implILS5_9ELb0ES3_jPlS8_PNS0_10empty_typeENS0_5tupleIJS8_S9_EEENSB_IJS8_SA_EEENS0_18inequality_wrapperIZN2at6native12_GLOBAL__N_124unique_dim_cuda_templateIN3c108BFloat16EEESt5tupleIJNSF_6TensorESM_SM_EERKSM_lbbbEUlllE0_EEPmJS9_EEE10hipError_tPvRmT3_T4_T5_T6_T7_T9_mT8_P12ihipStream_tbDpT10_ENKUlT_T0_E_clISt17integral_constantIbLb0EES1B_IbLb1EEEEDaS17_S18_EUlS17_E_NS1_11comp_targetILNS1_3genE2ELNS1_11target_archE906ELNS1_3gpuE6ELNS1_3repE0EEENS1_30default_config_static_selectorELNS0_4arch9wavefront6targetE0EEEvT1_,"axG",@progbits,_ZN7rocprim17ROCPRIM_400000_NS6detail17trampoline_kernelINS0_14default_configENS1_25partition_config_selectorILNS1_17partition_subalgoE9EllbEEZZNS1_14partition_implILS5_9ELb0ES3_jPlS8_PNS0_10empty_typeENS0_5tupleIJS8_S9_EEENSB_IJS8_SA_EEENS0_18inequality_wrapperIZN2at6native12_GLOBAL__N_124unique_dim_cuda_templateIN3c108BFloat16EEESt5tupleIJNSF_6TensorESM_SM_EERKSM_lbbbEUlllE0_EEPmJS9_EEE10hipError_tPvRmT3_T4_T5_T6_T7_T9_mT8_P12ihipStream_tbDpT10_ENKUlT_T0_E_clISt17integral_constantIbLb0EES1B_IbLb1EEEEDaS17_S18_EUlS17_E_NS1_11comp_targetILNS1_3genE2ELNS1_11target_archE906ELNS1_3gpuE6ELNS1_3repE0EEENS1_30default_config_static_selectorELNS0_4arch9wavefront6targetE0EEEvT1_,comdat
.Lfunc_end1234:
	.size	_ZN7rocprim17ROCPRIM_400000_NS6detail17trampoline_kernelINS0_14default_configENS1_25partition_config_selectorILNS1_17partition_subalgoE9EllbEEZZNS1_14partition_implILS5_9ELb0ES3_jPlS8_PNS0_10empty_typeENS0_5tupleIJS8_S9_EEENSB_IJS8_SA_EEENS0_18inequality_wrapperIZN2at6native12_GLOBAL__N_124unique_dim_cuda_templateIN3c108BFloat16EEESt5tupleIJNSF_6TensorESM_SM_EERKSM_lbbbEUlllE0_EEPmJS9_EEE10hipError_tPvRmT3_T4_T5_T6_T7_T9_mT8_P12ihipStream_tbDpT10_ENKUlT_T0_E_clISt17integral_constantIbLb0EES1B_IbLb1EEEEDaS17_S18_EUlS17_E_NS1_11comp_targetILNS1_3genE2ELNS1_11target_archE906ELNS1_3gpuE6ELNS1_3repE0EEENS1_30default_config_static_selectorELNS0_4arch9wavefront6targetE0EEEvT1_, .Lfunc_end1234-_ZN7rocprim17ROCPRIM_400000_NS6detail17trampoline_kernelINS0_14default_configENS1_25partition_config_selectorILNS1_17partition_subalgoE9EllbEEZZNS1_14partition_implILS5_9ELb0ES3_jPlS8_PNS0_10empty_typeENS0_5tupleIJS8_S9_EEENSB_IJS8_SA_EEENS0_18inequality_wrapperIZN2at6native12_GLOBAL__N_124unique_dim_cuda_templateIN3c108BFloat16EEESt5tupleIJNSF_6TensorESM_SM_EERKSM_lbbbEUlllE0_EEPmJS9_EEE10hipError_tPvRmT3_T4_T5_T6_T7_T9_mT8_P12ihipStream_tbDpT10_ENKUlT_T0_E_clISt17integral_constantIbLb0EES1B_IbLb1EEEEDaS17_S18_EUlS17_E_NS1_11comp_targetILNS1_3genE2ELNS1_11target_archE906ELNS1_3gpuE6ELNS1_3repE0EEENS1_30default_config_static_selectorELNS0_4arch9wavefront6targetE0EEEvT1_
                                        ; -- End function
	.set _ZN7rocprim17ROCPRIM_400000_NS6detail17trampoline_kernelINS0_14default_configENS1_25partition_config_selectorILNS1_17partition_subalgoE9EllbEEZZNS1_14partition_implILS5_9ELb0ES3_jPlS8_PNS0_10empty_typeENS0_5tupleIJS8_S9_EEENSB_IJS8_SA_EEENS0_18inequality_wrapperIZN2at6native12_GLOBAL__N_124unique_dim_cuda_templateIN3c108BFloat16EEESt5tupleIJNSF_6TensorESM_SM_EERKSM_lbbbEUlllE0_EEPmJS9_EEE10hipError_tPvRmT3_T4_T5_T6_T7_T9_mT8_P12ihipStream_tbDpT10_ENKUlT_T0_E_clISt17integral_constantIbLb0EES1B_IbLb1EEEEDaS17_S18_EUlS17_E_NS1_11comp_targetILNS1_3genE2ELNS1_11target_archE906ELNS1_3gpuE6ELNS1_3repE0EEENS1_30default_config_static_selectorELNS0_4arch9wavefront6targetE0EEEvT1_.num_vgpr, 0
	.set _ZN7rocprim17ROCPRIM_400000_NS6detail17trampoline_kernelINS0_14default_configENS1_25partition_config_selectorILNS1_17partition_subalgoE9EllbEEZZNS1_14partition_implILS5_9ELb0ES3_jPlS8_PNS0_10empty_typeENS0_5tupleIJS8_S9_EEENSB_IJS8_SA_EEENS0_18inequality_wrapperIZN2at6native12_GLOBAL__N_124unique_dim_cuda_templateIN3c108BFloat16EEESt5tupleIJNSF_6TensorESM_SM_EERKSM_lbbbEUlllE0_EEPmJS9_EEE10hipError_tPvRmT3_T4_T5_T6_T7_T9_mT8_P12ihipStream_tbDpT10_ENKUlT_T0_E_clISt17integral_constantIbLb0EES1B_IbLb1EEEEDaS17_S18_EUlS17_E_NS1_11comp_targetILNS1_3genE2ELNS1_11target_archE906ELNS1_3gpuE6ELNS1_3repE0EEENS1_30default_config_static_selectorELNS0_4arch9wavefront6targetE0EEEvT1_.num_agpr, 0
	.set _ZN7rocprim17ROCPRIM_400000_NS6detail17trampoline_kernelINS0_14default_configENS1_25partition_config_selectorILNS1_17partition_subalgoE9EllbEEZZNS1_14partition_implILS5_9ELb0ES3_jPlS8_PNS0_10empty_typeENS0_5tupleIJS8_S9_EEENSB_IJS8_SA_EEENS0_18inequality_wrapperIZN2at6native12_GLOBAL__N_124unique_dim_cuda_templateIN3c108BFloat16EEESt5tupleIJNSF_6TensorESM_SM_EERKSM_lbbbEUlllE0_EEPmJS9_EEE10hipError_tPvRmT3_T4_T5_T6_T7_T9_mT8_P12ihipStream_tbDpT10_ENKUlT_T0_E_clISt17integral_constantIbLb0EES1B_IbLb1EEEEDaS17_S18_EUlS17_E_NS1_11comp_targetILNS1_3genE2ELNS1_11target_archE906ELNS1_3gpuE6ELNS1_3repE0EEENS1_30default_config_static_selectorELNS0_4arch9wavefront6targetE0EEEvT1_.numbered_sgpr, 0
	.set _ZN7rocprim17ROCPRIM_400000_NS6detail17trampoline_kernelINS0_14default_configENS1_25partition_config_selectorILNS1_17partition_subalgoE9EllbEEZZNS1_14partition_implILS5_9ELb0ES3_jPlS8_PNS0_10empty_typeENS0_5tupleIJS8_S9_EEENSB_IJS8_SA_EEENS0_18inequality_wrapperIZN2at6native12_GLOBAL__N_124unique_dim_cuda_templateIN3c108BFloat16EEESt5tupleIJNSF_6TensorESM_SM_EERKSM_lbbbEUlllE0_EEPmJS9_EEE10hipError_tPvRmT3_T4_T5_T6_T7_T9_mT8_P12ihipStream_tbDpT10_ENKUlT_T0_E_clISt17integral_constantIbLb0EES1B_IbLb1EEEEDaS17_S18_EUlS17_E_NS1_11comp_targetILNS1_3genE2ELNS1_11target_archE906ELNS1_3gpuE6ELNS1_3repE0EEENS1_30default_config_static_selectorELNS0_4arch9wavefront6targetE0EEEvT1_.num_named_barrier, 0
	.set _ZN7rocprim17ROCPRIM_400000_NS6detail17trampoline_kernelINS0_14default_configENS1_25partition_config_selectorILNS1_17partition_subalgoE9EllbEEZZNS1_14partition_implILS5_9ELb0ES3_jPlS8_PNS0_10empty_typeENS0_5tupleIJS8_S9_EEENSB_IJS8_SA_EEENS0_18inequality_wrapperIZN2at6native12_GLOBAL__N_124unique_dim_cuda_templateIN3c108BFloat16EEESt5tupleIJNSF_6TensorESM_SM_EERKSM_lbbbEUlllE0_EEPmJS9_EEE10hipError_tPvRmT3_T4_T5_T6_T7_T9_mT8_P12ihipStream_tbDpT10_ENKUlT_T0_E_clISt17integral_constantIbLb0EES1B_IbLb1EEEEDaS17_S18_EUlS17_E_NS1_11comp_targetILNS1_3genE2ELNS1_11target_archE906ELNS1_3gpuE6ELNS1_3repE0EEENS1_30default_config_static_selectorELNS0_4arch9wavefront6targetE0EEEvT1_.private_seg_size, 0
	.set _ZN7rocprim17ROCPRIM_400000_NS6detail17trampoline_kernelINS0_14default_configENS1_25partition_config_selectorILNS1_17partition_subalgoE9EllbEEZZNS1_14partition_implILS5_9ELb0ES3_jPlS8_PNS0_10empty_typeENS0_5tupleIJS8_S9_EEENSB_IJS8_SA_EEENS0_18inequality_wrapperIZN2at6native12_GLOBAL__N_124unique_dim_cuda_templateIN3c108BFloat16EEESt5tupleIJNSF_6TensorESM_SM_EERKSM_lbbbEUlllE0_EEPmJS9_EEE10hipError_tPvRmT3_T4_T5_T6_T7_T9_mT8_P12ihipStream_tbDpT10_ENKUlT_T0_E_clISt17integral_constantIbLb0EES1B_IbLb1EEEEDaS17_S18_EUlS17_E_NS1_11comp_targetILNS1_3genE2ELNS1_11target_archE906ELNS1_3gpuE6ELNS1_3repE0EEENS1_30default_config_static_selectorELNS0_4arch9wavefront6targetE0EEEvT1_.uses_vcc, 0
	.set _ZN7rocprim17ROCPRIM_400000_NS6detail17trampoline_kernelINS0_14default_configENS1_25partition_config_selectorILNS1_17partition_subalgoE9EllbEEZZNS1_14partition_implILS5_9ELb0ES3_jPlS8_PNS0_10empty_typeENS0_5tupleIJS8_S9_EEENSB_IJS8_SA_EEENS0_18inequality_wrapperIZN2at6native12_GLOBAL__N_124unique_dim_cuda_templateIN3c108BFloat16EEESt5tupleIJNSF_6TensorESM_SM_EERKSM_lbbbEUlllE0_EEPmJS9_EEE10hipError_tPvRmT3_T4_T5_T6_T7_T9_mT8_P12ihipStream_tbDpT10_ENKUlT_T0_E_clISt17integral_constantIbLb0EES1B_IbLb1EEEEDaS17_S18_EUlS17_E_NS1_11comp_targetILNS1_3genE2ELNS1_11target_archE906ELNS1_3gpuE6ELNS1_3repE0EEENS1_30default_config_static_selectorELNS0_4arch9wavefront6targetE0EEEvT1_.uses_flat_scratch, 0
	.set _ZN7rocprim17ROCPRIM_400000_NS6detail17trampoline_kernelINS0_14default_configENS1_25partition_config_selectorILNS1_17partition_subalgoE9EllbEEZZNS1_14partition_implILS5_9ELb0ES3_jPlS8_PNS0_10empty_typeENS0_5tupleIJS8_S9_EEENSB_IJS8_SA_EEENS0_18inequality_wrapperIZN2at6native12_GLOBAL__N_124unique_dim_cuda_templateIN3c108BFloat16EEESt5tupleIJNSF_6TensorESM_SM_EERKSM_lbbbEUlllE0_EEPmJS9_EEE10hipError_tPvRmT3_T4_T5_T6_T7_T9_mT8_P12ihipStream_tbDpT10_ENKUlT_T0_E_clISt17integral_constantIbLb0EES1B_IbLb1EEEEDaS17_S18_EUlS17_E_NS1_11comp_targetILNS1_3genE2ELNS1_11target_archE906ELNS1_3gpuE6ELNS1_3repE0EEENS1_30default_config_static_selectorELNS0_4arch9wavefront6targetE0EEEvT1_.has_dyn_sized_stack, 0
	.set _ZN7rocprim17ROCPRIM_400000_NS6detail17trampoline_kernelINS0_14default_configENS1_25partition_config_selectorILNS1_17partition_subalgoE9EllbEEZZNS1_14partition_implILS5_9ELb0ES3_jPlS8_PNS0_10empty_typeENS0_5tupleIJS8_S9_EEENSB_IJS8_SA_EEENS0_18inequality_wrapperIZN2at6native12_GLOBAL__N_124unique_dim_cuda_templateIN3c108BFloat16EEESt5tupleIJNSF_6TensorESM_SM_EERKSM_lbbbEUlllE0_EEPmJS9_EEE10hipError_tPvRmT3_T4_T5_T6_T7_T9_mT8_P12ihipStream_tbDpT10_ENKUlT_T0_E_clISt17integral_constantIbLb0EES1B_IbLb1EEEEDaS17_S18_EUlS17_E_NS1_11comp_targetILNS1_3genE2ELNS1_11target_archE906ELNS1_3gpuE6ELNS1_3repE0EEENS1_30default_config_static_selectorELNS0_4arch9wavefront6targetE0EEEvT1_.has_recursion, 0
	.set _ZN7rocprim17ROCPRIM_400000_NS6detail17trampoline_kernelINS0_14default_configENS1_25partition_config_selectorILNS1_17partition_subalgoE9EllbEEZZNS1_14partition_implILS5_9ELb0ES3_jPlS8_PNS0_10empty_typeENS0_5tupleIJS8_S9_EEENSB_IJS8_SA_EEENS0_18inequality_wrapperIZN2at6native12_GLOBAL__N_124unique_dim_cuda_templateIN3c108BFloat16EEESt5tupleIJNSF_6TensorESM_SM_EERKSM_lbbbEUlllE0_EEPmJS9_EEE10hipError_tPvRmT3_T4_T5_T6_T7_T9_mT8_P12ihipStream_tbDpT10_ENKUlT_T0_E_clISt17integral_constantIbLb0EES1B_IbLb1EEEEDaS17_S18_EUlS17_E_NS1_11comp_targetILNS1_3genE2ELNS1_11target_archE906ELNS1_3gpuE6ELNS1_3repE0EEENS1_30default_config_static_selectorELNS0_4arch9wavefront6targetE0EEEvT1_.has_indirect_call, 0
	.section	.AMDGPU.csdata,"",@progbits
; Kernel info:
; codeLenInByte = 0
; TotalNumSgprs: 0
; NumVgprs: 0
; ScratchSize: 0
; MemoryBound: 0
; FloatMode: 240
; IeeeMode: 1
; LDSByteSize: 0 bytes/workgroup (compile time only)
; SGPRBlocks: 0
; VGPRBlocks: 0
; NumSGPRsForWavesPerEU: 1
; NumVGPRsForWavesPerEU: 1
; NamedBarCnt: 0
; Occupancy: 16
; WaveLimiterHint : 0
; COMPUTE_PGM_RSRC2:SCRATCH_EN: 0
; COMPUTE_PGM_RSRC2:USER_SGPR: 2
; COMPUTE_PGM_RSRC2:TRAP_HANDLER: 0
; COMPUTE_PGM_RSRC2:TGID_X_EN: 1
; COMPUTE_PGM_RSRC2:TGID_Y_EN: 0
; COMPUTE_PGM_RSRC2:TGID_Z_EN: 0
; COMPUTE_PGM_RSRC2:TIDIG_COMP_CNT: 0
	.section	.text._ZN7rocprim17ROCPRIM_400000_NS6detail17trampoline_kernelINS0_14default_configENS1_25partition_config_selectorILNS1_17partition_subalgoE9EllbEEZZNS1_14partition_implILS5_9ELb0ES3_jPlS8_PNS0_10empty_typeENS0_5tupleIJS8_S9_EEENSB_IJS8_SA_EEENS0_18inequality_wrapperIZN2at6native12_GLOBAL__N_124unique_dim_cuda_templateIN3c108BFloat16EEESt5tupleIJNSF_6TensorESM_SM_EERKSM_lbbbEUlllE0_EEPmJS9_EEE10hipError_tPvRmT3_T4_T5_T6_T7_T9_mT8_P12ihipStream_tbDpT10_ENKUlT_T0_E_clISt17integral_constantIbLb0EES1B_IbLb1EEEEDaS17_S18_EUlS17_E_NS1_11comp_targetILNS1_3genE10ELNS1_11target_archE1200ELNS1_3gpuE4ELNS1_3repE0EEENS1_30default_config_static_selectorELNS0_4arch9wavefront6targetE0EEEvT1_,"axG",@progbits,_ZN7rocprim17ROCPRIM_400000_NS6detail17trampoline_kernelINS0_14default_configENS1_25partition_config_selectorILNS1_17partition_subalgoE9EllbEEZZNS1_14partition_implILS5_9ELb0ES3_jPlS8_PNS0_10empty_typeENS0_5tupleIJS8_S9_EEENSB_IJS8_SA_EEENS0_18inequality_wrapperIZN2at6native12_GLOBAL__N_124unique_dim_cuda_templateIN3c108BFloat16EEESt5tupleIJNSF_6TensorESM_SM_EERKSM_lbbbEUlllE0_EEPmJS9_EEE10hipError_tPvRmT3_T4_T5_T6_T7_T9_mT8_P12ihipStream_tbDpT10_ENKUlT_T0_E_clISt17integral_constantIbLb0EES1B_IbLb1EEEEDaS17_S18_EUlS17_E_NS1_11comp_targetILNS1_3genE10ELNS1_11target_archE1200ELNS1_3gpuE4ELNS1_3repE0EEENS1_30default_config_static_selectorELNS0_4arch9wavefront6targetE0EEEvT1_,comdat
	.globl	_ZN7rocprim17ROCPRIM_400000_NS6detail17trampoline_kernelINS0_14default_configENS1_25partition_config_selectorILNS1_17partition_subalgoE9EllbEEZZNS1_14partition_implILS5_9ELb0ES3_jPlS8_PNS0_10empty_typeENS0_5tupleIJS8_S9_EEENSB_IJS8_SA_EEENS0_18inequality_wrapperIZN2at6native12_GLOBAL__N_124unique_dim_cuda_templateIN3c108BFloat16EEESt5tupleIJNSF_6TensorESM_SM_EERKSM_lbbbEUlllE0_EEPmJS9_EEE10hipError_tPvRmT3_T4_T5_T6_T7_T9_mT8_P12ihipStream_tbDpT10_ENKUlT_T0_E_clISt17integral_constantIbLb0EES1B_IbLb1EEEEDaS17_S18_EUlS17_E_NS1_11comp_targetILNS1_3genE10ELNS1_11target_archE1200ELNS1_3gpuE4ELNS1_3repE0EEENS1_30default_config_static_selectorELNS0_4arch9wavefront6targetE0EEEvT1_ ; -- Begin function _ZN7rocprim17ROCPRIM_400000_NS6detail17trampoline_kernelINS0_14default_configENS1_25partition_config_selectorILNS1_17partition_subalgoE9EllbEEZZNS1_14partition_implILS5_9ELb0ES3_jPlS8_PNS0_10empty_typeENS0_5tupleIJS8_S9_EEENSB_IJS8_SA_EEENS0_18inequality_wrapperIZN2at6native12_GLOBAL__N_124unique_dim_cuda_templateIN3c108BFloat16EEESt5tupleIJNSF_6TensorESM_SM_EERKSM_lbbbEUlllE0_EEPmJS9_EEE10hipError_tPvRmT3_T4_T5_T6_T7_T9_mT8_P12ihipStream_tbDpT10_ENKUlT_T0_E_clISt17integral_constantIbLb0EES1B_IbLb1EEEEDaS17_S18_EUlS17_E_NS1_11comp_targetILNS1_3genE10ELNS1_11target_archE1200ELNS1_3gpuE4ELNS1_3repE0EEENS1_30default_config_static_selectorELNS0_4arch9wavefront6targetE0EEEvT1_
	.p2align	8
	.type	_ZN7rocprim17ROCPRIM_400000_NS6detail17trampoline_kernelINS0_14default_configENS1_25partition_config_selectorILNS1_17partition_subalgoE9EllbEEZZNS1_14partition_implILS5_9ELb0ES3_jPlS8_PNS0_10empty_typeENS0_5tupleIJS8_S9_EEENSB_IJS8_SA_EEENS0_18inequality_wrapperIZN2at6native12_GLOBAL__N_124unique_dim_cuda_templateIN3c108BFloat16EEESt5tupleIJNSF_6TensorESM_SM_EERKSM_lbbbEUlllE0_EEPmJS9_EEE10hipError_tPvRmT3_T4_T5_T6_T7_T9_mT8_P12ihipStream_tbDpT10_ENKUlT_T0_E_clISt17integral_constantIbLb0EES1B_IbLb1EEEEDaS17_S18_EUlS17_E_NS1_11comp_targetILNS1_3genE10ELNS1_11target_archE1200ELNS1_3gpuE4ELNS1_3repE0EEENS1_30default_config_static_selectorELNS0_4arch9wavefront6targetE0EEEvT1_,@function
_ZN7rocprim17ROCPRIM_400000_NS6detail17trampoline_kernelINS0_14default_configENS1_25partition_config_selectorILNS1_17partition_subalgoE9EllbEEZZNS1_14partition_implILS5_9ELb0ES3_jPlS8_PNS0_10empty_typeENS0_5tupleIJS8_S9_EEENSB_IJS8_SA_EEENS0_18inequality_wrapperIZN2at6native12_GLOBAL__N_124unique_dim_cuda_templateIN3c108BFloat16EEESt5tupleIJNSF_6TensorESM_SM_EERKSM_lbbbEUlllE0_EEPmJS9_EEE10hipError_tPvRmT3_T4_T5_T6_T7_T9_mT8_P12ihipStream_tbDpT10_ENKUlT_T0_E_clISt17integral_constantIbLb0EES1B_IbLb1EEEEDaS17_S18_EUlS17_E_NS1_11comp_targetILNS1_3genE10ELNS1_11target_archE1200ELNS1_3gpuE4ELNS1_3repE0EEENS1_30default_config_static_selectorELNS0_4arch9wavefront6targetE0EEEvT1_: ; @_ZN7rocprim17ROCPRIM_400000_NS6detail17trampoline_kernelINS0_14default_configENS1_25partition_config_selectorILNS1_17partition_subalgoE9EllbEEZZNS1_14partition_implILS5_9ELb0ES3_jPlS8_PNS0_10empty_typeENS0_5tupleIJS8_S9_EEENSB_IJS8_SA_EEENS0_18inequality_wrapperIZN2at6native12_GLOBAL__N_124unique_dim_cuda_templateIN3c108BFloat16EEESt5tupleIJNSF_6TensorESM_SM_EERKSM_lbbbEUlllE0_EEPmJS9_EEE10hipError_tPvRmT3_T4_T5_T6_T7_T9_mT8_P12ihipStream_tbDpT10_ENKUlT_T0_E_clISt17integral_constantIbLb0EES1B_IbLb1EEEEDaS17_S18_EUlS17_E_NS1_11comp_targetILNS1_3genE10ELNS1_11target_archE1200ELNS1_3gpuE4ELNS1_3repE0EEENS1_30default_config_static_selectorELNS0_4arch9wavefront6targetE0EEEvT1_
; %bb.0:
	.section	.rodata,"a",@progbits
	.p2align	6, 0x0
	.amdhsa_kernel _ZN7rocprim17ROCPRIM_400000_NS6detail17trampoline_kernelINS0_14default_configENS1_25partition_config_selectorILNS1_17partition_subalgoE9EllbEEZZNS1_14partition_implILS5_9ELb0ES3_jPlS8_PNS0_10empty_typeENS0_5tupleIJS8_S9_EEENSB_IJS8_SA_EEENS0_18inequality_wrapperIZN2at6native12_GLOBAL__N_124unique_dim_cuda_templateIN3c108BFloat16EEESt5tupleIJNSF_6TensorESM_SM_EERKSM_lbbbEUlllE0_EEPmJS9_EEE10hipError_tPvRmT3_T4_T5_T6_T7_T9_mT8_P12ihipStream_tbDpT10_ENKUlT_T0_E_clISt17integral_constantIbLb0EES1B_IbLb1EEEEDaS17_S18_EUlS17_E_NS1_11comp_targetILNS1_3genE10ELNS1_11target_archE1200ELNS1_3gpuE4ELNS1_3repE0EEENS1_30default_config_static_selectorELNS0_4arch9wavefront6targetE0EEEvT1_
		.amdhsa_group_segment_fixed_size 0
		.amdhsa_private_segment_fixed_size 0
		.amdhsa_kernarg_size 136
		.amdhsa_user_sgpr_count 2
		.amdhsa_user_sgpr_dispatch_ptr 0
		.amdhsa_user_sgpr_queue_ptr 0
		.amdhsa_user_sgpr_kernarg_segment_ptr 1
		.amdhsa_user_sgpr_dispatch_id 0
		.amdhsa_user_sgpr_kernarg_preload_length 0
		.amdhsa_user_sgpr_kernarg_preload_offset 0
		.amdhsa_user_sgpr_private_segment_size 0
		.amdhsa_wavefront_size32 1
		.amdhsa_uses_dynamic_stack 0
		.amdhsa_enable_private_segment 0
		.amdhsa_system_sgpr_workgroup_id_x 1
		.amdhsa_system_sgpr_workgroup_id_y 0
		.amdhsa_system_sgpr_workgroup_id_z 0
		.amdhsa_system_sgpr_workgroup_info 0
		.amdhsa_system_vgpr_workitem_id 0
		.amdhsa_next_free_vgpr 1
		.amdhsa_next_free_sgpr 1
		.amdhsa_named_barrier_count 0
		.amdhsa_reserve_vcc 0
		.amdhsa_float_round_mode_32 0
		.amdhsa_float_round_mode_16_64 0
		.amdhsa_float_denorm_mode_32 3
		.amdhsa_float_denorm_mode_16_64 3
		.amdhsa_fp16_overflow 0
		.amdhsa_memory_ordered 1
		.amdhsa_forward_progress 1
		.amdhsa_inst_pref_size 0
		.amdhsa_round_robin_scheduling 0
		.amdhsa_exception_fp_ieee_invalid_op 0
		.amdhsa_exception_fp_denorm_src 0
		.amdhsa_exception_fp_ieee_div_zero 0
		.amdhsa_exception_fp_ieee_overflow 0
		.amdhsa_exception_fp_ieee_underflow 0
		.amdhsa_exception_fp_ieee_inexact 0
		.amdhsa_exception_int_div_zero 0
	.end_amdhsa_kernel
	.section	.text._ZN7rocprim17ROCPRIM_400000_NS6detail17trampoline_kernelINS0_14default_configENS1_25partition_config_selectorILNS1_17partition_subalgoE9EllbEEZZNS1_14partition_implILS5_9ELb0ES3_jPlS8_PNS0_10empty_typeENS0_5tupleIJS8_S9_EEENSB_IJS8_SA_EEENS0_18inequality_wrapperIZN2at6native12_GLOBAL__N_124unique_dim_cuda_templateIN3c108BFloat16EEESt5tupleIJNSF_6TensorESM_SM_EERKSM_lbbbEUlllE0_EEPmJS9_EEE10hipError_tPvRmT3_T4_T5_T6_T7_T9_mT8_P12ihipStream_tbDpT10_ENKUlT_T0_E_clISt17integral_constantIbLb0EES1B_IbLb1EEEEDaS17_S18_EUlS17_E_NS1_11comp_targetILNS1_3genE10ELNS1_11target_archE1200ELNS1_3gpuE4ELNS1_3repE0EEENS1_30default_config_static_selectorELNS0_4arch9wavefront6targetE0EEEvT1_,"axG",@progbits,_ZN7rocprim17ROCPRIM_400000_NS6detail17trampoline_kernelINS0_14default_configENS1_25partition_config_selectorILNS1_17partition_subalgoE9EllbEEZZNS1_14partition_implILS5_9ELb0ES3_jPlS8_PNS0_10empty_typeENS0_5tupleIJS8_S9_EEENSB_IJS8_SA_EEENS0_18inequality_wrapperIZN2at6native12_GLOBAL__N_124unique_dim_cuda_templateIN3c108BFloat16EEESt5tupleIJNSF_6TensorESM_SM_EERKSM_lbbbEUlllE0_EEPmJS9_EEE10hipError_tPvRmT3_T4_T5_T6_T7_T9_mT8_P12ihipStream_tbDpT10_ENKUlT_T0_E_clISt17integral_constantIbLb0EES1B_IbLb1EEEEDaS17_S18_EUlS17_E_NS1_11comp_targetILNS1_3genE10ELNS1_11target_archE1200ELNS1_3gpuE4ELNS1_3repE0EEENS1_30default_config_static_selectorELNS0_4arch9wavefront6targetE0EEEvT1_,comdat
.Lfunc_end1235:
	.size	_ZN7rocprim17ROCPRIM_400000_NS6detail17trampoline_kernelINS0_14default_configENS1_25partition_config_selectorILNS1_17partition_subalgoE9EllbEEZZNS1_14partition_implILS5_9ELb0ES3_jPlS8_PNS0_10empty_typeENS0_5tupleIJS8_S9_EEENSB_IJS8_SA_EEENS0_18inequality_wrapperIZN2at6native12_GLOBAL__N_124unique_dim_cuda_templateIN3c108BFloat16EEESt5tupleIJNSF_6TensorESM_SM_EERKSM_lbbbEUlllE0_EEPmJS9_EEE10hipError_tPvRmT3_T4_T5_T6_T7_T9_mT8_P12ihipStream_tbDpT10_ENKUlT_T0_E_clISt17integral_constantIbLb0EES1B_IbLb1EEEEDaS17_S18_EUlS17_E_NS1_11comp_targetILNS1_3genE10ELNS1_11target_archE1200ELNS1_3gpuE4ELNS1_3repE0EEENS1_30default_config_static_selectorELNS0_4arch9wavefront6targetE0EEEvT1_, .Lfunc_end1235-_ZN7rocprim17ROCPRIM_400000_NS6detail17trampoline_kernelINS0_14default_configENS1_25partition_config_selectorILNS1_17partition_subalgoE9EllbEEZZNS1_14partition_implILS5_9ELb0ES3_jPlS8_PNS0_10empty_typeENS0_5tupleIJS8_S9_EEENSB_IJS8_SA_EEENS0_18inequality_wrapperIZN2at6native12_GLOBAL__N_124unique_dim_cuda_templateIN3c108BFloat16EEESt5tupleIJNSF_6TensorESM_SM_EERKSM_lbbbEUlllE0_EEPmJS9_EEE10hipError_tPvRmT3_T4_T5_T6_T7_T9_mT8_P12ihipStream_tbDpT10_ENKUlT_T0_E_clISt17integral_constantIbLb0EES1B_IbLb1EEEEDaS17_S18_EUlS17_E_NS1_11comp_targetILNS1_3genE10ELNS1_11target_archE1200ELNS1_3gpuE4ELNS1_3repE0EEENS1_30default_config_static_selectorELNS0_4arch9wavefront6targetE0EEEvT1_
                                        ; -- End function
	.set _ZN7rocprim17ROCPRIM_400000_NS6detail17trampoline_kernelINS0_14default_configENS1_25partition_config_selectorILNS1_17partition_subalgoE9EllbEEZZNS1_14partition_implILS5_9ELb0ES3_jPlS8_PNS0_10empty_typeENS0_5tupleIJS8_S9_EEENSB_IJS8_SA_EEENS0_18inequality_wrapperIZN2at6native12_GLOBAL__N_124unique_dim_cuda_templateIN3c108BFloat16EEESt5tupleIJNSF_6TensorESM_SM_EERKSM_lbbbEUlllE0_EEPmJS9_EEE10hipError_tPvRmT3_T4_T5_T6_T7_T9_mT8_P12ihipStream_tbDpT10_ENKUlT_T0_E_clISt17integral_constantIbLb0EES1B_IbLb1EEEEDaS17_S18_EUlS17_E_NS1_11comp_targetILNS1_3genE10ELNS1_11target_archE1200ELNS1_3gpuE4ELNS1_3repE0EEENS1_30default_config_static_selectorELNS0_4arch9wavefront6targetE0EEEvT1_.num_vgpr, 0
	.set _ZN7rocprim17ROCPRIM_400000_NS6detail17trampoline_kernelINS0_14default_configENS1_25partition_config_selectorILNS1_17partition_subalgoE9EllbEEZZNS1_14partition_implILS5_9ELb0ES3_jPlS8_PNS0_10empty_typeENS0_5tupleIJS8_S9_EEENSB_IJS8_SA_EEENS0_18inequality_wrapperIZN2at6native12_GLOBAL__N_124unique_dim_cuda_templateIN3c108BFloat16EEESt5tupleIJNSF_6TensorESM_SM_EERKSM_lbbbEUlllE0_EEPmJS9_EEE10hipError_tPvRmT3_T4_T5_T6_T7_T9_mT8_P12ihipStream_tbDpT10_ENKUlT_T0_E_clISt17integral_constantIbLb0EES1B_IbLb1EEEEDaS17_S18_EUlS17_E_NS1_11comp_targetILNS1_3genE10ELNS1_11target_archE1200ELNS1_3gpuE4ELNS1_3repE0EEENS1_30default_config_static_selectorELNS0_4arch9wavefront6targetE0EEEvT1_.num_agpr, 0
	.set _ZN7rocprim17ROCPRIM_400000_NS6detail17trampoline_kernelINS0_14default_configENS1_25partition_config_selectorILNS1_17partition_subalgoE9EllbEEZZNS1_14partition_implILS5_9ELb0ES3_jPlS8_PNS0_10empty_typeENS0_5tupleIJS8_S9_EEENSB_IJS8_SA_EEENS0_18inequality_wrapperIZN2at6native12_GLOBAL__N_124unique_dim_cuda_templateIN3c108BFloat16EEESt5tupleIJNSF_6TensorESM_SM_EERKSM_lbbbEUlllE0_EEPmJS9_EEE10hipError_tPvRmT3_T4_T5_T6_T7_T9_mT8_P12ihipStream_tbDpT10_ENKUlT_T0_E_clISt17integral_constantIbLb0EES1B_IbLb1EEEEDaS17_S18_EUlS17_E_NS1_11comp_targetILNS1_3genE10ELNS1_11target_archE1200ELNS1_3gpuE4ELNS1_3repE0EEENS1_30default_config_static_selectorELNS0_4arch9wavefront6targetE0EEEvT1_.numbered_sgpr, 0
	.set _ZN7rocprim17ROCPRIM_400000_NS6detail17trampoline_kernelINS0_14default_configENS1_25partition_config_selectorILNS1_17partition_subalgoE9EllbEEZZNS1_14partition_implILS5_9ELb0ES3_jPlS8_PNS0_10empty_typeENS0_5tupleIJS8_S9_EEENSB_IJS8_SA_EEENS0_18inequality_wrapperIZN2at6native12_GLOBAL__N_124unique_dim_cuda_templateIN3c108BFloat16EEESt5tupleIJNSF_6TensorESM_SM_EERKSM_lbbbEUlllE0_EEPmJS9_EEE10hipError_tPvRmT3_T4_T5_T6_T7_T9_mT8_P12ihipStream_tbDpT10_ENKUlT_T0_E_clISt17integral_constantIbLb0EES1B_IbLb1EEEEDaS17_S18_EUlS17_E_NS1_11comp_targetILNS1_3genE10ELNS1_11target_archE1200ELNS1_3gpuE4ELNS1_3repE0EEENS1_30default_config_static_selectorELNS0_4arch9wavefront6targetE0EEEvT1_.num_named_barrier, 0
	.set _ZN7rocprim17ROCPRIM_400000_NS6detail17trampoline_kernelINS0_14default_configENS1_25partition_config_selectorILNS1_17partition_subalgoE9EllbEEZZNS1_14partition_implILS5_9ELb0ES3_jPlS8_PNS0_10empty_typeENS0_5tupleIJS8_S9_EEENSB_IJS8_SA_EEENS0_18inequality_wrapperIZN2at6native12_GLOBAL__N_124unique_dim_cuda_templateIN3c108BFloat16EEESt5tupleIJNSF_6TensorESM_SM_EERKSM_lbbbEUlllE0_EEPmJS9_EEE10hipError_tPvRmT3_T4_T5_T6_T7_T9_mT8_P12ihipStream_tbDpT10_ENKUlT_T0_E_clISt17integral_constantIbLb0EES1B_IbLb1EEEEDaS17_S18_EUlS17_E_NS1_11comp_targetILNS1_3genE10ELNS1_11target_archE1200ELNS1_3gpuE4ELNS1_3repE0EEENS1_30default_config_static_selectorELNS0_4arch9wavefront6targetE0EEEvT1_.private_seg_size, 0
	.set _ZN7rocprim17ROCPRIM_400000_NS6detail17trampoline_kernelINS0_14default_configENS1_25partition_config_selectorILNS1_17partition_subalgoE9EllbEEZZNS1_14partition_implILS5_9ELb0ES3_jPlS8_PNS0_10empty_typeENS0_5tupleIJS8_S9_EEENSB_IJS8_SA_EEENS0_18inequality_wrapperIZN2at6native12_GLOBAL__N_124unique_dim_cuda_templateIN3c108BFloat16EEESt5tupleIJNSF_6TensorESM_SM_EERKSM_lbbbEUlllE0_EEPmJS9_EEE10hipError_tPvRmT3_T4_T5_T6_T7_T9_mT8_P12ihipStream_tbDpT10_ENKUlT_T0_E_clISt17integral_constantIbLb0EES1B_IbLb1EEEEDaS17_S18_EUlS17_E_NS1_11comp_targetILNS1_3genE10ELNS1_11target_archE1200ELNS1_3gpuE4ELNS1_3repE0EEENS1_30default_config_static_selectorELNS0_4arch9wavefront6targetE0EEEvT1_.uses_vcc, 0
	.set _ZN7rocprim17ROCPRIM_400000_NS6detail17trampoline_kernelINS0_14default_configENS1_25partition_config_selectorILNS1_17partition_subalgoE9EllbEEZZNS1_14partition_implILS5_9ELb0ES3_jPlS8_PNS0_10empty_typeENS0_5tupleIJS8_S9_EEENSB_IJS8_SA_EEENS0_18inequality_wrapperIZN2at6native12_GLOBAL__N_124unique_dim_cuda_templateIN3c108BFloat16EEESt5tupleIJNSF_6TensorESM_SM_EERKSM_lbbbEUlllE0_EEPmJS9_EEE10hipError_tPvRmT3_T4_T5_T6_T7_T9_mT8_P12ihipStream_tbDpT10_ENKUlT_T0_E_clISt17integral_constantIbLb0EES1B_IbLb1EEEEDaS17_S18_EUlS17_E_NS1_11comp_targetILNS1_3genE10ELNS1_11target_archE1200ELNS1_3gpuE4ELNS1_3repE0EEENS1_30default_config_static_selectorELNS0_4arch9wavefront6targetE0EEEvT1_.uses_flat_scratch, 0
	.set _ZN7rocprim17ROCPRIM_400000_NS6detail17trampoline_kernelINS0_14default_configENS1_25partition_config_selectorILNS1_17partition_subalgoE9EllbEEZZNS1_14partition_implILS5_9ELb0ES3_jPlS8_PNS0_10empty_typeENS0_5tupleIJS8_S9_EEENSB_IJS8_SA_EEENS0_18inequality_wrapperIZN2at6native12_GLOBAL__N_124unique_dim_cuda_templateIN3c108BFloat16EEESt5tupleIJNSF_6TensorESM_SM_EERKSM_lbbbEUlllE0_EEPmJS9_EEE10hipError_tPvRmT3_T4_T5_T6_T7_T9_mT8_P12ihipStream_tbDpT10_ENKUlT_T0_E_clISt17integral_constantIbLb0EES1B_IbLb1EEEEDaS17_S18_EUlS17_E_NS1_11comp_targetILNS1_3genE10ELNS1_11target_archE1200ELNS1_3gpuE4ELNS1_3repE0EEENS1_30default_config_static_selectorELNS0_4arch9wavefront6targetE0EEEvT1_.has_dyn_sized_stack, 0
	.set _ZN7rocprim17ROCPRIM_400000_NS6detail17trampoline_kernelINS0_14default_configENS1_25partition_config_selectorILNS1_17partition_subalgoE9EllbEEZZNS1_14partition_implILS5_9ELb0ES3_jPlS8_PNS0_10empty_typeENS0_5tupleIJS8_S9_EEENSB_IJS8_SA_EEENS0_18inequality_wrapperIZN2at6native12_GLOBAL__N_124unique_dim_cuda_templateIN3c108BFloat16EEESt5tupleIJNSF_6TensorESM_SM_EERKSM_lbbbEUlllE0_EEPmJS9_EEE10hipError_tPvRmT3_T4_T5_T6_T7_T9_mT8_P12ihipStream_tbDpT10_ENKUlT_T0_E_clISt17integral_constantIbLb0EES1B_IbLb1EEEEDaS17_S18_EUlS17_E_NS1_11comp_targetILNS1_3genE10ELNS1_11target_archE1200ELNS1_3gpuE4ELNS1_3repE0EEENS1_30default_config_static_selectorELNS0_4arch9wavefront6targetE0EEEvT1_.has_recursion, 0
	.set _ZN7rocprim17ROCPRIM_400000_NS6detail17trampoline_kernelINS0_14default_configENS1_25partition_config_selectorILNS1_17partition_subalgoE9EllbEEZZNS1_14partition_implILS5_9ELb0ES3_jPlS8_PNS0_10empty_typeENS0_5tupleIJS8_S9_EEENSB_IJS8_SA_EEENS0_18inequality_wrapperIZN2at6native12_GLOBAL__N_124unique_dim_cuda_templateIN3c108BFloat16EEESt5tupleIJNSF_6TensorESM_SM_EERKSM_lbbbEUlllE0_EEPmJS9_EEE10hipError_tPvRmT3_T4_T5_T6_T7_T9_mT8_P12ihipStream_tbDpT10_ENKUlT_T0_E_clISt17integral_constantIbLb0EES1B_IbLb1EEEEDaS17_S18_EUlS17_E_NS1_11comp_targetILNS1_3genE10ELNS1_11target_archE1200ELNS1_3gpuE4ELNS1_3repE0EEENS1_30default_config_static_selectorELNS0_4arch9wavefront6targetE0EEEvT1_.has_indirect_call, 0
	.section	.AMDGPU.csdata,"",@progbits
; Kernel info:
; codeLenInByte = 0
; TotalNumSgprs: 0
; NumVgprs: 0
; ScratchSize: 0
; MemoryBound: 0
; FloatMode: 240
; IeeeMode: 1
; LDSByteSize: 0 bytes/workgroup (compile time only)
; SGPRBlocks: 0
; VGPRBlocks: 0
; NumSGPRsForWavesPerEU: 1
; NumVGPRsForWavesPerEU: 1
; NamedBarCnt: 0
; Occupancy: 16
; WaveLimiterHint : 0
; COMPUTE_PGM_RSRC2:SCRATCH_EN: 0
; COMPUTE_PGM_RSRC2:USER_SGPR: 2
; COMPUTE_PGM_RSRC2:TRAP_HANDLER: 0
; COMPUTE_PGM_RSRC2:TGID_X_EN: 1
; COMPUTE_PGM_RSRC2:TGID_Y_EN: 0
; COMPUTE_PGM_RSRC2:TGID_Z_EN: 0
; COMPUTE_PGM_RSRC2:TIDIG_COMP_CNT: 0
	.section	.text._ZN7rocprim17ROCPRIM_400000_NS6detail17trampoline_kernelINS0_14default_configENS1_25partition_config_selectorILNS1_17partition_subalgoE9EllbEEZZNS1_14partition_implILS5_9ELb0ES3_jPlS8_PNS0_10empty_typeENS0_5tupleIJS8_S9_EEENSB_IJS8_SA_EEENS0_18inequality_wrapperIZN2at6native12_GLOBAL__N_124unique_dim_cuda_templateIN3c108BFloat16EEESt5tupleIJNSF_6TensorESM_SM_EERKSM_lbbbEUlllE0_EEPmJS9_EEE10hipError_tPvRmT3_T4_T5_T6_T7_T9_mT8_P12ihipStream_tbDpT10_ENKUlT_T0_E_clISt17integral_constantIbLb0EES1B_IbLb1EEEEDaS17_S18_EUlS17_E_NS1_11comp_targetILNS1_3genE9ELNS1_11target_archE1100ELNS1_3gpuE3ELNS1_3repE0EEENS1_30default_config_static_selectorELNS0_4arch9wavefront6targetE0EEEvT1_,"axG",@progbits,_ZN7rocprim17ROCPRIM_400000_NS6detail17trampoline_kernelINS0_14default_configENS1_25partition_config_selectorILNS1_17partition_subalgoE9EllbEEZZNS1_14partition_implILS5_9ELb0ES3_jPlS8_PNS0_10empty_typeENS0_5tupleIJS8_S9_EEENSB_IJS8_SA_EEENS0_18inequality_wrapperIZN2at6native12_GLOBAL__N_124unique_dim_cuda_templateIN3c108BFloat16EEESt5tupleIJNSF_6TensorESM_SM_EERKSM_lbbbEUlllE0_EEPmJS9_EEE10hipError_tPvRmT3_T4_T5_T6_T7_T9_mT8_P12ihipStream_tbDpT10_ENKUlT_T0_E_clISt17integral_constantIbLb0EES1B_IbLb1EEEEDaS17_S18_EUlS17_E_NS1_11comp_targetILNS1_3genE9ELNS1_11target_archE1100ELNS1_3gpuE3ELNS1_3repE0EEENS1_30default_config_static_selectorELNS0_4arch9wavefront6targetE0EEEvT1_,comdat
	.globl	_ZN7rocprim17ROCPRIM_400000_NS6detail17trampoline_kernelINS0_14default_configENS1_25partition_config_selectorILNS1_17partition_subalgoE9EllbEEZZNS1_14partition_implILS5_9ELb0ES3_jPlS8_PNS0_10empty_typeENS0_5tupleIJS8_S9_EEENSB_IJS8_SA_EEENS0_18inequality_wrapperIZN2at6native12_GLOBAL__N_124unique_dim_cuda_templateIN3c108BFloat16EEESt5tupleIJNSF_6TensorESM_SM_EERKSM_lbbbEUlllE0_EEPmJS9_EEE10hipError_tPvRmT3_T4_T5_T6_T7_T9_mT8_P12ihipStream_tbDpT10_ENKUlT_T0_E_clISt17integral_constantIbLb0EES1B_IbLb1EEEEDaS17_S18_EUlS17_E_NS1_11comp_targetILNS1_3genE9ELNS1_11target_archE1100ELNS1_3gpuE3ELNS1_3repE0EEENS1_30default_config_static_selectorELNS0_4arch9wavefront6targetE0EEEvT1_ ; -- Begin function _ZN7rocprim17ROCPRIM_400000_NS6detail17trampoline_kernelINS0_14default_configENS1_25partition_config_selectorILNS1_17partition_subalgoE9EllbEEZZNS1_14partition_implILS5_9ELb0ES3_jPlS8_PNS0_10empty_typeENS0_5tupleIJS8_S9_EEENSB_IJS8_SA_EEENS0_18inequality_wrapperIZN2at6native12_GLOBAL__N_124unique_dim_cuda_templateIN3c108BFloat16EEESt5tupleIJNSF_6TensorESM_SM_EERKSM_lbbbEUlllE0_EEPmJS9_EEE10hipError_tPvRmT3_T4_T5_T6_T7_T9_mT8_P12ihipStream_tbDpT10_ENKUlT_T0_E_clISt17integral_constantIbLb0EES1B_IbLb1EEEEDaS17_S18_EUlS17_E_NS1_11comp_targetILNS1_3genE9ELNS1_11target_archE1100ELNS1_3gpuE3ELNS1_3repE0EEENS1_30default_config_static_selectorELNS0_4arch9wavefront6targetE0EEEvT1_
	.p2align	8
	.type	_ZN7rocprim17ROCPRIM_400000_NS6detail17trampoline_kernelINS0_14default_configENS1_25partition_config_selectorILNS1_17partition_subalgoE9EllbEEZZNS1_14partition_implILS5_9ELb0ES3_jPlS8_PNS0_10empty_typeENS0_5tupleIJS8_S9_EEENSB_IJS8_SA_EEENS0_18inequality_wrapperIZN2at6native12_GLOBAL__N_124unique_dim_cuda_templateIN3c108BFloat16EEESt5tupleIJNSF_6TensorESM_SM_EERKSM_lbbbEUlllE0_EEPmJS9_EEE10hipError_tPvRmT3_T4_T5_T6_T7_T9_mT8_P12ihipStream_tbDpT10_ENKUlT_T0_E_clISt17integral_constantIbLb0EES1B_IbLb1EEEEDaS17_S18_EUlS17_E_NS1_11comp_targetILNS1_3genE9ELNS1_11target_archE1100ELNS1_3gpuE3ELNS1_3repE0EEENS1_30default_config_static_selectorELNS0_4arch9wavefront6targetE0EEEvT1_,@function
_ZN7rocprim17ROCPRIM_400000_NS6detail17trampoline_kernelINS0_14default_configENS1_25partition_config_selectorILNS1_17partition_subalgoE9EllbEEZZNS1_14partition_implILS5_9ELb0ES3_jPlS8_PNS0_10empty_typeENS0_5tupleIJS8_S9_EEENSB_IJS8_SA_EEENS0_18inequality_wrapperIZN2at6native12_GLOBAL__N_124unique_dim_cuda_templateIN3c108BFloat16EEESt5tupleIJNSF_6TensorESM_SM_EERKSM_lbbbEUlllE0_EEPmJS9_EEE10hipError_tPvRmT3_T4_T5_T6_T7_T9_mT8_P12ihipStream_tbDpT10_ENKUlT_T0_E_clISt17integral_constantIbLb0EES1B_IbLb1EEEEDaS17_S18_EUlS17_E_NS1_11comp_targetILNS1_3genE9ELNS1_11target_archE1100ELNS1_3gpuE3ELNS1_3repE0EEENS1_30default_config_static_selectorELNS0_4arch9wavefront6targetE0EEEvT1_: ; @_ZN7rocprim17ROCPRIM_400000_NS6detail17trampoline_kernelINS0_14default_configENS1_25partition_config_selectorILNS1_17partition_subalgoE9EllbEEZZNS1_14partition_implILS5_9ELb0ES3_jPlS8_PNS0_10empty_typeENS0_5tupleIJS8_S9_EEENSB_IJS8_SA_EEENS0_18inequality_wrapperIZN2at6native12_GLOBAL__N_124unique_dim_cuda_templateIN3c108BFloat16EEESt5tupleIJNSF_6TensorESM_SM_EERKSM_lbbbEUlllE0_EEPmJS9_EEE10hipError_tPvRmT3_T4_T5_T6_T7_T9_mT8_P12ihipStream_tbDpT10_ENKUlT_T0_E_clISt17integral_constantIbLb0EES1B_IbLb1EEEEDaS17_S18_EUlS17_E_NS1_11comp_targetILNS1_3genE9ELNS1_11target_archE1100ELNS1_3gpuE3ELNS1_3repE0EEENS1_30default_config_static_selectorELNS0_4arch9wavefront6targetE0EEEvT1_
; %bb.0:
	.section	.rodata,"a",@progbits
	.p2align	6, 0x0
	.amdhsa_kernel _ZN7rocprim17ROCPRIM_400000_NS6detail17trampoline_kernelINS0_14default_configENS1_25partition_config_selectorILNS1_17partition_subalgoE9EllbEEZZNS1_14partition_implILS5_9ELb0ES3_jPlS8_PNS0_10empty_typeENS0_5tupleIJS8_S9_EEENSB_IJS8_SA_EEENS0_18inequality_wrapperIZN2at6native12_GLOBAL__N_124unique_dim_cuda_templateIN3c108BFloat16EEESt5tupleIJNSF_6TensorESM_SM_EERKSM_lbbbEUlllE0_EEPmJS9_EEE10hipError_tPvRmT3_T4_T5_T6_T7_T9_mT8_P12ihipStream_tbDpT10_ENKUlT_T0_E_clISt17integral_constantIbLb0EES1B_IbLb1EEEEDaS17_S18_EUlS17_E_NS1_11comp_targetILNS1_3genE9ELNS1_11target_archE1100ELNS1_3gpuE3ELNS1_3repE0EEENS1_30default_config_static_selectorELNS0_4arch9wavefront6targetE0EEEvT1_
		.amdhsa_group_segment_fixed_size 0
		.amdhsa_private_segment_fixed_size 0
		.amdhsa_kernarg_size 136
		.amdhsa_user_sgpr_count 2
		.amdhsa_user_sgpr_dispatch_ptr 0
		.amdhsa_user_sgpr_queue_ptr 0
		.amdhsa_user_sgpr_kernarg_segment_ptr 1
		.amdhsa_user_sgpr_dispatch_id 0
		.amdhsa_user_sgpr_kernarg_preload_length 0
		.amdhsa_user_sgpr_kernarg_preload_offset 0
		.amdhsa_user_sgpr_private_segment_size 0
		.amdhsa_wavefront_size32 1
		.amdhsa_uses_dynamic_stack 0
		.amdhsa_enable_private_segment 0
		.amdhsa_system_sgpr_workgroup_id_x 1
		.amdhsa_system_sgpr_workgroup_id_y 0
		.amdhsa_system_sgpr_workgroup_id_z 0
		.amdhsa_system_sgpr_workgroup_info 0
		.amdhsa_system_vgpr_workitem_id 0
		.amdhsa_next_free_vgpr 1
		.amdhsa_next_free_sgpr 1
		.amdhsa_named_barrier_count 0
		.amdhsa_reserve_vcc 0
		.amdhsa_float_round_mode_32 0
		.amdhsa_float_round_mode_16_64 0
		.amdhsa_float_denorm_mode_32 3
		.amdhsa_float_denorm_mode_16_64 3
		.amdhsa_fp16_overflow 0
		.amdhsa_memory_ordered 1
		.amdhsa_forward_progress 1
		.amdhsa_inst_pref_size 0
		.amdhsa_round_robin_scheduling 0
		.amdhsa_exception_fp_ieee_invalid_op 0
		.amdhsa_exception_fp_denorm_src 0
		.amdhsa_exception_fp_ieee_div_zero 0
		.amdhsa_exception_fp_ieee_overflow 0
		.amdhsa_exception_fp_ieee_underflow 0
		.amdhsa_exception_fp_ieee_inexact 0
		.amdhsa_exception_int_div_zero 0
	.end_amdhsa_kernel
	.section	.text._ZN7rocprim17ROCPRIM_400000_NS6detail17trampoline_kernelINS0_14default_configENS1_25partition_config_selectorILNS1_17partition_subalgoE9EllbEEZZNS1_14partition_implILS5_9ELb0ES3_jPlS8_PNS0_10empty_typeENS0_5tupleIJS8_S9_EEENSB_IJS8_SA_EEENS0_18inequality_wrapperIZN2at6native12_GLOBAL__N_124unique_dim_cuda_templateIN3c108BFloat16EEESt5tupleIJNSF_6TensorESM_SM_EERKSM_lbbbEUlllE0_EEPmJS9_EEE10hipError_tPvRmT3_T4_T5_T6_T7_T9_mT8_P12ihipStream_tbDpT10_ENKUlT_T0_E_clISt17integral_constantIbLb0EES1B_IbLb1EEEEDaS17_S18_EUlS17_E_NS1_11comp_targetILNS1_3genE9ELNS1_11target_archE1100ELNS1_3gpuE3ELNS1_3repE0EEENS1_30default_config_static_selectorELNS0_4arch9wavefront6targetE0EEEvT1_,"axG",@progbits,_ZN7rocprim17ROCPRIM_400000_NS6detail17trampoline_kernelINS0_14default_configENS1_25partition_config_selectorILNS1_17partition_subalgoE9EllbEEZZNS1_14partition_implILS5_9ELb0ES3_jPlS8_PNS0_10empty_typeENS0_5tupleIJS8_S9_EEENSB_IJS8_SA_EEENS0_18inequality_wrapperIZN2at6native12_GLOBAL__N_124unique_dim_cuda_templateIN3c108BFloat16EEESt5tupleIJNSF_6TensorESM_SM_EERKSM_lbbbEUlllE0_EEPmJS9_EEE10hipError_tPvRmT3_T4_T5_T6_T7_T9_mT8_P12ihipStream_tbDpT10_ENKUlT_T0_E_clISt17integral_constantIbLb0EES1B_IbLb1EEEEDaS17_S18_EUlS17_E_NS1_11comp_targetILNS1_3genE9ELNS1_11target_archE1100ELNS1_3gpuE3ELNS1_3repE0EEENS1_30default_config_static_selectorELNS0_4arch9wavefront6targetE0EEEvT1_,comdat
.Lfunc_end1236:
	.size	_ZN7rocprim17ROCPRIM_400000_NS6detail17trampoline_kernelINS0_14default_configENS1_25partition_config_selectorILNS1_17partition_subalgoE9EllbEEZZNS1_14partition_implILS5_9ELb0ES3_jPlS8_PNS0_10empty_typeENS0_5tupleIJS8_S9_EEENSB_IJS8_SA_EEENS0_18inequality_wrapperIZN2at6native12_GLOBAL__N_124unique_dim_cuda_templateIN3c108BFloat16EEESt5tupleIJNSF_6TensorESM_SM_EERKSM_lbbbEUlllE0_EEPmJS9_EEE10hipError_tPvRmT3_T4_T5_T6_T7_T9_mT8_P12ihipStream_tbDpT10_ENKUlT_T0_E_clISt17integral_constantIbLb0EES1B_IbLb1EEEEDaS17_S18_EUlS17_E_NS1_11comp_targetILNS1_3genE9ELNS1_11target_archE1100ELNS1_3gpuE3ELNS1_3repE0EEENS1_30default_config_static_selectorELNS0_4arch9wavefront6targetE0EEEvT1_, .Lfunc_end1236-_ZN7rocprim17ROCPRIM_400000_NS6detail17trampoline_kernelINS0_14default_configENS1_25partition_config_selectorILNS1_17partition_subalgoE9EllbEEZZNS1_14partition_implILS5_9ELb0ES3_jPlS8_PNS0_10empty_typeENS0_5tupleIJS8_S9_EEENSB_IJS8_SA_EEENS0_18inequality_wrapperIZN2at6native12_GLOBAL__N_124unique_dim_cuda_templateIN3c108BFloat16EEESt5tupleIJNSF_6TensorESM_SM_EERKSM_lbbbEUlllE0_EEPmJS9_EEE10hipError_tPvRmT3_T4_T5_T6_T7_T9_mT8_P12ihipStream_tbDpT10_ENKUlT_T0_E_clISt17integral_constantIbLb0EES1B_IbLb1EEEEDaS17_S18_EUlS17_E_NS1_11comp_targetILNS1_3genE9ELNS1_11target_archE1100ELNS1_3gpuE3ELNS1_3repE0EEENS1_30default_config_static_selectorELNS0_4arch9wavefront6targetE0EEEvT1_
                                        ; -- End function
	.set _ZN7rocprim17ROCPRIM_400000_NS6detail17trampoline_kernelINS0_14default_configENS1_25partition_config_selectorILNS1_17partition_subalgoE9EllbEEZZNS1_14partition_implILS5_9ELb0ES3_jPlS8_PNS0_10empty_typeENS0_5tupleIJS8_S9_EEENSB_IJS8_SA_EEENS0_18inequality_wrapperIZN2at6native12_GLOBAL__N_124unique_dim_cuda_templateIN3c108BFloat16EEESt5tupleIJNSF_6TensorESM_SM_EERKSM_lbbbEUlllE0_EEPmJS9_EEE10hipError_tPvRmT3_T4_T5_T6_T7_T9_mT8_P12ihipStream_tbDpT10_ENKUlT_T0_E_clISt17integral_constantIbLb0EES1B_IbLb1EEEEDaS17_S18_EUlS17_E_NS1_11comp_targetILNS1_3genE9ELNS1_11target_archE1100ELNS1_3gpuE3ELNS1_3repE0EEENS1_30default_config_static_selectorELNS0_4arch9wavefront6targetE0EEEvT1_.num_vgpr, 0
	.set _ZN7rocprim17ROCPRIM_400000_NS6detail17trampoline_kernelINS0_14default_configENS1_25partition_config_selectorILNS1_17partition_subalgoE9EllbEEZZNS1_14partition_implILS5_9ELb0ES3_jPlS8_PNS0_10empty_typeENS0_5tupleIJS8_S9_EEENSB_IJS8_SA_EEENS0_18inequality_wrapperIZN2at6native12_GLOBAL__N_124unique_dim_cuda_templateIN3c108BFloat16EEESt5tupleIJNSF_6TensorESM_SM_EERKSM_lbbbEUlllE0_EEPmJS9_EEE10hipError_tPvRmT3_T4_T5_T6_T7_T9_mT8_P12ihipStream_tbDpT10_ENKUlT_T0_E_clISt17integral_constantIbLb0EES1B_IbLb1EEEEDaS17_S18_EUlS17_E_NS1_11comp_targetILNS1_3genE9ELNS1_11target_archE1100ELNS1_3gpuE3ELNS1_3repE0EEENS1_30default_config_static_selectorELNS0_4arch9wavefront6targetE0EEEvT1_.num_agpr, 0
	.set _ZN7rocprim17ROCPRIM_400000_NS6detail17trampoline_kernelINS0_14default_configENS1_25partition_config_selectorILNS1_17partition_subalgoE9EllbEEZZNS1_14partition_implILS5_9ELb0ES3_jPlS8_PNS0_10empty_typeENS0_5tupleIJS8_S9_EEENSB_IJS8_SA_EEENS0_18inequality_wrapperIZN2at6native12_GLOBAL__N_124unique_dim_cuda_templateIN3c108BFloat16EEESt5tupleIJNSF_6TensorESM_SM_EERKSM_lbbbEUlllE0_EEPmJS9_EEE10hipError_tPvRmT3_T4_T5_T6_T7_T9_mT8_P12ihipStream_tbDpT10_ENKUlT_T0_E_clISt17integral_constantIbLb0EES1B_IbLb1EEEEDaS17_S18_EUlS17_E_NS1_11comp_targetILNS1_3genE9ELNS1_11target_archE1100ELNS1_3gpuE3ELNS1_3repE0EEENS1_30default_config_static_selectorELNS0_4arch9wavefront6targetE0EEEvT1_.numbered_sgpr, 0
	.set _ZN7rocprim17ROCPRIM_400000_NS6detail17trampoline_kernelINS0_14default_configENS1_25partition_config_selectorILNS1_17partition_subalgoE9EllbEEZZNS1_14partition_implILS5_9ELb0ES3_jPlS8_PNS0_10empty_typeENS0_5tupleIJS8_S9_EEENSB_IJS8_SA_EEENS0_18inequality_wrapperIZN2at6native12_GLOBAL__N_124unique_dim_cuda_templateIN3c108BFloat16EEESt5tupleIJNSF_6TensorESM_SM_EERKSM_lbbbEUlllE0_EEPmJS9_EEE10hipError_tPvRmT3_T4_T5_T6_T7_T9_mT8_P12ihipStream_tbDpT10_ENKUlT_T0_E_clISt17integral_constantIbLb0EES1B_IbLb1EEEEDaS17_S18_EUlS17_E_NS1_11comp_targetILNS1_3genE9ELNS1_11target_archE1100ELNS1_3gpuE3ELNS1_3repE0EEENS1_30default_config_static_selectorELNS0_4arch9wavefront6targetE0EEEvT1_.num_named_barrier, 0
	.set _ZN7rocprim17ROCPRIM_400000_NS6detail17trampoline_kernelINS0_14default_configENS1_25partition_config_selectorILNS1_17partition_subalgoE9EllbEEZZNS1_14partition_implILS5_9ELb0ES3_jPlS8_PNS0_10empty_typeENS0_5tupleIJS8_S9_EEENSB_IJS8_SA_EEENS0_18inequality_wrapperIZN2at6native12_GLOBAL__N_124unique_dim_cuda_templateIN3c108BFloat16EEESt5tupleIJNSF_6TensorESM_SM_EERKSM_lbbbEUlllE0_EEPmJS9_EEE10hipError_tPvRmT3_T4_T5_T6_T7_T9_mT8_P12ihipStream_tbDpT10_ENKUlT_T0_E_clISt17integral_constantIbLb0EES1B_IbLb1EEEEDaS17_S18_EUlS17_E_NS1_11comp_targetILNS1_3genE9ELNS1_11target_archE1100ELNS1_3gpuE3ELNS1_3repE0EEENS1_30default_config_static_selectorELNS0_4arch9wavefront6targetE0EEEvT1_.private_seg_size, 0
	.set _ZN7rocprim17ROCPRIM_400000_NS6detail17trampoline_kernelINS0_14default_configENS1_25partition_config_selectorILNS1_17partition_subalgoE9EllbEEZZNS1_14partition_implILS5_9ELb0ES3_jPlS8_PNS0_10empty_typeENS0_5tupleIJS8_S9_EEENSB_IJS8_SA_EEENS0_18inequality_wrapperIZN2at6native12_GLOBAL__N_124unique_dim_cuda_templateIN3c108BFloat16EEESt5tupleIJNSF_6TensorESM_SM_EERKSM_lbbbEUlllE0_EEPmJS9_EEE10hipError_tPvRmT3_T4_T5_T6_T7_T9_mT8_P12ihipStream_tbDpT10_ENKUlT_T0_E_clISt17integral_constantIbLb0EES1B_IbLb1EEEEDaS17_S18_EUlS17_E_NS1_11comp_targetILNS1_3genE9ELNS1_11target_archE1100ELNS1_3gpuE3ELNS1_3repE0EEENS1_30default_config_static_selectorELNS0_4arch9wavefront6targetE0EEEvT1_.uses_vcc, 0
	.set _ZN7rocprim17ROCPRIM_400000_NS6detail17trampoline_kernelINS0_14default_configENS1_25partition_config_selectorILNS1_17partition_subalgoE9EllbEEZZNS1_14partition_implILS5_9ELb0ES3_jPlS8_PNS0_10empty_typeENS0_5tupleIJS8_S9_EEENSB_IJS8_SA_EEENS0_18inequality_wrapperIZN2at6native12_GLOBAL__N_124unique_dim_cuda_templateIN3c108BFloat16EEESt5tupleIJNSF_6TensorESM_SM_EERKSM_lbbbEUlllE0_EEPmJS9_EEE10hipError_tPvRmT3_T4_T5_T6_T7_T9_mT8_P12ihipStream_tbDpT10_ENKUlT_T0_E_clISt17integral_constantIbLb0EES1B_IbLb1EEEEDaS17_S18_EUlS17_E_NS1_11comp_targetILNS1_3genE9ELNS1_11target_archE1100ELNS1_3gpuE3ELNS1_3repE0EEENS1_30default_config_static_selectorELNS0_4arch9wavefront6targetE0EEEvT1_.uses_flat_scratch, 0
	.set _ZN7rocprim17ROCPRIM_400000_NS6detail17trampoline_kernelINS0_14default_configENS1_25partition_config_selectorILNS1_17partition_subalgoE9EllbEEZZNS1_14partition_implILS5_9ELb0ES3_jPlS8_PNS0_10empty_typeENS0_5tupleIJS8_S9_EEENSB_IJS8_SA_EEENS0_18inequality_wrapperIZN2at6native12_GLOBAL__N_124unique_dim_cuda_templateIN3c108BFloat16EEESt5tupleIJNSF_6TensorESM_SM_EERKSM_lbbbEUlllE0_EEPmJS9_EEE10hipError_tPvRmT3_T4_T5_T6_T7_T9_mT8_P12ihipStream_tbDpT10_ENKUlT_T0_E_clISt17integral_constantIbLb0EES1B_IbLb1EEEEDaS17_S18_EUlS17_E_NS1_11comp_targetILNS1_3genE9ELNS1_11target_archE1100ELNS1_3gpuE3ELNS1_3repE0EEENS1_30default_config_static_selectorELNS0_4arch9wavefront6targetE0EEEvT1_.has_dyn_sized_stack, 0
	.set _ZN7rocprim17ROCPRIM_400000_NS6detail17trampoline_kernelINS0_14default_configENS1_25partition_config_selectorILNS1_17partition_subalgoE9EllbEEZZNS1_14partition_implILS5_9ELb0ES3_jPlS8_PNS0_10empty_typeENS0_5tupleIJS8_S9_EEENSB_IJS8_SA_EEENS0_18inequality_wrapperIZN2at6native12_GLOBAL__N_124unique_dim_cuda_templateIN3c108BFloat16EEESt5tupleIJNSF_6TensorESM_SM_EERKSM_lbbbEUlllE0_EEPmJS9_EEE10hipError_tPvRmT3_T4_T5_T6_T7_T9_mT8_P12ihipStream_tbDpT10_ENKUlT_T0_E_clISt17integral_constantIbLb0EES1B_IbLb1EEEEDaS17_S18_EUlS17_E_NS1_11comp_targetILNS1_3genE9ELNS1_11target_archE1100ELNS1_3gpuE3ELNS1_3repE0EEENS1_30default_config_static_selectorELNS0_4arch9wavefront6targetE0EEEvT1_.has_recursion, 0
	.set _ZN7rocprim17ROCPRIM_400000_NS6detail17trampoline_kernelINS0_14default_configENS1_25partition_config_selectorILNS1_17partition_subalgoE9EllbEEZZNS1_14partition_implILS5_9ELb0ES3_jPlS8_PNS0_10empty_typeENS0_5tupleIJS8_S9_EEENSB_IJS8_SA_EEENS0_18inequality_wrapperIZN2at6native12_GLOBAL__N_124unique_dim_cuda_templateIN3c108BFloat16EEESt5tupleIJNSF_6TensorESM_SM_EERKSM_lbbbEUlllE0_EEPmJS9_EEE10hipError_tPvRmT3_T4_T5_T6_T7_T9_mT8_P12ihipStream_tbDpT10_ENKUlT_T0_E_clISt17integral_constantIbLb0EES1B_IbLb1EEEEDaS17_S18_EUlS17_E_NS1_11comp_targetILNS1_3genE9ELNS1_11target_archE1100ELNS1_3gpuE3ELNS1_3repE0EEENS1_30default_config_static_selectorELNS0_4arch9wavefront6targetE0EEEvT1_.has_indirect_call, 0
	.section	.AMDGPU.csdata,"",@progbits
; Kernel info:
; codeLenInByte = 0
; TotalNumSgprs: 0
; NumVgprs: 0
; ScratchSize: 0
; MemoryBound: 0
; FloatMode: 240
; IeeeMode: 1
; LDSByteSize: 0 bytes/workgroup (compile time only)
; SGPRBlocks: 0
; VGPRBlocks: 0
; NumSGPRsForWavesPerEU: 1
; NumVGPRsForWavesPerEU: 1
; NamedBarCnt: 0
; Occupancy: 16
; WaveLimiterHint : 0
; COMPUTE_PGM_RSRC2:SCRATCH_EN: 0
; COMPUTE_PGM_RSRC2:USER_SGPR: 2
; COMPUTE_PGM_RSRC2:TRAP_HANDLER: 0
; COMPUTE_PGM_RSRC2:TGID_X_EN: 1
; COMPUTE_PGM_RSRC2:TGID_Y_EN: 0
; COMPUTE_PGM_RSRC2:TGID_Z_EN: 0
; COMPUTE_PGM_RSRC2:TIDIG_COMP_CNT: 0
	.section	.text._ZN7rocprim17ROCPRIM_400000_NS6detail17trampoline_kernelINS0_14default_configENS1_25partition_config_selectorILNS1_17partition_subalgoE9EllbEEZZNS1_14partition_implILS5_9ELb0ES3_jPlS8_PNS0_10empty_typeENS0_5tupleIJS8_S9_EEENSB_IJS8_SA_EEENS0_18inequality_wrapperIZN2at6native12_GLOBAL__N_124unique_dim_cuda_templateIN3c108BFloat16EEESt5tupleIJNSF_6TensorESM_SM_EERKSM_lbbbEUlllE0_EEPmJS9_EEE10hipError_tPvRmT3_T4_T5_T6_T7_T9_mT8_P12ihipStream_tbDpT10_ENKUlT_T0_E_clISt17integral_constantIbLb0EES1B_IbLb1EEEEDaS17_S18_EUlS17_E_NS1_11comp_targetILNS1_3genE8ELNS1_11target_archE1030ELNS1_3gpuE2ELNS1_3repE0EEENS1_30default_config_static_selectorELNS0_4arch9wavefront6targetE0EEEvT1_,"axG",@progbits,_ZN7rocprim17ROCPRIM_400000_NS6detail17trampoline_kernelINS0_14default_configENS1_25partition_config_selectorILNS1_17partition_subalgoE9EllbEEZZNS1_14partition_implILS5_9ELb0ES3_jPlS8_PNS0_10empty_typeENS0_5tupleIJS8_S9_EEENSB_IJS8_SA_EEENS0_18inequality_wrapperIZN2at6native12_GLOBAL__N_124unique_dim_cuda_templateIN3c108BFloat16EEESt5tupleIJNSF_6TensorESM_SM_EERKSM_lbbbEUlllE0_EEPmJS9_EEE10hipError_tPvRmT3_T4_T5_T6_T7_T9_mT8_P12ihipStream_tbDpT10_ENKUlT_T0_E_clISt17integral_constantIbLb0EES1B_IbLb1EEEEDaS17_S18_EUlS17_E_NS1_11comp_targetILNS1_3genE8ELNS1_11target_archE1030ELNS1_3gpuE2ELNS1_3repE0EEENS1_30default_config_static_selectorELNS0_4arch9wavefront6targetE0EEEvT1_,comdat
	.globl	_ZN7rocprim17ROCPRIM_400000_NS6detail17trampoline_kernelINS0_14default_configENS1_25partition_config_selectorILNS1_17partition_subalgoE9EllbEEZZNS1_14partition_implILS5_9ELb0ES3_jPlS8_PNS0_10empty_typeENS0_5tupleIJS8_S9_EEENSB_IJS8_SA_EEENS0_18inequality_wrapperIZN2at6native12_GLOBAL__N_124unique_dim_cuda_templateIN3c108BFloat16EEESt5tupleIJNSF_6TensorESM_SM_EERKSM_lbbbEUlllE0_EEPmJS9_EEE10hipError_tPvRmT3_T4_T5_T6_T7_T9_mT8_P12ihipStream_tbDpT10_ENKUlT_T0_E_clISt17integral_constantIbLb0EES1B_IbLb1EEEEDaS17_S18_EUlS17_E_NS1_11comp_targetILNS1_3genE8ELNS1_11target_archE1030ELNS1_3gpuE2ELNS1_3repE0EEENS1_30default_config_static_selectorELNS0_4arch9wavefront6targetE0EEEvT1_ ; -- Begin function _ZN7rocprim17ROCPRIM_400000_NS6detail17trampoline_kernelINS0_14default_configENS1_25partition_config_selectorILNS1_17partition_subalgoE9EllbEEZZNS1_14partition_implILS5_9ELb0ES3_jPlS8_PNS0_10empty_typeENS0_5tupleIJS8_S9_EEENSB_IJS8_SA_EEENS0_18inequality_wrapperIZN2at6native12_GLOBAL__N_124unique_dim_cuda_templateIN3c108BFloat16EEESt5tupleIJNSF_6TensorESM_SM_EERKSM_lbbbEUlllE0_EEPmJS9_EEE10hipError_tPvRmT3_T4_T5_T6_T7_T9_mT8_P12ihipStream_tbDpT10_ENKUlT_T0_E_clISt17integral_constantIbLb0EES1B_IbLb1EEEEDaS17_S18_EUlS17_E_NS1_11comp_targetILNS1_3genE8ELNS1_11target_archE1030ELNS1_3gpuE2ELNS1_3repE0EEENS1_30default_config_static_selectorELNS0_4arch9wavefront6targetE0EEEvT1_
	.p2align	8
	.type	_ZN7rocprim17ROCPRIM_400000_NS6detail17trampoline_kernelINS0_14default_configENS1_25partition_config_selectorILNS1_17partition_subalgoE9EllbEEZZNS1_14partition_implILS5_9ELb0ES3_jPlS8_PNS0_10empty_typeENS0_5tupleIJS8_S9_EEENSB_IJS8_SA_EEENS0_18inequality_wrapperIZN2at6native12_GLOBAL__N_124unique_dim_cuda_templateIN3c108BFloat16EEESt5tupleIJNSF_6TensorESM_SM_EERKSM_lbbbEUlllE0_EEPmJS9_EEE10hipError_tPvRmT3_T4_T5_T6_T7_T9_mT8_P12ihipStream_tbDpT10_ENKUlT_T0_E_clISt17integral_constantIbLb0EES1B_IbLb1EEEEDaS17_S18_EUlS17_E_NS1_11comp_targetILNS1_3genE8ELNS1_11target_archE1030ELNS1_3gpuE2ELNS1_3repE0EEENS1_30default_config_static_selectorELNS0_4arch9wavefront6targetE0EEEvT1_,@function
_ZN7rocprim17ROCPRIM_400000_NS6detail17trampoline_kernelINS0_14default_configENS1_25partition_config_selectorILNS1_17partition_subalgoE9EllbEEZZNS1_14partition_implILS5_9ELb0ES3_jPlS8_PNS0_10empty_typeENS0_5tupleIJS8_S9_EEENSB_IJS8_SA_EEENS0_18inequality_wrapperIZN2at6native12_GLOBAL__N_124unique_dim_cuda_templateIN3c108BFloat16EEESt5tupleIJNSF_6TensorESM_SM_EERKSM_lbbbEUlllE0_EEPmJS9_EEE10hipError_tPvRmT3_T4_T5_T6_T7_T9_mT8_P12ihipStream_tbDpT10_ENKUlT_T0_E_clISt17integral_constantIbLb0EES1B_IbLb1EEEEDaS17_S18_EUlS17_E_NS1_11comp_targetILNS1_3genE8ELNS1_11target_archE1030ELNS1_3gpuE2ELNS1_3repE0EEENS1_30default_config_static_selectorELNS0_4arch9wavefront6targetE0EEEvT1_: ; @_ZN7rocprim17ROCPRIM_400000_NS6detail17trampoline_kernelINS0_14default_configENS1_25partition_config_selectorILNS1_17partition_subalgoE9EllbEEZZNS1_14partition_implILS5_9ELb0ES3_jPlS8_PNS0_10empty_typeENS0_5tupleIJS8_S9_EEENSB_IJS8_SA_EEENS0_18inequality_wrapperIZN2at6native12_GLOBAL__N_124unique_dim_cuda_templateIN3c108BFloat16EEESt5tupleIJNSF_6TensorESM_SM_EERKSM_lbbbEUlllE0_EEPmJS9_EEE10hipError_tPvRmT3_T4_T5_T6_T7_T9_mT8_P12ihipStream_tbDpT10_ENKUlT_T0_E_clISt17integral_constantIbLb0EES1B_IbLb1EEEEDaS17_S18_EUlS17_E_NS1_11comp_targetILNS1_3genE8ELNS1_11target_archE1030ELNS1_3gpuE2ELNS1_3repE0EEENS1_30default_config_static_selectorELNS0_4arch9wavefront6targetE0EEEvT1_
; %bb.0:
	.section	.rodata,"a",@progbits
	.p2align	6, 0x0
	.amdhsa_kernel _ZN7rocprim17ROCPRIM_400000_NS6detail17trampoline_kernelINS0_14default_configENS1_25partition_config_selectorILNS1_17partition_subalgoE9EllbEEZZNS1_14partition_implILS5_9ELb0ES3_jPlS8_PNS0_10empty_typeENS0_5tupleIJS8_S9_EEENSB_IJS8_SA_EEENS0_18inequality_wrapperIZN2at6native12_GLOBAL__N_124unique_dim_cuda_templateIN3c108BFloat16EEESt5tupleIJNSF_6TensorESM_SM_EERKSM_lbbbEUlllE0_EEPmJS9_EEE10hipError_tPvRmT3_T4_T5_T6_T7_T9_mT8_P12ihipStream_tbDpT10_ENKUlT_T0_E_clISt17integral_constantIbLb0EES1B_IbLb1EEEEDaS17_S18_EUlS17_E_NS1_11comp_targetILNS1_3genE8ELNS1_11target_archE1030ELNS1_3gpuE2ELNS1_3repE0EEENS1_30default_config_static_selectorELNS0_4arch9wavefront6targetE0EEEvT1_
		.amdhsa_group_segment_fixed_size 0
		.amdhsa_private_segment_fixed_size 0
		.amdhsa_kernarg_size 136
		.amdhsa_user_sgpr_count 2
		.amdhsa_user_sgpr_dispatch_ptr 0
		.amdhsa_user_sgpr_queue_ptr 0
		.amdhsa_user_sgpr_kernarg_segment_ptr 1
		.amdhsa_user_sgpr_dispatch_id 0
		.amdhsa_user_sgpr_kernarg_preload_length 0
		.amdhsa_user_sgpr_kernarg_preload_offset 0
		.amdhsa_user_sgpr_private_segment_size 0
		.amdhsa_wavefront_size32 1
		.amdhsa_uses_dynamic_stack 0
		.amdhsa_enable_private_segment 0
		.amdhsa_system_sgpr_workgroup_id_x 1
		.amdhsa_system_sgpr_workgroup_id_y 0
		.amdhsa_system_sgpr_workgroup_id_z 0
		.amdhsa_system_sgpr_workgroup_info 0
		.amdhsa_system_vgpr_workitem_id 0
		.amdhsa_next_free_vgpr 1
		.amdhsa_next_free_sgpr 1
		.amdhsa_named_barrier_count 0
		.amdhsa_reserve_vcc 0
		.amdhsa_float_round_mode_32 0
		.amdhsa_float_round_mode_16_64 0
		.amdhsa_float_denorm_mode_32 3
		.amdhsa_float_denorm_mode_16_64 3
		.amdhsa_fp16_overflow 0
		.amdhsa_memory_ordered 1
		.amdhsa_forward_progress 1
		.amdhsa_inst_pref_size 0
		.amdhsa_round_robin_scheduling 0
		.amdhsa_exception_fp_ieee_invalid_op 0
		.amdhsa_exception_fp_denorm_src 0
		.amdhsa_exception_fp_ieee_div_zero 0
		.amdhsa_exception_fp_ieee_overflow 0
		.amdhsa_exception_fp_ieee_underflow 0
		.amdhsa_exception_fp_ieee_inexact 0
		.amdhsa_exception_int_div_zero 0
	.end_amdhsa_kernel
	.section	.text._ZN7rocprim17ROCPRIM_400000_NS6detail17trampoline_kernelINS0_14default_configENS1_25partition_config_selectorILNS1_17partition_subalgoE9EllbEEZZNS1_14partition_implILS5_9ELb0ES3_jPlS8_PNS0_10empty_typeENS0_5tupleIJS8_S9_EEENSB_IJS8_SA_EEENS0_18inequality_wrapperIZN2at6native12_GLOBAL__N_124unique_dim_cuda_templateIN3c108BFloat16EEESt5tupleIJNSF_6TensorESM_SM_EERKSM_lbbbEUlllE0_EEPmJS9_EEE10hipError_tPvRmT3_T4_T5_T6_T7_T9_mT8_P12ihipStream_tbDpT10_ENKUlT_T0_E_clISt17integral_constantIbLb0EES1B_IbLb1EEEEDaS17_S18_EUlS17_E_NS1_11comp_targetILNS1_3genE8ELNS1_11target_archE1030ELNS1_3gpuE2ELNS1_3repE0EEENS1_30default_config_static_selectorELNS0_4arch9wavefront6targetE0EEEvT1_,"axG",@progbits,_ZN7rocprim17ROCPRIM_400000_NS6detail17trampoline_kernelINS0_14default_configENS1_25partition_config_selectorILNS1_17partition_subalgoE9EllbEEZZNS1_14partition_implILS5_9ELb0ES3_jPlS8_PNS0_10empty_typeENS0_5tupleIJS8_S9_EEENSB_IJS8_SA_EEENS0_18inequality_wrapperIZN2at6native12_GLOBAL__N_124unique_dim_cuda_templateIN3c108BFloat16EEESt5tupleIJNSF_6TensorESM_SM_EERKSM_lbbbEUlllE0_EEPmJS9_EEE10hipError_tPvRmT3_T4_T5_T6_T7_T9_mT8_P12ihipStream_tbDpT10_ENKUlT_T0_E_clISt17integral_constantIbLb0EES1B_IbLb1EEEEDaS17_S18_EUlS17_E_NS1_11comp_targetILNS1_3genE8ELNS1_11target_archE1030ELNS1_3gpuE2ELNS1_3repE0EEENS1_30default_config_static_selectorELNS0_4arch9wavefront6targetE0EEEvT1_,comdat
.Lfunc_end1237:
	.size	_ZN7rocprim17ROCPRIM_400000_NS6detail17trampoline_kernelINS0_14default_configENS1_25partition_config_selectorILNS1_17partition_subalgoE9EllbEEZZNS1_14partition_implILS5_9ELb0ES3_jPlS8_PNS0_10empty_typeENS0_5tupleIJS8_S9_EEENSB_IJS8_SA_EEENS0_18inequality_wrapperIZN2at6native12_GLOBAL__N_124unique_dim_cuda_templateIN3c108BFloat16EEESt5tupleIJNSF_6TensorESM_SM_EERKSM_lbbbEUlllE0_EEPmJS9_EEE10hipError_tPvRmT3_T4_T5_T6_T7_T9_mT8_P12ihipStream_tbDpT10_ENKUlT_T0_E_clISt17integral_constantIbLb0EES1B_IbLb1EEEEDaS17_S18_EUlS17_E_NS1_11comp_targetILNS1_3genE8ELNS1_11target_archE1030ELNS1_3gpuE2ELNS1_3repE0EEENS1_30default_config_static_selectorELNS0_4arch9wavefront6targetE0EEEvT1_, .Lfunc_end1237-_ZN7rocprim17ROCPRIM_400000_NS6detail17trampoline_kernelINS0_14default_configENS1_25partition_config_selectorILNS1_17partition_subalgoE9EllbEEZZNS1_14partition_implILS5_9ELb0ES3_jPlS8_PNS0_10empty_typeENS0_5tupleIJS8_S9_EEENSB_IJS8_SA_EEENS0_18inequality_wrapperIZN2at6native12_GLOBAL__N_124unique_dim_cuda_templateIN3c108BFloat16EEESt5tupleIJNSF_6TensorESM_SM_EERKSM_lbbbEUlllE0_EEPmJS9_EEE10hipError_tPvRmT3_T4_T5_T6_T7_T9_mT8_P12ihipStream_tbDpT10_ENKUlT_T0_E_clISt17integral_constantIbLb0EES1B_IbLb1EEEEDaS17_S18_EUlS17_E_NS1_11comp_targetILNS1_3genE8ELNS1_11target_archE1030ELNS1_3gpuE2ELNS1_3repE0EEENS1_30default_config_static_selectorELNS0_4arch9wavefront6targetE0EEEvT1_
                                        ; -- End function
	.set _ZN7rocprim17ROCPRIM_400000_NS6detail17trampoline_kernelINS0_14default_configENS1_25partition_config_selectorILNS1_17partition_subalgoE9EllbEEZZNS1_14partition_implILS5_9ELb0ES3_jPlS8_PNS0_10empty_typeENS0_5tupleIJS8_S9_EEENSB_IJS8_SA_EEENS0_18inequality_wrapperIZN2at6native12_GLOBAL__N_124unique_dim_cuda_templateIN3c108BFloat16EEESt5tupleIJNSF_6TensorESM_SM_EERKSM_lbbbEUlllE0_EEPmJS9_EEE10hipError_tPvRmT3_T4_T5_T6_T7_T9_mT8_P12ihipStream_tbDpT10_ENKUlT_T0_E_clISt17integral_constantIbLb0EES1B_IbLb1EEEEDaS17_S18_EUlS17_E_NS1_11comp_targetILNS1_3genE8ELNS1_11target_archE1030ELNS1_3gpuE2ELNS1_3repE0EEENS1_30default_config_static_selectorELNS0_4arch9wavefront6targetE0EEEvT1_.num_vgpr, 0
	.set _ZN7rocprim17ROCPRIM_400000_NS6detail17trampoline_kernelINS0_14default_configENS1_25partition_config_selectorILNS1_17partition_subalgoE9EllbEEZZNS1_14partition_implILS5_9ELb0ES3_jPlS8_PNS0_10empty_typeENS0_5tupleIJS8_S9_EEENSB_IJS8_SA_EEENS0_18inequality_wrapperIZN2at6native12_GLOBAL__N_124unique_dim_cuda_templateIN3c108BFloat16EEESt5tupleIJNSF_6TensorESM_SM_EERKSM_lbbbEUlllE0_EEPmJS9_EEE10hipError_tPvRmT3_T4_T5_T6_T7_T9_mT8_P12ihipStream_tbDpT10_ENKUlT_T0_E_clISt17integral_constantIbLb0EES1B_IbLb1EEEEDaS17_S18_EUlS17_E_NS1_11comp_targetILNS1_3genE8ELNS1_11target_archE1030ELNS1_3gpuE2ELNS1_3repE0EEENS1_30default_config_static_selectorELNS0_4arch9wavefront6targetE0EEEvT1_.num_agpr, 0
	.set _ZN7rocprim17ROCPRIM_400000_NS6detail17trampoline_kernelINS0_14default_configENS1_25partition_config_selectorILNS1_17partition_subalgoE9EllbEEZZNS1_14partition_implILS5_9ELb0ES3_jPlS8_PNS0_10empty_typeENS0_5tupleIJS8_S9_EEENSB_IJS8_SA_EEENS0_18inequality_wrapperIZN2at6native12_GLOBAL__N_124unique_dim_cuda_templateIN3c108BFloat16EEESt5tupleIJNSF_6TensorESM_SM_EERKSM_lbbbEUlllE0_EEPmJS9_EEE10hipError_tPvRmT3_T4_T5_T6_T7_T9_mT8_P12ihipStream_tbDpT10_ENKUlT_T0_E_clISt17integral_constantIbLb0EES1B_IbLb1EEEEDaS17_S18_EUlS17_E_NS1_11comp_targetILNS1_3genE8ELNS1_11target_archE1030ELNS1_3gpuE2ELNS1_3repE0EEENS1_30default_config_static_selectorELNS0_4arch9wavefront6targetE0EEEvT1_.numbered_sgpr, 0
	.set _ZN7rocprim17ROCPRIM_400000_NS6detail17trampoline_kernelINS0_14default_configENS1_25partition_config_selectorILNS1_17partition_subalgoE9EllbEEZZNS1_14partition_implILS5_9ELb0ES3_jPlS8_PNS0_10empty_typeENS0_5tupleIJS8_S9_EEENSB_IJS8_SA_EEENS0_18inequality_wrapperIZN2at6native12_GLOBAL__N_124unique_dim_cuda_templateIN3c108BFloat16EEESt5tupleIJNSF_6TensorESM_SM_EERKSM_lbbbEUlllE0_EEPmJS9_EEE10hipError_tPvRmT3_T4_T5_T6_T7_T9_mT8_P12ihipStream_tbDpT10_ENKUlT_T0_E_clISt17integral_constantIbLb0EES1B_IbLb1EEEEDaS17_S18_EUlS17_E_NS1_11comp_targetILNS1_3genE8ELNS1_11target_archE1030ELNS1_3gpuE2ELNS1_3repE0EEENS1_30default_config_static_selectorELNS0_4arch9wavefront6targetE0EEEvT1_.num_named_barrier, 0
	.set _ZN7rocprim17ROCPRIM_400000_NS6detail17trampoline_kernelINS0_14default_configENS1_25partition_config_selectorILNS1_17partition_subalgoE9EllbEEZZNS1_14partition_implILS5_9ELb0ES3_jPlS8_PNS0_10empty_typeENS0_5tupleIJS8_S9_EEENSB_IJS8_SA_EEENS0_18inequality_wrapperIZN2at6native12_GLOBAL__N_124unique_dim_cuda_templateIN3c108BFloat16EEESt5tupleIJNSF_6TensorESM_SM_EERKSM_lbbbEUlllE0_EEPmJS9_EEE10hipError_tPvRmT3_T4_T5_T6_T7_T9_mT8_P12ihipStream_tbDpT10_ENKUlT_T0_E_clISt17integral_constantIbLb0EES1B_IbLb1EEEEDaS17_S18_EUlS17_E_NS1_11comp_targetILNS1_3genE8ELNS1_11target_archE1030ELNS1_3gpuE2ELNS1_3repE0EEENS1_30default_config_static_selectorELNS0_4arch9wavefront6targetE0EEEvT1_.private_seg_size, 0
	.set _ZN7rocprim17ROCPRIM_400000_NS6detail17trampoline_kernelINS0_14default_configENS1_25partition_config_selectorILNS1_17partition_subalgoE9EllbEEZZNS1_14partition_implILS5_9ELb0ES3_jPlS8_PNS0_10empty_typeENS0_5tupleIJS8_S9_EEENSB_IJS8_SA_EEENS0_18inequality_wrapperIZN2at6native12_GLOBAL__N_124unique_dim_cuda_templateIN3c108BFloat16EEESt5tupleIJNSF_6TensorESM_SM_EERKSM_lbbbEUlllE0_EEPmJS9_EEE10hipError_tPvRmT3_T4_T5_T6_T7_T9_mT8_P12ihipStream_tbDpT10_ENKUlT_T0_E_clISt17integral_constantIbLb0EES1B_IbLb1EEEEDaS17_S18_EUlS17_E_NS1_11comp_targetILNS1_3genE8ELNS1_11target_archE1030ELNS1_3gpuE2ELNS1_3repE0EEENS1_30default_config_static_selectorELNS0_4arch9wavefront6targetE0EEEvT1_.uses_vcc, 0
	.set _ZN7rocprim17ROCPRIM_400000_NS6detail17trampoline_kernelINS0_14default_configENS1_25partition_config_selectorILNS1_17partition_subalgoE9EllbEEZZNS1_14partition_implILS5_9ELb0ES3_jPlS8_PNS0_10empty_typeENS0_5tupleIJS8_S9_EEENSB_IJS8_SA_EEENS0_18inequality_wrapperIZN2at6native12_GLOBAL__N_124unique_dim_cuda_templateIN3c108BFloat16EEESt5tupleIJNSF_6TensorESM_SM_EERKSM_lbbbEUlllE0_EEPmJS9_EEE10hipError_tPvRmT3_T4_T5_T6_T7_T9_mT8_P12ihipStream_tbDpT10_ENKUlT_T0_E_clISt17integral_constantIbLb0EES1B_IbLb1EEEEDaS17_S18_EUlS17_E_NS1_11comp_targetILNS1_3genE8ELNS1_11target_archE1030ELNS1_3gpuE2ELNS1_3repE0EEENS1_30default_config_static_selectorELNS0_4arch9wavefront6targetE0EEEvT1_.uses_flat_scratch, 0
	.set _ZN7rocprim17ROCPRIM_400000_NS6detail17trampoline_kernelINS0_14default_configENS1_25partition_config_selectorILNS1_17partition_subalgoE9EllbEEZZNS1_14partition_implILS5_9ELb0ES3_jPlS8_PNS0_10empty_typeENS0_5tupleIJS8_S9_EEENSB_IJS8_SA_EEENS0_18inequality_wrapperIZN2at6native12_GLOBAL__N_124unique_dim_cuda_templateIN3c108BFloat16EEESt5tupleIJNSF_6TensorESM_SM_EERKSM_lbbbEUlllE0_EEPmJS9_EEE10hipError_tPvRmT3_T4_T5_T6_T7_T9_mT8_P12ihipStream_tbDpT10_ENKUlT_T0_E_clISt17integral_constantIbLb0EES1B_IbLb1EEEEDaS17_S18_EUlS17_E_NS1_11comp_targetILNS1_3genE8ELNS1_11target_archE1030ELNS1_3gpuE2ELNS1_3repE0EEENS1_30default_config_static_selectorELNS0_4arch9wavefront6targetE0EEEvT1_.has_dyn_sized_stack, 0
	.set _ZN7rocprim17ROCPRIM_400000_NS6detail17trampoline_kernelINS0_14default_configENS1_25partition_config_selectorILNS1_17partition_subalgoE9EllbEEZZNS1_14partition_implILS5_9ELb0ES3_jPlS8_PNS0_10empty_typeENS0_5tupleIJS8_S9_EEENSB_IJS8_SA_EEENS0_18inequality_wrapperIZN2at6native12_GLOBAL__N_124unique_dim_cuda_templateIN3c108BFloat16EEESt5tupleIJNSF_6TensorESM_SM_EERKSM_lbbbEUlllE0_EEPmJS9_EEE10hipError_tPvRmT3_T4_T5_T6_T7_T9_mT8_P12ihipStream_tbDpT10_ENKUlT_T0_E_clISt17integral_constantIbLb0EES1B_IbLb1EEEEDaS17_S18_EUlS17_E_NS1_11comp_targetILNS1_3genE8ELNS1_11target_archE1030ELNS1_3gpuE2ELNS1_3repE0EEENS1_30default_config_static_selectorELNS0_4arch9wavefront6targetE0EEEvT1_.has_recursion, 0
	.set _ZN7rocprim17ROCPRIM_400000_NS6detail17trampoline_kernelINS0_14default_configENS1_25partition_config_selectorILNS1_17partition_subalgoE9EllbEEZZNS1_14partition_implILS5_9ELb0ES3_jPlS8_PNS0_10empty_typeENS0_5tupleIJS8_S9_EEENSB_IJS8_SA_EEENS0_18inequality_wrapperIZN2at6native12_GLOBAL__N_124unique_dim_cuda_templateIN3c108BFloat16EEESt5tupleIJNSF_6TensorESM_SM_EERKSM_lbbbEUlllE0_EEPmJS9_EEE10hipError_tPvRmT3_T4_T5_T6_T7_T9_mT8_P12ihipStream_tbDpT10_ENKUlT_T0_E_clISt17integral_constantIbLb0EES1B_IbLb1EEEEDaS17_S18_EUlS17_E_NS1_11comp_targetILNS1_3genE8ELNS1_11target_archE1030ELNS1_3gpuE2ELNS1_3repE0EEENS1_30default_config_static_selectorELNS0_4arch9wavefront6targetE0EEEvT1_.has_indirect_call, 0
	.section	.AMDGPU.csdata,"",@progbits
; Kernel info:
; codeLenInByte = 0
; TotalNumSgprs: 0
; NumVgprs: 0
; ScratchSize: 0
; MemoryBound: 0
; FloatMode: 240
; IeeeMode: 1
; LDSByteSize: 0 bytes/workgroup (compile time only)
; SGPRBlocks: 0
; VGPRBlocks: 0
; NumSGPRsForWavesPerEU: 1
; NumVGPRsForWavesPerEU: 1
; NamedBarCnt: 0
; Occupancy: 16
; WaveLimiterHint : 0
; COMPUTE_PGM_RSRC2:SCRATCH_EN: 0
; COMPUTE_PGM_RSRC2:USER_SGPR: 2
; COMPUTE_PGM_RSRC2:TRAP_HANDLER: 0
; COMPUTE_PGM_RSRC2:TGID_X_EN: 1
; COMPUTE_PGM_RSRC2:TGID_Y_EN: 0
; COMPUTE_PGM_RSRC2:TGID_Z_EN: 0
; COMPUTE_PGM_RSRC2:TIDIG_COMP_CNT: 0
	.text
	.p2align	2                               ; -- Begin function _ZN7rocprim17ROCPRIM_400000_NS6detail15block_sort_implIlNS0_10empty_typeELj256ELj8ELNS0_4arch9wavefront6targetE0EvE4sortIPlS9_PS3_SA_ZN2at6native12_GLOBAL__N_124unique_dim_cuda_templateIN3c104HalfEEESt5tupleIJNSB_6TensorESI_SI_EERKSI_lbbbEUlllE_EEvjbT_T0_T1_T2_T3_RNS7_12storage_typeE
	.type	_ZN7rocprim17ROCPRIM_400000_NS6detail15block_sort_implIlNS0_10empty_typeELj256ELj8ELNS0_4arch9wavefront6targetE0EvE4sortIPlS9_PS3_SA_ZN2at6native12_GLOBAL__N_124unique_dim_cuda_templateIN3c104HalfEEESt5tupleIJNSB_6TensorESI_SI_EERKSI_lbbbEUlllE_EEvjbT_T0_T1_T2_T3_RNS7_12storage_typeE,@function
_ZN7rocprim17ROCPRIM_400000_NS6detail15block_sort_implIlNS0_10empty_typeELj256ELj8ELNS0_4arch9wavefront6targetE0EvE4sortIPlS9_PS3_SA_ZN2at6native12_GLOBAL__N_124unique_dim_cuda_templateIN3c104HalfEEESt5tupleIJNSB_6TensorESI_SI_EERKSI_lbbbEUlllE_EEvjbT_T0_T1_T2_T3_RNS7_12storage_typeE: ; @_ZN7rocprim17ROCPRIM_400000_NS6detail15block_sort_implIlNS0_10empty_typeELj256ELj8ELNS0_4arch9wavefront6targetE0EvE4sortIPlS9_PS3_SA_ZN2at6native12_GLOBAL__N_124unique_dim_cuda_templateIN3c104HalfEEESt5tupleIJNSB_6TensorESI_SI_EERKSI_lbbbEUlllE_EEvjbT_T0_T1_T2_T3_RNS7_12storage_typeE
; %bb.0:
	s_wait_loadcnt_dscnt 0x0
	s_wait_kmcnt 0x0
	v_and_b32_e32 v26, 0x3ff, v31
	v_and_b32_e32 v1, 1, v1
	v_bfe_u32 v30, v31, 10, 10
	v_bfe_u32 v31, v31, 20, 10
	s_mov_b32 s12, 0
	v_lshlrev_b32_e32 v28, 3, v26
	v_cmp_ne_u32_e32 vcc_lo, 1, v1
	v_dual_lshrrev_b32 v37, 5, v26 :: v_dual_lshrrev_b32 v1, 2, v26
	v_add_nc_u32_e32 v39, 0x100, v26
	v_add_nc_u32_e32 v38, 0x200, v26
	;; [unrolled: 1-line block ×3, first 2 shown]
	v_or_b32_e32 v35, 0x400, v26
	v_add_nc_u32_e32 v34, 0x500, v26
	v_add_nc_u32_e32 v33, 0x600, v26
	;; [unrolled: 1-line block ×3, first 2 shown]
	s_getreg_b32 s10, hwreg(HW_REG_IB_STS2, 6, 4)
                                        ; implicit-def: $vgpr10_vgpr11
	s_and_saveexec_b32 s0, vcc_lo
	s_delay_alu instid0(SALU_CYCLE_1)
	s_xor_b32 s4, exec_lo, s0
	s_cbranch_execz .LBB1238_9
; %bb.1:
	v_dual_mov_b32 v27, 0 :: v_dual_lshrrev_b32 v0, 5, v39
	v_add_lshl_u32 v54, v1, v28, 3
	s_bfe_u32 s3, ttmp6, 0x4000c
	s_bfe_u32 s6, ttmp6, 0x40010
	s_delay_alu instid0(VALU_DEP_2)
	v_mov_b32_e32 v29, v27
	s_and_b32 s5, ttmp7, 0xffff
	s_add_co_i32 s3, s3, 1
	s_add_co_i32 s6, s6, 1
	s_and_b32 s2, ttmp6, 15
	v_add_nc_u64_e32 v[2:3], v[2:3], v[28:29]
	v_add_lshl_u32 v29, v37, v26, 3
	s_bfe_u32 s7, ttmp6, 0x40004
	s_mul_i32 s3, ttmp9, s3
	s_mul_i32 s6, s5, s6
	s_add_co_i32 s2, s2, s3
	s_add_co_i32 s7, s7, s6
	s_clause 0x7
	flat_load_b64 v[10:11], v[2:3]
	flat_load_b64 v[12:13], v[2:3] offset:2048
	flat_load_b64 v[14:15], v[2:3] offset:4096
	;; [unrolled: 1-line block ×7, first 2 shown]
	s_wait_xcnt 0x0
	v_dual_lshrrev_b32 v2, 5, v38 :: v_dual_lshrrev_b32 v3, 5, v36
	v_dual_lshrrev_b32 v35, 5, v35 :: v_dual_lshrrev_b32 v36, 5, v34
	;; [unrolled: 1-line block ×3, first 2 shown]
	v_add_lshl_u32 v32, v0, v26, 3
	s_delay_alu instid0(VALU_DEP_4)
	v_add_lshl_u32 v33, v2, v26, 3
	v_add_lshl_u32 v34, v3, v26, 3
	;; [unrolled: 1-line block ×6, first 2 shown]
	s_cmp_eq_u32 s10, 0
	v_cmp_lt_i64_e32 vcc_lo, 0, v[6:7]
	s_cselect_b32 s2, ttmp9, s2
	s_cselect_b32 s3, s5, s7
	s_wait_loadcnt_dscnt 0x707
	ds_store_b64 v29, v[10:11]
	s_wait_loadcnt_dscnt 0x607
	ds_store_b64 v32, v[12:13] offset:2048
	s_wait_loadcnt_dscnt 0x507
	ds_store_b64 v33, v[14:15] offset:4096
	;; [unrolled: 2-line block ×7, first 2 shown]
	s_wait_storecnt_dscnt 0x0
	s_barrier_signal -1
	s_barrier_wait -1
	ds_load_2addr_b64 v[18:21], v54 offset1:1
	ds_load_2addr_b64 v[14:17], v54 offset0:2 offset1:3
	ds_load_2addr_b64 v[10:13], v54 offset0:4 offset1:5
	ds_load_2addr_b64 v[0:3], v54 offset0:6 offset1:7
	s_wait_dscnt 0x0
	s_barrier_signal -1
	s_barrier_wait -1
	s_load_b64 s[0:1], s[8:9], 0x0
	s_wait_kmcnt 0x0
	s_cmp_lt_u32 s2, s0
	s_cselect_b32 s0, 12, 18
	s_cmp_lt_u32 s3, s1
	s_mov_b32 s1, 0
	s_cselect_b32 s2, 14, 20
	s_mov_b32 s3, s1
	s_add_nc_u64 s[0:1], s[8:9], s[0:1]
	s_add_nc_u64 s[2:3], s[8:9], s[2:3]
	s_load_u16 s0, s[0:1], 0x0
	s_wait_xcnt 0x0
	s_mov_b32 s1, exec_lo
	s_load_u16 s2, s[2:3], 0x0
	s_wait_kmcnt 0x0
	v_mad_u32_u24 v22, v31, s2, v30
	s_delay_alu instid0(VALU_DEP_1) | instskip(NEXT) | instid1(VALU_DEP_1)
	v_mul_lo_u32 v22, v22, s0
	v_add_lshl_u32 v39, v22, v26, 3
	s_delay_alu instid0(VALU_DEP_1)
	v_cmpx_gt_u32_e32 0x800, v39
	s_cbranch_execz .LBB1238_581
; %bb.2:
	s_and_saveexec_b32 s2, vcc_lo
	s_cbranch_execz .LBB1238_35
; %bb.3:
	v_mul_u64_e32 v[22:23], v[18:19], v[6:7]
	v_mul_u64_e32 v[24:25], v[20:21], v[6:7]
	v_mov_b64_e32 v[30:31], v[6:7]
	s_mov_b32 s5, 0
                                        ; implicit-def: $sgpr3
                                        ; implicit-def: $sgpr6
                                        ; implicit-def: $sgpr7
                                        ; implicit-def: $sgpr11
                                        ; implicit-def: $sgpr12
	s_delay_alu instid0(VALU_DEP_3) | instskip(NEXT) | instid1(VALU_DEP_3)
	v_lshl_add_u64 v[22:23], v[22:23], 1, v[8:9]
	v_lshl_add_u64 v[24:25], v[24:25], 1, v[8:9]
	s_branch .LBB1238_5
.LBB1238_4:                             ;   in Loop: Header=BB1238_5 Depth=1
	s_or_b32 exec_lo, exec_lo, s12
	s_delay_alu instid0(SALU_CYCLE_1) | instskip(NEXT) | instid1(SALU_CYCLE_1)
	s_and_b32 s0, exec_lo, s0
	s_or_b32 s5, s0, s5
	s_and_not1_b32 s0, s6, exec_lo
	s_and_b32 s6, s7, exec_lo
	s_and_not1_b32 s3, s3, exec_lo
	s_and_b32 s12, s11, exec_lo
	s_or_b32 s6, s0, s6
	s_or_b32 s3, s3, s12
	s_mov_b32 s12, s11
	s_and_not1_b32 exec_lo, exec_lo, s5
	s_cbranch_execz .LBB1238_339
.LBB1238_5:                             ; =>This Inner Loop Header: Depth=1
	flat_load_u16 v48, v[24:25]
	flat_load_u16 v49, v[22:23]
	s_or_b32 s11, s11, exec_lo
	s_mov_b32 s13, 0
	s_mov_b32 s14, exec_lo
	s_wait_loadcnt_dscnt 0x0
	v_cmpx_nlt_f16_e32 v48, v49
; %bb.6:                                ;   in Loop: Header=BB1238_5 Depth=1
	v_cmp_ngt_f16_e64 s0, v48, v49
	s_and_not1_b32 s11, s11, exec_lo
	s_and_b32 s12, s0, s12
	s_and_b32 s13, s0, exec_lo
	s_and_b32 s12, s12, exec_lo
	s_delay_alu instid0(SALU_CYCLE_1)
	s_or_b32 s11, s11, s12
; %bb.7:                                ;   in Loop: Header=BB1238_5 Depth=1
	s_or_b32 exec_lo, exec_lo, s14
	s_mov_b32 s0, -1
	s_or_b32 s7, s7, exec_lo
	s_and_saveexec_b32 s12, s13
	s_cbranch_execz .LBB1238_4
; %bb.8:                                ;   in Loop: Header=BB1238_5 Depth=1
	v_add_nc_u64_e32 v[30:31], -1, v[30:31]
	v_add_nc_u64_e32 v[22:23], 2, v[22:23]
	v_add_nc_u64_e32 v[24:25], 2, v[24:25]
	s_and_not1_b32 s7, s7, exec_lo
	s_delay_alu instid0(VALU_DEP_3)
	v_cmp_eq_u64_e64 s0, 0, v[30:31]
	s_or_not1_b32 s0, s0, exec_lo
	s_branch .LBB1238_4
.LBB1238_9:
	s_and_not1_saveexec_b32 s13, s4
	s_cbranch_execz .LBB1238_1532
.LBB1238_10:
	v_cmp_lt_u32_e32 vcc_lo, v26, v0
                                        ; implicit-def: $vgpr10_vgpr11
	s_and_saveexec_b32 s0, vcc_lo
	s_cbranch_execz .LBB1238_12
; %bb.11:
	v_mov_b32_e32 v29, 0
	s_wait_dscnt 0x7
	s_delay_alu instid0(VALU_DEP_1)
	v_add_nc_u64_e32 v[10:11], v[2:3], v[28:29]
	flat_load_b64 v[10:11], v[10:11]
.LBB1238_12:
	s_wait_xcnt 0x0
	s_or_b32 exec_lo, exec_lo, s0
	v_cmp_lt_u32_e64 s0, v39, v0
                                        ; implicit-def: $vgpr12_vgpr13
	s_and_saveexec_b32 s1, s0
	s_cbranch_execz .LBB1238_14
; %bb.13:
	v_mov_b32_e32 v29, 0
	s_delay_alu instid0(VALU_DEP_1)
	v_add_nc_u64_e32 v[12:13], v[2:3], v[28:29]
	flat_load_b64 v[12:13], v[12:13] offset:2048
.LBB1238_14:
	s_wait_xcnt 0x0
	s_or_b32 exec_lo, exec_lo, s1
	v_cmp_lt_u32_e64 s1, v38, v0
                                        ; implicit-def: $vgpr14_vgpr15
	s_and_saveexec_b32 s2, s1
	s_cbranch_execz .LBB1238_16
; %bb.15:
	v_mov_b32_e32 v29, 0
	s_delay_alu instid0(VALU_DEP_1)
	v_add_nc_u64_e32 v[14:15], v[2:3], v[28:29]
	flat_load_b64 v[14:15], v[14:15] offset:4096
.LBB1238_16:
	s_wait_xcnt 0x0
	s_or_b32 exec_lo, exec_lo, s2
	v_cmp_lt_u32_e64 s2, v36, v0
                                        ; implicit-def: $vgpr16_vgpr17
	s_and_saveexec_b32 s3, s2
	s_cbranch_execz .LBB1238_18
; %bb.17:
	v_mov_b32_e32 v29, 0
	s_delay_alu instid0(VALU_DEP_1)
	v_add_nc_u64_e32 v[16:17], v[2:3], v[28:29]
	flat_load_b64 v[16:17], v[16:17] offset:6144
.LBB1238_18:
	s_wait_xcnt 0x0
	s_or_b32 exec_lo, exec_lo, s3
	v_cmp_lt_u32_e64 s3, v35, v0
                                        ; implicit-def: $vgpr18_vgpr19
	s_and_saveexec_b32 s4, s3
	s_cbranch_execz .LBB1238_20
; %bb.19:
	v_mov_b32_e32 v29, 0
	s_delay_alu instid0(VALU_DEP_1)
	v_add_nc_u64_e32 v[18:19], v[2:3], v[28:29]
	flat_load_b64 v[18:19], v[18:19] offset:8192
.LBB1238_20:
	s_wait_xcnt 0x0
	s_or_b32 exec_lo, exec_lo, s4
	v_cmp_lt_u32_e64 s4, v34, v0
                                        ; implicit-def: $vgpr20_vgpr21
	s_and_saveexec_b32 s5, s4
	s_cbranch_execz .LBB1238_22
; %bb.21:
	v_mov_b32_e32 v29, 0
	s_delay_alu instid0(VALU_DEP_1)
	v_add_nc_u64_e32 v[20:21], v[2:3], v[28:29]
	flat_load_b64 v[20:21], v[20:21] offset:10240
.LBB1238_22:
	s_wait_xcnt 0x0
	s_or_b32 exec_lo, exec_lo, s5
	v_cmp_lt_u32_e64 s5, v33, v0
                                        ; implicit-def: $vgpr22_vgpr23
	s_and_saveexec_b32 s6, s5
	s_cbranch_execz .LBB1238_24
; %bb.23:
	v_mov_b32_e32 v29, 0
	s_delay_alu instid0(VALU_DEP_1)
	v_add_nc_u64_e32 v[22:23], v[2:3], v[28:29]
	flat_load_b64 v[22:23], v[22:23] offset:12288
.LBB1238_24:
	s_wait_xcnt 0x0
	s_or_b32 exec_lo, exec_lo, s6
	v_cmp_lt_u32_e64 s6, v32, v0
	v_cmp_ge_u32_e64 s7, v32, v0
	v_mov_b32_e32 v27, 0
	s_and_saveexec_b32 s11, s7
	s_delay_alu instid0(SALU_CYCLE_1)
	s_xor_b32 s7, exec_lo, s11
; %bb.25:
                                        ; implicit-def: $vgpr2_vgpr3
; %bb.26:
	s_delay_alu instid0(SALU_CYCLE_1) | instskip(NEXT) | instid1(SALU_CYCLE_1)
	s_or_saveexec_b32 s7, s7
                                        ; implicit-def: $vgpr24_vgpr25
	s_xor_b32 exec_lo, exec_lo, s7
	s_cbranch_execz .LBB1238_28
; %bb.27:
	v_dual_mov_b32 v25, 0 :: v_dual_lshlrev_b32 v24, 3, v26
	s_delay_alu instid0(VALU_DEP_1)
	v_add_nc_u64_e32 v[2:3], v[2:3], v[24:25]
	flat_load_b64 v[24:25], v[2:3] offset:14336
.LBB1238_28:
	s_wait_xcnt 0x0
	s_or_b32 exec_lo, exec_lo, s7
	v_dual_lshrrev_b32 v2, 5, v39 :: v_dual_lshrrev_b32 v3, 5, v38
	v_add_lshl_u32 v29, v37, v26, 3
	v_lshrrev_b32_e32 v38, 5, v36
	v_add_lshl_u32 v1, v1, v28, 3
	s_delay_alu instid0(VALU_DEP_4)
	v_add_lshl_u32 v36, v2, v26, 3
	v_add_lshl_u32 v37, v3, v26, 3
	v_dual_lshrrev_b32 v2, 5, v35 :: v_dual_lshrrev_b32 v3, 5, v34
	s_wait_loadcnt_dscnt 0x0
	ds_store_b64 v29, v[10:11]
	ds_store_b64 v36, v[12:13] offset:2048
	ds_store_b64 v37, v[14:15] offset:4096
	v_dual_lshrrev_b32 v10, 5, v33 :: v_dual_lshrrev_b32 v11, 5, v32
	v_add_lshl_u32 v38, v38, v26, 3
	v_add_lshl_u32 v39, v2, v26, 3
	;; [unrolled: 1-line block ×3, first 2 shown]
	s_delay_alu instid0(VALU_DEP_4)
	v_add_lshl_u32 v49, v10, v26, 3
	v_add_lshl_u32 v50, v11, v26, 3
	ds_store_b64 v38, v[16:17] offset:6144
	ds_store_b64 v39, v[18:19] offset:8192
	;; [unrolled: 1-line block ×5, first 2 shown]
	s_wait_storecnt_dscnt 0x0
	s_barrier_signal -1
	s_barrier_wait -1
	ds_load_2addr_b64 v[22:25], v1 offset1:1
	ds_load_2addr_b64 v[18:21], v1 offset0:2 offset1:3
	ds_load_2addr_b64 v[14:17], v1 offset0:4 offset1:5
	;; [unrolled: 1-line block ×3, first 2 shown]
	s_wait_dscnt 0x0
	s_barrier_signal -1
	s_barrier_wait -1
	s_load_b64 s[14:15], s[8:9], 0x0
	s_bfe_u32 s7, ttmp6, 0x4000c
	s_bfe_u32 s16, ttmp6, 0x40010
	s_add_co_i32 s7, s7, 1
	s_and_b32 s17, ttmp7, 0xffff
	s_add_co_i32 s16, s16, 1
	s_and_b32 s11, ttmp6, 15
	s_mul_i32 s7, ttmp9, s7
	s_mul_i32 s16, s17, s16
	s_bfe_u32 s18, ttmp6, 0x40004
	s_add_co_i32 s11, s11, s7
	s_add_co_i32 s18, s18, s16
	s_cmp_eq_u32 s10, 0
	s_cselect_b32 s7, ttmp9, s11
	s_cselect_b32 s11, s17, s18
	s_wait_kmcnt 0x0
	s_cmp_lt_u32 s7, s14
	s_cselect_b32 s10, 12, 18
	s_cmp_lt_u32 s11, s15
	s_mov_b32 s11, 0
	s_cselect_b32 s14, 14, 20
	s_mov_b32 s15, s11
	s_delay_alu instid0(SALU_CYCLE_1)
	s_add_nc_u64 s[14:15], s[8:9], s[14:15]
	s_add_nc_u64 s[8:9], s[8:9], s[10:11]
	s_clause 0x1
	s_load_u16 s7, s[14:15], 0x0
	s_nop 0
	s_load_u16 s8, s[8:9], 0x0
	s_wait_kmcnt 0x0
	v_mad_u32_u24 v2, v31, s7, v30
	v_cmp_lt_i64_e64 s7, 0, v[6:7]
	s_delay_alu instid0(VALU_DEP_2) | instskip(SKIP_1) | instid1(VALU_DEP_2)
	v_mul_lo_u32 v2, v2, s8
	v_cmp_gt_i64_e64 s8, 1, v[6:7]
	v_add_lshl_u32 v34, v2, v26, 3
	s_delay_alu instid0(VALU_DEP_1) | instskip(NEXT) | instid1(VALU_DEP_1)
	v_sub_nc_u32_e64 v35, v0, v34 clamp
	v_cmp_lt_u32_e64 s9, 1, v35
	s_and_b32 s10, s9, s7
	s_delay_alu instid0(SALU_CYCLE_1)
	s_and_saveexec_b32 s14, s10
	s_cbranch_execz .LBB1238_45
; %bb.29:
	v_mul_u64_e32 v[2:3], v[22:23], v[6:7]
	v_mul_u64_e32 v[30:31], v[24:25], v[6:7]
	v_mov_b64_e32 v[32:33], v[6:7]
                                        ; implicit-def: $sgpr15
                                        ; implicit-def: $sgpr16
                                        ; implicit-def: $sgpr17
                                        ; implicit-def: $sgpr18
                                        ; implicit-def: $sgpr19
	s_delay_alu instid0(VALU_DEP_3) | instskip(NEXT) | instid1(VALU_DEP_3)
	v_lshl_add_u64 v[2:3], v[2:3], 1, v[8:9]
	v_lshl_add_u64 v[30:31], v[30:31], 1, v[8:9]
	s_branch .LBB1238_31
.LBB1238_30:                            ;   in Loop: Header=BB1238_31 Depth=1
	s_or_b32 exec_lo, exec_lo, s19
	s_delay_alu instid0(SALU_CYCLE_1) | instskip(NEXT) | instid1(SALU_CYCLE_1)
	s_and_b32 s9, exec_lo, s9
	s_or_b32 s11, s9, s11
	s_and_not1_b32 s9, s16, exec_lo
	s_and_b32 s16, s17, exec_lo
	s_and_not1_b32 s15, s15, exec_lo
	s_and_b32 s19, s18, exec_lo
	s_or_b32 s16, s9, s16
	s_or_b32 s15, s15, s19
	s_mov_b32 s19, s18
	s_and_not1_b32 exec_lo, exec_lo, s11
	s_cbranch_execz .LBB1238_42
.LBB1238_31:                            ; =>This Inner Loop Header: Depth=1
	flat_load_u16 v51, v[30:31]
	flat_load_u16 v52, v[2:3]
	s_mov_b32 s20, 0
	s_or_b32 s18, s18, exec_lo
	s_mov_b32 s21, exec_lo
	s_wait_loadcnt_dscnt 0x0
	v_cmpx_nlt_f16_e32 v51, v52
; %bb.32:                               ;   in Loop: Header=BB1238_31 Depth=1
	v_cmp_ngt_f16_e64 s9, v51, v52
	s_and_not1_b32 s18, s18, exec_lo
	s_and_b32 s19, s9, s19
	s_and_b32 s20, s9, exec_lo
	s_and_b32 s19, s19, exec_lo
	s_delay_alu instid0(SALU_CYCLE_1)
	s_or_b32 s18, s18, s19
; %bb.33:                               ;   in Loop: Header=BB1238_31 Depth=1
	s_or_b32 exec_lo, exec_lo, s21
	s_mov_b32 s9, -1
	s_or_b32 s17, s17, exec_lo
	s_and_saveexec_b32 s19, s20
	s_cbranch_execz .LBB1238_30
; %bb.34:                               ;   in Loop: Header=BB1238_31 Depth=1
	v_add_nc_u64_e32 v[32:33], -1, v[32:33]
	v_add_nc_u64_e32 v[2:3], 2, v[2:3]
	v_add_nc_u64_e32 v[30:31], 2, v[30:31]
	s_and_not1_b32 s17, s17, exec_lo
	s_delay_alu instid0(VALU_DEP_3)
	v_cmp_eq_u64_e64 s9, 0, v[32:33]
	s_or_not1_b32 s9, s9, exec_lo
	s_branch .LBB1238_30
.LBB1238_35:
	s_or_b32 exec_lo, exec_lo, s2
	s_and_saveexec_b32 s2, vcc_lo
	s_cbranch_execz .LBB1238_367
.LBB1238_36:
	v_mul_u64_e32 v[22:23], v[10:11], v[6:7]
	v_mul_u64_e32 v[24:25], v[12:13], v[6:7]
	v_mov_b64_e32 v[30:31], v[6:7]
	s_mov_b32 s5, 0
                                        ; implicit-def: $sgpr3
                                        ; implicit-def: $sgpr6
                                        ; implicit-def: $sgpr7
                                        ; implicit-def: $sgpr11
                                        ; implicit-def: $sgpr12
	s_delay_alu instid0(VALU_DEP_3) | instskip(NEXT) | instid1(VALU_DEP_3)
	v_lshl_add_u64 v[22:23], v[22:23], 1, v[8:9]
	v_lshl_add_u64 v[24:25], v[24:25], 1, v[8:9]
	s_branch .LBB1238_38
.LBB1238_37:                            ;   in Loop: Header=BB1238_38 Depth=1
	s_or_b32 exec_lo, exec_lo, s12
	s_delay_alu instid0(SALU_CYCLE_1) | instskip(NEXT) | instid1(SALU_CYCLE_1)
	s_and_b32 s0, exec_lo, s0
	s_or_b32 s5, s0, s5
	s_and_not1_b32 s0, s6, exec_lo
	s_and_b32 s6, s7, exec_lo
	s_and_not1_b32 s3, s3, exec_lo
	s_and_b32 s12, s11, exec_lo
	s_or_b32 s6, s0, s6
	s_or_b32 s3, s3, s12
	s_mov_b32 s12, s11
	s_and_not1_b32 exec_lo, exec_lo, s5
	s_cbranch_execz .LBB1238_347
.LBB1238_38:                            ; =>This Inner Loop Header: Depth=1
	flat_load_u16 v48, v[24:25]
	flat_load_u16 v49, v[22:23]
	s_or_b32 s11, s11, exec_lo
	s_mov_b32 s13, 0
	s_mov_b32 s14, exec_lo
	s_wait_loadcnt_dscnt 0x0
	v_cmpx_nlt_f16_e32 v48, v49
; %bb.39:                               ;   in Loop: Header=BB1238_38 Depth=1
	v_cmp_ngt_f16_e64 s0, v48, v49
	s_and_not1_b32 s11, s11, exec_lo
	s_and_b32 s12, s0, s12
	s_and_b32 s13, s0, exec_lo
	s_and_b32 s12, s12, exec_lo
	s_delay_alu instid0(SALU_CYCLE_1)
	s_or_b32 s11, s11, s12
; %bb.40:                               ;   in Loop: Header=BB1238_38 Depth=1
	s_or_b32 exec_lo, exec_lo, s14
	s_mov_b32 s0, -1
	s_or_b32 s7, s7, exec_lo
	s_and_saveexec_b32 s12, s13
	s_cbranch_execz .LBB1238_37
; %bb.41:                               ;   in Loop: Header=BB1238_38 Depth=1
	v_add_nc_u64_e32 v[30:31], -1, v[30:31]
	v_add_nc_u64_e32 v[22:23], 2, v[22:23]
	v_add_nc_u64_e32 v[24:25], 2, v[24:25]
	s_and_not1_b32 s7, s7, exec_lo
	s_delay_alu instid0(VALU_DEP_3)
	v_cmp_eq_u64_e64 s0, 0, v[30:31]
	s_or_not1_b32 s0, s0, exec_lo
	s_branch .LBB1238_37
.LBB1238_42:
	s_or_b32 exec_lo, exec_lo, s11
	s_and_saveexec_b32 s9, s16
	s_delay_alu instid0(SALU_CYCLE_1)
	s_xor_b32 s9, exec_lo, s9
; %bb.43:
	v_dual_cndmask_b32 v3, v25, v23, s15 :: v_dual_cndmask_b32 v2, v24, v22, s15
	v_dual_cndmask_b32 v23, v23, v25, s15 :: v_dual_cndmask_b32 v22, v22, v24, s15
	s_delay_alu instid0(VALU_DEP_2)
	v_mov_b64_e32 v[24:25], v[2:3]
; %bb.44:
	s_or_b32 exec_lo, exec_lo, s9
.LBB1238_45:
	s_delay_alu instid0(SALU_CYCLE_1)
	s_or_b32 exec_lo, exec_lo, s14
	v_cmp_lt_u32_e64 s9, 3, v35
	v_add_nc_u32_e32 v66, 0x800, v36
	v_add_nc_u32_e32 v67, 0x1000, v37
	;; [unrolled: 1-line block ×7, first 2 shown]
	v_dual_add_nc_u32 v81, 8, v1 :: v_dual_add_nc_u32 v82, 16, v1
	v_dual_add_nc_u32 v83, 24, v1 :: v_dual_add_nc_u32 v84, 32, v1
	v_dual_add_nc_u32 v85, 40, v1 :: v_dual_add_nc_u32 v86, 48, v1
	v_add_nc_u32_e32 v87, 56, v1
	s_xor_b32 s14, s8, -1
	s_delay_alu instid0(SALU_CYCLE_1) | instskip(NEXT) | instid1(SALU_CYCLE_1)
	s_and_b32 s11, s9, s14
	s_and_saveexec_b32 s15, s11
	s_cbranch_execz .LBB1238_55
; %bb.46:
	v_mul_u64_e32 v[2:3], v[18:19], v[6:7]
	v_mul_u64_e32 v[30:31], v[20:21], v[6:7]
	v_mov_b64_e32 v[32:33], v[6:7]
	s_mov_b32 s17, 0
                                        ; implicit-def: $sgpr16
                                        ; implicit-def: $sgpr18
                                        ; implicit-def: $sgpr19
                                        ; implicit-def: $sgpr20
                                        ; implicit-def: $sgpr21
	s_delay_alu instid0(VALU_DEP_3) | instskip(NEXT) | instid1(VALU_DEP_3)
	v_lshl_add_u64 v[2:3], v[2:3], 1, v[8:9]
	v_lshl_add_u64 v[30:31], v[30:31], 1, v[8:9]
	s_branch .LBB1238_48
.LBB1238_47:                            ;   in Loop: Header=BB1238_48 Depth=1
	s_or_b32 exec_lo, exec_lo, s21
	s_delay_alu instid0(SALU_CYCLE_1) | instskip(NEXT) | instid1(SALU_CYCLE_1)
	s_and_b32 s9, exec_lo, s9
	s_or_b32 s17, s9, s17
	s_and_not1_b32 s9, s18, exec_lo
	s_and_b32 s18, s19, exec_lo
	s_and_not1_b32 s16, s16, exec_lo
	s_and_b32 s21, s20, exec_lo
	s_or_b32 s18, s9, s18
	s_or_b32 s16, s16, s21
	s_mov_b32 s21, s20
	s_and_not1_b32 exec_lo, exec_lo, s17
	s_cbranch_execz .LBB1238_52
.LBB1238_48:                            ; =>This Inner Loop Header: Depth=1
	flat_load_u16 v36, v[30:31]
	flat_load_u16 v37, v[2:3]
	s_or_b32 s20, s20, exec_lo
	s_mov_b32 s22, 0
	s_mov_b32 s23, exec_lo
	s_wait_loadcnt_dscnt 0x0
	v_cmpx_nlt_f16_e32 v36, v37
; %bb.49:                               ;   in Loop: Header=BB1238_48 Depth=1
	v_cmp_ngt_f16_e64 s9, v36, v37
	s_and_not1_b32 s20, s20, exec_lo
	s_and_b32 s21, s9, s21
	s_and_b32 s22, s9, exec_lo
	s_and_b32 s21, s21, exec_lo
	s_delay_alu instid0(SALU_CYCLE_1)
	s_or_b32 s20, s20, s21
; %bb.50:                               ;   in Loop: Header=BB1238_48 Depth=1
	s_or_b32 exec_lo, exec_lo, s23
	s_mov_b32 s9, -1
	s_or_b32 s19, s19, exec_lo
	s_and_saveexec_b32 s21, s22
	s_cbranch_execz .LBB1238_47
; %bb.51:                               ;   in Loop: Header=BB1238_48 Depth=1
	v_add_nc_u64_e32 v[32:33], -1, v[32:33]
	v_add_nc_u64_e32 v[2:3], 2, v[2:3]
	v_add_nc_u64_e32 v[30:31], 2, v[30:31]
	s_and_not1_b32 s19, s19, exec_lo
	s_delay_alu instid0(VALU_DEP_3)
	v_cmp_eq_u64_e64 s9, 0, v[32:33]
	s_or_not1_b32 s9, s9, exec_lo
	s_branch .LBB1238_47
.LBB1238_52:
	s_or_b32 exec_lo, exec_lo, s17
	s_and_saveexec_b32 s9, s18
	s_delay_alu instid0(SALU_CYCLE_1)
	s_xor_b32 s9, exec_lo, s9
; %bb.53:
	v_dual_cndmask_b32 v3, v19, v21, s16 :: v_dual_cndmask_b32 v2, v18, v20, s16
	v_dual_cndmask_b32 v21, v21, v19, s16 :: v_dual_cndmask_b32 v20, v20, v18, s16
	s_delay_alu instid0(VALU_DEP_2)
	v_mov_b64_e32 v[18:19], v[2:3]
; %bb.54:
	s_or_b32 exec_lo, exec_lo, s9
.LBB1238_55:
	s_delay_alu instid0(SALU_CYCLE_1) | instskip(SKIP_2) | instid1(SALU_CYCLE_1)
	s_or_b32 exec_lo, exec_lo, s15
	v_cmp_lt_u32_e64 s9, 5, v35
	s_and_b32 s15, s9, s14
	s_and_saveexec_b32 s16, s15
	s_cbranch_execz .LBB1238_65
; %bb.56:
	v_mul_u64_e32 v[2:3], v[14:15], v[6:7]
	v_mul_u64_e32 v[30:31], v[16:17], v[6:7]
	v_mov_b64_e32 v[32:33], v[6:7]
	s_mov_b32 s18, 0
                                        ; implicit-def: $sgpr17
                                        ; implicit-def: $sgpr19
                                        ; implicit-def: $sgpr20
                                        ; implicit-def: $sgpr21
                                        ; implicit-def: $sgpr22
	s_delay_alu instid0(VALU_DEP_3) | instskip(NEXT) | instid1(VALU_DEP_3)
	v_lshl_add_u64 v[2:3], v[2:3], 1, v[8:9]
	v_lshl_add_u64 v[30:31], v[30:31], 1, v[8:9]
	s_branch .LBB1238_58
.LBB1238_57:                            ;   in Loop: Header=BB1238_58 Depth=1
	s_or_b32 exec_lo, exec_lo, s22
	s_delay_alu instid0(SALU_CYCLE_1) | instskip(NEXT) | instid1(SALU_CYCLE_1)
	s_and_b32 s9, exec_lo, s9
	s_or_b32 s18, s9, s18
	s_and_not1_b32 s9, s19, exec_lo
	s_and_b32 s19, s20, exec_lo
	s_and_not1_b32 s17, s17, exec_lo
	s_and_b32 s22, s21, exec_lo
	s_or_b32 s19, s9, s19
	s_or_b32 s17, s17, s22
	s_mov_b32 s22, s21
	s_and_not1_b32 exec_lo, exec_lo, s18
	s_cbranch_execz .LBB1238_62
.LBB1238_58:                            ; =>This Inner Loop Header: Depth=1
	flat_load_u16 v36, v[30:31]
	flat_load_u16 v37, v[2:3]
	s_or_b32 s21, s21, exec_lo
	s_mov_b32 s23, 0
	s_mov_b32 s24, exec_lo
	s_wait_loadcnt_dscnt 0x0
	v_cmpx_nlt_f16_e32 v36, v37
; %bb.59:                               ;   in Loop: Header=BB1238_58 Depth=1
	v_cmp_ngt_f16_e64 s9, v36, v37
	s_and_not1_b32 s21, s21, exec_lo
	s_and_b32 s22, s9, s22
	s_and_b32 s23, s9, exec_lo
	s_and_b32 s22, s22, exec_lo
	s_delay_alu instid0(SALU_CYCLE_1)
	s_or_b32 s21, s21, s22
; %bb.60:                               ;   in Loop: Header=BB1238_58 Depth=1
	s_or_b32 exec_lo, exec_lo, s24
	s_mov_b32 s9, -1
	s_or_b32 s20, s20, exec_lo
	s_and_saveexec_b32 s22, s23
	s_cbranch_execz .LBB1238_57
; %bb.61:                               ;   in Loop: Header=BB1238_58 Depth=1
	v_add_nc_u64_e32 v[32:33], -1, v[32:33]
	v_add_nc_u64_e32 v[2:3], 2, v[2:3]
	v_add_nc_u64_e32 v[30:31], 2, v[30:31]
	s_and_not1_b32 s20, s20, exec_lo
	s_delay_alu instid0(VALU_DEP_3)
	v_cmp_eq_u64_e64 s9, 0, v[32:33]
	s_or_not1_b32 s9, s9, exec_lo
	s_branch .LBB1238_57
.LBB1238_62:
	s_or_b32 exec_lo, exec_lo, s18
	s_and_saveexec_b32 s9, s19
	s_delay_alu instid0(SALU_CYCLE_1)
	s_xor_b32 s9, exec_lo, s9
; %bb.63:
	v_dual_cndmask_b32 v3, v15, v17, s17 :: v_dual_cndmask_b32 v2, v14, v16, s17
	v_dual_cndmask_b32 v17, v17, v15, s17 :: v_dual_cndmask_b32 v16, v16, v14, s17
	s_delay_alu instid0(VALU_DEP_2)
	v_mov_b64_e32 v[14:15], v[2:3]
; %bb.64:
	s_or_b32 exec_lo, exec_lo, s9
.LBB1238_65:
	s_delay_alu instid0(SALU_CYCLE_1) | instskip(SKIP_2) | instid1(SALU_CYCLE_1)
	s_or_b32 exec_lo, exec_lo, s16
	v_cmp_lt_u32_e64 s9, 7, v35
	s_and_b32 s16, s9, s14
	s_and_saveexec_b32 s17, s16
	s_cbranch_execz .LBB1238_75
; %bb.66:
	v_mul_u64_e32 v[2:3], v[10:11], v[6:7]
	v_mul_u64_e32 v[30:31], v[12:13], v[6:7]
	v_mov_b64_e32 v[32:33], v[6:7]
	s_mov_b32 s19, 0
                                        ; implicit-def: $sgpr18
                                        ; implicit-def: $sgpr20
                                        ; implicit-def: $sgpr21
                                        ; implicit-def: $sgpr22
                                        ; implicit-def: $sgpr23
	s_delay_alu instid0(VALU_DEP_3) | instskip(NEXT) | instid1(VALU_DEP_3)
	v_lshl_add_u64 v[2:3], v[2:3], 1, v[8:9]
	v_lshl_add_u64 v[30:31], v[30:31], 1, v[8:9]
	s_branch .LBB1238_68
.LBB1238_67:                            ;   in Loop: Header=BB1238_68 Depth=1
	s_or_b32 exec_lo, exec_lo, s23
	s_delay_alu instid0(SALU_CYCLE_1) | instskip(NEXT) | instid1(SALU_CYCLE_1)
	s_and_b32 s9, exec_lo, s9
	s_or_b32 s19, s9, s19
	s_and_not1_b32 s9, s20, exec_lo
	s_and_b32 s20, s21, exec_lo
	s_and_not1_b32 s18, s18, exec_lo
	s_and_b32 s23, s22, exec_lo
	s_or_b32 s20, s9, s20
	s_or_b32 s18, s18, s23
	s_mov_b32 s23, s22
	s_and_not1_b32 exec_lo, exec_lo, s19
	s_cbranch_execz .LBB1238_72
.LBB1238_68:                            ; =>This Inner Loop Header: Depth=1
	flat_load_u16 v36, v[30:31]
	flat_load_u16 v37, v[2:3]
	s_or_b32 s22, s22, exec_lo
	s_mov_b32 s24, 0
	s_mov_b32 s25, exec_lo
	s_wait_loadcnt_dscnt 0x0
	v_cmpx_nlt_f16_e32 v36, v37
; %bb.69:                               ;   in Loop: Header=BB1238_68 Depth=1
	v_cmp_ngt_f16_e64 s9, v36, v37
	s_and_not1_b32 s22, s22, exec_lo
	s_and_b32 s23, s9, s23
	s_and_b32 s24, s9, exec_lo
	s_and_b32 s23, s23, exec_lo
	s_delay_alu instid0(SALU_CYCLE_1)
	s_or_b32 s22, s22, s23
; %bb.70:                               ;   in Loop: Header=BB1238_68 Depth=1
	s_or_b32 exec_lo, exec_lo, s25
	s_mov_b32 s9, -1
	s_or_b32 s21, s21, exec_lo
	s_and_saveexec_b32 s23, s24
	s_cbranch_execz .LBB1238_67
; %bb.71:                               ;   in Loop: Header=BB1238_68 Depth=1
	v_add_nc_u64_e32 v[32:33], -1, v[32:33]
	v_add_nc_u64_e32 v[2:3], 2, v[2:3]
	v_add_nc_u64_e32 v[30:31], 2, v[30:31]
	s_and_not1_b32 s21, s21, exec_lo
	s_delay_alu instid0(VALU_DEP_3)
	v_cmp_eq_u64_e64 s9, 0, v[32:33]
	s_or_not1_b32 s9, s9, exec_lo
	s_branch .LBB1238_67
.LBB1238_72:
	s_or_b32 exec_lo, exec_lo, s19
	s_and_saveexec_b32 s9, s20
	s_delay_alu instid0(SALU_CYCLE_1)
	s_xor_b32 s9, exec_lo, s9
; %bb.73:
	v_dual_cndmask_b32 v3, v11, v13, s18 :: v_dual_cndmask_b32 v2, v10, v12, s18
	v_dual_cndmask_b32 v13, v13, v11, s18 :: v_dual_cndmask_b32 v12, v12, v10, s18
	s_delay_alu instid0(VALU_DEP_2)
	v_mov_b64_e32 v[10:11], v[2:3]
; %bb.74:
	s_or_b32 exec_lo, exec_lo, s9
.LBB1238_75:
	s_delay_alu instid0(SALU_CYCLE_1) | instskip(SKIP_2) | instid1(SALU_CYCLE_1)
	s_or_b32 exec_lo, exec_lo, s17
	v_cmp_lt_u32_e64 s9, 2, v35
	s_and_b32 s17, s9, s14
	s_and_saveexec_b32 s9, s17
	s_delay_alu instid0(SALU_CYCLE_1)
	s_xor_b32 s18, exec_lo, s9
	s_cbranch_execz .LBB1238_85
; %bb.76:
	v_mul_u64_e32 v[2:3], v[24:25], v[6:7]
	v_mul_u64_e32 v[30:31], v[18:19], v[6:7]
	v_mov_b64_e32 v[32:33], v[6:7]
	s_mov_b32 s20, 0
                                        ; implicit-def: $sgpr19
                                        ; implicit-def: $sgpr21
                                        ; implicit-def: $sgpr22
                                        ; implicit-def: $sgpr23
                                        ; implicit-def: $sgpr24
	s_delay_alu instid0(VALU_DEP_3) | instskip(NEXT) | instid1(VALU_DEP_3)
	v_lshl_add_u64 v[2:3], v[2:3], 1, v[8:9]
	v_lshl_add_u64 v[30:31], v[30:31], 1, v[8:9]
	s_branch .LBB1238_78
.LBB1238_77:                            ;   in Loop: Header=BB1238_78 Depth=1
	s_or_b32 exec_lo, exec_lo, s24
	s_delay_alu instid0(SALU_CYCLE_1) | instskip(NEXT) | instid1(SALU_CYCLE_1)
	s_and_b32 s9, exec_lo, s9
	s_or_b32 s20, s9, s20
	s_and_not1_b32 s9, s21, exec_lo
	s_and_b32 s21, s22, exec_lo
	s_and_not1_b32 s19, s19, exec_lo
	s_and_b32 s24, s23, exec_lo
	s_or_b32 s21, s9, s21
	s_or_b32 s19, s19, s24
	s_mov_b32 s24, s23
	s_and_not1_b32 exec_lo, exec_lo, s20
	s_cbranch_execz .LBB1238_82
.LBB1238_78:                            ; =>This Inner Loop Header: Depth=1
	flat_load_u16 v36, v[30:31]
	flat_load_u16 v37, v[2:3]
	s_or_b32 s23, s23, exec_lo
	s_mov_b32 s25, 0
	s_mov_b32 s26, exec_lo
	s_wait_loadcnt_dscnt 0x0
	v_cmpx_nlt_f16_e32 v36, v37
; %bb.79:                               ;   in Loop: Header=BB1238_78 Depth=1
	v_cmp_ngt_f16_e64 s9, v36, v37
	s_and_not1_b32 s23, s23, exec_lo
	s_and_b32 s24, s9, s24
	s_and_b32 s25, s9, exec_lo
	s_and_b32 s24, s24, exec_lo
	s_delay_alu instid0(SALU_CYCLE_1)
	s_or_b32 s23, s23, s24
; %bb.80:                               ;   in Loop: Header=BB1238_78 Depth=1
	s_or_b32 exec_lo, exec_lo, s26
	s_mov_b32 s9, -1
	s_or_b32 s22, s22, exec_lo
	s_and_saveexec_b32 s24, s25
	s_cbranch_execz .LBB1238_77
; %bb.81:                               ;   in Loop: Header=BB1238_78 Depth=1
	v_add_nc_u64_e32 v[32:33], -1, v[32:33]
	v_add_nc_u64_e32 v[2:3], 2, v[2:3]
	v_add_nc_u64_e32 v[30:31], 2, v[30:31]
	s_and_not1_b32 s22, s22, exec_lo
	s_delay_alu instid0(VALU_DEP_3)
	v_cmp_eq_u64_e64 s9, 0, v[32:33]
	s_or_not1_b32 s9, s9, exec_lo
	s_branch .LBB1238_77
.LBB1238_82:
	s_or_b32 exec_lo, exec_lo, s20
	s_and_saveexec_b32 s9, s21
	s_delay_alu instid0(SALU_CYCLE_1)
	s_xor_b32 s9, exec_lo, s9
; %bb.83:
	v_dual_cndmask_b32 v3, v25, v19, s19 :: v_dual_cndmask_b32 v2, v24, v18, s19
	v_dual_cndmask_b32 v19, v19, v25, s19 :: v_dual_cndmask_b32 v18, v18, v24, s19
	s_delay_alu instid0(VALU_DEP_2)
	v_mov_b64_e32 v[24:25], v[2:3]
; %bb.84:
	s_or_b32 exec_lo, exec_lo, s9
.LBB1238_85:
	s_delay_alu instid0(SALU_CYCLE_1) | instskip(SKIP_2) | instid1(SALU_CYCLE_1)
	s_or_b32 exec_lo, exec_lo, s18
	v_cmp_lt_u32_e64 s9, 4, v35
	s_and_b32 s18, s9, s14
	s_and_saveexec_b32 s19, s18
	s_cbranch_execz .LBB1238_95
; %bb.86:
	v_mul_u64_e32 v[2:3], v[20:21], v[6:7]
	v_mul_u64_e32 v[30:31], v[14:15], v[6:7]
	v_mov_b64_e32 v[32:33], v[6:7]
	s_mov_b32 s21, 0
                                        ; implicit-def: $sgpr20
                                        ; implicit-def: $sgpr22
                                        ; implicit-def: $sgpr23
                                        ; implicit-def: $sgpr24
                                        ; implicit-def: $sgpr25
	s_delay_alu instid0(VALU_DEP_3) | instskip(NEXT) | instid1(VALU_DEP_3)
	v_lshl_add_u64 v[2:3], v[2:3], 1, v[8:9]
	v_lshl_add_u64 v[30:31], v[30:31], 1, v[8:9]
	s_branch .LBB1238_88
.LBB1238_87:                            ;   in Loop: Header=BB1238_88 Depth=1
	s_or_b32 exec_lo, exec_lo, s25
	s_delay_alu instid0(SALU_CYCLE_1) | instskip(NEXT) | instid1(SALU_CYCLE_1)
	s_and_b32 s9, exec_lo, s9
	s_or_b32 s21, s9, s21
	s_and_not1_b32 s9, s22, exec_lo
	s_and_b32 s22, s23, exec_lo
	s_and_not1_b32 s20, s20, exec_lo
	s_and_b32 s25, s24, exec_lo
	s_or_b32 s22, s9, s22
	s_or_b32 s20, s20, s25
	s_mov_b32 s25, s24
	s_and_not1_b32 exec_lo, exec_lo, s21
	s_cbranch_execz .LBB1238_92
.LBB1238_88:                            ; =>This Inner Loop Header: Depth=1
	flat_load_u16 v36, v[30:31]
	flat_load_u16 v37, v[2:3]
	s_or_b32 s24, s24, exec_lo
	s_mov_b32 s26, 0
	s_mov_b32 s27, exec_lo
	s_wait_loadcnt_dscnt 0x0
	v_cmpx_nlt_f16_e32 v36, v37
; %bb.89:                               ;   in Loop: Header=BB1238_88 Depth=1
	v_cmp_ngt_f16_e64 s9, v36, v37
	s_and_not1_b32 s24, s24, exec_lo
	s_and_b32 s25, s9, s25
	s_and_b32 s26, s9, exec_lo
	s_and_b32 s25, s25, exec_lo
	s_delay_alu instid0(SALU_CYCLE_1)
	s_or_b32 s24, s24, s25
; %bb.90:                               ;   in Loop: Header=BB1238_88 Depth=1
	s_or_b32 exec_lo, exec_lo, s27
	s_mov_b32 s9, -1
	s_or_b32 s23, s23, exec_lo
	s_and_saveexec_b32 s25, s26
	s_cbranch_execz .LBB1238_87
; %bb.91:                               ;   in Loop: Header=BB1238_88 Depth=1
	v_add_nc_u64_e32 v[32:33], -1, v[32:33]
	v_add_nc_u64_e32 v[2:3], 2, v[2:3]
	v_add_nc_u64_e32 v[30:31], 2, v[30:31]
	s_and_not1_b32 s23, s23, exec_lo
	s_delay_alu instid0(VALU_DEP_3)
	v_cmp_eq_u64_e64 s9, 0, v[32:33]
	s_or_not1_b32 s9, s9, exec_lo
	s_branch .LBB1238_87
.LBB1238_92:
	s_or_b32 exec_lo, exec_lo, s21
	s_and_saveexec_b32 s9, s22
	s_delay_alu instid0(SALU_CYCLE_1)
	s_xor_b32 s9, exec_lo, s9
; %bb.93:
	v_dual_cndmask_b32 v3, v21, v15, s20 :: v_dual_cndmask_b32 v2, v20, v14, s20
	v_dual_cndmask_b32 v15, v15, v21, s20 :: v_dual_cndmask_b32 v14, v14, v20, s20
	s_delay_alu instid0(VALU_DEP_2)
	v_mov_b64_e32 v[20:21], v[2:3]
; %bb.94:
	s_or_b32 exec_lo, exec_lo, s9
.LBB1238_95:
	s_delay_alu instid0(SALU_CYCLE_1) | instskip(SKIP_2) | instid1(SALU_CYCLE_1)
	s_or_b32 exec_lo, exec_lo, s19
	v_cmp_lt_u32_e64 s9, 6, v35
	s_and_b32 s19, s9, s14
	s_and_saveexec_b32 s20, s19
	s_cbranch_execz .LBB1238_102
; %bb.96:
	v_mul_u64_e32 v[2:3], v[16:17], v[6:7]
	v_mul_u64_e32 v[30:31], v[10:11], v[6:7]
	v_mov_b64_e32 v[32:33], v[6:7]
	s_mov_b32 s22, 0
                                        ; implicit-def: $sgpr21
                                        ; implicit-def: $sgpr23
                                        ; implicit-def: $sgpr24
                                        ; implicit-def: $sgpr25
                                        ; implicit-def: $sgpr26
	s_delay_alu instid0(VALU_DEP_3) | instskip(NEXT) | instid1(VALU_DEP_3)
	v_lshl_add_u64 v[2:3], v[2:3], 1, v[8:9]
	v_lshl_add_u64 v[30:31], v[30:31], 1, v[8:9]
	s_branch .LBB1238_98
.LBB1238_97:                            ;   in Loop: Header=BB1238_98 Depth=1
	s_or_b32 exec_lo, exec_lo, s26
	s_delay_alu instid0(SALU_CYCLE_1) | instskip(NEXT) | instid1(SALU_CYCLE_1)
	s_and_b32 s9, exec_lo, s9
	s_or_b32 s22, s9, s22
	s_and_not1_b32 s9, s23, exec_lo
	s_and_b32 s23, s24, exec_lo
	s_and_not1_b32 s21, s21, exec_lo
	s_and_b32 s26, s25, exec_lo
	s_or_b32 s23, s9, s23
	s_or_b32 s21, s21, s26
	s_mov_b32 s26, s25
	s_and_not1_b32 exec_lo, exec_lo, s22
	s_cbranch_execz .LBB1238_109
.LBB1238_98:                            ; =>This Inner Loop Header: Depth=1
	flat_load_u16 v35, v[30:31]
	flat_load_u16 v36, v[2:3]
	s_or_b32 s25, s25, exec_lo
	s_mov_b32 s27, 0
	s_mov_b32 s28, exec_lo
	s_wait_loadcnt_dscnt 0x0
	v_cmpx_nlt_f16_e32 v35, v36
; %bb.99:                               ;   in Loop: Header=BB1238_98 Depth=1
	v_cmp_ngt_f16_e64 s9, v35, v36
	s_and_not1_b32 s25, s25, exec_lo
	s_and_b32 s26, s9, s26
	s_and_b32 s27, s9, exec_lo
	s_and_b32 s26, s26, exec_lo
	s_delay_alu instid0(SALU_CYCLE_1)
	s_or_b32 s25, s25, s26
; %bb.100:                              ;   in Loop: Header=BB1238_98 Depth=1
	s_or_b32 exec_lo, exec_lo, s28
	s_mov_b32 s9, -1
	s_or_b32 s24, s24, exec_lo
	s_and_saveexec_b32 s26, s27
	s_cbranch_execz .LBB1238_97
; %bb.101:                              ;   in Loop: Header=BB1238_98 Depth=1
	v_add_nc_u64_e32 v[32:33], -1, v[32:33]
	v_add_nc_u64_e32 v[2:3], 2, v[2:3]
	v_add_nc_u64_e32 v[30:31], 2, v[30:31]
	s_and_not1_b32 s24, s24, exec_lo
	s_delay_alu instid0(VALU_DEP_3)
	v_cmp_eq_u64_e64 s9, 0, v[32:33]
	s_or_not1_b32 s9, s9, exec_lo
	s_branch .LBB1238_97
.LBB1238_102:
	s_or_b32 exec_lo, exec_lo, s20
	s_and_saveexec_b32 s20, s10
	s_cbranch_execz .LBB1238_112
.LBB1238_103:
	v_mul_u64_e32 v[2:3], v[22:23], v[6:7]
	v_mul_u64_e32 v[30:31], v[24:25], v[6:7]
	v_mov_b64_e32 v[32:33], v[6:7]
	s_mov_b32 s22, 0
                                        ; implicit-def: $sgpr21
                                        ; implicit-def: $sgpr23
                                        ; implicit-def: $sgpr24
                                        ; implicit-def: $sgpr25
                                        ; implicit-def: $sgpr26
	s_delay_alu instid0(VALU_DEP_3) | instskip(NEXT) | instid1(VALU_DEP_3)
	v_lshl_add_u64 v[2:3], v[2:3], 1, v[8:9]
	v_lshl_add_u64 v[30:31], v[30:31], 1, v[8:9]
	s_branch .LBB1238_105
.LBB1238_104:                           ;   in Loop: Header=BB1238_105 Depth=1
	s_or_b32 exec_lo, exec_lo, s26
	s_delay_alu instid0(SALU_CYCLE_1) | instskip(NEXT) | instid1(SALU_CYCLE_1)
	s_and_b32 s9, exec_lo, s9
	s_or_b32 s22, s9, s22
	s_and_not1_b32 s9, s23, exec_lo
	s_and_b32 s23, s24, exec_lo
	s_and_not1_b32 s21, s21, exec_lo
	s_and_b32 s26, s25, exec_lo
	s_or_b32 s23, s9, s23
	s_or_b32 s21, s21, s26
	s_mov_b32 s26, s25
	s_and_not1_b32 exec_lo, exec_lo, s22
	s_cbranch_execz .LBB1238_119
.LBB1238_105:                           ; =>This Inner Loop Header: Depth=1
	flat_load_u16 v35, v[30:31]
	flat_load_u16 v36, v[2:3]
	s_or_b32 s25, s25, exec_lo
	s_mov_b32 s27, 0
	s_mov_b32 s28, exec_lo
	s_wait_loadcnt_dscnt 0x0
	v_cmpx_nlt_f16_e32 v35, v36
; %bb.106:                              ;   in Loop: Header=BB1238_105 Depth=1
	v_cmp_ngt_f16_e64 s9, v35, v36
	s_and_not1_b32 s25, s25, exec_lo
	s_and_b32 s26, s9, s26
	s_and_b32 s27, s9, exec_lo
	s_and_b32 s26, s26, exec_lo
	s_delay_alu instid0(SALU_CYCLE_1)
	s_or_b32 s25, s25, s26
; %bb.107:                              ;   in Loop: Header=BB1238_105 Depth=1
	s_or_b32 exec_lo, exec_lo, s28
	s_mov_b32 s9, -1
	s_or_b32 s24, s24, exec_lo
	s_and_saveexec_b32 s26, s27
	s_cbranch_execz .LBB1238_104
; %bb.108:                              ;   in Loop: Header=BB1238_105 Depth=1
	v_add_nc_u64_e32 v[32:33], -1, v[32:33]
	v_add_nc_u64_e32 v[2:3], 2, v[2:3]
	v_add_nc_u64_e32 v[30:31], 2, v[30:31]
	s_and_not1_b32 s24, s24, exec_lo
	s_delay_alu instid0(VALU_DEP_3)
	v_cmp_eq_u64_e64 s9, 0, v[32:33]
	s_or_not1_b32 s9, s9, exec_lo
	s_branch .LBB1238_104
.LBB1238_109:
	s_or_b32 exec_lo, exec_lo, s22
	s_and_saveexec_b32 s9, s23
	s_delay_alu instid0(SALU_CYCLE_1)
	s_xor_b32 s9, exec_lo, s9
; %bb.110:
	v_dual_cndmask_b32 v3, v17, v11, s21 :: v_dual_cndmask_b32 v2, v16, v10, s21
	v_dual_cndmask_b32 v11, v11, v17, s21 :: v_dual_cndmask_b32 v10, v10, v16, s21
	s_delay_alu instid0(VALU_DEP_2)
	v_mov_b64_e32 v[16:17], v[2:3]
; %bb.111:
	s_or_b32 exec_lo, exec_lo, s9
	s_delay_alu instid0(SALU_CYCLE_1)
	s_or_b32 exec_lo, exec_lo, s20
	s_and_saveexec_b32 s20, s10
	s_cbranch_execnz .LBB1238_103
.LBB1238_112:
	s_or_b32 exec_lo, exec_lo, s20
	s_and_saveexec_b32 s20, s11
	s_cbranch_execz .LBB1238_122
.LBB1238_113:
	v_mul_u64_e32 v[2:3], v[18:19], v[6:7]
	v_mul_u64_e32 v[30:31], v[20:21], v[6:7]
	v_mov_b64_e32 v[32:33], v[6:7]
	s_mov_b32 s22, 0
                                        ; implicit-def: $sgpr21
                                        ; implicit-def: $sgpr23
                                        ; implicit-def: $sgpr24
                                        ; implicit-def: $sgpr25
                                        ; implicit-def: $sgpr26
	s_delay_alu instid0(VALU_DEP_3) | instskip(NEXT) | instid1(VALU_DEP_3)
	v_lshl_add_u64 v[2:3], v[2:3], 1, v[8:9]
	v_lshl_add_u64 v[30:31], v[30:31], 1, v[8:9]
	s_branch .LBB1238_115
.LBB1238_114:                           ;   in Loop: Header=BB1238_115 Depth=1
	s_or_b32 exec_lo, exec_lo, s26
	s_delay_alu instid0(SALU_CYCLE_1) | instskip(NEXT) | instid1(SALU_CYCLE_1)
	s_and_b32 s9, exec_lo, s9
	s_or_b32 s22, s9, s22
	s_and_not1_b32 s9, s23, exec_lo
	s_and_b32 s23, s24, exec_lo
	s_and_not1_b32 s21, s21, exec_lo
	s_and_b32 s26, s25, exec_lo
	s_or_b32 s23, s9, s23
	s_or_b32 s21, s21, s26
	s_mov_b32 s26, s25
	s_and_not1_b32 exec_lo, exec_lo, s22
	s_cbranch_execz .LBB1238_129
.LBB1238_115:                           ; =>This Inner Loop Header: Depth=1
	flat_load_u16 v35, v[30:31]
	flat_load_u16 v36, v[2:3]
	s_or_b32 s25, s25, exec_lo
	s_mov_b32 s27, 0
	s_mov_b32 s28, exec_lo
	s_wait_loadcnt_dscnt 0x0
	v_cmpx_nlt_f16_e32 v35, v36
; %bb.116:                              ;   in Loop: Header=BB1238_115 Depth=1
	v_cmp_ngt_f16_e64 s9, v35, v36
	s_and_not1_b32 s25, s25, exec_lo
	s_and_b32 s26, s9, s26
	s_and_b32 s27, s9, exec_lo
	s_and_b32 s26, s26, exec_lo
	s_delay_alu instid0(SALU_CYCLE_1)
	s_or_b32 s25, s25, s26
; %bb.117:                              ;   in Loop: Header=BB1238_115 Depth=1
	s_or_b32 exec_lo, exec_lo, s28
	s_mov_b32 s9, -1
	s_or_b32 s24, s24, exec_lo
	s_and_saveexec_b32 s26, s27
	s_cbranch_execz .LBB1238_114
; %bb.118:                              ;   in Loop: Header=BB1238_115 Depth=1
	v_add_nc_u64_e32 v[32:33], -1, v[32:33]
	v_add_nc_u64_e32 v[2:3], 2, v[2:3]
	v_add_nc_u64_e32 v[30:31], 2, v[30:31]
	s_and_not1_b32 s24, s24, exec_lo
	s_delay_alu instid0(VALU_DEP_3)
	v_cmp_eq_u64_e64 s9, 0, v[32:33]
	s_or_not1_b32 s9, s9, exec_lo
	s_branch .LBB1238_114
.LBB1238_119:
	s_or_b32 exec_lo, exec_lo, s22
	s_and_saveexec_b32 s9, s23
	s_delay_alu instid0(SALU_CYCLE_1)
	s_xor_b32 s9, exec_lo, s9
; %bb.120:
	v_dual_cndmask_b32 v3, v25, v23, s21 :: v_dual_cndmask_b32 v2, v24, v22, s21
	v_dual_cndmask_b32 v23, v23, v25, s21 :: v_dual_cndmask_b32 v22, v22, v24, s21
	s_delay_alu instid0(VALU_DEP_2)
	v_mov_b64_e32 v[24:25], v[2:3]
; %bb.121:
	s_or_b32 exec_lo, exec_lo, s9
	s_delay_alu instid0(SALU_CYCLE_1)
	s_or_b32 exec_lo, exec_lo, s20
	s_and_saveexec_b32 s20, s11
	s_cbranch_execnz .LBB1238_113
.LBB1238_122:
	s_or_b32 exec_lo, exec_lo, s20
	s_and_saveexec_b32 s20, s15
	s_cbranch_execz .LBB1238_132
.LBB1238_123:
	v_mul_u64_e32 v[2:3], v[14:15], v[6:7]
	v_mul_u64_e32 v[30:31], v[16:17], v[6:7]
	v_mov_b64_e32 v[32:33], v[6:7]
	s_mov_b32 s22, 0
                                        ; implicit-def: $sgpr21
                                        ; implicit-def: $sgpr23
                                        ; implicit-def: $sgpr24
                                        ; implicit-def: $sgpr25
                                        ; implicit-def: $sgpr26
	s_delay_alu instid0(VALU_DEP_3) | instskip(NEXT) | instid1(VALU_DEP_3)
	v_lshl_add_u64 v[2:3], v[2:3], 1, v[8:9]
	v_lshl_add_u64 v[30:31], v[30:31], 1, v[8:9]
	s_branch .LBB1238_125
.LBB1238_124:                           ;   in Loop: Header=BB1238_125 Depth=1
	s_or_b32 exec_lo, exec_lo, s26
	s_delay_alu instid0(SALU_CYCLE_1) | instskip(NEXT) | instid1(SALU_CYCLE_1)
	s_and_b32 s9, exec_lo, s9
	s_or_b32 s22, s9, s22
	s_and_not1_b32 s9, s23, exec_lo
	s_and_b32 s23, s24, exec_lo
	s_and_not1_b32 s21, s21, exec_lo
	s_and_b32 s26, s25, exec_lo
	s_or_b32 s23, s9, s23
	s_or_b32 s21, s21, s26
	s_mov_b32 s26, s25
	s_and_not1_b32 exec_lo, exec_lo, s22
	s_cbranch_execz .LBB1238_139
.LBB1238_125:                           ; =>This Inner Loop Header: Depth=1
	flat_load_u16 v35, v[30:31]
	flat_load_u16 v36, v[2:3]
	s_or_b32 s25, s25, exec_lo
	s_mov_b32 s27, 0
	s_mov_b32 s28, exec_lo
	s_wait_loadcnt_dscnt 0x0
	v_cmpx_nlt_f16_e32 v35, v36
; %bb.126:                              ;   in Loop: Header=BB1238_125 Depth=1
	v_cmp_ngt_f16_e64 s9, v35, v36
	s_and_not1_b32 s25, s25, exec_lo
	s_and_b32 s26, s9, s26
	s_and_b32 s27, s9, exec_lo
	s_and_b32 s26, s26, exec_lo
	s_delay_alu instid0(SALU_CYCLE_1)
	s_or_b32 s25, s25, s26
; %bb.127:                              ;   in Loop: Header=BB1238_125 Depth=1
	s_or_b32 exec_lo, exec_lo, s28
	s_mov_b32 s9, -1
	s_or_b32 s24, s24, exec_lo
	s_and_saveexec_b32 s26, s27
	s_cbranch_execz .LBB1238_124
; %bb.128:                              ;   in Loop: Header=BB1238_125 Depth=1
	v_add_nc_u64_e32 v[32:33], -1, v[32:33]
	v_add_nc_u64_e32 v[2:3], 2, v[2:3]
	v_add_nc_u64_e32 v[30:31], 2, v[30:31]
	s_and_not1_b32 s24, s24, exec_lo
	s_delay_alu instid0(VALU_DEP_3)
	v_cmp_eq_u64_e64 s9, 0, v[32:33]
	s_or_not1_b32 s9, s9, exec_lo
	s_branch .LBB1238_124
.LBB1238_129:
	s_or_b32 exec_lo, exec_lo, s22
	s_and_saveexec_b32 s9, s23
	s_delay_alu instid0(SALU_CYCLE_1)
	s_xor_b32 s9, exec_lo, s9
; %bb.130:
	v_dual_cndmask_b32 v3, v19, v21, s21 :: v_dual_cndmask_b32 v2, v18, v20, s21
	v_dual_cndmask_b32 v21, v21, v19, s21 :: v_dual_cndmask_b32 v20, v20, v18, s21
	s_delay_alu instid0(VALU_DEP_2)
	v_mov_b64_e32 v[18:19], v[2:3]
; %bb.131:
	s_or_b32 exec_lo, exec_lo, s9
	s_delay_alu instid0(SALU_CYCLE_1)
	s_or_b32 exec_lo, exec_lo, s20
	s_and_saveexec_b32 s20, s15
	s_cbranch_execnz .LBB1238_123
.LBB1238_132:
	s_or_b32 exec_lo, exec_lo, s20
	s_and_saveexec_b32 s20, s16
	s_cbranch_execz .LBB1238_142
.LBB1238_133:
	v_mul_u64_e32 v[2:3], v[10:11], v[6:7]
	v_mul_u64_e32 v[30:31], v[12:13], v[6:7]
	v_mov_b64_e32 v[32:33], v[6:7]
	s_mov_b32 s22, 0
                                        ; implicit-def: $sgpr21
                                        ; implicit-def: $sgpr23
                                        ; implicit-def: $sgpr24
                                        ; implicit-def: $sgpr25
                                        ; implicit-def: $sgpr26
	s_delay_alu instid0(VALU_DEP_3) | instskip(NEXT) | instid1(VALU_DEP_3)
	v_lshl_add_u64 v[2:3], v[2:3], 1, v[8:9]
	v_lshl_add_u64 v[30:31], v[30:31], 1, v[8:9]
	s_branch .LBB1238_135
.LBB1238_134:                           ;   in Loop: Header=BB1238_135 Depth=1
	s_or_b32 exec_lo, exec_lo, s26
	s_delay_alu instid0(SALU_CYCLE_1) | instskip(NEXT) | instid1(SALU_CYCLE_1)
	s_and_b32 s9, exec_lo, s9
	s_or_b32 s22, s9, s22
	s_and_not1_b32 s9, s23, exec_lo
	s_and_b32 s23, s24, exec_lo
	s_and_not1_b32 s21, s21, exec_lo
	s_and_b32 s26, s25, exec_lo
	s_or_b32 s23, s9, s23
	s_or_b32 s21, s21, s26
	s_mov_b32 s26, s25
	s_and_not1_b32 exec_lo, exec_lo, s22
	s_cbranch_execz .LBB1238_149
.LBB1238_135:                           ; =>This Inner Loop Header: Depth=1
	flat_load_u16 v35, v[30:31]
	flat_load_u16 v36, v[2:3]
	s_or_b32 s25, s25, exec_lo
	s_mov_b32 s27, 0
	s_mov_b32 s28, exec_lo
	s_wait_loadcnt_dscnt 0x0
	v_cmpx_nlt_f16_e32 v35, v36
; %bb.136:                              ;   in Loop: Header=BB1238_135 Depth=1
	v_cmp_ngt_f16_e64 s9, v35, v36
	s_and_not1_b32 s25, s25, exec_lo
	s_and_b32 s26, s9, s26
	s_and_b32 s27, s9, exec_lo
	s_and_b32 s26, s26, exec_lo
	s_delay_alu instid0(SALU_CYCLE_1)
	s_or_b32 s25, s25, s26
; %bb.137:                              ;   in Loop: Header=BB1238_135 Depth=1
	s_or_b32 exec_lo, exec_lo, s28
	s_mov_b32 s9, -1
	s_or_b32 s24, s24, exec_lo
	s_and_saveexec_b32 s26, s27
	s_cbranch_execz .LBB1238_134
; %bb.138:                              ;   in Loop: Header=BB1238_135 Depth=1
	v_add_nc_u64_e32 v[32:33], -1, v[32:33]
	v_add_nc_u64_e32 v[2:3], 2, v[2:3]
	v_add_nc_u64_e32 v[30:31], 2, v[30:31]
	s_and_not1_b32 s24, s24, exec_lo
	s_delay_alu instid0(VALU_DEP_3)
	v_cmp_eq_u64_e64 s9, 0, v[32:33]
	s_or_not1_b32 s9, s9, exec_lo
	s_branch .LBB1238_134
.LBB1238_139:
	s_or_b32 exec_lo, exec_lo, s22
	s_and_saveexec_b32 s9, s23
	s_delay_alu instid0(SALU_CYCLE_1)
	s_xor_b32 s9, exec_lo, s9
; %bb.140:
	v_dual_cndmask_b32 v3, v15, v17, s21 :: v_dual_cndmask_b32 v2, v14, v16, s21
	v_dual_cndmask_b32 v17, v17, v15, s21 :: v_dual_cndmask_b32 v16, v16, v14, s21
	s_delay_alu instid0(VALU_DEP_2)
	v_mov_b64_e32 v[14:15], v[2:3]
; %bb.141:
	s_or_b32 exec_lo, exec_lo, s9
	s_delay_alu instid0(SALU_CYCLE_1)
	s_or_b32 exec_lo, exec_lo, s20
	s_and_saveexec_b32 s20, s16
	s_cbranch_execnz .LBB1238_133
.LBB1238_142:
	s_or_b32 exec_lo, exec_lo, s20
	s_and_saveexec_b32 s20, s17
	s_cbranch_execz .LBB1238_152
.LBB1238_143:
	v_mul_u64_e32 v[2:3], v[24:25], v[6:7]
	v_mul_u64_e32 v[30:31], v[18:19], v[6:7]
	v_mov_b64_e32 v[32:33], v[6:7]
	s_mov_b32 s22, 0
                                        ; implicit-def: $sgpr21
                                        ; implicit-def: $sgpr23
                                        ; implicit-def: $sgpr24
                                        ; implicit-def: $sgpr25
                                        ; implicit-def: $sgpr26
	s_delay_alu instid0(VALU_DEP_3) | instskip(NEXT) | instid1(VALU_DEP_3)
	v_lshl_add_u64 v[2:3], v[2:3], 1, v[8:9]
	v_lshl_add_u64 v[30:31], v[30:31], 1, v[8:9]
	s_branch .LBB1238_145
.LBB1238_144:                           ;   in Loop: Header=BB1238_145 Depth=1
	s_or_b32 exec_lo, exec_lo, s26
	s_delay_alu instid0(SALU_CYCLE_1) | instskip(NEXT) | instid1(SALU_CYCLE_1)
	s_and_b32 s9, exec_lo, s9
	s_or_b32 s22, s9, s22
	s_and_not1_b32 s9, s23, exec_lo
	s_and_b32 s23, s24, exec_lo
	s_and_not1_b32 s21, s21, exec_lo
	s_and_b32 s26, s25, exec_lo
	s_or_b32 s23, s9, s23
	s_or_b32 s21, s21, s26
	s_mov_b32 s26, s25
	s_and_not1_b32 exec_lo, exec_lo, s22
	s_cbranch_execz .LBB1238_159
.LBB1238_145:                           ; =>This Inner Loop Header: Depth=1
	flat_load_u16 v35, v[30:31]
	flat_load_u16 v36, v[2:3]
	s_or_b32 s25, s25, exec_lo
	s_mov_b32 s27, 0
	s_mov_b32 s28, exec_lo
	s_wait_loadcnt_dscnt 0x0
	v_cmpx_nlt_f16_e32 v35, v36
; %bb.146:                              ;   in Loop: Header=BB1238_145 Depth=1
	v_cmp_ngt_f16_e64 s9, v35, v36
	s_and_not1_b32 s25, s25, exec_lo
	s_and_b32 s26, s9, s26
	s_and_b32 s27, s9, exec_lo
	s_and_b32 s26, s26, exec_lo
	s_delay_alu instid0(SALU_CYCLE_1)
	s_or_b32 s25, s25, s26
; %bb.147:                              ;   in Loop: Header=BB1238_145 Depth=1
	s_or_b32 exec_lo, exec_lo, s28
	s_mov_b32 s9, -1
	s_or_b32 s24, s24, exec_lo
	s_and_saveexec_b32 s26, s27
	s_cbranch_execz .LBB1238_144
; %bb.148:                              ;   in Loop: Header=BB1238_145 Depth=1
	v_add_nc_u64_e32 v[32:33], -1, v[32:33]
	v_add_nc_u64_e32 v[2:3], 2, v[2:3]
	v_add_nc_u64_e32 v[30:31], 2, v[30:31]
	s_and_not1_b32 s24, s24, exec_lo
	s_delay_alu instid0(VALU_DEP_3)
	v_cmp_eq_u64_e64 s9, 0, v[32:33]
	s_or_not1_b32 s9, s9, exec_lo
	s_branch .LBB1238_144
.LBB1238_149:
	s_or_b32 exec_lo, exec_lo, s22
	s_and_saveexec_b32 s9, s23
	s_delay_alu instid0(SALU_CYCLE_1)
	s_xor_b32 s9, exec_lo, s9
; %bb.150:
	v_dual_cndmask_b32 v3, v11, v13, s21 :: v_dual_cndmask_b32 v2, v10, v12, s21
	v_dual_cndmask_b32 v13, v13, v11, s21 :: v_dual_cndmask_b32 v12, v12, v10, s21
	s_delay_alu instid0(VALU_DEP_2)
	v_mov_b64_e32 v[10:11], v[2:3]
; %bb.151:
	s_or_b32 exec_lo, exec_lo, s9
	s_delay_alu instid0(SALU_CYCLE_1)
	s_or_b32 exec_lo, exec_lo, s20
	s_and_saveexec_b32 s20, s17
	s_cbranch_execnz .LBB1238_143
.LBB1238_152:
	s_or_b32 exec_lo, exec_lo, s20
	s_and_saveexec_b32 s20, s18
	s_cbranch_execz .LBB1238_162
.LBB1238_153:
	v_mul_u64_e32 v[2:3], v[20:21], v[6:7]
	v_mul_u64_e32 v[30:31], v[14:15], v[6:7]
	v_mov_b64_e32 v[32:33], v[6:7]
	s_mov_b32 s22, 0
                                        ; implicit-def: $sgpr21
                                        ; implicit-def: $sgpr23
                                        ; implicit-def: $sgpr24
                                        ; implicit-def: $sgpr25
                                        ; implicit-def: $sgpr26
	s_delay_alu instid0(VALU_DEP_3) | instskip(NEXT) | instid1(VALU_DEP_3)
	v_lshl_add_u64 v[2:3], v[2:3], 1, v[8:9]
	v_lshl_add_u64 v[30:31], v[30:31], 1, v[8:9]
	s_branch .LBB1238_155
.LBB1238_154:                           ;   in Loop: Header=BB1238_155 Depth=1
	s_or_b32 exec_lo, exec_lo, s26
	s_delay_alu instid0(SALU_CYCLE_1) | instskip(NEXT) | instid1(SALU_CYCLE_1)
	s_and_b32 s9, exec_lo, s9
	s_or_b32 s22, s9, s22
	s_and_not1_b32 s9, s23, exec_lo
	s_and_b32 s23, s24, exec_lo
	s_and_not1_b32 s21, s21, exec_lo
	s_and_b32 s26, s25, exec_lo
	s_or_b32 s23, s9, s23
	s_or_b32 s21, s21, s26
	s_mov_b32 s26, s25
	s_and_not1_b32 exec_lo, exec_lo, s22
	s_cbranch_execz .LBB1238_169
.LBB1238_155:                           ; =>This Inner Loop Header: Depth=1
	flat_load_u16 v35, v[30:31]
	flat_load_u16 v36, v[2:3]
	s_or_b32 s25, s25, exec_lo
	s_mov_b32 s27, 0
	s_mov_b32 s28, exec_lo
	s_wait_loadcnt_dscnt 0x0
	v_cmpx_nlt_f16_e32 v35, v36
; %bb.156:                              ;   in Loop: Header=BB1238_155 Depth=1
	v_cmp_ngt_f16_e64 s9, v35, v36
	s_and_not1_b32 s25, s25, exec_lo
	s_and_b32 s26, s9, s26
	s_and_b32 s27, s9, exec_lo
	s_and_b32 s26, s26, exec_lo
	s_delay_alu instid0(SALU_CYCLE_1)
	s_or_b32 s25, s25, s26
; %bb.157:                              ;   in Loop: Header=BB1238_155 Depth=1
	s_or_b32 exec_lo, exec_lo, s28
	s_mov_b32 s9, -1
	s_or_b32 s24, s24, exec_lo
	s_and_saveexec_b32 s26, s27
	s_cbranch_execz .LBB1238_154
; %bb.158:                              ;   in Loop: Header=BB1238_155 Depth=1
	v_add_nc_u64_e32 v[32:33], -1, v[32:33]
	v_add_nc_u64_e32 v[2:3], 2, v[2:3]
	v_add_nc_u64_e32 v[30:31], 2, v[30:31]
	s_and_not1_b32 s24, s24, exec_lo
	s_delay_alu instid0(VALU_DEP_3)
	v_cmp_eq_u64_e64 s9, 0, v[32:33]
	s_or_not1_b32 s9, s9, exec_lo
	s_branch .LBB1238_154
.LBB1238_159:
	s_or_b32 exec_lo, exec_lo, s22
	s_and_saveexec_b32 s9, s23
	s_delay_alu instid0(SALU_CYCLE_1)
	s_xor_b32 s9, exec_lo, s9
; %bb.160:
	v_dual_cndmask_b32 v3, v25, v19, s21 :: v_dual_cndmask_b32 v2, v24, v18, s21
	v_dual_cndmask_b32 v19, v19, v25, s21 :: v_dual_cndmask_b32 v18, v18, v24, s21
	s_delay_alu instid0(VALU_DEP_2)
	v_mov_b64_e32 v[24:25], v[2:3]
; %bb.161:
	s_or_b32 exec_lo, exec_lo, s9
	s_delay_alu instid0(SALU_CYCLE_1)
	s_or_b32 exec_lo, exec_lo, s20
	s_and_saveexec_b32 s20, s18
	s_cbranch_execnz .LBB1238_153
.LBB1238_162:
	s_or_b32 exec_lo, exec_lo, s20
	s_and_saveexec_b32 s20, s19
	s_cbranch_execz .LBB1238_172
.LBB1238_163:
	v_mul_u64_e32 v[2:3], v[16:17], v[6:7]
	v_mul_u64_e32 v[30:31], v[10:11], v[6:7]
	v_mov_b64_e32 v[32:33], v[6:7]
	s_mov_b32 s22, 0
                                        ; implicit-def: $sgpr21
                                        ; implicit-def: $sgpr23
                                        ; implicit-def: $sgpr24
                                        ; implicit-def: $sgpr25
                                        ; implicit-def: $sgpr26
	s_delay_alu instid0(VALU_DEP_3) | instskip(NEXT) | instid1(VALU_DEP_3)
	v_lshl_add_u64 v[2:3], v[2:3], 1, v[8:9]
	v_lshl_add_u64 v[30:31], v[30:31], 1, v[8:9]
	s_branch .LBB1238_165
.LBB1238_164:                           ;   in Loop: Header=BB1238_165 Depth=1
	s_or_b32 exec_lo, exec_lo, s26
	s_delay_alu instid0(SALU_CYCLE_1) | instskip(NEXT) | instid1(SALU_CYCLE_1)
	s_and_b32 s9, exec_lo, s9
	s_or_b32 s22, s9, s22
	s_and_not1_b32 s9, s23, exec_lo
	s_and_b32 s23, s24, exec_lo
	s_and_not1_b32 s21, s21, exec_lo
	s_and_b32 s26, s25, exec_lo
	s_or_b32 s23, s9, s23
	s_or_b32 s21, s21, s26
	s_mov_b32 s26, s25
	s_and_not1_b32 exec_lo, exec_lo, s22
	s_cbranch_execz .LBB1238_179
.LBB1238_165:                           ; =>This Inner Loop Header: Depth=1
	flat_load_u16 v35, v[30:31]
	flat_load_u16 v36, v[2:3]
	s_or_b32 s25, s25, exec_lo
	s_mov_b32 s27, 0
	s_mov_b32 s28, exec_lo
	s_wait_loadcnt_dscnt 0x0
	v_cmpx_nlt_f16_e32 v35, v36
; %bb.166:                              ;   in Loop: Header=BB1238_165 Depth=1
	v_cmp_ngt_f16_e64 s9, v35, v36
	s_and_not1_b32 s25, s25, exec_lo
	s_and_b32 s26, s9, s26
	s_and_b32 s27, s9, exec_lo
	s_and_b32 s26, s26, exec_lo
	s_delay_alu instid0(SALU_CYCLE_1)
	s_or_b32 s25, s25, s26
; %bb.167:                              ;   in Loop: Header=BB1238_165 Depth=1
	s_or_b32 exec_lo, exec_lo, s28
	s_mov_b32 s9, -1
	s_or_b32 s24, s24, exec_lo
	s_and_saveexec_b32 s26, s27
	s_cbranch_execz .LBB1238_164
; %bb.168:                              ;   in Loop: Header=BB1238_165 Depth=1
	v_add_nc_u64_e32 v[32:33], -1, v[32:33]
	v_add_nc_u64_e32 v[2:3], 2, v[2:3]
	v_add_nc_u64_e32 v[30:31], 2, v[30:31]
	s_and_not1_b32 s24, s24, exec_lo
	s_delay_alu instid0(VALU_DEP_3)
	v_cmp_eq_u64_e64 s9, 0, v[32:33]
	s_or_not1_b32 s9, s9, exec_lo
	s_branch .LBB1238_164
.LBB1238_169:
	s_or_b32 exec_lo, exec_lo, s22
	s_and_saveexec_b32 s9, s23
	s_delay_alu instid0(SALU_CYCLE_1)
	s_xor_b32 s9, exec_lo, s9
; %bb.170:
	v_dual_cndmask_b32 v3, v21, v15, s21 :: v_dual_cndmask_b32 v2, v20, v14, s21
	v_dual_cndmask_b32 v15, v15, v21, s21 :: v_dual_cndmask_b32 v14, v14, v20, s21
	s_delay_alu instid0(VALU_DEP_2)
	v_mov_b64_e32 v[20:21], v[2:3]
; %bb.171:
	s_or_b32 exec_lo, exec_lo, s9
	s_delay_alu instid0(SALU_CYCLE_1)
	s_or_b32 exec_lo, exec_lo, s20
	s_and_saveexec_b32 s20, s19
	s_cbranch_execnz .LBB1238_163
.LBB1238_172:
	s_or_b32 exec_lo, exec_lo, s20
	s_and_saveexec_b32 s20, s10
	s_cbranch_execz .LBB1238_182
.LBB1238_173:
	v_mul_u64_e32 v[2:3], v[22:23], v[6:7]
	v_mul_u64_e32 v[30:31], v[24:25], v[6:7]
	v_mov_b64_e32 v[32:33], v[6:7]
	s_mov_b32 s22, 0
                                        ; implicit-def: $sgpr21
                                        ; implicit-def: $sgpr23
                                        ; implicit-def: $sgpr24
                                        ; implicit-def: $sgpr25
                                        ; implicit-def: $sgpr26
	s_delay_alu instid0(VALU_DEP_3) | instskip(NEXT) | instid1(VALU_DEP_3)
	v_lshl_add_u64 v[2:3], v[2:3], 1, v[8:9]
	v_lshl_add_u64 v[30:31], v[30:31], 1, v[8:9]
	s_branch .LBB1238_175
.LBB1238_174:                           ;   in Loop: Header=BB1238_175 Depth=1
	s_or_b32 exec_lo, exec_lo, s26
	s_delay_alu instid0(SALU_CYCLE_1) | instskip(NEXT) | instid1(SALU_CYCLE_1)
	s_and_b32 s9, exec_lo, s9
	s_or_b32 s22, s9, s22
	s_and_not1_b32 s9, s23, exec_lo
	s_and_b32 s23, s24, exec_lo
	s_and_not1_b32 s21, s21, exec_lo
	s_and_b32 s26, s25, exec_lo
	s_or_b32 s23, s9, s23
	s_or_b32 s21, s21, s26
	s_mov_b32 s26, s25
	s_and_not1_b32 exec_lo, exec_lo, s22
	s_cbranch_execz .LBB1238_189
.LBB1238_175:                           ; =>This Inner Loop Header: Depth=1
	flat_load_u16 v35, v[30:31]
	flat_load_u16 v36, v[2:3]
	s_or_b32 s25, s25, exec_lo
	s_mov_b32 s27, 0
	s_mov_b32 s28, exec_lo
	s_wait_loadcnt_dscnt 0x0
	v_cmpx_nlt_f16_e32 v35, v36
; %bb.176:                              ;   in Loop: Header=BB1238_175 Depth=1
	v_cmp_ngt_f16_e64 s9, v35, v36
	s_and_not1_b32 s25, s25, exec_lo
	s_and_b32 s26, s9, s26
	s_and_b32 s27, s9, exec_lo
	s_and_b32 s26, s26, exec_lo
	s_delay_alu instid0(SALU_CYCLE_1)
	s_or_b32 s25, s25, s26
; %bb.177:                              ;   in Loop: Header=BB1238_175 Depth=1
	s_or_b32 exec_lo, exec_lo, s28
	s_mov_b32 s9, -1
	s_or_b32 s24, s24, exec_lo
	s_and_saveexec_b32 s26, s27
	s_cbranch_execz .LBB1238_174
; %bb.178:                              ;   in Loop: Header=BB1238_175 Depth=1
	v_add_nc_u64_e32 v[32:33], -1, v[32:33]
	v_add_nc_u64_e32 v[2:3], 2, v[2:3]
	v_add_nc_u64_e32 v[30:31], 2, v[30:31]
	s_and_not1_b32 s24, s24, exec_lo
	s_delay_alu instid0(VALU_DEP_3)
	v_cmp_eq_u64_e64 s9, 0, v[32:33]
	s_or_not1_b32 s9, s9, exec_lo
	s_branch .LBB1238_174
.LBB1238_179:
	s_or_b32 exec_lo, exec_lo, s22
	s_and_saveexec_b32 s9, s23
	s_delay_alu instid0(SALU_CYCLE_1)
	s_xor_b32 s9, exec_lo, s9
; %bb.180:
	v_dual_cndmask_b32 v3, v17, v11, s21 :: v_dual_cndmask_b32 v2, v16, v10, s21
	v_dual_cndmask_b32 v11, v11, v17, s21 :: v_dual_cndmask_b32 v10, v10, v16, s21
	s_delay_alu instid0(VALU_DEP_2)
	v_mov_b64_e32 v[16:17], v[2:3]
; %bb.181:
	s_or_b32 exec_lo, exec_lo, s9
	s_delay_alu instid0(SALU_CYCLE_1)
	s_or_b32 exec_lo, exec_lo, s20
	s_and_saveexec_b32 s20, s10
	s_cbranch_execnz .LBB1238_173
.LBB1238_182:
	s_or_b32 exec_lo, exec_lo, s20
	s_and_saveexec_b32 s20, s11
	s_cbranch_execz .LBB1238_192
.LBB1238_183:
	v_mul_u64_e32 v[2:3], v[18:19], v[6:7]
	v_mul_u64_e32 v[30:31], v[20:21], v[6:7]
	v_mov_b64_e32 v[32:33], v[6:7]
	s_mov_b32 s22, 0
                                        ; implicit-def: $sgpr21
                                        ; implicit-def: $sgpr23
                                        ; implicit-def: $sgpr24
                                        ; implicit-def: $sgpr25
                                        ; implicit-def: $sgpr26
	s_delay_alu instid0(VALU_DEP_3) | instskip(NEXT) | instid1(VALU_DEP_3)
	v_lshl_add_u64 v[2:3], v[2:3], 1, v[8:9]
	v_lshl_add_u64 v[30:31], v[30:31], 1, v[8:9]
	s_branch .LBB1238_185
.LBB1238_184:                           ;   in Loop: Header=BB1238_185 Depth=1
	s_or_b32 exec_lo, exec_lo, s26
	s_delay_alu instid0(SALU_CYCLE_1) | instskip(NEXT) | instid1(SALU_CYCLE_1)
	s_and_b32 s9, exec_lo, s9
	s_or_b32 s22, s9, s22
	s_and_not1_b32 s9, s23, exec_lo
	s_and_b32 s23, s24, exec_lo
	s_and_not1_b32 s21, s21, exec_lo
	s_and_b32 s26, s25, exec_lo
	s_or_b32 s23, s9, s23
	s_or_b32 s21, s21, s26
	s_mov_b32 s26, s25
	s_and_not1_b32 exec_lo, exec_lo, s22
	s_cbranch_execz .LBB1238_199
.LBB1238_185:                           ; =>This Inner Loop Header: Depth=1
	flat_load_u16 v35, v[30:31]
	flat_load_u16 v36, v[2:3]
	s_or_b32 s25, s25, exec_lo
	s_mov_b32 s27, 0
	s_mov_b32 s28, exec_lo
	s_wait_loadcnt_dscnt 0x0
	v_cmpx_nlt_f16_e32 v35, v36
; %bb.186:                              ;   in Loop: Header=BB1238_185 Depth=1
	v_cmp_ngt_f16_e64 s9, v35, v36
	s_and_not1_b32 s25, s25, exec_lo
	s_and_b32 s26, s9, s26
	s_and_b32 s27, s9, exec_lo
	s_and_b32 s26, s26, exec_lo
	s_delay_alu instid0(SALU_CYCLE_1)
	s_or_b32 s25, s25, s26
; %bb.187:                              ;   in Loop: Header=BB1238_185 Depth=1
	s_or_b32 exec_lo, exec_lo, s28
	s_mov_b32 s9, -1
	s_or_b32 s24, s24, exec_lo
	s_and_saveexec_b32 s26, s27
	s_cbranch_execz .LBB1238_184
; %bb.188:                              ;   in Loop: Header=BB1238_185 Depth=1
	v_add_nc_u64_e32 v[32:33], -1, v[32:33]
	v_add_nc_u64_e32 v[2:3], 2, v[2:3]
	v_add_nc_u64_e32 v[30:31], 2, v[30:31]
	s_and_not1_b32 s24, s24, exec_lo
	s_delay_alu instid0(VALU_DEP_3)
	v_cmp_eq_u64_e64 s9, 0, v[32:33]
	s_or_not1_b32 s9, s9, exec_lo
	s_branch .LBB1238_184
.LBB1238_189:
	s_or_b32 exec_lo, exec_lo, s22
	s_and_saveexec_b32 s9, s23
	s_delay_alu instid0(SALU_CYCLE_1)
	s_xor_b32 s9, exec_lo, s9
; %bb.190:
	v_dual_cndmask_b32 v3, v25, v23, s21 :: v_dual_cndmask_b32 v2, v24, v22, s21
	v_dual_cndmask_b32 v23, v23, v25, s21 :: v_dual_cndmask_b32 v22, v22, v24, s21
	s_delay_alu instid0(VALU_DEP_2)
	v_mov_b64_e32 v[24:25], v[2:3]
; %bb.191:
	s_or_b32 exec_lo, exec_lo, s9
	s_delay_alu instid0(SALU_CYCLE_1)
	s_or_b32 exec_lo, exec_lo, s20
	s_and_saveexec_b32 s20, s11
	s_cbranch_execnz .LBB1238_183
.LBB1238_192:
	s_or_b32 exec_lo, exec_lo, s20
	s_and_saveexec_b32 s20, s15
	s_cbranch_execz .LBB1238_202
.LBB1238_193:
	v_mul_u64_e32 v[2:3], v[14:15], v[6:7]
	v_mul_u64_e32 v[30:31], v[16:17], v[6:7]
	v_mov_b64_e32 v[32:33], v[6:7]
	s_mov_b32 s22, 0
                                        ; implicit-def: $sgpr21
                                        ; implicit-def: $sgpr23
                                        ; implicit-def: $sgpr24
                                        ; implicit-def: $sgpr25
                                        ; implicit-def: $sgpr26
	s_delay_alu instid0(VALU_DEP_3) | instskip(NEXT) | instid1(VALU_DEP_3)
	v_lshl_add_u64 v[2:3], v[2:3], 1, v[8:9]
	v_lshl_add_u64 v[30:31], v[30:31], 1, v[8:9]
	s_branch .LBB1238_195
.LBB1238_194:                           ;   in Loop: Header=BB1238_195 Depth=1
	s_or_b32 exec_lo, exec_lo, s26
	s_delay_alu instid0(SALU_CYCLE_1) | instskip(NEXT) | instid1(SALU_CYCLE_1)
	s_and_b32 s9, exec_lo, s9
	s_or_b32 s22, s9, s22
	s_and_not1_b32 s9, s23, exec_lo
	s_and_b32 s23, s24, exec_lo
	s_and_not1_b32 s21, s21, exec_lo
	s_and_b32 s26, s25, exec_lo
	s_or_b32 s23, s9, s23
	s_or_b32 s21, s21, s26
	s_mov_b32 s26, s25
	s_and_not1_b32 exec_lo, exec_lo, s22
	s_cbranch_execz .LBB1238_209
.LBB1238_195:                           ; =>This Inner Loop Header: Depth=1
	flat_load_u16 v35, v[30:31]
	flat_load_u16 v36, v[2:3]
	s_or_b32 s25, s25, exec_lo
	s_mov_b32 s27, 0
	s_mov_b32 s28, exec_lo
	s_wait_loadcnt_dscnt 0x0
	v_cmpx_nlt_f16_e32 v35, v36
; %bb.196:                              ;   in Loop: Header=BB1238_195 Depth=1
	v_cmp_ngt_f16_e64 s9, v35, v36
	s_and_not1_b32 s25, s25, exec_lo
	s_and_b32 s26, s9, s26
	s_and_b32 s27, s9, exec_lo
	s_and_b32 s26, s26, exec_lo
	s_delay_alu instid0(SALU_CYCLE_1)
	s_or_b32 s25, s25, s26
; %bb.197:                              ;   in Loop: Header=BB1238_195 Depth=1
	s_or_b32 exec_lo, exec_lo, s28
	s_mov_b32 s9, -1
	s_or_b32 s24, s24, exec_lo
	s_and_saveexec_b32 s26, s27
	s_cbranch_execz .LBB1238_194
; %bb.198:                              ;   in Loop: Header=BB1238_195 Depth=1
	v_add_nc_u64_e32 v[32:33], -1, v[32:33]
	v_add_nc_u64_e32 v[2:3], 2, v[2:3]
	v_add_nc_u64_e32 v[30:31], 2, v[30:31]
	s_and_not1_b32 s24, s24, exec_lo
	s_delay_alu instid0(VALU_DEP_3)
	v_cmp_eq_u64_e64 s9, 0, v[32:33]
	s_or_not1_b32 s9, s9, exec_lo
	s_branch .LBB1238_194
.LBB1238_199:
	s_or_b32 exec_lo, exec_lo, s22
	s_and_saveexec_b32 s9, s23
	s_delay_alu instid0(SALU_CYCLE_1)
	s_xor_b32 s9, exec_lo, s9
; %bb.200:
	v_dual_cndmask_b32 v3, v19, v21, s21 :: v_dual_cndmask_b32 v2, v18, v20, s21
	v_dual_cndmask_b32 v21, v21, v19, s21 :: v_dual_cndmask_b32 v20, v20, v18, s21
	s_delay_alu instid0(VALU_DEP_2)
	v_mov_b64_e32 v[18:19], v[2:3]
; %bb.201:
	s_or_b32 exec_lo, exec_lo, s9
	s_delay_alu instid0(SALU_CYCLE_1)
	s_or_b32 exec_lo, exec_lo, s20
	s_and_saveexec_b32 s20, s15
	s_cbranch_execnz .LBB1238_193
.LBB1238_202:
	s_or_b32 exec_lo, exec_lo, s20
	s_and_saveexec_b32 s20, s16
	s_cbranch_execz .LBB1238_212
.LBB1238_203:
	v_mul_u64_e32 v[2:3], v[10:11], v[6:7]
	v_mul_u64_e32 v[30:31], v[12:13], v[6:7]
	v_mov_b64_e32 v[32:33], v[6:7]
	s_mov_b32 s22, 0
                                        ; implicit-def: $sgpr21
                                        ; implicit-def: $sgpr23
                                        ; implicit-def: $sgpr24
                                        ; implicit-def: $sgpr25
                                        ; implicit-def: $sgpr26
	s_delay_alu instid0(VALU_DEP_3) | instskip(NEXT) | instid1(VALU_DEP_3)
	v_lshl_add_u64 v[2:3], v[2:3], 1, v[8:9]
	v_lshl_add_u64 v[30:31], v[30:31], 1, v[8:9]
	s_branch .LBB1238_205
.LBB1238_204:                           ;   in Loop: Header=BB1238_205 Depth=1
	s_or_b32 exec_lo, exec_lo, s26
	s_delay_alu instid0(SALU_CYCLE_1) | instskip(NEXT) | instid1(SALU_CYCLE_1)
	s_and_b32 s9, exec_lo, s9
	s_or_b32 s22, s9, s22
	s_and_not1_b32 s9, s23, exec_lo
	s_and_b32 s23, s24, exec_lo
	s_and_not1_b32 s21, s21, exec_lo
	s_and_b32 s26, s25, exec_lo
	s_or_b32 s23, s9, s23
	s_or_b32 s21, s21, s26
	s_mov_b32 s26, s25
	s_and_not1_b32 exec_lo, exec_lo, s22
	s_cbranch_execz .LBB1238_219
.LBB1238_205:                           ; =>This Inner Loop Header: Depth=1
	flat_load_u16 v35, v[30:31]
	flat_load_u16 v36, v[2:3]
	s_or_b32 s25, s25, exec_lo
	s_mov_b32 s27, 0
	s_mov_b32 s28, exec_lo
	s_wait_loadcnt_dscnt 0x0
	v_cmpx_nlt_f16_e32 v35, v36
; %bb.206:                              ;   in Loop: Header=BB1238_205 Depth=1
	v_cmp_ngt_f16_e64 s9, v35, v36
	s_and_not1_b32 s25, s25, exec_lo
	s_and_b32 s26, s9, s26
	s_and_b32 s27, s9, exec_lo
	s_and_b32 s26, s26, exec_lo
	s_delay_alu instid0(SALU_CYCLE_1)
	s_or_b32 s25, s25, s26
; %bb.207:                              ;   in Loop: Header=BB1238_205 Depth=1
	s_or_b32 exec_lo, exec_lo, s28
	s_mov_b32 s9, -1
	s_or_b32 s24, s24, exec_lo
	s_and_saveexec_b32 s26, s27
	s_cbranch_execz .LBB1238_204
; %bb.208:                              ;   in Loop: Header=BB1238_205 Depth=1
	v_add_nc_u64_e32 v[32:33], -1, v[32:33]
	v_add_nc_u64_e32 v[2:3], 2, v[2:3]
	v_add_nc_u64_e32 v[30:31], 2, v[30:31]
	s_and_not1_b32 s24, s24, exec_lo
	s_delay_alu instid0(VALU_DEP_3)
	v_cmp_eq_u64_e64 s9, 0, v[32:33]
	s_or_not1_b32 s9, s9, exec_lo
	s_branch .LBB1238_204
.LBB1238_209:
	s_or_b32 exec_lo, exec_lo, s22
	s_and_saveexec_b32 s9, s23
	s_delay_alu instid0(SALU_CYCLE_1)
	s_xor_b32 s9, exec_lo, s9
; %bb.210:
	v_dual_cndmask_b32 v3, v15, v17, s21 :: v_dual_cndmask_b32 v2, v14, v16, s21
	v_dual_cndmask_b32 v17, v17, v15, s21 :: v_dual_cndmask_b32 v16, v16, v14, s21
	s_delay_alu instid0(VALU_DEP_2)
	v_mov_b64_e32 v[14:15], v[2:3]
; %bb.211:
	s_or_b32 exec_lo, exec_lo, s9
	s_delay_alu instid0(SALU_CYCLE_1)
	s_or_b32 exec_lo, exec_lo, s20
	s_and_saveexec_b32 s20, s16
	s_cbranch_execnz .LBB1238_203
.LBB1238_212:
	s_or_b32 exec_lo, exec_lo, s20
	s_and_saveexec_b32 s20, s17
	s_cbranch_execz .LBB1238_222
.LBB1238_213:
	v_mul_u64_e32 v[2:3], v[24:25], v[6:7]
	v_mul_u64_e32 v[30:31], v[18:19], v[6:7]
	v_mov_b64_e32 v[32:33], v[6:7]
	s_mov_b32 s22, 0
                                        ; implicit-def: $sgpr21
                                        ; implicit-def: $sgpr23
                                        ; implicit-def: $sgpr24
                                        ; implicit-def: $sgpr25
                                        ; implicit-def: $sgpr26
	s_delay_alu instid0(VALU_DEP_3) | instskip(NEXT) | instid1(VALU_DEP_3)
	v_lshl_add_u64 v[2:3], v[2:3], 1, v[8:9]
	v_lshl_add_u64 v[30:31], v[30:31], 1, v[8:9]
	s_branch .LBB1238_215
.LBB1238_214:                           ;   in Loop: Header=BB1238_215 Depth=1
	s_or_b32 exec_lo, exec_lo, s26
	s_delay_alu instid0(SALU_CYCLE_1) | instskip(NEXT) | instid1(SALU_CYCLE_1)
	s_and_b32 s9, exec_lo, s9
	s_or_b32 s22, s9, s22
	s_and_not1_b32 s9, s23, exec_lo
	s_and_b32 s23, s24, exec_lo
	s_and_not1_b32 s21, s21, exec_lo
	s_and_b32 s26, s25, exec_lo
	s_or_b32 s23, s9, s23
	s_or_b32 s21, s21, s26
	s_mov_b32 s26, s25
	s_and_not1_b32 exec_lo, exec_lo, s22
	s_cbranch_execz .LBB1238_229
.LBB1238_215:                           ; =>This Inner Loop Header: Depth=1
	flat_load_u16 v35, v[30:31]
	flat_load_u16 v36, v[2:3]
	s_or_b32 s25, s25, exec_lo
	s_mov_b32 s27, 0
	s_mov_b32 s28, exec_lo
	s_wait_loadcnt_dscnt 0x0
	v_cmpx_nlt_f16_e32 v35, v36
; %bb.216:                              ;   in Loop: Header=BB1238_215 Depth=1
	v_cmp_ngt_f16_e64 s9, v35, v36
	s_and_not1_b32 s25, s25, exec_lo
	s_and_b32 s26, s9, s26
	s_and_b32 s27, s9, exec_lo
	s_and_b32 s26, s26, exec_lo
	s_delay_alu instid0(SALU_CYCLE_1)
	s_or_b32 s25, s25, s26
; %bb.217:                              ;   in Loop: Header=BB1238_215 Depth=1
	s_or_b32 exec_lo, exec_lo, s28
	s_mov_b32 s9, -1
	s_or_b32 s24, s24, exec_lo
	s_and_saveexec_b32 s26, s27
	s_cbranch_execz .LBB1238_214
; %bb.218:                              ;   in Loop: Header=BB1238_215 Depth=1
	v_add_nc_u64_e32 v[32:33], -1, v[32:33]
	v_add_nc_u64_e32 v[2:3], 2, v[2:3]
	v_add_nc_u64_e32 v[30:31], 2, v[30:31]
	s_and_not1_b32 s24, s24, exec_lo
	s_delay_alu instid0(VALU_DEP_3)
	v_cmp_eq_u64_e64 s9, 0, v[32:33]
	s_or_not1_b32 s9, s9, exec_lo
	s_branch .LBB1238_214
.LBB1238_219:
	s_or_b32 exec_lo, exec_lo, s22
	s_and_saveexec_b32 s9, s23
	s_delay_alu instid0(SALU_CYCLE_1)
	s_xor_b32 s9, exec_lo, s9
; %bb.220:
	v_dual_cndmask_b32 v3, v11, v13, s21 :: v_dual_cndmask_b32 v2, v10, v12, s21
	v_dual_cndmask_b32 v13, v13, v11, s21 :: v_dual_cndmask_b32 v12, v12, v10, s21
	s_delay_alu instid0(VALU_DEP_2)
	v_mov_b64_e32 v[10:11], v[2:3]
; %bb.221:
	s_or_b32 exec_lo, exec_lo, s9
	s_delay_alu instid0(SALU_CYCLE_1)
	s_or_b32 exec_lo, exec_lo, s20
	s_and_saveexec_b32 s20, s17
	s_cbranch_execnz .LBB1238_213
.LBB1238_222:
	s_or_b32 exec_lo, exec_lo, s20
	s_and_saveexec_b32 s20, s18
	s_cbranch_execz .LBB1238_232
.LBB1238_223:
	v_mul_u64_e32 v[2:3], v[20:21], v[6:7]
	v_mul_u64_e32 v[30:31], v[14:15], v[6:7]
	v_mov_b64_e32 v[32:33], v[6:7]
	s_mov_b32 s22, 0
                                        ; implicit-def: $sgpr21
                                        ; implicit-def: $sgpr23
                                        ; implicit-def: $sgpr24
                                        ; implicit-def: $sgpr25
                                        ; implicit-def: $sgpr26
	s_delay_alu instid0(VALU_DEP_3) | instskip(NEXT) | instid1(VALU_DEP_3)
	v_lshl_add_u64 v[2:3], v[2:3], 1, v[8:9]
	v_lshl_add_u64 v[30:31], v[30:31], 1, v[8:9]
	s_branch .LBB1238_225
.LBB1238_224:                           ;   in Loop: Header=BB1238_225 Depth=1
	s_or_b32 exec_lo, exec_lo, s26
	s_delay_alu instid0(SALU_CYCLE_1) | instskip(NEXT) | instid1(SALU_CYCLE_1)
	s_and_b32 s9, exec_lo, s9
	s_or_b32 s22, s9, s22
	s_and_not1_b32 s9, s23, exec_lo
	s_and_b32 s23, s24, exec_lo
	s_and_not1_b32 s21, s21, exec_lo
	s_and_b32 s26, s25, exec_lo
	s_or_b32 s23, s9, s23
	s_or_b32 s21, s21, s26
	s_mov_b32 s26, s25
	s_and_not1_b32 exec_lo, exec_lo, s22
	s_cbranch_execz .LBB1238_239
.LBB1238_225:                           ; =>This Inner Loop Header: Depth=1
	flat_load_u16 v35, v[30:31]
	flat_load_u16 v36, v[2:3]
	s_or_b32 s25, s25, exec_lo
	s_mov_b32 s27, 0
	s_mov_b32 s28, exec_lo
	s_wait_loadcnt_dscnt 0x0
	v_cmpx_nlt_f16_e32 v35, v36
; %bb.226:                              ;   in Loop: Header=BB1238_225 Depth=1
	v_cmp_ngt_f16_e64 s9, v35, v36
	s_and_not1_b32 s25, s25, exec_lo
	s_and_b32 s26, s9, s26
	s_and_b32 s27, s9, exec_lo
	s_and_b32 s26, s26, exec_lo
	s_delay_alu instid0(SALU_CYCLE_1)
	s_or_b32 s25, s25, s26
; %bb.227:                              ;   in Loop: Header=BB1238_225 Depth=1
	s_or_b32 exec_lo, exec_lo, s28
	s_mov_b32 s9, -1
	s_or_b32 s24, s24, exec_lo
	s_and_saveexec_b32 s26, s27
	s_cbranch_execz .LBB1238_224
; %bb.228:                              ;   in Loop: Header=BB1238_225 Depth=1
	v_add_nc_u64_e32 v[32:33], -1, v[32:33]
	v_add_nc_u64_e32 v[2:3], 2, v[2:3]
	v_add_nc_u64_e32 v[30:31], 2, v[30:31]
	s_and_not1_b32 s24, s24, exec_lo
	s_delay_alu instid0(VALU_DEP_3)
	v_cmp_eq_u64_e64 s9, 0, v[32:33]
	s_or_not1_b32 s9, s9, exec_lo
	s_branch .LBB1238_224
.LBB1238_229:
	s_or_b32 exec_lo, exec_lo, s22
	s_and_saveexec_b32 s9, s23
	s_delay_alu instid0(SALU_CYCLE_1)
	s_xor_b32 s9, exec_lo, s9
; %bb.230:
	v_dual_cndmask_b32 v3, v25, v19, s21 :: v_dual_cndmask_b32 v2, v24, v18, s21
	v_dual_cndmask_b32 v19, v19, v25, s21 :: v_dual_cndmask_b32 v18, v18, v24, s21
	s_delay_alu instid0(VALU_DEP_2)
	v_mov_b64_e32 v[24:25], v[2:3]
; %bb.231:
	s_or_b32 exec_lo, exec_lo, s9
	s_delay_alu instid0(SALU_CYCLE_1)
	s_or_b32 exec_lo, exec_lo, s20
	s_and_saveexec_b32 s20, s18
	s_cbranch_execnz .LBB1238_223
.LBB1238_232:
	s_or_b32 exec_lo, exec_lo, s20
	s_and_saveexec_b32 s20, s19
	s_cbranch_execz .LBB1238_242
.LBB1238_233:
	v_mul_u64_e32 v[2:3], v[16:17], v[6:7]
	v_mul_u64_e32 v[30:31], v[10:11], v[6:7]
	v_mov_b64_e32 v[32:33], v[6:7]
	s_mov_b32 s22, 0
                                        ; implicit-def: $sgpr21
                                        ; implicit-def: $sgpr23
                                        ; implicit-def: $sgpr24
                                        ; implicit-def: $sgpr25
                                        ; implicit-def: $sgpr26
	s_delay_alu instid0(VALU_DEP_3) | instskip(NEXT) | instid1(VALU_DEP_3)
	v_lshl_add_u64 v[2:3], v[2:3], 1, v[8:9]
	v_lshl_add_u64 v[30:31], v[30:31], 1, v[8:9]
	s_branch .LBB1238_235
.LBB1238_234:                           ;   in Loop: Header=BB1238_235 Depth=1
	s_or_b32 exec_lo, exec_lo, s26
	s_delay_alu instid0(SALU_CYCLE_1) | instskip(NEXT) | instid1(SALU_CYCLE_1)
	s_and_b32 s9, exec_lo, s9
	s_or_b32 s22, s9, s22
	s_and_not1_b32 s9, s23, exec_lo
	s_and_b32 s23, s24, exec_lo
	s_and_not1_b32 s21, s21, exec_lo
	s_and_b32 s26, s25, exec_lo
	s_or_b32 s23, s9, s23
	s_or_b32 s21, s21, s26
	s_mov_b32 s26, s25
	s_and_not1_b32 exec_lo, exec_lo, s22
	s_cbranch_execz .LBB1238_249
.LBB1238_235:                           ; =>This Inner Loop Header: Depth=1
	flat_load_u16 v35, v[30:31]
	flat_load_u16 v36, v[2:3]
	s_or_b32 s25, s25, exec_lo
	s_mov_b32 s27, 0
	s_mov_b32 s28, exec_lo
	s_wait_loadcnt_dscnt 0x0
	v_cmpx_nlt_f16_e32 v35, v36
; %bb.236:                              ;   in Loop: Header=BB1238_235 Depth=1
	v_cmp_ngt_f16_e64 s9, v35, v36
	s_and_not1_b32 s25, s25, exec_lo
	s_and_b32 s26, s9, s26
	s_and_b32 s27, s9, exec_lo
	s_and_b32 s26, s26, exec_lo
	s_delay_alu instid0(SALU_CYCLE_1)
	s_or_b32 s25, s25, s26
; %bb.237:                              ;   in Loop: Header=BB1238_235 Depth=1
	s_or_b32 exec_lo, exec_lo, s28
	s_mov_b32 s9, -1
	s_or_b32 s24, s24, exec_lo
	s_and_saveexec_b32 s26, s27
	s_cbranch_execz .LBB1238_234
; %bb.238:                              ;   in Loop: Header=BB1238_235 Depth=1
	v_add_nc_u64_e32 v[32:33], -1, v[32:33]
	v_add_nc_u64_e32 v[2:3], 2, v[2:3]
	v_add_nc_u64_e32 v[30:31], 2, v[30:31]
	s_and_not1_b32 s24, s24, exec_lo
	s_delay_alu instid0(VALU_DEP_3)
	v_cmp_eq_u64_e64 s9, 0, v[32:33]
	s_or_not1_b32 s9, s9, exec_lo
	s_branch .LBB1238_234
.LBB1238_239:
	s_or_b32 exec_lo, exec_lo, s22
	s_and_saveexec_b32 s9, s23
	s_delay_alu instid0(SALU_CYCLE_1)
	s_xor_b32 s9, exec_lo, s9
; %bb.240:
	v_dual_cndmask_b32 v3, v21, v15, s21 :: v_dual_cndmask_b32 v2, v20, v14, s21
	v_dual_cndmask_b32 v15, v15, v21, s21 :: v_dual_cndmask_b32 v14, v14, v20, s21
	s_delay_alu instid0(VALU_DEP_2)
	v_mov_b64_e32 v[20:21], v[2:3]
; %bb.241:
	s_or_b32 exec_lo, exec_lo, s9
	s_delay_alu instid0(SALU_CYCLE_1)
	s_or_b32 exec_lo, exec_lo, s20
	s_and_saveexec_b32 s20, s19
	s_cbranch_execnz .LBB1238_233
.LBB1238_242:
	s_or_b32 exec_lo, exec_lo, s20
	s_and_saveexec_b32 s20, s10
	s_cbranch_execz .LBB1238_252
.LBB1238_243:
	v_mul_u64_e32 v[2:3], v[22:23], v[6:7]
	v_mul_u64_e32 v[30:31], v[24:25], v[6:7]
	v_mov_b64_e32 v[32:33], v[6:7]
	s_mov_b32 s21, 0
                                        ; implicit-def: $sgpr10
                                        ; implicit-def: $sgpr22
                                        ; implicit-def: $sgpr23
                                        ; implicit-def: $sgpr24
                                        ; implicit-def: $sgpr25
	s_delay_alu instid0(VALU_DEP_3) | instskip(NEXT) | instid1(VALU_DEP_3)
	v_lshl_add_u64 v[2:3], v[2:3], 1, v[8:9]
	v_lshl_add_u64 v[30:31], v[30:31], 1, v[8:9]
	s_branch .LBB1238_245
.LBB1238_244:                           ;   in Loop: Header=BB1238_245 Depth=1
	s_or_b32 exec_lo, exec_lo, s25
	s_delay_alu instid0(SALU_CYCLE_1) | instskip(NEXT) | instid1(SALU_CYCLE_1)
	s_and_b32 s9, exec_lo, s9
	s_or_b32 s21, s9, s21
	s_and_not1_b32 s9, s22, exec_lo
	s_and_b32 s22, s23, exec_lo
	s_and_not1_b32 s10, s10, exec_lo
	s_and_b32 s25, s24, exec_lo
	s_or_b32 s22, s9, s22
	s_or_b32 s10, s10, s25
	s_mov_b32 s25, s24
	s_and_not1_b32 exec_lo, exec_lo, s21
	s_cbranch_execz .LBB1238_259
.LBB1238_245:                           ; =>This Inner Loop Header: Depth=1
	flat_load_u16 v35, v[30:31]
	flat_load_u16 v36, v[2:3]
	s_or_b32 s24, s24, exec_lo
	s_mov_b32 s26, 0
	s_mov_b32 s27, exec_lo
	s_wait_loadcnt_dscnt 0x0
	v_cmpx_nlt_f16_e32 v35, v36
; %bb.246:                              ;   in Loop: Header=BB1238_245 Depth=1
	v_cmp_ngt_f16_e64 s9, v35, v36
	s_and_not1_b32 s24, s24, exec_lo
	s_and_b32 s25, s9, s25
	s_and_b32 s26, s9, exec_lo
	s_and_b32 s25, s25, exec_lo
	s_delay_alu instid0(SALU_CYCLE_1)
	s_or_b32 s24, s24, s25
; %bb.247:                              ;   in Loop: Header=BB1238_245 Depth=1
	s_or_b32 exec_lo, exec_lo, s27
	s_mov_b32 s9, -1
	s_or_b32 s23, s23, exec_lo
	s_and_saveexec_b32 s25, s26
	s_cbranch_execz .LBB1238_244
; %bb.248:                              ;   in Loop: Header=BB1238_245 Depth=1
	v_add_nc_u64_e32 v[32:33], -1, v[32:33]
	v_add_nc_u64_e32 v[2:3], 2, v[2:3]
	v_add_nc_u64_e32 v[30:31], 2, v[30:31]
	s_and_not1_b32 s23, s23, exec_lo
	s_delay_alu instid0(VALU_DEP_3)
	v_cmp_eq_u64_e64 s9, 0, v[32:33]
	s_or_not1_b32 s9, s9, exec_lo
	s_branch .LBB1238_244
.LBB1238_249:
	s_or_b32 exec_lo, exec_lo, s22
	s_and_saveexec_b32 s9, s23
	s_delay_alu instid0(SALU_CYCLE_1)
	s_xor_b32 s9, exec_lo, s9
; %bb.250:
	v_dual_cndmask_b32 v3, v17, v11, s21 :: v_dual_cndmask_b32 v2, v16, v10, s21
	v_dual_cndmask_b32 v11, v11, v17, s21 :: v_dual_cndmask_b32 v10, v10, v16, s21
	s_delay_alu instid0(VALU_DEP_2)
	v_mov_b64_e32 v[16:17], v[2:3]
; %bb.251:
	s_or_b32 exec_lo, exec_lo, s9
	s_delay_alu instid0(SALU_CYCLE_1)
	s_or_b32 exec_lo, exec_lo, s20
	s_and_saveexec_b32 s20, s10
	s_cbranch_execnz .LBB1238_243
.LBB1238_252:
	s_or_b32 exec_lo, exec_lo, s20
	s_and_saveexec_b32 s10, s11
	s_cbranch_execz .LBB1238_262
.LBB1238_253:
	v_mul_u64_e32 v[2:3], v[18:19], v[6:7]
	v_mul_u64_e32 v[30:31], v[20:21], v[6:7]
	v_mov_b64_e32 v[32:33], v[6:7]
	s_mov_b32 s20, 0
                                        ; implicit-def: $sgpr11
                                        ; implicit-def: $sgpr21
                                        ; implicit-def: $sgpr22
                                        ; implicit-def: $sgpr23
                                        ; implicit-def: $sgpr24
	s_delay_alu instid0(VALU_DEP_3) | instskip(NEXT) | instid1(VALU_DEP_3)
	v_lshl_add_u64 v[2:3], v[2:3], 1, v[8:9]
	v_lshl_add_u64 v[30:31], v[30:31], 1, v[8:9]
	s_branch .LBB1238_255
.LBB1238_254:                           ;   in Loop: Header=BB1238_255 Depth=1
	s_or_b32 exec_lo, exec_lo, s24
	s_delay_alu instid0(SALU_CYCLE_1) | instskip(NEXT) | instid1(SALU_CYCLE_1)
	s_and_b32 s9, exec_lo, s9
	s_or_b32 s20, s9, s20
	s_and_not1_b32 s9, s21, exec_lo
	s_and_b32 s21, s22, exec_lo
	s_and_not1_b32 s11, s11, exec_lo
	s_and_b32 s24, s23, exec_lo
	s_or_b32 s21, s9, s21
	s_or_b32 s11, s11, s24
	s_mov_b32 s24, s23
	s_and_not1_b32 exec_lo, exec_lo, s20
	s_cbranch_execz .LBB1238_269
.LBB1238_255:                           ; =>This Inner Loop Header: Depth=1
	flat_load_u16 v35, v[30:31]
	flat_load_u16 v36, v[2:3]
	s_or_b32 s23, s23, exec_lo
	s_mov_b32 s25, 0
	s_mov_b32 s26, exec_lo
	s_wait_loadcnt_dscnt 0x0
	v_cmpx_nlt_f16_e32 v35, v36
; %bb.256:                              ;   in Loop: Header=BB1238_255 Depth=1
	v_cmp_ngt_f16_e64 s9, v35, v36
	s_and_not1_b32 s23, s23, exec_lo
	s_and_b32 s24, s9, s24
	s_and_b32 s25, s9, exec_lo
	s_and_b32 s24, s24, exec_lo
	s_delay_alu instid0(SALU_CYCLE_1)
	s_or_b32 s23, s23, s24
; %bb.257:                              ;   in Loop: Header=BB1238_255 Depth=1
	s_or_b32 exec_lo, exec_lo, s26
	s_mov_b32 s9, -1
	s_or_b32 s22, s22, exec_lo
	s_and_saveexec_b32 s24, s25
	s_cbranch_execz .LBB1238_254
; %bb.258:                              ;   in Loop: Header=BB1238_255 Depth=1
	v_add_nc_u64_e32 v[32:33], -1, v[32:33]
	v_add_nc_u64_e32 v[2:3], 2, v[2:3]
	v_add_nc_u64_e32 v[30:31], 2, v[30:31]
	s_and_not1_b32 s22, s22, exec_lo
	s_delay_alu instid0(VALU_DEP_3)
	v_cmp_eq_u64_e64 s9, 0, v[32:33]
	s_or_not1_b32 s9, s9, exec_lo
	s_branch .LBB1238_254
.LBB1238_259:
	s_or_b32 exec_lo, exec_lo, s21
	s_and_saveexec_b32 s9, s22
	s_delay_alu instid0(SALU_CYCLE_1)
	s_xor_b32 s9, exec_lo, s9
; %bb.260:
	v_dual_cndmask_b32 v3, v25, v23, s10 :: v_dual_cndmask_b32 v2, v24, v22, s10
	v_dual_cndmask_b32 v23, v23, v25, s10 :: v_dual_cndmask_b32 v22, v22, v24, s10
	s_delay_alu instid0(VALU_DEP_2)
	v_mov_b64_e32 v[24:25], v[2:3]
; %bb.261:
	s_or_b32 exec_lo, exec_lo, s9
	s_delay_alu instid0(SALU_CYCLE_1)
	s_or_b32 exec_lo, exec_lo, s20
	s_and_saveexec_b32 s10, s11
	s_cbranch_execnz .LBB1238_253
.LBB1238_262:
	s_or_b32 exec_lo, exec_lo, s10
	s_and_saveexec_b32 s10, s15
	s_cbranch_execz .LBB1238_272
.LBB1238_263:
	v_mul_u64_e32 v[2:3], v[14:15], v[6:7]
	v_mul_u64_e32 v[30:31], v[16:17], v[6:7]
	v_mov_b64_e32 v[32:33], v[6:7]
	s_mov_b32 s15, 0
                                        ; implicit-def: $sgpr11
                                        ; implicit-def: $sgpr20
                                        ; implicit-def: $sgpr21
                                        ; implicit-def: $sgpr22
                                        ; implicit-def: $sgpr23
	s_delay_alu instid0(VALU_DEP_3) | instskip(NEXT) | instid1(VALU_DEP_3)
	v_lshl_add_u64 v[2:3], v[2:3], 1, v[8:9]
	v_lshl_add_u64 v[30:31], v[30:31], 1, v[8:9]
	s_branch .LBB1238_265
.LBB1238_264:                           ;   in Loop: Header=BB1238_265 Depth=1
	s_or_b32 exec_lo, exec_lo, s23
	s_delay_alu instid0(SALU_CYCLE_1) | instskip(NEXT) | instid1(SALU_CYCLE_1)
	s_and_b32 s9, exec_lo, s9
	s_or_b32 s15, s9, s15
	s_and_not1_b32 s9, s20, exec_lo
	s_and_b32 s20, s21, exec_lo
	s_and_not1_b32 s11, s11, exec_lo
	s_and_b32 s23, s22, exec_lo
	s_or_b32 s20, s9, s20
	s_or_b32 s11, s11, s23
	s_mov_b32 s23, s22
	s_and_not1_b32 exec_lo, exec_lo, s15
	s_cbranch_execz .LBB1238_279
.LBB1238_265:                           ; =>This Inner Loop Header: Depth=1
	flat_load_u16 v35, v[30:31]
	flat_load_u16 v36, v[2:3]
	s_or_b32 s22, s22, exec_lo
	s_mov_b32 s24, 0
	s_mov_b32 s25, exec_lo
	s_wait_loadcnt_dscnt 0x0
	v_cmpx_nlt_f16_e32 v35, v36
; %bb.266:                              ;   in Loop: Header=BB1238_265 Depth=1
	v_cmp_ngt_f16_e64 s9, v35, v36
	s_and_not1_b32 s22, s22, exec_lo
	s_and_b32 s23, s9, s23
	s_and_b32 s24, s9, exec_lo
	s_and_b32 s23, s23, exec_lo
	s_delay_alu instid0(SALU_CYCLE_1)
	s_or_b32 s22, s22, s23
; %bb.267:                              ;   in Loop: Header=BB1238_265 Depth=1
	s_or_b32 exec_lo, exec_lo, s25
	s_mov_b32 s9, -1
	s_or_b32 s21, s21, exec_lo
	s_and_saveexec_b32 s23, s24
	s_cbranch_execz .LBB1238_264
; %bb.268:                              ;   in Loop: Header=BB1238_265 Depth=1
	v_add_nc_u64_e32 v[32:33], -1, v[32:33]
	v_add_nc_u64_e32 v[2:3], 2, v[2:3]
	v_add_nc_u64_e32 v[30:31], 2, v[30:31]
	s_and_not1_b32 s21, s21, exec_lo
	s_delay_alu instid0(VALU_DEP_3)
	v_cmp_eq_u64_e64 s9, 0, v[32:33]
	s_or_not1_b32 s9, s9, exec_lo
	s_branch .LBB1238_264
.LBB1238_269:
	s_or_b32 exec_lo, exec_lo, s20
	s_and_saveexec_b32 s9, s21
	s_delay_alu instid0(SALU_CYCLE_1)
	s_xor_b32 s9, exec_lo, s9
; %bb.270:
	v_dual_cndmask_b32 v3, v19, v21, s11 :: v_dual_cndmask_b32 v2, v18, v20, s11
	v_dual_cndmask_b32 v21, v21, v19, s11 :: v_dual_cndmask_b32 v20, v20, v18, s11
	s_delay_alu instid0(VALU_DEP_2)
	v_mov_b64_e32 v[18:19], v[2:3]
; %bb.271:
	s_or_b32 exec_lo, exec_lo, s9
	s_delay_alu instid0(SALU_CYCLE_1)
	s_or_b32 exec_lo, exec_lo, s10
	s_and_saveexec_b32 s10, s15
	s_cbranch_execnz .LBB1238_263
.LBB1238_272:
	s_or_b32 exec_lo, exec_lo, s10
	s_and_saveexec_b32 s10, s16
	s_cbranch_execz .LBB1238_282
.LBB1238_273:
	v_mul_u64_e32 v[2:3], v[10:11], v[6:7]
	v_mul_u64_e32 v[30:31], v[12:13], v[6:7]
	v_mov_b64_e32 v[32:33], v[6:7]
	s_mov_b32 s15, 0
                                        ; implicit-def: $sgpr11
                                        ; implicit-def: $sgpr16
                                        ; implicit-def: $sgpr20
                                        ; implicit-def: $sgpr21
                                        ; implicit-def: $sgpr22
	s_delay_alu instid0(VALU_DEP_3) | instskip(NEXT) | instid1(VALU_DEP_3)
	v_lshl_add_u64 v[2:3], v[2:3], 1, v[8:9]
	v_lshl_add_u64 v[30:31], v[30:31], 1, v[8:9]
	s_branch .LBB1238_275
.LBB1238_274:                           ;   in Loop: Header=BB1238_275 Depth=1
	s_or_b32 exec_lo, exec_lo, s22
	s_delay_alu instid0(SALU_CYCLE_1) | instskip(NEXT) | instid1(SALU_CYCLE_1)
	s_and_b32 s9, exec_lo, s9
	s_or_b32 s15, s9, s15
	s_and_not1_b32 s9, s16, exec_lo
	s_and_b32 s16, s20, exec_lo
	s_and_not1_b32 s11, s11, exec_lo
	s_and_b32 s22, s21, exec_lo
	s_or_b32 s16, s9, s16
	s_or_b32 s11, s11, s22
	s_mov_b32 s22, s21
	s_and_not1_b32 exec_lo, exec_lo, s15
	s_cbranch_execz .LBB1238_289
.LBB1238_275:                           ; =>This Inner Loop Header: Depth=1
	flat_load_u16 v35, v[30:31]
	flat_load_u16 v36, v[2:3]
	s_or_b32 s21, s21, exec_lo
	s_mov_b32 s23, 0
	s_mov_b32 s24, exec_lo
	s_wait_loadcnt_dscnt 0x0
	v_cmpx_nlt_f16_e32 v35, v36
; %bb.276:                              ;   in Loop: Header=BB1238_275 Depth=1
	v_cmp_ngt_f16_e64 s9, v35, v36
	s_and_not1_b32 s21, s21, exec_lo
	s_and_b32 s22, s9, s22
	s_and_b32 s23, s9, exec_lo
	s_and_b32 s22, s22, exec_lo
	s_delay_alu instid0(SALU_CYCLE_1)
	s_or_b32 s21, s21, s22
; %bb.277:                              ;   in Loop: Header=BB1238_275 Depth=1
	s_or_b32 exec_lo, exec_lo, s24
	s_mov_b32 s9, -1
	s_or_b32 s20, s20, exec_lo
	s_and_saveexec_b32 s22, s23
	s_cbranch_execz .LBB1238_274
; %bb.278:                              ;   in Loop: Header=BB1238_275 Depth=1
	v_add_nc_u64_e32 v[32:33], -1, v[32:33]
	v_add_nc_u64_e32 v[2:3], 2, v[2:3]
	v_add_nc_u64_e32 v[30:31], 2, v[30:31]
	s_and_not1_b32 s20, s20, exec_lo
	s_delay_alu instid0(VALU_DEP_3)
	v_cmp_eq_u64_e64 s9, 0, v[32:33]
	s_or_not1_b32 s9, s9, exec_lo
	s_branch .LBB1238_274
.LBB1238_279:
	s_or_b32 exec_lo, exec_lo, s15
	s_and_saveexec_b32 s9, s20
	s_delay_alu instid0(SALU_CYCLE_1)
	s_xor_b32 s9, exec_lo, s9
; %bb.280:
	v_dual_cndmask_b32 v3, v15, v17, s11 :: v_dual_cndmask_b32 v2, v14, v16, s11
	v_dual_cndmask_b32 v17, v17, v15, s11 :: v_dual_cndmask_b32 v16, v16, v14, s11
	s_delay_alu instid0(VALU_DEP_2)
	v_mov_b64_e32 v[14:15], v[2:3]
; %bb.281:
	s_or_b32 exec_lo, exec_lo, s9
	s_delay_alu instid0(SALU_CYCLE_1)
	s_or_b32 exec_lo, exec_lo, s10
	s_and_saveexec_b32 s10, s16
	s_cbranch_execnz .LBB1238_273
.LBB1238_282:
	s_or_b32 exec_lo, exec_lo, s10
	s_and_saveexec_b32 s10, s17
	s_cbranch_execz .LBB1238_292
.LBB1238_283:
	v_mul_u64_e32 v[2:3], v[24:25], v[6:7]
	v_mul_u64_e32 v[30:31], v[18:19], v[6:7]
	v_mov_b64_e32 v[32:33], v[6:7]
	s_mov_b32 s15, 0
                                        ; implicit-def: $sgpr11
                                        ; implicit-def: $sgpr16
                                        ; implicit-def: $sgpr17
                                        ; implicit-def: $sgpr20
                                        ; implicit-def: $sgpr21
	s_delay_alu instid0(VALU_DEP_3) | instskip(NEXT) | instid1(VALU_DEP_3)
	v_lshl_add_u64 v[2:3], v[2:3], 1, v[8:9]
	v_lshl_add_u64 v[30:31], v[30:31], 1, v[8:9]
	s_branch .LBB1238_285
.LBB1238_284:                           ;   in Loop: Header=BB1238_285 Depth=1
	s_or_b32 exec_lo, exec_lo, s21
	s_delay_alu instid0(SALU_CYCLE_1) | instskip(NEXT) | instid1(SALU_CYCLE_1)
	s_and_b32 s9, exec_lo, s9
	s_or_b32 s15, s9, s15
	s_and_not1_b32 s9, s16, exec_lo
	s_and_b32 s16, s17, exec_lo
	s_and_not1_b32 s11, s11, exec_lo
	s_and_b32 s21, s20, exec_lo
	s_or_b32 s16, s9, s16
	s_or_b32 s11, s11, s21
	s_mov_b32 s21, s20
	s_and_not1_b32 exec_lo, exec_lo, s15
	s_cbranch_execz .LBB1238_299
.LBB1238_285:                           ; =>This Inner Loop Header: Depth=1
	flat_load_u16 v35, v[30:31]
	flat_load_u16 v36, v[2:3]
	s_or_b32 s20, s20, exec_lo
	s_mov_b32 s22, 0
	s_mov_b32 s23, exec_lo
	s_wait_loadcnt_dscnt 0x0
	v_cmpx_nlt_f16_e32 v35, v36
; %bb.286:                              ;   in Loop: Header=BB1238_285 Depth=1
	v_cmp_ngt_f16_e64 s9, v35, v36
	s_and_not1_b32 s20, s20, exec_lo
	s_and_b32 s21, s9, s21
	s_and_b32 s22, s9, exec_lo
	s_and_b32 s21, s21, exec_lo
	s_delay_alu instid0(SALU_CYCLE_1)
	s_or_b32 s20, s20, s21
; %bb.287:                              ;   in Loop: Header=BB1238_285 Depth=1
	s_or_b32 exec_lo, exec_lo, s23
	s_mov_b32 s9, -1
	s_or_b32 s17, s17, exec_lo
	s_and_saveexec_b32 s21, s22
	s_cbranch_execz .LBB1238_284
; %bb.288:                              ;   in Loop: Header=BB1238_285 Depth=1
	v_add_nc_u64_e32 v[32:33], -1, v[32:33]
	v_add_nc_u64_e32 v[2:3], 2, v[2:3]
	v_add_nc_u64_e32 v[30:31], 2, v[30:31]
	s_and_not1_b32 s17, s17, exec_lo
	s_delay_alu instid0(VALU_DEP_3)
	v_cmp_eq_u64_e64 s9, 0, v[32:33]
	s_or_not1_b32 s9, s9, exec_lo
	s_branch .LBB1238_284
.LBB1238_289:
	s_or_b32 exec_lo, exec_lo, s15
	s_and_saveexec_b32 s9, s16
	s_delay_alu instid0(SALU_CYCLE_1)
	s_xor_b32 s9, exec_lo, s9
; %bb.290:
	v_dual_cndmask_b32 v3, v11, v13, s11 :: v_dual_cndmask_b32 v2, v10, v12, s11
	v_dual_cndmask_b32 v13, v13, v11, s11 :: v_dual_cndmask_b32 v12, v12, v10, s11
	s_delay_alu instid0(VALU_DEP_2)
	v_mov_b64_e32 v[10:11], v[2:3]
; %bb.291:
	s_or_b32 exec_lo, exec_lo, s9
	s_delay_alu instid0(SALU_CYCLE_1)
	s_or_b32 exec_lo, exec_lo, s10
	s_and_saveexec_b32 s10, s17
	s_cbranch_execnz .LBB1238_283
.LBB1238_292:
	s_or_b32 exec_lo, exec_lo, s10
	s_and_saveexec_b32 s10, s18
	s_cbranch_execz .LBB1238_302
.LBB1238_293:
	v_mul_u64_e32 v[2:3], v[20:21], v[6:7]
	v_mul_u64_e32 v[30:31], v[14:15], v[6:7]
	v_mov_b64_e32 v[32:33], v[6:7]
	s_mov_b32 s15, 0
                                        ; implicit-def: $sgpr11
                                        ; implicit-def: $sgpr16
                                        ; implicit-def: $sgpr17
                                        ; implicit-def: $sgpr18
                                        ; implicit-def: $sgpr20
	s_delay_alu instid0(VALU_DEP_3) | instskip(NEXT) | instid1(VALU_DEP_3)
	v_lshl_add_u64 v[2:3], v[2:3], 1, v[8:9]
	v_lshl_add_u64 v[30:31], v[30:31], 1, v[8:9]
	s_branch .LBB1238_295
.LBB1238_294:                           ;   in Loop: Header=BB1238_295 Depth=1
	s_or_b32 exec_lo, exec_lo, s20
	s_delay_alu instid0(SALU_CYCLE_1) | instskip(NEXT) | instid1(SALU_CYCLE_1)
	s_and_b32 s9, exec_lo, s9
	s_or_b32 s15, s9, s15
	s_and_not1_b32 s9, s16, exec_lo
	s_and_b32 s16, s17, exec_lo
	s_and_not1_b32 s11, s11, exec_lo
	s_and_b32 s20, s18, exec_lo
	s_or_b32 s16, s9, s16
	s_or_b32 s11, s11, s20
	s_mov_b32 s20, s18
	s_and_not1_b32 exec_lo, exec_lo, s15
	s_cbranch_execz .LBB1238_303
.LBB1238_295:                           ; =>This Inner Loop Header: Depth=1
	flat_load_u16 v35, v[30:31]
	flat_load_u16 v36, v[2:3]
	s_or_b32 s18, s18, exec_lo
	s_mov_b32 s21, 0
	s_mov_b32 s22, exec_lo
	s_wait_loadcnt_dscnt 0x0
	v_cmpx_nlt_f16_e32 v35, v36
; %bb.296:                              ;   in Loop: Header=BB1238_295 Depth=1
	v_cmp_ngt_f16_e64 s9, v35, v36
	s_and_not1_b32 s18, s18, exec_lo
	s_and_b32 s20, s9, s20
	s_and_b32 s21, s9, exec_lo
	s_and_b32 s20, s20, exec_lo
	s_delay_alu instid0(SALU_CYCLE_1)
	s_or_b32 s18, s18, s20
; %bb.297:                              ;   in Loop: Header=BB1238_295 Depth=1
	s_or_b32 exec_lo, exec_lo, s22
	s_mov_b32 s9, -1
	s_or_b32 s17, s17, exec_lo
	s_and_saveexec_b32 s20, s21
	s_cbranch_execz .LBB1238_294
; %bb.298:                              ;   in Loop: Header=BB1238_295 Depth=1
	v_add_nc_u64_e32 v[32:33], -1, v[32:33]
	v_add_nc_u64_e32 v[2:3], 2, v[2:3]
	v_add_nc_u64_e32 v[30:31], 2, v[30:31]
	s_and_not1_b32 s17, s17, exec_lo
	s_delay_alu instid0(VALU_DEP_3)
	v_cmp_eq_u64_e64 s9, 0, v[32:33]
	s_or_not1_b32 s9, s9, exec_lo
	s_branch .LBB1238_294
.LBB1238_299:
	s_or_b32 exec_lo, exec_lo, s15
	s_and_saveexec_b32 s9, s16
	s_delay_alu instid0(SALU_CYCLE_1)
	s_xor_b32 s9, exec_lo, s9
; %bb.300:
	v_dual_cndmask_b32 v3, v25, v19, s11 :: v_dual_cndmask_b32 v2, v24, v18, s11
	v_dual_cndmask_b32 v19, v19, v25, s11 :: v_dual_cndmask_b32 v18, v18, v24, s11
	s_delay_alu instid0(VALU_DEP_2)
	v_mov_b64_e32 v[24:25], v[2:3]
; %bb.301:
	s_or_b32 exec_lo, exec_lo, s9
	s_delay_alu instid0(SALU_CYCLE_1)
	s_or_b32 exec_lo, exec_lo, s10
	s_and_saveexec_b32 s10, s18
	s_cbranch_execnz .LBB1238_293
.LBB1238_302:
	s_or_b32 exec_lo, exec_lo, s10
	s_and_saveexec_b32 s10, s19
	s_cbranch_execnz .LBB1238_306
	s_branch .LBB1238_315
.LBB1238_303:
	s_or_b32 exec_lo, exec_lo, s15
	s_and_saveexec_b32 s9, s16
	s_delay_alu instid0(SALU_CYCLE_1)
	s_xor_b32 s9, exec_lo, s9
; %bb.304:
	v_dual_cndmask_b32 v3, v21, v15, s11 :: v_dual_cndmask_b32 v2, v20, v14, s11
	v_dual_cndmask_b32 v15, v15, v21, s11 :: v_dual_cndmask_b32 v14, v14, v20, s11
	s_delay_alu instid0(VALU_DEP_2)
	v_mov_b64_e32 v[20:21], v[2:3]
; %bb.305:
	s_or_b32 exec_lo, exec_lo, s9
	s_delay_alu instid0(SALU_CYCLE_1)
	s_or_b32 exec_lo, exec_lo, s10
	s_and_saveexec_b32 s10, s19
	s_cbranch_execz .LBB1238_315
.LBB1238_306:
	v_mul_u64_e32 v[2:3], v[16:17], v[6:7]
	v_mul_u64_e32 v[30:31], v[10:11], v[6:7]
	v_mov_b64_e32 v[32:33], v[6:7]
	s_mov_b32 s15, 0
                                        ; implicit-def: $sgpr11
                                        ; implicit-def: $sgpr16
                                        ; implicit-def: $sgpr17
                                        ; implicit-def: $sgpr18
                                        ; implicit-def: $sgpr19
	s_delay_alu instid0(VALU_DEP_3) | instskip(NEXT) | instid1(VALU_DEP_3)
	v_lshl_add_u64 v[2:3], v[2:3], 1, v[8:9]
	v_lshl_add_u64 v[30:31], v[30:31], 1, v[8:9]
	s_branch .LBB1238_308
.LBB1238_307:                           ;   in Loop: Header=BB1238_308 Depth=1
	s_or_b32 exec_lo, exec_lo, s19
	s_delay_alu instid0(SALU_CYCLE_1) | instskip(NEXT) | instid1(SALU_CYCLE_1)
	s_and_b32 s9, exec_lo, s9
	s_or_b32 s15, s9, s15
	s_and_not1_b32 s9, s16, exec_lo
	s_and_b32 s16, s17, exec_lo
	s_and_not1_b32 s11, s11, exec_lo
	s_and_b32 s19, s18, exec_lo
	s_or_b32 s16, s9, s16
	s_or_b32 s11, s11, s19
	s_mov_b32 s19, s18
	s_and_not1_b32 exec_lo, exec_lo, s15
	s_cbranch_execz .LBB1238_312
.LBB1238_308:                           ; =>This Inner Loop Header: Depth=1
	flat_load_u16 v35, v[30:31]
	flat_load_u16 v36, v[2:3]
	s_or_b32 s18, s18, exec_lo
	s_mov_b32 s20, 0
	s_mov_b32 s21, exec_lo
	s_wait_loadcnt_dscnt 0x0
	v_cmpx_nlt_f16_e32 v35, v36
; %bb.309:                              ;   in Loop: Header=BB1238_308 Depth=1
	v_cmp_ngt_f16_e64 s9, v35, v36
	s_and_not1_b32 s18, s18, exec_lo
	s_and_b32 s19, s9, s19
	s_and_b32 s20, s9, exec_lo
	s_and_b32 s19, s19, exec_lo
	s_delay_alu instid0(SALU_CYCLE_1)
	s_or_b32 s18, s18, s19
; %bb.310:                              ;   in Loop: Header=BB1238_308 Depth=1
	s_or_b32 exec_lo, exec_lo, s21
	s_mov_b32 s9, -1
	s_or_b32 s17, s17, exec_lo
	s_and_saveexec_b32 s19, s20
	s_cbranch_execz .LBB1238_307
; %bb.311:                              ;   in Loop: Header=BB1238_308 Depth=1
	v_add_nc_u64_e32 v[32:33], -1, v[32:33]
	v_add_nc_u64_e32 v[2:3], 2, v[2:3]
	v_add_nc_u64_e32 v[30:31], 2, v[30:31]
	s_and_not1_b32 s17, s17, exec_lo
	s_delay_alu instid0(VALU_DEP_3)
	v_cmp_eq_u64_e64 s9, 0, v[32:33]
	s_or_not1_b32 s9, s9, exec_lo
	s_branch .LBB1238_307
.LBB1238_312:
	s_or_b32 exec_lo, exec_lo, s15
	s_and_saveexec_b32 s9, s16
	s_delay_alu instid0(SALU_CYCLE_1)
	s_xor_b32 s9, exec_lo, s9
; %bb.313:
	v_dual_cndmask_b32 v3, v17, v11, s11 :: v_dual_cndmask_b32 v2, v16, v10, s11
	v_dual_cndmask_b32 v11, v11, v17, s11 :: v_dual_cndmask_b32 v10, v10, v16, s11
	s_delay_alu instid0(VALU_DEP_2)
	v_mov_b64_e32 v[16:17], v[2:3]
; %bb.314:
	s_or_b32 exec_lo, exec_lo, s9
.LBB1238_315:
	s_delay_alu instid0(SALU_CYCLE_1) | instskip(SKIP_4) | instid1(VALU_DEP_2)
	s_or_b32 exec_lo, exec_lo, s10
	v_mbcnt_lo_u32_b32 v2, -1, 0
	v_and_b32_e32 v34, 0xffffff00, v34
	s_mov_b64 s[10:11], src_shared_base
	s_mov_b32 s10, 0
	v_dual_mov_b32 v35, 0 :: v_dual_lshlrev_b32 v97, 3, v2
	s_delay_alu instid0(VALU_DEP_2) | instskip(NEXT) | instid1(VALU_DEP_2)
	v_sub_nc_u32_e64 v96, v0, v34 clamp
	v_lshl_add_u64 v[30:31], v[34:35], 3, s[10:11]
	s_delay_alu instid0(VALU_DEP_3) | instskip(SKIP_2) | instid1(VALU_DEP_3)
	v_and_b32_e32 v50, 0xf0, v97
	v_or_b32_e32 v3, 8, v97
	s_mov_b32 s11, exec_lo
	v_lshl_add_u32 v98, v2, 6, v30
	s_delay_alu instid0(VALU_DEP_2)
	v_min_u32_e32 v114, v96, v3
	v_and_b32_e32 v3, 8, v97
	ds_store_2addr_b64 v98, v[22:23], v[24:25] offset1:1
	ds_store_2addr_b64 v98, v[18:19], v[20:21] offset0:2 offset1:3
	ds_store_2addr_b64 v98, v[14:15], v[16:17] offset0:4 offset1:5
	;; [unrolled: 1-line block ×3, first 2 shown]
	v_add_min_u32_e64 v115, v114, 8, v96
	v_min_u32_e32 v51, v96, v3
	v_sub_nc_u32_e32 v32, v114, v50
	; wave barrier
	s_delay_alu instid0(VALU_DEP_3) | instskip(NEXT) | instid1(VALU_DEP_2)
	v_sub_nc_u32_e32 v3, v115, v114
	v_min_u32_e32 v53, v51, v32
	s_delay_alu instid0(VALU_DEP_2) | instskip(SKIP_1) | instid1(VALU_DEP_2)
	v_sub_nc_u32_e64 v52, v51, v3 clamp
	v_lshlrev_b64_e32 v[2:3], 1, v[6:7]
	v_cmpx_lt_u32_e64 v52, v53
	s_cbranch_execz .LBB1238_327
; %bb.316:
	v_lshlrev_b32_e32 v34, 3, v50
	s_delay_alu instid0(VALU_DEP_1) | instskip(SKIP_1) | instid1(VALU_DEP_1)
	v_add_nc_u64_e32 v[32:33], v[30:31], v[34:35]
	v_lshlrev_b32_e32 v34, 3, v114
	v_add_nc_u64_e32 v[34:35], v[30:31], v[34:35]
	s_branch .LBB1238_319
.LBB1238_317:                           ;   in Loop: Header=BB1238_319 Depth=1
	s_or_b32 exec_lo, exec_lo, s16
	s_delay_alu instid0(SALU_CYCLE_1)
	s_and_b32 s9, s17, exec_lo
.LBB1238_318:                           ;   in Loop: Header=BB1238_319 Depth=1
	s_or_b32 exec_lo, exec_lo, s15
	s_delay_alu instid0(VALU_DEP_1) | instskip(NEXT) | instid1(VALU_DEP_1)
	v_dual_add_nc_u32 v35, 1, v33 :: v_dual_cndmask_b32 v53, v53, v33, s9
	v_cndmask_b32_e64 v52, v35, v52, s9
	s_delay_alu instid0(VALU_DEP_1) | instskip(SKIP_1) | instid1(SALU_CYCLE_1)
	v_cmp_ge_u32_e64 s9, v52, v53
	s_or_b32 s10, s9, s10
	s_and_not1_b32 exec_lo, exec_lo, s10
	s_cbranch_execz .LBB1238_326
.LBB1238_319:                           ; =>This Loop Header: Depth=1
                                        ;     Child Loop BB1238_322 Depth 2
	v_add_nc_u32_e32 v33, v53, v52
	s_mov_b32 s9, 0
	s_delay_alu instid0(VALU_DEP_1)
	v_lshrrev_b32_e32 v33, 1, v33
	s_and_saveexec_b32 s15, s7
	s_cbranch_execz .LBB1238_318
; %bb.320:                              ;   in Loop: Header=BB1238_319 Depth=1
	s_delay_alu instid0(VALU_DEP_1) | instskip(SKIP_2) | instid1(VALU_DEP_2)
	v_xad_u32 v35, v33, -1, v51
	v_lshl_add_u32 v36, v33, 3, v32
	s_mov_b32 s16, 0
                                        ; implicit-def: $sgpr17
                                        ; implicit-def: $sgpr18
                                        ; implicit-def: $sgpr21
	v_lshl_add_u32 v35, v35, 3, v34
	ds_load_b64 v[48:49], v36
	ds_load_b64 v[54:55], v35
	s_wait_dscnt 0x1
	v_mad_nc_u64_u32 v[36:37], v2, v48, v[8:9]
	s_wait_dscnt 0x0
	v_mad_nc_u64_u32 v[38:39], v2, v54, v[8:9]
	s_delay_alu instid0(VALU_DEP_2) | instskip(NEXT) | instid1(VALU_DEP_2)
	v_mad_u32 v35, v3, v48, v37
	v_mad_u32 v39, v3, v54, v39
	s_delay_alu instid0(VALU_DEP_2) | instskip(NEXT) | instid1(VALU_DEP_2)
	v_mad_u32 v37, v2, v49, v35
	v_mad_u32 v39, v2, v55, v39
	v_mov_b64_e32 v[48:49], v[6:7]
	s_branch .LBB1238_322
.LBB1238_321:                           ;   in Loop: Header=BB1238_322 Depth=2
	s_or_b32 exec_lo, exec_lo, s21
	s_delay_alu instid0(SALU_CYCLE_1) | instskip(SKIP_4) | instid1(SALU_CYCLE_1)
	s_and_b32 s9, exec_lo, s20
	s_mov_b32 s21, s19
	s_or_b32 s16, s9, s16
	s_and_not1_b32 s9, s17, exec_lo
	s_and_b32 s17, s18, exec_lo
	s_or_b32 s17, s9, s17
	s_and_not1_b32 exec_lo, exec_lo, s16
	s_cbranch_execz .LBB1238_317
.LBB1238_322:                           ;   Parent Loop BB1238_319 Depth=1
                                        ; =>  This Inner Loop Header: Depth=2
	flat_load_u16 v35, v[38:39]
	flat_load_u16 v54, v[36:37]
	s_mov_b32 s20, -1
	s_mov_b32 s22, 0
	s_mov_b32 s19, -1
	s_mov_b32 s23, exec_lo
	s_wait_loadcnt_dscnt 0x0
	v_cmpx_nlt_f16_e32 v35, v54
; %bb.323:                              ;   in Loop: Header=BB1238_322 Depth=2
	v_cmp_ngt_f16_e64 s9, v35, v54
	s_and_b32 s19, s9, s21
	s_and_b32 s22, s9, exec_lo
	s_or_not1_b32 s19, s19, exec_lo
; %bb.324:                              ;   in Loop: Header=BB1238_322 Depth=2
	s_or_b32 exec_lo, exec_lo, s23
	s_delay_alu instid0(SALU_CYCLE_1) | instskip(SKIP_1) | instid1(SALU_CYCLE_1)
	s_and_not1_b32 s9, s18, exec_lo
	s_and_b32 s18, s19, exec_lo
	s_or_b32 s18, s9, s18
	s_and_saveexec_b32 s21, s22
	s_cbranch_execz .LBB1238_321
; %bb.325:                              ;   in Loop: Header=BB1238_322 Depth=2
	v_add_nc_u64_e32 v[48:49], -1, v[48:49]
	v_add_nc_u64_e32 v[36:37], 2, v[36:37]
	v_add_nc_u64_e32 v[38:39], 2, v[38:39]
	s_and_not1_b32 s18, s18, exec_lo
	s_delay_alu instid0(VALU_DEP_3)
	v_cmp_eq_u64_e64 s9, 0, v[48:49]
	s_or_not1_b32 s20, s9, exec_lo
	s_branch .LBB1238_321
.LBB1238_326:
	s_or_b32 exec_lo, exec_lo, s10
.LBB1238_327:
	s_delay_alu instid0(SALU_CYCLE_1) | instskip(SKIP_4) | instid1(VALU_DEP_4)
	s_or_b32 exec_lo, exec_lo, s11
	v_dual_add_nc_u32 v100, 56, v98 :: v_dual_add_nc_u32 v33, v114, v51
	v_add_nc_u32_e32 v32, v52, v50
	v_dual_add_nc_u32 v113, 8, v98 :: v_dual_add_nc_u32 v101, 16, v98
	v_dual_add_nc_u32 v102, 24, v98 :: v_dual_add_nc_u32 v103, 32, v98
	v_sub_nc_u32_e32 v33, v33, v52
	s_delay_alu instid0(VALU_DEP_4) | instskip(SKIP_1) | instid1(VALU_DEP_3)
	v_cmp_le_u32_e64 s9, v32, v114
	v_dual_add_nc_u32 v112, 40, v98 :: v_dual_add_nc_u32 v99, 48, v98
	v_cmp_le_u32_e64 s10, v33, v115
	s_or_b32 s9, s9, s10
	s_delay_alu instid0(SALU_CYCLE_1)
	s_and_saveexec_b32 s15, s9
	s_cbranch_execz .LBB1238_737
; %bb.328:
	v_cmp_ge_u32_e64 s9, v32, v114
	s_mov_b32 s11, exec_lo
                                        ; implicit-def: $vgpr10_vgpr11
	v_cmpx_lt_u32_e64 v32, v114
; %bb.329:
	v_lshl_add_u32 v10, v32, 3, v30
	ds_load_b64 v[10:11], v10
; %bb.330:
	s_or_b32 exec_lo, exec_lo, s11
	v_cmp_ge_u32_e64 s10, v33, v115
	s_mov_b32 s16, exec_lo
                                        ; implicit-def: $vgpr12_vgpr13
	v_cmpx_lt_u32_e64 v33, v115
; %bb.331:
	v_lshl_add_u32 v12, v33, 3, v30
	ds_load_b64 v[12:13], v12
; %bb.332:
	s_or_b32 exec_lo, exec_lo, s16
	s_or_b32 s11, s9, s10
	s_xor_b32 s9, s9, -1
	s_nor_b32 s16, s11, s8
	s_or_b32 s10, s10, s9
	s_and_saveexec_b32 s11, s16
	s_cbranch_execz .LBB1238_356
; %bb.333:
	s_wait_dscnt 0x0
	v_mul_u64_e32 v[14:15], v[10:11], v[6:7]
	v_mul_u64_e32 v[16:17], v[12:13], v[6:7]
	v_mov_b64_e32 v[18:19], v[6:7]
	s_mov_b32 s16, 0
                                        ; implicit-def: $sgpr17
                                        ; implicit-def: $sgpr18
                                        ; implicit-def: $sgpr21
	s_delay_alu instid0(VALU_DEP_3) | instskip(NEXT) | instid1(VALU_DEP_3)
	v_lshl_add_u64 v[14:15], v[14:15], 1, v[8:9]
	v_lshl_add_u64 v[16:17], v[16:17], 1, v[8:9]
	s_branch .LBB1238_335
.LBB1238_334:                           ;   in Loop: Header=BB1238_335 Depth=1
	s_or_b32 exec_lo, exec_lo, s21
	s_delay_alu instid0(SALU_CYCLE_1) | instskip(SKIP_4) | instid1(SALU_CYCLE_1)
	s_and_b32 s9, exec_lo, s20
	s_mov_b32 s21, s19
	s_or_b32 s16, s9, s16
	s_and_not1_b32 s9, s17, exec_lo
	s_and_b32 s17, s18, exec_lo
	s_or_b32 s17, s9, s17
	s_and_not1_b32 exec_lo, exec_lo, s16
	s_cbranch_execz .LBB1238_355
.LBB1238_335:                           ; =>This Inner Loop Header: Depth=1
	flat_load_u16 v20, v[16:17]
	flat_load_u16 v21, v[14:15]
	s_mov_b32 s20, -1
	s_mov_b32 s22, 0
	s_mov_b32 s19, -1
	s_mov_b32 s23, exec_lo
	s_wait_loadcnt_dscnt 0x0
	v_cmpx_nlt_f16_e32 v20, v21
; %bb.336:                              ;   in Loop: Header=BB1238_335 Depth=1
	v_cmp_ngt_f16_e64 s9, v20, v21
	s_and_b32 s19, s9, s21
	s_and_b32 s22, s9, exec_lo
	s_or_not1_b32 s19, s19, exec_lo
; %bb.337:                              ;   in Loop: Header=BB1238_335 Depth=1
	s_or_b32 exec_lo, exec_lo, s23
	s_delay_alu instid0(SALU_CYCLE_1) | instskip(SKIP_1) | instid1(SALU_CYCLE_1)
	s_and_not1_b32 s9, s18, exec_lo
	s_and_b32 s18, s19, exec_lo
	s_or_b32 s18, s9, s18
	s_and_saveexec_b32 s21, s22
	s_cbranch_execz .LBB1238_334
; %bb.338:                              ;   in Loop: Header=BB1238_335 Depth=1
	v_add_nc_u64_e32 v[18:19], -1, v[18:19]
	v_add_nc_u64_e32 v[14:15], 2, v[14:15]
	v_add_nc_u64_e32 v[16:17], 2, v[16:17]
	s_and_not1_b32 s18, s18, exec_lo
	s_delay_alu instid0(VALU_DEP_3)
	v_cmp_eq_u64_e64 s9, 0, v[18:19]
	s_or_not1_b32 s20, s9, exec_lo
	s_branch .LBB1238_334
.LBB1238_339:
	s_or_b32 exec_lo, exec_lo, s5
	s_and_saveexec_b32 s0, s6
	s_delay_alu instid0(SALU_CYCLE_1)
	s_xor_b32 s0, exec_lo, s0
; %bb.340:
	v_dual_cndmask_b32 v23, v21, v19, s3 :: v_dual_cndmask_b32 v22, v20, v18, s3
	v_dual_cndmask_b32 v19, v19, v21, s3 :: v_dual_cndmask_b32 v18, v18, v20, s3
	s_delay_alu instid0(VALU_DEP_2)
	v_mov_b64_e32 v[20:21], v[22:23]
; %bb.341:
	s_or_b32 exec_lo, exec_lo, s0
	v_mul_u64_e32 v[22:23], v[14:15], v[6:7]
	v_mul_u64_e32 v[24:25], v[16:17], v[6:7]
	v_mov_b64_e32 v[30:31], v[6:7]
	s_mov_b32 s5, 0
                                        ; implicit-def: $sgpr3
                                        ; implicit-def: $sgpr6
                                        ; implicit-def: $sgpr7
                                        ; implicit-def: $sgpr11
                                        ; implicit-def: $sgpr12
	s_delay_alu instid0(VALU_DEP_3) | instskip(NEXT) | instid1(VALU_DEP_3)
	v_lshl_add_u64 v[22:23], v[22:23], 1, v[8:9]
	v_lshl_add_u64 v[24:25], v[24:25], 1, v[8:9]
	s_branch .LBB1238_343
.LBB1238_342:                           ;   in Loop: Header=BB1238_343 Depth=1
	s_or_b32 exec_lo, exec_lo, s12
	s_delay_alu instid0(SALU_CYCLE_1) | instskip(NEXT) | instid1(SALU_CYCLE_1)
	s_and_b32 s0, exec_lo, s0
	s_or_b32 s5, s0, s5
	s_and_not1_b32 s0, s6, exec_lo
	s_and_b32 s6, s7, exec_lo
	s_and_not1_b32 s3, s3, exec_lo
	s_and_b32 s12, s11, exec_lo
	s_or_b32 s6, s0, s6
	s_or_b32 s3, s3, s12
	s_mov_b32 s12, s11
	s_and_not1_b32 exec_lo, exec_lo, s5
	s_cbranch_execz .LBB1238_364
.LBB1238_343:                           ; =>This Inner Loop Header: Depth=1
	flat_load_u16 v48, v[24:25]
	flat_load_u16 v49, v[22:23]
	s_or_b32 s11, s11, exec_lo
	s_mov_b32 s13, 0
	s_mov_b32 s14, exec_lo
	s_wait_loadcnt_dscnt 0x0
	v_cmpx_nlt_f16_e32 v48, v49
; %bb.344:                              ;   in Loop: Header=BB1238_343 Depth=1
	v_cmp_ngt_f16_e64 s0, v48, v49
	s_and_not1_b32 s11, s11, exec_lo
	s_and_b32 s12, s0, s12
	s_and_b32 s13, s0, exec_lo
	s_and_b32 s12, s12, exec_lo
	s_delay_alu instid0(SALU_CYCLE_1)
	s_or_b32 s11, s11, s12
; %bb.345:                              ;   in Loop: Header=BB1238_343 Depth=1
	s_or_b32 exec_lo, exec_lo, s14
	s_mov_b32 s0, -1
	s_or_b32 s7, s7, exec_lo
	s_and_saveexec_b32 s12, s13
	s_cbranch_execz .LBB1238_342
; %bb.346:                              ;   in Loop: Header=BB1238_343 Depth=1
	v_add_nc_u64_e32 v[30:31], -1, v[30:31]
	v_add_nc_u64_e32 v[22:23], 2, v[22:23]
	v_add_nc_u64_e32 v[24:25], 2, v[24:25]
	s_and_not1_b32 s7, s7, exec_lo
	s_delay_alu instid0(VALU_DEP_3)
	v_cmp_eq_u64_e64 s0, 0, v[30:31]
	s_or_not1_b32 s0, s0, exec_lo
	s_branch .LBB1238_342
.LBB1238_347:
	s_or_b32 exec_lo, exec_lo, s5
	s_and_saveexec_b32 s0, s6
	s_delay_alu instid0(SALU_CYCLE_1)
	s_xor_b32 s0, exec_lo, s0
; %bb.348:
	v_dual_cndmask_b32 v23, v11, v13, s3 :: v_dual_cndmask_b32 v22, v10, v12, s3
	v_dual_cndmask_b32 v13, v13, v11, s3 :: v_dual_cndmask_b32 v12, v12, v10, s3
	s_delay_alu instid0(VALU_DEP_2)
	v_mov_b64_e32 v[10:11], v[22:23]
; %bb.349:
	s_or_b32 exec_lo, exec_lo, s0
	v_mul_u64_e32 v[22:23], v[0:1], v[6:7]
	v_mul_u64_e32 v[24:25], v[2:3], v[6:7]
	v_mov_b64_e32 v[30:31], v[6:7]
	s_mov_b32 s5, 0
                                        ; implicit-def: $sgpr3
                                        ; implicit-def: $sgpr6
                                        ; implicit-def: $sgpr7
                                        ; implicit-def: $sgpr11
                                        ; implicit-def: $sgpr12
	s_delay_alu instid0(VALU_DEP_3) | instskip(NEXT) | instid1(VALU_DEP_3)
	v_lshl_add_u64 v[22:23], v[22:23], 1, v[8:9]
	v_lshl_add_u64 v[24:25], v[24:25], 1, v[8:9]
	s_branch .LBB1238_351
.LBB1238_350:                           ;   in Loop: Header=BB1238_351 Depth=1
	s_or_b32 exec_lo, exec_lo, s12
	s_delay_alu instid0(SALU_CYCLE_1) | instskip(NEXT) | instid1(SALU_CYCLE_1)
	s_and_b32 s0, exec_lo, s0
	s_or_b32 s5, s0, s5
	s_and_not1_b32 s0, s6, exec_lo
	s_and_b32 s6, s7, exec_lo
	s_and_not1_b32 s3, s3, exec_lo
	s_and_b32 s12, s11, exec_lo
	s_or_b32 s6, s0, s6
	s_or_b32 s3, s3, s12
	s_mov_b32 s12, s11
	s_and_not1_b32 exec_lo, exec_lo, s5
	s_cbranch_execz .LBB1238_374
.LBB1238_351:                           ; =>This Inner Loop Header: Depth=1
	flat_load_u16 v48, v[24:25]
	flat_load_u16 v49, v[22:23]
	s_or_b32 s11, s11, exec_lo
	s_mov_b32 s13, 0
	s_mov_b32 s14, exec_lo
	s_wait_loadcnt_dscnt 0x0
	v_cmpx_nlt_f16_e32 v48, v49
; %bb.352:                              ;   in Loop: Header=BB1238_351 Depth=1
	v_cmp_ngt_f16_e64 s0, v48, v49
	s_and_not1_b32 s11, s11, exec_lo
	s_and_b32 s12, s0, s12
	s_and_b32 s13, s0, exec_lo
	s_and_b32 s12, s12, exec_lo
	s_delay_alu instid0(SALU_CYCLE_1)
	s_or_b32 s11, s11, s12
; %bb.353:                              ;   in Loop: Header=BB1238_351 Depth=1
	s_or_b32 exec_lo, exec_lo, s14
	s_mov_b32 s0, -1
	s_or_b32 s7, s7, exec_lo
	s_and_saveexec_b32 s12, s13
	s_cbranch_execz .LBB1238_350
; %bb.354:                              ;   in Loop: Header=BB1238_351 Depth=1
	v_add_nc_u64_e32 v[30:31], -1, v[30:31]
	v_add_nc_u64_e32 v[22:23], 2, v[22:23]
	v_add_nc_u64_e32 v[24:25], 2, v[24:25]
	s_and_not1_b32 s7, s7, exec_lo
	s_delay_alu instid0(VALU_DEP_3)
	v_cmp_eq_u64_e64 s0, 0, v[30:31]
	s_or_not1_b32 s0, s0, exec_lo
	s_branch .LBB1238_350
.LBB1238_355:
	s_or_b32 exec_lo, exec_lo, s16
	s_xor_b32 s9, s17, -1
	s_and_not1_b32 s10, s10, exec_lo
	s_and_b32 s9, s9, exec_lo
	s_delay_alu instid0(SALU_CYCLE_1)
	s_or_b32 s10, s10, s9
.LBB1238_356:
	s_or_b32 exec_lo, exec_lo, s11
	v_dual_cndmask_b32 v14, v33, v32, s10 :: v_dual_cndmask_b32 v15, v115, v114, s10
	s_mov_b32 s16, -1
	s_mov_b32 s11, -1
	s_mov_b32 s17, exec_lo
	s_delay_alu instid0(VALU_DEP_1) | instskip(NEXT) | instid1(VALU_DEP_1)
	v_add_nc_u32_e32 v16, 1, v14
	v_add_min_u32_e64 v14, v15, -1, v16
	s_delay_alu instid0(VALU_DEP_1)
	v_lshl_add_u32 v14, v14, 3, v30
	ds_load_b64 v[14:15], v14
	s_wait_dscnt 0x0
	v_cndmask_b32_e64 v23, v15, v13, s10
	v_dual_cndmask_b32 v20, v16, v33, s10 :: v_dual_cndmask_b32 v22, v14, v12, s10
	v_dual_cndmask_b32 v21, v32, v16, s10 :: v_dual_cndmask_b32 v25, v11, v15, s10
	v_cndmask_b32_e64 v24, v10, v14, s10
	s_delay_alu instid0(VALU_DEP_3)
	v_cmpx_lt_u32_e64 v20, v115
	s_cbranch_execz .LBB1238_616
; %bb.357:
	s_delay_alu instid0(VALU_DEP_3) | instskip(SKIP_1) | instid1(SALU_CYCLE_1)
	v_cmp_lt_u32_e64 s11, v21, v114
	s_and_b32 s9, s11, s14
	s_and_saveexec_b32 s18, s9
	s_cbranch_execz .LBB1238_615
; %bb.358:
	v_mul_u64_e32 v[14:15], v[24:25], v[6:7]
	v_mul_u64_e32 v[16:17], v[22:23], v[6:7]
	v_mov_b64_e32 v[18:19], v[6:7]
	s_mov_b32 s19, 0
                                        ; implicit-def: $sgpr20
                                        ; implicit-def: $sgpr21
                                        ; implicit-def: $sgpr24
	s_delay_alu instid0(VALU_DEP_3) | instskip(NEXT) | instid1(VALU_DEP_3)
	v_lshl_add_u64 v[14:15], v[14:15], 1, v[8:9]
	v_lshl_add_u64 v[16:17], v[16:17], 1, v[8:9]
	s_branch .LBB1238_360
.LBB1238_359:                           ;   in Loop: Header=BB1238_360 Depth=1
	s_or_b32 exec_lo, exec_lo, s24
	s_delay_alu instid0(SALU_CYCLE_1) | instskip(SKIP_4) | instid1(SALU_CYCLE_1)
	s_and_b32 s9, exec_lo, s23
	s_mov_b32 s24, s22
	s_or_b32 s19, s9, s19
	s_and_not1_b32 s9, s20, exec_lo
	s_and_b32 s20, s21, exec_lo
	s_or_b32 s20, s9, s20
	s_and_not1_b32 exec_lo, exec_lo, s19
	s_cbranch_execz .LBB1238_614
.LBB1238_360:                           ; =>This Inner Loop Header: Depth=1
	flat_load_u16 v32, v[16:17]
	flat_load_u16 v33, v[14:15]
	s_mov_b32 s23, -1
	s_mov_b32 s25, 0
	s_mov_b32 s22, -1
	s_mov_b32 s26, exec_lo
	s_wait_loadcnt_dscnt 0x0
	v_cmpx_nlt_f16_e32 v32, v33
; %bb.361:                              ;   in Loop: Header=BB1238_360 Depth=1
	v_cmp_ngt_f16_e64 s9, v32, v33
	s_and_b32 s22, s9, s24
	s_and_b32 s25, s9, exec_lo
	s_or_not1_b32 s22, s22, exec_lo
; %bb.362:                              ;   in Loop: Header=BB1238_360 Depth=1
	s_or_b32 exec_lo, exec_lo, s26
	s_delay_alu instid0(SALU_CYCLE_1) | instskip(SKIP_1) | instid1(SALU_CYCLE_1)
	s_and_not1_b32 s9, s21, exec_lo
	s_and_b32 s21, s22, exec_lo
	s_or_b32 s21, s9, s21
	s_and_saveexec_b32 s24, s25
	s_cbranch_execz .LBB1238_359
; %bb.363:                              ;   in Loop: Header=BB1238_360 Depth=1
	v_add_nc_u64_e32 v[18:19], -1, v[18:19]
	v_add_nc_u64_e32 v[14:15], 2, v[14:15]
	v_add_nc_u64_e32 v[16:17], 2, v[16:17]
	s_and_not1_b32 s21, s21, exec_lo
	s_delay_alu instid0(VALU_DEP_3)
	v_cmp_eq_u64_e64 s9, 0, v[18:19]
	s_or_not1_b32 s23, s9, exec_lo
	s_branch .LBB1238_359
.LBB1238_364:
	s_or_b32 exec_lo, exec_lo, s5
	s_and_saveexec_b32 s0, s6
	s_delay_alu instid0(SALU_CYCLE_1)
	s_xor_b32 s0, exec_lo, s0
; %bb.365:
	v_dual_cndmask_b32 v23, v15, v17, s3 :: v_dual_cndmask_b32 v22, v14, v16, s3
	v_dual_cndmask_b32 v17, v17, v15, s3 :: v_dual_cndmask_b32 v16, v16, v14, s3
	s_delay_alu instid0(VALU_DEP_2)
	v_mov_b64_e32 v[14:15], v[22:23]
; %bb.366:
	s_or_b32 exec_lo, exec_lo, s0
	s_delay_alu instid0(SALU_CYCLE_1)
	s_or_b32 exec_lo, exec_lo, s2
	s_and_saveexec_b32 s2, vcc_lo
	s_cbranch_execnz .LBB1238_36
.LBB1238_367:
	s_or_b32 exec_lo, exec_lo, s2
	s_and_saveexec_b32 s0, vcc_lo
	s_delay_alu instid0(SALU_CYCLE_1)
	s_xor_b32 s2, exec_lo, s0
	s_cbranch_execz .LBB1238_377
.LBB1238_368:
	v_mul_u64_e32 v[22:23], v[20:21], v[6:7]
	v_mul_u64_e32 v[24:25], v[14:15], v[6:7]
	v_mov_b64_e32 v[30:31], v[6:7]
	s_mov_b32 s5, 0
                                        ; implicit-def: $sgpr3
                                        ; implicit-def: $sgpr6
                                        ; implicit-def: $sgpr7
                                        ; implicit-def: $sgpr11
                                        ; implicit-def: $sgpr12
	s_delay_alu instid0(VALU_DEP_3) | instskip(NEXT) | instid1(VALU_DEP_3)
	v_lshl_add_u64 v[22:23], v[22:23], 1, v[8:9]
	v_lshl_add_u64 v[24:25], v[24:25], 1, v[8:9]
	s_branch .LBB1238_370
.LBB1238_369:                           ;   in Loop: Header=BB1238_370 Depth=1
	s_or_b32 exec_lo, exec_lo, s12
	s_delay_alu instid0(SALU_CYCLE_1) | instskip(NEXT) | instid1(SALU_CYCLE_1)
	s_and_b32 s0, exec_lo, s0
	s_or_b32 s5, s0, s5
	s_and_not1_b32 s0, s6, exec_lo
	s_and_b32 s6, s7, exec_lo
	s_and_not1_b32 s3, s3, exec_lo
	s_and_b32 s12, s11, exec_lo
	s_or_b32 s6, s0, s6
	s_or_b32 s3, s3, s12
	s_mov_b32 s12, s11
	s_and_not1_b32 exec_lo, exec_lo, s5
	s_cbranch_execz .LBB1238_384
.LBB1238_370:                           ; =>This Inner Loop Header: Depth=1
	flat_load_u16 v48, v[24:25]
	flat_load_u16 v49, v[22:23]
	s_or_b32 s11, s11, exec_lo
	s_mov_b32 s13, 0
	s_mov_b32 s14, exec_lo
	s_wait_loadcnt_dscnt 0x0
	v_cmpx_nlt_f16_e32 v48, v49
; %bb.371:                              ;   in Loop: Header=BB1238_370 Depth=1
	v_cmp_ngt_f16_e64 s0, v48, v49
	s_and_not1_b32 s11, s11, exec_lo
	s_and_b32 s12, s0, s12
	s_and_b32 s13, s0, exec_lo
	s_and_b32 s12, s12, exec_lo
	s_delay_alu instid0(SALU_CYCLE_1)
	s_or_b32 s11, s11, s12
; %bb.372:                              ;   in Loop: Header=BB1238_370 Depth=1
	s_or_b32 exec_lo, exec_lo, s14
	s_mov_b32 s0, -1
	s_or_b32 s7, s7, exec_lo
	s_and_saveexec_b32 s12, s13
	s_cbranch_execz .LBB1238_369
; %bb.373:                              ;   in Loop: Header=BB1238_370 Depth=1
	v_add_nc_u64_e32 v[30:31], -1, v[30:31]
	v_add_nc_u64_e32 v[22:23], 2, v[22:23]
	v_add_nc_u64_e32 v[24:25], 2, v[24:25]
	s_and_not1_b32 s7, s7, exec_lo
	s_delay_alu instid0(VALU_DEP_3)
	v_cmp_eq_u64_e64 s0, 0, v[30:31]
	s_or_not1_b32 s0, s0, exec_lo
	s_branch .LBB1238_369
.LBB1238_374:
	s_or_b32 exec_lo, exec_lo, s5
	s_and_saveexec_b32 s0, s6
	s_delay_alu instid0(SALU_CYCLE_1)
	s_xor_b32 s0, exec_lo, s0
; %bb.375:
	v_dual_cndmask_b32 v23, v1, v3, s3 :: v_dual_cndmask_b32 v22, v0, v2, s3
	v_dual_cndmask_b32 v3, v3, v1, s3 :: v_dual_cndmask_b32 v2, v2, v0, s3
	s_delay_alu instid0(VALU_DEP_2)
	v_mov_b64_e32 v[0:1], v[22:23]
; %bb.376:
	s_or_b32 exec_lo, exec_lo, s0
	s_delay_alu instid0(SALU_CYCLE_1) | instskip(SKIP_1) | instid1(SALU_CYCLE_1)
	s_or_b32 exec_lo, exec_lo, s2
	s_and_saveexec_b32 s0, vcc_lo
	s_xor_b32 s2, exec_lo, s0
	s_cbranch_execnz .LBB1238_368
.LBB1238_377:
	s_or_b32 exec_lo, exec_lo, s2
	s_and_saveexec_b32 s2, vcc_lo
	s_cbranch_execz .LBB1238_403
.LBB1238_378:
	v_mul_u64_e32 v[22:23], v[12:13], v[6:7]
	v_mul_u64_e32 v[24:25], v[0:1], v[6:7]
	v_mov_b64_e32 v[30:31], v[6:7]
	s_mov_b32 s5, 0
                                        ; implicit-def: $sgpr3
                                        ; implicit-def: $sgpr6
                                        ; implicit-def: $sgpr7
                                        ; implicit-def: $sgpr11
                                        ; implicit-def: $sgpr12
	s_delay_alu instid0(VALU_DEP_3) | instskip(NEXT) | instid1(VALU_DEP_3)
	v_lshl_add_u64 v[22:23], v[22:23], 1, v[8:9]
	v_lshl_add_u64 v[24:25], v[24:25], 1, v[8:9]
	s_branch .LBB1238_380
.LBB1238_379:                           ;   in Loop: Header=BB1238_380 Depth=1
	s_or_b32 exec_lo, exec_lo, s12
	s_delay_alu instid0(SALU_CYCLE_1) | instskip(NEXT) | instid1(SALU_CYCLE_1)
	s_and_b32 s0, exec_lo, s0
	s_or_b32 s5, s0, s5
	s_and_not1_b32 s0, s6, exec_lo
	s_and_b32 s6, s7, exec_lo
	s_and_not1_b32 s3, s3, exec_lo
	s_and_b32 s12, s11, exec_lo
	s_or_b32 s6, s0, s6
	s_or_b32 s3, s3, s12
	s_mov_b32 s12, s11
	s_and_not1_b32 exec_lo, exec_lo, s5
	s_cbranch_execz .LBB1238_392
.LBB1238_380:                           ; =>This Inner Loop Header: Depth=1
	flat_load_u16 v48, v[24:25]
	flat_load_u16 v49, v[22:23]
	s_or_b32 s11, s11, exec_lo
	s_mov_b32 s13, 0
	s_mov_b32 s14, exec_lo
	s_wait_loadcnt_dscnt 0x0
	v_cmpx_nlt_f16_e32 v48, v49
; %bb.381:                              ;   in Loop: Header=BB1238_380 Depth=1
	v_cmp_ngt_f16_e64 s0, v48, v49
	s_and_not1_b32 s11, s11, exec_lo
	s_and_b32 s12, s0, s12
	s_and_b32 s13, s0, exec_lo
	s_and_b32 s12, s12, exec_lo
	s_delay_alu instid0(SALU_CYCLE_1)
	s_or_b32 s11, s11, s12
; %bb.382:                              ;   in Loop: Header=BB1238_380 Depth=1
	s_or_b32 exec_lo, exec_lo, s14
	s_mov_b32 s0, -1
	s_or_b32 s7, s7, exec_lo
	s_and_saveexec_b32 s12, s13
	s_cbranch_execz .LBB1238_379
; %bb.383:                              ;   in Loop: Header=BB1238_380 Depth=1
	v_add_nc_u64_e32 v[30:31], -1, v[30:31]
	v_add_nc_u64_e32 v[22:23], 2, v[22:23]
	v_add_nc_u64_e32 v[24:25], 2, v[24:25]
	s_and_not1_b32 s7, s7, exec_lo
	s_delay_alu instid0(VALU_DEP_3)
	v_cmp_eq_u64_e64 s0, 0, v[30:31]
	s_or_not1_b32 s0, s0, exec_lo
	s_branch .LBB1238_379
.LBB1238_384:
	s_or_b32 exec_lo, exec_lo, s5
	s_and_saveexec_b32 s0, s6
	s_delay_alu instid0(SALU_CYCLE_1)
	s_xor_b32 s0, exec_lo, s0
; %bb.385:
	v_dual_cndmask_b32 v23, v21, v15, s3 :: v_dual_cndmask_b32 v22, v20, v14, s3
	v_dual_cndmask_b32 v15, v15, v21, s3 :: v_dual_cndmask_b32 v14, v14, v20, s3
	s_delay_alu instid0(VALU_DEP_2)
	v_mov_b64_e32 v[20:21], v[22:23]
; %bb.386:
	s_or_b32 exec_lo, exec_lo, s0
	v_mul_u64_e32 v[22:23], v[16:17], v[6:7]
	v_mul_u64_e32 v[24:25], v[10:11], v[6:7]
	v_mov_b64_e32 v[30:31], v[6:7]
	s_mov_b32 s5, 0
                                        ; implicit-def: $sgpr3
                                        ; implicit-def: $sgpr6
                                        ; implicit-def: $sgpr7
                                        ; implicit-def: $sgpr11
                                        ; implicit-def: $sgpr12
	s_delay_alu instid0(VALU_DEP_3) | instskip(NEXT) | instid1(VALU_DEP_3)
	v_lshl_add_u64 v[22:23], v[22:23], 1, v[8:9]
	v_lshl_add_u64 v[24:25], v[24:25], 1, v[8:9]
	s_branch .LBB1238_388
.LBB1238_387:                           ;   in Loop: Header=BB1238_388 Depth=1
	s_or_b32 exec_lo, exec_lo, s12
	s_delay_alu instid0(SALU_CYCLE_1) | instskip(NEXT) | instid1(SALU_CYCLE_1)
	s_and_b32 s0, exec_lo, s0
	s_or_b32 s5, s0, s5
	s_and_not1_b32 s0, s6, exec_lo
	s_and_b32 s6, s7, exec_lo
	s_and_not1_b32 s3, s3, exec_lo
	s_and_b32 s12, s11, exec_lo
	s_or_b32 s6, s0, s6
	s_or_b32 s3, s3, s12
	s_mov_b32 s12, s11
	s_and_not1_b32 exec_lo, exec_lo, s5
	s_cbranch_execz .LBB1238_400
.LBB1238_388:                           ; =>This Inner Loop Header: Depth=1
	flat_load_u16 v48, v[24:25]
	flat_load_u16 v49, v[22:23]
	s_or_b32 s11, s11, exec_lo
	s_mov_b32 s13, 0
	s_mov_b32 s14, exec_lo
	s_wait_loadcnt_dscnt 0x0
	v_cmpx_nlt_f16_e32 v48, v49
; %bb.389:                              ;   in Loop: Header=BB1238_388 Depth=1
	v_cmp_ngt_f16_e64 s0, v48, v49
	s_and_not1_b32 s11, s11, exec_lo
	s_and_b32 s12, s0, s12
	s_and_b32 s13, s0, exec_lo
	s_and_b32 s12, s12, exec_lo
	s_delay_alu instid0(SALU_CYCLE_1)
	s_or_b32 s11, s11, s12
; %bb.390:                              ;   in Loop: Header=BB1238_388 Depth=1
	s_or_b32 exec_lo, exec_lo, s14
	s_mov_b32 s0, -1
	s_or_b32 s7, s7, exec_lo
	s_and_saveexec_b32 s12, s13
	s_cbranch_execz .LBB1238_387
; %bb.391:                              ;   in Loop: Header=BB1238_388 Depth=1
	v_add_nc_u64_e32 v[30:31], -1, v[30:31]
	v_add_nc_u64_e32 v[22:23], 2, v[22:23]
	v_add_nc_u64_e32 v[24:25], 2, v[24:25]
	s_and_not1_b32 s7, s7, exec_lo
	s_delay_alu instid0(VALU_DEP_3)
	v_cmp_eq_u64_e64 s0, 0, v[30:31]
	s_or_not1_b32 s0, s0, exec_lo
	s_branch .LBB1238_387
.LBB1238_392:
	s_or_b32 exec_lo, exec_lo, s5
	s_and_saveexec_b32 s0, s6
	s_delay_alu instid0(SALU_CYCLE_1)
	s_xor_b32 s0, exec_lo, s0
; %bb.393:
	v_dual_cndmask_b32 v23, v13, v1, s3 :: v_dual_cndmask_b32 v22, v12, v0, s3
	v_dual_cndmask_b32 v1, v1, v13, s3 :: v_dual_cndmask_b32 v0, v0, v12, s3
	s_delay_alu instid0(VALU_DEP_2)
	v_mov_b64_e32 v[12:13], v[22:23]
; %bb.394:
	s_or_b32 exec_lo, exec_lo, s0
	v_mul_u64_e32 v[22:23], v[18:19], v[6:7]
	v_mul_u64_e32 v[24:25], v[20:21], v[6:7]
	v_mov_b64_e32 v[30:31], v[6:7]
	s_mov_b32 s5, 0
                                        ; implicit-def: $sgpr3
                                        ; implicit-def: $sgpr6
                                        ; implicit-def: $sgpr7
                                        ; implicit-def: $sgpr11
                                        ; implicit-def: $sgpr12
	s_delay_alu instid0(VALU_DEP_3) | instskip(NEXT) | instid1(VALU_DEP_3)
	v_lshl_add_u64 v[22:23], v[22:23], 1, v[8:9]
	v_lshl_add_u64 v[24:25], v[24:25], 1, v[8:9]
	s_branch .LBB1238_396
.LBB1238_395:                           ;   in Loop: Header=BB1238_396 Depth=1
	s_or_b32 exec_lo, exec_lo, s12
	s_delay_alu instid0(SALU_CYCLE_1) | instskip(NEXT) | instid1(SALU_CYCLE_1)
	s_and_b32 s0, exec_lo, s0
	s_or_b32 s5, s0, s5
	s_and_not1_b32 s0, s6, exec_lo
	s_and_b32 s6, s7, exec_lo
	s_and_not1_b32 s3, s3, exec_lo
	s_and_b32 s12, s11, exec_lo
	s_or_b32 s6, s0, s6
	s_or_b32 s3, s3, s12
	s_mov_b32 s12, s11
	s_and_not1_b32 exec_lo, exec_lo, s5
	s_cbranch_execz .LBB1238_410
.LBB1238_396:                           ; =>This Inner Loop Header: Depth=1
	flat_load_u16 v48, v[24:25]
	flat_load_u16 v49, v[22:23]
	s_or_b32 s11, s11, exec_lo
	s_mov_b32 s13, 0
	s_mov_b32 s14, exec_lo
	s_wait_loadcnt_dscnt 0x0
	v_cmpx_nlt_f16_e32 v48, v49
; %bb.397:                              ;   in Loop: Header=BB1238_396 Depth=1
	v_cmp_ngt_f16_e64 s0, v48, v49
	s_and_not1_b32 s11, s11, exec_lo
	s_and_b32 s12, s0, s12
	s_and_b32 s13, s0, exec_lo
	s_and_b32 s12, s12, exec_lo
	s_delay_alu instid0(SALU_CYCLE_1)
	s_or_b32 s11, s11, s12
; %bb.398:                              ;   in Loop: Header=BB1238_396 Depth=1
	s_or_b32 exec_lo, exec_lo, s14
	s_mov_b32 s0, -1
	s_or_b32 s7, s7, exec_lo
	s_and_saveexec_b32 s12, s13
	s_cbranch_execz .LBB1238_395
; %bb.399:                              ;   in Loop: Header=BB1238_396 Depth=1
	v_add_nc_u64_e32 v[30:31], -1, v[30:31]
	v_add_nc_u64_e32 v[22:23], 2, v[22:23]
	v_add_nc_u64_e32 v[24:25], 2, v[24:25]
	s_and_not1_b32 s7, s7, exec_lo
	s_delay_alu instid0(VALU_DEP_3)
	v_cmp_eq_u64_e64 s0, 0, v[30:31]
	s_or_not1_b32 s0, s0, exec_lo
	s_branch .LBB1238_395
.LBB1238_400:
	s_or_b32 exec_lo, exec_lo, s5
	s_and_saveexec_b32 s0, s6
	s_delay_alu instid0(SALU_CYCLE_1)
	s_xor_b32 s0, exec_lo, s0
; %bb.401:
	v_dual_cndmask_b32 v23, v17, v11, s3 :: v_dual_cndmask_b32 v22, v16, v10, s3
	v_dual_cndmask_b32 v11, v11, v17, s3 :: v_dual_cndmask_b32 v10, v10, v16, s3
	s_delay_alu instid0(VALU_DEP_2)
	v_mov_b64_e32 v[16:17], v[22:23]
; %bb.402:
	s_or_b32 exec_lo, exec_lo, s0
	s_delay_alu instid0(SALU_CYCLE_1)
	s_or_b32 exec_lo, exec_lo, s2
	s_and_saveexec_b32 s2, vcc_lo
	s_cbranch_execnz .LBB1238_378
.LBB1238_403:
	s_or_b32 exec_lo, exec_lo, s2
	s_and_saveexec_b32 s2, vcc_lo
	s_cbranch_execz .LBB1238_413
.LBB1238_404:
	v_mul_u64_e32 v[22:23], v[14:15], v[6:7]
	v_mul_u64_e32 v[24:25], v[16:17], v[6:7]
	v_mov_b64_e32 v[30:31], v[6:7]
	s_mov_b32 s5, 0
                                        ; implicit-def: $sgpr3
                                        ; implicit-def: $sgpr6
                                        ; implicit-def: $sgpr7
                                        ; implicit-def: $sgpr11
                                        ; implicit-def: $sgpr12
	s_delay_alu instid0(VALU_DEP_3) | instskip(NEXT) | instid1(VALU_DEP_3)
	v_lshl_add_u64 v[22:23], v[22:23], 1, v[8:9]
	v_lshl_add_u64 v[24:25], v[24:25], 1, v[8:9]
	s_branch .LBB1238_406
.LBB1238_405:                           ;   in Loop: Header=BB1238_406 Depth=1
	s_or_b32 exec_lo, exec_lo, s12
	s_delay_alu instid0(SALU_CYCLE_1) | instskip(NEXT) | instid1(SALU_CYCLE_1)
	s_and_b32 s0, exec_lo, s0
	s_or_b32 s5, s0, s5
	s_and_not1_b32 s0, s6, exec_lo
	s_and_b32 s6, s7, exec_lo
	s_and_not1_b32 s3, s3, exec_lo
	s_and_b32 s12, s11, exec_lo
	s_or_b32 s6, s0, s6
	s_or_b32 s3, s3, s12
	s_mov_b32 s12, s11
	s_and_not1_b32 exec_lo, exec_lo, s5
	s_cbranch_execz .LBB1238_420
.LBB1238_406:                           ; =>This Inner Loop Header: Depth=1
	flat_load_u16 v48, v[24:25]
	flat_load_u16 v49, v[22:23]
	s_or_b32 s11, s11, exec_lo
	s_mov_b32 s13, 0
	s_mov_b32 s14, exec_lo
	s_wait_loadcnt_dscnt 0x0
	v_cmpx_nlt_f16_e32 v48, v49
; %bb.407:                              ;   in Loop: Header=BB1238_406 Depth=1
	v_cmp_ngt_f16_e64 s0, v48, v49
	s_and_not1_b32 s11, s11, exec_lo
	s_and_b32 s12, s0, s12
	s_and_b32 s13, s0, exec_lo
	s_and_b32 s12, s12, exec_lo
	s_delay_alu instid0(SALU_CYCLE_1)
	s_or_b32 s11, s11, s12
; %bb.408:                              ;   in Loop: Header=BB1238_406 Depth=1
	s_or_b32 exec_lo, exec_lo, s14
	s_mov_b32 s0, -1
	s_or_b32 s7, s7, exec_lo
	s_and_saveexec_b32 s12, s13
	s_cbranch_execz .LBB1238_405
; %bb.409:                              ;   in Loop: Header=BB1238_406 Depth=1
	v_add_nc_u64_e32 v[30:31], -1, v[30:31]
	v_add_nc_u64_e32 v[22:23], 2, v[22:23]
	v_add_nc_u64_e32 v[24:25], 2, v[24:25]
	s_and_not1_b32 s7, s7, exec_lo
	s_delay_alu instid0(VALU_DEP_3)
	v_cmp_eq_u64_e64 s0, 0, v[30:31]
	s_or_not1_b32 s0, s0, exec_lo
	s_branch .LBB1238_405
.LBB1238_410:
	s_or_b32 exec_lo, exec_lo, s5
	s_and_saveexec_b32 s0, s6
	s_delay_alu instid0(SALU_CYCLE_1)
	s_xor_b32 s0, exec_lo, s0
; %bb.411:
	v_dual_cndmask_b32 v23, v21, v19, s3 :: v_dual_cndmask_b32 v22, v20, v18, s3
	v_dual_cndmask_b32 v19, v19, v21, s3 :: v_dual_cndmask_b32 v18, v18, v20, s3
	s_delay_alu instid0(VALU_DEP_2)
	v_mov_b64_e32 v[20:21], v[22:23]
; %bb.412:
	s_or_b32 exec_lo, exec_lo, s0
	s_delay_alu instid0(SALU_CYCLE_1)
	s_or_b32 exec_lo, exec_lo, s2
	s_and_saveexec_b32 s2, vcc_lo
	s_cbranch_execnz .LBB1238_404
.LBB1238_413:
	s_or_b32 exec_lo, exec_lo, s2
	s_and_saveexec_b32 s2, vcc_lo
	s_cbranch_execz .LBB1238_439
.LBB1238_414:
	v_mul_u64_e32 v[22:23], v[0:1], v[6:7]
	v_mul_u64_e32 v[24:25], v[2:3], v[6:7]
	v_mov_b64_e32 v[30:31], v[6:7]
	s_mov_b32 s5, 0
                                        ; implicit-def: $sgpr3
                                        ; implicit-def: $sgpr6
                                        ; implicit-def: $sgpr7
                                        ; implicit-def: $sgpr11
                                        ; implicit-def: $sgpr12
	s_delay_alu instid0(VALU_DEP_3) | instskip(NEXT) | instid1(VALU_DEP_3)
	v_lshl_add_u64 v[22:23], v[22:23], 1, v[8:9]
	v_lshl_add_u64 v[24:25], v[24:25], 1, v[8:9]
	s_branch .LBB1238_416
.LBB1238_415:                           ;   in Loop: Header=BB1238_416 Depth=1
	s_or_b32 exec_lo, exec_lo, s12
	s_delay_alu instid0(SALU_CYCLE_1) | instskip(NEXT) | instid1(SALU_CYCLE_1)
	s_and_b32 s0, exec_lo, s0
	s_or_b32 s5, s0, s5
	s_and_not1_b32 s0, s6, exec_lo
	s_and_b32 s6, s7, exec_lo
	s_and_not1_b32 s3, s3, exec_lo
	s_and_b32 s12, s11, exec_lo
	s_or_b32 s6, s0, s6
	s_or_b32 s3, s3, s12
	s_mov_b32 s12, s11
	s_and_not1_b32 exec_lo, exec_lo, s5
	s_cbranch_execz .LBB1238_428
.LBB1238_416:                           ; =>This Inner Loop Header: Depth=1
	flat_load_u16 v48, v[24:25]
	flat_load_u16 v49, v[22:23]
	s_or_b32 s11, s11, exec_lo
	s_mov_b32 s13, 0
	s_mov_b32 s14, exec_lo
	s_wait_loadcnt_dscnt 0x0
	v_cmpx_nlt_f16_e32 v48, v49
; %bb.417:                              ;   in Loop: Header=BB1238_416 Depth=1
	v_cmp_ngt_f16_e64 s0, v48, v49
	s_and_not1_b32 s11, s11, exec_lo
	s_and_b32 s12, s0, s12
	s_and_b32 s13, s0, exec_lo
	s_and_b32 s12, s12, exec_lo
	s_delay_alu instid0(SALU_CYCLE_1)
	s_or_b32 s11, s11, s12
; %bb.418:                              ;   in Loop: Header=BB1238_416 Depth=1
	s_or_b32 exec_lo, exec_lo, s14
	s_mov_b32 s0, -1
	s_or_b32 s7, s7, exec_lo
	s_and_saveexec_b32 s12, s13
	s_cbranch_execz .LBB1238_415
; %bb.419:                              ;   in Loop: Header=BB1238_416 Depth=1
	v_add_nc_u64_e32 v[30:31], -1, v[30:31]
	v_add_nc_u64_e32 v[22:23], 2, v[22:23]
	v_add_nc_u64_e32 v[24:25], 2, v[24:25]
	s_and_not1_b32 s7, s7, exec_lo
	s_delay_alu instid0(VALU_DEP_3)
	v_cmp_eq_u64_e64 s0, 0, v[30:31]
	s_or_not1_b32 s0, s0, exec_lo
	s_branch .LBB1238_415
.LBB1238_420:
	s_or_b32 exec_lo, exec_lo, s5
	s_and_saveexec_b32 s0, s6
	s_delay_alu instid0(SALU_CYCLE_1)
	s_xor_b32 s0, exec_lo, s0
; %bb.421:
	v_dual_cndmask_b32 v23, v15, v17, s3 :: v_dual_cndmask_b32 v22, v14, v16, s3
	v_dual_cndmask_b32 v17, v17, v15, s3 :: v_dual_cndmask_b32 v16, v16, v14, s3
	s_delay_alu instid0(VALU_DEP_2)
	v_mov_b64_e32 v[14:15], v[22:23]
; %bb.422:
	s_or_b32 exec_lo, exec_lo, s0
	v_mul_u64_e32 v[22:23], v[10:11], v[6:7]
	v_mul_u64_e32 v[24:25], v[12:13], v[6:7]
	v_mov_b64_e32 v[30:31], v[6:7]
	s_mov_b32 s5, 0
                                        ; implicit-def: $sgpr3
                                        ; implicit-def: $sgpr6
                                        ; implicit-def: $sgpr7
                                        ; implicit-def: $sgpr11
                                        ; implicit-def: $sgpr12
	s_delay_alu instid0(VALU_DEP_3) | instskip(NEXT) | instid1(VALU_DEP_3)
	v_lshl_add_u64 v[22:23], v[22:23], 1, v[8:9]
	v_lshl_add_u64 v[24:25], v[24:25], 1, v[8:9]
	s_branch .LBB1238_424
.LBB1238_423:                           ;   in Loop: Header=BB1238_424 Depth=1
	s_or_b32 exec_lo, exec_lo, s12
	s_delay_alu instid0(SALU_CYCLE_1) | instskip(NEXT) | instid1(SALU_CYCLE_1)
	s_and_b32 s0, exec_lo, s0
	s_or_b32 s5, s0, s5
	s_and_not1_b32 s0, s6, exec_lo
	s_and_b32 s6, s7, exec_lo
	s_and_not1_b32 s3, s3, exec_lo
	s_and_b32 s12, s11, exec_lo
	s_or_b32 s6, s0, s6
	s_or_b32 s3, s3, s12
	s_mov_b32 s12, s11
	s_and_not1_b32 exec_lo, exec_lo, s5
	s_cbranch_execz .LBB1238_436
.LBB1238_424:                           ; =>This Inner Loop Header: Depth=1
	flat_load_u16 v48, v[24:25]
	flat_load_u16 v49, v[22:23]
	s_or_b32 s11, s11, exec_lo
	s_mov_b32 s13, 0
	s_mov_b32 s14, exec_lo
	s_wait_loadcnt_dscnt 0x0
	v_cmpx_nlt_f16_e32 v48, v49
; %bb.425:                              ;   in Loop: Header=BB1238_424 Depth=1
	v_cmp_ngt_f16_e64 s0, v48, v49
	s_and_not1_b32 s11, s11, exec_lo
	s_and_b32 s12, s0, s12
	s_and_b32 s13, s0, exec_lo
	s_and_b32 s12, s12, exec_lo
	s_delay_alu instid0(SALU_CYCLE_1)
	s_or_b32 s11, s11, s12
; %bb.426:                              ;   in Loop: Header=BB1238_424 Depth=1
	s_or_b32 exec_lo, exec_lo, s14
	s_mov_b32 s0, -1
	s_or_b32 s7, s7, exec_lo
	s_and_saveexec_b32 s12, s13
	s_cbranch_execz .LBB1238_423
; %bb.427:                              ;   in Loop: Header=BB1238_424 Depth=1
	v_add_nc_u64_e32 v[30:31], -1, v[30:31]
	v_add_nc_u64_e32 v[22:23], 2, v[22:23]
	v_add_nc_u64_e32 v[24:25], 2, v[24:25]
	s_and_not1_b32 s7, s7, exec_lo
	s_delay_alu instid0(VALU_DEP_3)
	v_cmp_eq_u64_e64 s0, 0, v[30:31]
	s_or_not1_b32 s0, s0, exec_lo
	s_branch .LBB1238_423
.LBB1238_428:
	s_or_b32 exec_lo, exec_lo, s5
	s_and_saveexec_b32 s0, s6
	s_delay_alu instid0(SALU_CYCLE_1)
	s_xor_b32 s0, exec_lo, s0
; %bb.429:
	v_dual_cndmask_b32 v23, v1, v3, s3 :: v_dual_cndmask_b32 v22, v0, v2, s3
	v_dual_cndmask_b32 v3, v3, v1, s3 :: v_dual_cndmask_b32 v2, v2, v0, s3
	s_delay_alu instid0(VALU_DEP_2)
	v_mov_b64_e32 v[0:1], v[22:23]
; %bb.430:
	s_or_b32 exec_lo, exec_lo, s0
	v_mul_u64_e32 v[22:23], v[20:21], v[6:7]
	v_mul_u64_e32 v[24:25], v[14:15], v[6:7]
	v_mov_b64_e32 v[30:31], v[6:7]
	s_mov_b32 s5, 0
                                        ; implicit-def: $sgpr3
                                        ; implicit-def: $sgpr6
                                        ; implicit-def: $sgpr7
                                        ; implicit-def: $sgpr11
                                        ; implicit-def: $sgpr12
	s_delay_alu instid0(VALU_DEP_3) | instskip(NEXT) | instid1(VALU_DEP_3)
	v_lshl_add_u64 v[22:23], v[22:23], 1, v[8:9]
	v_lshl_add_u64 v[24:25], v[24:25], 1, v[8:9]
	s_branch .LBB1238_432
.LBB1238_431:                           ;   in Loop: Header=BB1238_432 Depth=1
	s_or_b32 exec_lo, exec_lo, s12
	s_delay_alu instid0(SALU_CYCLE_1) | instskip(NEXT) | instid1(SALU_CYCLE_1)
	s_and_b32 s0, exec_lo, s0
	s_or_b32 s5, s0, s5
	s_and_not1_b32 s0, s6, exec_lo
	s_and_b32 s6, s7, exec_lo
	s_and_not1_b32 s3, s3, exec_lo
	s_and_b32 s12, s11, exec_lo
	s_or_b32 s6, s0, s6
	s_or_b32 s3, s3, s12
	s_mov_b32 s12, s11
	s_and_not1_b32 exec_lo, exec_lo, s5
	s_cbranch_execz .LBB1238_446
.LBB1238_432:                           ; =>This Inner Loop Header: Depth=1
	flat_load_u16 v48, v[24:25]
	flat_load_u16 v49, v[22:23]
	s_or_b32 s11, s11, exec_lo
	s_mov_b32 s13, 0
	s_mov_b32 s14, exec_lo
	s_wait_loadcnt_dscnt 0x0
	v_cmpx_nlt_f16_e32 v48, v49
; %bb.433:                              ;   in Loop: Header=BB1238_432 Depth=1
	v_cmp_ngt_f16_e64 s0, v48, v49
	s_and_not1_b32 s11, s11, exec_lo
	s_and_b32 s12, s0, s12
	s_and_b32 s13, s0, exec_lo
	s_and_b32 s12, s12, exec_lo
	s_delay_alu instid0(SALU_CYCLE_1)
	s_or_b32 s11, s11, s12
; %bb.434:                              ;   in Loop: Header=BB1238_432 Depth=1
	s_or_b32 exec_lo, exec_lo, s14
	s_mov_b32 s0, -1
	s_or_b32 s7, s7, exec_lo
	s_and_saveexec_b32 s12, s13
	s_cbranch_execz .LBB1238_431
; %bb.435:                              ;   in Loop: Header=BB1238_432 Depth=1
	v_add_nc_u64_e32 v[30:31], -1, v[30:31]
	v_add_nc_u64_e32 v[22:23], 2, v[22:23]
	v_add_nc_u64_e32 v[24:25], 2, v[24:25]
	s_and_not1_b32 s7, s7, exec_lo
	s_delay_alu instid0(VALU_DEP_3)
	v_cmp_eq_u64_e64 s0, 0, v[30:31]
	s_or_not1_b32 s0, s0, exec_lo
	s_branch .LBB1238_431
.LBB1238_436:
	s_or_b32 exec_lo, exec_lo, s5
	s_and_saveexec_b32 s0, s6
	s_delay_alu instid0(SALU_CYCLE_1)
	s_xor_b32 s0, exec_lo, s0
; %bb.437:
	v_dual_cndmask_b32 v23, v11, v13, s3 :: v_dual_cndmask_b32 v22, v10, v12, s3
	v_dual_cndmask_b32 v13, v13, v11, s3 :: v_dual_cndmask_b32 v12, v12, v10, s3
	s_delay_alu instid0(VALU_DEP_2)
	v_mov_b64_e32 v[10:11], v[22:23]
; %bb.438:
	s_or_b32 exec_lo, exec_lo, s0
	s_delay_alu instid0(SALU_CYCLE_1)
	s_or_b32 exec_lo, exec_lo, s2
	s_and_saveexec_b32 s2, vcc_lo
	s_cbranch_execnz .LBB1238_414
.LBB1238_439:
	s_or_b32 exec_lo, exec_lo, s2
	s_and_saveexec_b32 s2, vcc_lo
	s_cbranch_execz .LBB1238_449
.LBB1238_440:
	v_mul_u64_e32 v[22:23], v[16:17], v[6:7]
	v_mul_u64_e32 v[24:25], v[10:11], v[6:7]
	v_mov_b64_e32 v[30:31], v[6:7]
	s_mov_b32 s5, 0
                                        ; implicit-def: $sgpr3
                                        ; implicit-def: $sgpr6
                                        ; implicit-def: $sgpr7
                                        ; implicit-def: $sgpr11
                                        ; implicit-def: $sgpr12
	s_delay_alu instid0(VALU_DEP_3) | instskip(NEXT) | instid1(VALU_DEP_3)
	v_lshl_add_u64 v[22:23], v[22:23], 1, v[8:9]
	v_lshl_add_u64 v[24:25], v[24:25], 1, v[8:9]
	s_branch .LBB1238_442
.LBB1238_441:                           ;   in Loop: Header=BB1238_442 Depth=1
	s_or_b32 exec_lo, exec_lo, s12
	s_delay_alu instid0(SALU_CYCLE_1) | instskip(NEXT) | instid1(SALU_CYCLE_1)
	s_and_b32 s0, exec_lo, s0
	s_or_b32 s5, s0, s5
	s_and_not1_b32 s0, s6, exec_lo
	s_and_b32 s6, s7, exec_lo
	s_and_not1_b32 s3, s3, exec_lo
	s_and_b32 s12, s11, exec_lo
	s_or_b32 s6, s0, s6
	s_or_b32 s3, s3, s12
	s_mov_b32 s12, s11
	s_and_not1_b32 exec_lo, exec_lo, s5
	s_cbranch_execz .LBB1238_456
.LBB1238_442:                           ; =>This Inner Loop Header: Depth=1
	flat_load_u16 v48, v[24:25]
	flat_load_u16 v49, v[22:23]
	s_or_b32 s11, s11, exec_lo
	s_mov_b32 s13, 0
	s_mov_b32 s14, exec_lo
	s_wait_loadcnt_dscnt 0x0
	v_cmpx_nlt_f16_e32 v48, v49
; %bb.443:                              ;   in Loop: Header=BB1238_442 Depth=1
	v_cmp_ngt_f16_e64 s0, v48, v49
	s_and_not1_b32 s11, s11, exec_lo
	s_and_b32 s12, s0, s12
	s_and_b32 s13, s0, exec_lo
	s_and_b32 s12, s12, exec_lo
	s_delay_alu instid0(SALU_CYCLE_1)
	s_or_b32 s11, s11, s12
; %bb.444:                              ;   in Loop: Header=BB1238_442 Depth=1
	s_or_b32 exec_lo, exec_lo, s14
	s_mov_b32 s0, -1
	s_or_b32 s7, s7, exec_lo
	s_and_saveexec_b32 s12, s13
	s_cbranch_execz .LBB1238_441
; %bb.445:                              ;   in Loop: Header=BB1238_442 Depth=1
	v_add_nc_u64_e32 v[30:31], -1, v[30:31]
	v_add_nc_u64_e32 v[22:23], 2, v[22:23]
	v_add_nc_u64_e32 v[24:25], 2, v[24:25]
	s_and_not1_b32 s7, s7, exec_lo
	s_delay_alu instid0(VALU_DEP_3)
	v_cmp_eq_u64_e64 s0, 0, v[30:31]
	s_or_not1_b32 s0, s0, exec_lo
	s_branch .LBB1238_441
.LBB1238_446:
	s_or_b32 exec_lo, exec_lo, s5
	s_and_saveexec_b32 s0, s6
	s_delay_alu instid0(SALU_CYCLE_1)
	s_xor_b32 s0, exec_lo, s0
; %bb.447:
	v_dual_cndmask_b32 v23, v21, v15, s3 :: v_dual_cndmask_b32 v22, v20, v14, s3
	v_dual_cndmask_b32 v15, v15, v21, s3 :: v_dual_cndmask_b32 v14, v14, v20, s3
	s_delay_alu instid0(VALU_DEP_2)
	v_mov_b64_e32 v[20:21], v[22:23]
; %bb.448:
	s_or_b32 exec_lo, exec_lo, s0
	s_delay_alu instid0(SALU_CYCLE_1)
	s_or_b32 exec_lo, exec_lo, s2
	s_and_saveexec_b32 s2, vcc_lo
	s_cbranch_execnz .LBB1238_440
.LBB1238_449:
	s_or_b32 exec_lo, exec_lo, s2
	s_and_saveexec_b32 s2, vcc_lo
	s_cbranch_execz .LBB1238_475
.LBB1238_450:
	v_mul_u64_e32 v[22:23], v[18:19], v[6:7]
	v_mul_u64_e32 v[24:25], v[20:21], v[6:7]
	v_mov_b64_e32 v[30:31], v[6:7]
	s_mov_b32 s5, 0
                                        ; implicit-def: $sgpr3
                                        ; implicit-def: $sgpr6
                                        ; implicit-def: $sgpr7
                                        ; implicit-def: $sgpr11
                                        ; implicit-def: $sgpr12
	s_delay_alu instid0(VALU_DEP_3) | instskip(NEXT) | instid1(VALU_DEP_3)
	v_lshl_add_u64 v[22:23], v[22:23], 1, v[8:9]
	v_lshl_add_u64 v[24:25], v[24:25], 1, v[8:9]
	s_branch .LBB1238_452
.LBB1238_451:                           ;   in Loop: Header=BB1238_452 Depth=1
	s_or_b32 exec_lo, exec_lo, s12
	s_delay_alu instid0(SALU_CYCLE_1) | instskip(NEXT) | instid1(SALU_CYCLE_1)
	s_and_b32 s0, exec_lo, s0
	s_or_b32 s5, s0, s5
	s_and_not1_b32 s0, s6, exec_lo
	s_and_b32 s6, s7, exec_lo
	s_and_not1_b32 s3, s3, exec_lo
	s_and_b32 s12, s11, exec_lo
	s_or_b32 s6, s0, s6
	s_or_b32 s3, s3, s12
	s_mov_b32 s12, s11
	s_and_not1_b32 exec_lo, exec_lo, s5
	s_cbranch_execz .LBB1238_464
.LBB1238_452:                           ; =>This Inner Loop Header: Depth=1
	flat_load_u16 v48, v[24:25]
	flat_load_u16 v49, v[22:23]
	s_or_b32 s11, s11, exec_lo
	s_mov_b32 s13, 0
	s_mov_b32 s14, exec_lo
	s_wait_loadcnt_dscnt 0x0
	v_cmpx_nlt_f16_e32 v48, v49
; %bb.453:                              ;   in Loop: Header=BB1238_452 Depth=1
	v_cmp_ngt_f16_e64 s0, v48, v49
	s_and_not1_b32 s11, s11, exec_lo
	s_and_b32 s12, s0, s12
	s_and_b32 s13, s0, exec_lo
	s_and_b32 s12, s12, exec_lo
	s_delay_alu instid0(SALU_CYCLE_1)
	s_or_b32 s11, s11, s12
; %bb.454:                              ;   in Loop: Header=BB1238_452 Depth=1
	s_or_b32 exec_lo, exec_lo, s14
	s_mov_b32 s0, -1
	s_or_b32 s7, s7, exec_lo
	s_and_saveexec_b32 s12, s13
	s_cbranch_execz .LBB1238_451
; %bb.455:                              ;   in Loop: Header=BB1238_452 Depth=1
	v_add_nc_u64_e32 v[30:31], -1, v[30:31]
	v_add_nc_u64_e32 v[22:23], 2, v[22:23]
	v_add_nc_u64_e32 v[24:25], 2, v[24:25]
	s_and_not1_b32 s7, s7, exec_lo
	s_delay_alu instid0(VALU_DEP_3)
	v_cmp_eq_u64_e64 s0, 0, v[30:31]
	s_or_not1_b32 s0, s0, exec_lo
	s_branch .LBB1238_451
.LBB1238_456:
	s_or_b32 exec_lo, exec_lo, s5
	s_and_saveexec_b32 s0, s6
	s_delay_alu instid0(SALU_CYCLE_1)
	s_xor_b32 s0, exec_lo, s0
; %bb.457:
	v_dual_cndmask_b32 v23, v17, v11, s3 :: v_dual_cndmask_b32 v22, v16, v10, s3
	v_dual_cndmask_b32 v11, v11, v17, s3 :: v_dual_cndmask_b32 v10, v10, v16, s3
	s_delay_alu instid0(VALU_DEP_2)
	v_mov_b64_e32 v[16:17], v[22:23]
; %bb.458:
	s_or_b32 exec_lo, exec_lo, s0
	v_mul_u64_e32 v[22:23], v[12:13], v[6:7]
	v_mul_u64_e32 v[24:25], v[0:1], v[6:7]
	v_mov_b64_e32 v[30:31], v[6:7]
	s_mov_b32 s5, 0
                                        ; implicit-def: $sgpr3
                                        ; implicit-def: $sgpr6
                                        ; implicit-def: $sgpr7
                                        ; implicit-def: $sgpr11
                                        ; implicit-def: $sgpr12
	s_delay_alu instid0(VALU_DEP_3) | instskip(NEXT) | instid1(VALU_DEP_3)
	v_lshl_add_u64 v[22:23], v[22:23], 1, v[8:9]
	v_lshl_add_u64 v[24:25], v[24:25], 1, v[8:9]
	s_branch .LBB1238_460
.LBB1238_459:                           ;   in Loop: Header=BB1238_460 Depth=1
	s_or_b32 exec_lo, exec_lo, s12
	s_delay_alu instid0(SALU_CYCLE_1) | instskip(NEXT) | instid1(SALU_CYCLE_1)
	s_and_b32 s0, exec_lo, s0
	s_or_b32 s5, s0, s5
	s_and_not1_b32 s0, s6, exec_lo
	s_and_b32 s6, s7, exec_lo
	s_and_not1_b32 s3, s3, exec_lo
	s_and_b32 s12, s11, exec_lo
	s_or_b32 s6, s0, s6
	s_or_b32 s3, s3, s12
	s_mov_b32 s12, s11
	s_and_not1_b32 exec_lo, exec_lo, s5
	s_cbranch_execz .LBB1238_472
.LBB1238_460:                           ; =>This Inner Loop Header: Depth=1
	flat_load_u16 v48, v[24:25]
	flat_load_u16 v49, v[22:23]
	s_or_b32 s11, s11, exec_lo
	s_mov_b32 s13, 0
	s_mov_b32 s14, exec_lo
	s_wait_loadcnt_dscnt 0x0
	v_cmpx_nlt_f16_e32 v48, v49
; %bb.461:                              ;   in Loop: Header=BB1238_460 Depth=1
	v_cmp_ngt_f16_e64 s0, v48, v49
	s_and_not1_b32 s11, s11, exec_lo
	s_and_b32 s12, s0, s12
	s_and_b32 s13, s0, exec_lo
	s_and_b32 s12, s12, exec_lo
	s_delay_alu instid0(SALU_CYCLE_1)
	s_or_b32 s11, s11, s12
; %bb.462:                              ;   in Loop: Header=BB1238_460 Depth=1
	s_or_b32 exec_lo, exec_lo, s14
	s_mov_b32 s0, -1
	s_or_b32 s7, s7, exec_lo
	s_and_saveexec_b32 s12, s13
	s_cbranch_execz .LBB1238_459
; %bb.463:                              ;   in Loop: Header=BB1238_460 Depth=1
	v_add_nc_u64_e32 v[30:31], -1, v[30:31]
	v_add_nc_u64_e32 v[22:23], 2, v[22:23]
	v_add_nc_u64_e32 v[24:25], 2, v[24:25]
	s_and_not1_b32 s7, s7, exec_lo
	s_delay_alu instid0(VALU_DEP_3)
	v_cmp_eq_u64_e64 s0, 0, v[30:31]
	s_or_not1_b32 s0, s0, exec_lo
	s_branch .LBB1238_459
.LBB1238_464:
	s_or_b32 exec_lo, exec_lo, s5
	s_and_saveexec_b32 s0, s6
	s_delay_alu instid0(SALU_CYCLE_1)
	s_xor_b32 s0, exec_lo, s0
; %bb.465:
	v_dual_cndmask_b32 v23, v21, v19, s3 :: v_dual_cndmask_b32 v22, v20, v18, s3
	v_dual_cndmask_b32 v19, v19, v21, s3 :: v_dual_cndmask_b32 v18, v18, v20, s3
	s_delay_alu instid0(VALU_DEP_2)
	v_mov_b64_e32 v[20:21], v[22:23]
; %bb.466:
	s_or_b32 exec_lo, exec_lo, s0
	v_mul_u64_e32 v[22:23], v[14:15], v[6:7]
	v_mul_u64_e32 v[24:25], v[16:17], v[6:7]
	v_mov_b64_e32 v[30:31], v[6:7]
	s_mov_b32 s5, 0
                                        ; implicit-def: $sgpr3
                                        ; implicit-def: $sgpr6
                                        ; implicit-def: $sgpr7
                                        ; implicit-def: $sgpr11
                                        ; implicit-def: $sgpr12
	s_delay_alu instid0(VALU_DEP_3) | instskip(NEXT) | instid1(VALU_DEP_3)
	v_lshl_add_u64 v[22:23], v[22:23], 1, v[8:9]
	v_lshl_add_u64 v[24:25], v[24:25], 1, v[8:9]
	s_branch .LBB1238_468
.LBB1238_467:                           ;   in Loop: Header=BB1238_468 Depth=1
	s_or_b32 exec_lo, exec_lo, s12
	s_delay_alu instid0(SALU_CYCLE_1) | instskip(NEXT) | instid1(SALU_CYCLE_1)
	s_and_b32 s0, exec_lo, s0
	s_or_b32 s5, s0, s5
	s_and_not1_b32 s0, s6, exec_lo
	s_and_b32 s6, s7, exec_lo
	s_and_not1_b32 s3, s3, exec_lo
	s_and_b32 s12, s11, exec_lo
	s_or_b32 s6, s0, s6
	s_or_b32 s3, s3, s12
	s_mov_b32 s12, s11
	s_and_not1_b32 exec_lo, exec_lo, s5
	s_cbranch_execz .LBB1238_482
.LBB1238_468:                           ; =>This Inner Loop Header: Depth=1
	flat_load_u16 v48, v[24:25]
	flat_load_u16 v49, v[22:23]
	s_or_b32 s11, s11, exec_lo
	s_mov_b32 s13, 0
	s_mov_b32 s14, exec_lo
	s_wait_loadcnt_dscnt 0x0
	v_cmpx_nlt_f16_e32 v48, v49
; %bb.469:                              ;   in Loop: Header=BB1238_468 Depth=1
	v_cmp_ngt_f16_e64 s0, v48, v49
	s_and_not1_b32 s11, s11, exec_lo
	s_and_b32 s12, s0, s12
	s_and_b32 s13, s0, exec_lo
	s_and_b32 s12, s12, exec_lo
	s_delay_alu instid0(SALU_CYCLE_1)
	s_or_b32 s11, s11, s12
; %bb.470:                              ;   in Loop: Header=BB1238_468 Depth=1
	s_or_b32 exec_lo, exec_lo, s14
	s_mov_b32 s0, -1
	s_or_b32 s7, s7, exec_lo
	s_and_saveexec_b32 s12, s13
	s_cbranch_execz .LBB1238_467
; %bb.471:                              ;   in Loop: Header=BB1238_468 Depth=1
	v_add_nc_u64_e32 v[30:31], -1, v[30:31]
	v_add_nc_u64_e32 v[22:23], 2, v[22:23]
	v_add_nc_u64_e32 v[24:25], 2, v[24:25]
	s_and_not1_b32 s7, s7, exec_lo
	s_delay_alu instid0(VALU_DEP_3)
	v_cmp_eq_u64_e64 s0, 0, v[30:31]
	s_or_not1_b32 s0, s0, exec_lo
	s_branch .LBB1238_467
.LBB1238_472:
	s_or_b32 exec_lo, exec_lo, s5
	s_and_saveexec_b32 s0, s6
	s_delay_alu instid0(SALU_CYCLE_1)
	s_xor_b32 s0, exec_lo, s0
; %bb.473:
	v_dual_cndmask_b32 v23, v13, v1, s3 :: v_dual_cndmask_b32 v22, v12, v0, s3
	v_dual_cndmask_b32 v1, v1, v13, s3 :: v_dual_cndmask_b32 v0, v0, v12, s3
	s_delay_alu instid0(VALU_DEP_2)
	v_mov_b64_e32 v[12:13], v[22:23]
; %bb.474:
	s_or_b32 exec_lo, exec_lo, s0
	s_delay_alu instid0(SALU_CYCLE_1)
	s_or_b32 exec_lo, exec_lo, s2
	s_and_saveexec_b32 s2, vcc_lo
	s_cbranch_execnz .LBB1238_450
.LBB1238_475:
	s_or_b32 exec_lo, exec_lo, s2
	s_and_saveexec_b32 s2, vcc_lo
	s_cbranch_execz .LBB1238_485
.LBB1238_476:
	v_mul_u64_e32 v[22:23], v[10:11], v[6:7]
	v_mul_u64_e32 v[24:25], v[12:13], v[6:7]
	v_mov_b64_e32 v[30:31], v[6:7]
	s_mov_b32 s5, 0
                                        ; implicit-def: $sgpr3
                                        ; implicit-def: $sgpr6
                                        ; implicit-def: $sgpr7
                                        ; implicit-def: $sgpr11
                                        ; implicit-def: $sgpr12
	s_delay_alu instid0(VALU_DEP_3) | instskip(NEXT) | instid1(VALU_DEP_3)
	v_lshl_add_u64 v[22:23], v[22:23], 1, v[8:9]
	v_lshl_add_u64 v[24:25], v[24:25], 1, v[8:9]
	s_branch .LBB1238_478
.LBB1238_477:                           ;   in Loop: Header=BB1238_478 Depth=1
	s_or_b32 exec_lo, exec_lo, s12
	s_delay_alu instid0(SALU_CYCLE_1) | instskip(NEXT) | instid1(SALU_CYCLE_1)
	s_and_b32 s0, exec_lo, s0
	s_or_b32 s5, s0, s5
	s_and_not1_b32 s0, s6, exec_lo
	s_and_b32 s6, s7, exec_lo
	s_and_not1_b32 s3, s3, exec_lo
	s_and_b32 s12, s11, exec_lo
	s_or_b32 s6, s0, s6
	s_or_b32 s3, s3, s12
	s_mov_b32 s12, s11
	s_and_not1_b32 exec_lo, exec_lo, s5
	s_cbranch_execz .LBB1238_492
.LBB1238_478:                           ; =>This Inner Loop Header: Depth=1
	flat_load_u16 v48, v[24:25]
	flat_load_u16 v49, v[22:23]
	s_or_b32 s11, s11, exec_lo
	s_mov_b32 s13, 0
	s_mov_b32 s14, exec_lo
	s_wait_loadcnt_dscnt 0x0
	v_cmpx_nlt_f16_e32 v48, v49
; %bb.479:                              ;   in Loop: Header=BB1238_478 Depth=1
	v_cmp_ngt_f16_e64 s0, v48, v49
	s_and_not1_b32 s11, s11, exec_lo
	s_and_b32 s12, s0, s12
	s_and_b32 s13, s0, exec_lo
	s_and_b32 s12, s12, exec_lo
	s_delay_alu instid0(SALU_CYCLE_1)
	s_or_b32 s11, s11, s12
; %bb.480:                              ;   in Loop: Header=BB1238_478 Depth=1
	s_or_b32 exec_lo, exec_lo, s14
	s_mov_b32 s0, -1
	s_or_b32 s7, s7, exec_lo
	s_and_saveexec_b32 s12, s13
	s_cbranch_execz .LBB1238_477
; %bb.481:                              ;   in Loop: Header=BB1238_478 Depth=1
	v_add_nc_u64_e32 v[30:31], -1, v[30:31]
	v_add_nc_u64_e32 v[22:23], 2, v[22:23]
	v_add_nc_u64_e32 v[24:25], 2, v[24:25]
	s_and_not1_b32 s7, s7, exec_lo
	s_delay_alu instid0(VALU_DEP_3)
	v_cmp_eq_u64_e64 s0, 0, v[30:31]
	s_or_not1_b32 s0, s0, exec_lo
	s_branch .LBB1238_477
.LBB1238_482:
	s_or_b32 exec_lo, exec_lo, s5
	s_and_saveexec_b32 s0, s6
	s_delay_alu instid0(SALU_CYCLE_1)
	s_xor_b32 s0, exec_lo, s0
; %bb.483:
	v_dual_cndmask_b32 v23, v15, v17, s3 :: v_dual_cndmask_b32 v22, v14, v16, s3
	v_dual_cndmask_b32 v17, v17, v15, s3 :: v_dual_cndmask_b32 v16, v16, v14, s3
	s_delay_alu instid0(VALU_DEP_2)
	v_mov_b64_e32 v[14:15], v[22:23]
; %bb.484:
	s_or_b32 exec_lo, exec_lo, s0
	s_delay_alu instid0(SALU_CYCLE_1)
	s_or_b32 exec_lo, exec_lo, s2
	s_and_saveexec_b32 s2, vcc_lo
	s_cbranch_execnz .LBB1238_476
.LBB1238_485:
	s_or_b32 exec_lo, exec_lo, s2
	s_and_saveexec_b32 s2, vcc_lo
	s_cbranch_execz .LBB1238_511
.LBB1238_486:
	v_mul_u64_e32 v[22:23], v[20:21], v[6:7]
	v_mul_u64_e32 v[24:25], v[14:15], v[6:7]
	v_mov_b64_e32 v[30:31], v[6:7]
	s_mov_b32 s5, 0
                                        ; implicit-def: $sgpr3
                                        ; implicit-def: $sgpr6
                                        ; implicit-def: $sgpr7
                                        ; implicit-def: $sgpr11
                                        ; implicit-def: $sgpr12
	s_delay_alu instid0(VALU_DEP_3) | instskip(NEXT) | instid1(VALU_DEP_3)
	v_lshl_add_u64 v[22:23], v[22:23], 1, v[8:9]
	v_lshl_add_u64 v[24:25], v[24:25], 1, v[8:9]
	s_branch .LBB1238_488
.LBB1238_487:                           ;   in Loop: Header=BB1238_488 Depth=1
	s_or_b32 exec_lo, exec_lo, s12
	s_delay_alu instid0(SALU_CYCLE_1) | instskip(NEXT) | instid1(SALU_CYCLE_1)
	s_and_b32 s0, exec_lo, s0
	s_or_b32 s5, s0, s5
	s_and_not1_b32 s0, s6, exec_lo
	s_and_b32 s6, s7, exec_lo
	s_and_not1_b32 s3, s3, exec_lo
	s_and_b32 s12, s11, exec_lo
	s_or_b32 s6, s0, s6
	s_or_b32 s3, s3, s12
	s_mov_b32 s12, s11
	s_and_not1_b32 exec_lo, exec_lo, s5
	s_cbranch_execz .LBB1238_500
.LBB1238_488:                           ; =>This Inner Loop Header: Depth=1
	flat_load_u16 v48, v[24:25]
	flat_load_u16 v49, v[22:23]
	s_or_b32 s11, s11, exec_lo
	s_mov_b32 s13, 0
	s_mov_b32 s14, exec_lo
	s_wait_loadcnt_dscnt 0x0
	v_cmpx_nlt_f16_e32 v48, v49
; %bb.489:                              ;   in Loop: Header=BB1238_488 Depth=1
	v_cmp_ngt_f16_e64 s0, v48, v49
	s_and_not1_b32 s11, s11, exec_lo
	s_and_b32 s12, s0, s12
	s_and_b32 s13, s0, exec_lo
	s_and_b32 s12, s12, exec_lo
	s_delay_alu instid0(SALU_CYCLE_1)
	s_or_b32 s11, s11, s12
; %bb.490:                              ;   in Loop: Header=BB1238_488 Depth=1
	s_or_b32 exec_lo, exec_lo, s14
	s_mov_b32 s0, -1
	s_or_b32 s7, s7, exec_lo
	s_and_saveexec_b32 s12, s13
	s_cbranch_execz .LBB1238_487
; %bb.491:                              ;   in Loop: Header=BB1238_488 Depth=1
	v_add_nc_u64_e32 v[30:31], -1, v[30:31]
	v_add_nc_u64_e32 v[22:23], 2, v[22:23]
	v_add_nc_u64_e32 v[24:25], 2, v[24:25]
	s_and_not1_b32 s7, s7, exec_lo
	s_delay_alu instid0(VALU_DEP_3)
	v_cmp_eq_u64_e64 s0, 0, v[30:31]
	s_or_not1_b32 s0, s0, exec_lo
	s_branch .LBB1238_487
.LBB1238_492:
	s_or_b32 exec_lo, exec_lo, s5
	s_and_saveexec_b32 s0, s6
	s_delay_alu instid0(SALU_CYCLE_1)
	s_xor_b32 s0, exec_lo, s0
; %bb.493:
	v_dual_cndmask_b32 v23, v11, v13, s3 :: v_dual_cndmask_b32 v22, v10, v12, s3
	v_dual_cndmask_b32 v13, v13, v11, s3 :: v_dual_cndmask_b32 v12, v12, v10, s3
	s_delay_alu instid0(VALU_DEP_2)
	v_mov_b64_e32 v[10:11], v[22:23]
; %bb.494:
	s_or_b32 exec_lo, exec_lo, s0
	v_mul_u64_e32 v[22:23], v[0:1], v[6:7]
	v_mul_u64_e32 v[24:25], v[2:3], v[6:7]
	v_mov_b64_e32 v[30:31], v[6:7]
	s_mov_b32 s5, 0
                                        ; implicit-def: $sgpr3
                                        ; implicit-def: $sgpr6
                                        ; implicit-def: $sgpr7
                                        ; implicit-def: $sgpr11
                                        ; implicit-def: $sgpr12
	s_delay_alu instid0(VALU_DEP_3) | instskip(NEXT) | instid1(VALU_DEP_3)
	v_lshl_add_u64 v[22:23], v[22:23], 1, v[8:9]
	v_lshl_add_u64 v[24:25], v[24:25], 1, v[8:9]
	s_branch .LBB1238_496
.LBB1238_495:                           ;   in Loop: Header=BB1238_496 Depth=1
	s_or_b32 exec_lo, exec_lo, s12
	s_delay_alu instid0(SALU_CYCLE_1) | instskip(NEXT) | instid1(SALU_CYCLE_1)
	s_and_b32 s0, exec_lo, s0
	s_or_b32 s5, s0, s5
	s_and_not1_b32 s0, s6, exec_lo
	s_and_b32 s6, s7, exec_lo
	s_and_not1_b32 s3, s3, exec_lo
	s_and_b32 s12, s11, exec_lo
	s_or_b32 s6, s0, s6
	s_or_b32 s3, s3, s12
	s_mov_b32 s12, s11
	s_and_not1_b32 exec_lo, exec_lo, s5
	s_cbranch_execz .LBB1238_508
.LBB1238_496:                           ; =>This Inner Loop Header: Depth=1
	flat_load_u16 v48, v[24:25]
	flat_load_u16 v49, v[22:23]
	s_or_b32 s11, s11, exec_lo
	s_mov_b32 s13, 0
	s_mov_b32 s14, exec_lo
	s_wait_loadcnt_dscnt 0x0
	v_cmpx_nlt_f16_e32 v48, v49
; %bb.497:                              ;   in Loop: Header=BB1238_496 Depth=1
	v_cmp_ngt_f16_e64 s0, v48, v49
	s_and_not1_b32 s11, s11, exec_lo
	s_and_b32 s12, s0, s12
	s_and_b32 s13, s0, exec_lo
	s_and_b32 s12, s12, exec_lo
	s_delay_alu instid0(SALU_CYCLE_1)
	s_or_b32 s11, s11, s12
; %bb.498:                              ;   in Loop: Header=BB1238_496 Depth=1
	s_or_b32 exec_lo, exec_lo, s14
	s_mov_b32 s0, -1
	s_or_b32 s7, s7, exec_lo
	s_and_saveexec_b32 s12, s13
	s_cbranch_execz .LBB1238_495
; %bb.499:                              ;   in Loop: Header=BB1238_496 Depth=1
	v_add_nc_u64_e32 v[30:31], -1, v[30:31]
	v_add_nc_u64_e32 v[22:23], 2, v[22:23]
	v_add_nc_u64_e32 v[24:25], 2, v[24:25]
	s_and_not1_b32 s7, s7, exec_lo
	s_delay_alu instid0(VALU_DEP_3)
	v_cmp_eq_u64_e64 s0, 0, v[30:31]
	s_or_not1_b32 s0, s0, exec_lo
	s_branch .LBB1238_495
.LBB1238_500:
	s_or_b32 exec_lo, exec_lo, s5
	s_and_saveexec_b32 s0, s6
	s_delay_alu instid0(SALU_CYCLE_1)
	s_xor_b32 s0, exec_lo, s0
; %bb.501:
	v_dual_cndmask_b32 v23, v21, v15, s3 :: v_dual_cndmask_b32 v22, v20, v14, s3
	v_dual_cndmask_b32 v15, v15, v21, s3 :: v_dual_cndmask_b32 v14, v14, v20, s3
	s_delay_alu instid0(VALU_DEP_2)
	v_mov_b64_e32 v[20:21], v[22:23]
; %bb.502:
	s_or_b32 exec_lo, exec_lo, s0
	v_mul_u64_e32 v[22:23], v[16:17], v[6:7]
	v_mul_u64_e32 v[24:25], v[10:11], v[6:7]
	v_mov_b64_e32 v[30:31], v[6:7]
	s_mov_b32 s5, 0
                                        ; implicit-def: $sgpr3
                                        ; implicit-def: $sgpr6
                                        ; implicit-def: $sgpr7
                                        ; implicit-def: $sgpr11
                                        ; implicit-def: $sgpr12
	s_delay_alu instid0(VALU_DEP_3) | instskip(NEXT) | instid1(VALU_DEP_3)
	v_lshl_add_u64 v[22:23], v[22:23], 1, v[8:9]
	v_lshl_add_u64 v[24:25], v[24:25], 1, v[8:9]
	s_branch .LBB1238_504
.LBB1238_503:                           ;   in Loop: Header=BB1238_504 Depth=1
	s_or_b32 exec_lo, exec_lo, s12
	s_delay_alu instid0(SALU_CYCLE_1) | instskip(NEXT) | instid1(SALU_CYCLE_1)
	s_and_b32 s0, exec_lo, s0
	s_or_b32 s5, s0, s5
	s_and_not1_b32 s0, s6, exec_lo
	s_and_b32 s6, s7, exec_lo
	s_and_not1_b32 s3, s3, exec_lo
	s_and_b32 s12, s11, exec_lo
	s_or_b32 s6, s0, s6
	s_or_b32 s3, s3, s12
	s_mov_b32 s12, s11
	s_and_not1_b32 exec_lo, exec_lo, s5
	s_cbranch_execz .LBB1238_512
.LBB1238_504:                           ; =>This Inner Loop Header: Depth=1
	flat_load_u16 v48, v[24:25]
	flat_load_u16 v49, v[22:23]
	s_or_b32 s11, s11, exec_lo
	s_mov_b32 s13, 0
	s_mov_b32 s14, exec_lo
	s_wait_loadcnt_dscnt 0x0
	v_cmpx_nlt_f16_e32 v48, v49
; %bb.505:                              ;   in Loop: Header=BB1238_504 Depth=1
	v_cmp_ngt_f16_e64 s0, v48, v49
	s_and_not1_b32 s11, s11, exec_lo
	s_and_b32 s12, s0, s12
	s_and_b32 s13, s0, exec_lo
	s_and_b32 s12, s12, exec_lo
	s_delay_alu instid0(SALU_CYCLE_1)
	s_or_b32 s11, s11, s12
; %bb.506:                              ;   in Loop: Header=BB1238_504 Depth=1
	s_or_b32 exec_lo, exec_lo, s14
	s_mov_b32 s0, -1
	s_or_b32 s7, s7, exec_lo
	s_and_saveexec_b32 s12, s13
	s_cbranch_execz .LBB1238_503
; %bb.507:                              ;   in Loop: Header=BB1238_504 Depth=1
	v_add_nc_u64_e32 v[30:31], -1, v[30:31]
	v_add_nc_u64_e32 v[22:23], 2, v[22:23]
	v_add_nc_u64_e32 v[24:25], 2, v[24:25]
	s_and_not1_b32 s7, s7, exec_lo
	s_delay_alu instid0(VALU_DEP_3)
	v_cmp_eq_u64_e64 s0, 0, v[30:31]
	s_or_not1_b32 s0, s0, exec_lo
	s_branch .LBB1238_503
.LBB1238_508:
	s_or_b32 exec_lo, exec_lo, s5
	s_and_saveexec_b32 s0, s6
	s_delay_alu instid0(SALU_CYCLE_1)
	s_xor_b32 s0, exec_lo, s0
; %bb.509:
	v_dual_cndmask_b32 v23, v1, v3, s3 :: v_dual_cndmask_b32 v22, v0, v2, s3
	v_dual_cndmask_b32 v3, v3, v1, s3 :: v_dual_cndmask_b32 v2, v2, v0, s3
	s_delay_alu instid0(VALU_DEP_2)
	v_mov_b64_e32 v[0:1], v[22:23]
; %bb.510:
	s_or_b32 exec_lo, exec_lo, s0
	s_delay_alu instid0(SALU_CYCLE_1)
	s_or_b32 exec_lo, exec_lo, s2
	s_and_saveexec_b32 s2, vcc_lo
	s_cbranch_execnz .LBB1238_486
.LBB1238_511:
	s_or_b32 exec_lo, exec_lo, s2
	s_and_saveexec_b32 s2, vcc_lo
	s_cbranch_execnz .LBB1238_515
	s_branch .LBB1238_580
.LBB1238_512:
	s_or_b32 exec_lo, exec_lo, s5
	s_and_saveexec_b32 s0, s6
	s_delay_alu instid0(SALU_CYCLE_1)
	s_xor_b32 s0, exec_lo, s0
; %bb.513:
	v_dual_cndmask_b32 v23, v17, v11, s3 :: v_dual_cndmask_b32 v22, v16, v10, s3
	v_dual_cndmask_b32 v11, v11, v17, s3 :: v_dual_cndmask_b32 v10, v10, v16, s3
	s_delay_alu instid0(VALU_DEP_2)
	v_mov_b64_e32 v[16:17], v[22:23]
; %bb.514:
	s_or_b32 exec_lo, exec_lo, s0
	s_delay_alu instid0(SALU_CYCLE_1)
	s_or_b32 exec_lo, exec_lo, s2
	s_and_saveexec_b32 s2, vcc_lo
	s_cbranch_execz .LBB1238_580
.LBB1238_515:
	v_mul_u64_e32 v[22:23], v[12:13], v[6:7]
	v_mul_u64_e32 v[24:25], v[0:1], v[6:7]
	v_mov_b64_e32 v[30:31], v[6:7]
	s_mov_b32 s5, 0
                                        ; implicit-def: $sgpr3
                                        ; implicit-def: $sgpr6
                                        ; implicit-def: $sgpr7
                                        ; implicit-def: $sgpr11
                                        ; implicit-def: $sgpr12
	s_delay_alu instid0(VALU_DEP_3) | instskip(NEXT) | instid1(VALU_DEP_3)
	v_lshl_add_u64 v[22:23], v[22:23], 1, v[8:9]
	v_lshl_add_u64 v[24:25], v[24:25], 1, v[8:9]
	s_branch .LBB1238_517
.LBB1238_516:                           ;   in Loop: Header=BB1238_517 Depth=1
	s_or_b32 exec_lo, exec_lo, s12
	s_delay_alu instid0(SALU_CYCLE_1) | instskip(NEXT) | instid1(SALU_CYCLE_1)
	s_and_b32 s0, exec_lo, s0
	s_or_b32 s5, s0, s5
	s_and_not1_b32 s0, s6, exec_lo
	s_and_b32 s6, s7, exec_lo
	s_and_not1_b32 s3, s3, exec_lo
	s_and_b32 s12, s11, exec_lo
	s_or_b32 s6, s0, s6
	s_or_b32 s3, s3, s12
	s_mov_b32 s12, s11
	s_and_not1_b32 exec_lo, exec_lo, s5
	s_cbranch_execz .LBB1238_521
.LBB1238_517:                           ; =>This Inner Loop Header: Depth=1
	flat_load_u16 v48, v[24:25]
	flat_load_u16 v49, v[22:23]
	s_or_b32 s11, s11, exec_lo
	s_mov_b32 s13, 0
	s_mov_b32 s14, exec_lo
	s_wait_loadcnt_dscnt 0x0
	v_cmpx_nlt_f16_e32 v48, v49
; %bb.518:                              ;   in Loop: Header=BB1238_517 Depth=1
	v_cmp_ngt_f16_e64 s0, v48, v49
	s_and_not1_b32 s11, s11, exec_lo
	s_and_b32 s12, s0, s12
	s_and_b32 s13, s0, exec_lo
	s_and_b32 s12, s12, exec_lo
	s_delay_alu instid0(SALU_CYCLE_1)
	s_or_b32 s11, s11, s12
; %bb.519:                              ;   in Loop: Header=BB1238_517 Depth=1
	s_or_b32 exec_lo, exec_lo, s14
	s_mov_b32 s0, -1
	s_or_b32 s7, s7, exec_lo
	s_and_saveexec_b32 s12, s13
	s_cbranch_execz .LBB1238_516
; %bb.520:                              ;   in Loop: Header=BB1238_517 Depth=1
	v_add_nc_u64_e32 v[30:31], -1, v[30:31]
	v_add_nc_u64_e32 v[22:23], 2, v[22:23]
	v_add_nc_u64_e32 v[24:25], 2, v[24:25]
	s_and_not1_b32 s7, s7, exec_lo
	s_delay_alu instid0(VALU_DEP_3)
	v_cmp_eq_u64_e64 s0, 0, v[30:31]
	s_or_not1_b32 s0, s0, exec_lo
	s_branch .LBB1238_516
.LBB1238_521:
	s_or_b32 exec_lo, exec_lo, s5
	s_and_saveexec_b32 s0, s6
	s_delay_alu instid0(SALU_CYCLE_1)
	s_xor_b32 s0, exec_lo, s0
; %bb.522:
	v_dual_cndmask_b32 v23, v13, v1, s3 :: v_dual_cndmask_b32 v22, v12, v0, s3
	v_dual_cndmask_b32 v1, v1, v13, s3 :: v_dual_cndmask_b32 v0, v0, v12, s3
	s_delay_alu instid0(VALU_DEP_2)
	v_mov_b64_e32 v[12:13], v[22:23]
; %bb.523:
	s_or_b32 exec_lo, exec_lo, s0
	v_mul_u64_e32 v[22:23], v[18:19], v[6:7]
	v_mul_u64_e32 v[24:25], v[20:21], v[6:7]
	v_mov_b64_e32 v[30:31], v[6:7]
	s_mov_b32 s5, 0
                                        ; implicit-def: $sgpr3
                                        ; implicit-def: $sgpr6
                                        ; implicit-def: $sgpr7
                                        ; implicit-def: $sgpr11
                                        ; implicit-def: $sgpr12
	s_delay_alu instid0(VALU_DEP_3) | instskip(NEXT) | instid1(VALU_DEP_3)
	v_lshl_add_u64 v[22:23], v[22:23], 1, v[8:9]
	v_lshl_add_u64 v[24:25], v[24:25], 1, v[8:9]
	s_branch .LBB1238_525
.LBB1238_524:                           ;   in Loop: Header=BB1238_525 Depth=1
	s_or_b32 exec_lo, exec_lo, s12
	s_delay_alu instid0(SALU_CYCLE_1) | instskip(NEXT) | instid1(SALU_CYCLE_1)
	s_and_b32 s0, exec_lo, s0
	s_or_b32 s5, s0, s5
	s_and_not1_b32 s0, s6, exec_lo
	s_and_b32 s6, s7, exec_lo
	s_and_not1_b32 s3, s3, exec_lo
	s_and_b32 s12, s11, exec_lo
	s_or_b32 s6, s0, s6
	s_or_b32 s3, s3, s12
	s_mov_b32 s12, s11
	s_and_not1_b32 exec_lo, exec_lo, s5
	s_cbranch_execz .LBB1238_529
.LBB1238_525:                           ; =>This Inner Loop Header: Depth=1
	flat_load_u16 v48, v[24:25]
	flat_load_u16 v49, v[22:23]
	s_or_b32 s11, s11, exec_lo
	s_mov_b32 s13, 0
	s_mov_b32 s14, exec_lo
	s_wait_loadcnt_dscnt 0x0
	v_cmpx_nlt_f16_e32 v48, v49
; %bb.526:                              ;   in Loop: Header=BB1238_525 Depth=1
	v_cmp_ngt_f16_e64 s0, v48, v49
	s_and_not1_b32 s11, s11, exec_lo
	s_and_b32 s12, s0, s12
	s_and_b32 s13, s0, exec_lo
	s_and_b32 s12, s12, exec_lo
	s_delay_alu instid0(SALU_CYCLE_1)
	s_or_b32 s11, s11, s12
; %bb.527:                              ;   in Loop: Header=BB1238_525 Depth=1
	s_or_b32 exec_lo, exec_lo, s14
	s_mov_b32 s0, -1
	s_or_b32 s7, s7, exec_lo
	s_and_saveexec_b32 s12, s13
	s_cbranch_execz .LBB1238_524
; %bb.528:                              ;   in Loop: Header=BB1238_525 Depth=1
	v_add_nc_u64_e32 v[30:31], -1, v[30:31]
	v_add_nc_u64_e32 v[22:23], 2, v[22:23]
	v_add_nc_u64_e32 v[24:25], 2, v[24:25]
	s_and_not1_b32 s7, s7, exec_lo
	s_delay_alu instid0(VALU_DEP_3)
	v_cmp_eq_u64_e64 s0, 0, v[30:31]
	s_or_not1_b32 s0, s0, exec_lo
	s_branch .LBB1238_524
.LBB1238_529:
	s_or_b32 exec_lo, exec_lo, s5
	s_and_saveexec_b32 s0, s6
	s_delay_alu instid0(SALU_CYCLE_1)
	s_xor_b32 s0, exec_lo, s0
; %bb.530:
	v_dual_cndmask_b32 v23, v21, v19, s3 :: v_dual_cndmask_b32 v22, v20, v18, s3
	v_dual_cndmask_b32 v19, v19, v21, s3 :: v_dual_cndmask_b32 v18, v18, v20, s3
	s_delay_alu instid0(VALU_DEP_2)
	v_mov_b64_e32 v[20:21], v[22:23]
; %bb.531:
	s_or_b32 exec_lo, exec_lo, s0
	v_mul_u64_e32 v[22:23], v[14:15], v[6:7]
	v_mul_u64_e32 v[24:25], v[16:17], v[6:7]
	v_mov_b64_e32 v[30:31], v[6:7]
	s_mov_b32 s5, 0
                                        ; implicit-def: $sgpr3
                                        ; implicit-def: $sgpr6
                                        ; implicit-def: $sgpr7
                                        ; implicit-def: $sgpr11
                                        ; implicit-def: $sgpr12
	s_delay_alu instid0(VALU_DEP_3) | instskip(NEXT) | instid1(VALU_DEP_3)
	v_lshl_add_u64 v[22:23], v[22:23], 1, v[8:9]
	v_lshl_add_u64 v[24:25], v[24:25], 1, v[8:9]
	s_branch .LBB1238_533
.LBB1238_532:                           ;   in Loop: Header=BB1238_533 Depth=1
	s_or_b32 exec_lo, exec_lo, s12
	s_delay_alu instid0(SALU_CYCLE_1) | instskip(NEXT) | instid1(SALU_CYCLE_1)
	s_and_b32 s0, exec_lo, s0
	s_or_b32 s5, s0, s5
	s_and_not1_b32 s0, s6, exec_lo
	s_and_b32 s6, s7, exec_lo
	s_and_not1_b32 s3, s3, exec_lo
	s_and_b32 s12, s11, exec_lo
	s_or_b32 s6, s0, s6
	s_or_b32 s3, s3, s12
	s_mov_b32 s12, s11
	s_and_not1_b32 exec_lo, exec_lo, s5
	s_cbranch_execz .LBB1238_537
.LBB1238_533:                           ; =>This Inner Loop Header: Depth=1
	flat_load_u16 v48, v[24:25]
	flat_load_u16 v49, v[22:23]
	s_or_b32 s11, s11, exec_lo
	s_mov_b32 s13, 0
	s_mov_b32 s14, exec_lo
	s_wait_loadcnt_dscnt 0x0
	v_cmpx_nlt_f16_e32 v48, v49
; %bb.534:                              ;   in Loop: Header=BB1238_533 Depth=1
	v_cmp_ngt_f16_e64 s0, v48, v49
	s_and_not1_b32 s11, s11, exec_lo
	s_and_b32 s12, s0, s12
	s_and_b32 s13, s0, exec_lo
	s_and_b32 s12, s12, exec_lo
	s_delay_alu instid0(SALU_CYCLE_1)
	s_or_b32 s11, s11, s12
; %bb.535:                              ;   in Loop: Header=BB1238_533 Depth=1
	s_or_b32 exec_lo, exec_lo, s14
	s_mov_b32 s0, -1
	s_or_b32 s7, s7, exec_lo
	s_and_saveexec_b32 s12, s13
	s_cbranch_execz .LBB1238_532
; %bb.536:                              ;   in Loop: Header=BB1238_533 Depth=1
	v_add_nc_u64_e32 v[30:31], -1, v[30:31]
	v_add_nc_u64_e32 v[22:23], 2, v[22:23]
	v_add_nc_u64_e32 v[24:25], 2, v[24:25]
	s_and_not1_b32 s7, s7, exec_lo
	s_delay_alu instid0(VALU_DEP_3)
	v_cmp_eq_u64_e64 s0, 0, v[30:31]
	s_or_not1_b32 s0, s0, exec_lo
	s_branch .LBB1238_532
.LBB1238_537:
	s_or_b32 exec_lo, exec_lo, s5
	s_and_saveexec_b32 s0, s6
	s_delay_alu instid0(SALU_CYCLE_1)
	s_xor_b32 s0, exec_lo, s0
; %bb.538:
	v_dual_cndmask_b32 v23, v15, v17, s3 :: v_dual_cndmask_b32 v22, v14, v16, s3
	v_dual_cndmask_b32 v17, v17, v15, s3 :: v_dual_cndmask_b32 v16, v16, v14, s3
	s_delay_alu instid0(VALU_DEP_2)
	v_mov_b64_e32 v[14:15], v[22:23]
; %bb.539:
	s_or_b32 exec_lo, exec_lo, s0
	v_mul_u64_e32 v[22:23], v[10:11], v[6:7]
	v_mul_u64_e32 v[24:25], v[12:13], v[6:7]
	v_mov_b64_e32 v[30:31], v[6:7]
	s_mov_b32 s5, 0
                                        ; implicit-def: $sgpr3
                                        ; implicit-def: $sgpr6
                                        ; implicit-def: $sgpr7
                                        ; implicit-def: $sgpr11
                                        ; implicit-def: $sgpr12
	s_delay_alu instid0(VALU_DEP_3) | instskip(NEXT) | instid1(VALU_DEP_3)
	v_lshl_add_u64 v[22:23], v[22:23], 1, v[8:9]
	v_lshl_add_u64 v[24:25], v[24:25], 1, v[8:9]
	s_branch .LBB1238_541
.LBB1238_540:                           ;   in Loop: Header=BB1238_541 Depth=1
	s_or_b32 exec_lo, exec_lo, s12
	s_delay_alu instid0(SALU_CYCLE_1) | instskip(NEXT) | instid1(SALU_CYCLE_1)
	s_and_b32 s0, exec_lo, s0
	s_or_b32 s5, s0, s5
	s_and_not1_b32 s0, s6, exec_lo
	s_and_b32 s6, s7, exec_lo
	s_and_not1_b32 s3, s3, exec_lo
	s_and_b32 s12, s11, exec_lo
	s_or_b32 s6, s0, s6
	s_or_b32 s3, s3, s12
	s_mov_b32 s12, s11
	s_and_not1_b32 exec_lo, exec_lo, s5
	s_cbranch_execz .LBB1238_545
.LBB1238_541:                           ; =>This Inner Loop Header: Depth=1
	flat_load_u16 v48, v[24:25]
	flat_load_u16 v49, v[22:23]
	s_or_b32 s11, s11, exec_lo
	s_mov_b32 s13, 0
	s_mov_b32 s14, exec_lo
	s_wait_loadcnt_dscnt 0x0
	v_cmpx_nlt_f16_e32 v48, v49
; %bb.542:                              ;   in Loop: Header=BB1238_541 Depth=1
	v_cmp_ngt_f16_e64 s0, v48, v49
	s_and_not1_b32 s11, s11, exec_lo
	s_and_b32 s12, s0, s12
	s_and_b32 s13, s0, exec_lo
	s_and_b32 s12, s12, exec_lo
	s_delay_alu instid0(SALU_CYCLE_1)
	s_or_b32 s11, s11, s12
; %bb.543:                              ;   in Loop: Header=BB1238_541 Depth=1
	s_or_b32 exec_lo, exec_lo, s14
	s_mov_b32 s0, -1
	s_or_b32 s7, s7, exec_lo
	s_and_saveexec_b32 s12, s13
	s_cbranch_execz .LBB1238_540
; %bb.544:                              ;   in Loop: Header=BB1238_541 Depth=1
	v_add_nc_u64_e32 v[30:31], -1, v[30:31]
	v_add_nc_u64_e32 v[22:23], 2, v[22:23]
	v_add_nc_u64_e32 v[24:25], 2, v[24:25]
	s_and_not1_b32 s7, s7, exec_lo
	s_delay_alu instid0(VALU_DEP_3)
	v_cmp_eq_u64_e64 s0, 0, v[30:31]
	s_or_not1_b32 s0, s0, exec_lo
	s_branch .LBB1238_540
.LBB1238_545:
	s_or_b32 exec_lo, exec_lo, s5
	s_and_saveexec_b32 s0, s6
	s_delay_alu instid0(SALU_CYCLE_1)
	s_xor_b32 s0, exec_lo, s0
; %bb.546:
	v_dual_cndmask_b32 v23, v11, v13, s3 :: v_dual_cndmask_b32 v22, v10, v12, s3
	v_dual_cndmask_b32 v13, v13, v11, s3 :: v_dual_cndmask_b32 v12, v12, v10, s3
	s_delay_alu instid0(VALU_DEP_2)
	v_mov_b64_e32 v[10:11], v[22:23]
; %bb.547:
	s_or_b32 exec_lo, exec_lo, s0
	v_mul_u64_e32 v[22:23], v[0:1], v[6:7]
	v_mul_u64_e32 v[24:25], v[2:3], v[6:7]
	v_mov_b64_e32 v[30:31], v[6:7]
	s_mov_b32 s5, 0
                                        ; implicit-def: $sgpr3
                                        ; implicit-def: $sgpr6
                                        ; implicit-def: $sgpr7
                                        ; implicit-def: $sgpr11
                                        ; implicit-def: $sgpr12
	s_delay_alu instid0(VALU_DEP_3) | instskip(NEXT) | instid1(VALU_DEP_3)
	v_lshl_add_u64 v[22:23], v[22:23], 1, v[8:9]
	v_lshl_add_u64 v[24:25], v[24:25], 1, v[8:9]
	s_branch .LBB1238_549
.LBB1238_548:                           ;   in Loop: Header=BB1238_549 Depth=1
	s_or_b32 exec_lo, exec_lo, s12
	s_delay_alu instid0(SALU_CYCLE_1) | instskip(NEXT) | instid1(SALU_CYCLE_1)
	s_and_b32 s0, exec_lo, s0
	s_or_b32 s5, s0, s5
	s_and_not1_b32 s0, s6, exec_lo
	s_and_b32 s6, s7, exec_lo
	s_and_not1_b32 s3, s3, exec_lo
	s_and_b32 s12, s11, exec_lo
	s_or_b32 s6, s0, s6
	s_or_b32 s3, s3, s12
	s_mov_b32 s12, s11
	s_and_not1_b32 exec_lo, exec_lo, s5
	s_cbranch_execz .LBB1238_553
.LBB1238_549:                           ; =>This Inner Loop Header: Depth=1
	flat_load_u16 v48, v[24:25]
	flat_load_u16 v49, v[22:23]
	s_or_b32 s11, s11, exec_lo
	s_mov_b32 s13, 0
	s_mov_b32 s14, exec_lo
	s_wait_loadcnt_dscnt 0x0
	v_cmpx_nlt_f16_e32 v48, v49
; %bb.550:                              ;   in Loop: Header=BB1238_549 Depth=1
	v_cmp_ngt_f16_e64 s0, v48, v49
	s_and_not1_b32 s11, s11, exec_lo
	s_and_b32 s12, s0, s12
	s_and_b32 s13, s0, exec_lo
	s_and_b32 s12, s12, exec_lo
	s_delay_alu instid0(SALU_CYCLE_1)
	s_or_b32 s11, s11, s12
; %bb.551:                              ;   in Loop: Header=BB1238_549 Depth=1
	s_or_b32 exec_lo, exec_lo, s14
	s_mov_b32 s0, -1
	s_or_b32 s7, s7, exec_lo
	s_and_saveexec_b32 s12, s13
	s_cbranch_execz .LBB1238_548
; %bb.552:                              ;   in Loop: Header=BB1238_549 Depth=1
	v_add_nc_u64_e32 v[30:31], -1, v[30:31]
	v_add_nc_u64_e32 v[22:23], 2, v[22:23]
	v_add_nc_u64_e32 v[24:25], 2, v[24:25]
	s_and_not1_b32 s7, s7, exec_lo
	s_delay_alu instid0(VALU_DEP_3)
	v_cmp_eq_u64_e64 s0, 0, v[30:31]
	s_or_not1_b32 s0, s0, exec_lo
	s_branch .LBB1238_548
.LBB1238_553:
	s_or_b32 exec_lo, exec_lo, s5
	s_and_saveexec_b32 s0, s6
	s_delay_alu instid0(SALU_CYCLE_1)
	s_xor_b32 s0, exec_lo, s0
; %bb.554:
	v_dual_cndmask_b32 v23, v1, v3, s3 :: v_dual_cndmask_b32 v22, v0, v2, s3
	v_dual_cndmask_b32 v3, v3, v1, s3 :: v_dual_cndmask_b32 v2, v2, v0, s3
	s_delay_alu instid0(VALU_DEP_2)
	v_mov_b64_e32 v[0:1], v[22:23]
; %bb.555:
	s_or_b32 exec_lo, exec_lo, s0
	v_mul_u64_e32 v[22:23], v[20:21], v[6:7]
	v_mul_u64_e32 v[24:25], v[14:15], v[6:7]
	v_mov_b64_e32 v[30:31], v[6:7]
	s_mov_b32 s5, 0
                                        ; implicit-def: $sgpr3
                                        ; implicit-def: $sgpr6
                                        ; implicit-def: $sgpr7
                                        ; implicit-def: $sgpr11
                                        ; implicit-def: $sgpr12
	s_delay_alu instid0(VALU_DEP_3) | instskip(NEXT) | instid1(VALU_DEP_3)
	v_lshl_add_u64 v[22:23], v[22:23], 1, v[8:9]
	v_lshl_add_u64 v[24:25], v[24:25], 1, v[8:9]
	s_branch .LBB1238_557
.LBB1238_556:                           ;   in Loop: Header=BB1238_557 Depth=1
	s_or_b32 exec_lo, exec_lo, s12
	s_delay_alu instid0(SALU_CYCLE_1) | instskip(NEXT) | instid1(SALU_CYCLE_1)
	s_and_b32 s0, exec_lo, s0
	s_or_b32 s5, s0, s5
	s_and_not1_b32 s0, s6, exec_lo
	s_and_b32 s6, s7, exec_lo
	s_and_not1_b32 s3, s3, exec_lo
	s_and_b32 s12, s11, exec_lo
	s_or_b32 s6, s0, s6
	s_or_b32 s3, s3, s12
	s_mov_b32 s12, s11
	s_and_not1_b32 exec_lo, exec_lo, s5
	s_cbranch_execz .LBB1238_561
.LBB1238_557:                           ; =>This Inner Loop Header: Depth=1
	flat_load_u16 v48, v[24:25]
	flat_load_u16 v49, v[22:23]
	s_or_b32 s11, s11, exec_lo
	s_mov_b32 s13, 0
	s_mov_b32 s14, exec_lo
	s_wait_loadcnt_dscnt 0x0
	v_cmpx_nlt_f16_e32 v48, v49
; %bb.558:                              ;   in Loop: Header=BB1238_557 Depth=1
	v_cmp_ngt_f16_e64 s0, v48, v49
	s_and_not1_b32 s11, s11, exec_lo
	s_and_b32 s12, s0, s12
	s_and_b32 s13, s0, exec_lo
	s_and_b32 s12, s12, exec_lo
	s_delay_alu instid0(SALU_CYCLE_1)
	s_or_b32 s11, s11, s12
; %bb.559:                              ;   in Loop: Header=BB1238_557 Depth=1
	s_or_b32 exec_lo, exec_lo, s14
	s_mov_b32 s0, -1
	s_or_b32 s7, s7, exec_lo
	s_and_saveexec_b32 s12, s13
	s_cbranch_execz .LBB1238_556
; %bb.560:                              ;   in Loop: Header=BB1238_557 Depth=1
	v_add_nc_u64_e32 v[30:31], -1, v[30:31]
	v_add_nc_u64_e32 v[22:23], 2, v[22:23]
	v_add_nc_u64_e32 v[24:25], 2, v[24:25]
	s_and_not1_b32 s7, s7, exec_lo
	s_delay_alu instid0(VALU_DEP_3)
	v_cmp_eq_u64_e64 s0, 0, v[30:31]
	s_or_not1_b32 s0, s0, exec_lo
	s_branch .LBB1238_556
.LBB1238_561:
	s_or_b32 exec_lo, exec_lo, s5
	s_and_saveexec_b32 s0, s6
	s_delay_alu instid0(SALU_CYCLE_1)
	s_xor_b32 s0, exec_lo, s0
; %bb.562:
	v_dual_cndmask_b32 v23, v21, v15, s3 :: v_dual_cndmask_b32 v22, v20, v14, s3
	v_dual_cndmask_b32 v15, v15, v21, s3 :: v_dual_cndmask_b32 v14, v14, v20, s3
	s_delay_alu instid0(VALU_DEP_2)
	v_mov_b64_e32 v[20:21], v[22:23]
; %bb.563:
	s_or_b32 exec_lo, exec_lo, s0
	v_mul_u64_e32 v[22:23], v[16:17], v[6:7]
	v_mul_u64_e32 v[24:25], v[10:11], v[6:7]
	v_mov_b64_e32 v[30:31], v[6:7]
	s_mov_b32 s5, 0
                                        ; implicit-def: $sgpr3
                                        ; implicit-def: $sgpr6
                                        ; implicit-def: $sgpr7
                                        ; implicit-def: $sgpr11
                                        ; implicit-def: $sgpr12
	s_delay_alu instid0(VALU_DEP_3) | instskip(NEXT) | instid1(VALU_DEP_3)
	v_lshl_add_u64 v[22:23], v[22:23], 1, v[8:9]
	v_lshl_add_u64 v[24:25], v[24:25], 1, v[8:9]
	s_branch .LBB1238_565
.LBB1238_564:                           ;   in Loop: Header=BB1238_565 Depth=1
	s_or_b32 exec_lo, exec_lo, s12
	s_delay_alu instid0(SALU_CYCLE_1) | instskip(NEXT) | instid1(SALU_CYCLE_1)
	s_and_b32 s0, exec_lo, s0
	s_or_b32 s5, s0, s5
	s_and_not1_b32 s0, s6, exec_lo
	s_and_b32 s6, s7, exec_lo
	s_and_not1_b32 s3, s3, exec_lo
	s_and_b32 s12, s11, exec_lo
	s_or_b32 s6, s0, s6
	s_or_b32 s3, s3, s12
	s_mov_b32 s12, s11
	s_and_not1_b32 exec_lo, exec_lo, s5
	s_cbranch_execz .LBB1238_569
.LBB1238_565:                           ; =>This Inner Loop Header: Depth=1
	flat_load_u16 v48, v[24:25]
	flat_load_u16 v49, v[22:23]
	s_or_b32 s11, s11, exec_lo
	s_mov_b32 s13, 0
	s_mov_b32 s14, exec_lo
	s_wait_loadcnt_dscnt 0x0
	v_cmpx_nlt_f16_e32 v48, v49
; %bb.566:                              ;   in Loop: Header=BB1238_565 Depth=1
	v_cmp_ngt_f16_e64 s0, v48, v49
	s_and_not1_b32 s11, s11, exec_lo
	s_and_b32 s12, s0, s12
	s_and_b32 s13, s0, exec_lo
	s_and_b32 s12, s12, exec_lo
	s_delay_alu instid0(SALU_CYCLE_1)
	s_or_b32 s11, s11, s12
; %bb.567:                              ;   in Loop: Header=BB1238_565 Depth=1
	s_or_b32 exec_lo, exec_lo, s14
	s_mov_b32 s0, -1
	s_or_b32 s7, s7, exec_lo
	s_and_saveexec_b32 s12, s13
	s_cbranch_execz .LBB1238_564
; %bb.568:                              ;   in Loop: Header=BB1238_565 Depth=1
	v_add_nc_u64_e32 v[30:31], -1, v[30:31]
	v_add_nc_u64_e32 v[22:23], 2, v[22:23]
	v_add_nc_u64_e32 v[24:25], 2, v[24:25]
	s_and_not1_b32 s7, s7, exec_lo
	s_delay_alu instid0(VALU_DEP_3)
	v_cmp_eq_u64_e64 s0, 0, v[30:31]
	s_or_not1_b32 s0, s0, exec_lo
	s_branch .LBB1238_564
.LBB1238_569:
	s_or_b32 exec_lo, exec_lo, s5
	s_and_saveexec_b32 s0, s6
	s_delay_alu instid0(SALU_CYCLE_1)
	s_xor_b32 s0, exec_lo, s0
; %bb.570:
	v_dual_cndmask_b32 v23, v17, v11, s3 :: v_dual_cndmask_b32 v22, v16, v10, s3
	v_dual_cndmask_b32 v11, v11, v17, s3 :: v_dual_cndmask_b32 v10, v10, v16, s3
	s_delay_alu instid0(VALU_DEP_2)
	v_mov_b64_e32 v[16:17], v[22:23]
; %bb.571:
	s_or_b32 exec_lo, exec_lo, s0
	v_mul_u64_e32 v[22:23], v[12:13], v[6:7]
	v_mul_u64_e32 v[24:25], v[0:1], v[6:7]
	v_mov_b64_e32 v[30:31], v[6:7]
	s_mov_b32 s6, 0
                                        ; implicit-def: $sgpr3
                                        ; implicit-def: $sgpr5
                                        ; implicit-def: $sgpr7
                                        ; implicit-def: $sgpr11
                                        ; implicit-def: $sgpr12
	s_delay_alu instid0(VALU_DEP_3) | instskip(NEXT) | instid1(VALU_DEP_3)
	v_lshl_add_u64 v[22:23], v[22:23], 1, v[8:9]
	v_lshl_add_u64 v[24:25], v[24:25], 1, v[8:9]
	s_branch .LBB1238_573
.LBB1238_572:                           ;   in Loop: Header=BB1238_573 Depth=1
	s_or_b32 exec_lo, exec_lo, s12
	s_delay_alu instid0(SALU_CYCLE_1) | instskip(NEXT) | instid1(SALU_CYCLE_1)
	s_and_b32 s0, exec_lo, s0
	s_or_b32 s6, s0, s6
	s_and_not1_b32 s0, s5, exec_lo
	s_and_b32 s5, s7, exec_lo
	s_and_not1_b32 s3, s3, exec_lo
	s_and_b32 s12, s11, exec_lo
	s_or_b32 s5, s0, s5
	s_or_b32 s3, s3, s12
	s_mov_b32 s12, s11
	s_and_not1_b32 exec_lo, exec_lo, s6
	s_cbranch_execz .LBB1238_577
.LBB1238_573:                           ; =>This Inner Loop Header: Depth=1
	flat_load_u16 v48, v[24:25]
	flat_load_u16 v49, v[22:23]
	s_or_b32 s11, s11, exec_lo
	s_mov_b32 s13, 0
	s_mov_b32 s14, exec_lo
	s_wait_loadcnt_dscnt 0x0
	v_cmpx_nlt_f16_e32 v48, v49
; %bb.574:                              ;   in Loop: Header=BB1238_573 Depth=1
	v_cmp_ngt_f16_e64 s0, v48, v49
	s_and_not1_b32 s11, s11, exec_lo
	s_and_b32 s12, s0, s12
	s_and_b32 s13, s0, exec_lo
	s_and_b32 s12, s12, exec_lo
	s_delay_alu instid0(SALU_CYCLE_1)
	s_or_b32 s11, s11, s12
; %bb.575:                              ;   in Loop: Header=BB1238_573 Depth=1
	s_or_b32 exec_lo, exec_lo, s14
	s_mov_b32 s0, -1
	s_or_b32 s7, s7, exec_lo
	s_and_saveexec_b32 s12, s13
	s_cbranch_execz .LBB1238_572
; %bb.576:                              ;   in Loop: Header=BB1238_573 Depth=1
	v_add_nc_u64_e32 v[30:31], -1, v[30:31]
	v_add_nc_u64_e32 v[22:23], 2, v[22:23]
	v_add_nc_u64_e32 v[24:25], 2, v[24:25]
	s_and_not1_b32 s7, s7, exec_lo
	s_delay_alu instid0(VALU_DEP_3)
	v_cmp_eq_u64_e64 s0, 0, v[30:31]
	s_or_not1_b32 s0, s0, exec_lo
	s_branch .LBB1238_572
.LBB1238_577:
	s_or_b32 exec_lo, exec_lo, s6
	s_and_saveexec_b32 s0, s5
	s_delay_alu instid0(SALU_CYCLE_1)
	s_xor_b32 s0, exec_lo, s0
; %bb.578:
	v_dual_cndmask_b32 v23, v13, v1, s3 :: v_dual_cndmask_b32 v22, v12, v0, s3
	v_dual_cndmask_b32 v1, v1, v13, s3 :: v_dual_cndmask_b32 v0, v0, v12, s3
	s_delay_alu instid0(VALU_DEP_2)
	v_mov_b64_e32 v[12:13], v[22:23]
; %bb.579:
	s_or_b32 exec_lo, exec_lo, s0
.LBB1238_580:
	s_delay_alu instid0(SALU_CYCLE_1)
	s_or_b32 exec_lo, exec_lo, s2
.LBB1238_581:
	s_delay_alu instid0(SALU_CYCLE_1) | instskip(SKIP_4) | instid1(VALU_DEP_4)
	s_or_b32 exec_lo, exec_lo, s1
	v_mbcnt_lo_u32_b32 v24, -1, 0
	v_add_nc_u32_e32 v84, 56, v54
	v_and_b32_e32 v30, 0xffffff00, v39
	v_dual_mov_b32 v31, 0 :: v_dual_add_nc_u32 v64, 0x1000, v33
	v_lshlrev_b32_e32 v86, 3, v24
	s_mov_b64 s[2:3], src_shared_base
	s_delay_alu instid0(VALU_DEP_3)
	v_sub_nc_u32_e64 v85, 0x800, v30 clamp
	s_mov_b32 s2, 0
	v_add_nc_u32_e32 v55, 0x800, v32
	v_or_b32_e32 v22, 8, v86
	v_and_b32_e32 v48, 0xf0, v86
	v_add_nc_u32_e32 v65, 0x1800, v34
	v_add_nc_u32_e32 v66, 0x2000, v35
	;; [unrolled: 1-line block ×3, first 2 shown]
	v_min_u32_e32 v103, v85, v22
	v_and_b32_e32 v25, 8, v86
	v_lshl_add_u64 v[22:23], v[30:31], 3, s[2:3]
	v_add_nc_u32_e32 v68, 0x3000, v37
	v_add_nc_u32_e32 v69, 0x3800, v38
	v_add_min_u32_e64 v112, v103, 8, v85
	v_sub_nc_u32_e32 v30, v103, v48
	v_min_u32_e32 v49, v85, v25
	v_dual_add_nc_u32 v70, 8, v54 :: v_dual_add_nc_u32 v71, 16, v54
	s_delay_alu instid0(VALU_DEP_4) | instskip(SKIP_3) | instid1(VALU_DEP_4)
	v_dual_sub_nc_u32 v25, v112, v103 :: v_dual_add_nc_u32 v80, 24, v54
	v_dual_add_nc_u32 v81, 32, v54 :: v_dual_add_nc_u32 v82, 40, v54
	v_add_nc_u32_e32 v83, 48, v54
	v_lshl_add_u32 v87, v24, 6, v22
	v_sub_nc_u32_e64 v50, v49, v25 clamp
	v_min_u32_e32 v51, v49, v30
	s_mov_b32 s1, exec_lo
	ds_store_2addr_b64 v87, v[18:19], v[20:21] offset1:1
	ds_store_2addr_b64 v87, v[14:15], v[16:17] offset0:2 offset1:3
	ds_store_2addr_b64 v87, v[10:11], v[12:13] offset0:4 offset1:5
	ds_store_2addr_b64 v87, v[0:1], v[2:3] offset0:6 offset1:7
	; wave barrier
	v_cmpx_lt_u32_e64 v50, v51
	s_cbranch_execz .LBB1238_593
; %bb.582:
	v_lshlrev_b32_e32 v30, 3, v48
	v_lshlrev_b64_e32 v[32:33], 1, v[6:7]
	s_delay_alu instid0(VALU_DEP_2) | instskip(SKIP_1) | instid1(VALU_DEP_1)
	v_add_nc_u64_e32 v[24:25], v[22:23], v[30:31]
	v_lshlrev_b32_e32 v30, 3, v103
	v_add_nc_u64_e32 v[30:31], v[22:23], v[30:31]
	s_branch .LBB1238_585
.LBB1238_583:                           ;   in Loop: Header=BB1238_585 Depth=1
	s_or_b32 exec_lo, exec_lo, s5
	s_delay_alu instid0(SALU_CYCLE_1)
	s_and_b32 s0, s6, exec_lo
.LBB1238_584:                           ;   in Loop: Header=BB1238_585 Depth=1
	s_or_b32 exec_lo, exec_lo, s3
	s_delay_alu instid0(VALU_DEP_1) | instskip(NEXT) | instid1(VALU_DEP_1)
	v_dual_add_nc_u32 v31, 1, v25 :: v_dual_cndmask_b32 v51, v51, v25, s0
	v_cndmask_b32_e64 v50, v31, v50, s0
	s_delay_alu instid0(VALU_DEP_1) | instskip(SKIP_1) | instid1(SALU_CYCLE_1)
	v_cmp_ge_u32_e64 s0, v50, v51
	s_or_b32 s2, s0, s2
	s_and_not1_b32 exec_lo, exec_lo, s2
	s_cbranch_execz .LBB1238_592
.LBB1238_585:                           ; =>This Loop Header: Depth=1
                                        ;     Child Loop BB1238_588 Depth 2
	v_add_nc_u32_e32 v25, v51, v50
	s_mov_b32 s0, 0
	s_delay_alu instid0(VALU_DEP_1)
	v_lshrrev_b32_e32 v25, 1, v25
	s_and_saveexec_b32 s3, vcc_lo
	s_cbranch_execz .LBB1238_584
; %bb.586:                              ;   in Loop: Header=BB1238_585 Depth=1
	s_delay_alu instid0(VALU_DEP_1) | instskip(SKIP_2) | instid1(VALU_DEP_2)
	v_xad_u32 v31, v25, -1, v49
	v_lshl_add_u32 v34, v25, 3, v24
	s_mov_b32 s5, 0
                                        ; implicit-def: $sgpr6
                                        ; implicit-def: $sgpr7
                                        ; implicit-def: $sgpr13
	v_lshl_add_u32 v31, v31, 3, v30
	ds_load_b64 v[38:39], v34
	ds_load_b64 v[52:53], v31
	s_wait_dscnt 0x1
	v_mad_nc_u64_u32 v[34:35], v32, v38, v[8:9]
	s_wait_dscnt 0x0
	v_mad_nc_u64_u32 v[36:37], v32, v52, v[8:9]
	s_delay_alu instid0(VALU_DEP_2) | instskip(NEXT) | instid1(VALU_DEP_2)
	v_mad_u32 v31, v33, v38, v35
	v_mad_u32 v37, v33, v52, v37
	s_delay_alu instid0(VALU_DEP_2) | instskip(NEXT) | instid1(VALU_DEP_2)
	v_mad_u32 v35, v32, v39, v31
	v_mad_u32 v37, v32, v53, v37
	v_mov_b64_e32 v[38:39], v[6:7]
	s_branch .LBB1238_588
.LBB1238_587:                           ;   in Loop: Header=BB1238_588 Depth=2
	s_or_b32 exec_lo, exec_lo, s13
	s_delay_alu instid0(SALU_CYCLE_1) | instskip(SKIP_4) | instid1(SALU_CYCLE_1)
	s_and_b32 s0, exec_lo, s12
	s_mov_b32 s13, s11
	s_or_b32 s5, s0, s5
	s_and_not1_b32 s0, s6, exec_lo
	s_and_b32 s6, s7, exec_lo
	s_or_b32 s6, s0, s6
	s_and_not1_b32 exec_lo, exec_lo, s5
	s_cbranch_execz .LBB1238_583
.LBB1238_588:                           ;   Parent Loop BB1238_585 Depth=1
                                        ; =>  This Inner Loop Header: Depth=2
	flat_load_u16 v31, v[36:37]
	flat_load_u16 v52, v[34:35]
	s_mov_b32 s12, -1
	s_mov_b32 s14, 0
	s_mov_b32 s11, -1
	s_mov_b32 s15, exec_lo
	s_wait_loadcnt_dscnt 0x0
	v_cmpx_nlt_f16_e32 v31, v52
; %bb.589:                              ;   in Loop: Header=BB1238_588 Depth=2
	v_cmp_ngt_f16_e64 s0, v31, v52
	s_and_b32 s11, s0, s13
	s_and_b32 s14, s0, exec_lo
	s_or_not1_b32 s11, s11, exec_lo
; %bb.590:                              ;   in Loop: Header=BB1238_588 Depth=2
	s_or_b32 exec_lo, exec_lo, s15
	s_delay_alu instid0(SALU_CYCLE_1) | instskip(SKIP_1) | instid1(SALU_CYCLE_1)
	s_and_not1_b32 s0, s7, exec_lo
	s_and_b32 s7, s11, exec_lo
	s_or_b32 s7, s0, s7
	s_and_saveexec_b32 s13, s14
	s_cbranch_execz .LBB1238_587
; %bb.591:                              ;   in Loop: Header=BB1238_588 Depth=2
	v_add_nc_u64_e32 v[38:39], -1, v[38:39]
	v_add_nc_u64_e32 v[34:35], 2, v[34:35]
	v_add_nc_u64_e32 v[36:37], 2, v[36:37]
	s_and_not1_b32 s7, s7, exec_lo
	s_delay_alu instid0(VALU_DEP_3)
	v_cmp_eq_u64_e64 s0, 0, v[38:39]
	s_or_not1_b32 s12, s0, exec_lo
	s_branch .LBB1238_587
.LBB1238_592:
	s_or_b32 exec_lo, exec_lo, s2
.LBB1238_593:
	s_delay_alu instid0(SALU_CYCLE_1) | instskip(SKIP_4) | instid1(VALU_DEP_4)
	s_or_b32 exec_lo, exec_lo, s1
	v_dual_add_nc_u32 v97, 56, v87 :: v_dual_add_nc_u32 v25, v103, v49
	v_add_nc_u32_e32 v24, v50, v48
	v_cmp_gt_i64_e64 s0, 1, v[6:7]
	v_dual_add_nc_u32 v102, 8, v87 :: v_dual_add_nc_u32 v98, 16, v87
	v_sub_nc_u32_e32 v25, v25, v50
	s_delay_alu instid0(VALU_DEP_4) | instskip(SKIP_2) | instid1(VALU_DEP_4)
	v_cmp_le_u32_e64 s1, v24, v103
	v_dual_add_nc_u32 v99, 24, v87 :: v_dual_add_nc_u32 v100, 32, v87
	v_dual_add_nc_u32 v101, 40, v87 :: v_dual_add_nc_u32 v96, 48, v87
	v_cmp_le_u32_e64 s2, v25, v112
	s_or_b32 s1, s1, s2
	s_delay_alu instid0(SALU_CYCLE_1)
	s_and_saveexec_b32 s5, s1
	s_cbranch_execz .LBB1238_773
; %bb.594:
	v_cmp_ge_u32_e64 s1, v24, v103
	s_mov_b32 s3, exec_lo
                                        ; implicit-def: $vgpr0_vgpr1
	v_cmpx_lt_u32_e64 v24, v103
; %bb.595:
	v_lshl_add_u32 v0, v24, 3, v22
	ds_load_b64 v[0:1], v0
; %bb.596:
	s_or_b32 exec_lo, exec_lo, s3
	v_cmp_ge_u32_e64 s2, v25, v112
	s_mov_b32 s6, exec_lo
                                        ; implicit-def: $vgpr2_vgpr3
	v_cmpx_lt_u32_e64 v25, v112
; %bb.597:
	v_lshl_add_u32 v2, v25, 3, v22
	ds_load_b64 v[2:3], v2
; %bb.598:
	s_or_b32 exec_lo, exec_lo, s6
	s_or_b32 s3, s1, s2
	s_xor_b32 s1, s1, -1
	s_nor_b32 s6, s3, s0
	s_or_b32 s2, s2, s1
	s_and_saveexec_b32 s3, s6
	s_cbranch_execz .LBB1238_606
; %bb.599:
	s_wait_dscnt 0x0
	v_mul_u64_e32 v[10:11], v[0:1], v[6:7]
	v_mul_u64_e32 v[12:13], v[2:3], v[6:7]
	v_mov_b64_e32 v[14:15], v[6:7]
	s_mov_b32 s6, 0
                                        ; implicit-def: $sgpr7
                                        ; implicit-def: $sgpr11
                                        ; implicit-def: $sgpr14
	s_delay_alu instid0(VALU_DEP_3) | instskip(NEXT) | instid1(VALU_DEP_3)
	v_lshl_add_u64 v[10:11], v[10:11], 1, v[8:9]
	v_lshl_add_u64 v[12:13], v[12:13], 1, v[8:9]
	s_branch .LBB1238_601
.LBB1238_600:                           ;   in Loop: Header=BB1238_601 Depth=1
	s_or_b32 exec_lo, exec_lo, s14
	s_delay_alu instid0(SALU_CYCLE_1) | instskip(SKIP_4) | instid1(SALU_CYCLE_1)
	s_and_b32 s1, exec_lo, s13
	s_mov_b32 s14, s12
	s_or_b32 s6, s1, s6
	s_and_not1_b32 s1, s7, exec_lo
	s_and_b32 s7, s11, exec_lo
	s_or_b32 s7, s1, s7
	s_and_not1_b32 exec_lo, exec_lo, s6
	s_cbranch_execz .LBB1238_605
.LBB1238_601:                           ; =>This Inner Loop Header: Depth=1
	flat_load_u16 v16, v[12:13]
	flat_load_u16 v17, v[10:11]
	s_mov_b32 s13, -1
	s_mov_b32 s15, 0
	s_mov_b32 s12, -1
	s_mov_b32 s16, exec_lo
	s_wait_loadcnt_dscnt 0x0
	v_cmpx_nlt_f16_e32 v16, v17
; %bb.602:                              ;   in Loop: Header=BB1238_601 Depth=1
	v_cmp_ngt_f16_e64 s1, v16, v17
	s_and_b32 s12, s1, s14
	s_and_b32 s15, s1, exec_lo
	s_or_not1_b32 s12, s12, exec_lo
; %bb.603:                              ;   in Loop: Header=BB1238_601 Depth=1
	s_or_b32 exec_lo, exec_lo, s16
	s_delay_alu instid0(SALU_CYCLE_1) | instskip(SKIP_1) | instid1(SALU_CYCLE_1)
	s_and_not1_b32 s1, s11, exec_lo
	s_and_b32 s11, s12, exec_lo
	s_or_b32 s11, s1, s11
	s_and_saveexec_b32 s14, s15
	s_cbranch_execz .LBB1238_600
; %bb.604:                              ;   in Loop: Header=BB1238_601 Depth=1
	v_add_nc_u64_e32 v[14:15], -1, v[14:15]
	v_add_nc_u64_e32 v[10:11], 2, v[10:11]
	v_add_nc_u64_e32 v[12:13], 2, v[12:13]
	s_and_not1_b32 s11, s11, exec_lo
	s_delay_alu instid0(VALU_DEP_3)
	v_cmp_eq_u64_e64 s1, 0, v[14:15]
	s_or_not1_b32 s13, s1, exec_lo
	s_branch .LBB1238_600
.LBB1238_605:
	s_or_b32 exec_lo, exec_lo, s6
	s_xor_b32 s1, s7, -1
	s_and_not1_b32 s2, s2, exec_lo
	s_and_b32 s1, s1, exec_lo
	s_delay_alu instid0(SALU_CYCLE_1)
	s_or_b32 s2, s2, s1
.LBB1238_606:
	s_or_b32 exec_lo, exec_lo, s3
	v_dual_cndmask_b32 v10, v25, v24, s2 :: v_dual_cndmask_b32 v11, v112, v103, s2
	s_mov_b32 s6, -1
	s_mov_b32 s3, -1
	s_mov_b32 s7, exec_lo
	s_delay_alu instid0(VALU_DEP_1) | instskip(NEXT) | instid1(VALU_DEP_1)
	v_add_nc_u32_e32 v12, 1, v10
	v_add_min_u32_e64 v10, v11, -1, v12
	s_delay_alu instid0(VALU_DEP_1)
	v_lshl_add_u32 v10, v10, 3, v22
	ds_load_b64 v[10:11], v10
	s_wait_dscnt 0x0
	v_dual_cndmask_b32 v19, v11, v3, s2 :: v_dual_cndmask_b32 v16, v12, v25, s2
	v_dual_cndmask_b32 v18, v10, v2, s2 :: v_dual_cndmask_b32 v17, v24, v12, s2
	;; [unrolled: 1-line block ×3, first 2 shown]
	s_delay_alu instid0(VALU_DEP_3)
	v_cmpx_lt_u32_e64 v16, v112
	s_cbranch_execz .LBB1238_626
; %bb.607:
	s_delay_alu instid0(VALU_DEP_3) | instskip(SKIP_1) | instid1(SALU_CYCLE_1)
	v_cmp_lt_u32_e64 s3, v17, v103
	s_xor_b32 s1, s0, -1
	s_and_b32 s1, s3, s1
	s_delay_alu instid0(SALU_CYCLE_1)
	s_and_saveexec_b32 s11, s1
	s_cbranch_execz .LBB1238_625
; %bb.608:
	v_mul_u64_e32 v[10:11], v[20:21], v[6:7]
	v_mul_u64_e32 v[12:13], v[18:19], v[6:7]
	v_mov_b64_e32 v[14:15], v[6:7]
	s_mov_b32 s12, 0
                                        ; implicit-def: $sgpr13
                                        ; implicit-def: $sgpr14
                                        ; implicit-def: $sgpr17
	s_delay_alu instid0(VALU_DEP_3) | instskip(NEXT) | instid1(VALU_DEP_3)
	v_lshl_add_u64 v[10:11], v[10:11], 1, v[8:9]
	v_lshl_add_u64 v[12:13], v[12:13], 1, v[8:9]
	s_branch .LBB1238_610
.LBB1238_609:                           ;   in Loop: Header=BB1238_610 Depth=1
	s_or_b32 exec_lo, exec_lo, s17
	s_delay_alu instid0(SALU_CYCLE_1) | instskip(SKIP_4) | instid1(SALU_CYCLE_1)
	s_and_b32 s1, exec_lo, s16
	s_mov_b32 s17, s15
	s_or_b32 s12, s1, s12
	s_and_not1_b32 s1, s13, exec_lo
	s_and_b32 s13, s14, exec_lo
	s_or_b32 s13, s1, s13
	s_and_not1_b32 exec_lo, exec_lo, s12
	s_cbranch_execz .LBB1238_624
.LBB1238_610:                           ; =>This Inner Loop Header: Depth=1
	flat_load_u16 v24, v[12:13]
	flat_load_u16 v25, v[10:11]
	s_mov_b32 s16, -1
	s_mov_b32 s18, 0
	s_mov_b32 s15, -1
	s_mov_b32 s19, exec_lo
	s_wait_loadcnt_dscnt 0x0
	v_cmpx_nlt_f16_e32 v24, v25
; %bb.611:                              ;   in Loop: Header=BB1238_610 Depth=1
	v_cmp_ngt_f16_e64 s1, v24, v25
	s_and_b32 s15, s1, s17
	s_and_b32 s18, s1, exec_lo
	s_or_not1_b32 s15, s15, exec_lo
; %bb.612:                              ;   in Loop: Header=BB1238_610 Depth=1
	s_or_b32 exec_lo, exec_lo, s19
	s_delay_alu instid0(SALU_CYCLE_1) | instskip(SKIP_1) | instid1(SALU_CYCLE_1)
	s_and_not1_b32 s1, s14, exec_lo
	s_and_b32 s14, s15, exec_lo
	s_or_b32 s14, s1, s14
	s_and_saveexec_b32 s17, s18
	s_cbranch_execz .LBB1238_609
; %bb.613:                              ;   in Loop: Header=BB1238_610 Depth=1
	v_add_nc_u64_e32 v[14:15], -1, v[14:15]
	v_add_nc_u64_e32 v[10:11], 2, v[10:11]
	v_add_nc_u64_e32 v[12:13], 2, v[12:13]
	s_and_not1_b32 s14, s14, exec_lo
	s_delay_alu instid0(VALU_DEP_3)
	v_cmp_eq_u64_e64 s1, 0, v[14:15]
	s_or_not1_b32 s16, s1, exec_lo
	s_branch .LBB1238_609
.LBB1238_614:
	s_or_b32 exec_lo, exec_lo, s19
	s_xor_b32 s9, s20, -1
	s_and_not1_b32 s11, s11, exec_lo
	s_and_b32 s9, s9, exec_lo
	s_delay_alu instid0(SALU_CYCLE_1)
	s_or_b32 s11, s11, s9
.LBB1238_615:
	s_or_b32 exec_lo, exec_lo, s18
	s_delay_alu instid0(SALU_CYCLE_1)
	s_or_not1_b32 s11, s11, exec_lo
.LBB1238_616:
	s_or_b32 exec_lo, exec_lo, s17
	v_dual_cndmask_b32 v14, v20, v21, s11 :: v_dual_cndmask_b32 v15, v115, v114, s11
	s_mov_b32 s17, exec_lo
	s_delay_alu instid0(VALU_DEP_1) | instskip(NEXT) | instid1(VALU_DEP_1)
	v_add_nc_u32_e32 v16, 1, v14
	v_add_min_u32_e64 v14, v15, -1, v16
	s_delay_alu instid0(VALU_DEP_1)
	v_lshl_add_u32 v14, v14, 3, v30
	ds_load_b64 v[14:15], v14
	s_wait_dscnt 0x0
	v_dual_cndmask_b32 v19, v15, v23, s11 :: v_dual_cndmask_b32 v34, v16, v20, s11
	v_dual_cndmask_b32 v18, v14, v22, s11 :: v_dual_cndmask_b32 v35, v21, v16, s11
	;; [unrolled: 1-line block ×3, first 2 shown]
	s_delay_alu instid0(VALU_DEP_3)
	v_cmpx_lt_u32_e64 v34, v115
	s_cbranch_execz .LBB1238_636
; %bb.617:
	s_delay_alu instid0(VALU_DEP_3) | instskip(SKIP_1) | instid1(SALU_CYCLE_1)
	v_cmp_lt_u32_e64 s16, v35, v114
	s_and_b32 s9, s16, s14
	s_and_saveexec_b32 s18, s9
	s_cbranch_execz .LBB1238_635
; %bb.618:
	v_mul_u64_e32 v[14:15], v[32:33], v[6:7]
	v_mul_u64_e32 v[16:17], v[18:19], v[6:7]
	v_mov_b64_e32 v[20:21], v[6:7]
	s_mov_b32 s19, 0
                                        ; implicit-def: $sgpr20
                                        ; implicit-def: $sgpr21
                                        ; implicit-def: $sgpr24
	s_delay_alu instid0(VALU_DEP_3) | instskip(NEXT) | instid1(VALU_DEP_3)
	v_lshl_add_u64 v[14:15], v[14:15], 1, v[8:9]
	v_lshl_add_u64 v[16:17], v[16:17], 1, v[8:9]
	s_branch .LBB1238_620
.LBB1238_619:                           ;   in Loop: Header=BB1238_620 Depth=1
	s_or_b32 exec_lo, exec_lo, s24
	s_delay_alu instid0(SALU_CYCLE_1) | instskip(SKIP_4) | instid1(SALU_CYCLE_1)
	s_and_b32 s9, exec_lo, s23
	s_mov_b32 s24, s22
	s_or_b32 s19, s9, s19
	s_and_not1_b32 s9, s20, exec_lo
	s_and_b32 s20, s21, exec_lo
	s_or_b32 s20, s9, s20
	s_and_not1_b32 exec_lo, exec_lo, s19
	s_cbranch_execz .LBB1238_634
.LBB1238_620:                           ; =>This Inner Loop Header: Depth=1
	flat_load_u16 v36, v[16:17]
	flat_load_u16 v37, v[14:15]
	s_mov_b32 s23, -1
	s_mov_b32 s25, 0
	s_mov_b32 s22, -1
	s_mov_b32 s26, exec_lo
	s_wait_loadcnt_dscnt 0x0
	v_cmpx_nlt_f16_e32 v36, v37
; %bb.621:                              ;   in Loop: Header=BB1238_620 Depth=1
	v_cmp_ngt_f16_e64 s9, v36, v37
	s_and_b32 s22, s9, s24
	s_and_b32 s25, s9, exec_lo
	s_or_not1_b32 s22, s22, exec_lo
; %bb.622:                              ;   in Loop: Header=BB1238_620 Depth=1
	s_or_b32 exec_lo, exec_lo, s26
	s_delay_alu instid0(SALU_CYCLE_1) | instskip(SKIP_1) | instid1(SALU_CYCLE_1)
	s_and_not1_b32 s9, s21, exec_lo
	s_and_b32 s21, s22, exec_lo
	s_or_b32 s21, s9, s21
	s_and_saveexec_b32 s24, s25
	s_cbranch_execz .LBB1238_619
; %bb.623:                              ;   in Loop: Header=BB1238_620 Depth=1
	v_add_nc_u64_e32 v[20:21], -1, v[20:21]
	v_add_nc_u64_e32 v[14:15], 2, v[14:15]
	v_add_nc_u64_e32 v[16:17], 2, v[16:17]
	s_and_not1_b32 s21, s21, exec_lo
	s_delay_alu instid0(VALU_DEP_3)
	v_cmp_eq_u64_e64 s9, 0, v[20:21]
	s_or_not1_b32 s23, s9, exec_lo
	s_branch .LBB1238_619
.LBB1238_624:
	s_or_b32 exec_lo, exec_lo, s12
	s_xor_b32 s1, s13, -1
	s_and_not1_b32 s3, s3, exec_lo
	s_and_b32 s1, s1, exec_lo
	s_delay_alu instid0(SALU_CYCLE_1)
	s_or_b32 s3, s3, s1
.LBB1238_625:
	s_or_b32 exec_lo, exec_lo, s11
	s_delay_alu instid0(SALU_CYCLE_1)
	s_or_not1_b32 s3, s3, exec_lo
.LBB1238_626:
	s_or_b32 exec_lo, exec_lo, s7
	v_cndmask_b32_e64 v10, v16, v17, s3
	v_cndmask_b32_e64 v11, v112, v103, s3
	s_mov_b32 s7, exec_lo
	s_delay_alu instid0(VALU_DEP_2) | instskip(NEXT) | instid1(VALU_DEP_1)
	v_add_nc_u32_e32 v12, 1, v10
	v_add_min_u32_e64 v10, v11, -1, v12
	v_cndmask_b32_e64 v31, v17, v12, s3
	s_delay_alu instid0(VALU_DEP_2)
	v_lshl_add_u32 v10, v10, 3, v22
	ds_load_b64 v[10:11], v10
	s_wait_dscnt 0x0
	v_dual_cndmask_b32 v30, v12, v16, s3 :: v_dual_cndmask_b32 v15, v11, v19, s3
	v_dual_cndmask_b32 v14, v10, v18, s3 :: v_dual_cndmask_b32 v25, v21, v11, s3
	v_cndmask_b32_e64 v24, v20, v10, s3
	s_delay_alu instid0(VALU_DEP_3)
	v_cmpx_lt_u32_e64 v30, v112
	s_cbranch_execz .LBB1238_646
; %bb.627:
	v_cmp_lt_u32_e64 s6, v31, v103
	s_xor_b32 s1, s0, -1
	s_delay_alu instid0(SALU_CYCLE_1) | instskip(NEXT) | instid1(SALU_CYCLE_1)
	s_and_b32 s1, s6, s1
	s_and_saveexec_b32 s11, s1
	s_cbranch_execz .LBB1238_645
; %bb.628:
	v_mul_u64_e32 v[10:11], v[24:25], v[6:7]
	v_mul_u64_e32 v[12:13], v[14:15], v[6:7]
	v_mov_b64_e32 v[16:17], v[6:7]
	s_mov_b32 s12, 0
                                        ; implicit-def: $sgpr13
                                        ; implicit-def: $sgpr14
                                        ; implicit-def: $sgpr17
	s_delay_alu instid0(VALU_DEP_3) | instskip(NEXT) | instid1(VALU_DEP_3)
	v_lshl_add_u64 v[10:11], v[10:11], 1, v[8:9]
	v_lshl_add_u64 v[12:13], v[12:13], 1, v[8:9]
	s_branch .LBB1238_630
.LBB1238_629:                           ;   in Loop: Header=BB1238_630 Depth=1
	s_or_b32 exec_lo, exec_lo, s17
	s_delay_alu instid0(SALU_CYCLE_1) | instskip(SKIP_4) | instid1(SALU_CYCLE_1)
	s_and_b32 s1, exec_lo, s16
	s_mov_b32 s17, s15
	s_or_b32 s12, s1, s12
	s_and_not1_b32 s1, s13, exec_lo
	s_and_b32 s13, s14, exec_lo
	s_or_b32 s13, s1, s13
	s_and_not1_b32 exec_lo, exec_lo, s12
	s_cbranch_execz .LBB1238_644
.LBB1238_630:                           ; =>This Inner Loop Header: Depth=1
	flat_load_u16 v32, v[12:13]
	flat_load_u16 v33, v[10:11]
	s_mov_b32 s16, -1
	s_mov_b32 s18, 0
	s_mov_b32 s15, -1
	s_mov_b32 s19, exec_lo
	s_wait_loadcnt_dscnt 0x0
	v_cmpx_nlt_f16_e32 v32, v33
; %bb.631:                              ;   in Loop: Header=BB1238_630 Depth=1
	v_cmp_ngt_f16_e64 s1, v32, v33
	s_and_b32 s15, s1, s17
	s_and_b32 s18, s1, exec_lo
	s_or_not1_b32 s15, s15, exec_lo
; %bb.632:                              ;   in Loop: Header=BB1238_630 Depth=1
	s_or_b32 exec_lo, exec_lo, s19
	s_delay_alu instid0(SALU_CYCLE_1) | instskip(SKIP_1) | instid1(SALU_CYCLE_1)
	s_and_not1_b32 s1, s14, exec_lo
	s_and_b32 s14, s15, exec_lo
	s_or_b32 s14, s1, s14
	s_and_saveexec_b32 s17, s18
	s_cbranch_execz .LBB1238_629
; %bb.633:                              ;   in Loop: Header=BB1238_630 Depth=1
	v_add_nc_u64_e32 v[16:17], -1, v[16:17]
	v_add_nc_u64_e32 v[10:11], 2, v[10:11]
	v_add_nc_u64_e32 v[12:13], 2, v[12:13]
	s_and_not1_b32 s14, s14, exec_lo
	s_delay_alu instid0(VALU_DEP_3)
	v_cmp_eq_u64_e64 s1, 0, v[16:17]
	s_or_not1_b32 s16, s1, exec_lo
	s_branch .LBB1238_629
.LBB1238_634:
	s_or_b32 exec_lo, exec_lo, s19
	s_xor_b32 s9, s20, -1
	s_and_not1_b32 s16, s16, exec_lo
	s_and_b32 s9, s9, exec_lo
	s_delay_alu instid0(SALU_CYCLE_1)
	s_or_b32 s16, s16, s9
.LBB1238_635:
	s_or_b32 exec_lo, exec_lo, s18
	s_delay_alu instid0(SALU_CYCLE_1)
	s_or_not1_b32 s16, s16, exec_lo
.LBB1238_636:
	s_or_b32 exec_lo, exec_lo, s17
	v_dual_cndmask_b32 v14, v34, v35, s16 :: v_dual_cndmask_b32 v15, v115, v114, s16
	s_mov_b32 s18, -1
	s_mov_b32 s17, -1
	s_mov_b32 s19, exec_lo
	s_delay_alu instid0(VALU_DEP_1) | instskip(NEXT) | instid1(VALU_DEP_1)
	v_add_nc_u32_e32 v16, 1, v14
	v_add_min_u32_e64 v14, v15, -1, v16
	s_delay_alu instid0(VALU_DEP_1)
	v_lshl_add_u32 v14, v14, 3, v30
	ds_load_b64 v[14:15], v14
	s_wait_dscnt 0x0
	v_dual_cndmask_b32 v21, v15, v19, s16 :: v_dual_cndmask_b32 v38, v16, v34, s16
	v_dual_cndmask_b32 v39, v35, v16, s16 :: v_dual_cndmask_b32 v20, v14, v18, s16
	;; [unrolled: 1-line block ×3, first 2 shown]
	s_delay_alu instid0(VALU_DEP_3)
	v_cmpx_lt_u32_e64 v38, v115
	s_cbranch_execz .LBB1238_656
; %bb.637:
	s_delay_alu instid0(VALU_DEP_3) | instskip(SKIP_1) | instid1(SALU_CYCLE_1)
	v_cmp_lt_u32_e64 s17, v39, v114
	s_and_b32 s9, s17, s14
	s_and_saveexec_b32 s20, s9
	s_cbranch_execz .LBB1238_655
; %bb.638:
	v_mul_u64_e32 v[14:15], v[34:35], v[6:7]
	v_mul_u64_e32 v[16:17], v[20:21], v[6:7]
	v_mov_b64_e32 v[36:37], v[6:7]
	s_mov_b32 s21, 0
                                        ; implicit-def: $sgpr22
                                        ; implicit-def: $sgpr23
                                        ; implicit-def: $sgpr26
	s_delay_alu instid0(VALU_DEP_3) | instskip(NEXT) | instid1(VALU_DEP_3)
	v_lshl_add_u64 v[14:15], v[14:15], 1, v[8:9]
	v_lshl_add_u64 v[16:17], v[16:17], 1, v[8:9]
	s_branch .LBB1238_640
.LBB1238_639:                           ;   in Loop: Header=BB1238_640 Depth=1
	s_or_b32 exec_lo, exec_lo, s26
	s_delay_alu instid0(SALU_CYCLE_1) | instskip(SKIP_4) | instid1(SALU_CYCLE_1)
	s_and_b32 s9, exec_lo, s25
	s_mov_b32 s26, s24
	s_or_b32 s21, s9, s21
	s_and_not1_b32 s9, s22, exec_lo
	s_and_b32 s22, s23, exec_lo
	s_or_b32 s22, s9, s22
	s_and_not1_b32 exec_lo, exec_lo, s21
	s_cbranch_execz .LBB1238_654
.LBB1238_640:                           ; =>This Inner Loop Header: Depth=1
	flat_load_u16 v48, v[16:17]
	flat_load_u16 v49, v[14:15]
	s_mov_b32 s25, -1
	s_mov_b32 s27, 0
	s_mov_b32 s24, -1
	s_mov_b32 s28, exec_lo
	s_wait_loadcnt_dscnt 0x0
	v_cmpx_nlt_f16_e32 v48, v49
; %bb.641:                              ;   in Loop: Header=BB1238_640 Depth=1
	v_cmp_ngt_f16_e64 s9, v48, v49
	s_and_b32 s24, s9, s26
	s_and_b32 s27, s9, exec_lo
	s_or_not1_b32 s24, s24, exec_lo
; %bb.642:                              ;   in Loop: Header=BB1238_640 Depth=1
	s_or_b32 exec_lo, exec_lo, s28
	s_delay_alu instid0(SALU_CYCLE_1) | instskip(SKIP_1) | instid1(SALU_CYCLE_1)
	s_and_not1_b32 s9, s23, exec_lo
	s_and_b32 s23, s24, exec_lo
	s_or_b32 s23, s9, s23
	s_and_saveexec_b32 s26, s27
	s_cbranch_execz .LBB1238_639
; %bb.643:                              ;   in Loop: Header=BB1238_640 Depth=1
	v_add_nc_u64_e32 v[36:37], -1, v[36:37]
	v_add_nc_u64_e32 v[14:15], 2, v[14:15]
	v_add_nc_u64_e32 v[16:17], 2, v[16:17]
	s_and_not1_b32 s23, s23, exec_lo
	s_delay_alu instid0(VALU_DEP_3)
	v_cmp_eq_u64_e64 s9, 0, v[36:37]
	s_or_not1_b32 s25, s9, exec_lo
	s_branch .LBB1238_639
.LBB1238_644:
	s_or_b32 exec_lo, exec_lo, s12
	s_xor_b32 s1, s13, -1
	s_and_not1_b32 s6, s6, exec_lo
	s_and_b32 s1, s1, exec_lo
	s_delay_alu instid0(SALU_CYCLE_1)
	s_or_b32 s6, s6, s1
.LBB1238_645:
	s_or_b32 exec_lo, exec_lo, s11
	s_delay_alu instid0(SALU_CYCLE_1)
	s_or_not1_b32 s6, s6, exec_lo
.LBB1238_646:
	s_or_b32 exec_lo, exec_lo, s7
	v_cndmask_b32_e64 v10, v30, v31, s6
	v_cndmask_b32_e64 v11, v112, v103, s6
	s_mov_b32 s11, -1
	s_mov_b32 s7, -1
	s_mov_b32 s12, exec_lo
	v_add_nc_u32_e32 v12, 1, v10
	s_delay_alu instid0(VALU_DEP_1) | instskip(SKIP_1) | instid1(VALU_DEP_2)
	v_add_min_u32_e64 v10, v11, -1, v12
	v_cndmask_b32_e64 v34, v12, v30, s6
	v_lshl_add_u32 v10, v10, 3, v22
	ds_load_b64 v[10:11], v10
	s_wait_dscnt 0x0
	v_dual_cndmask_b32 v35, v31, v12, s6 :: v_dual_cndmask_b32 v16, v10, v14, s6
	v_dual_cndmask_b32 v17, v11, v15, s6 :: v_dual_cndmask_b32 v30, v24, v10, s6
	v_cndmask_b32_e64 v31, v25, v11, s6
	v_cmpx_lt_u32_e64 v34, v112
	s_cbranch_execz .LBB1238_666
; %bb.647:
	v_cmp_lt_u32_e64 s7, v35, v103
	s_xor_b32 s1, s0, -1
	s_delay_alu instid0(SALU_CYCLE_1) | instskip(NEXT) | instid1(SALU_CYCLE_1)
	s_and_b32 s1, s7, s1
	s_and_saveexec_b32 s13, s1
	s_cbranch_execz .LBB1238_665
; %bb.648:
	v_mul_u64_e32 v[10:11], v[30:31], v[6:7]
	v_mul_u64_e32 v[12:13], v[16:17], v[6:7]
	v_mov_b64_e32 v[32:33], v[6:7]
	s_mov_b32 s14, 0
                                        ; implicit-def: $sgpr15
                                        ; implicit-def: $sgpr16
                                        ; implicit-def: $sgpr19
	s_delay_alu instid0(VALU_DEP_3) | instskip(NEXT) | instid1(VALU_DEP_3)
	v_lshl_add_u64 v[10:11], v[10:11], 1, v[8:9]
	v_lshl_add_u64 v[12:13], v[12:13], 1, v[8:9]
	s_branch .LBB1238_650
.LBB1238_649:                           ;   in Loop: Header=BB1238_650 Depth=1
	s_or_b32 exec_lo, exec_lo, s19
	s_delay_alu instid0(SALU_CYCLE_1) | instskip(SKIP_4) | instid1(SALU_CYCLE_1)
	s_and_b32 s1, exec_lo, s18
	s_mov_b32 s19, s17
	s_or_b32 s14, s1, s14
	s_and_not1_b32 s1, s15, exec_lo
	s_and_b32 s15, s16, exec_lo
	s_or_b32 s15, s1, s15
	s_and_not1_b32 exec_lo, exec_lo, s14
	s_cbranch_execz .LBB1238_664
.LBB1238_650:                           ; =>This Inner Loop Header: Depth=1
	flat_load_u16 v36, v[12:13]
	flat_load_u16 v37, v[10:11]
	s_mov_b32 s18, -1
	s_mov_b32 s20, 0
	s_mov_b32 s17, -1
	s_mov_b32 s21, exec_lo
	s_wait_loadcnt_dscnt 0x0
	v_cmpx_nlt_f16_e32 v36, v37
; %bb.651:                              ;   in Loop: Header=BB1238_650 Depth=1
	v_cmp_ngt_f16_e64 s1, v36, v37
	s_and_b32 s17, s1, s19
	s_and_b32 s20, s1, exec_lo
	s_or_not1_b32 s17, s17, exec_lo
; %bb.652:                              ;   in Loop: Header=BB1238_650 Depth=1
	s_or_b32 exec_lo, exec_lo, s21
	s_delay_alu instid0(SALU_CYCLE_1) | instskip(SKIP_1) | instid1(SALU_CYCLE_1)
	s_and_not1_b32 s1, s16, exec_lo
	s_and_b32 s16, s17, exec_lo
	s_or_b32 s16, s1, s16
	s_and_saveexec_b32 s19, s20
	s_cbranch_execz .LBB1238_649
; %bb.653:                              ;   in Loop: Header=BB1238_650 Depth=1
	v_add_nc_u64_e32 v[32:33], -1, v[32:33]
	v_add_nc_u64_e32 v[10:11], 2, v[10:11]
	v_add_nc_u64_e32 v[12:13], 2, v[12:13]
	s_and_not1_b32 s16, s16, exec_lo
	s_delay_alu instid0(VALU_DEP_3)
	v_cmp_eq_u64_e64 s1, 0, v[32:33]
	s_or_not1_b32 s18, s1, exec_lo
	s_branch .LBB1238_649
.LBB1238_654:
	s_or_b32 exec_lo, exec_lo, s21
	s_xor_b32 s9, s22, -1
	s_and_not1_b32 s17, s17, exec_lo
	s_and_b32 s9, s9, exec_lo
	s_delay_alu instid0(SALU_CYCLE_1)
	s_or_b32 s17, s17, s9
.LBB1238_655:
	s_or_b32 exec_lo, exec_lo, s20
	s_delay_alu instid0(SALU_CYCLE_1)
	s_or_not1_b32 s17, s17, exec_lo
.LBB1238_656:
	s_or_b32 exec_lo, exec_lo, s19
	v_dual_cndmask_b32 v14, v38, v39, s17 :: v_dual_cndmask_b32 v15, v115, v114, s17
	s_mov_b32 s19, exec_lo
	s_delay_alu instid0(VALU_DEP_1) | instskip(NEXT) | instid1(VALU_DEP_1)
	v_add_nc_u32_e32 v14, 1, v14
	v_add_min_u32_e64 v15, v15, -1, v14
	s_delay_alu instid0(VALU_DEP_1)
	v_lshl_add_u32 v15, v15, 3, v30
	ds_load_b64 v[16:17], v15
	s_wait_dscnt 0x0
	v_dual_cndmask_b32 v15, v17, v21, s17 :: v_dual_cndmask_b32 v50, v14, v38, s17
	v_dual_cndmask_b32 v51, v39, v14, s17 :: v_dual_cndmask_b32 v36, v34, v16, s17
	;; [unrolled: 1-line block ×3, first 2 shown]
	s_delay_alu instid0(VALU_DEP_3)
	v_cmpx_lt_u32_e64 v50, v115
	s_cbranch_execz .LBB1238_676
; %bb.657:
	s_delay_alu instid0(VALU_DEP_3) | instskip(SKIP_1) | instid1(SALU_CYCLE_1)
	v_cmp_lt_u32_e64 s18, v51, v114
	s_and_b32 s9, s18, s14
	s_and_saveexec_b32 s20, s9
	s_cbranch_execz .LBB1238_675
; %bb.658:
	v_mul_u64_e32 v[16:17], v[36:37], v[6:7]
	v_mul_u64_e32 v[38:39], v[14:15], v[6:7]
	v_mov_b64_e32 v[48:49], v[6:7]
	s_mov_b32 s21, 0
                                        ; implicit-def: $sgpr22
                                        ; implicit-def: $sgpr23
                                        ; implicit-def: $sgpr26
	s_delay_alu instid0(VALU_DEP_3) | instskip(NEXT) | instid1(VALU_DEP_3)
	v_lshl_add_u64 v[16:17], v[16:17], 1, v[8:9]
	v_lshl_add_u64 v[38:39], v[38:39], 1, v[8:9]
	s_branch .LBB1238_660
.LBB1238_659:                           ;   in Loop: Header=BB1238_660 Depth=1
	s_or_b32 exec_lo, exec_lo, s26
	s_delay_alu instid0(SALU_CYCLE_1) | instskip(SKIP_4) | instid1(SALU_CYCLE_1)
	s_and_b32 s9, exec_lo, s25
	s_mov_b32 s26, s24
	s_or_b32 s21, s9, s21
	s_and_not1_b32 s9, s22, exec_lo
	s_and_b32 s22, s23, exec_lo
	s_or_b32 s22, s9, s22
	s_and_not1_b32 exec_lo, exec_lo, s21
	s_cbranch_execz .LBB1238_674
.LBB1238_660:                           ; =>This Inner Loop Header: Depth=1
	flat_load_u16 v52, v[38:39]
	flat_load_u16 v53, v[16:17]
	s_mov_b32 s25, -1
	s_mov_b32 s27, 0
	s_mov_b32 s24, -1
	s_mov_b32 s28, exec_lo
	s_wait_loadcnt_dscnt 0x0
	v_cmpx_nlt_f16_e32 v52, v53
; %bb.661:                              ;   in Loop: Header=BB1238_660 Depth=1
	v_cmp_ngt_f16_e64 s9, v52, v53
	s_and_b32 s24, s9, s26
	s_and_b32 s27, s9, exec_lo
	s_or_not1_b32 s24, s24, exec_lo
; %bb.662:                              ;   in Loop: Header=BB1238_660 Depth=1
	s_or_b32 exec_lo, exec_lo, s28
	s_delay_alu instid0(SALU_CYCLE_1) | instskip(SKIP_1) | instid1(SALU_CYCLE_1)
	s_and_not1_b32 s9, s23, exec_lo
	s_and_b32 s23, s24, exec_lo
	s_or_b32 s23, s9, s23
	s_and_saveexec_b32 s26, s27
	s_cbranch_execz .LBB1238_659
; %bb.663:                              ;   in Loop: Header=BB1238_660 Depth=1
	v_add_nc_u64_e32 v[48:49], -1, v[48:49]
	v_add_nc_u64_e32 v[16:17], 2, v[16:17]
	v_add_nc_u64_e32 v[38:39], 2, v[38:39]
	s_and_not1_b32 s23, s23, exec_lo
	s_delay_alu instid0(VALU_DEP_3)
	v_cmp_eq_u64_e64 s9, 0, v[48:49]
	s_or_not1_b32 s25, s9, exec_lo
	s_branch .LBB1238_659
.LBB1238_664:
	s_or_b32 exec_lo, exec_lo, s14
	s_xor_b32 s1, s15, -1
	s_and_not1_b32 s7, s7, exec_lo
	s_and_b32 s1, s1, exec_lo
	s_delay_alu instid0(SALU_CYCLE_1)
	s_or_b32 s7, s7, s1
.LBB1238_665:
	s_or_b32 exec_lo, exec_lo, s13
	s_delay_alu instid0(SALU_CYCLE_1)
	s_or_not1_b32 s7, s7, exec_lo
.LBB1238_666:
	s_or_b32 exec_lo, exec_lo, s12
	v_cndmask_b32_e64 v10, v34, v35, s7
	v_cndmask_b32_e64 v11, v112, v103, s7
	s_mov_b32 s12, exec_lo
	s_delay_alu instid0(VALU_DEP_2) | instskip(NEXT) | instid1(VALU_DEP_1)
	v_add_nc_u32_e32 v10, 1, v10
	v_add_min_u32_e64 v11, v11, -1, v10
	s_delay_alu instid0(VALU_DEP_1)
	v_lshl_add_u32 v11, v11, 3, v22
	ds_load_b64 v[12:13], v11
	v_cndmask_b32_e64 v38, v10, v34, s7
	s_wait_dscnt 0x0
	v_dual_cndmask_b32 v39, v35, v10, s7 :: v_dual_cndmask_b32 v32, v30, v12, s7
	v_dual_cndmask_b32 v11, v13, v17, s7 :: v_dual_cndmask_b32 v10, v12, v16, s7
	v_cndmask_b32_e64 v33, v31, v13, s7
	v_cmpx_lt_u32_e64 v38, v112
	s_cbranch_execz .LBB1238_686
; %bb.667:
	v_cmp_lt_u32_e64 s11, v39, v103
	s_xor_b32 s1, s0, -1
	s_delay_alu instid0(SALU_CYCLE_1) | instskip(NEXT) | instid1(SALU_CYCLE_1)
	s_and_b32 s1, s11, s1
	s_and_saveexec_b32 s13, s1
	s_cbranch_execz .LBB1238_685
; %bb.668:
	v_mul_u64_e32 v[12:13], v[32:33], v[6:7]
	v_mul_u64_e32 v[34:35], v[10:11], v[6:7]
	v_mov_b64_e32 v[36:37], v[6:7]
	s_mov_b32 s14, 0
                                        ; implicit-def: $sgpr15
                                        ; implicit-def: $sgpr16
                                        ; implicit-def: $sgpr19
	s_delay_alu instid0(VALU_DEP_3) | instskip(NEXT) | instid1(VALU_DEP_3)
	v_lshl_add_u64 v[12:13], v[12:13], 1, v[8:9]
	v_lshl_add_u64 v[34:35], v[34:35], 1, v[8:9]
	s_branch .LBB1238_670
.LBB1238_669:                           ;   in Loop: Header=BB1238_670 Depth=1
	s_or_b32 exec_lo, exec_lo, s19
	s_delay_alu instid0(SALU_CYCLE_1) | instskip(SKIP_4) | instid1(SALU_CYCLE_1)
	s_and_b32 s1, exec_lo, s18
	s_mov_b32 s19, s17
	s_or_b32 s14, s1, s14
	s_and_not1_b32 s1, s15, exec_lo
	s_and_b32 s15, s16, exec_lo
	s_or_b32 s15, s1, s15
	s_and_not1_b32 exec_lo, exec_lo, s14
	s_cbranch_execz .LBB1238_684
.LBB1238_670:                           ; =>This Inner Loop Header: Depth=1
	flat_load_u16 v48, v[34:35]
	flat_load_u16 v49, v[12:13]
	s_mov_b32 s18, -1
	s_mov_b32 s20, 0
	s_mov_b32 s17, -1
	s_mov_b32 s21, exec_lo
	s_wait_loadcnt_dscnt 0x0
	v_cmpx_nlt_f16_e32 v48, v49
; %bb.671:                              ;   in Loop: Header=BB1238_670 Depth=1
	v_cmp_ngt_f16_e64 s1, v48, v49
	s_and_b32 s17, s1, s19
	s_and_b32 s20, s1, exec_lo
	s_or_not1_b32 s17, s17, exec_lo
; %bb.672:                              ;   in Loop: Header=BB1238_670 Depth=1
	s_or_b32 exec_lo, exec_lo, s21
	s_delay_alu instid0(SALU_CYCLE_1) | instskip(SKIP_1) | instid1(SALU_CYCLE_1)
	s_and_not1_b32 s1, s16, exec_lo
	s_and_b32 s16, s17, exec_lo
	s_or_b32 s16, s1, s16
	s_and_saveexec_b32 s19, s20
	s_cbranch_execz .LBB1238_669
; %bb.673:                              ;   in Loop: Header=BB1238_670 Depth=1
	v_add_nc_u64_e32 v[36:37], -1, v[36:37]
	v_add_nc_u64_e32 v[12:13], 2, v[12:13]
	v_add_nc_u64_e32 v[34:35], 2, v[34:35]
	s_and_not1_b32 s16, s16, exec_lo
	s_delay_alu instid0(VALU_DEP_3)
	v_cmp_eq_u64_e64 s1, 0, v[36:37]
	s_or_not1_b32 s18, s1, exec_lo
	s_branch .LBB1238_669
.LBB1238_674:
	s_or_b32 exec_lo, exec_lo, s21
	s_xor_b32 s9, s22, -1
	s_and_not1_b32 s18, s18, exec_lo
	s_and_b32 s9, s9, exec_lo
	s_delay_alu instid0(SALU_CYCLE_1)
	s_or_b32 s18, s18, s9
.LBB1238_675:
	s_or_b32 exec_lo, exec_lo, s20
	s_delay_alu instid0(SALU_CYCLE_1)
	s_or_not1_b32 s18, s18, exec_lo
.LBB1238_676:
	s_or_b32 exec_lo, exec_lo, s19
	v_dual_cndmask_b32 v16, v50, v51, s18 :: v_dual_cndmask_b32 v17, v115, v114, s18
	s_mov_b32 s19, -1
	s_mov_b32 s20, -1
	s_mov_b32 s21, exec_lo
	s_delay_alu instid0(VALU_DEP_1) | instskip(NEXT) | instid1(VALU_DEP_1)
	v_add_nc_u32_e32 v16, 1, v16
	v_add_min_u32_e64 v17, v17, -1, v16
	s_delay_alu instid0(VALU_DEP_1)
	v_lshl_add_u32 v17, v17, 3, v30
	ds_load_b64 v[38:39], v17
	s_wait_dscnt 0x0
	v_dual_cndmask_b32 v17, v39, v15, s18 :: v_dual_cndmask_b32 v54, v16, v50, s18
	v_dual_cndmask_b32 v55, v51, v16, s18 :: v_dual_cndmask_b32 v16, v38, v14, s18
	;; [unrolled: 1-line block ×3, first 2 shown]
	s_delay_alu instid0(VALU_DEP_3)
	v_cmpx_lt_u32_e64 v54, v115
	s_cbranch_execz .LBB1238_696
; %bb.677:
	s_delay_alu instid0(VALU_DEP_3) | instskip(SKIP_1) | instid1(SALU_CYCLE_1)
	v_cmp_lt_u32_e64 s20, v55, v114
	s_and_b32 s9, s20, s14
	s_and_saveexec_b32 s22, s9
	s_cbranch_execz .LBB1238_695
; %bb.678:
	v_mul_u64_e32 v[48:49], v[38:39], v[6:7]
	v_mul_u64_e32 v[50:51], v[16:17], v[6:7]
	v_mov_b64_e32 v[52:53], v[6:7]
	s_mov_b32 s23, 0
                                        ; implicit-def: $sgpr24
                                        ; implicit-def: $sgpr25
                                        ; implicit-def: $sgpr28
	s_delay_alu instid0(VALU_DEP_3) | instskip(NEXT) | instid1(VALU_DEP_3)
	v_lshl_add_u64 v[48:49], v[48:49], 1, v[8:9]
	v_lshl_add_u64 v[50:51], v[50:51], 1, v[8:9]
	s_branch .LBB1238_680
.LBB1238_679:                           ;   in Loop: Header=BB1238_680 Depth=1
	s_or_b32 exec_lo, exec_lo, s28
	s_delay_alu instid0(SALU_CYCLE_1) | instskip(SKIP_4) | instid1(SALU_CYCLE_1)
	s_and_b32 s9, exec_lo, s27
	s_mov_b32 s28, s26
	s_or_b32 s23, s9, s23
	s_and_not1_b32 s9, s24, exec_lo
	s_and_b32 s24, s25, exec_lo
	s_or_b32 s24, s9, s24
	s_and_not1_b32 exec_lo, exec_lo, s23
	s_cbranch_execz .LBB1238_694
.LBB1238_680:                           ; =>This Inner Loop Header: Depth=1
	flat_load_u16 v64, v[50:51]
	flat_load_u16 v65, v[48:49]
	s_mov_b32 s27, -1
	s_mov_b32 s29, 0
	s_mov_b32 s26, -1
	s_mov_b32 s40, exec_lo
	s_wait_loadcnt_dscnt 0x0
	v_cmpx_nlt_f16_e32 v64, v65
; %bb.681:                              ;   in Loop: Header=BB1238_680 Depth=1
	v_cmp_ngt_f16_e64 s9, v64, v65
	s_and_b32 s26, s9, s28
	s_and_b32 s29, s9, exec_lo
	s_or_not1_b32 s26, s26, exec_lo
; %bb.682:                              ;   in Loop: Header=BB1238_680 Depth=1
	s_or_b32 exec_lo, exec_lo, s40
	s_delay_alu instid0(SALU_CYCLE_1) | instskip(SKIP_1) | instid1(SALU_CYCLE_1)
	s_and_not1_b32 s9, s25, exec_lo
	s_and_b32 s25, s26, exec_lo
	s_or_b32 s25, s9, s25
	s_and_saveexec_b32 s28, s29
	s_cbranch_execz .LBB1238_679
; %bb.683:                              ;   in Loop: Header=BB1238_680 Depth=1
	v_add_nc_u64_e32 v[52:53], -1, v[52:53]
	v_add_nc_u64_e32 v[48:49], 2, v[48:49]
	v_add_nc_u64_e32 v[50:51], 2, v[50:51]
	s_and_not1_b32 s25, s25, exec_lo
	s_delay_alu instid0(VALU_DEP_3)
	v_cmp_eq_u64_e64 s9, 0, v[52:53]
	s_or_not1_b32 s27, s9, exec_lo
	s_branch .LBB1238_679
.LBB1238_684:
	s_or_b32 exec_lo, exec_lo, s14
	s_xor_b32 s1, s15, -1
	s_and_not1_b32 s11, s11, exec_lo
	s_and_b32 s1, s1, exec_lo
	s_delay_alu instid0(SALU_CYCLE_1)
	s_or_b32 s11, s11, s1
.LBB1238_685:
	s_or_b32 exec_lo, exec_lo, s13
	s_delay_alu instid0(SALU_CYCLE_1)
	s_or_not1_b32 s11, s11, exec_lo
.LBB1238_686:
	s_or_b32 exec_lo, exec_lo, s12
	v_cndmask_b32_e64 v12, v38, v39, s11
	v_cndmask_b32_e64 v13, v112, v103, s11
	s_mov_b32 s12, -1
	s_mov_b32 s13, -1
	s_mov_b32 s14, exec_lo
	v_add_nc_u32_e32 v12, 1, v12
	s_delay_alu instid0(VALU_DEP_1) | instskip(SKIP_1) | instid1(VALU_DEP_2)
	v_add_min_u32_e64 v13, v13, -1, v12
	v_dual_cndmask_b32 v50, v12, v38, s11 :: v_dual_cndmask_b32 v51, v39, v12, s11
	v_lshl_add_u32 v13, v13, 3, v22
	ds_load_b64 v[34:35], v13
	s_wait_dscnt 0x0
	v_dual_cndmask_b32 v13, v35, v11, s11 :: v_dual_cndmask_b32 v12, v34, v10, s11
	v_dual_cndmask_b32 v35, v33, v35, s11 :: v_dual_cndmask_b32 v34, v32, v34, s11
	v_cmpx_lt_u32_e64 v50, v112
	s_cbranch_execz .LBB1238_706
; %bb.687:
	v_cmp_lt_u32_e64 s13, v51, v103
	s_xor_b32 s1, s0, -1
	s_delay_alu instid0(SALU_CYCLE_1) | instskip(NEXT) | instid1(SALU_CYCLE_1)
	s_and_b32 s1, s13, s1
	s_and_saveexec_b32 s15, s1
	s_cbranch_execz .LBB1238_705
; %bb.688:
	v_mul_u64_e32 v[36:37], v[34:35], v[6:7]
	v_mul_u64_e32 v[38:39], v[12:13], v[6:7]
	v_mov_b64_e32 v[48:49], v[6:7]
	s_mov_b32 s16, 0
                                        ; implicit-def: $sgpr17
                                        ; implicit-def: $sgpr18
                                        ; implicit-def: $sgpr21
	s_delay_alu instid0(VALU_DEP_3) | instskip(NEXT) | instid1(VALU_DEP_3)
	v_lshl_add_u64 v[36:37], v[36:37], 1, v[8:9]
	v_lshl_add_u64 v[38:39], v[38:39], 1, v[8:9]
	s_branch .LBB1238_690
.LBB1238_689:                           ;   in Loop: Header=BB1238_690 Depth=1
	s_or_b32 exec_lo, exec_lo, s21
	s_delay_alu instid0(SALU_CYCLE_1) | instskip(SKIP_4) | instid1(SALU_CYCLE_1)
	s_and_b32 s1, exec_lo, s20
	s_mov_b32 s21, s19
	s_or_b32 s16, s1, s16
	s_and_not1_b32 s1, s17, exec_lo
	s_and_b32 s17, s18, exec_lo
	s_or_b32 s17, s1, s17
	s_and_not1_b32 exec_lo, exec_lo, s16
	s_cbranch_execz .LBB1238_704
.LBB1238_690:                           ; =>This Inner Loop Header: Depth=1
	flat_load_u16 v52, v[38:39]
	flat_load_u16 v53, v[36:37]
	s_mov_b32 s20, -1
	s_mov_b32 s22, 0
	s_mov_b32 s19, -1
	s_mov_b32 s23, exec_lo
	s_wait_loadcnt_dscnt 0x0
	v_cmpx_nlt_f16_e32 v52, v53
; %bb.691:                              ;   in Loop: Header=BB1238_690 Depth=1
	v_cmp_ngt_f16_e64 s1, v52, v53
	s_and_b32 s19, s1, s21
	s_and_b32 s22, s1, exec_lo
	s_or_not1_b32 s19, s19, exec_lo
; %bb.692:                              ;   in Loop: Header=BB1238_690 Depth=1
	s_or_b32 exec_lo, exec_lo, s23
	s_delay_alu instid0(SALU_CYCLE_1) | instskip(SKIP_1) | instid1(SALU_CYCLE_1)
	s_and_not1_b32 s1, s18, exec_lo
	s_and_b32 s18, s19, exec_lo
	s_or_b32 s18, s1, s18
	s_and_saveexec_b32 s21, s22
	s_cbranch_execz .LBB1238_689
; %bb.693:                              ;   in Loop: Header=BB1238_690 Depth=1
	v_add_nc_u64_e32 v[48:49], -1, v[48:49]
	v_add_nc_u64_e32 v[36:37], 2, v[36:37]
	v_add_nc_u64_e32 v[38:39], 2, v[38:39]
	s_and_not1_b32 s18, s18, exec_lo
	s_delay_alu instid0(VALU_DEP_3)
	v_cmp_eq_u64_e64 s1, 0, v[48:49]
	s_or_not1_b32 s20, s1, exec_lo
	s_branch .LBB1238_689
.LBB1238_694:
	s_or_b32 exec_lo, exec_lo, s23
	s_xor_b32 s9, s24, -1
	s_and_not1_b32 s20, s20, exec_lo
	s_and_b32 s9, s9, exec_lo
	s_delay_alu instid0(SALU_CYCLE_1)
	s_or_b32 s20, s20, s9
.LBB1238_695:
	s_or_b32 exec_lo, exec_lo, s22
	s_delay_alu instid0(SALU_CYCLE_1)
	s_or_not1_b32 s20, s20, exec_lo
.LBB1238_696:
	s_or_b32 exec_lo, exec_lo, s21
	v_dual_cndmask_b32 v48, v54, v55, s20 :: v_dual_cndmask_b32 v49, v115, v114, s20
	s_mov_b32 s21, exec_lo
	s_delay_alu instid0(VALU_DEP_1) | instskip(NEXT) | instid1(VALU_DEP_1)
	v_add_nc_u32_e32 v48, 1, v48
	v_add_min_u32_e64 v49, v49, -1, v48
	s_delay_alu instid0(VALU_DEP_1)
	v_lshl_add_u32 v49, v49, 3, v30
	ds_load_b64 v[50:51], v49
	s_wait_dscnt 0x0
	v_dual_cndmask_b32 v49, v51, v17, s20 :: v_dual_cndmask_b32 v117, v48, v54, s20
	v_cndmask_b32_e64 v116, v55, v48, s20
	v_dual_cndmask_b32 v48, v50, v16, s20 :: v_dual_cndmask_b32 v51, v39, v51, s20
	v_cndmask_b32_e64 v50, v38, v50, s20
	s_delay_alu instid0(VALU_DEP_4)
	v_cmpx_lt_u32_e64 v117, v115
	s_cbranch_execz .LBB1238_716
; %bb.697:
	v_cmp_lt_u32_e64 s19, v116, v114
	s_and_b32 s9, s19, s14
	s_delay_alu instid0(SALU_CYCLE_1)
	s_and_saveexec_b32 s22, s9
	s_cbranch_execz .LBB1238_715
; %bb.698:
	v_mul_u64_e32 v[52:53], v[50:51], v[6:7]
	v_mul_u64_e32 v[54:55], v[48:49], v[6:7]
	v_mov_b64_e32 v[64:65], v[6:7]
	s_mov_b32 s23, 0
                                        ; implicit-def: $sgpr24
                                        ; implicit-def: $sgpr25
                                        ; implicit-def: $sgpr28
	s_delay_alu instid0(VALU_DEP_3) | instskip(NEXT) | instid1(VALU_DEP_3)
	v_lshl_add_u64 v[52:53], v[52:53], 1, v[8:9]
	v_lshl_add_u64 v[54:55], v[54:55], 1, v[8:9]
	s_branch .LBB1238_700
.LBB1238_699:                           ;   in Loop: Header=BB1238_700 Depth=1
	s_or_b32 exec_lo, exec_lo, s28
	s_delay_alu instid0(SALU_CYCLE_1) | instskip(SKIP_4) | instid1(SALU_CYCLE_1)
	s_and_b32 s9, exec_lo, s27
	s_mov_b32 s28, s26
	s_or_b32 s23, s9, s23
	s_and_not1_b32 s9, s24, exec_lo
	s_and_b32 s24, s25, exec_lo
	s_or_b32 s24, s9, s24
	s_and_not1_b32 exec_lo, exec_lo, s23
	s_cbranch_execz .LBB1238_714
.LBB1238_700:                           ; =>This Inner Loop Header: Depth=1
	flat_load_u16 v118, v[54:55]
	flat_load_u16 v119, v[52:53]
	s_mov_b32 s27, -1
	s_mov_b32 s29, 0
	s_mov_b32 s26, -1
	s_mov_b32 s40, exec_lo
	s_wait_loadcnt_dscnt 0x0
	v_cmpx_nlt_f16_e32 v118, v119
; %bb.701:                              ;   in Loop: Header=BB1238_700 Depth=1
	v_cmp_ngt_f16_e64 s9, v118, v119
	s_and_b32 s26, s9, s28
	s_and_b32 s29, s9, exec_lo
	s_or_not1_b32 s26, s26, exec_lo
; %bb.702:                              ;   in Loop: Header=BB1238_700 Depth=1
	s_or_b32 exec_lo, exec_lo, s40
	s_delay_alu instid0(SALU_CYCLE_1) | instskip(SKIP_1) | instid1(SALU_CYCLE_1)
	s_and_not1_b32 s9, s25, exec_lo
	s_and_b32 s25, s26, exec_lo
	s_or_b32 s25, s9, s25
	s_and_saveexec_b32 s28, s29
	s_cbranch_execz .LBB1238_699
; %bb.703:                              ;   in Loop: Header=BB1238_700 Depth=1
	v_add_nc_u64_e32 v[64:65], -1, v[64:65]
	v_add_nc_u64_e32 v[52:53], 2, v[52:53]
	v_add_nc_u64_e32 v[54:55], 2, v[54:55]
	s_and_not1_b32 s25, s25, exec_lo
	s_delay_alu instid0(VALU_DEP_3)
	v_cmp_eq_u64_e64 s9, 0, v[64:65]
	s_or_not1_b32 s27, s9, exec_lo
	s_branch .LBB1238_699
.LBB1238_704:
	s_or_b32 exec_lo, exec_lo, s16
	s_xor_b32 s1, s17, -1
	s_and_not1_b32 s13, s13, exec_lo
	s_and_b32 s1, s1, exec_lo
	s_delay_alu instid0(SALU_CYCLE_1)
	s_or_b32 s13, s13, s1
.LBB1238_705:
	s_or_b32 exec_lo, exec_lo, s15
	s_delay_alu instid0(SALU_CYCLE_1)
	s_or_not1_b32 s13, s13, exec_lo
.LBB1238_706:
	s_or_b32 exec_lo, exec_lo, s14
	v_cndmask_b32_e64 v36, v50, v51, s13
	v_cndmask_b32_e64 v37, v112, v103, s13
	s_mov_b32 s14, exec_lo
	s_delay_alu instid0(VALU_DEP_2) | instskip(NEXT) | instid1(VALU_DEP_1)
	v_add_nc_u32_e32 v36, 1, v36
	v_add_min_u32_e64 v37, v37, -1, v36
	v_dual_cndmask_b32 v114, v36, v50, s13 :: v_dual_cndmask_b32 v113, v51, v36, s13
	s_delay_alu instid0(VALU_DEP_2)
	v_lshl_add_u32 v37, v37, 3, v22
	ds_load_b64 v[38:39], v37
	s_wait_dscnt 0x0
	v_dual_cndmask_b32 v37, v39, v13, s13 :: v_dual_cndmask_b32 v36, v38, v12, s13
	v_dual_cndmask_b32 v39, v35, v39, s13 :: v_dual_cndmask_b32 v38, v34, v38, s13
	v_cmpx_lt_u32_e64 v114, v112
	s_cbranch_execz .LBB1238_726
; %bb.707:
	v_cmp_lt_u32_e64 s12, v113, v103
	s_xor_b32 s1, s0, -1
	s_delay_alu instid0(SALU_CYCLE_1) | instskip(NEXT) | instid1(SALU_CYCLE_1)
	s_and_b32 s1, s12, s1
	s_and_saveexec_b32 s15, s1
	s_cbranch_execz .LBB1238_725
; %bb.708:
	v_mul_u64_e32 v[48:49], v[38:39], v[6:7]
	v_mul_u64_e32 v[50:51], v[36:37], v[6:7]
	v_mov_b64_e32 v[52:53], v[6:7]
	s_mov_b32 s16, 0
                                        ; implicit-def: $sgpr17
                                        ; implicit-def: $sgpr18
                                        ; implicit-def: $sgpr21
	s_delay_alu instid0(VALU_DEP_3) | instskip(NEXT) | instid1(VALU_DEP_3)
	v_lshl_add_u64 v[48:49], v[48:49], 1, v[8:9]
	v_lshl_add_u64 v[50:51], v[50:51], 1, v[8:9]
	s_branch .LBB1238_710
.LBB1238_709:                           ;   in Loop: Header=BB1238_710 Depth=1
	s_or_b32 exec_lo, exec_lo, s21
	s_delay_alu instid0(SALU_CYCLE_1) | instskip(SKIP_4) | instid1(SALU_CYCLE_1)
	s_and_b32 s1, exec_lo, s20
	s_mov_b32 s21, s19
	s_or_b32 s16, s1, s16
	s_and_not1_b32 s1, s17, exec_lo
	s_and_b32 s17, s18, exec_lo
	s_or_b32 s17, s1, s17
	s_and_not1_b32 exec_lo, exec_lo, s16
	s_cbranch_execz .LBB1238_724
.LBB1238_710:                           ; =>This Inner Loop Header: Depth=1
	flat_load_u16 v115, v[50:51]
	flat_load_u16 v116, v[48:49]
	s_mov_b32 s20, -1
	s_mov_b32 s22, 0
	s_mov_b32 s19, -1
	s_mov_b32 s23, exec_lo
	s_wait_loadcnt_dscnt 0x0
	v_cmpx_nlt_f16_e32 v115, v116
; %bb.711:                              ;   in Loop: Header=BB1238_710 Depth=1
	v_cmp_ngt_f16_e64 s1, v115, v116
	s_and_b32 s19, s1, s21
	s_and_b32 s22, s1, exec_lo
	s_or_not1_b32 s19, s19, exec_lo
; %bb.712:                              ;   in Loop: Header=BB1238_710 Depth=1
	s_or_b32 exec_lo, exec_lo, s23
	s_delay_alu instid0(SALU_CYCLE_1) | instskip(SKIP_1) | instid1(SALU_CYCLE_1)
	s_and_not1_b32 s1, s18, exec_lo
	s_and_b32 s18, s19, exec_lo
	s_or_b32 s18, s1, s18
	s_and_saveexec_b32 s21, s22
	s_cbranch_execz .LBB1238_709
; %bb.713:                              ;   in Loop: Header=BB1238_710 Depth=1
	v_add_nc_u64_e32 v[52:53], -1, v[52:53]
	v_add_nc_u64_e32 v[48:49], 2, v[48:49]
	v_add_nc_u64_e32 v[50:51], 2, v[50:51]
	s_and_not1_b32 s18, s18, exec_lo
	s_delay_alu instid0(VALU_DEP_3)
	v_cmp_eq_u64_e64 s1, 0, v[52:53]
	s_or_not1_b32 s20, s1, exec_lo
	s_branch .LBB1238_709
.LBB1238_714:
	s_or_b32 exec_lo, exec_lo, s23
	s_xor_b32 s9, s24, -1
	s_and_not1_b32 s19, s19, exec_lo
	s_and_b32 s9, s9, exec_lo
	s_delay_alu instid0(SALU_CYCLE_1)
	s_or_b32 s19, s19, s9
.LBB1238_715:
	s_or_b32 exec_lo, exec_lo, s22
	s_delay_alu instid0(SALU_CYCLE_1)
	s_or_not1_b32 s19, s19, exec_lo
.LBB1238_716:
	s_or_b32 exec_lo, exec_lo, s21
	v_dual_cndmask_b32 v52, v117, v116, s19 :: v_dual_cndmask_b32 v53, v115, v114, s19
	v_dual_cndmask_b32 v16, v16, v38, s20 :: v_dual_cndmask_b32 v15, v15, v37, s18
	;; [unrolled: 1-line block ×3, first 2 shown]
	s_delay_alu instid0(VALU_DEP_3) | instskip(SKIP_2) | instid1(VALU_DEP_3)
	v_dual_add_nc_u32 v54, 1, v52 :: v_dual_cndmask_b32 v17, v17, v39, s20
	v_dual_cndmask_b32 v20, v20, v34, s17 :: v_dual_cndmask_b32 v19, v19, v33, s16
	v_dual_cndmask_b32 v18, v18, v32, s16 :: v_dual_cndmask_b32 v25, v23, v25, s11
	v_add_min_u32_e64 v52, v53, -1, v54
	v_dual_cndmask_b32 v24, v22, v24, s11 :: v_dual_cndmask_b32 v23, v13, v11, s10
	v_dual_cndmask_b32 v22, v12, v10, s10 :: v_dual_cndmask_b32 v32, v54, v117, s19
	s_delay_alu instid0(VALU_DEP_3)
	v_lshl_add_u32 v52, v52, 3, v30
	v_dual_cndmask_b32 v11, v49, v51, s19 :: v_dual_cndmask_b32 v10, v48, v50, s19
	s_mov_b32 s10, exec_lo
	ds_load_b64 v[52:53], v52
	s_wait_dscnt 0x0
	v_dual_cndmask_b32 v13, v51, v53, s19 :: v_dual_cndmask_b32 v12, v50, v52, s19
	v_cmpx_lt_u32_e64 v32, v115
	s_cbranch_execz .LBB1238_736
; %bb.717:
	v_dual_cndmask_b32 v34, v116, v54, s19 :: v_dual_cndmask_b32 v33, v53, v49, s19
	s_delay_alu instid0(VALU_DEP_1) | instskip(NEXT) | instid1(VALU_DEP_1)
	v_cmp_ge_u32_e64 s9, v34, v114
	v_dual_cndmask_b32 v32, v52, v48, s19 :: v_dual_cndmask_b32 v35, v13, v33, s9
	s_delay_alu instid0(VALU_DEP_1) | instskip(SKIP_1) | instid1(SALU_CYCLE_1)
	v_cndmask_b32_e64 v34, v12, v32, s9
	s_nor_b32 s9, s9, s8
	s_and_saveexec_b32 s11, s9
	s_cbranch_execz .LBB1238_735
; %bb.718:
	v_mul_u64_e32 v[34:35], v[12:13], v[6:7]
	v_mul_u64_e32 v[36:37], v[32:33], v[6:7]
	v_mov_b64_e32 v[38:39], v[6:7]
	s_mov_b32 s16, 0
                                        ; implicit-def: $sgpr17
                                        ; implicit-def: $sgpr18
                                        ; implicit-def: $sgpr21
	s_delay_alu instid0(VALU_DEP_3) | instskip(NEXT) | instid1(VALU_DEP_3)
	v_lshl_add_u64 v[34:35], v[34:35], 1, v[8:9]
	v_lshl_add_u64 v[36:37], v[36:37], 1, v[8:9]
	s_branch .LBB1238_720
.LBB1238_719:                           ;   in Loop: Header=BB1238_720 Depth=1
	s_or_b32 exec_lo, exec_lo, s21
	s_delay_alu instid0(SALU_CYCLE_1) | instskip(SKIP_4) | instid1(SALU_CYCLE_1)
	s_and_b32 s9, exec_lo, s20
	s_mov_b32 s21, s19
	s_or_b32 s16, s9, s16
	s_and_not1_b32 s9, s17, exec_lo
	s_and_b32 s17, s18, exec_lo
	s_or_b32 s17, s9, s17
	s_and_not1_b32 exec_lo, exec_lo, s16
	s_cbranch_execz .LBB1238_734
.LBB1238_720:                           ; =>This Inner Loop Header: Depth=1
	flat_load_u16 v48, v[36:37]
	flat_load_u16 v49, v[34:35]
	s_mov_b32 s20, -1
	s_mov_b32 s22, 0
	s_mov_b32 s19, -1
	s_mov_b32 s23, exec_lo
	s_wait_loadcnt_dscnt 0x0
	v_cmpx_nlt_f16_e32 v48, v49
; %bb.721:                              ;   in Loop: Header=BB1238_720 Depth=1
	v_cmp_ngt_f16_e64 s9, v48, v49
	s_and_b32 s19, s9, s21
	s_and_b32 s22, s9, exec_lo
	s_or_not1_b32 s19, s19, exec_lo
; %bb.722:                              ;   in Loop: Header=BB1238_720 Depth=1
	s_or_b32 exec_lo, exec_lo, s23
	s_delay_alu instid0(SALU_CYCLE_1) | instskip(SKIP_1) | instid1(SALU_CYCLE_1)
	s_and_not1_b32 s9, s18, exec_lo
	s_and_b32 s18, s19, exec_lo
	s_or_b32 s18, s9, s18
	s_and_saveexec_b32 s21, s22
	s_cbranch_execz .LBB1238_719
; %bb.723:                              ;   in Loop: Header=BB1238_720 Depth=1
	v_add_nc_u64_e32 v[38:39], -1, v[38:39]
	v_add_nc_u64_e32 v[34:35], 2, v[34:35]
	v_add_nc_u64_e32 v[36:37], 2, v[36:37]
	s_and_not1_b32 s18, s18, exec_lo
	s_delay_alu instid0(VALU_DEP_3)
	v_cmp_eq_u64_e64 s9, 0, v[38:39]
	s_or_not1_b32 s20, s9, exec_lo
	s_branch .LBB1238_719
.LBB1238_724:
	s_or_b32 exec_lo, exec_lo, s16
	s_xor_b32 s1, s17, -1
	s_and_not1_b32 s12, s12, exec_lo
	s_and_b32 s1, s1, exec_lo
	s_delay_alu instid0(SALU_CYCLE_1)
	s_or_b32 s12, s12, s1
.LBB1238_725:
	s_or_b32 exec_lo, exec_lo, s15
	s_delay_alu instid0(SALU_CYCLE_1)
	s_or_not1_b32 s12, s12, exec_lo
.LBB1238_726:
	s_or_b32 exec_lo, exec_lo, s14
	v_dual_cndmask_b32 v48, v114, v113, s12 :: v_dual_cndmask_b32 v49, v112, v103, s12
	v_dual_cndmask_b32 v12, v12, v34, s13 :: v_dual_cndmask_b32 v11, v11, v33, s11
	;; [unrolled: 1-line block ×3, first 2 shown]
	s_delay_alu instid0(VALU_DEP_3) | instskip(SKIP_2) | instid1(VALU_DEP_3)
	v_dual_add_nc_u32 v50, 1, v48 :: v_dual_cndmask_b32 v13, v13, v35, s13
	v_dual_cndmask_b32 v16, v16, v30, s7 :: v_dual_cndmask_b32 v15, v15, v25, s6
	v_dual_cndmask_b32 v14, v14, v24, s6 :: v_dual_cndmask_b32 v21, v19, v21, s3
	v_add_min_u32_e64 v48, v49, -1, v50
	v_dual_cndmask_b32 v20, v18, v20, s3 :: v_dual_cndmask_b32 v19, v3, v1, s2
	v_dual_cndmask_b32 v18, v2, v0, s2 :: v_dual_cndmask_b32 v1, v37, v39, s12
	s_delay_alu instid0(VALU_DEP_3)
	v_lshl_add_u32 v48, v48, 3, v22
	s_mov_b32 s2, exec_lo
	ds_load_b64 v[48:49], v48
	v_cndmask_b32_e64 v24, v50, v114, s12
	s_wait_dscnt 0x0
	v_dual_cndmask_b32 v0, v36, v38, s12 :: v_dual_cndmask_b32 v2, v38, v48, s12
	v_cndmask_b32_e64 v3, v39, v49, s12
	s_delay_alu instid0(VALU_DEP_3)
	v_cmpx_lt_u32_e64 v24, v112
	s_cbranch_execz .LBB1238_772
; %bb.727:
	v_dual_cndmask_b32 v30, v113, v50, s12 :: v_dual_cndmask_b32 v24, v48, v36, s12
	s_delay_alu instid0(VALU_DEP_1) | instskip(NEXT) | instid1(VALU_DEP_1)
	v_cmp_ge_u32_e64 s1, v30, v103
	v_dual_cndmask_b32 v25, v49, v37, s12 :: v_dual_cndmask_b32 v30, v2, v24, s1
	s_delay_alu instid0(VALU_DEP_1) | instskip(SKIP_1) | instid1(SALU_CYCLE_1)
	v_cndmask_b32_e64 v31, v3, v25, s1
	s_nor_b32 s1, s1, s0
	s_and_saveexec_b32 s3, s1
	s_cbranch_execz .LBB1238_771
; %bb.728:
	v_mul_u64_e32 v[30:31], v[2:3], v[6:7]
	v_mul_u64_e32 v[32:33], v[24:25], v[6:7]
	v_mov_b64_e32 v[34:35], v[6:7]
	s_mov_b32 s6, 0
                                        ; implicit-def: $sgpr7
                                        ; implicit-def: $sgpr11
                                        ; implicit-def: $sgpr14
	s_delay_alu instid0(VALU_DEP_3) | instskip(NEXT) | instid1(VALU_DEP_3)
	v_lshl_add_u64 v[30:31], v[30:31], 1, v[8:9]
	v_lshl_add_u64 v[32:33], v[32:33], 1, v[8:9]
	s_branch .LBB1238_730
.LBB1238_729:                           ;   in Loop: Header=BB1238_730 Depth=1
	s_or_b32 exec_lo, exec_lo, s14
	s_delay_alu instid0(SALU_CYCLE_1) | instskip(SKIP_4) | instid1(SALU_CYCLE_1)
	s_and_b32 s1, exec_lo, s13
	s_mov_b32 s14, s12
	s_or_b32 s6, s1, s6
	s_and_not1_b32 s1, s7, exec_lo
	s_and_b32 s7, s11, exec_lo
	s_or_b32 s7, s1, s7
	s_and_not1_b32 exec_lo, exec_lo, s6
	s_cbranch_execz .LBB1238_770
.LBB1238_730:                           ; =>This Inner Loop Header: Depth=1
	flat_load_u16 v36, v[32:33]
	flat_load_u16 v37, v[30:31]
	s_mov_b32 s13, -1
	s_mov_b32 s15, 0
	s_mov_b32 s12, -1
	s_mov_b32 s16, exec_lo
	s_wait_loadcnt_dscnt 0x0
	v_cmpx_nlt_f16_e32 v36, v37
; %bb.731:                              ;   in Loop: Header=BB1238_730 Depth=1
	v_cmp_ngt_f16_e64 s1, v36, v37
	s_and_b32 s12, s1, s14
	s_and_b32 s15, s1, exec_lo
	s_or_not1_b32 s12, s12, exec_lo
; %bb.732:                              ;   in Loop: Header=BB1238_730 Depth=1
	s_or_b32 exec_lo, exec_lo, s16
	s_delay_alu instid0(SALU_CYCLE_1) | instskip(SKIP_1) | instid1(SALU_CYCLE_1)
	s_and_not1_b32 s1, s11, exec_lo
	s_and_b32 s11, s12, exec_lo
	s_or_b32 s11, s1, s11
	s_and_saveexec_b32 s14, s15
	s_cbranch_execz .LBB1238_729
; %bb.733:                              ;   in Loop: Header=BB1238_730 Depth=1
	v_add_nc_u64_e32 v[34:35], -1, v[34:35]
	v_add_nc_u64_e32 v[30:31], 2, v[30:31]
	v_add_nc_u64_e32 v[32:33], 2, v[32:33]
	s_and_not1_b32 s11, s11, exec_lo
	s_delay_alu instid0(VALU_DEP_3)
	v_cmp_eq_u64_e64 s1, 0, v[34:35]
	s_or_not1_b32 s13, s1, exec_lo
	s_branch .LBB1238_729
.LBB1238_734:
	s_or_b32 exec_lo, exec_lo, s16
	v_dual_cndmask_b32 v35, v13, v33, s17 :: v_dual_cndmask_b32 v34, v12, v32, s17
.LBB1238_735:
	s_or_b32 exec_lo, exec_lo, s11
	s_delay_alu instid0(VALU_DEP_1)
	v_mov_b64_e32 v[12:13], v[34:35]
.LBB1238_736:
	s_or_b32 exec_lo, exec_lo, s10
.LBB1238_737:
	s_delay_alu instid0(SALU_CYCLE_1)
	s_or_b32 exec_lo, exec_lo, s15
	v_and_b32_e32 v50, 0xe0, v97
	s_mov_b32 s10, exec_lo
	; wave barrier
	ds_store_b64 v98, v[22:23]
	ds_store_b64 v113, v[24:25]
	v_or_b32_e32 v32, 16, v50
	ds_store_b64 v101, v[18:19]
	ds_store_b64 v102, v[20:21]
	;; [unrolled: 1-line block ×6, first 2 shown]
	; wave barrier
	v_min_u32_e32 v114, v96, v32
	v_and_b32_e32 v32, 24, v97
	s_delay_alu instid0(VALU_DEP_2) | instskip(NEXT) | instid1(VALU_DEP_2)
	v_add_min_u32_e64 v115, v114, 16, v96
	v_min_u32_e32 v51, v96, v32
	v_sub_nc_u32_e32 v33, v114, v50
	s_delay_alu instid0(VALU_DEP_3) | instskip(NEXT) | instid1(VALU_DEP_2)
	v_sub_nc_u32_e32 v32, v115, v114
	v_min_u32_e32 v53, v51, v33
	s_delay_alu instid0(VALU_DEP_2) | instskip(NEXT) | instid1(VALU_DEP_1)
	v_sub_nc_u32_e64 v52, v51, v32 clamp
	v_cmpx_lt_u32_e64 v52, v53
	s_cbranch_execz .LBB1238_749
; %bb.738:
	v_dual_mov_b32 v35, 0 :: v_dual_lshlrev_b32 v34, 3, v50
	s_mov_b32 s11, 0
	s_delay_alu instid0(VALU_DEP_1) | instskip(SKIP_1) | instid1(VALU_DEP_1)
	v_add_nc_u64_e32 v[32:33], v[30:31], v[34:35]
	v_lshlrev_b32_e32 v34, 3, v114
	v_add_nc_u64_e32 v[34:35], v[30:31], v[34:35]
	s_branch .LBB1238_741
.LBB1238_739:                           ;   in Loop: Header=BB1238_741 Depth=1
	s_or_b32 exec_lo, exec_lo, s16
	s_delay_alu instid0(SALU_CYCLE_1)
	s_and_b32 s9, s17, exec_lo
.LBB1238_740:                           ;   in Loop: Header=BB1238_741 Depth=1
	s_or_b32 exec_lo, exec_lo, s15
	s_delay_alu instid0(VALU_DEP_1) | instskip(NEXT) | instid1(VALU_DEP_1)
	v_dual_add_nc_u32 v35, 1, v33 :: v_dual_cndmask_b32 v53, v53, v33, s9
	v_cndmask_b32_e64 v52, v35, v52, s9
	s_delay_alu instid0(VALU_DEP_1) | instskip(SKIP_1) | instid1(SALU_CYCLE_1)
	v_cmp_ge_u32_e64 s9, v52, v53
	s_or_b32 s11, s9, s11
	s_and_not1_b32 exec_lo, exec_lo, s11
	s_cbranch_execz .LBB1238_748
.LBB1238_741:                           ; =>This Loop Header: Depth=1
                                        ;     Child Loop BB1238_744 Depth 2
	v_add_nc_u32_e32 v33, v53, v52
	s_mov_b32 s9, 0
	s_delay_alu instid0(VALU_DEP_1)
	v_lshrrev_b32_e32 v33, 1, v33
	s_and_saveexec_b32 s15, s7
	s_cbranch_execz .LBB1238_740
; %bb.742:                              ;   in Loop: Header=BB1238_741 Depth=1
	s_delay_alu instid0(VALU_DEP_1) | instskip(SKIP_2) | instid1(VALU_DEP_2)
	v_xad_u32 v35, v33, -1, v51
	v_lshl_add_u32 v36, v33, 3, v32
	s_mov_b32 s16, 0
                                        ; implicit-def: $sgpr17
                                        ; implicit-def: $sgpr18
                                        ; implicit-def: $sgpr21
	v_lshl_add_u32 v35, v35, 3, v34
	ds_load_b64 v[48:49], v36
	ds_load_b64 v[54:55], v35
	s_wait_dscnt 0x1
	v_mad_nc_u64_u32 v[36:37], v2, v48, v[8:9]
	s_wait_dscnt 0x0
	v_mad_nc_u64_u32 v[38:39], v2, v54, v[8:9]
	s_delay_alu instid0(VALU_DEP_2) | instskip(NEXT) | instid1(VALU_DEP_2)
	v_mad_u32 v35, v3, v48, v37
	v_mad_u32 v39, v3, v54, v39
	s_delay_alu instid0(VALU_DEP_2) | instskip(NEXT) | instid1(VALU_DEP_2)
	v_mad_u32 v37, v2, v49, v35
	v_mad_u32 v39, v2, v55, v39
	v_mov_b64_e32 v[48:49], v[6:7]
	s_branch .LBB1238_744
.LBB1238_743:                           ;   in Loop: Header=BB1238_744 Depth=2
	s_or_b32 exec_lo, exec_lo, s21
	s_delay_alu instid0(SALU_CYCLE_1) | instskip(SKIP_4) | instid1(SALU_CYCLE_1)
	s_and_b32 s9, exec_lo, s20
	s_mov_b32 s21, s19
	s_or_b32 s16, s9, s16
	s_and_not1_b32 s9, s17, exec_lo
	s_and_b32 s17, s18, exec_lo
	s_or_b32 s17, s9, s17
	s_and_not1_b32 exec_lo, exec_lo, s16
	s_cbranch_execz .LBB1238_739
.LBB1238_744:                           ;   Parent Loop BB1238_741 Depth=1
                                        ; =>  This Inner Loop Header: Depth=2
	flat_load_u16 v35, v[38:39]
	flat_load_u16 v54, v[36:37]
	s_mov_b32 s20, -1
	s_mov_b32 s22, 0
	s_mov_b32 s19, -1
	s_mov_b32 s23, exec_lo
	s_wait_loadcnt_dscnt 0x0
	v_cmpx_nlt_f16_e32 v35, v54
; %bb.745:                              ;   in Loop: Header=BB1238_744 Depth=2
	v_cmp_ngt_f16_e64 s9, v35, v54
	s_and_b32 s19, s9, s21
	s_and_b32 s22, s9, exec_lo
	s_or_not1_b32 s19, s19, exec_lo
; %bb.746:                              ;   in Loop: Header=BB1238_744 Depth=2
	s_or_b32 exec_lo, exec_lo, s23
	s_delay_alu instid0(SALU_CYCLE_1) | instskip(SKIP_1) | instid1(SALU_CYCLE_1)
	s_and_not1_b32 s9, s18, exec_lo
	s_and_b32 s18, s19, exec_lo
	s_or_b32 s18, s9, s18
	s_and_saveexec_b32 s21, s22
	s_cbranch_execz .LBB1238_743
; %bb.747:                              ;   in Loop: Header=BB1238_744 Depth=2
	v_add_nc_u64_e32 v[48:49], -1, v[48:49]
	v_add_nc_u64_e32 v[36:37], 2, v[36:37]
	v_add_nc_u64_e32 v[38:39], 2, v[38:39]
	s_and_not1_b32 s18, s18, exec_lo
	s_delay_alu instid0(VALU_DEP_3)
	v_cmp_eq_u64_e64 s9, 0, v[48:49]
	s_or_not1_b32 s20, s9, exec_lo
	s_branch .LBB1238_743
.LBB1238_748:
	s_or_b32 exec_lo, exec_lo, s11
.LBB1238_749:
	s_delay_alu instid0(SALU_CYCLE_1) | instskip(SKIP_1) | instid1(VALU_DEP_1)
	s_or_b32 exec_lo, exec_lo, s10
	v_dual_add_nc_u32 v33, v114, v51 :: v_dual_add_nc_u32 v32, v52, v50
	v_sub_nc_u32_e32 v33, v33, v52
	s_delay_alu instid0(VALU_DEP_2) | instskip(NEXT) | instid1(VALU_DEP_2)
	v_cmp_le_u32_e64 s9, v32, v114
	v_cmp_le_u32_e64 s10, v33, v115
	s_or_b32 s9, s9, s10
	s_delay_alu instid0(SALU_CYCLE_1)
	s_and_saveexec_b32 s15, s9
	s_cbranch_execz .LBB1238_929
; %bb.750:
	v_cmp_ge_u32_e64 s9, v32, v114
	s_mov_b32 s11, exec_lo
                                        ; implicit-def: $vgpr10_vgpr11
	v_cmpx_lt_u32_e64 v32, v114
; %bb.751:
	v_lshl_add_u32 v10, v32, 3, v30
	ds_load_b64 v[10:11], v10
; %bb.752:
	s_or_b32 exec_lo, exec_lo, s11
	v_cmp_ge_u32_e64 s10, v33, v115
	s_mov_b32 s16, exec_lo
                                        ; implicit-def: $vgpr12_vgpr13
	v_cmpx_lt_u32_e64 v33, v115
; %bb.753:
	v_lshl_add_u32 v12, v33, 3, v30
	ds_load_b64 v[12:13], v12
; %bb.754:
	s_or_b32 exec_lo, exec_lo, s16
	s_or_b32 s11, s9, s10
	s_xor_b32 s9, s9, -1
	s_nor_b32 s16, s11, s8
	s_or_b32 s10, s10, s9
	s_and_saveexec_b32 s11, s16
	s_cbranch_execz .LBB1238_762
; %bb.755:
	s_wait_dscnt 0x0
	v_mul_u64_e32 v[14:15], v[10:11], v[6:7]
	v_mul_u64_e32 v[16:17], v[12:13], v[6:7]
	v_mov_b64_e32 v[18:19], v[6:7]
	s_mov_b32 s16, 0
                                        ; implicit-def: $sgpr17
                                        ; implicit-def: $sgpr18
                                        ; implicit-def: $sgpr21
	s_delay_alu instid0(VALU_DEP_3) | instskip(NEXT) | instid1(VALU_DEP_3)
	v_lshl_add_u64 v[14:15], v[14:15], 1, v[8:9]
	v_lshl_add_u64 v[16:17], v[16:17], 1, v[8:9]
	s_branch .LBB1238_757
.LBB1238_756:                           ;   in Loop: Header=BB1238_757 Depth=1
	s_or_b32 exec_lo, exec_lo, s21
	s_delay_alu instid0(SALU_CYCLE_1) | instskip(SKIP_4) | instid1(SALU_CYCLE_1)
	s_and_b32 s9, exec_lo, s20
	s_mov_b32 s21, s19
	s_or_b32 s16, s9, s16
	s_and_not1_b32 s9, s17, exec_lo
	s_and_b32 s17, s18, exec_lo
	s_or_b32 s17, s9, s17
	s_and_not1_b32 exec_lo, exec_lo, s16
	s_cbranch_execz .LBB1238_761
.LBB1238_757:                           ; =>This Inner Loop Header: Depth=1
	flat_load_u16 v20, v[16:17]
	flat_load_u16 v21, v[14:15]
	s_mov_b32 s20, -1
	s_mov_b32 s22, 0
	s_mov_b32 s19, -1
	s_mov_b32 s23, exec_lo
	s_wait_loadcnt_dscnt 0x0
	v_cmpx_nlt_f16_e32 v20, v21
; %bb.758:                              ;   in Loop: Header=BB1238_757 Depth=1
	v_cmp_ngt_f16_e64 s9, v20, v21
	s_and_b32 s19, s9, s21
	s_and_b32 s22, s9, exec_lo
	s_or_not1_b32 s19, s19, exec_lo
; %bb.759:                              ;   in Loop: Header=BB1238_757 Depth=1
	s_or_b32 exec_lo, exec_lo, s23
	s_delay_alu instid0(SALU_CYCLE_1) | instskip(SKIP_1) | instid1(SALU_CYCLE_1)
	s_and_not1_b32 s9, s18, exec_lo
	s_and_b32 s18, s19, exec_lo
	s_or_b32 s18, s9, s18
	s_and_saveexec_b32 s21, s22
	s_cbranch_execz .LBB1238_756
; %bb.760:                              ;   in Loop: Header=BB1238_757 Depth=1
	v_add_nc_u64_e32 v[18:19], -1, v[18:19]
	v_add_nc_u64_e32 v[14:15], 2, v[14:15]
	v_add_nc_u64_e32 v[16:17], 2, v[16:17]
	s_and_not1_b32 s18, s18, exec_lo
	s_delay_alu instid0(VALU_DEP_3)
	v_cmp_eq_u64_e64 s9, 0, v[18:19]
	s_or_not1_b32 s20, s9, exec_lo
	s_branch .LBB1238_756
.LBB1238_761:
	s_or_b32 exec_lo, exec_lo, s16
	s_xor_b32 s9, s17, -1
	s_and_not1_b32 s10, s10, exec_lo
	s_and_b32 s9, s9, exec_lo
	s_delay_alu instid0(SALU_CYCLE_1)
	s_or_b32 s10, s10, s9
.LBB1238_762:
	s_or_b32 exec_lo, exec_lo, s11
	v_dual_cndmask_b32 v14, v33, v32, s10 :: v_dual_cndmask_b32 v15, v115, v114, s10
	s_mov_b32 s16, -1
	s_mov_b32 s11, -1
	s_mov_b32 s17, exec_lo
	s_delay_alu instid0(VALU_DEP_1) | instskip(NEXT) | instid1(VALU_DEP_1)
	v_add_nc_u32_e32 v16, 1, v14
	v_add_min_u32_e64 v14, v15, -1, v16
	s_delay_alu instid0(VALU_DEP_1)
	v_lshl_add_u32 v14, v14, 3, v30
	ds_load_b64 v[14:15], v14
	s_wait_dscnt 0x0
	v_cndmask_b32_e64 v23, v15, v13, s10
	v_dual_cndmask_b32 v20, v16, v33, s10 :: v_dual_cndmask_b32 v22, v14, v12, s10
	v_dual_cndmask_b32 v21, v32, v16, s10 :: v_dual_cndmask_b32 v25, v11, v15, s10
	v_cndmask_b32_e64 v24, v10, v14, s10
	s_delay_alu instid0(VALU_DEP_3)
	v_cmpx_lt_u32_e64 v20, v115
	s_cbranch_execz .LBB1238_808
; %bb.763:
	s_delay_alu instid0(VALU_DEP_3) | instskip(SKIP_1) | instid1(SALU_CYCLE_1)
	v_cmp_lt_u32_e64 s11, v21, v114
	s_and_b32 s9, s11, s14
	s_and_saveexec_b32 s18, s9
	s_cbranch_execz .LBB1238_807
; %bb.764:
	v_mul_u64_e32 v[14:15], v[24:25], v[6:7]
	v_mul_u64_e32 v[16:17], v[22:23], v[6:7]
	v_mov_b64_e32 v[18:19], v[6:7]
	s_mov_b32 s19, 0
                                        ; implicit-def: $sgpr20
                                        ; implicit-def: $sgpr21
                                        ; implicit-def: $sgpr24
	s_delay_alu instid0(VALU_DEP_3) | instskip(NEXT) | instid1(VALU_DEP_3)
	v_lshl_add_u64 v[14:15], v[14:15], 1, v[8:9]
	v_lshl_add_u64 v[16:17], v[16:17], 1, v[8:9]
	s_branch .LBB1238_766
.LBB1238_765:                           ;   in Loop: Header=BB1238_766 Depth=1
	s_or_b32 exec_lo, exec_lo, s24
	s_delay_alu instid0(SALU_CYCLE_1) | instskip(SKIP_4) | instid1(SALU_CYCLE_1)
	s_and_b32 s9, exec_lo, s23
	s_mov_b32 s24, s22
	s_or_b32 s19, s9, s19
	s_and_not1_b32 s9, s20, exec_lo
	s_and_b32 s20, s21, exec_lo
	s_or_b32 s20, s9, s20
	s_and_not1_b32 exec_lo, exec_lo, s19
	s_cbranch_execz .LBB1238_806
.LBB1238_766:                           ; =>This Inner Loop Header: Depth=1
	flat_load_u16 v32, v[16:17]
	flat_load_u16 v33, v[14:15]
	s_mov_b32 s23, -1
	s_mov_b32 s25, 0
	s_mov_b32 s22, -1
	s_mov_b32 s26, exec_lo
	s_wait_loadcnt_dscnt 0x0
	v_cmpx_nlt_f16_e32 v32, v33
; %bb.767:                              ;   in Loop: Header=BB1238_766 Depth=1
	v_cmp_ngt_f16_e64 s9, v32, v33
	s_and_b32 s22, s9, s24
	s_and_b32 s25, s9, exec_lo
	s_or_not1_b32 s22, s22, exec_lo
; %bb.768:                              ;   in Loop: Header=BB1238_766 Depth=1
	s_or_b32 exec_lo, exec_lo, s26
	s_delay_alu instid0(SALU_CYCLE_1) | instskip(SKIP_1) | instid1(SALU_CYCLE_1)
	s_and_not1_b32 s9, s21, exec_lo
	s_and_b32 s21, s22, exec_lo
	s_or_b32 s21, s9, s21
	s_and_saveexec_b32 s24, s25
	s_cbranch_execz .LBB1238_765
; %bb.769:                              ;   in Loop: Header=BB1238_766 Depth=1
	v_add_nc_u64_e32 v[18:19], -1, v[18:19]
	v_add_nc_u64_e32 v[14:15], 2, v[14:15]
	v_add_nc_u64_e32 v[16:17], 2, v[16:17]
	s_and_not1_b32 s21, s21, exec_lo
	s_delay_alu instid0(VALU_DEP_3)
	v_cmp_eq_u64_e64 s9, 0, v[18:19]
	s_or_not1_b32 s23, s9, exec_lo
	s_branch .LBB1238_765
.LBB1238_770:
	s_or_b32 exec_lo, exec_lo, s6
	v_dual_cndmask_b32 v31, v3, v25, s7 :: v_dual_cndmask_b32 v30, v2, v24, s7
.LBB1238_771:
	s_or_b32 exec_lo, exec_lo, s3
	s_delay_alu instid0(VALU_DEP_1)
	v_mov_b64_e32 v[2:3], v[30:31]
.LBB1238_772:
	s_or_b32 exec_lo, exec_lo, s2
.LBB1238_773:
	s_delay_alu instid0(SALU_CYCLE_1)
	s_or_b32 exec_lo, exec_lo, s5
	v_and_b32_e32 v48, 0xe0, v86
	s_mov_b32 s2, exec_lo
	; wave barrier
	ds_store_b64 v87, v[18:19]
	ds_store_b64 v102, v[20:21]
	v_or_b32_e32 v24, 16, v48
	ds_store_b64 v98, v[14:15]
	ds_store_b64 v99, v[16:17]
	;; [unrolled: 1-line block ×6, first 2 shown]
	; wave barrier
	v_min_u32_e32 v103, v85, v24
	v_and_b32_e32 v24, 24, v86
	s_delay_alu instid0(VALU_DEP_2) | instskip(NEXT) | instid1(VALU_DEP_2)
	v_add_min_u32_e64 v112, v103, 16, v85
	v_min_u32_e32 v49, v85, v24
	s_delay_alu instid0(VALU_DEP_2) | instskip(NEXT) | instid1(VALU_DEP_1)
	v_dual_sub_nc_u32 v25, v103, v48 :: v_dual_sub_nc_u32 v24, v112, v103
	v_min_u32_e32 v51, v49, v25
	s_delay_alu instid0(VALU_DEP_2) | instskip(NEXT) | instid1(VALU_DEP_1)
	v_sub_nc_u32_e64 v50, v49, v24 clamp
	v_cmpx_lt_u32_e64 v50, v51
	s_cbranch_execz .LBB1238_785
; %bb.774:
	v_dual_mov_b32 v31, 0 :: v_dual_lshlrev_b32 v30, 3, v48
	v_lshlrev_b64_e32 v[32:33], 1, v[6:7]
	s_mov_b32 s3, 0
	s_delay_alu instid0(VALU_DEP_2) | instskip(SKIP_1) | instid1(VALU_DEP_1)
	v_add_nc_u64_e32 v[24:25], v[22:23], v[30:31]
	v_lshlrev_b32_e32 v30, 3, v103
	v_add_nc_u64_e32 v[30:31], v[22:23], v[30:31]
	s_branch .LBB1238_777
.LBB1238_775:                           ;   in Loop: Header=BB1238_777 Depth=1
	s_or_b32 exec_lo, exec_lo, s6
	s_delay_alu instid0(SALU_CYCLE_1)
	s_and_b32 s1, s7, exec_lo
.LBB1238_776:                           ;   in Loop: Header=BB1238_777 Depth=1
	s_or_b32 exec_lo, exec_lo, s5
	s_delay_alu instid0(VALU_DEP_1) | instskip(NEXT) | instid1(VALU_DEP_1)
	v_dual_add_nc_u32 v31, 1, v25 :: v_dual_cndmask_b32 v51, v51, v25, s1
	v_cndmask_b32_e64 v50, v31, v50, s1
	s_delay_alu instid0(VALU_DEP_1) | instskip(SKIP_1) | instid1(SALU_CYCLE_1)
	v_cmp_ge_u32_e64 s1, v50, v51
	s_or_b32 s3, s1, s3
	s_and_not1_b32 exec_lo, exec_lo, s3
	s_cbranch_execz .LBB1238_784
.LBB1238_777:                           ; =>This Loop Header: Depth=1
                                        ;     Child Loop BB1238_780 Depth 2
	v_add_nc_u32_e32 v25, v51, v50
	s_mov_b32 s1, 0
	s_delay_alu instid0(VALU_DEP_1)
	v_lshrrev_b32_e32 v25, 1, v25
	s_and_saveexec_b32 s5, vcc_lo
	s_cbranch_execz .LBB1238_776
; %bb.778:                              ;   in Loop: Header=BB1238_777 Depth=1
	s_delay_alu instid0(VALU_DEP_1) | instskip(SKIP_2) | instid1(VALU_DEP_2)
	v_xad_u32 v31, v25, -1, v49
	v_lshl_add_u32 v34, v25, 3, v24
	s_mov_b32 s6, 0
                                        ; implicit-def: $sgpr7
                                        ; implicit-def: $sgpr11
                                        ; implicit-def: $sgpr14
	v_lshl_add_u32 v31, v31, 3, v30
	ds_load_b64 v[38:39], v34
	ds_load_b64 v[52:53], v31
	s_wait_dscnt 0x1
	v_mad_nc_u64_u32 v[34:35], v32, v38, v[8:9]
	s_wait_dscnt 0x0
	v_mad_nc_u64_u32 v[36:37], v32, v52, v[8:9]
	s_delay_alu instid0(VALU_DEP_2) | instskip(NEXT) | instid1(VALU_DEP_2)
	v_mad_u32 v31, v33, v38, v35
	v_mad_u32 v37, v33, v52, v37
	s_delay_alu instid0(VALU_DEP_2) | instskip(NEXT) | instid1(VALU_DEP_2)
	v_mad_u32 v35, v32, v39, v31
	v_mad_u32 v37, v32, v53, v37
	v_mov_b64_e32 v[38:39], v[6:7]
	s_branch .LBB1238_780
.LBB1238_779:                           ;   in Loop: Header=BB1238_780 Depth=2
	s_or_b32 exec_lo, exec_lo, s14
	s_delay_alu instid0(SALU_CYCLE_1) | instskip(SKIP_4) | instid1(SALU_CYCLE_1)
	s_and_b32 s1, exec_lo, s13
	s_mov_b32 s14, s12
	s_or_b32 s6, s1, s6
	s_and_not1_b32 s1, s7, exec_lo
	s_and_b32 s7, s11, exec_lo
	s_or_b32 s7, s1, s7
	s_and_not1_b32 exec_lo, exec_lo, s6
	s_cbranch_execz .LBB1238_775
.LBB1238_780:                           ;   Parent Loop BB1238_777 Depth=1
                                        ; =>  This Inner Loop Header: Depth=2
	flat_load_u16 v31, v[36:37]
	flat_load_u16 v52, v[34:35]
	s_mov_b32 s13, -1
	s_mov_b32 s15, 0
	s_mov_b32 s12, -1
	s_mov_b32 s16, exec_lo
	s_wait_loadcnt_dscnt 0x0
	v_cmpx_nlt_f16_e32 v31, v52
; %bb.781:                              ;   in Loop: Header=BB1238_780 Depth=2
	v_cmp_ngt_f16_e64 s1, v31, v52
	s_and_b32 s12, s1, s14
	s_and_b32 s15, s1, exec_lo
	s_or_not1_b32 s12, s12, exec_lo
; %bb.782:                              ;   in Loop: Header=BB1238_780 Depth=2
	s_or_b32 exec_lo, exec_lo, s16
	s_delay_alu instid0(SALU_CYCLE_1) | instskip(SKIP_1) | instid1(SALU_CYCLE_1)
	s_and_not1_b32 s1, s11, exec_lo
	s_and_b32 s11, s12, exec_lo
	s_or_b32 s11, s1, s11
	s_and_saveexec_b32 s14, s15
	s_cbranch_execz .LBB1238_779
; %bb.783:                              ;   in Loop: Header=BB1238_780 Depth=2
	v_add_nc_u64_e32 v[38:39], -1, v[38:39]
	v_add_nc_u64_e32 v[34:35], 2, v[34:35]
	v_add_nc_u64_e32 v[36:37], 2, v[36:37]
	s_and_not1_b32 s11, s11, exec_lo
	s_delay_alu instid0(VALU_DEP_3)
	v_cmp_eq_u64_e64 s1, 0, v[38:39]
	s_or_not1_b32 s13, s1, exec_lo
	s_branch .LBB1238_779
.LBB1238_784:
	s_or_b32 exec_lo, exec_lo, s3
.LBB1238_785:
	s_delay_alu instid0(SALU_CYCLE_1) | instskip(SKIP_1) | instid1(VALU_DEP_1)
	s_or_b32 exec_lo, exec_lo, s2
	v_dual_add_nc_u32 v25, v103, v49 :: v_dual_add_nc_u32 v24, v50, v48
	v_sub_nc_u32_e32 v25, v25, v50
	s_delay_alu instid0(VALU_DEP_2) | instskip(NEXT) | instid1(VALU_DEP_2)
	v_cmp_le_u32_e64 s1, v24, v103
	v_cmp_le_u32_e64 s2, v25, v112
	s_or_b32 s1, s1, s2
	s_delay_alu instid0(SALU_CYCLE_1)
	s_and_saveexec_b32 s5, s1
	s_cbranch_execz .LBB1238_965
; %bb.786:
	v_cmp_ge_u32_e64 s1, v24, v103
	s_mov_b32 s3, exec_lo
                                        ; implicit-def: $vgpr0_vgpr1
	v_cmpx_lt_u32_e64 v24, v103
; %bb.787:
	v_lshl_add_u32 v0, v24, 3, v22
	ds_load_b64 v[0:1], v0
; %bb.788:
	s_or_b32 exec_lo, exec_lo, s3
	v_cmp_ge_u32_e64 s2, v25, v112
	s_mov_b32 s6, exec_lo
                                        ; implicit-def: $vgpr2_vgpr3
	v_cmpx_lt_u32_e64 v25, v112
; %bb.789:
	v_lshl_add_u32 v2, v25, 3, v22
	ds_load_b64 v[2:3], v2
; %bb.790:
	s_or_b32 exec_lo, exec_lo, s6
	s_or_b32 s3, s1, s2
	s_xor_b32 s1, s1, -1
	s_nor_b32 s6, s3, s0
	s_or_b32 s2, s2, s1
	s_and_saveexec_b32 s3, s6
	s_cbranch_execz .LBB1238_798
; %bb.791:
	s_wait_dscnt 0x0
	v_mul_u64_e32 v[10:11], v[0:1], v[6:7]
	v_mul_u64_e32 v[12:13], v[2:3], v[6:7]
	v_mov_b64_e32 v[14:15], v[6:7]
	s_mov_b32 s6, 0
                                        ; implicit-def: $sgpr7
                                        ; implicit-def: $sgpr11
                                        ; implicit-def: $sgpr14
	s_delay_alu instid0(VALU_DEP_3) | instskip(NEXT) | instid1(VALU_DEP_3)
	v_lshl_add_u64 v[10:11], v[10:11], 1, v[8:9]
	v_lshl_add_u64 v[12:13], v[12:13], 1, v[8:9]
	s_branch .LBB1238_793
.LBB1238_792:                           ;   in Loop: Header=BB1238_793 Depth=1
	s_or_b32 exec_lo, exec_lo, s14
	s_delay_alu instid0(SALU_CYCLE_1) | instskip(SKIP_4) | instid1(SALU_CYCLE_1)
	s_and_b32 s1, exec_lo, s13
	s_mov_b32 s14, s12
	s_or_b32 s6, s1, s6
	s_and_not1_b32 s1, s7, exec_lo
	s_and_b32 s7, s11, exec_lo
	s_or_b32 s7, s1, s7
	s_and_not1_b32 exec_lo, exec_lo, s6
	s_cbranch_execz .LBB1238_797
.LBB1238_793:                           ; =>This Inner Loop Header: Depth=1
	flat_load_u16 v16, v[12:13]
	flat_load_u16 v17, v[10:11]
	s_mov_b32 s13, -1
	s_mov_b32 s15, 0
	s_mov_b32 s12, -1
	s_mov_b32 s16, exec_lo
	s_wait_loadcnt_dscnt 0x0
	v_cmpx_nlt_f16_e32 v16, v17
; %bb.794:                              ;   in Loop: Header=BB1238_793 Depth=1
	v_cmp_ngt_f16_e64 s1, v16, v17
	s_and_b32 s12, s1, s14
	s_and_b32 s15, s1, exec_lo
	s_or_not1_b32 s12, s12, exec_lo
; %bb.795:                              ;   in Loop: Header=BB1238_793 Depth=1
	s_or_b32 exec_lo, exec_lo, s16
	s_delay_alu instid0(SALU_CYCLE_1) | instskip(SKIP_1) | instid1(SALU_CYCLE_1)
	s_and_not1_b32 s1, s11, exec_lo
	s_and_b32 s11, s12, exec_lo
	s_or_b32 s11, s1, s11
	s_and_saveexec_b32 s14, s15
	s_cbranch_execz .LBB1238_792
; %bb.796:                              ;   in Loop: Header=BB1238_793 Depth=1
	v_add_nc_u64_e32 v[14:15], -1, v[14:15]
	v_add_nc_u64_e32 v[10:11], 2, v[10:11]
	v_add_nc_u64_e32 v[12:13], 2, v[12:13]
	s_and_not1_b32 s11, s11, exec_lo
	s_delay_alu instid0(VALU_DEP_3)
	v_cmp_eq_u64_e64 s1, 0, v[14:15]
	s_or_not1_b32 s13, s1, exec_lo
	s_branch .LBB1238_792
.LBB1238_797:
	s_or_b32 exec_lo, exec_lo, s6
	s_xor_b32 s1, s7, -1
	s_and_not1_b32 s2, s2, exec_lo
	s_and_b32 s1, s1, exec_lo
	s_delay_alu instid0(SALU_CYCLE_1)
	s_or_b32 s2, s2, s1
.LBB1238_798:
	s_or_b32 exec_lo, exec_lo, s3
	v_dual_cndmask_b32 v10, v25, v24, s2 :: v_dual_cndmask_b32 v11, v112, v103, s2
	s_mov_b32 s6, -1
	s_mov_b32 s3, -1
	s_mov_b32 s7, exec_lo
	s_delay_alu instid0(VALU_DEP_1) | instskip(NEXT) | instid1(VALU_DEP_1)
	v_add_nc_u32_e32 v12, 1, v10
	v_add_min_u32_e64 v10, v11, -1, v12
	s_delay_alu instid0(VALU_DEP_1)
	v_lshl_add_u32 v10, v10, 3, v22
	ds_load_b64 v[10:11], v10
	s_wait_dscnt 0x0
	v_dual_cndmask_b32 v19, v11, v3, s2 :: v_dual_cndmask_b32 v16, v12, v25, s2
	v_dual_cndmask_b32 v18, v10, v2, s2 :: v_dual_cndmask_b32 v17, v24, v12, s2
	;; [unrolled: 1-line block ×3, first 2 shown]
	s_delay_alu instid0(VALU_DEP_3)
	v_cmpx_lt_u32_e64 v16, v112
	s_cbranch_execz .LBB1238_818
; %bb.799:
	s_delay_alu instid0(VALU_DEP_3) | instskip(SKIP_1) | instid1(SALU_CYCLE_1)
	v_cmp_lt_u32_e64 s3, v17, v103
	s_xor_b32 s1, s0, -1
	s_and_b32 s1, s3, s1
	s_delay_alu instid0(SALU_CYCLE_1)
	s_and_saveexec_b32 s11, s1
	s_cbranch_execz .LBB1238_817
; %bb.800:
	v_mul_u64_e32 v[10:11], v[20:21], v[6:7]
	v_mul_u64_e32 v[12:13], v[18:19], v[6:7]
	v_mov_b64_e32 v[14:15], v[6:7]
	s_mov_b32 s12, 0
                                        ; implicit-def: $sgpr13
                                        ; implicit-def: $sgpr14
                                        ; implicit-def: $sgpr17
	s_delay_alu instid0(VALU_DEP_3) | instskip(NEXT) | instid1(VALU_DEP_3)
	v_lshl_add_u64 v[10:11], v[10:11], 1, v[8:9]
	v_lshl_add_u64 v[12:13], v[12:13], 1, v[8:9]
	s_branch .LBB1238_802
.LBB1238_801:                           ;   in Loop: Header=BB1238_802 Depth=1
	s_or_b32 exec_lo, exec_lo, s17
	s_delay_alu instid0(SALU_CYCLE_1) | instskip(SKIP_4) | instid1(SALU_CYCLE_1)
	s_and_b32 s1, exec_lo, s16
	s_mov_b32 s17, s15
	s_or_b32 s12, s1, s12
	s_and_not1_b32 s1, s13, exec_lo
	s_and_b32 s13, s14, exec_lo
	s_or_b32 s13, s1, s13
	s_and_not1_b32 exec_lo, exec_lo, s12
	s_cbranch_execz .LBB1238_816
.LBB1238_802:                           ; =>This Inner Loop Header: Depth=1
	flat_load_u16 v24, v[12:13]
	flat_load_u16 v25, v[10:11]
	s_mov_b32 s16, -1
	s_mov_b32 s18, 0
	s_mov_b32 s15, -1
	s_mov_b32 s19, exec_lo
	s_wait_loadcnt_dscnt 0x0
	v_cmpx_nlt_f16_e32 v24, v25
; %bb.803:                              ;   in Loop: Header=BB1238_802 Depth=1
	v_cmp_ngt_f16_e64 s1, v24, v25
	s_and_b32 s15, s1, s17
	s_and_b32 s18, s1, exec_lo
	s_or_not1_b32 s15, s15, exec_lo
; %bb.804:                              ;   in Loop: Header=BB1238_802 Depth=1
	s_or_b32 exec_lo, exec_lo, s19
	s_delay_alu instid0(SALU_CYCLE_1) | instskip(SKIP_1) | instid1(SALU_CYCLE_1)
	s_and_not1_b32 s1, s14, exec_lo
	s_and_b32 s14, s15, exec_lo
	s_or_b32 s14, s1, s14
	s_and_saveexec_b32 s17, s18
	s_cbranch_execz .LBB1238_801
; %bb.805:                              ;   in Loop: Header=BB1238_802 Depth=1
	v_add_nc_u64_e32 v[14:15], -1, v[14:15]
	v_add_nc_u64_e32 v[10:11], 2, v[10:11]
	v_add_nc_u64_e32 v[12:13], 2, v[12:13]
	s_and_not1_b32 s14, s14, exec_lo
	s_delay_alu instid0(VALU_DEP_3)
	v_cmp_eq_u64_e64 s1, 0, v[14:15]
	s_or_not1_b32 s16, s1, exec_lo
	s_branch .LBB1238_801
.LBB1238_806:
	s_or_b32 exec_lo, exec_lo, s19
	s_xor_b32 s9, s20, -1
	s_and_not1_b32 s11, s11, exec_lo
	s_and_b32 s9, s9, exec_lo
	s_delay_alu instid0(SALU_CYCLE_1)
	s_or_b32 s11, s11, s9
.LBB1238_807:
	s_or_b32 exec_lo, exec_lo, s18
	s_delay_alu instid0(SALU_CYCLE_1)
	s_or_not1_b32 s11, s11, exec_lo
.LBB1238_808:
	s_or_b32 exec_lo, exec_lo, s17
	v_dual_cndmask_b32 v14, v20, v21, s11 :: v_dual_cndmask_b32 v15, v115, v114, s11
	s_mov_b32 s17, exec_lo
	s_delay_alu instid0(VALU_DEP_1) | instskip(NEXT) | instid1(VALU_DEP_1)
	v_add_nc_u32_e32 v16, 1, v14
	v_add_min_u32_e64 v14, v15, -1, v16
	s_delay_alu instid0(VALU_DEP_1)
	v_lshl_add_u32 v14, v14, 3, v30
	ds_load_b64 v[14:15], v14
	s_wait_dscnt 0x0
	v_dual_cndmask_b32 v19, v15, v23, s11 :: v_dual_cndmask_b32 v34, v16, v20, s11
	v_dual_cndmask_b32 v18, v14, v22, s11 :: v_dual_cndmask_b32 v35, v21, v16, s11
	;; [unrolled: 1-line block ×3, first 2 shown]
	s_delay_alu instid0(VALU_DEP_3)
	v_cmpx_lt_u32_e64 v34, v115
	s_cbranch_execz .LBB1238_828
; %bb.809:
	s_delay_alu instid0(VALU_DEP_3) | instskip(SKIP_1) | instid1(SALU_CYCLE_1)
	v_cmp_lt_u32_e64 s16, v35, v114
	s_and_b32 s9, s16, s14
	s_and_saveexec_b32 s18, s9
	s_cbranch_execz .LBB1238_827
; %bb.810:
	v_mul_u64_e32 v[14:15], v[32:33], v[6:7]
	v_mul_u64_e32 v[16:17], v[18:19], v[6:7]
	v_mov_b64_e32 v[20:21], v[6:7]
	s_mov_b32 s19, 0
                                        ; implicit-def: $sgpr20
                                        ; implicit-def: $sgpr21
                                        ; implicit-def: $sgpr24
	s_delay_alu instid0(VALU_DEP_3) | instskip(NEXT) | instid1(VALU_DEP_3)
	v_lshl_add_u64 v[14:15], v[14:15], 1, v[8:9]
	v_lshl_add_u64 v[16:17], v[16:17], 1, v[8:9]
	s_branch .LBB1238_812
.LBB1238_811:                           ;   in Loop: Header=BB1238_812 Depth=1
	s_or_b32 exec_lo, exec_lo, s24
	s_delay_alu instid0(SALU_CYCLE_1) | instskip(SKIP_4) | instid1(SALU_CYCLE_1)
	s_and_b32 s9, exec_lo, s23
	s_mov_b32 s24, s22
	s_or_b32 s19, s9, s19
	s_and_not1_b32 s9, s20, exec_lo
	s_and_b32 s20, s21, exec_lo
	s_or_b32 s20, s9, s20
	s_and_not1_b32 exec_lo, exec_lo, s19
	s_cbranch_execz .LBB1238_826
.LBB1238_812:                           ; =>This Inner Loop Header: Depth=1
	flat_load_u16 v36, v[16:17]
	flat_load_u16 v37, v[14:15]
	s_mov_b32 s23, -1
	s_mov_b32 s25, 0
	s_mov_b32 s22, -1
	s_mov_b32 s26, exec_lo
	s_wait_loadcnt_dscnt 0x0
	v_cmpx_nlt_f16_e32 v36, v37
; %bb.813:                              ;   in Loop: Header=BB1238_812 Depth=1
	v_cmp_ngt_f16_e64 s9, v36, v37
	s_and_b32 s22, s9, s24
	s_and_b32 s25, s9, exec_lo
	s_or_not1_b32 s22, s22, exec_lo
; %bb.814:                              ;   in Loop: Header=BB1238_812 Depth=1
	s_or_b32 exec_lo, exec_lo, s26
	s_delay_alu instid0(SALU_CYCLE_1) | instskip(SKIP_1) | instid1(SALU_CYCLE_1)
	s_and_not1_b32 s9, s21, exec_lo
	s_and_b32 s21, s22, exec_lo
	s_or_b32 s21, s9, s21
	s_and_saveexec_b32 s24, s25
	s_cbranch_execz .LBB1238_811
; %bb.815:                              ;   in Loop: Header=BB1238_812 Depth=1
	v_add_nc_u64_e32 v[20:21], -1, v[20:21]
	v_add_nc_u64_e32 v[14:15], 2, v[14:15]
	v_add_nc_u64_e32 v[16:17], 2, v[16:17]
	s_and_not1_b32 s21, s21, exec_lo
	s_delay_alu instid0(VALU_DEP_3)
	v_cmp_eq_u64_e64 s9, 0, v[20:21]
	s_or_not1_b32 s23, s9, exec_lo
	s_branch .LBB1238_811
.LBB1238_816:
	s_or_b32 exec_lo, exec_lo, s12
	s_xor_b32 s1, s13, -1
	s_and_not1_b32 s3, s3, exec_lo
	s_and_b32 s1, s1, exec_lo
	s_delay_alu instid0(SALU_CYCLE_1)
	s_or_b32 s3, s3, s1
.LBB1238_817:
	s_or_b32 exec_lo, exec_lo, s11
	s_delay_alu instid0(SALU_CYCLE_1)
	s_or_not1_b32 s3, s3, exec_lo
.LBB1238_818:
	s_or_b32 exec_lo, exec_lo, s7
	v_cndmask_b32_e64 v10, v16, v17, s3
	v_cndmask_b32_e64 v11, v112, v103, s3
	s_mov_b32 s7, exec_lo
	s_delay_alu instid0(VALU_DEP_2) | instskip(NEXT) | instid1(VALU_DEP_1)
	v_add_nc_u32_e32 v12, 1, v10
	v_add_min_u32_e64 v10, v11, -1, v12
	v_cndmask_b32_e64 v31, v17, v12, s3
	s_delay_alu instid0(VALU_DEP_2)
	v_lshl_add_u32 v10, v10, 3, v22
	ds_load_b64 v[10:11], v10
	s_wait_dscnt 0x0
	v_dual_cndmask_b32 v30, v12, v16, s3 :: v_dual_cndmask_b32 v15, v11, v19, s3
	v_dual_cndmask_b32 v14, v10, v18, s3 :: v_dual_cndmask_b32 v25, v21, v11, s3
	v_cndmask_b32_e64 v24, v20, v10, s3
	s_delay_alu instid0(VALU_DEP_3)
	v_cmpx_lt_u32_e64 v30, v112
	s_cbranch_execz .LBB1238_838
; %bb.819:
	v_cmp_lt_u32_e64 s6, v31, v103
	s_xor_b32 s1, s0, -1
	s_delay_alu instid0(SALU_CYCLE_1) | instskip(NEXT) | instid1(SALU_CYCLE_1)
	s_and_b32 s1, s6, s1
	s_and_saveexec_b32 s11, s1
	s_cbranch_execz .LBB1238_837
; %bb.820:
	v_mul_u64_e32 v[10:11], v[24:25], v[6:7]
	v_mul_u64_e32 v[12:13], v[14:15], v[6:7]
	v_mov_b64_e32 v[16:17], v[6:7]
	s_mov_b32 s12, 0
                                        ; implicit-def: $sgpr13
                                        ; implicit-def: $sgpr14
                                        ; implicit-def: $sgpr17
	s_delay_alu instid0(VALU_DEP_3) | instskip(NEXT) | instid1(VALU_DEP_3)
	v_lshl_add_u64 v[10:11], v[10:11], 1, v[8:9]
	v_lshl_add_u64 v[12:13], v[12:13], 1, v[8:9]
	s_branch .LBB1238_822
.LBB1238_821:                           ;   in Loop: Header=BB1238_822 Depth=1
	s_or_b32 exec_lo, exec_lo, s17
	s_delay_alu instid0(SALU_CYCLE_1) | instskip(SKIP_4) | instid1(SALU_CYCLE_1)
	s_and_b32 s1, exec_lo, s16
	s_mov_b32 s17, s15
	s_or_b32 s12, s1, s12
	s_and_not1_b32 s1, s13, exec_lo
	s_and_b32 s13, s14, exec_lo
	s_or_b32 s13, s1, s13
	s_and_not1_b32 exec_lo, exec_lo, s12
	s_cbranch_execz .LBB1238_836
.LBB1238_822:                           ; =>This Inner Loop Header: Depth=1
	flat_load_u16 v32, v[12:13]
	flat_load_u16 v33, v[10:11]
	s_mov_b32 s16, -1
	s_mov_b32 s18, 0
	s_mov_b32 s15, -1
	s_mov_b32 s19, exec_lo
	s_wait_loadcnt_dscnt 0x0
	v_cmpx_nlt_f16_e32 v32, v33
; %bb.823:                              ;   in Loop: Header=BB1238_822 Depth=1
	v_cmp_ngt_f16_e64 s1, v32, v33
	s_and_b32 s15, s1, s17
	s_and_b32 s18, s1, exec_lo
	s_or_not1_b32 s15, s15, exec_lo
; %bb.824:                              ;   in Loop: Header=BB1238_822 Depth=1
	s_or_b32 exec_lo, exec_lo, s19
	s_delay_alu instid0(SALU_CYCLE_1) | instskip(SKIP_1) | instid1(SALU_CYCLE_1)
	s_and_not1_b32 s1, s14, exec_lo
	s_and_b32 s14, s15, exec_lo
	s_or_b32 s14, s1, s14
	s_and_saveexec_b32 s17, s18
	s_cbranch_execz .LBB1238_821
; %bb.825:                              ;   in Loop: Header=BB1238_822 Depth=1
	v_add_nc_u64_e32 v[16:17], -1, v[16:17]
	v_add_nc_u64_e32 v[10:11], 2, v[10:11]
	v_add_nc_u64_e32 v[12:13], 2, v[12:13]
	s_and_not1_b32 s14, s14, exec_lo
	s_delay_alu instid0(VALU_DEP_3)
	v_cmp_eq_u64_e64 s1, 0, v[16:17]
	s_or_not1_b32 s16, s1, exec_lo
	s_branch .LBB1238_821
.LBB1238_826:
	s_or_b32 exec_lo, exec_lo, s19
	s_xor_b32 s9, s20, -1
	s_and_not1_b32 s16, s16, exec_lo
	s_and_b32 s9, s9, exec_lo
	s_delay_alu instid0(SALU_CYCLE_1)
	s_or_b32 s16, s16, s9
.LBB1238_827:
	s_or_b32 exec_lo, exec_lo, s18
	s_delay_alu instid0(SALU_CYCLE_1)
	s_or_not1_b32 s16, s16, exec_lo
.LBB1238_828:
	s_or_b32 exec_lo, exec_lo, s17
	v_dual_cndmask_b32 v14, v34, v35, s16 :: v_dual_cndmask_b32 v15, v115, v114, s16
	s_mov_b32 s18, -1
	s_mov_b32 s17, -1
	s_mov_b32 s19, exec_lo
	s_delay_alu instid0(VALU_DEP_1) | instskip(NEXT) | instid1(VALU_DEP_1)
	v_add_nc_u32_e32 v16, 1, v14
	v_add_min_u32_e64 v14, v15, -1, v16
	s_delay_alu instid0(VALU_DEP_1)
	v_lshl_add_u32 v14, v14, 3, v30
	ds_load_b64 v[14:15], v14
	s_wait_dscnt 0x0
	v_dual_cndmask_b32 v21, v15, v19, s16 :: v_dual_cndmask_b32 v38, v16, v34, s16
	v_dual_cndmask_b32 v39, v35, v16, s16 :: v_dual_cndmask_b32 v20, v14, v18, s16
	;; [unrolled: 1-line block ×3, first 2 shown]
	s_delay_alu instid0(VALU_DEP_3)
	v_cmpx_lt_u32_e64 v38, v115
	s_cbranch_execz .LBB1238_848
; %bb.829:
	s_delay_alu instid0(VALU_DEP_3) | instskip(SKIP_1) | instid1(SALU_CYCLE_1)
	v_cmp_lt_u32_e64 s17, v39, v114
	s_and_b32 s9, s17, s14
	s_and_saveexec_b32 s20, s9
	s_cbranch_execz .LBB1238_847
; %bb.830:
	v_mul_u64_e32 v[14:15], v[34:35], v[6:7]
	v_mul_u64_e32 v[16:17], v[20:21], v[6:7]
	v_mov_b64_e32 v[36:37], v[6:7]
	s_mov_b32 s21, 0
                                        ; implicit-def: $sgpr22
                                        ; implicit-def: $sgpr23
                                        ; implicit-def: $sgpr26
	s_delay_alu instid0(VALU_DEP_3) | instskip(NEXT) | instid1(VALU_DEP_3)
	v_lshl_add_u64 v[14:15], v[14:15], 1, v[8:9]
	v_lshl_add_u64 v[16:17], v[16:17], 1, v[8:9]
	s_branch .LBB1238_832
.LBB1238_831:                           ;   in Loop: Header=BB1238_832 Depth=1
	s_or_b32 exec_lo, exec_lo, s26
	s_delay_alu instid0(SALU_CYCLE_1) | instskip(SKIP_4) | instid1(SALU_CYCLE_1)
	s_and_b32 s9, exec_lo, s25
	s_mov_b32 s26, s24
	s_or_b32 s21, s9, s21
	s_and_not1_b32 s9, s22, exec_lo
	s_and_b32 s22, s23, exec_lo
	s_or_b32 s22, s9, s22
	s_and_not1_b32 exec_lo, exec_lo, s21
	s_cbranch_execz .LBB1238_846
.LBB1238_832:                           ; =>This Inner Loop Header: Depth=1
	flat_load_u16 v48, v[16:17]
	flat_load_u16 v49, v[14:15]
	s_mov_b32 s25, -1
	s_mov_b32 s27, 0
	s_mov_b32 s24, -1
	s_mov_b32 s28, exec_lo
	s_wait_loadcnt_dscnt 0x0
	v_cmpx_nlt_f16_e32 v48, v49
; %bb.833:                              ;   in Loop: Header=BB1238_832 Depth=1
	v_cmp_ngt_f16_e64 s9, v48, v49
	s_and_b32 s24, s9, s26
	s_and_b32 s27, s9, exec_lo
	s_or_not1_b32 s24, s24, exec_lo
; %bb.834:                              ;   in Loop: Header=BB1238_832 Depth=1
	s_or_b32 exec_lo, exec_lo, s28
	s_delay_alu instid0(SALU_CYCLE_1) | instskip(SKIP_1) | instid1(SALU_CYCLE_1)
	s_and_not1_b32 s9, s23, exec_lo
	s_and_b32 s23, s24, exec_lo
	s_or_b32 s23, s9, s23
	s_and_saveexec_b32 s26, s27
	s_cbranch_execz .LBB1238_831
; %bb.835:                              ;   in Loop: Header=BB1238_832 Depth=1
	v_add_nc_u64_e32 v[36:37], -1, v[36:37]
	v_add_nc_u64_e32 v[14:15], 2, v[14:15]
	v_add_nc_u64_e32 v[16:17], 2, v[16:17]
	s_and_not1_b32 s23, s23, exec_lo
	s_delay_alu instid0(VALU_DEP_3)
	v_cmp_eq_u64_e64 s9, 0, v[36:37]
	s_or_not1_b32 s25, s9, exec_lo
	s_branch .LBB1238_831
.LBB1238_836:
	s_or_b32 exec_lo, exec_lo, s12
	s_xor_b32 s1, s13, -1
	s_and_not1_b32 s6, s6, exec_lo
	s_and_b32 s1, s1, exec_lo
	s_delay_alu instid0(SALU_CYCLE_1)
	s_or_b32 s6, s6, s1
.LBB1238_837:
	s_or_b32 exec_lo, exec_lo, s11
	s_delay_alu instid0(SALU_CYCLE_1)
	s_or_not1_b32 s6, s6, exec_lo
.LBB1238_838:
	s_or_b32 exec_lo, exec_lo, s7
	v_cndmask_b32_e64 v10, v30, v31, s6
	v_cndmask_b32_e64 v11, v112, v103, s6
	s_mov_b32 s11, -1
	s_mov_b32 s7, -1
	s_mov_b32 s12, exec_lo
	v_add_nc_u32_e32 v12, 1, v10
	s_delay_alu instid0(VALU_DEP_1) | instskip(SKIP_1) | instid1(VALU_DEP_2)
	v_add_min_u32_e64 v10, v11, -1, v12
	v_cndmask_b32_e64 v34, v12, v30, s6
	v_lshl_add_u32 v10, v10, 3, v22
	ds_load_b64 v[10:11], v10
	s_wait_dscnt 0x0
	v_dual_cndmask_b32 v35, v31, v12, s6 :: v_dual_cndmask_b32 v16, v10, v14, s6
	v_dual_cndmask_b32 v17, v11, v15, s6 :: v_dual_cndmask_b32 v30, v24, v10, s6
	v_cndmask_b32_e64 v31, v25, v11, s6
	v_cmpx_lt_u32_e64 v34, v112
	s_cbranch_execz .LBB1238_858
; %bb.839:
	v_cmp_lt_u32_e64 s7, v35, v103
	s_xor_b32 s1, s0, -1
	s_delay_alu instid0(SALU_CYCLE_1) | instskip(NEXT) | instid1(SALU_CYCLE_1)
	s_and_b32 s1, s7, s1
	s_and_saveexec_b32 s13, s1
	s_cbranch_execz .LBB1238_857
; %bb.840:
	v_mul_u64_e32 v[10:11], v[30:31], v[6:7]
	v_mul_u64_e32 v[12:13], v[16:17], v[6:7]
	v_mov_b64_e32 v[32:33], v[6:7]
	s_mov_b32 s14, 0
                                        ; implicit-def: $sgpr15
                                        ; implicit-def: $sgpr16
                                        ; implicit-def: $sgpr19
	s_delay_alu instid0(VALU_DEP_3) | instskip(NEXT) | instid1(VALU_DEP_3)
	v_lshl_add_u64 v[10:11], v[10:11], 1, v[8:9]
	v_lshl_add_u64 v[12:13], v[12:13], 1, v[8:9]
	s_branch .LBB1238_842
.LBB1238_841:                           ;   in Loop: Header=BB1238_842 Depth=1
	s_or_b32 exec_lo, exec_lo, s19
	s_delay_alu instid0(SALU_CYCLE_1) | instskip(SKIP_4) | instid1(SALU_CYCLE_1)
	s_and_b32 s1, exec_lo, s18
	s_mov_b32 s19, s17
	s_or_b32 s14, s1, s14
	s_and_not1_b32 s1, s15, exec_lo
	s_and_b32 s15, s16, exec_lo
	s_or_b32 s15, s1, s15
	s_and_not1_b32 exec_lo, exec_lo, s14
	s_cbranch_execz .LBB1238_856
.LBB1238_842:                           ; =>This Inner Loop Header: Depth=1
	flat_load_u16 v36, v[12:13]
	flat_load_u16 v37, v[10:11]
	s_mov_b32 s18, -1
	s_mov_b32 s20, 0
	s_mov_b32 s17, -1
	s_mov_b32 s21, exec_lo
	s_wait_loadcnt_dscnt 0x0
	v_cmpx_nlt_f16_e32 v36, v37
; %bb.843:                              ;   in Loop: Header=BB1238_842 Depth=1
	v_cmp_ngt_f16_e64 s1, v36, v37
	s_and_b32 s17, s1, s19
	s_and_b32 s20, s1, exec_lo
	s_or_not1_b32 s17, s17, exec_lo
; %bb.844:                              ;   in Loop: Header=BB1238_842 Depth=1
	s_or_b32 exec_lo, exec_lo, s21
	s_delay_alu instid0(SALU_CYCLE_1) | instskip(SKIP_1) | instid1(SALU_CYCLE_1)
	s_and_not1_b32 s1, s16, exec_lo
	s_and_b32 s16, s17, exec_lo
	s_or_b32 s16, s1, s16
	s_and_saveexec_b32 s19, s20
	s_cbranch_execz .LBB1238_841
; %bb.845:                              ;   in Loop: Header=BB1238_842 Depth=1
	v_add_nc_u64_e32 v[32:33], -1, v[32:33]
	v_add_nc_u64_e32 v[10:11], 2, v[10:11]
	v_add_nc_u64_e32 v[12:13], 2, v[12:13]
	s_and_not1_b32 s16, s16, exec_lo
	s_delay_alu instid0(VALU_DEP_3)
	v_cmp_eq_u64_e64 s1, 0, v[32:33]
	s_or_not1_b32 s18, s1, exec_lo
	s_branch .LBB1238_841
.LBB1238_846:
	s_or_b32 exec_lo, exec_lo, s21
	s_xor_b32 s9, s22, -1
	s_and_not1_b32 s17, s17, exec_lo
	s_and_b32 s9, s9, exec_lo
	s_delay_alu instid0(SALU_CYCLE_1)
	s_or_b32 s17, s17, s9
.LBB1238_847:
	s_or_b32 exec_lo, exec_lo, s20
	s_delay_alu instid0(SALU_CYCLE_1)
	s_or_not1_b32 s17, s17, exec_lo
.LBB1238_848:
	s_or_b32 exec_lo, exec_lo, s19
	v_dual_cndmask_b32 v14, v38, v39, s17 :: v_dual_cndmask_b32 v15, v115, v114, s17
	s_mov_b32 s19, exec_lo
	s_delay_alu instid0(VALU_DEP_1) | instskip(NEXT) | instid1(VALU_DEP_1)
	v_add_nc_u32_e32 v14, 1, v14
	v_add_min_u32_e64 v15, v15, -1, v14
	s_delay_alu instid0(VALU_DEP_1)
	v_lshl_add_u32 v15, v15, 3, v30
	ds_load_b64 v[16:17], v15
	s_wait_dscnt 0x0
	v_dual_cndmask_b32 v15, v17, v21, s17 :: v_dual_cndmask_b32 v50, v14, v38, s17
	v_dual_cndmask_b32 v51, v39, v14, s17 :: v_dual_cndmask_b32 v36, v34, v16, s17
	;; [unrolled: 1-line block ×3, first 2 shown]
	s_delay_alu instid0(VALU_DEP_3)
	v_cmpx_lt_u32_e64 v50, v115
	s_cbranch_execz .LBB1238_868
; %bb.849:
	s_delay_alu instid0(VALU_DEP_3) | instskip(SKIP_1) | instid1(SALU_CYCLE_1)
	v_cmp_lt_u32_e64 s18, v51, v114
	s_and_b32 s9, s18, s14
	s_and_saveexec_b32 s20, s9
	s_cbranch_execz .LBB1238_867
; %bb.850:
	v_mul_u64_e32 v[16:17], v[36:37], v[6:7]
	v_mul_u64_e32 v[38:39], v[14:15], v[6:7]
	v_mov_b64_e32 v[48:49], v[6:7]
	s_mov_b32 s21, 0
                                        ; implicit-def: $sgpr22
                                        ; implicit-def: $sgpr23
                                        ; implicit-def: $sgpr26
	s_delay_alu instid0(VALU_DEP_3) | instskip(NEXT) | instid1(VALU_DEP_3)
	v_lshl_add_u64 v[16:17], v[16:17], 1, v[8:9]
	v_lshl_add_u64 v[38:39], v[38:39], 1, v[8:9]
	s_branch .LBB1238_852
.LBB1238_851:                           ;   in Loop: Header=BB1238_852 Depth=1
	s_or_b32 exec_lo, exec_lo, s26
	s_delay_alu instid0(SALU_CYCLE_1) | instskip(SKIP_4) | instid1(SALU_CYCLE_1)
	s_and_b32 s9, exec_lo, s25
	s_mov_b32 s26, s24
	s_or_b32 s21, s9, s21
	s_and_not1_b32 s9, s22, exec_lo
	s_and_b32 s22, s23, exec_lo
	s_or_b32 s22, s9, s22
	s_and_not1_b32 exec_lo, exec_lo, s21
	s_cbranch_execz .LBB1238_866
.LBB1238_852:                           ; =>This Inner Loop Header: Depth=1
	flat_load_u16 v52, v[38:39]
	flat_load_u16 v53, v[16:17]
	s_mov_b32 s25, -1
	s_mov_b32 s27, 0
	s_mov_b32 s24, -1
	s_mov_b32 s28, exec_lo
	s_wait_loadcnt_dscnt 0x0
	v_cmpx_nlt_f16_e32 v52, v53
; %bb.853:                              ;   in Loop: Header=BB1238_852 Depth=1
	v_cmp_ngt_f16_e64 s9, v52, v53
	s_and_b32 s24, s9, s26
	s_and_b32 s27, s9, exec_lo
	s_or_not1_b32 s24, s24, exec_lo
; %bb.854:                              ;   in Loop: Header=BB1238_852 Depth=1
	s_or_b32 exec_lo, exec_lo, s28
	s_delay_alu instid0(SALU_CYCLE_1) | instskip(SKIP_1) | instid1(SALU_CYCLE_1)
	s_and_not1_b32 s9, s23, exec_lo
	s_and_b32 s23, s24, exec_lo
	s_or_b32 s23, s9, s23
	s_and_saveexec_b32 s26, s27
	s_cbranch_execz .LBB1238_851
; %bb.855:                              ;   in Loop: Header=BB1238_852 Depth=1
	v_add_nc_u64_e32 v[48:49], -1, v[48:49]
	v_add_nc_u64_e32 v[16:17], 2, v[16:17]
	v_add_nc_u64_e32 v[38:39], 2, v[38:39]
	s_and_not1_b32 s23, s23, exec_lo
	s_delay_alu instid0(VALU_DEP_3)
	v_cmp_eq_u64_e64 s9, 0, v[48:49]
	s_or_not1_b32 s25, s9, exec_lo
	s_branch .LBB1238_851
.LBB1238_856:
	s_or_b32 exec_lo, exec_lo, s14
	s_xor_b32 s1, s15, -1
	s_and_not1_b32 s7, s7, exec_lo
	s_and_b32 s1, s1, exec_lo
	s_delay_alu instid0(SALU_CYCLE_1)
	s_or_b32 s7, s7, s1
.LBB1238_857:
	s_or_b32 exec_lo, exec_lo, s13
	s_delay_alu instid0(SALU_CYCLE_1)
	s_or_not1_b32 s7, s7, exec_lo
.LBB1238_858:
	s_or_b32 exec_lo, exec_lo, s12
	v_cndmask_b32_e64 v10, v34, v35, s7
	v_cndmask_b32_e64 v11, v112, v103, s7
	s_mov_b32 s12, exec_lo
	s_delay_alu instid0(VALU_DEP_2) | instskip(NEXT) | instid1(VALU_DEP_1)
	v_add_nc_u32_e32 v10, 1, v10
	v_add_min_u32_e64 v11, v11, -1, v10
	s_delay_alu instid0(VALU_DEP_1)
	v_lshl_add_u32 v11, v11, 3, v22
	ds_load_b64 v[12:13], v11
	v_cndmask_b32_e64 v38, v10, v34, s7
	s_wait_dscnt 0x0
	v_dual_cndmask_b32 v39, v35, v10, s7 :: v_dual_cndmask_b32 v32, v30, v12, s7
	v_dual_cndmask_b32 v11, v13, v17, s7 :: v_dual_cndmask_b32 v10, v12, v16, s7
	v_cndmask_b32_e64 v33, v31, v13, s7
	v_cmpx_lt_u32_e64 v38, v112
	s_cbranch_execz .LBB1238_878
; %bb.859:
	v_cmp_lt_u32_e64 s11, v39, v103
	s_xor_b32 s1, s0, -1
	s_delay_alu instid0(SALU_CYCLE_1) | instskip(NEXT) | instid1(SALU_CYCLE_1)
	s_and_b32 s1, s11, s1
	s_and_saveexec_b32 s13, s1
	s_cbranch_execz .LBB1238_877
; %bb.860:
	v_mul_u64_e32 v[12:13], v[32:33], v[6:7]
	v_mul_u64_e32 v[34:35], v[10:11], v[6:7]
	v_mov_b64_e32 v[36:37], v[6:7]
	s_mov_b32 s14, 0
                                        ; implicit-def: $sgpr15
                                        ; implicit-def: $sgpr16
                                        ; implicit-def: $sgpr19
	s_delay_alu instid0(VALU_DEP_3) | instskip(NEXT) | instid1(VALU_DEP_3)
	v_lshl_add_u64 v[12:13], v[12:13], 1, v[8:9]
	v_lshl_add_u64 v[34:35], v[34:35], 1, v[8:9]
	s_branch .LBB1238_862
.LBB1238_861:                           ;   in Loop: Header=BB1238_862 Depth=1
	s_or_b32 exec_lo, exec_lo, s19
	s_delay_alu instid0(SALU_CYCLE_1) | instskip(SKIP_4) | instid1(SALU_CYCLE_1)
	s_and_b32 s1, exec_lo, s18
	s_mov_b32 s19, s17
	s_or_b32 s14, s1, s14
	s_and_not1_b32 s1, s15, exec_lo
	s_and_b32 s15, s16, exec_lo
	s_or_b32 s15, s1, s15
	s_and_not1_b32 exec_lo, exec_lo, s14
	s_cbranch_execz .LBB1238_876
.LBB1238_862:                           ; =>This Inner Loop Header: Depth=1
	flat_load_u16 v48, v[34:35]
	flat_load_u16 v49, v[12:13]
	s_mov_b32 s18, -1
	s_mov_b32 s20, 0
	s_mov_b32 s17, -1
	s_mov_b32 s21, exec_lo
	s_wait_loadcnt_dscnt 0x0
	v_cmpx_nlt_f16_e32 v48, v49
; %bb.863:                              ;   in Loop: Header=BB1238_862 Depth=1
	v_cmp_ngt_f16_e64 s1, v48, v49
	s_and_b32 s17, s1, s19
	s_and_b32 s20, s1, exec_lo
	s_or_not1_b32 s17, s17, exec_lo
; %bb.864:                              ;   in Loop: Header=BB1238_862 Depth=1
	s_or_b32 exec_lo, exec_lo, s21
	s_delay_alu instid0(SALU_CYCLE_1) | instskip(SKIP_1) | instid1(SALU_CYCLE_1)
	s_and_not1_b32 s1, s16, exec_lo
	s_and_b32 s16, s17, exec_lo
	s_or_b32 s16, s1, s16
	s_and_saveexec_b32 s19, s20
	s_cbranch_execz .LBB1238_861
; %bb.865:                              ;   in Loop: Header=BB1238_862 Depth=1
	v_add_nc_u64_e32 v[36:37], -1, v[36:37]
	v_add_nc_u64_e32 v[12:13], 2, v[12:13]
	v_add_nc_u64_e32 v[34:35], 2, v[34:35]
	s_and_not1_b32 s16, s16, exec_lo
	s_delay_alu instid0(VALU_DEP_3)
	v_cmp_eq_u64_e64 s1, 0, v[36:37]
	s_or_not1_b32 s18, s1, exec_lo
	s_branch .LBB1238_861
.LBB1238_866:
	s_or_b32 exec_lo, exec_lo, s21
	s_xor_b32 s9, s22, -1
	s_and_not1_b32 s18, s18, exec_lo
	s_and_b32 s9, s9, exec_lo
	s_delay_alu instid0(SALU_CYCLE_1)
	s_or_b32 s18, s18, s9
.LBB1238_867:
	s_or_b32 exec_lo, exec_lo, s20
	s_delay_alu instid0(SALU_CYCLE_1)
	s_or_not1_b32 s18, s18, exec_lo
.LBB1238_868:
	s_or_b32 exec_lo, exec_lo, s19
	v_dual_cndmask_b32 v16, v50, v51, s18 :: v_dual_cndmask_b32 v17, v115, v114, s18
	s_mov_b32 s19, -1
	s_mov_b32 s20, -1
	s_mov_b32 s21, exec_lo
	s_delay_alu instid0(VALU_DEP_1) | instskip(NEXT) | instid1(VALU_DEP_1)
	v_add_nc_u32_e32 v16, 1, v16
	v_add_min_u32_e64 v17, v17, -1, v16
	s_delay_alu instid0(VALU_DEP_1)
	v_lshl_add_u32 v17, v17, 3, v30
	ds_load_b64 v[38:39], v17
	s_wait_dscnt 0x0
	v_dual_cndmask_b32 v17, v39, v15, s18 :: v_dual_cndmask_b32 v54, v16, v50, s18
	v_dual_cndmask_b32 v55, v51, v16, s18 :: v_dual_cndmask_b32 v16, v38, v14, s18
	;; [unrolled: 1-line block ×3, first 2 shown]
	s_delay_alu instid0(VALU_DEP_3)
	v_cmpx_lt_u32_e64 v54, v115
	s_cbranch_execz .LBB1238_888
; %bb.869:
	s_delay_alu instid0(VALU_DEP_3) | instskip(SKIP_1) | instid1(SALU_CYCLE_1)
	v_cmp_lt_u32_e64 s20, v55, v114
	s_and_b32 s9, s20, s14
	s_and_saveexec_b32 s22, s9
	s_cbranch_execz .LBB1238_887
; %bb.870:
	v_mul_u64_e32 v[48:49], v[38:39], v[6:7]
	v_mul_u64_e32 v[50:51], v[16:17], v[6:7]
	v_mov_b64_e32 v[52:53], v[6:7]
	s_mov_b32 s23, 0
                                        ; implicit-def: $sgpr24
                                        ; implicit-def: $sgpr25
                                        ; implicit-def: $sgpr28
	s_delay_alu instid0(VALU_DEP_3) | instskip(NEXT) | instid1(VALU_DEP_3)
	v_lshl_add_u64 v[48:49], v[48:49], 1, v[8:9]
	v_lshl_add_u64 v[50:51], v[50:51], 1, v[8:9]
	s_branch .LBB1238_872
.LBB1238_871:                           ;   in Loop: Header=BB1238_872 Depth=1
	s_or_b32 exec_lo, exec_lo, s28
	s_delay_alu instid0(SALU_CYCLE_1) | instskip(SKIP_4) | instid1(SALU_CYCLE_1)
	s_and_b32 s9, exec_lo, s27
	s_mov_b32 s28, s26
	s_or_b32 s23, s9, s23
	s_and_not1_b32 s9, s24, exec_lo
	s_and_b32 s24, s25, exec_lo
	s_or_b32 s24, s9, s24
	s_and_not1_b32 exec_lo, exec_lo, s23
	s_cbranch_execz .LBB1238_886
.LBB1238_872:                           ; =>This Inner Loop Header: Depth=1
	flat_load_u16 v64, v[50:51]
	flat_load_u16 v65, v[48:49]
	s_mov_b32 s27, -1
	s_mov_b32 s29, 0
	s_mov_b32 s26, -1
	s_mov_b32 s40, exec_lo
	s_wait_loadcnt_dscnt 0x0
	v_cmpx_nlt_f16_e32 v64, v65
; %bb.873:                              ;   in Loop: Header=BB1238_872 Depth=1
	v_cmp_ngt_f16_e64 s9, v64, v65
	s_and_b32 s26, s9, s28
	s_and_b32 s29, s9, exec_lo
	s_or_not1_b32 s26, s26, exec_lo
; %bb.874:                              ;   in Loop: Header=BB1238_872 Depth=1
	s_or_b32 exec_lo, exec_lo, s40
	s_delay_alu instid0(SALU_CYCLE_1) | instskip(SKIP_1) | instid1(SALU_CYCLE_1)
	s_and_not1_b32 s9, s25, exec_lo
	s_and_b32 s25, s26, exec_lo
	s_or_b32 s25, s9, s25
	s_and_saveexec_b32 s28, s29
	s_cbranch_execz .LBB1238_871
; %bb.875:                              ;   in Loop: Header=BB1238_872 Depth=1
	v_add_nc_u64_e32 v[52:53], -1, v[52:53]
	v_add_nc_u64_e32 v[48:49], 2, v[48:49]
	v_add_nc_u64_e32 v[50:51], 2, v[50:51]
	s_and_not1_b32 s25, s25, exec_lo
	s_delay_alu instid0(VALU_DEP_3)
	v_cmp_eq_u64_e64 s9, 0, v[52:53]
	s_or_not1_b32 s27, s9, exec_lo
	s_branch .LBB1238_871
.LBB1238_876:
	s_or_b32 exec_lo, exec_lo, s14
	s_xor_b32 s1, s15, -1
	s_and_not1_b32 s11, s11, exec_lo
	s_and_b32 s1, s1, exec_lo
	s_delay_alu instid0(SALU_CYCLE_1)
	s_or_b32 s11, s11, s1
.LBB1238_877:
	s_or_b32 exec_lo, exec_lo, s13
	s_delay_alu instid0(SALU_CYCLE_1)
	s_or_not1_b32 s11, s11, exec_lo
.LBB1238_878:
	s_or_b32 exec_lo, exec_lo, s12
	v_cndmask_b32_e64 v12, v38, v39, s11
	v_cndmask_b32_e64 v13, v112, v103, s11
	s_mov_b32 s12, -1
	s_mov_b32 s13, -1
	s_mov_b32 s14, exec_lo
	v_add_nc_u32_e32 v12, 1, v12
	s_delay_alu instid0(VALU_DEP_1) | instskip(SKIP_1) | instid1(VALU_DEP_2)
	v_add_min_u32_e64 v13, v13, -1, v12
	v_dual_cndmask_b32 v50, v12, v38, s11 :: v_dual_cndmask_b32 v51, v39, v12, s11
	v_lshl_add_u32 v13, v13, 3, v22
	ds_load_b64 v[34:35], v13
	s_wait_dscnt 0x0
	v_dual_cndmask_b32 v13, v35, v11, s11 :: v_dual_cndmask_b32 v12, v34, v10, s11
	v_dual_cndmask_b32 v35, v33, v35, s11 :: v_dual_cndmask_b32 v34, v32, v34, s11
	v_cmpx_lt_u32_e64 v50, v112
	s_cbranch_execz .LBB1238_898
; %bb.879:
	v_cmp_lt_u32_e64 s13, v51, v103
	s_xor_b32 s1, s0, -1
	s_delay_alu instid0(SALU_CYCLE_1) | instskip(NEXT) | instid1(SALU_CYCLE_1)
	s_and_b32 s1, s13, s1
	s_and_saveexec_b32 s15, s1
	s_cbranch_execz .LBB1238_897
; %bb.880:
	v_mul_u64_e32 v[36:37], v[34:35], v[6:7]
	v_mul_u64_e32 v[38:39], v[12:13], v[6:7]
	v_mov_b64_e32 v[48:49], v[6:7]
	s_mov_b32 s16, 0
                                        ; implicit-def: $sgpr17
                                        ; implicit-def: $sgpr18
                                        ; implicit-def: $sgpr21
	s_delay_alu instid0(VALU_DEP_3) | instskip(NEXT) | instid1(VALU_DEP_3)
	v_lshl_add_u64 v[36:37], v[36:37], 1, v[8:9]
	v_lshl_add_u64 v[38:39], v[38:39], 1, v[8:9]
	s_branch .LBB1238_882
.LBB1238_881:                           ;   in Loop: Header=BB1238_882 Depth=1
	s_or_b32 exec_lo, exec_lo, s21
	s_delay_alu instid0(SALU_CYCLE_1) | instskip(SKIP_4) | instid1(SALU_CYCLE_1)
	s_and_b32 s1, exec_lo, s20
	s_mov_b32 s21, s19
	s_or_b32 s16, s1, s16
	s_and_not1_b32 s1, s17, exec_lo
	s_and_b32 s17, s18, exec_lo
	s_or_b32 s17, s1, s17
	s_and_not1_b32 exec_lo, exec_lo, s16
	s_cbranch_execz .LBB1238_896
.LBB1238_882:                           ; =>This Inner Loop Header: Depth=1
	flat_load_u16 v52, v[38:39]
	flat_load_u16 v53, v[36:37]
	s_mov_b32 s20, -1
	s_mov_b32 s22, 0
	s_mov_b32 s19, -1
	s_mov_b32 s23, exec_lo
	s_wait_loadcnt_dscnt 0x0
	v_cmpx_nlt_f16_e32 v52, v53
; %bb.883:                              ;   in Loop: Header=BB1238_882 Depth=1
	v_cmp_ngt_f16_e64 s1, v52, v53
	s_and_b32 s19, s1, s21
	s_and_b32 s22, s1, exec_lo
	s_or_not1_b32 s19, s19, exec_lo
; %bb.884:                              ;   in Loop: Header=BB1238_882 Depth=1
	s_or_b32 exec_lo, exec_lo, s23
	s_delay_alu instid0(SALU_CYCLE_1) | instskip(SKIP_1) | instid1(SALU_CYCLE_1)
	s_and_not1_b32 s1, s18, exec_lo
	s_and_b32 s18, s19, exec_lo
	s_or_b32 s18, s1, s18
	s_and_saveexec_b32 s21, s22
	s_cbranch_execz .LBB1238_881
; %bb.885:                              ;   in Loop: Header=BB1238_882 Depth=1
	v_add_nc_u64_e32 v[48:49], -1, v[48:49]
	v_add_nc_u64_e32 v[36:37], 2, v[36:37]
	v_add_nc_u64_e32 v[38:39], 2, v[38:39]
	s_and_not1_b32 s18, s18, exec_lo
	s_delay_alu instid0(VALU_DEP_3)
	v_cmp_eq_u64_e64 s1, 0, v[48:49]
	s_or_not1_b32 s20, s1, exec_lo
	s_branch .LBB1238_881
.LBB1238_886:
	s_or_b32 exec_lo, exec_lo, s23
	s_xor_b32 s9, s24, -1
	s_and_not1_b32 s20, s20, exec_lo
	s_and_b32 s9, s9, exec_lo
	s_delay_alu instid0(SALU_CYCLE_1)
	s_or_b32 s20, s20, s9
.LBB1238_887:
	s_or_b32 exec_lo, exec_lo, s22
	s_delay_alu instid0(SALU_CYCLE_1)
	s_or_not1_b32 s20, s20, exec_lo
.LBB1238_888:
	s_or_b32 exec_lo, exec_lo, s21
	v_dual_cndmask_b32 v48, v54, v55, s20 :: v_dual_cndmask_b32 v49, v115, v114, s20
	s_mov_b32 s21, exec_lo
	s_delay_alu instid0(VALU_DEP_1) | instskip(NEXT) | instid1(VALU_DEP_1)
	v_add_nc_u32_e32 v48, 1, v48
	v_add_min_u32_e64 v49, v49, -1, v48
	s_delay_alu instid0(VALU_DEP_1)
	v_lshl_add_u32 v49, v49, 3, v30
	ds_load_b64 v[50:51], v49
	s_wait_dscnt 0x0
	v_dual_cndmask_b32 v49, v51, v17, s20 :: v_dual_cndmask_b32 v117, v48, v54, s20
	v_cndmask_b32_e64 v116, v55, v48, s20
	v_dual_cndmask_b32 v48, v50, v16, s20 :: v_dual_cndmask_b32 v51, v39, v51, s20
	v_cndmask_b32_e64 v50, v38, v50, s20
	s_delay_alu instid0(VALU_DEP_4)
	v_cmpx_lt_u32_e64 v117, v115
	s_cbranch_execz .LBB1238_908
; %bb.889:
	v_cmp_lt_u32_e64 s19, v116, v114
	s_and_b32 s9, s19, s14
	s_delay_alu instid0(SALU_CYCLE_1)
	s_and_saveexec_b32 s22, s9
	s_cbranch_execz .LBB1238_907
; %bb.890:
	v_mul_u64_e32 v[52:53], v[50:51], v[6:7]
	v_mul_u64_e32 v[54:55], v[48:49], v[6:7]
	v_mov_b64_e32 v[64:65], v[6:7]
	s_mov_b32 s23, 0
                                        ; implicit-def: $sgpr24
                                        ; implicit-def: $sgpr25
                                        ; implicit-def: $sgpr28
	s_delay_alu instid0(VALU_DEP_3) | instskip(NEXT) | instid1(VALU_DEP_3)
	v_lshl_add_u64 v[52:53], v[52:53], 1, v[8:9]
	v_lshl_add_u64 v[54:55], v[54:55], 1, v[8:9]
	s_branch .LBB1238_892
.LBB1238_891:                           ;   in Loop: Header=BB1238_892 Depth=1
	s_or_b32 exec_lo, exec_lo, s28
	s_delay_alu instid0(SALU_CYCLE_1) | instskip(SKIP_4) | instid1(SALU_CYCLE_1)
	s_and_b32 s9, exec_lo, s27
	s_mov_b32 s28, s26
	s_or_b32 s23, s9, s23
	s_and_not1_b32 s9, s24, exec_lo
	s_and_b32 s24, s25, exec_lo
	s_or_b32 s24, s9, s24
	s_and_not1_b32 exec_lo, exec_lo, s23
	s_cbranch_execz .LBB1238_906
.LBB1238_892:                           ; =>This Inner Loop Header: Depth=1
	flat_load_u16 v118, v[54:55]
	flat_load_u16 v119, v[52:53]
	s_mov_b32 s27, -1
	s_mov_b32 s29, 0
	s_mov_b32 s26, -1
	s_mov_b32 s40, exec_lo
	s_wait_loadcnt_dscnt 0x0
	v_cmpx_nlt_f16_e32 v118, v119
; %bb.893:                              ;   in Loop: Header=BB1238_892 Depth=1
	v_cmp_ngt_f16_e64 s9, v118, v119
	s_and_b32 s26, s9, s28
	s_and_b32 s29, s9, exec_lo
	s_or_not1_b32 s26, s26, exec_lo
; %bb.894:                              ;   in Loop: Header=BB1238_892 Depth=1
	s_or_b32 exec_lo, exec_lo, s40
	s_delay_alu instid0(SALU_CYCLE_1) | instskip(SKIP_1) | instid1(SALU_CYCLE_1)
	s_and_not1_b32 s9, s25, exec_lo
	s_and_b32 s25, s26, exec_lo
	s_or_b32 s25, s9, s25
	s_and_saveexec_b32 s28, s29
	s_cbranch_execz .LBB1238_891
; %bb.895:                              ;   in Loop: Header=BB1238_892 Depth=1
	v_add_nc_u64_e32 v[64:65], -1, v[64:65]
	v_add_nc_u64_e32 v[52:53], 2, v[52:53]
	v_add_nc_u64_e32 v[54:55], 2, v[54:55]
	s_and_not1_b32 s25, s25, exec_lo
	s_delay_alu instid0(VALU_DEP_3)
	v_cmp_eq_u64_e64 s9, 0, v[64:65]
	s_or_not1_b32 s27, s9, exec_lo
	s_branch .LBB1238_891
.LBB1238_896:
	s_or_b32 exec_lo, exec_lo, s16
	s_xor_b32 s1, s17, -1
	s_and_not1_b32 s13, s13, exec_lo
	s_and_b32 s1, s1, exec_lo
	s_delay_alu instid0(SALU_CYCLE_1)
	s_or_b32 s13, s13, s1
.LBB1238_897:
	s_or_b32 exec_lo, exec_lo, s15
	s_delay_alu instid0(SALU_CYCLE_1)
	s_or_not1_b32 s13, s13, exec_lo
.LBB1238_898:
	s_or_b32 exec_lo, exec_lo, s14
	v_cndmask_b32_e64 v36, v50, v51, s13
	v_cndmask_b32_e64 v37, v112, v103, s13
	s_mov_b32 s14, exec_lo
	s_delay_alu instid0(VALU_DEP_2) | instskip(NEXT) | instid1(VALU_DEP_1)
	v_add_nc_u32_e32 v36, 1, v36
	v_add_min_u32_e64 v37, v37, -1, v36
	v_dual_cndmask_b32 v114, v36, v50, s13 :: v_dual_cndmask_b32 v113, v51, v36, s13
	s_delay_alu instid0(VALU_DEP_2)
	v_lshl_add_u32 v37, v37, 3, v22
	ds_load_b64 v[38:39], v37
	s_wait_dscnt 0x0
	v_dual_cndmask_b32 v37, v39, v13, s13 :: v_dual_cndmask_b32 v36, v38, v12, s13
	v_dual_cndmask_b32 v39, v35, v39, s13 :: v_dual_cndmask_b32 v38, v34, v38, s13
	v_cmpx_lt_u32_e64 v114, v112
	s_cbranch_execz .LBB1238_918
; %bb.899:
	v_cmp_lt_u32_e64 s12, v113, v103
	s_xor_b32 s1, s0, -1
	s_delay_alu instid0(SALU_CYCLE_1) | instskip(NEXT) | instid1(SALU_CYCLE_1)
	s_and_b32 s1, s12, s1
	s_and_saveexec_b32 s15, s1
	s_cbranch_execz .LBB1238_917
; %bb.900:
	v_mul_u64_e32 v[48:49], v[38:39], v[6:7]
	v_mul_u64_e32 v[50:51], v[36:37], v[6:7]
	v_mov_b64_e32 v[52:53], v[6:7]
	s_mov_b32 s16, 0
                                        ; implicit-def: $sgpr17
                                        ; implicit-def: $sgpr18
                                        ; implicit-def: $sgpr21
	s_delay_alu instid0(VALU_DEP_3) | instskip(NEXT) | instid1(VALU_DEP_3)
	v_lshl_add_u64 v[48:49], v[48:49], 1, v[8:9]
	v_lshl_add_u64 v[50:51], v[50:51], 1, v[8:9]
	s_branch .LBB1238_902
.LBB1238_901:                           ;   in Loop: Header=BB1238_902 Depth=1
	s_or_b32 exec_lo, exec_lo, s21
	s_delay_alu instid0(SALU_CYCLE_1) | instskip(SKIP_4) | instid1(SALU_CYCLE_1)
	s_and_b32 s1, exec_lo, s20
	s_mov_b32 s21, s19
	s_or_b32 s16, s1, s16
	s_and_not1_b32 s1, s17, exec_lo
	s_and_b32 s17, s18, exec_lo
	s_or_b32 s17, s1, s17
	s_and_not1_b32 exec_lo, exec_lo, s16
	s_cbranch_execz .LBB1238_916
.LBB1238_902:                           ; =>This Inner Loop Header: Depth=1
	flat_load_u16 v115, v[50:51]
	flat_load_u16 v116, v[48:49]
	s_mov_b32 s20, -1
	s_mov_b32 s22, 0
	s_mov_b32 s19, -1
	s_mov_b32 s23, exec_lo
	s_wait_loadcnt_dscnt 0x0
	v_cmpx_nlt_f16_e32 v115, v116
; %bb.903:                              ;   in Loop: Header=BB1238_902 Depth=1
	v_cmp_ngt_f16_e64 s1, v115, v116
	s_and_b32 s19, s1, s21
	s_and_b32 s22, s1, exec_lo
	s_or_not1_b32 s19, s19, exec_lo
; %bb.904:                              ;   in Loop: Header=BB1238_902 Depth=1
	s_or_b32 exec_lo, exec_lo, s23
	s_delay_alu instid0(SALU_CYCLE_1) | instskip(SKIP_1) | instid1(SALU_CYCLE_1)
	s_and_not1_b32 s1, s18, exec_lo
	s_and_b32 s18, s19, exec_lo
	s_or_b32 s18, s1, s18
	s_and_saveexec_b32 s21, s22
	s_cbranch_execz .LBB1238_901
; %bb.905:                              ;   in Loop: Header=BB1238_902 Depth=1
	v_add_nc_u64_e32 v[52:53], -1, v[52:53]
	v_add_nc_u64_e32 v[48:49], 2, v[48:49]
	v_add_nc_u64_e32 v[50:51], 2, v[50:51]
	s_and_not1_b32 s18, s18, exec_lo
	s_delay_alu instid0(VALU_DEP_3)
	v_cmp_eq_u64_e64 s1, 0, v[52:53]
	s_or_not1_b32 s20, s1, exec_lo
	s_branch .LBB1238_901
.LBB1238_906:
	s_or_b32 exec_lo, exec_lo, s23
	s_xor_b32 s9, s24, -1
	s_and_not1_b32 s19, s19, exec_lo
	s_and_b32 s9, s9, exec_lo
	s_delay_alu instid0(SALU_CYCLE_1)
	s_or_b32 s19, s19, s9
.LBB1238_907:
	s_or_b32 exec_lo, exec_lo, s22
	s_delay_alu instid0(SALU_CYCLE_1)
	s_or_not1_b32 s19, s19, exec_lo
.LBB1238_908:
	s_or_b32 exec_lo, exec_lo, s21
	v_dual_cndmask_b32 v52, v117, v116, s19 :: v_dual_cndmask_b32 v53, v115, v114, s19
	v_dual_cndmask_b32 v16, v16, v38, s20 :: v_dual_cndmask_b32 v15, v15, v37, s18
	;; [unrolled: 1-line block ×3, first 2 shown]
	s_delay_alu instid0(VALU_DEP_3) | instskip(SKIP_2) | instid1(VALU_DEP_3)
	v_dual_add_nc_u32 v54, 1, v52 :: v_dual_cndmask_b32 v17, v17, v39, s20
	v_dual_cndmask_b32 v20, v20, v34, s17 :: v_dual_cndmask_b32 v19, v19, v33, s16
	v_dual_cndmask_b32 v18, v18, v32, s16 :: v_dual_cndmask_b32 v25, v23, v25, s11
	v_add_min_u32_e64 v52, v53, -1, v54
	v_dual_cndmask_b32 v24, v22, v24, s11 :: v_dual_cndmask_b32 v23, v13, v11, s10
	v_dual_cndmask_b32 v22, v12, v10, s10 :: v_dual_cndmask_b32 v32, v54, v117, s19
	s_delay_alu instid0(VALU_DEP_3)
	v_lshl_add_u32 v52, v52, 3, v30
	v_dual_cndmask_b32 v11, v49, v51, s19 :: v_dual_cndmask_b32 v10, v48, v50, s19
	s_mov_b32 s10, exec_lo
	ds_load_b64 v[52:53], v52
	s_wait_dscnt 0x0
	v_dual_cndmask_b32 v13, v51, v53, s19 :: v_dual_cndmask_b32 v12, v50, v52, s19
	v_cmpx_lt_u32_e64 v32, v115
	s_cbranch_execz .LBB1238_928
; %bb.909:
	v_dual_cndmask_b32 v34, v116, v54, s19 :: v_dual_cndmask_b32 v33, v53, v49, s19
	s_delay_alu instid0(VALU_DEP_1) | instskip(NEXT) | instid1(VALU_DEP_1)
	v_cmp_ge_u32_e64 s9, v34, v114
	v_dual_cndmask_b32 v32, v52, v48, s19 :: v_dual_cndmask_b32 v35, v13, v33, s9
	s_delay_alu instid0(VALU_DEP_1) | instskip(SKIP_1) | instid1(SALU_CYCLE_1)
	v_cndmask_b32_e64 v34, v12, v32, s9
	s_nor_b32 s9, s9, s8
	s_and_saveexec_b32 s11, s9
	s_cbranch_execz .LBB1238_927
; %bb.910:
	v_mul_u64_e32 v[34:35], v[12:13], v[6:7]
	v_mul_u64_e32 v[36:37], v[32:33], v[6:7]
	v_mov_b64_e32 v[38:39], v[6:7]
	s_mov_b32 s16, 0
                                        ; implicit-def: $sgpr17
                                        ; implicit-def: $sgpr18
                                        ; implicit-def: $sgpr21
	s_delay_alu instid0(VALU_DEP_3) | instskip(NEXT) | instid1(VALU_DEP_3)
	v_lshl_add_u64 v[34:35], v[34:35], 1, v[8:9]
	v_lshl_add_u64 v[36:37], v[36:37], 1, v[8:9]
	s_branch .LBB1238_912
.LBB1238_911:                           ;   in Loop: Header=BB1238_912 Depth=1
	s_or_b32 exec_lo, exec_lo, s21
	s_delay_alu instid0(SALU_CYCLE_1) | instskip(SKIP_4) | instid1(SALU_CYCLE_1)
	s_and_b32 s9, exec_lo, s20
	s_mov_b32 s21, s19
	s_or_b32 s16, s9, s16
	s_and_not1_b32 s9, s17, exec_lo
	s_and_b32 s17, s18, exec_lo
	s_or_b32 s17, s9, s17
	s_and_not1_b32 exec_lo, exec_lo, s16
	s_cbranch_execz .LBB1238_926
.LBB1238_912:                           ; =>This Inner Loop Header: Depth=1
	flat_load_u16 v48, v[36:37]
	flat_load_u16 v49, v[34:35]
	s_mov_b32 s20, -1
	s_mov_b32 s22, 0
	s_mov_b32 s19, -1
	s_mov_b32 s23, exec_lo
	s_wait_loadcnt_dscnt 0x0
	v_cmpx_nlt_f16_e32 v48, v49
; %bb.913:                              ;   in Loop: Header=BB1238_912 Depth=1
	v_cmp_ngt_f16_e64 s9, v48, v49
	s_and_b32 s19, s9, s21
	s_and_b32 s22, s9, exec_lo
	s_or_not1_b32 s19, s19, exec_lo
; %bb.914:                              ;   in Loop: Header=BB1238_912 Depth=1
	s_or_b32 exec_lo, exec_lo, s23
	s_delay_alu instid0(SALU_CYCLE_1) | instskip(SKIP_1) | instid1(SALU_CYCLE_1)
	s_and_not1_b32 s9, s18, exec_lo
	s_and_b32 s18, s19, exec_lo
	s_or_b32 s18, s9, s18
	s_and_saveexec_b32 s21, s22
	s_cbranch_execz .LBB1238_911
; %bb.915:                              ;   in Loop: Header=BB1238_912 Depth=1
	v_add_nc_u64_e32 v[38:39], -1, v[38:39]
	v_add_nc_u64_e32 v[34:35], 2, v[34:35]
	v_add_nc_u64_e32 v[36:37], 2, v[36:37]
	s_and_not1_b32 s18, s18, exec_lo
	s_delay_alu instid0(VALU_DEP_3)
	v_cmp_eq_u64_e64 s9, 0, v[38:39]
	s_or_not1_b32 s20, s9, exec_lo
	s_branch .LBB1238_911
.LBB1238_916:
	s_or_b32 exec_lo, exec_lo, s16
	s_xor_b32 s1, s17, -1
	s_and_not1_b32 s12, s12, exec_lo
	s_and_b32 s1, s1, exec_lo
	s_delay_alu instid0(SALU_CYCLE_1)
	s_or_b32 s12, s12, s1
.LBB1238_917:
	s_or_b32 exec_lo, exec_lo, s15
	s_delay_alu instid0(SALU_CYCLE_1)
	s_or_not1_b32 s12, s12, exec_lo
.LBB1238_918:
	s_or_b32 exec_lo, exec_lo, s14
	v_dual_cndmask_b32 v48, v114, v113, s12 :: v_dual_cndmask_b32 v49, v112, v103, s12
	v_dual_cndmask_b32 v12, v12, v34, s13 :: v_dual_cndmask_b32 v11, v11, v33, s11
	;; [unrolled: 1-line block ×3, first 2 shown]
	s_delay_alu instid0(VALU_DEP_3) | instskip(SKIP_2) | instid1(VALU_DEP_3)
	v_dual_add_nc_u32 v50, 1, v48 :: v_dual_cndmask_b32 v13, v13, v35, s13
	v_dual_cndmask_b32 v16, v16, v30, s7 :: v_dual_cndmask_b32 v15, v15, v25, s6
	v_dual_cndmask_b32 v14, v14, v24, s6 :: v_dual_cndmask_b32 v21, v19, v21, s3
	v_add_min_u32_e64 v48, v49, -1, v50
	v_dual_cndmask_b32 v20, v18, v20, s3 :: v_dual_cndmask_b32 v19, v3, v1, s2
	v_dual_cndmask_b32 v18, v2, v0, s2 :: v_dual_cndmask_b32 v1, v37, v39, s12
	s_delay_alu instid0(VALU_DEP_3)
	v_lshl_add_u32 v48, v48, 3, v22
	s_mov_b32 s2, exec_lo
	ds_load_b64 v[48:49], v48
	v_cndmask_b32_e64 v24, v50, v114, s12
	s_wait_dscnt 0x0
	v_dual_cndmask_b32 v0, v36, v38, s12 :: v_dual_cndmask_b32 v2, v38, v48, s12
	v_cndmask_b32_e64 v3, v39, v49, s12
	s_delay_alu instid0(VALU_DEP_3)
	v_cmpx_lt_u32_e64 v24, v112
	s_cbranch_execz .LBB1238_964
; %bb.919:
	v_dual_cndmask_b32 v30, v113, v50, s12 :: v_dual_cndmask_b32 v24, v48, v36, s12
	s_delay_alu instid0(VALU_DEP_1) | instskip(NEXT) | instid1(VALU_DEP_1)
	v_cmp_ge_u32_e64 s1, v30, v103
	v_dual_cndmask_b32 v25, v49, v37, s12 :: v_dual_cndmask_b32 v30, v2, v24, s1
	s_delay_alu instid0(VALU_DEP_1) | instskip(SKIP_1) | instid1(SALU_CYCLE_1)
	v_cndmask_b32_e64 v31, v3, v25, s1
	s_nor_b32 s1, s1, s0
	s_and_saveexec_b32 s3, s1
	s_cbranch_execz .LBB1238_963
; %bb.920:
	v_mul_u64_e32 v[30:31], v[2:3], v[6:7]
	v_mul_u64_e32 v[32:33], v[24:25], v[6:7]
	v_mov_b64_e32 v[34:35], v[6:7]
	s_mov_b32 s6, 0
                                        ; implicit-def: $sgpr7
                                        ; implicit-def: $sgpr11
                                        ; implicit-def: $sgpr14
	s_delay_alu instid0(VALU_DEP_3) | instskip(NEXT) | instid1(VALU_DEP_3)
	v_lshl_add_u64 v[30:31], v[30:31], 1, v[8:9]
	v_lshl_add_u64 v[32:33], v[32:33], 1, v[8:9]
	s_branch .LBB1238_922
.LBB1238_921:                           ;   in Loop: Header=BB1238_922 Depth=1
	s_or_b32 exec_lo, exec_lo, s14
	s_delay_alu instid0(SALU_CYCLE_1) | instskip(SKIP_4) | instid1(SALU_CYCLE_1)
	s_and_b32 s1, exec_lo, s13
	s_mov_b32 s14, s12
	s_or_b32 s6, s1, s6
	s_and_not1_b32 s1, s7, exec_lo
	s_and_b32 s7, s11, exec_lo
	s_or_b32 s7, s1, s7
	s_and_not1_b32 exec_lo, exec_lo, s6
	s_cbranch_execz .LBB1238_962
.LBB1238_922:                           ; =>This Inner Loop Header: Depth=1
	flat_load_u16 v36, v[32:33]
	flat_load_u16 v37, v[30:31]
	s_mov_b32 s13, -1
	s_mov_b32 s15, 0
	s_mov_b32 s12, -1
	s_mov_b32 s16, exec_lo
	s_wait_loadcnt_dscnt 0x0
	v_cmpx_nlt_f16_e32 v36, v37
; %bb.923:                              ;   in Loop: Header=BB1238_922 Depth=1
	v_cmp_ngt_f16_e64 s1, v36, v37
	s_and_b32 s12, s1, s14
	s_and_b32 s15, s1, exec_lo
	s_or_not1_b32 s12, s12, exec_lo
; %bb.924:                              ;   in Loop: Header=BB1238_922 Depth=1
	s_or_b32 exec_lo, exec_lo, s16
	s_delay_alu instid0(SALU_CYCLE_1) | instskip(SKIP_1) | instid1(SALU_CYCLE_1)
	s_and_not1_b32 s1, s11, exec_lo
	s_and_b32 s11, s12, exec_lo
	s_or_b32 s11, s1, s11
	s_and_saveexec_b32 s14, s15
	s_cbranch_execz .LBB1238_921
; %bb.925:                              ;   in Loop: Header=BB1238_922 Depth=1
	v_add_nc_u64_e32 v[34:35], -1, v[34:35]
	v_add_nc_u64_e32 v[30:31], 2, v[30:31]
	v_add_nc_u64_e32 v[32:33], 2, v[32:33]
	s_and_not1_b32 s11, s11, exec_lo
	s_delay_alu instid0(VALU_DEP_3)
	v_cmp_eq_u64_e64 s1, 0, v[34:35]
	s_or_not1_b32 s13, s1, exec_lo
	s_branch .LBB1238_921
.LBB1238_926:
	s_or_b32 exec_lo, exec_lo, s16
	v_dual_cndmask_b32 v35, v13, v33, s17 :: v_dual_cndmask_b32 v34, v12, v32, s17
.LBB1238_927:
	s_or_b32 exec_lo, exec_lo, s11
	s_delay_alu instid0(VALU_DEP_1)
	v_mov_b64_e32 v[12:13], v[34:35]
.LBB1238_928:
	s_or_b32 exec_lo, exec_lo, s10
.LBB1238_929:
	s_delay_alu instid0(SALU_CYCLE_1)
	s_or_b32 exec_lo, exec_lo, s15
	v_and_b32_e32 v50, 0xc0, v97
	s_mov_b32 s10, exec_lo
	; wave barrier
	ds_store_b64 v98, v[22:23]
	ds_store_b64 v113, v[24:25]
	v_or_b32_e32 v32, 32, v50
	ds_store_b64 v101, v[18:19]
	ds_store_b64 v102, v[20:21]
	;; [unrolled: 1-line block ×6, first 2 shown]
	; wave barrier
	v_min_u32_e32 v114, v96, v32
	v_and_b32_e32 v32, 56, v97
	s_delay_alu instid0(VALU_DEP_2) | instskip(NEXT) | instid1(VALU_DEP_2)
	v_add_min_u32_e64 v115, v114, 32, v96
	v_min_u32_e32 v51, v96, v32
	v_sub_nc_u32_e32 v33, v114, v50
	s_delay_alu instid0(VALU_DEP_3) | instskip(NEXT) | instid1(VALU_DEP_2)
	v_sub_nc_u32_e32 v32, v115, v114
	v_min_u32_e32 v53, v51, v33
	s_delay_alu instid0(VALU_DEP_2) | instskip(NEXT) | instid1(VALU_DEP_1)
	v_sub_nc_u32_e64 v52, v51, v32 clamp
	v_cmpx_lt_u32_e64 v52, v53
	s_cbranch_execz .LBB1238_941
; %bb.930:
	v_dual_mov_b32 v35, 0 :: v_dual_lshlrev_b32 v34, 3, v50
	s_mov_b32 s11, 0
	s_delay_alu instid0(VALU_DEP_1) | instskip(SKIP_1) | instid1(VALU_DEP_1)
	v_add_nc_u64_e32 v[32:33], v[30:31], v[34:35]
	v_lshlrev_b32_e32 v34, 3, v114
	v_add_nc_u64_e32 v[34:35], v[30:31], v[34:35]
	s_branch .LBB1238_933
.LBB1238_931:                           ;   in Loop: Header=BB1238_933 Depth=1
	s_or_b32 exec_lo, exec_lo, s16
	s_delay_alu instid0(SALU_CYCLE_1)
	s_and_b32 s9, s17, exec_lo
.LBB1238_932:                           ;   in Loop: Header=BB1238_933 Depth=1
	s_or_b32 exec_lo, exec_lo, s15
	s_delay_alu instid0(VALU_DEP_1) | instskip(NEXT) | instid1(VALU_DEP_1)
	v_dual_add_nc_u32 v35, 1, v33 :: v_dual_cndmask_b32 v53, v53, v33, s9
	v_cndmask_b32_e64 v52, v35, v52, s9
	s_delay_alu instid0(VALU_DEP_1) | instskip(SKIP_1) | instid1(SALU_CYCLE_1)
	v_cmp_ge_u32_e64 s9, v52, v53
	s_or_b32 s11, s9, s11
	s_and_not1_b32 exec_lo, exec_lo, s11
	s_cbranch_execz .LBB1238_940
.LBB1238_933:                           ; =>This Loop Header: Depth=1
                                        ;     Child Loop BB1238_936 Depth 2
	v_add_nc_u32_e32 v33, v53, v52
	s_mov_b32 s9, 0
	s_delay_alu instid0(VALU_DEP_1)
	v_lshrrev_b32_e32 v33, 1, v33
	s_and_saveexec_b32 s15, s7
	s_cbranch_execz .LBB1238_932
; %bb.934:                              ;   in Loop: Header=BB1238_933 Depth=1
	s_delay_alu instid0(VALU_DEP_1) | instskip(SKIP_2) | instid1(VALU_DEP_2)
	v_xad_u32 v35, v33, -1, v51
	v_lshl_add_u32 v36, v33, 3, v32
	s_mov_b32 s16, 0
                                        ; implicit-def: $sgpr17
                                        ; implicit-def: $sgpr18
                                        ; implicit-def: $sgpr21
	v_lshl_add_u32 v35, v35, 3, v34
	ds_load_b64 v[48:49], v36
	ds_load_b64 v[54:55], v35
	s_wait_dscnt 0x1
	v_mad_nc_u64_u32 v[36:37], v2, v48, v[8:9]
	s_wait_dscnt 0x0
	v_mad_nc_u64_u32 v[38:39], v2, v54, v[8:9]
	s_delay_alu instid0(VALU_DEP_2) | instskip(NEXT) | instid1(VALU_DEP_2)
	v_mad_u32 v35, v3, v48, v37
	v_mad_u32 v39, v3, v54, v39
	s_delay_alu instid0(VALU_DEP_2) | instskip(NEXT) | instid1(VALU_DEP_2)
	v_mad_u32 v37, v2, v49, v35
	v_mad_u32 v39, v2, v55, v39
	v_mov_b64_e32 v[48:49], v[6:7]
	s_branch .LBB1238_936
.LBB1238_935:                           ;   in Loop: Header=BB1238_936 Depth=2
	s_or_b32 exec_lo, exec_lo, s21
	s_delay_alu instid0(SALU_CYCLE_1) | instskip(SKIP_4) | instid1(SALU_CYCLE_1)
	s_and_b32 s9, exec_lo, s20
	s_mov_b32 s21, s19
	s_or_b32 s16, s9, s16
	s_and_not1_b32 s9, s17, exec_lo
	s_and_b32 s17, s18, exec_lo
	s_or_b32 s17, s9, s17
	s_and_not1_b32 exec_lo, exec_lo, s16
	s_cbranch_execz .LBB1238_931
.LBB1238_936:                           ;   Parent Loop BB1238_933 Depth=1
                                        ; =>  This Inner Loop Header: Depth=2
	flat_load_u16 v35, v[38:39]
	flat_load_u16 v54, v[36:37]
	s_mov_b32 s20, -1
	s_mov_b32 s22, 0
	s_mov_b32 s19, -1
	s_mov_b32 s23, exec_lo
	s_wait_loadcnt_dscnt 0x0
	v_cmpx_nlt_f16_e32 v35, v54
; %bb.937:                              ;   in Loop: Header=BB1238_936 Depth=2
	v_cmp_ngt_f16_e64 s9, v35, v54
	s_and_b32 s19, s9, s21
	s_and_b32 s22, s9, exec_lo
	s_or_not1_b32 s19, s19, exec_lo
; %bb.938:                              ;   in Loop: Header=BB1238_936 Depth=2
	s_or_b32 exec_lo, exec_lo, s23
	s_delay_alu instid0(SALU_CYCLE_1) | instskip(SKIP_1) | instid1(SALU_CYCLE_1)
	s_and_not1_b32 s9, s18, exec_lo
	s_and_b32 s18, s19, exec_lo
	s_or_b32 s18, s9, s18
	s_and_saveexec_b32 s21, s22
	s_cbranch_execz .LBB1238_935
; %bb.939:                              ;   in Loop: Header=BB1238_936 Depth=2
	v_add_nc_u64_e32 v[48:49], -1, v[48:49]
	v_add_nc_u64_e32 v[36:37], 2, v[36:37]
	v_add_nc_u64_e32 v[38:39], 2, v[38:39]
	s_and_not1_b32 s18, s18, exec_lo
	s_delay_alu instid0(VALU_DEP_3)
	v_cmp_eq_u64_e64 s9, 0, v[48:49]
	s_or_not1_b32 s20, s9, exec_lo
	s_branch .LBB1238_935
.LBB1238_940:
	s_or_b32 exec_lo, exec_lo, s11
.LBB1238_941:
	s_delay_alu instid0(SALU_CYCLE_1) | instskip(SKIP_1) | instid1(VALU_DEP_1)
	s_or_b32 exec_lo, exec_lo, s10
	v_dual_add_nc_u32 v33, v114, v51 :: v_dual_add_nc_u32 v32, v52, v50
	v_sub_nc_u32_e32 v33, v33, v52
	s_delay_alu instid0(VALU_DEP_2) | instskip(NEXT) | instid1(VALU_DEP_2)
	v_cmp_le_u32_e64 s9, v32, v114
	v_cmp_le_u32_e64 s10, v33, v115
	s_or_b32 s9, s9, s10
	s_delay_alu instid0(SALU_CYCLE_1)
	s_and_saveexec_b32 s15, s9
	s_cbranch_execz .LBB1238_1121
; %bb.942:
	v_cmp_ge_u32_e64 s9, v32, v114
	s_mov_b32 s11, exec_lo
                                        ; implicit-def: $vgpr10_vgpr11
	v_cmpx_lt_u32_e64 v32, v114
; %bb.943:
	v_lshl_add_u32 v10, v32, 3, v30
	ds_load_b64 v[10:11], v10
; %bb.944:
	s_or_b32 exec_lo, exec_lo, s11
	v_cmp_ge_u32_e64 s10, v33, v115
	s_mov_b32 s16, exec_lo
                                        ; implicit-def: $vgpr12_vgpr13
	v_cmpx_lt_u32_e64 v33, v115
; %bb.945:
	v_lshl_add_u32 v12, v33, 3, v30
	ds_load_b64 v[12:13], v12
; %bb.946:
	s_or_b32 exec_lo, exec_lo, s16
	s_or_b32 s11, s9, s10
	s_xor_b32 s9, s9, -1
	s_nor_b32 s16, s11, s8
	s_or_b32 s10, s10, s9
	s_and_saveexec_b32 s11, s16
	s_cbranch_execz .LBB1238_954
; %bb.947:
	s_wait_dscnt 0x0
	v_mul_u64_e32 v[14:15], v[10:11], v[6:7]
	v_mul_u64_e32 v[16:17], v[12:13], v[6:7]
	v_mov_b64_e32 v[18:19], v[6:7]
	s_mov_b32 s16, 0
                                        ; implicit-def: $sgpr17
                                        ; implicit-def: $sgpr18
                                        ; implicit-def: $sgpr21
	s_delay_alu instid0(VALU_DEP_3) | instskip(NEXT) | instid1(VALU_DEP_3)
	v_lshl_add_u64 v[14:15], v[14:15], 1, v[8:9]
	v_lshl_add_u64 v[16:17], v[16:17], 1, v[8:9]
	s_branch .LBB1238_949
.LBB1238_948:                           ;   in Loop: Header=BB1238_949 Depth=1
	s_or_b32 exec_lo, exec_lo, s21
	s_delay_alu instid0(SALU_CYCLE_1) | instskip(SKIP_4) | instid1(SALU_CYCLE_1)
	s_and_b32 s9, exec_lo, s20
	s_mov_b32 s21, s19
	s_or_b32 s16, s9, s16
	s_and_not1_b32 s9, s17, exec_lo
	s_and_b32 s17, s18, exec_lo
	s_or_b32 s17, s9, s17
	s_and_not1_b32 exec_lo, exec_lo, s16
	s_cbranch_execz .LBB1238_953
.LBB1238_949:                           ; =>This Inner Loop Header: Depth=1
	flat_load_u16 v20, v[16:17]
	flat_load_u16 v21, v[14:15]
	s_mov_b32 s20, -1
	s_mov_b32 s22, 0
	s_mov_b32 s19, -1
	s_mov_b32 s23, exec_lo
	s_wait_loadcnt_dscnt 0x0
	v_cmpx_nlt_f16_e32 v20, v21
; %bb.950:                              ;   in Loop: Header=BB1238_949 Depth=1
	v_cmp_ngt_f16_e64 s9, v20, v21
	s_and_b32 s19, s9, s21
	s_and_b32 s22, s9, exec_lo
	s_or_not1_b32 s19, s19, exec_lo
; %bb.951:                              ;   in Loop: Header=BB1238_949 Depth=1
	s_or_b32 exec_lo, exec_lo, s23
	s_delay_alu instid0(SALU_CYCLE_1) | instskip(SKIP_1) | instid1(SALU_CYCLE_1)
	s_and_not1_b32 s9, s18, exec_lo
	s_and_b32 s18, s19, exec_lo
	s_or_b32 s18, s9, s18
	s_and_saveexec_b32 s21, s22
	s_cbranch_execz .LBB1238_948
; %bb.952:                              ;   in Loop: Header=BB1238_949 Depth=1
	v_add_nc_u64_e32 v[18:19], -1, v[18:19]
	v_add_nc_u64_e32 v[14:15], 2, v[14:15]
	v_add_nc_u64_e32 v[16:17], 2, v[16:17]
	s_and_not1_b32 s18, s18, exec_lo
	s_delay_alu instid0(VALU_DEP_3)
	v_cmp_eq_u64_e64 s9, 0, v[18:19]
	s_or_not1_b32 s20, s9, exec_lo
	s_branch .LBB1238_948
.LBB1238_953:
	s_or_b32 exec_lo, exec_lo, s16
	s_xor_b32 s9, s17, -1
	s_and_not1_b32 s10, s10, exec_lo
	s_and_b32 s9, s9, exec_lo
	s_delay_alu instid0(SALU_CYCLE_1)
	s_or_b32 s10, s10, s9
.LBB1238_954:
	s_or_b32 exec_lo, exec_lo, s11
	v_dual_cndmask_b32 v14, v33, v32, s10 :: v_dual_cndmask_b32 v15, v115, v114, s10
	s_mov_b32 s16, -1
	s_mov_b32 s11, -1
	s_mov_b32 s17, exec_lo
	s_delay_alu instid0(VALU_DEP_1) | instskip(NEXT) | instid1(VALU_DEP_1)
	v_add_nc_u32_e32 v16, 1, v14
	v_add_min_u32_e64 v14, v15, -1, v16
	s_delay_alu instid0(VALU_DEP_1)
	v_lshl_add_u32 v14, v14, 3, v30
	ds_load_b64 v[14:15], v14
	s_wait_dscnt 0x0
	v_cndmask_b32_e64 v23, v15, v13, s10
	v_dual_cndmask_b32 v20, v16, v33, s10 :: v_dual_cndmask_b32 v22, v14, v12, s10
	v_dual_cndmask_b32 v21, v32, v16, s10 :: v_dual_cndmask_b32 v25, v11, v15, s10
	v_cndmask_b32_e64 v24, v10, v14, s10
	s_delay_alu instid0(VALU_DEP_3)
	v_cmpx_lt_u32_e64 v20, v115
	s_cbranch_execz .LBB1238_1000
; %bb.955:
	s_delay_alu instid0(VALU_DEP_3) | instskip(SKIP_1) | instid1(SALU_CYCLE_1)
	v_cmp_lt_u32_e64 s11, v21, v114
	s_and_b32 s9, s11, s14
	s_and_saveexec_b32 s18, s9
	s_cbranch_execz .LBB1238_999
; %bb.956:
	v_mul_u64_e32 v[14:15], v[24:25], v[6:7]
	v_mul_u64_e32 v[16:17], v[22:23], v[6:7]
	v_mov_b64_e32 v[18:19], v[6:7]
	s_mov_b32 s19, 0
                                        ; implicit-def: $sgpr20
                                        ; implicit-def: $sgpr21
                                        ; implicit-def: $sgpr24
	s_delay_alu instid0(VALU_DEP_3) | instskip(NEXT) | instid1(VALU_DEP_3)
	v_lshl_add_u64 v[14:15], v[14:15], 1, v[8:9]
	v_lshl_add_u64 v[16:17], v[16:17], 1, v[8:9]
	s_branch .LBB1238_958
.LBB1238_957:                           ;   in Loop: Header=BB1238_958 Depth=1
	s_or_b32 exec_lo, exec_lo, s24
	s_delay_alu instid0(SALU_CYCLE_1) | instskip(SKIP_4) | instid1(SALU_CYCLE_1)
	s_and_b32 s9, exec_lo, s23
	s_mov_b32 s24, s22
	s_or_b32 s19, s9, s19
	s_and_not1_b32 s9, s20, exec_lo
	s_and_b32 s20, s21, exec_lo
	s_or_b32 s20, s9, s20
	s_and_not1_b32 exec_lo, exec_lo, s19
	s_cbranch_execz .LBB1238_998
.LBB1238_958:                           ; =>This Inner Loop Header: Depth=1
	flat_load_u16 v32, v[16:17]
	flat_load_u16 v33, v[14:15]
	s_mov_b32 s23, -1
	s_mov_b32 s25, 0
	s_mov_b32 s22, -1
	s_mov_b32 s26, exec_lo
	s_wait_loadcnt_dscnt 0x0
	v_cmpx_nlt_f16_e32 v32, v33
; %bb.959:                              ;   in Loop: Header=BB1238_958 Depth=1
	v_cmp_ngt_f16_e64 s9, v32, v33
	s_and_b32 s22, s9, s24
	s_and_b32 s25, s9, exec_lo
	s_or_not1_b32 s22, s22, exec_lo
; %bb.960:                              ;   in Loop: Header=BB1238_958 Depth=1
	s_or_b32 exec_lo, exec_lo, s26
	s_delay_alu instid0(SALU_CYCLE_1) | instskip(SKIP_1) | instid1(SALU_CYCLE_1)
	s_and_not1_b32 s9, s21, exec_lo
	s_and_b32 s21, s22, exec_lo
	s_or_b32 s21, s9, s21
	s_and_saveexec_b32 s24, s25
	s_cbranch_execz .LBB1238_957
; %bb.961:                              ;   in Loop: Header=BB1238_958 Depth=1
	v_add_nc_u64_e32 v[18:19], -1, v[18:19]
	v_add_nc_u64_e32 v[14:15], 2, v[14:15]
	v_add_nc_u64_e32 v[16:17], 2, v[16:17]
	s_and_not1_b32 s21, s21, exec_lo
	s_delay_alu instid0(VALU_DEP_3)
	v_cmp_eq_u64_e64 s9, 0, v[18:19]
	s_or_not1_b32 s23, s9, exec_lo
	s_branch .LBB1238_957
.LBB1238_962:
	s_or_b32 exec_lo, exec_lo, s6
	v_dual_cndmask_b32 v31, v3, v25, s7 :: v_dual_cndmask_b32 v30, v2, v24, s7
.LBB1238_963:
	s_or_b32 exec_lo, exec_lo, s3
	s_delay_alu instid0(VALU_DEP_1)
	v_mov_b64_e32 v[2:3], v[30:31]
.LBB1238_964:
	s_or_b32 exec_lo, exec_lo, s2
.LBB1238_965:
	s_delay_alu instid0(SALU_CYCLE_1)
	s_or_b32 exec_lo, exec_lo, s5
	v_and_b32_e32 v48, 0xc0, v86
	s_mov_b32 s2, exec_lo
	; wave barrier
	ds_store_b64 v87, v[18:19]
	ds_store_b64 v102, v[20:21]
	v_or_b32_e32 v24, 32, v48
	ds_store_b64 v98, v[14:15]
	ds_store_b64 v99, v[16:17]
	;; [unrolled: 1-line block ×6, first 2 shown]
	; wave barrier
	v_min_u32_e32 v103, v85, v24
	v_and_b32_e32 v24, 56, v86
	s_delay_alu instid0(VALU_DEP_2) | instskip(NEXT) | instid1(VALU_DEP_2)
	v_add_min_u32_e64 v112, v103, 32, v85
	v_min_u32_e32 v49, v85, v24
	s_delay_alu instid0(VALU_DEP_2) | instskip(NEXT) | instid1(VALU_DEP_1)
	v_dual_sub_nc_u32 v25, v103, v48 :: v_dual_sub_nc_u32 v24, v112, v103
	v_min_u32_e32 v51, v49, v25
	s_delay_alu instid0(VALU_DEP_2) | instskip(NEXT) | instid1(VALU_DEP_1)
	v_sub_nc_u32_e64 v50, v49, v24 clamp
	v_cmpx_lt_u32_e64 v50, v51
	s_cbranch_execz .LBB1238_977
; %bb.966:
	v_dual_mov_b32 v31, 0 :: v_dual_lshlrev_b32 v30, 3, v48
	v_lshlrev_b64_e32 v[32:33], 1, v[6:7]
	s_mov_b32 s3, 0
	s_delay_alu instid0(VALU_DEP_2) | instskip(SKIP_1) | instid1(VALU_DEP_1)
	v_add_nc_u64_e32 v[24:25], v[22:23], v[30:31]
	v_lshlrev_b32_e32 v30, 3, v103
	v_add_nc_u64_e32 v[30:31], v[22:23], v[30:31]
	s_branch .LBB1238_969
.LBB1238_967:                           ;   in Loop: Header=BB1238_969 Depth=1
	s_or_b32 exec_lo, exec_lo, s6
	s_delay_alu instid0(SALU_CYCLE_1)
	s_and_b32 s1, s7, exec_lo
.LBB1238_968:                           ;   in Loop: Header=BB1238_969 Depth=1
	s_or_b32 exec_lo, exec_lo, s5
	s_delay_alu instid0(VALU_DEP_1) | instskip(NEXT) | instid1(VALU_DEP_1)
	v_dual_add_nc_u32 v31, 1, v25 :: v_dual_cndmask_b32 v51, v51, v25, s1
	v_cndmask_b32_e64 v50, v31, v50, s1
	s_delay_alu instid0(VALU_DEP_1) | instskip(SKIP_1) | instid1(SALU_CYCLE_1)
	v_cmp_ge_u32_e64 s1, v50, v51
	s_or_b32 s3, s1, s3
	s_and_not1_b32 exec_lo, exec_lo, s3
	s_cbranch_execz .LBB1238_976
.LBB1238_969:                           ; =>This Loop Header: Depth=1
                                        ;     Child Loop BB1238_972 Depth 2
	v_add_nc_u32_e32 v25, v51, v50
	s_mov_b32 s1, 0
	s_delay_alu instid0(VALU_DEP_1)
	v_lshrrev_b32_e32 v25, 1, v25
	s_and_saveexec_b32 s5, vcc_lo
	s_cbranch_execz .LBB1238_968
; %bb.970:                              ;   in Loop: Header=BB1238_969 Depth=1
	s_delay_alu instid0(VALU_DEP_1) | instskip(SKIP_2) | instid1(VALU_DEP_2)
	v_xad_u32 v31, v25, -1, v49
	v_lshl_add_u32 v34, v25, 3, v24
	s_mov_b32 s6, 0
                                        ; implicit-def: $sgpr7
                                        ; implicit-def: $sgpr11
                                        ; implicit-def: $sgpr14
	v_lshl_add_u32 v31, v31, 3, v30
	ds_load_b64 v[38:39], v34
	ds_load_b64 v[52:53], v31
	s_wait_dscnt 0x1
	v_mad_nc_u64_u32 v[34:35], v32, v38, v[8:9]
	s_wait_dscnt 0x0
	v_mad_nc_u64_u32 v[36:37], v32, v52, v[8:9]
	s_delay_alu instid0(VALU_DEP_2) | instskip(NEXT) | instid1(VALU_DEP_2)
	v_mad_u32 v31, v33, v38, v35
	v_mad_u32 v37, v33, v52, v37
	s_delay_alu instid0(VALU_DEP_2) | instskip(NEXT) | instid1(VALU_DEP_2)
	v_mad_u32 v35, v32, v39, v31
	v_mad_u32 v37, v32, v53, v37
	v_mov_b64_e32 v[38:39], v[6:7]
	s_branch .LBB1238_972
.LBB1238_971:                           ;   in Loop: Header=BB1238_972 Depth=2
	s_or_b32 exec_lo, exec_lo, s14
	s_delay_alu instid0(SALU_CYCLE_1) | instskip(SKIP_4) | instid1(SALU_CYCLE_1)
	s_and_b32 s1, exec_lo, s13
	s_mov_b32 s14, s12
	s_or_b32 s6, s1, s6
	s_and_not1_b32 s1, s7, exec_lo
	s_and_b32 s7, s11, exec_lo
	s_or_b32 s7, s1, s7
	s_and_not1_b32 exec_lo, exec_lo, s6
	s_cbranch_execz .LBB1238_967
.LBB1238_972:                           ;   Parent Loop BB1238_969 Depth=1
                                        ; =>  This Inner Loop Header: Depth=2
	flat_load_u16 v31, v[36:37]
	flat_load_u16 v52, v[34:35]
	s_mov_b32 s13, -1
	s_mov_b32 s15, 0
	s_mov_b32 s12, -1
	s_mov_b32 s16, exec_lo
	s_wait_loadcnt_dscnt 0x0
	v_cmpx_nlt_f16_e32 v31, v52
; %bb.973:                              ;   in Loop: Header=BB1238_972 Depth=2
	v_cmp_ngt_f16_e64 s1, v31, v52
	s_and_b32 s12, s1, s14
	s_and_b32 s15, s1, exec_lo
	s_or_not1_b32 s12, s12, exec_lo
; %bb.974:                              ;   in Loop: Header=BB1238_972 Depth=2
	s_or_b32 exec_lo, exec_lo, s16
	s_delay_alu instid0(SALU_CYCLE_1) | instskip(SKIP_1) | instid1(SALU_CYCLE_1)
	s_and_not1_b32 s1, s11, exec_lo
	s_and_b32 s11, s12, exec_lo
	s_or_b32 s11, s1, s11
	s_and_saveexec_b32 s14, s15
	s_cbranch_execz .LBB1238_971
; %bb.975:                              ;   in Loop: Header=BB1238_972 Depth=2
	v_add_nc_u64_e32 v[38:39], -1, v[38:39]
	v_add_nc_u64_e32 v[34:35], 2, v[34:35]
	v_add_nc_u64_e32 v[36:37], 2, v[36:37]
	s_and_not1_b32 s11, s11, exec_lo
	s_delay_alu instid0(VALU_DEP_3)
	v_cmp_eq_u64_e64 s1, 0, v[38:39]
	s_or_not1_b32 s13, s1, exec_lo
	s_branch .LBB1238_971
.LBB1238_976:
	s_or_b32 exec_lo, exec_lo, s3
.LBB1238_977:
	s_delay_alu instid0(SALU_CYCLE_1) | instskip(SKIP_1) | instid1(VALU_DEP_1)
	s_or_b32 exec_lo, exec_lo, s2
	v_dual_add_nc_u32 v25, v103, v49 :: v_dual_add_nc_u32 v24, v50, v48
	v_sub_nc_u32_e32 v25, v25, v50
	s_delay_alu instid0(VALU_DEP_2) | instskip(NEXT) | instid1(VALU_DEP_2)
	v_cmp_le_u32_e64 s1, v24, v103
	v_cmp_le_u32_e64 s2, v25, v112
	s_or_b32 s1, s1, s2
	s_delay_alu instid0(SALU_CYCLE_1)
	s_and_saveexec_b32 s5, s1
	s_cbranch_execz .LBB1238_1157
; %bb.978:
	v_cmp_ge_u32_e64 s1, v24, v103
	s_mov_b32 s3, exec_lo
                                        ; implicit-def: $vgpr0_vgpr1
	v_cmpx_lt_u32_e64 v24, v103
; %bb.979:
	v_lshl_add_u32 v0, v24, 3, v22
	ds_load_b64 v[0:1], v0
; %bb.980:
	s_or_b32 exec_lo, exec_lo, s3
	v_cmp_ge_u32_e64 s2, v25, v112
	s_mov_b32 s6, exec_lo
                                        ; implicit-def: $vgpr2_vgpr3
	v_cmpx_lt_u32_e64 v25, v112
; %bb.981:
	v_lshl_add_u32 v2, v25, 3, v22
	ds_load_b64 v[2:3], v2
; %bb.982:
	s_or_b32 exec_lo, exec_lo, s6
	s_or_b32 s3, s1, s2
	s_xor_b32 s1, s1, -1
	s_nor_b32 s6, s3, s0
	s_or_b32 s2, s2, s1
	s_and_saveexec_b32 s3, s6
	s_cbranch_execz .LBB1238_990
; %bb.983:
	s_wait_dscnt 0x0
	v_mul_u64_e32 v[10:11], v[0:1], v[6:7]
	v_mul_u64_e32 v[12:13], v[2:3], v[6:7]
	v_mov_b64_e32 v[14:15], v[6:7]
	s_mov_b32 s6, 0
                                        ; implicit-def: $sgpr7
                                        ; implicit-def: $sgpr11
                                        ; implicit-def: $sgpr14
	s_delay_alu instid0(VALU_DEP_3) | instskip(NEXT) | instid1(VALU_DEP_3)
	v_lshl_add_u64 v[10:11], v[10:11], 1, v[8:9]
	v_lshl_add_u64 v[12:13], v[12:13], 1, v[8:9]
	s_branch .LBB1238_985
.LBB1238_984:                           ;   in Loop: Header=BB1238_985 Depth=1
	s_or_b32 exec_lo, exec_lo, s14
	s_delay_alu instid0(SALU_CYCLE_1) | instskip(SKIP_4) | instid1(SALU_CYCLE_1)
	s_and_b32 s1, exec_lo, s13
	s_mov_b32 s14, s12
	s_or_b32 s6, s1, s6
	s_and_not1_b32 s1, s7, exec_lo
	s_and_b32 s7, s11, exec_lo
	s_or_b32 s7, s1, s7
	s_and_not1_b32 exec_lo, exec_lo, s6
	s_cbranch_execz .LBB1238_989
.LBB1238_985:                           ; =>This Inner Loop Header: Depth=1
	flat_load_u16 v16, v[12:13]
	flat_load_u16 v17, v[10:11]
	s_mov_b32 s13, -1
	s_mov_b32 s15, 0
	s_mov_b32 s12, -1
	s_mov_b32 s16, exec_lo
	s_wait_loadcnt_dscnt 0x0
	v_cmpx_nlt_f16_e32 v16, v17
; %bb.986:                              ;   in Loop: Header=BB1238_985 Depth=1
	v_cmp_ngt_f16_e64 s1, v16, v17
	s_and_b32 s12, s1, s14
	s_and_b32 s15, s1, exec_lo
	s_or_not1_b32 s12, s12, exec_lo
; %bb.987:                              ;   in Loop: Header=BB1238_985 Depth=1
	s_or_b32 exec_lo, exec_lo, s16
	s_delay_alu instid0(SALU_CYCLE_1) | instskip(SKIP_1) | instid1(SALU_CYCLE_1)
	s_and_not1_b32 s1, s11, exec_lo
	s_and_b32 s11, s12, exec_lo
	s_or_b32 s11, s1, s11
	s_and_saveexec_b32 s14, s15
	s_cbranch_execz .LBB1238_984
; %bb.988:                              ;   in Loop: Header=BB1238_985 Depth=1
	v_add_nc_u64_e32 v[14:15], -1, v[14:15]
	v_add_nc_u64_e32 v[10:11], 2, v[10:11]
	v_add_nc_u64_e32 v[12:13], 2, v[12:13]
	s_and_not1_b32 s11, s11, exec_lo
	s_delay_alu instid0(VALU_DEP_3)
	v_cmp_eq_u64_e64 s1, 0, v[14:15]
	s_or_not1_b32 s13, s1, exec_lo
	s_branch .LBB1238_984
.LBB1238_989:
	s_or_b32 exec_lo, exec_lo, s6
	s_xor_b32 s1, s7, -1
	s_and_not1_b32 s2, s2, exec_lo
	s_and_b32 s1, s1, exec_lo
	s_delay_alu instid0(SALU_CYCLE_1)
	s_or_b32 s2, s2, s1
.LBB1238_990:
	s_or_b32 exec_lo, exec_lo, s3
	v_dual_cndmask_b32 v10, v25, v24, s2 :: v_dual_cndmask_b32 v11, v112, v103, s2
	s_mov_b32 s6, -1
	s_mov_b32 s3, -1
	s_mov_b32 s7, exec_lo
	s_delay_alu instid0(VALU_DEP_1) | instskip(NEXT) | instid1(VALU_DEP_1)
	v_add_nc_u32_e32 v12, 1, v10
	v_add_min_u32_e64 v10, v11, -1, v12
	s_delay_alu instid0(VALU_DEP_1)
	v_lshl_add_u32 v10, v10, 3, v22
	ds_load_b64 v[10:11], v10
	s_wait_dscnt 0x0
	v_dual_cndmask_b32 v19, v11, v3, s2 :: v_dual_cndmask_b32 v16, v12, v25, s2
	v_dual_cndmask_b32 v18, v10, v2, s2 :: v_dual_cndmask_b32 v17, v24, v12, s2
	;; [unrolled: 1-line block ×3, first 2 shown]
	s_delay_alu instid0(VALU_DEP_3)
	v_cmpx_lt_u32_e64 v16, v112
	s_cbranch_execz .LBB1238_1010
; %bb.991:
	s_delay_alu instid0(VALU_DEP_3) | instskip(SKIP_1) | instid1(SALU_CYCLE_1)
	v_cmp_lt_u32_e64 s3, v17, v103
	s_xor_b32 s1, s0, -1
	s_and_b32 s1, s3, s1
	s_delay_alu instid0(SALU_CYCLE_1)
	s_and_saveexec_b32 s11, s1
	s_cbranch_execz .LBB1238_1009
; %bb.992:
	v_mul_u64_e32 v[10:11], v[20:21], v[6:7]
	v_mul_u64_e32 v[12:13], v[18:19], v[6:7]
	v_mov_b64_e32 v[14:15], v[6:7]
	s_mov_b32 s12, 0
                                        ; implicit-def: $sgpr13
                                        ; implicit-def: $sgpr14
                                        ; implicit-def: $sgpr17
	s_delay_alu instid0(VALU_DEP_3) | instskip(NEXT) | instid1(VALU_DEP_3)
	v_lshl_add_u64 v[10:11], v[10:11], 1, v[8:9]
	v_lshl_add_u64 v[12:13], v[12:13], 1, v[8:9]
	s_branch .LBB1238_994
.LBB1238_993:                           ;   in Loop: Header=BB1238_994 Depth=1
	s_or_b32 exec_lo, exec_lo, s17
	s_delay_alu instid0(SALU_CYCLE_1) | instskip(SKIP_4) | instid1(SALU_CYCLE_1)
	s_and_b32 s1, exec_lo, s16
	s_mov_b32 s17, s15
	s_or_b32 s12, s1, s12
	s_and_not1_b32 s1, s13, exec_lo
	s_and_b32 s13, s14, exec_lo
	s_or_b32 s13, s1, s13
	s_and_not1_b32 exec_lo, exec_lo, s12
	s_cbranch_execz .LBB1238_1008
.LBB1238_994:                           ; =>This Inner Loop Header: Depth=1
	flat_load_u16 v24, v[12:13]
	flat_load_u16 v25, v[10:11]
	s_mov_b32 s16, -1
	s_mov_b32 s18, 0
	s_mov_b32 s15, -1
	s_mov_b32 s19, exec_lo
	s_wait_loadcnt_dscnt 0x0
	v_cmpx_nlt_f16_e32 v24, v25
; %bb.995:                              ;   in Loop: Header=BB1238_994 Depth=1
	v_cmp_ngt_f16_e64 s1, v24, v25
	s_and_b32 s15, s1, s17
	s_and_b32 s18, s1, exec_lo
	s_or_not1_b32 s15, s15, exec_lo
; %bb.996:                              ;   in Loop: Header=BB1238_994 Depth=1
	s_or_b32 exec_lo, exec_lo, s19
	s_delay_alu instid0(SALU_CYCLE_1) | instskip(SKIP_1) | instid1(SALU_CYCLE_1)
	s_and_not1_b32 s1, s14, exec_lo
	s_and_b32 s14, s15, exec_lo
	s_or_b32 s14, s1, s14
	s_and_saveexec_b32 s17, s18
	s_cbranch_execz .LBB1238_993
; %bb.997:                              ;   in Loop: Header=BB1238_994 Depth=1
	v_add_nc_u64_e32 v[14:15], -1, v[14:15]
	v_add_nc_u64_e32 v[10:11], 2, v[10:11]
	v_add_nc_u64_e32 v[12:13], 2, v[12:13]
	s_and_not1_b32 s14, s14, exec_lo
	s_delay_alu instid0(VALU_DEP_3)
	v_cmp_eq_u64_e64 s1, 0, v[14:15]
	s_or_not1_b32 s16, s1, exec_lo
	s_branch .LBB1238_993
.LBB1238_998:
	s_or_b32 exec_lo, exec_lo, s19
	s_xor_b32 s9, s20, -1
	s_and_not1_b32 s11, s11, exec_lo
	s_and_b32 s9, s9, exec_lo
	s_delay_alu instid0(SALU_CYCLE_1)
	s_or_b32 s11, s11, s9
.LBB1238_999:
	s_or_b32 exec_lo, exec_lo, s18
	s_delay_alu instid0(SALU_CYCLE_1)
	s_or_not1_b32 s11, s11, exec_lo
.LBB1238_1000:
	s_or_b32 exec_lo, exec_lo, s17
	v_dual_cndmask_b32 v14, v20, v21, s11 :: v_dual_cndmask_b32 v15, v115, v114, s11
	s_mov_b32 s17, exec_lo
	s_delay_alu instid0(VALU_DEP_1) | instskip(NEXT) | instid1(VALU_DEP_1)
	v_add_nc_u32_e32 v16, 1, v14
	v_add_min_u32_e64 v14, v15, -1, v16
	s_delay_alu instid0(VALU_DEP_1)
	v_lshl_add_u32 v14, v14, 3, v30
	ds_load_b64 v[14:15], v14
	s_wait_dscnt 0x0
	v_dual_cndmask_b32 v19, v15, v23, s11 :: v_dual_cndmask_b32 v34, v16, v20, s11
	v_dual_cndmask_b32 v18, v14, v22, s11 :: v_dual_cndmask_b32 v35, v21, v16, s11
	;; [unrolled: 1-line block ×3, first 2 shown]
	s_delay_alu instid0(VALU_DEP_3)
	v_cmpx_lt_u32_e64 v34, v115
	s_cbranch_execz .LBB1238_1020
; %bb.1001:
	s_delay_alu instid0(VALU_DEP_3) | instskip(SKIP_1) | instid1(SALU_CYCLE_1)
	v_cmp_lt_u32_e64 s16, v35, v114
	s_and_b32 s9, s16, s14
	s_and_saveexec_b32 s18, s9
	s_cbranch_execz .LBB1238_1019
; %bb.1002:
	v_mul_u64_e32 v[14:15], v[32:33], v[6:7]
	v_mul_u64_e32 v[16:17], v[18:19], v[6:7]
	v_mov_b64_e32 v[20:21], v[6:7]
	s_mov_b32 s19, 0
                                        ; implicit-def: $sgpr20
                                        ; implicit-def: $sgpr21
                                        ; implicit-def: $sgpr24
	s_delay_alu instid0(VALU_DEP_3) | instskip(NEXT) | instid1(VALU_DEP_3)
	v_lshl_add_u64 v[14:15], v[14:15], 1, v[8:9]
	v_lshl_add_u64 v[16:17], v[16:17], 1, v[8:9]
	s_branch .LBB1238_1004
.LBB1238_1003:                          ;   in Loop: Header=BB1238_1004 Depth=1
	s_or_b32 exec_lo, exec_lo, s24
	s_delay_alu instid0(SALU_CYCLE_1) | instskip(SKIP_4) | instid1(SALU_CYCLE_1)
	s_and_b32 s9, exec_lo, s23
	s_mov_b32 s24, s22
	s_or_b32 s19, s9, s19
	s_and_not1_b32 s9, s20, exec_lo
	s_and_b32 s20, s21, exec_lo
	s_or_b32 s20, s9, s20
	s_and_not1_b32 exec_lo, exec_lo, s19
	s_cbranch_execz .LBB1238_1018
.LBB1238_1004:                          ; =>This Inner Loop Header: Depth=1
	flat_load_u16 v36, v[16:17]
	flat_load_u16 v37, v[14:15]
	s_mov_b32 s23, -1
	s_mov_b32 s25, 0
	s_mov_b32 s22, -1
	s_mov_b32 s26, exec_lo
	s_wait_loadcnt_dscnt 0x0
	v_cmpx_nlt_f16_e32 v36, v37
; %bb.1005:                             ;   in Loop: Header=BB1238_1004 Depth=1
	v_cmp_ngt_f16_e64 s9, v36, v37
	s_and_b32 s22, s9, s24
	s_and_b32 s25, s9, exec_lo
	s_or_not1_b32 s22, s22, exec_lo
; %bb.1006:                             ;   in Loop: Header=BB1238_1004 Depth=1
	s_or_b32 exec_lo, exec_lo, s26
	s_delay_alu instid0(SALU_CYCLE_1) | instskip(SKIP_1) | instid1(SALU_CYCLE_1)
	s_and_not1_b32 s9, s21, exec_lo
	s_and_b32 s21, s22, exec_lo
	s_or_b32 s21, s9, s21
	s_and_saveexec_b32 s24, s25
	s_cbranch_execz .LBB1238_1003
; %bb.1007:                             ;   in Loop: Header=BB1238_1004 Depth=1
	v_add_nc_u64_e32 v[20:21], -1, v[20:21]
	v_add_nc_u64_e32 v[14:15], 2, v[14:15]
	v_add_nc_u64_e32 v[16:17], 2, v[16:17]
	s_and_not1_b32 s21, s21, exec_lo
	s_delay_alu instid0(VALU_DEP_3)
	v_cmp_eq_u64_e64 s9, 0, v[20:21]
	s_or_not1_b32 s23, s9, exec_lo
	s_branch .LBB1238_1003
.LBB1238_1008:
	s_or_b32 exec_lo, exec_lo, s12
	s_xor_b32 s1, s13, -1
	s_and_not1_b32 s3, s3, exec_lo
	s_and_b32 s1, s1, exec_lo
	s_delay_alu instid0(SALU_CYCLE_1)
	s_or_b32 s3, s3, s1
.LBB1238_1009:
	s_or_b32 exec_lo, exec_lo, s11
	s_delay_alu instid0(SALU_CYCLE_1)
	s_or_not1_b32 s3, s3, exec_lo
.LBB1238_1010:
	s_or_b32 exec_lo, exec_lo, s7
	v_cndmask_b32_e64 v10, v16, v17, s3
	v_cndmask_b32_e64 v11, v112, v103, s3
	s_mov_b32 s7, exec_lo
	s_delay_alu instid0(VALU_DEP_2) | instskip(NEXT) | instid1(VALU_DEP_1)
	v_add_nc_u32_e32 v12, 1, v10
	v_add_min_u32_e64 v10, v11, -1, v12
	v_cndmask_b32_e64 v31, v17, v12, s3
	s_delay_alu instid0(VALU_DEP_2)
	v_lshl_add_u32 v10, v10, 3, v22
	ds_load_b64 v[10:11], v10
	s_wait_dscnt 0x0
	v_dual_cndmask_b32 v30, v12, v16, s3 :: v_dual_cndmask_b32 v15, v11, v19, s3
	v_dual_cndmask_b32 v14, v10, v18, s3 :: v_dual_cndmask_b32 v25, v21, v11, s3
	v_cndmask_b32_e64 v24, v20, v10, s3
	s_delay_alu instid0(VALU_DEP_3)
	v_cmpx_lt_u32_e64 v30, v112
	s_cbranch_execz .LBB1238_1030
; %bb.1011:
	v_cmp_lt_u32_e64 s6, v31, v103
	s_xor_b32 s1, s0, -1
	s_delay_alu instid0(SALU_CYCLE_1) | instskip(NEXT) | instid1(SALU_CYCLE_1)
	s_and_b32 s1, s6, s1
	s_and_saveexec_b32 s11, s1
	s_cbranch_execz .LBB1238_1029
; %bb.1012:
	v_mul_u64_e32 v[10:11], v[24:25], v[6:7]
	v_mul_u64_e32 v[12:13], v[14:15], v[6:7]
	v_mov_b64_e32 v[16:17], v[6:7]
	s_mov_b32 s12, 0
                                        ; implicit-def: $sgpr13
                                        ; implicit-def: $sgpr14
                                        ; implicit-def: $sgpr17
	s_delay_alu instid0(VALU_DEP_3) | instskip(NEXT) | instid1(VALU_DEP_3)
	v_lshl_add_u64 v[10:11], v[10:11], 1, v[8:9]
	v_lshl_add_u64 v[12:13], v[12:13], 1, v[8:9]
	s_branch .LBB1238_1014
.LBB1238_1013:                          ;   in Loop: Header=BB1238_1014 Depth=1
	s_or_b32 exec_lo, exec_lo, s17
	s_delay_alu instid0(SALU_CYCLE_1) | instskip(SKIP_4) | instid1(SALU_CYCLE_1)
	s_and_b32 s1, exec_lo, s16
	s_mov_b32 s17, s15
	s_or_b32 s12, s1, s12
	s_and_not1_b32 s1, s13, exec_lo
	s_and_b32 s13, s14, exec_lo
	s_or_b32 s13, s1, s13
	s_and_not1_b32 exec_lo, exec_lo, s12
	s_cbranch_execz .LBB1238_1028
.LBB1238_1014:                          ; =>This Inner Loop Header: Depth=1
	flat_load_u16 v32, v[12:13]
	flat_load_u16 v33, v[10:11]
	s_mov_b32 s16, -1
	s_mov_b32 s18, 0
	s_mov_b32 s15, -1
	s_mov_b32 s19, exec_lo
	s_wait_loadcnt_dscnt 0x0
	v_cmpx_nlt_f16_e32 v32, v33
; %bb.1015:                             ;   in Loop: Header=BB1238_1014 Depth=1
	v_cmp_ngt_f16_e64 s1, v32, v33
	s_and_b32 s15, s1, s17
	s_and_b32 s18, s1, exec_lo
	s_or_not1_b32 s15, s15, exec_lo
; %bb.1016:                             ;   in Loop: Header=BB1238_1014 Depth=1
	s_or_b32 exec_lo, exec_lo, s19
	s_delay_alu instid0(SALU_CYCLE_1) | instskip(SKIP_1) | instid1(SALU_CYCLE_1)
	s_and_not1_b32 s1, s14, exec_lo
	s_and_b32 s14, s15, exec_lo
	s_or_b32 s14, s1, s14
	s_and_saveexec_b32 s17, s18
	s_cbranch_execz .LBB1238_1013
; %bb.1017:                             ;   in Loop: Header=BB1238_1014 Depth=1
	v_add_nc_u64_e32 v[16:17], -1, v[16:17]
	v_add_nc_u64_e32 v[10:11], 2, v[10:11]
	v_add_nc_u64_e32 v[12:13], 2, v[12:13]
	s_and_not1_b32 s14, s14, exec_lo
	s_delay_alu instid0(VALU_DEP_3)
	v_cmp_eq_u64_e64 s1, 0, v[16:17]
	s_or_not1_b32 s16, s1, exec_lo
	s_branch .LBB1238_1013
.LBB1238_1018:
	s_or_b32 exec_lo, exec_lo, s19
	s_xor_b32 s9, s20, -1
	s_and_not1_b32 s16, s16, exec_lo
	s_and_b32 s9, s9, exec_lo
	s_delay_alu instid0(SALU_CYCLE_1)
	s_or_b32 s16, s16, s9
.LBB1238_1019:
	s_or_b32 exec_lo, exec_lo, s18
	s_delay_alu instid0(SALU_CYCLE_1)
	s_or_not1_b32 s16, s16, exec_lo
.LBB1238_1020:
	s_or_b32 exec_lo, exec_lo, s17
	v_dual_cndmask_b32 v14, v34, v35, s16 :: v_dual_cndmask_b32 v15, v115, v114, s16
	s_mov_b32 s18, -1
	s_mov_b32 s17, -1
	s_mov_b32 s19, exec_lo
	s_delay_alu instid0(VALU_DEP_1) | instskip(NEXT) | instid1(VALU_DEP_1)
	v_add_nc_u32_e32 v16, 1, v14
	v_add_min_u32_e64 v14, v15, -1, v16
	s_delay_alu instid0(VALU_DEP_1)
	v_lshl_add_u32 v14, v14, 3, v30
	ds_load_b64 v[14:15], v14
	s_wait_dscnt 0x0
	v_dual_cndmask_b32 v21, v15, v19, s16 :: v_dual_cndmask_b32 v38, v16, v34, s16
	v_dual_cndmask_b32 v39, v35, v16, s16 :: v_dual_cndmask_b32 v20, v14, v18, s16
	;; [unrolled: 1-line block ×3, first 2 shown]
	s_delay_alu instid0(VALU_DEP_3)
	v_cmpx_lt_u32_e64 v38, v115
	s_cbranch_execz .LBB1238_1040
; %bb.1021:
	s_delay_alu instid0(VALU_DEP_3) | instskip(SKIP_1) | instid1(SALU_CYCLE_1)
	v_cmp_lt_u32_e64 s17, v39, v114
	s_and_b32 s9, s17, s14
	s_and_saveexec_b32 s20, s9
	s_cbranch_execz .LBB1238_1039
; %bb.1022:
	v_mul_u64_e32 v[14:15], v[34:35], v[6:7]
	v_mul_u64_e32 v[16:17], v[20:21], v[6:7]
	v_mov_b64_e32 v[36:37], v[6:7]
	s_mov_b32 s21, 0
                                        ; implicit-def: $sgpr22
                                        ; implicit-def: $sgpr23
                                        ; implicit-def: $sgpr26
	s_delay_alu instid0(VALU_DEP_3) | instskip(NEXT) | instid1(VALU_DEP_3)
	v_lshl_add_u64 v[14:15], v[14:15], 1, v[8:9]
	v_lshl_add_u64 v[16:17], v[16:17], 1, v[8:9]
	s_branch .LBB1238_1024
.LBB1238_1023:                          ;   in Loop: Header=BB1238_1024 Depth=1
	s_or_b32 exec_lo, exec_lo, s26
	s_delay_alu instid0(SALU_CYCLE_1) | instskip(SKIP_4) | instid1(SALU_CYCLE_1)
	s_and_b32 s9, exec_lo, s25
	s_mov_b32 s26, s24
	s_or_b32 s21, s9, s21
	s_and_not1_b32 s9, s22, exec_lo
	s_and_b32 s22, s23, exec_lo
	s_or_b32 s22, s9, s22
	s_and_not1_b32 exec_lo, exec_lo, s21
	s_cbranch_execz .LBB1238_1038
.LBB1238_1024:                          ; =>This Inner Loop Header: Depth=1
	flat_load_u16 v48, v[16:17]
	flat_load_u16 v49, v[14:15]
	s_mov_b32 s25, -1
	s_mov_b32 s27, 0
	s_mov_b32 s24, -1
	s_mov_b32 s28, exec_lo
	s_wait_loadcnt_dscnt 0x0
	v_cmpx_nlt_f16_e32 v48, v49
; %bb.1025:                             ;   in Loop: Header=BB1238_1024 Depth=1
	v_cmp_ngt_f16_e64 s9, v48, v49
	s_and_b32 s24, s9, s26
	s_and_b32 s27, s9, exec_lo
	s_or_not1_b32 s24, s24, exec_lo
; %bb.1026:                             ;   in Loop: Header=BB1238_1024 Depth=1
	s_or_b32 exec_lo, exec_lo, s28
	s_delay_alu instid0(SALU_CYCLE_1) | instskip(SKIP_1) | instid1(SALU_CYCLE_1)
	s_and_not1_b32 s9, s23, exec_lo
	s_and_b32 s23, s24, exec_lo
	s_or_b32 s23, s9, s23
	s_and_saveexec_b32 s26, s27
	s_cbranch_execz .LBB1238_1023
; %bb.1027:                             ;   in Loop: Header=BB1238_1024 Depth=1
	v_add_nc_u64_e32 v[36:37], -1, v[36:37]
	v_add_nc_u64_e32 v[14:15], 2, v[14:15]
	v_add_nc_u64_e32 v[16:17], 2, v[16:17]
	s_and_not1_b32 s23, s23, exec_lo
	s_delay_alu instid0(VALU_DEP_3)
	v_cmp_eq_u64_e64 s9, 0, v[36:37]
	s_or_not1_b32 s25, s9, exec_lo
	s_branch .LBB1238_1023
.LBB1238_1028:
	s_or_b32 exec_lo, exec_lo, s12
	s_xor_b32 s1, s13, -1
	s_and_not1_b32 s6, s6, exec_lo
	s_and_b32 s1, s1, exec_lo
	s_delay_alu instid0(SALU_CYCLE_1)
	s_or_b32 s6, s6, s1
.LBB1238_1029:
	s_or_b32 exec_lo, exec_lo, s11
	s_delay_alu instid0(SALU_CYCLE_1)
	s_or_not1_b32 s6, s6, exec_lo
.LBB1238_1030:
	s_or_b32 exec_lo, exec_lo, s7
	v_cndmask_b32_e64 v10, v30, v31, s6
	v_cndmask_b32_e64 v11, v112, v103, s6
	s_mov_b32 s11, -1
	s_mov_b32 s7, -1
	s_mov_b32 s12, exec_lo
	v_add_nc_u32_e32 v12, 1, v10
	s_delay_alu instid0(VALU_DEP_1) | instskip(SKIP_1) | instid1(VALU_DEP_2)
	v_add_min_u32_e64 v10, v11, -1, v12
	v_cndmask_b32_e64 v34, v12, v30, s6
	v_lshl_add_u32 v10, v10, 3, v22
	ds_load_b64 v[10:11], v10
	s_wait_dscnt 0x0
	v_dual_cndmask_b32 v35, v31, v12, s6 :: v_dual_cndmask_b32 v16, v10, v14, s6
	v_dual_cndmask_b32 v17, v11, v15, s6 :: v_dual_cndmask_b32 v30, v24, v10, s6
	v_cndmask_b32_e64 v31, v25, v11, s6
	v_cmpx_lt_u32_e64 v34, v112
	s_cbranch_execz .LBB1238_1050
; %bb.1031:
	v_cmp_lt_u32_e64 s7, v35, v103
	s_xor_b32 s1, s0, -1
	s_delay_alu instid0(SALU_CYCLE_1) | instskip(NEXT) | instid1(SALU_CYCLE_1)
	s_and_b32 s1, s7, s1
	s_and_saveexec_b32 s13, s1
	s_cbranch_execz .LBB1238_1049
; %bb.1032:
	v_mul_u64_e32 v[10:11], v[30:31], v[6:7]
	v_mul_u64_e32 v[12:13], v[16:17], v[6:7]
	v_mov_b64_e32 v[32:33], v[6:7]
	s_mov_b32 s14, 0
                                        ; implicit-def: $sgpr15
                                        ; implicit-def: $sgpr16
                                        ; implicit-def: $sgpr19
	s_delay_alu instid0(VALU_DEP_3) | instskip(NEXT) | instid1(VALU_DEP_3)
	v_lshl_add_u64 v[10:11], v[10:11], 1, v[8:9]
	v_lshl_add_u64 v[12:13], v[12:13], 1, v[8:9]
	s_branch .LBB1238_1034
.LBB1238_1033:                          ;   in Loop: Header=BB1238_1034 Depth=1
	s_or_b32 exec_lo, exec_lo, s19
	s_delay_alu instid0(SALU_CYCLE_1) | instskip(SKIP_4) | instid1(SALU_CYCLE_1)
	s_and_b32 s1, exec_lo, s18
	s_mov_b32 s19, s17
	s_or_b32 s14, s1, s14
	s_and_not1_b32 s1, s15, exec_lo
	s_and_b32 s15, s16, exec_lo
	s_or_b32 s15, s1, s15
	s_and_not1_b32 exec_lo, exec_lo, s14
	s_cbranch_execz .LBB1238_1048
.LBB1238_1034:                          ; =>This Inner Loop Header: Depth=1
	flat_load_u16 v36, v[12:13]
	flat_load_u16 v37, v[10:11]
	s_mov_b32 s18, -1
	s_mov_b32 s20, 0
	s_mov_b32 s17, -1
	s_mov_b32 s21, exec_lo
	s_wait_loadcnt_dscnt 0x0
	v_cmpx_nlt_f16_e32 v36, v37
; %bb.1035:                             ;   in Loop: Header=BB1238_1034 Depth=1
	v_cmp_ngt_f16_e64 s1, v36, v37
	s_and_b32 s17, s1, s19
	s_and_b32 s20, s1, exec_lo
	s_or_not1_b32 s17, s17, exec_lo
; %bb.1036:                             ;   in Loop: Header=BB1238_1034 Depth=1
	s_or_b32 exec_lo, exec_lo, s21
	s_delay_alu instid0(SALU_CYCLE_1) | instskip(SKIP_1) | instid1(SALU_CYCLE_1)
	s_and_not1_b32 s1, s16, exec_lo
	s_and_b32 s16, s17, exec_lo
	s_or_b32 s16, s1, s16
	s_and_saveexec_b32 s19, s20
	s_cbranch_execz .LBB1238_1033
; %bb.1037:                             ;   in Loop: Header=BB1238_1034 Depth=1
	v_add_nc_u64_e32 v[32:33], -1, v[32:33]
	v_add_nc_u64_e32 v[10:11], 2, v[10:11]
	v_add_nc_u64_e32 v[12:13], 2, v[12:13]
	s_and_not1_b32 s16, s16, exec_lo
	s_delay_alu instid0(VALU_DEP_3)
	v_cmp_eq_u64_e64 s1, 0, v[32:33]
	s_or_not1_b32 s18, s1, exec_lo
	s_branch .LBB1238_1033
.LBB1238_1038:
	s_or_b32 exec_lo, exec_lo, s21
	s_xor_b32 s9, s22, -1
	s_and_not1_b32 s17, s17, exec_lo
	s_and_b32 s9, s9, exec_lo
	s_delay_alu instid0(SALU_CYCLE_1)
	s_or_b32 s17, s17, s9
.LBB1238_1039:
	s_or_b32 exec_lo, exec_lo, s20
	s_delay_alu instid0(SALU_CYCLE_1)
	s_or_not1_b32 s17, s17, exec_lo
.LBB1238_1040:
	s_or_b32 exec_lo, exec_lo, s19
	v_dual_cndmask_b32 v14, v38, v39, s17 :: v_dual_cndmask_b32 v15, v115, v114, s17
	s_mov_b32 s19, exec_lo
	s_delay_alu instid0(VALU_DEP_1) | instskip(NEXT) | instid1(VALU_DEP_1)
	v_add_nc_u32_e32 v14, 1, v14
	v_add_min_u32_e64 v15, v15, -1, v14
	s_delay_alu instid0(VALU_DEP_1)
	v_lshl_add_u32 v15, v15, 3, v30
	ds_load_b64 v[16:17], v15
	s_wait_dscnt 0x0
	v_dual_cndmask_b32 v15, v17, v21, s17 :: v_dual_cndmask_b32 v50, v14, v38, s17
	v_dual_cndmask_b32 v51, v39, v14, s17 :: v_dual_cndmask_b32 v36, v34, v16, s17
	;; [unrolled: 1-line block ×3, first 2 shown]
	s_delay_alu instid0(VALU_DEP_3)
	v_cmpx_lt_u32_e64 v50, v115
	s_cbranch_execz .LBB1238_1060
; %bb.1041:
	s_delay_alu instid0(VALU_DEP_3) | instskip(SKIP_1) | instid1(SALU_CYCLE_1)
	v_cmp_lt_u32_e64 s18, v51, v114
	s_and_b32 s9, s18, s14
	s_and_saveexec_b32 s20, s9
	s_cbranch_execz .LBB1238_1059
; %bb.1042:
	v_mul_u64_e32 v[16:17], v[36:37], v[6:7]
	v_mul_u64_e32 v[38:39], v[14:15], v[6:7]
	v_mov_b64_e32 v[48:49], v[6:7]
	s_mov_b32 s21, 0
                                        ; implicit-def: $sgpr22
                                        ; implicit-def: $sgpr23
                                        ; implicit-def: $sgpr26
	s_delay_alu instid0(VALU_DEP_3) | instskip(NEXT) | instid1(VALU_DEP_3)
	v_lshl_add_u64 v[16:17], v[16:17], 1, v[8:9]
	v_lshl_add_u64 v[38:39], v[38:39], 1, v[8:9]
	s_branch .LBB1238_1044
.LBB1238_1043:                          ;   in Loop: Header=BB1238_1044 Depth=1
	s_or_b32 exec_lo, exec_lo, s26
	s_delay_alu instid0(SALU_CYCLE_1) | instskip(SKIP_4) | instid1(SALU_CYCLE_1)
	s_and_b32 s9, exec_lo, s25
	s_mov_b32 s26, s24
	s_or_b32 s21, s9, s21
	s_and_not1_b32 s9, s22, exec_lo
	s_and_b32 s22, s23, exec_lo
	s_or_b32 s22, s9, s22
	s_and_not1_b32 exec_lo, exec_lo, s21
	s_cbranch_execz .LBB1238_1058
.LBB1238_1044:                          ; =>This Inner Loop Header: Depth=1
	flat_load_u16 v52, v[38:39]
	flat_load_u16 v53, v[16:17]
	s_mov_b32 s25, -1
	s_mov_b32 s27, 0
	s_mov_b32 s24, -1
	s_mov_b32 s28, exec_lo
	s_wait_loadcnt_dscnt 0x0
	v_cmpx_nlt_f16_e32 v52, v53
; %bb.1045:                             ;   in Loop: Header=BB1238_1044 Depth=1
	v_cmp_ngt_f16_e64 s9, v52, v53
	s_and_b32 s24, s9, s26
	s_and_b32 s27, s9, exec_lo
	s_or_not1_b32 s24, s24, exec_lo
; %bb.1046:                             ;   in Loop: Header=BB1238_1044 Depth=1
	s_or_b32 exec_lo, exec_lo, s28
	s_delay_alu instid0(SALU_CYCLE_1) | instskip(SKIP_1) | instid1(SALU_CYCLE_1)
	s_and_not1_b32 s9, s23, exec_lo
	s_and_b32 s23, s24, exec_lo
	s_or_b32 s23, s9, s23
	s_and_saveexec_b32 s26, s27
	s_cbranch_execz .LBB1238_1043
; %bb.1047:                             ;   in Loop: Header=BB1238_1044 Depth=1
	v_add_nc_u64_e32 v[48:49], -1, v[48:49]
	v_add_nc_u64_e32 v[16:17], 2, v[16:17]
	v_add_nc_u64_e32 v[38:39], 2, v[38:39]
	s_and_not1_b32 s23, s23, exec_lo
	s_delay_alu instid0(VALU_DEP_3)
	v_cmp_eq_u64_e64 s9, 0, v[48:49]
	s_or_not1_b32 s25, s9, exec_lo
	s_branch .LBB1238_1043
.LBB1238_1048:
	s_or_b32 exec_lo, exec_lo, s14
	s_xor_b32 s1, s15, -1
	s_and_not1_b32 s7, s7, exec_lo
	s_and_b32 s1, s1, exec_lo
	s_delay_alu instid0(SALU_CYCLE_1)
	s_or_b32 s7, s7, s1
.LBB1238_1049:
	s_or_b32 exec_lo, exec_lo, s13
	s_delay_alu instid0(SALU_CYCLE_1)
	s_or_not1_b32 s7, s7, exec_lo
.LBB1238_1050:
	s_or_b32 exec_lo, exec_lo, s12
	v_cndmask_b32_e64 v10, v34, v35, s7
	v_cndmask_b32_e64 v11, v112, v103, s7
	s_mov_b32 s12, exec_lo
	s_delay_alu instid0(VALU_DEP_2) | instskip(NEXT) | instid1(VALU_DEP_1)
	v_add_nc_u32_e32 v10, 1, v10
	v_add_min_u32_e64 v11, v11, -1, v10
	s_delay_alu instid0(VALU_DEP_1)
	v_lshl_add_u32 v11, v11, 3, v22
	ds_load_b64 v[12:13], v11
	v_cndmask_b32_e64 v38, v10, v34, s7
	s_wait_dscnt 0x0
	v_dual_cndmask_b32 v39, v35, v10, s7 :: v_dual_cndmask_b32 v32, v30, v12, s7
	v_dual_cndmask_b32 v11, v13, v17, s7 :: v_dual_cndmask_b32 v10, v12, v16, s7
	v_cndmask_b32_e64 v33, v31, v13, s7
	v_cmpx_lt_u32_e64 v38, v112
	s_cbranch_execz .LBB1238_1070
; %bb.1051:
	v_cmp_lt_u32_e64 s11, v39, v103
	s_xor_b32 s1, s0, -1
	s_delay_alu instid0(SALU_CYCLE_1) | instskip(NEXT) | instid1(SALU_CYCLE_1)
	s_and_b32 s1, s11, s1
	s_and_saveexec_b32 s13, s1
	s_cbranch_execz .LBB1238_1069
; %bb.1052:
	v_mul_u64_e32 v[12:13], v[32:33], v[6:7]
	v_mul_u64_e32 v[34:35], v[10:11], v[6:7]
	v_mov_b64_e32 v[36:37], v[6:7]
	s_mov_b32 s14, 0
                                        ; implicit-def: $sgpr15
                                        ; implicit-def: $sgpr16
                                        ; implicit-def: $sgpr19
	s_delay_alu instid0(VALU_DEP_3) | instskip(NEXT) | instid1(VALU_DEP_3)
	v_lshl_add_u64 v[12:13], v[12:13], 1, v[8:9]
	v_lshl_add_u64 v[34:35], v[34:35], 1, v[8:9]
	s_branch .LBB1238_1054
.LBB1238_1053:                          ;   in Loop: Header=BB1238_1054 Depth=1
	s_or_b32 exec_lo, exec_lo, s19
	s_delay_alu instid0(SALU_CYCLE_1) | instskip(SKIP_4) | instid1(SALU_CYCLE_1)
	s_and_b32 s1, exec_lo, s18
	s_mov_b32 s19, s17
	s_or_b32 s14, s1, s14
	s_and_not1_b32 s1, s15, exec_lo
	s_and_b32 s15, s16, exec_lo
	s_or_b32 s15, s1, s15
	s_and_not1_b32 exec_lo, exec_lo, s14
	s_cbranch_execz .LBB1238_1068
.LBB1238_1054:                          ; =>This Inner Loop Header: Depth=1
	flat_load_u16 v48, v[34:35]
	flat_load_u16 v49, v[12:13]
	s_mov_b32 s18, -1
	s_mov_b32 s20, 0
	s_mov_b32 s17, -1
	s_mov_b32 s21, exec_lo
	s_wait_loadcnt_dscnt 0x0
	v_cmpx_nlt_f16_e32 v48, v49
; %bb.1055:                             ;   in Loop: Header=BB1238_1054 Depth=1
	v_cmp_ngt_f16_e64 s1, v48, v49
	s_and_b32 s17, s1, s19
	s_and_b32 s20, s1, exec_lo
	s_or_not1_b32 s17, s17, exec_lo
; %bb.1056:                             ;   in Loop: Header=BB1238_1054 Depth=1
	s_or_b32 exec_lo, exec_lo, s21
	s_delay_alu instid0(SALU_CYCLE_1) | instskip(SKIP_1) | instid1(SALU_CYCLE_1)
	s_and_not1_b32 s1, s16, exec_lo
	s_and_b32 s16, s17, exec_lo
	s_or_b32 s16, s1, s16
	s_and_saveexec_b32 s19, s20
	s_cbranch_execz .LBB1238_1053
; %bb.1057:                             ;   in Loop: Header=BB1238_1054 Depth=1
	v_add_nc_u64_e32 v[36:37], -1, v[36:37]
	v_add_nc_u64_e32 v[12:13], 2, v[12:13]
	v_add_nc_u64_e32 v[34:35], 2, v[34:35]
	s_and_not1_b32 s16, s16, exec_lo
	s_delay_alu instid0(VALU_DEP_3)
	v_cmp_eq_u64_e64 s1, 0, v[36:37]
	s_or_not1_b32 s18, s1, exec_lo
	s_branch .LBB1238_1053
.LBB1238_1058:
	s_or_b32 exec_lo, exec_lo, s21
	s_xor_b32 s9, s22, -1
	s_and_not1_b32 s18, s18, exec_lo
	s_and_b32 s9, s9, exec_lo
	s_delay_alu instid0(SALU_CYCLE_1)
	s_or_b32 s18, s18, s9
.LBB1238_1059:
	s_or_b32 exec_lo, exec_lo, s20
	s_delay_alu instid0(SALU_CYCLE_1)
	s_or_not1_b32 s18, s18, exec_lo
.LBB1238_1060:
	s_or_b32 exec_lo, exec_lo, s19
	v_dual_cndmask_b32 v16, v50, v51, s18 :: v_dual_cndmask_b32 v17, v115, v114, s18
	s_mov_b32 s19, -1
	s_mov_b32 s20, -1
	s_mov_b32 s21, exec_lo
	s_delay_alu instid0(VALU_DEP_1) | instskip(NEXT) | instid1(VALU_DEP_1)
	v_add_nc_u32_e32 v16, 1, v16
	v_add_min_u32_e64 v17, v17, -1, v16
	s_delay_alu instid0(VALU_DEP_1)
	v_lshl_add_u32 v17, v17, 3, v30
	ds_load_b64 v[38:39], v17
	s_wait_dscnt 0x0
	v_dual_cndmask_b32 v17, v39, v15, s18 :: v_dual_cndmask_b32 v54, v16, v50, s18
	v_dual_cndmask_b32 v55, v51, v16, s18 :: v_dual_cndmask_b32 v16, v38, v14, s18
	;; [unrolled: 1-line block ×3, first 2 shown]
	s_delay_alu instid0(VALU_DEP_3)
	v_cmpx_lt_u32_e64 v54, v115
	s_cbranch_execz .LBB1238_1080
; %bb.1061:
	s_delay_alu instid0(VALU_DEP_3) | instskip(SKIP_1) | instid1(SALU_CYCLE_1)
	v_cmp_lt_u32_e64 s20, v55, v114
	s_and_b32 s9, s20, s14
	s_and_saveexec_b32 s22, s9
	s_cbranch_execz .LBB1238_1079
; %bb.1062:
	v_mul_u64_e32 v[48:49], v[38:39], v[6:7]
	v_mul_u64_e32 v[50:51], v[16:17], v[6:7]
	v_mov_b64_e32 v[52:53], v[6:7]
	s_mov_b32 s23, 0
                                        ; implicit-def: $sgpr24
                                        ; implicit-def: $sgpr25
                                        ; implicit-def: $sgpr28
	s_delay_alu instid0(VALU_DEP_3) | instskip(NEXT) | instid1(VALU_DEP_3)
	v_lshl_add_u64 v[48:49], v[48:49], 1, v[8:9]
	v_lshl_add_u64 v[50:51], v[50:51], 1, v[8:9]
	s_branch .LBB1238_1064
.LBB1238_1063:                          ;   in Loop: Header=BB1238_1064 Depth=1
	s_or_b32 exec_lo, exec_lo, s28
	s_delay_alu instid0(SALU_CYCLE_1) | instskip(SKIP_4) | instid1(SALU_CYCLE_1)
	s_and_b32 s9, exec_lo, s27
	s_mov_b32 s28, s26
	s_or_b32 s23, s9, s23
	s_and_not1_b32 s9, s24, exec_lo
	s_and_b32 s24, s25, exec_lo
	s_or_b32 s24, s9, s24
	s_and_not1_b32 exec_lo, exec_lo, s23
	s_cbranch_execz .LBB1238_1078
.LBB1238_1064:                          ; =>This Inner Loop Header: Depth=1
	flat_load_u16 v64, v[50:51]
	flat_load_u16 v65, v[48:49]
	s_mov_b32 s27, -1
	s_mov_b32 s29, 0
	s_mov_b32 s26, -1
	s_mov_b32 s40, exec_lo
	s_wait_loadcnt_dscnt 0x0
	v_cmpx_nlt_f16_e32 v64, v65
; %bb.1065:                             ;   in Loop: Header=BB1238_1064 Depth=1
	v_cmp_ngt_f16_e64 s9, v64, v65
	s_and_b32 s26, s9, s28
	s_and_b32 s29, s9, exec_lo
	s_or_not1_b32 s26, s26, exec_lo
; %bb.1066:                             ;   in Loop: Header=BB1238_1064 Depth=1
	s_or_b32 exec_lo, exec_lo, s40
	s_delay_alu instid0(SALU_CYCLE_1) | instskip(SKIP_1) | instid1(SALU_CYCLE_1)
	s_and_not1_b32 s9, s25, exec_lo
	s_and_b32 s25, s26, exec_lo
	s_or_b32 s25, s9, s25
	s_and_saveexec_b32 s28, s29
	s_cbranch_execz .LBB1238_1063
; %bb.1067:                             ;   in Loop: Header=BB1238_1064 Depth=1
	v_add_nc_u64_e32 v[52:53], -1, v[52:53]
	v_add_nc_u64_e32 v[48:49], 2, v[48:49]
	v_add_nc_u64_e32 v[50:51], 2, v[50:51]
	s_and_not1_b32 s25, s25, exec_lo
	s_delay_alu instid0(VALU_DEP_3)
	v_cmp_eq_u64_e64 s9, 0, v[52:53]
	s_or_not1_b32 s27, s9, exec_lo
	s_branch .LBB1238_1063
.LBB1238_1068:
	s_or_b32 exec_lo, exec_lo, s14
	s_xor_b32 s1, s15, -1
	s_and_not1_b32 s11, s11, exec_lo
	s_and_b32 s1, s1, exec_lo
	s_delay_alu instid0(SALU_CYCLE_1)
	s_or_b32 s11, s11, s1
.LBB1238_1069:
	s_or_b32 exec_lo, exec_lo, s13
	s_delay_alu instid0(SALU_CYCLE_1)
	s_or_not1_b32 s11, s11, exec_lo
.LBB1238_1070:
	s_or_b32 exec_lo, exec_lo, s12
	v_cndmask_b32_e64 v12, v38, v39, s11
	v_cndmask_b32_e64 v13, v112, v103, s11
	s_mov_b32 s12, -1
	s_mov_b32 s13, -1
	s_mov_b32 s14, exec_lo
	v_add_nc_u32_e32 v12, 1, v12
	s_delay_alu instid0(VALU_DEP_1) | instskip(SKIP_1) | instid1(VALU_DEP_2)
	v_add_min_u32_e64 v13, v13, -1, v12
	v_dual_cndmask_b32 v50, v12, v38, s11 :: v_dual_cndmask_b32 v51, v39, v12, s11
	v_lshl_add_u32 v13, v13, 3, v22
	ds_load_b64 v[34:35], v13
	s_wait_dscnt 0x0
	v_dual_cndmask_b32 v13, v35, v11, s11 :: v_dual_cndmask_b32 v12, v34, v10, s11
	v_dual_cndmask_b32 v35, v33, v35, s11 :: v_dual_cndmask_b32 v34, v32, v34, s11
	v_cmpx_lt_u32_e64 v50, v112
	s_cbranch_execz .LBB1238_1090
; %bb.1071:
	v_cmp_lt_u32_e64 s13, v51, v103
	s_xor_b32 s1, s0, -1
	s_delay_alu instid0(SALU_CYCLE_1) | instskip(NEXT) | instid1(SALU_CYCLE_1)
	s_and_b32 s1, s13, s1
	s_and_saveexec_b32 s15, s1
	s_cbranch_execz .LBB1238_1089
; %bb.1072:
	v_mul_u64_e32 v[36:37], v[34:35], v[6:7]
	v_mul_u64_e32 v[38:39], v[12:13], v[6:7]
	v_mov_b64_e32 v[48:49], v[6:7]
	s_mov_b32 s16, 0
                                        ; implicit-def: $sgpr17
                                        ; implicit-def: $sgpr18
                                        ; implicit-def: $sgpr21
	s_delay_alu instid0(VALU_DEP_3) | instskip(NEXT) | instid1(VALU_DEP_3)
	v_lshl_add_u64 v[36:37], v[36:37], 1, v[8:9]
	v_lshl_add_u64 v[38:39], v[38:39], 1, v[8:9]
	s_branch .LBB1238_1074
.LBB1238_1073:                          ;   in Loop: Header=BB1238_1074 Depth=1
	s_or_b32 exec_lo, exec_lo, s21
	s_delay_alu instid0(SALU_CYCLE_1) | instskip(SKIP_4) | instid1(SALU_CYCLE_1)
	s_and_b32 s1, exec_lo, s20
	s_mov_b32 s21, s19
	s_or_b32 s16, s1, s16
	s_and_not1_b32 s1, s17, exec_lo
	s_and_b32 s17, s18, exec_lo
	s_or_b32 s17, s1, s17
	s_and_not1_b32 exec_lo, exec_lo, s16
	s_cbranch_execz .LBB1238_1088
.LBB1238_1074:                          ; =>This Inner Loop Header: Depth=1
	flat_load_u16 v52, v[38:39]
	flat_load_u16 v53, v[36:37]
	s_mov_b32 s20, -1
	s_mov_b32 s22, 0
	s_mov_b32 s19, -1
	s_mov_b32 s23, exec_lo
	s_wait_loadcnt_dscnt 0x0
	v_cmpx_nlt_f16_e32 v52, v53
; %bb.1075:                             ;   in Loop: Header=BB1238_1074 Depth=1
	v_cmp_ngt_f16_e64 s1, v52, v53
	s_and_b32 s19, s1, s21
	s_and_b32 s22, s1, exec_lo
	s_or_not1_b32 s19, s19, exec_lo
; %bb.1076:                             ;   in Loop: Header=BB1238_1074 Depth=1
	s_or_b32 exec_lo, exec_lo, s23
	s_delay_alu instid0(SALU_CYCLE_1) | instskip(SKIP_1) | instid1(SALU_CYCLE_1)
	s_and_not1_b32 s1, s18, exec_lo
	s_and_b32 s18, s19, exec_lo
	s_or_b32 s18, s1, s18
	s_and_saveexec_b32 s21, s22
	s_cbranch_execz .LBB1238_1073
; %bb.1077:                             ;   in Loop: Header=BB1238_1074 Depth=1
	v_add_nc_u64_e32 v[48:49], -1, v[48:49]
	v_add_nc_u64_e32 v[36:37], 2, v[36:37]
	v_add_nc_u64_e32 v[38:39], 2, v[38:39]
	s_and_not1_b32 s18, s18, exec_lo
	s_delay_alu instid0(VALU_DEP_3)
	v_cmp_eq_u64_e64 s1, 0, v[48:49]
	s_or_not1_b32 s20, s1, exec_lo
	s_branch .LBB1238_1073
.LBB1238_1078:
	s_or_b32 exec_lo, exec_lo, s23
	s_xor_b32 s9, s24, -1
	s_and_not1_b32 s20, s20, exec_lo
	s_and_b32 s9, s9, exec_lo
	s_delay_alu instid0(SALU_CYCLE_1)
	s_or_b32 s20, s20, s9
.LBB1238_1079:
	s_or_b32 exec_lo, exec_lo, s22
	s_delay_alu instid0(SALU_CYCLE_1)
	s_or_not1_b32 s20, s20, exec_lo
.LBB1238_1080:
	s_or_b32 exec_lo, exec_lo, s21
	v_dual_cndmask_b32 v48, v54, v55, s20 :: v_dual_cndmask_b32 v49, v115, v114, s20
	s_mov_b32 s21, exec_lo
	s_delay_alu instid0(VALU_DEP_1) | instskip(NEXT) | instid1(VALU_DEP_1)
	v_add_nc_u32_e32 v48, 1, v48
	v_add_min_u32_e64 v49, v49, -1, v48
	s_delay_alu instid0(VALU_DEP_1)
	v_lshl_add_u32 v49, v49, 3, v30
	ds_load_b64 v[50:51], v49
	s_wait_dscnt 0x0
	v_dual_cndmask_b32 v49, v51, v17, s20 :: v_dual_cndmask_b32 v117, v48, v54, s20
	v_cndmask_b32_e64 v116, v55, v48, s20
	v_dual_cndmask_b32 v48, v50, v16, s20 :: v_dual_cndmask_b32 v51, v39, v51, s20
	v_cndmask_b32_e64 v50, v38, v50, s20
	s_delay_alu instid0(VALU_DEP_4)
	v_cmpx_lt_u32_e64 v117, v115
	s_cbranch_execz .LBB1238_1100
; %bb.1081:
	v_cmp_lt_u32_e64 s19, v116, v114
	s_and_b32 s9, s19, s14
	s_delay_alu instid0(SALU_CYCLE_1)
	s_and_saveexec_b32 s22, s9
	s_cbranch_execz .LBB1238_1099
; %bb.1082:
	v_mul_u64_e32 v[52:53], v[50:51], v[6:7]
	v_mul_u64_e32 v[54:55], v[48:49], v[6:7]
	v_mov_b64_e32 v[64:65], v[6:7]
	s_mov_b32 s23, 0
                                        ; implicit-def: $sgpr24
                                        ; implicit-def: $sgpr25
                                        ; implicit-def: $sgpr28
	s_delay_alu instid0(VALU_DEP_3) | instskip(NEXT) | instid1(VALU_DEP_3)
	v_lshl_add_u64 v[52:53], v[52:53], 1, v[8:9]
	v_lshl_add_u64 v[54:55], v[54:55], 1, v[8:9]
	s_branch .LBB1238_1084
.LBB1238_1083:                          ;   in Loop: Header=BB1238_1084 Depth=1
	s_or_b32 exec_lo, exec_lo, s28
	s_delay_alu instid0(SALU_CYCLE_1) | instskip(SKIP_4) | instid1(SALU_CYCLE_1)
	s_and_b32 s9, exec_lo, s27
	s_mov_b32 s28, s26
	s_or_b32 s23, s9, s23
	s_and_not1_b32 s9, s24, exec_lo
	s_and_b32 s24, s25, exec_lo
	s_or_b32 s24, s9, s24
	s_and_not1_b32 exec_lo, exec_lo, s23
	s_cbranch_execz .LBB1238_1098
.LBB1238_1084:                          ; =>This Inner Loop Header: Depth=1
	flat_load_u16 v118, v[54:55]
	flat_load_u16 v119, v[52:53]
	s_mov_b32 s27, -1
	s_mov_b32 s29, 0
	s_mov_b32 s26, -1
	s_mov_b32 s40, exec_lo
	s_wait_loadcnt_dscnt 0x0
	v_cmpx_nlt_f16_e32 v118, v119
; %bb.1085:                             ;   in Loop: Header=BB1238_1084 Depth=1
	v_cmp_ngt_f16_e64 s9, v118, v119
	s_and_b32 s26, s9, s28
	s_and_b32 s29, s9, exec_lo
	s_or_not1_b32 s26, s26, exec_lo
; %bb.1086:                             ;   in Loop: Header=BB1238_1084 Depth=1
	s_or_b32 exec_lo, exec_lo, s40
	s_delay_alu instid0(SALU_CYCLE_1) | instskip(SKIP_1) | instid1(SALU_CYCLE_1)
	s_and_not1_b32 s9, s25, exec_lo
	s_and_b32 s25, s26, exec_lo
	s_or_b32 s25, s9, s25
	s_and_saveexec_b32 s28, s29
	s_cbranch_execz .LBB1238_1083
; %bb.1087:                             ;   in Loop: Header=BB1238_1084 Depth=1
	v_add_nc_u64_e32 v[64:65], -1, v[64:65]
	v_add_nc_u64_e32 v[52:53], 2, v[52:53]
	v_add_nc_u64_e32 v[54:55], 2, v[54:55]
	s_and_not1_b32 s25, s25, exec_lo
	s_delay_alu instid0(VALU_DEP_3)
	v_cmp_eq_u64_e64 s9, 0, v[64:65]
	s_or_not1_b32 s27, s9, exec_lo
	s_branch .LBB1238_1083
.LBB1238_1088:
	s_or_b32 exec_lo, exec_lo, s16
	s_xor_b32 s1, s17, -1
	s_and_not1_b32 s13, s13, exec_lo
	s_and_b32 s1, s1, exec_lo
	s_delay_alu instid0(SALU_CYCLE_1)
	s_or_b32 s13, s13, s1
.LBB1238_1089:
	s_or_b32 exec_lo, exec_lo, s15
	s_delay_alu instid0(SALU_CYCLE_1)
	s_or_not1_b32 s13, s13, exec_lo
.LBB1238_1090:
	s_or_b32 exec_lo, exec_lo, s14
	v_cndmask_b32_e64 v36, v50, v51, s13
	v_cndmask_b32_e64 v37, v112, v103, s13
	s_mov_b32 s14, exec_lo
	s_delay_alu instid0(VALU_DEP_2) | instskip(NEXT) | instid1(VALU_DEP_1)
	v_add_nc_u32_e32 v36, 1, v36
	v_add_min_u32_e64 v37, v37, -1, v36
	v_dual_cndmask_b32 v114, v36, v50, s13 :: v_dual_cndmask_b32 v113, v51, v36, s13
	s_delay_alu instid0(VALU_DEP_2)
	v_lshl_add_u32 v37, v37, 3, v22
	ds_load_b64 v[38:39], v37
	s_wait_dscnt 0x0
	v_dual_cndmask_b32 v37, v39, v13, s13 :: v_dual_cndmask_b32 v36, v38, v12, s13
	v_dual_cndmask_b32 v39, v35, v39, s13 :: v_dual_cndmask_b32 v38, v34, v38, s13
	v_cmpx_lt_u32_e64 v114, v112
	s_cbranch_execz .LBB1238_1110
; %bb.1091:
	v_cmp_lt_u32_e64 s12, v113, v103
	s_xor_b32 s1, s0, -1
	s_delay_alu instid0(SALU_CYCLE_1) | instskip(NEXT) | instid1(SALU_CYCLE_1)
	s_and_b32 s1, s12, s1
	s_and_saveexec_b32 s15, s1
	s_cbranch_execz .LBB1238_1109
; %bb.1092:
	v_mul_u64_e32 v[48:49], v[38:39], v[6:7]
	v_mul_u64_e32 v[50:51], v[36:37], v[6:7]
	v_mov_b64_e32 v[52:53], v[6:7]
	s_mov_b32 s16, 0
                                        ; implicit-def: $sgpr17
                                        ; implicit-def: $sgpr18
                                        ; implicit-def: $sgpr21
	s_delay_alu instid0(VALU_DEP_3) | instskip(NEXT) | instid1(VALU_DEP_3)
	v_lshl_add_u64 v[48:49], v[48:49], 1, v[8:9]
	v_lshl_add_u64 v[50:51], v[50:51], 1, v[8:9]
	s_branch .LBB1238_1094
.LBB1238_1093:                          ;   in Loop: Header=BB1238_1094 Depth=1
	s_or_b32 exec_lo, exec_lo, s21
	s_delay_alu instid0(SALU_CYCLE_1) | instskip(SKIP_4) | instid1(SALU_CYCLE_1)
	s_and_b32 s1, exec_lo, s20
	s_mov_b32 s21, s19
	s_or_b32 s16, s1, s16
	s_and_not1_b32 s1, s17, exec_lo
	s_and_b32 s17, s18, exec_lo
	s_or_b32 s17, s1, s17
	s_and_not1_b32 exec_lo, exec_lo, s16
	s_cbranch_execz .LBB1238_1108
.LBB1238_1094:                          ; =>This Inner Loop Header: Depth=1
	flat_load_u16 v115, v[50:51]
	flat_load_u16 v116, v[48:49]
	s_mov_b32 s20, -1
	s_mov_b32 s22, 0
	s_mov_b32 s19, -1
	s_mov_b32 s23, exec_lo
	s_wait_loadcnt_dscnt 0x0
	v_cmpx_nlt_f16_e32 v115, v116
; %bb.1095:                             ;   in Loop: Header=BB1238_1094 Depth=1
	v_cmp_ngt_f16_e64 s1, v115, v116
	s_and_b32 s19, s1, s21
	s_and_b32 s22, s1, exec_lo
	s_or_not1_b32 s19, s19, exec_lo
; %bb.1096:                             ;   in Loop: Header=BB1238_1094 Depth=1
	s_or_b32 exec_lo, exec_lo, s23
	s_delay_alu instid0(SALU_CYCLE_1) | instskip(SKIP_1) | instid1(SALU_CYCLE_1)
	s_and_not1_b32 s1, s18, exec_lo
	s_and_b32 s18, s19, exec_lo
	s_or_b32 s18, s1, s18
	s_and_saveexec_b32 s21, s22
	s_cbranch_execz .LBB1238_1093
; %bb.1097:                             ;   in Loop: Header=BB1238_1094 Depth=1
	v_add_nc_u64_e32 v[52:53], -1, v[52:53]
	v_add_nc_u64_e32 v[48:49], 2, v[48:49]
	v_add_nc_u64_e32 v[50:51], 2, v[50:51]
	s_and_not1_b32 s18, s18, exec_lo
	s_delay_alu instid0(VALU_DEP_3)
	v_cmp_eq_u64_e64 s1, 0, v[52:53]
	s_or_not1_b32 s20, s1, exec_lo
	s_branch .LBB1238_1093
.LBB1238_1098:
	s_or_b32 exec_lo, exec_lo, s23
	s_xor_b32 s9, s24, -1
	s_and_not1_b32 s19, s19, exec_lo
	s_and_b32 s9, s9, exec_lo
	s_delay_alu instid0(SALU_CYCLE_1)
	s_or_b32 s19, s19, s9
.LBB1238_1099:
	s_or_b32 exec_lo, exec_lo, s22
	s_delay_alu instid0(SALU_CYCLE_1)
	s_or_not1_b32 s19, s19, exec_lo
.LBB1238_1100:
	s_or_b32 exec_lo, exec_lo, s21
	v_dual_cndmask_b32 v52, v117, v116, s19 :: v_dual_cndmask_b32 v53, v115, v114, s19
	v_dual_cndmask_b32 v16, v16, v38, s20 :: v_dual_cndmask_b32 v15, v15, v37, s18
	;; [unrolled: 1-line block ×3, first 2 shown]
	s_delay_alu instid0(VALU_DEP_3) | instskip(SKIP_2) | instid1(VALU_DEP_3)
	v_dual_add_nc_u32 v54, 1, v52 :: v_dual_cndmask_b32 v17, v17, v39, s20
	v_dual_cndmask_b32 v20, v20, v34, s17 :: v_dual_cndmask_b32 v19, v19, v33, s16
	v_dual_cndmask_b32 v18, v18, v32, s16 :: v_dual_cndmask_b32 v25, v23, v25, s11
	v_add_min_u32_e64 v52, v53, -1, v54
	v_dual_cndmask_b32 v24, v22, v24, s11 :: v_dual_cndmask_b32 v23, v13, v11, s10
	v_dual_cndmask_b32 v22, v12, v10, s10 :: v_dual_cndmask_b32 v32, v54, v117, s19
	s_delay_alu instid0(VALU_DEP_3)
	v_lshl_add_u32 v52, v52, 3, v30
	v_dual_cndmask_b32 v11, v49, v51, s19 :: v_dual_cndmask_b32 v10, v48, v50, s19
	s_mov_b32 s10, exec_lo
	ds_load_b64 v[52:53], v52
	s_wait_dscnt 0x0
	v_dual_cndmask_b32 v13, v51, v53, s19 :: v_dual_cndmask_b32 v12, v50, v52, s19
	v_cmpx_lt_u32_e64 v32, v115
	s_cbranch_execz .LBB1238_1120
; %bb.1101:
	v_dual_cndmask_b32 v34, v116, v54, s19 :: v_dual_cndmask_b32 v33, v53, v49, s19
	s_delay_alu instid0(VALU_DEP_1) | instskip(NEXT) | instid1(VALU_DEP_1)
	v_cmp_ge_u32_e64 s9, v34, v114
	v_dual_cndmask_b32 v32, v52, v48, s19 :: v_dual_cndmask_b32 v35, v13, v33, s9
	s_delay_alu instid0(VALU_DEP_1) | instskip(SKIP_1) | instid1(SALU_CYCLE_1)
	v_cndmask_b32_e64 v34, v12, v32, s9
	s_nor_b32 s9, s9, s8
	s_and_saveexec_b32 s11, s9
	s_cbranch_execz .LBB1238_1119
; %bb.1102:
	v_mul_u64_e32 v[34:35], v[12:13], v[6:7]
	v_mul_u64_e32 v[36:37], v[32:33], v[6:7]
	v_mov_b64_e32 v[38:39], v[6:7]
	s_mov_b32 s16, 0
                                        ; implicit-def: $sgpr17
                                        ; implicit-def: $sgpr18
                                        ; implicit-def: $sgpr21
	s_delay_alu instid0(VALU_DEP_3) | instskip(NEXT) | instid1(VALU_DEP_3)
	v_lshl_add_u64 v[34:35], v[34:35], 1, v[8:9]
	v_lshl_add_u64 v[36:37], v[36:37], 1, v[8:9]
	s_branch .LBB1238_1104
.LBB1238_1103:                          ;   in Loop: Header=BB1238_1104 Depth=1
	s_or_b32 exec_lo, exec_lo, s21
	s_delay_alu instid0(SALU_CYCLE_1) | instskip(SKIP_4) | instid1(SALU_CYCLE_1)
	s_and_b32 s9, exec_lo, s20
	s_mov_b32 s21, s19
	s_or_b32 s16, s9, s16
	s_and_not1_b32 s9, s17, exec_lo
	s_and_b32 s17, s18, exec_lo
	s_or_b32 s17, s9, s17
	s_and_not1_b32 exec_lo, exec_lo, s16
	s_cbranch_execz .LBB1238_1118
.LBB1238_1104:                          ; =>This Inner Loop Header: Depth=1
	flat_load_u16 v48, v[36:37]
	flat_load_u16 v49, v[34:35]
	s_mov_b32 s20, -1
	s_mov_b32 s22, 0
	s_mov_b32 s19, -1
	s_mov_b32 s23, exec_lo
	s_wait_loadcnt_dscnt 0x0
	v_cmpx_nlt_f16_e32 v48, v49
; %bb.1105:                             ;   in Loop: Header=BB1238_1104 Depth=1
	v_cmp_ngt_f16_e64 s9, v48, v49
	s_and_b32 s19, s9, s21
	s_and_b32 s22, s9, exec_lo
	s_or_not1_b32 s19, s19, exec_lo
; %bb.1106:                             ;   in Loop: Header=BB1238_1104 Depth=1
	s_or_b32 exec_lo, exec_lo, s23
	s_delay_alu instid0(SALU_CYCLE_1) | instskip(SKIP_1) | instid1(SALU_CYCLE_1)
	s_and_not1_b32 s9, s18, exec_lo
	s_and_b32 s18, s19, exec_lo
	s_or_b32 s18, s9, s18
	s_and_saveexec_b32 s21, s22
	s_cbranch_execz .LBB1238_1103
; %bb.1107:                             ;   in Loop: Header=BB1238_1104 Depth=1
	v_add_nc_u64_e32 v[38:39], -1, v[38:39]
	v_add_nc_u64_e32 v[34:35], 2, v[34:35]
	v_add_nc_u64_e32 v[36:37], 2, v[36:37]
	s_and_not1_b32 s18, s18, exec_lo
	s_delay_alu instid0(VALU_DEP_3)
	v_cmp_eq_u64_e64 s9, 0, v[38:39]
	s_or_not1_b32 s20, s9, exec_lo
	s_branch .LBB1238_1103
.LBB1238_1108:
	s_or_b32 exec_lo, exec_lo, s16
	s_xor_b32 s1, s17, -1
	s_and_not1_b32 s12, s12, exec_lo
	s_and_b32 s1, s1, exec_lo
	s_delay_alu instid0(SALU_CYCLE_1)
	s_or_b32 s12, s12, s1
.LBB1238_1109:
	s_or_b32 exec_lo, exec_lo, s15
	s_delay_alu instid0(SALU_CYCLE_1)
	s_or_not1_b32 s12, s12, exec_lo
.LBB1238_1110:
	s_or_b32 exec_lo, exec_lo, s14
	v_dual_cndmask_b32 v48, v114, v113, s12 :: v_dual_cndmask_b32 v49, v112, v103, s12
	v_dual_cndmask_b32 v12, v12, v34, s13 :: v_dual_cndmask_b32 v11, v11, v33, s11
	;; [unrolled: 1-line block ×3, first 2 shown]
	s_delay_alu instid0(VALU_DEP_3) | instskip(SKIP_2) | instid1(VALU_DEP_3)
	v_dual_add_nc_u32 v50, 1, v48 :: v_dual_cndmask_b32 v13, v13, v35, s13
	v_dual_cndmask_b32 v16, v16, v30, s7 :: v_dual_cndmask_b32 v15, v15, v25, s6
	v_dual_cndmask_b32 v14, v14, v24, s6 :: v_dual_cndmask_b32 v21, v19, v21, s3
	v_add_min_u32_e64 v48, v49, -1, v50
	v_dual_cndmask_b32 v20, v18, v20, s3 :: v_dual_cndmask_b32 v19, v3, v1, s2
	v_dual_cndmask_b32 v18, v2, v0, s2 :: v_dual_cndmask_b32 v1, v37, v39, s12
	s_delay_alu instid0(VALU_DEP_3)
	v_lshl_add_u32 v48, v48, 3, v22
	s_mov_b32 s2, exec_lo
	ds_load_b64 v[48:49], v48
	v_cndmask_b32_e64 v24, v50, v114, s12
	s_wait_dscnt 0x0
	v_dual_cndmask_b32 v0, v36, v38, s12 :: v_dual_cndmask_b32 v2, v38, v48, s12
	v_cndmask_b32_e64 v3, v39, v49, s12
	s_delay_alu instid0(VALU_DEP_3)
	v_cmpx_lt_u32_e64 v24, v112
	s_cbranch_execz .LBB1238_1156
; %bb.1111:
	v_dual_cndmask_b32 v30, v113, v50, s12 :: v_dual_cndmask_b32 v24, v48, v36, s12
	s_delay_alu instid0(VALU_DEP_1) | instskip(NEXT) | instid1(VALU_DEP_1)
	v_cmp_ge_u32_e64 s1, v30, v103
	v_dual_cndmask_b32 v25, v49, v37, s12 :: v_dual_cndmask_b32 v30, v2, v24, s1
	s_delay_alu instid0(VALU_DEP_1) | instskip(SKIP_1) | instid1(SALU_CYCLE_1)
	v_cndmask_b32_e64 v31, v3, v25, s1
	s_nor_b32 s1, s1, s0
	s_and_saveexec_b32 s3, s1
	s_cbranch_execz .LBB1238_1155
; %bb.1112:
	v_mul_u64_e32 v[30:31], v[2:3], v[6:7]
	v_mul_u64_e32 v[32:33], v[24:25], v[6:7]
	v_mov_b64_e32 v[34:35], v[6:7]
	s_mov_b32 s6, 0
                                        ; implicit-def: $sgpr7
                                        ; implicit-def: $sgpr11
                                        ; implicit-def: $sgpr14
	s_delay_alu instid0(VALU_DEP_3) | instskip(NEXT) | instid1(VALU_DEP_3)
	v_lshl_add_u64 v[30:31], v[30:31], 1, v[8:9]
	v_lshl_add_u64 v[32:33], v[32:33], 1, v[8:9]
	s_branch .LBB1238_1114
.LBB1238_1113:                          ;   in Loop: Header=BB1238_1114 Depth=1
	s_or_b32 exec_lo, exec_lo, s14
	s_delay_alu instid0(SALU_CYCLE_1) | instskip(SKIP_4) | instid1(SALU_CYCLE_1)
	s_and_b32 s1, exec_lo, s13
	s_mov_b32 s14, s12
	s_or_b32 s6, s1, s6
	s_and_not1_b32 s1, s7, exec_lo
	s_and_b32 s7, s11, exec_lo
	s_or_b32 s7, s1, s7
	s_and_not1_b32 exec_lo, exec_lo, s6
	s_cbranch_execz .LBB1238_1154
.LBB1238_1114:                          ; =>This Inner Loop Header: Depth=1
	flat_load_u16 v36, v[32:33]
	flat_load_u16 v37, v[30:31]
	s_mov_b32 s13, -1
	s_mov_b32 s15, 0
	s_mov_b32 s12, -1
	s_mov_b32 s16, exec_lo
	s_wait_loadcnt_dscnt 0x0
	v_cmpx_nlt_f16_e32 v36, v37
; %bb.1115:                             ;   in Loop: Header=BB1238_1114 Depth=1
	v_cmp_ngt_f16_e64 s1, v36, v37
	s_and_b32 s12, s1, s14
	s_and_b32 s15, s1, exec_lo
	s_or_not1_b32 s12, s12, exec_lo
; %bb.1116:                             ;   in Loop: Header=BB1238_1114 Depth=1
	s_or_b32 exec_lo, exec_lo, s16
	s_delay_alu instid0(SALU_CYCLE_1) | instskip(SKIP_1) | instid1(SALU_CYCLE_1)
	s_and_not1_b32 s1, s11, exec_lo
	s_and_b32 s11, s12, exec_lo
	s_or_b32 s11, s1, s11
	s_and_saveexec_b32 s14, s15
	s_cbranch_execz .LBB1238_1113
; %bb.1117:                             ;   in Loop: Header=BB1238_1114 Depth=1
	v_add_nc_u64_e32 v[34:35], -1, v[34:35]
	v_add_nc_u64_e32 v[30:31], 2, v[30:31]
	v_add_nc_u64_e32 v[32:33], 2, v[32:33]
	s_and_not1_b32 s11, s11, exec_lo
	s_delay_alu instid0(VALU_DEP_3)
	v_cmp_eq_u64_e64 s1, 0, v[34:35]
	s_or_not1_b32 s13, s1, exec_lo
	s_branch .LBB1238_1113
.LBB1238_1118:
	s_or_b32 exec_lo, exec_lo, s16
	v_dual_cndmask_b32 v35, v13, v33, s17 :: v_dual_cndmask_b32 v34, v12, v32, s17
.LBB1238_1119:
	s_or_b32 exec_lo, exec_lo, s11
	s_delay_alu instid0(VALU_DEP_1)
	v_mov_b64_e32 v[12:13], v[34:35]
.LBB1238_1120:
	s_or_b32 exec_lo, exec_lo, s10
.LBB1238_1121:
	s_delay_alu instid0(SALU_CYCLE_1)
	s_or_b32 exec_lo, exec_lo, s15
	v_and_b32_e32 v50, 0x80, v97
	s_mov_b32 s10, exec_lo
	; wave barrier
	ds_store_b64 v98, v[22:23]
	ds_store_b64 v113, v[24:25]
	v_or_b32_e32 v32, 64, v50
	ds_store_b64 v101, v[18:19]
	ds_store_b64 v102, v[20:21]
	;; [unrolled: 1-line block ×6, first 2 shown]
	; wave barrier
	v_min_u32_e32 v114, v96, v32
	v_and_b32_e32 v32, 0x78, v97
	s_delay_alu instid0(VALU_DEP_2) | instskip(NEXT) | instid1(VALU_DEP_2)
	v_add_min_u32_e64 v97, v114, 64, v96
	v_min_u32_e32 v51, v96, v32
	v_sub_nc_u32_e32 v33, v114, v50
	s_delay_alu instid0(VALU_DEP_3) | instskip(NEXT) | instid1(VALU_DEP_2)
	v_sub_nc_u32_e32 v32, v97, v114
	v_min_u32_e32 v53, v51, v33
	s_delay_alu instid0(VALU_DEP_2) | instskip(NEXT) | instid1(VALU_DEP_1)
	v_sub_nc_u32_e64 v52, v51, v32 clamp
	v_cmpx_lt_u32_e64 v52, v53
	s_cbranch_execz .LBB1238_1133
; %bb.1122:
	v_dual_mov_b32 v35, 0 :: v_dual_lshlrev_b32 v34, 3, v50
	s_mov_b32 s11, 0
	s_delay_alu instid0(VALU_DEP_1) | instskip(SKIP_1) | instid1(VALU_DEP_1)
	v_add_nc_u64_e32 v[32:33], v[30:31], v[34:35]
	v_lshlrev_b32_e32 v34, 3, v114
	v_add_nc_u64_e32 v[34:35], v[30:31], v[34:35]
	s_branch .LBB1238_1125
.LBB1238_1123:                          ;   in Loop: Header=BB1238_1125 Depth=1
	s_or_b32 exec_lo, exec_lo, s16
	s_delay_alu instid0(SALU_CYCLE_1)
	s_and_b32 s9, s17, exec_lo
.LBB1238_1124:                          ;   in Loop: Header=BB1238_1125 Depth=1
	s_or_b32 exec_lo, exec_lo, s15
	s_delay_alu instid0(VALU_DEP_1) | instskip(NEXT) | instid1(VALU_DEP_1)
	v_dual_add_nc_u32 v33, 1, v31 :: v_dual_cndmask_b32 v53, v53, v31, s9
	v_cndmask_b32_e64 v52, v33, v52, s9
	s_delay_alu instid0(VALU_DEP_1) | instskip(SKIP_1) | instid1(SALU_CYCLE_1)
	v_cmp_ge_u32_e64 s9, v52, v53
	s_or_b32 s11, s9, s11
	s_and_not1_b32 exec_lo, exec_lo, s11
	s_cbranch_execz .LBB1238_1132
.LBB1238_1125:                          ; =>This Loop Header: Depth=1
                                        ;     Child Loop BB1238_1128 Depth 2
	v_add_nc_u32_e32 v31, v53, v52
	s_mov_b32 s9, 0
	s_delay_alu instid0(VALU_DEP_1)
	v_lshrrev_b32_e32 v31, 1, v31
	s_and_saveexec_b32 s15, s7
	s_cbranch_execz .LBB1238_1124
; %bb.1126:                             ;   in Loop: Header=BB1238_1125 Depth=1
	s_delay_alu instid0(VALU_DEP_1) | instskip(SKIP_2) | instid1(VALU_DEP_2)
	v_xad_u32 v33, v31, -1, v51
	v_lshl_add_u32 v35, v31, 3, v32
	s_mov_b32 s16, 0
                                        ; implicit-def: $sgpr17
                                        ; implicit-def: $sgpr18
                                        ; implicit-def: $sgpr21
	v_lshl_add_u32 v33, v33, 3, v34
	ds_load_b64 v[48:49], v35
	ds_load_b64 v[54:55], v33
	s_wait_dscnt 0x1
	v_mad_nc_u64_u32 v[36:37], v2, v48, v[8:9]
	s_wait_dscnt 0x0
	v_mad_nc_u64_u32 v[38:39], v2, v54, v[8:9]
	s_delay_alu instid0(VALU_DEP_2) | instskip(NEXT) | instid1(VALU_DEP_2)
	v_mad_u32 v33, v3, v48, v37
	v_mad_u32 v35, v3, v54, v39
	s_delay_alu instid0(VALU_DEP_2) | instskip(NEXT) | instid1(VALU_DEP_2)
	v_mad_u32 v37, v2, v49, v33
	v_mad_u32 v39, v2, v55, v35
	v_mov_b64_e32 v[48:49], v[6:7]
	s_branch .LBB1238_1128
.LBB1238_1127:                          ;   in Loop: Header=BB1238_1128 Depth=2
	s_or_b32 exec_lo, exec_lo, s21
	s_delay_alu instid0(SALU_CYCLE_1) | instskip(SKIP_4) | instid1(SALU_CYCLE_1)
	s_and_b32 s9, exec_lo, s20
	s_mov_b32 s21, s19
	s_or_b32 s16, s9, s16
	s_and_not1_b32 s9, s17, exec_lo
	s_and_b32 s17, s18, exec_lo
	s_or_b32 s17, s9, s17
	s_and_not1_b32 exec_lo, exec_lo, s16
	s_cbranch_execz .LBB1238_1123
.LBB1238_1128:                          ;   Parent Loop BB1238_1125 Depth=1
                                        ; =>  This Inner Loop Header: Depth=2
	flat_load_u16 v33, v[38:39]
	flat_load_u16 v35, v[36:37]
	s_mov_b32 s20, -1
	s_mov_b32 s22, 0
	s_mov_b32 s19, -1
	s_mov_b32 s23, exec_lo
	s_wait_loadcnt_dscnt 0x0
	v_cmpx_nlt_f16_e32 v33, v35
; %bb.1129:                             ;   in Loop: Header=BB1238_1128 Depth=2
	v_cmp_ngt_f16_e64 s9, v33, v35
	s_and_b32 s19, s9, s21
	s_and_b32 s22, s9, exec_lo
	s_or_not1_b32 s19, s19, exec_lo
; %bb.1130:                             ;   in Loop: Header=BB1238_1128 Depth=2
	s_or_b32 exec_lo, exec_lo, s23
	s_delay_alu instid0(SALU_CYCLE_1) | instskip(SKIP_1) | instid1(SALU_CYCLE_1)
	s_and_not1_b32 s9, s18, exec_lo
	s_and_b32 s18, s19, exec_lo
	s_or_b32 s18, s9, s18
	s_and_saveexec_b32 s21, s22
	s_cbranch_execz .LBB1238_1127
; %bb.1131:                             ;   in Loop: Header=BB1238_1128 Depth=2
	v_add_nc_u64_e32 v[48:49], -1, v[48:49]
	v_add_nc_u64_e32 v[36:37], 2, v[36:37]
	v_add_nc_u64_e32 v[38:39], 2, v[38:39]
	s_and_not1_b32 s18, s18, exec_lo
	s_delay_alu instid0(VALU_DEP_3)
	v_cmp_eq_u64_e64 s9, 0, v[48:49]
	s_or_not1_b32 s20, s9, exec_lo
	s_branch .LBB1238_1127
.LBB1238_1132:
	s_or_b32 exec_lo, exec_lo, s11
.LBB1238_1133:
	s_delay_alu instid0(SALU_CYCLE_1) | instskip(SKIP_1) | instid1(VALU_DEP_1)
	s_or_b32 exec_lo, exec_lo, s10
	v_dual_add_nc_u32 v32, v114, v51 :: v_dual_add_nc_u32 v31, v52, v50
	v_sub_nc_u32_e32 v32, v32, v52
	s_delay_alu instid0(VALU_DEP_2) | instskip(NEXT) | instid1(VALU_DEP_2)
	v_cmp_le_u32_e64 s9, v31, v114
	v_cmp_le_u32_e64 s10, v32, v97
	s_or_b32 s9, s9, s10
	s_delay_alu instid0(SALU_CYCLE_1)
	s_and_saveexec_b32 s15, s9
	s_cbranch_execz .LBB1238_1313
; %bb.1134:
	v_cmp_ge_u32_e64 s9, v31, v114
	s_mov_b32 s11, exec_lo
                                        ; implicit-def: $vgpr10_vgpr11
	v_cmpx_lt_u32_e64 v31, v114
; %bb.1135:
	v_lshl_add_u32 v10, v31, 3, v30
	ds_load_b64 v[10:11], v10
; %bb.1136:
	s_or_b32 exec_lo, exec_lo, s11
	v_cmp_ge_u32_e64 s10, v32, v97
	s_mov_b32 s16, exec_lo
                                        ; implicit-def: $vgpr12_vgpr13
	v_cmpx_lt_u32_e64 v32, v97
; %bb.1137:
	v_lshl_add_u32 v12, v32, 3, v30
	ds_load_b64 v[12:13], v12
; %bb.1138:
	s_or_b32 exec_lo, exec_lo, s16
	s_or_b32 s11, s9, s10
	s_xor_b32 s9, s9, -1
	s_nor_b32 s16, s11, s8
	s_or_b32 s10, s10, s9
	s_and_saveexec_b32 s11, s16
	s_cbranch_execz .LBB1238_1146
; %bb.1139:
	s_wait_dscnt 0x0
	v_mul_u64_e32 v[14:15], v[10:11], v[6:7]
	v_mul_u64_e32 v[16:17], v[12:13], v[6:7]
	v_mov_b64_e32 v[18:19], v[6:7]
	s_mov_b32 s16, 0
                                        ; implicit-def: $sgpr17
                                        ; implicit-def: $sgpr18
                                        ; implicit-def: $sgpr21
	s_delay_alu instid0(VALU_DEP_3) | instskip(NEXT) | instid1(VALU_DEP_3)
	v_lshl_add_u64 v[14:15], v[14:15], 1, v[8:9]
	v_lshl_add_u64 v[16:17], v[16:17], 1, v[8:9]
	s_branch .LBB1238_1141
.LBB1238_1140:                          ;   in Loop: Header=BB1238_1141 Depth=1
	s_or_b32 exec_lo, exec_lo, s21
	s_delay_alu instid0(SALU_CYCLE_1) | instskip(SKIP_4) | instid1(SALU_CYCLE_1)
	s_and_b32 s9, exec_lo, s20
	s_mov_b32 s21, s19
	s_or_b32 s16, s9, s16
	s_and_not1_b32 s9, s17, exec_lo
	s_and_b32 s17, s18, exec_lo
	s_or_b32 s17, s9, s17
	s_and_not1_b32 exec_lo, exec_lo, s16
	s_cbranch_execz .LBB1238_1145
.LBB1238_1141:                          ; =>This Inner Loop Header: Depth=1
	flat_load_u16 v20, v[16:17]
	flat_load_u16 v21, v[14:15]
	s_mov_b32 s20, -1
	s_mov_b32 s22, 0
	s_mov_b32 s19, -1
	s_mov_b32 s23, exec_lo
	s_wait_loadcnt_dscnt 0x0
	v_cmpx_nlt_f16_e32 v20, v21
; %bb.1142:                             ;   in Loop: Header=BB1238_1141 Depth=1
	v_cmp_ngt_f16_e64 s9, v20, v21
	s_and_b32 s19, s9, s21
	s_and_b32 s22, s9, exec_lo
	s_or_not1_b32 s19, s19, exec_lo
; %bb.1143:                             ;   in Loop: Header=BB1238_1141 Depth=1
	s_or_b32 exec_lo, exec_lo, s23
	s_delay_alu instid0(SALU_CYCLE_1) | instskip(SKIP_1) | instid1(SALU_CYCLE_1)
	s_and_not1_b32 s9, s18, exec_lo
	s_and_b32 s18, s19, exec_lo
	s_or_b32 s18, s9, s18
	s_and_saveexec_b32 s21, s22
	s_cbranch_execz .LBB1238_1140
; %bb.1144:                             ;   in Loop: Header=BB1238_1141 Depth=1
	v_add_nc_u64_e32 v[18:19], -1, v[18:19]
	v_add_nc_u64_e32 v[14:15], 2, v[14:15]
	v_add_nc_u64_e32 v[16:17], 2, v[16:17]
	s_and_not1_b32 s18, s18, exec_lo
	s_delay_alu instid0(VALU_DEP_3)
	v_cmp_eq_u64_e64 s9, 0, v[18:19]
	s_or_not1_b32 s20, s9, exec_lo
	s_branch .LBB1238_1140
.LBB1238_1145:
	s_or_b32 exec_lo, exec_lo, s16
	s_xor_b32 s9, s17, -1
	s_and_not1_b32 s10, s10, exec_lo
	s_and_b32 s9, s9, exec_lo
	s_delay_alu instid0(SALU_CYCLE_1)
	s_or_b32 s10, s10, s9
.LBB1238_1146:
	s_or_b32 exec_lo, exec_lo, s11
	v_dual_cndmask_b32 v14, v32, v31, s10 :: v_dual_cndmask_b32 v15, v97, v114, s10
	s_mov_b32 s16, -1
	s_mov_b32 s11, -1
	s_mov_b32 s17, exec_lo
	s_delay_alu instid0(VALU_DEP_1) | instskip(NEXT) | instid1(VALU_DEP_1)
	v_add_nc_u32_e32 v16, 1, v14
	v_add_min_u32_e64 v14, v15, -1, v16
	s_delay_alu instid0(VALU_DEP_1)
	v_lshl_add_u32 v14, v14, 3, v30
	ds_load_b64 v[14:15], v14
	s_wait_dscnt 0x0
	v_dual_cndmask_b32 v23, v15, v13, s10 :: v_dual_cndmask_b32 v20, v16, v32, s10
	v_cndmask_b32_e64 v25, v11, v15, s10
	v_dual_cndmask_b32 v21, v31, v16, s10 :: v_dual_cndmask_b32 v24, v10, v14, s10
	v_cndmask_b32_e64 v22, v14, v12, s10
	s_delay_alu instid0(VALU_DEP_4)
	v_cmpx_lt_u32_e64 v20, v97
	s_cbranch_execz .LBB1238_1192
; %bb.1147:
	s_delay_alu instid0(VALU_DEP_3) | instskip(SKIP_1) | instid1(SALU_CYCLE_1)
	v_cmp_lt_u32_e64 s11, v21, v114
	s_and_b32 s9, s11, s14
	s_and_saveexec_b32 s18, s9
	s_cbranch_execz .LBB1238_1191
; %bb.1148:
	v_mul_u64_e32 v[14:15], v[24:25], v[6:7]
	v_mul_u64_e32 v[16:17], v[22:23], v[6:7]
	v_mov_b64_e32 v[18:19], v[6:7]
	s_mov_b32 s19, 0
                                        ; implicit-def: $sgpr20
                                        ; implicit-def: $sgpr21
                                        ; implicit-def: $sgpr24
	s_delay_alu instid0(VALU_DEP_3) | instskip(NEXT) | instid1(VALU_DEP_3)
	v_lshl_add_u64 v[14:15], v[14:15], 1, v[8:9]
	v_lshl_add_u64 v[16:17], v[16:17], 1, v[8:9]
	s_branch .LBB1238_1150
.LBB1238_1149:                          ;   in Loop: Header=BB1238_1150 Depth=1
	s_or_b32 exec_lo, exec_lo, s24
	s_delay_alu instid0(SALU_CYCLE_1) | instskip(SKIP_4) | instid1(SALU_CYCLE_1)
	s_and_b32 s9, exec_lo, s23
	s_mov_b32 s24, s22
	s_or_b32 s19, s9, s19
	s_and_not1_b32 s9, s20, exec_lo
	s_and_b32 s20, s21, exec_lo
	s_or_b32 s20, s9, s20
	s_and_not1_b32 exec_lo, exec_lo, s19
	s_cbranch_execz .LBB1238_1190
.LBB1238_1150:                          ; =>This Inner Loop Header: Depth=1
	flat_load_u16 v31, v[16:17]
	flat_load_u16 v32, v[14:15]
	s_mov_b32 s23, -1
	s_mov_b32 s25, 0
	s_mov_b32 s22, -1
	s_mov_b32 s26, exec_lo
	s_wait_loadcnt_dscnt 0x0
	v_cmpx_nlt_f16_e32 v31, v32
; %bb.1151:                             ;   in Loop: Header=BB1238_1150 Depth=1
	v_cmp_ngt_f16_e64 s9, v31, v32
	s_and_b32 s22, s9, s24
	s_and_b32 s25, s9, exec_lo
	s_or_not1_b32 s22, s22, exec_lo
; %bb.1152:                             ;   in Loop: Header=BB1238_1150 Depth=1
	s_or_b32 exec_lo, exec_lo, s26
	s_delay_alu instid0(SALU_CYCLE_1) | instskip(SKIP_1) | instid1(SALU_CYCLE_1)
	s_and_not1_b32 s9, s21, exec_lo
	s_and_b32 s21, s22, exec_lo
	s_or_b32 s21, s9, s21
	s_and_saveexec_b32 s24, s25
	s_cbranch_execz .LBB1238_1149
; %bb.1153:                             ;   in Loop: Header=BB1238_1150 Depth=1
	v_add_nc_u64_e32 v[18:19], -1, v[18:19]
	v_add_nc_u64_e32 v[14:15], 2, v[14:15]
	v_add_nc_u64_e32 v[16:17], 2, v[16:17]
	s_and_not1_b32 s21, s21, exec_lo
	s_delay_alu instid0(VALU_DEP_3)
	v_cmp_eq_u64_e64 s9, 0, v[18:19]
	s_or_not1_b32 s23, s9, exec_lo
	s_branch .LBB1238_1149
.LBB1238_1154:
	s_or_b32 exec_lo, exec_lo, s6
	v_dual_cndmask_b32 v31, v3, v25, s7 :: v_dual_cndmask_b32 v30, v2, v24, s7
.LBB1238_1155:
	s_or_b32 exec_lo, exec_lo, s3
	s_delay_alu instid0(VALU_DEP_1)
	v_mov_b64_e32 v[2:3], v[30:31]
.LBB1238_1156:
	s_or_b32 exec_lo, exec_lo, s2
.LBB1238_1157:
	s_delay_alu instid0(SALU_CYCLE_1)
	s_or_b32 exec_lo, exec_lo, s5
	v_and_b32_e32 v48, 0x80, v86
	s_mov_b32 s2, exec_lo
	; wave barrier
	ds_store_b64 v87, v[18:19]
	ds_store_b64 v102, v[20:21]
	v_or_b32_e32 v24, 64, v48
	ds_store_b64 v98, v[14:15]
	ds_store_b64 v99, v[16:17]
	;; [unrolled: 1-line block ×6, first 2 shown]
	; wave barrier
	v_min_u32_e32 v103, v85, v24
	v_and_b32_e32 v24, 0x78, v86
	s_delay_alu instid0(VALU_DEP_2) | instskip(NEXT) | instid1(VALU_DEP_2)
	v_add_min_u32_e64 v86, v103, 64, v85
	v_min_u32_e32 v49, v85, v24
	s_delay_alu instid0(VALU_DEP_2) | instskip(NEXT) | instid1(VALU_DEP_1)
	v_dual_sub_nc_u32 v25, v103, v48 :: v_dual_sub_nc_u32 v24, v86, v103
	v_min_u32_e32 v51, v49, v25
	s_delay_alu instid0(VALU_DEP_2) | instskip(NEXT) | instid1(VALU_DEP_1)
	v_sub_nc_u32_e64 v50, v49, v24 clamp
	v_cmpx_lt_u32_e64 v50, v51
	s_cbranch_execz .LBB1238_1169
; %bb.1158:
	v_dual_mov_b32 v31, 0 :: v_dual_lshlrev_b32 v30, 3, v48
	v_lshlrev_b64_e32 v[32:33], 1, v[6:7]
	s_mov_b32 s3, 0
	s_delay_alu instid0(VALU_DEP_2) | instskip(SKIP_1) | instid1(VALU_DEP_1)
	v_add_nc_u64_e32 v[24:25], v[22:23], v[30:31]
	v_lshlrev_b32_e32 v30, 3, v103
	v_add_nc_u64_e32 v[30:31], v[22:23], v[30:31]
	s_branch .LBB1238_1161
.LBB1238_1159:                          ;   in Loop: Header=BB1238_1161 Depth=1
	s_or_b32 exec_lo, exec_lo, s6
	s_delay_alu instid0(SALU_CYCLE_1)
	s_and_b32 s1, s7, exec_lo
.LBB1238_1160:                          ;   in Loop: Header=BB1238_1161 Depth=1
	s_or_b32 exec_lo, exec_lo, s5
	s_delay_alu instid0(VALU_DEP_1) | instskip(NEXT) | instid1(VALU_DEP_1)
	v_dual_add_nc_u32 v25, 1, v23 :: v_dual_cndmask_b32 v51, v51, v23, s1
	v_cndmask_b32_e64 v50, v25, v50, s1
	s_delay_alu instid0(VALU_DEP_1) | instskip(SKIP_1) | instid1(SALU_CYCLE_1)
	v_cmp_ge_u32_e64 s1, v50, v51
	s_or_b32 s3, s1, s3
	s_and_not1_b32 exec_lo, exec_lo, s3
	s_cbranch_execz .LBB1238_1168
.LBB1238_1161:                          ; =>This Loop Header: Depth=1
                                        ;     Child Loop BB1238_1164 Depth 2
	v_add_nc_u32_e32 v23, v51, v50
	s_mov_b32 s1, 0
	s_delay_alu instid0(VALU_DEP_1)
	v_lshrrev_b32_e32 v23, 1, v23
	s_and_saveexec_b32 s5, vcc_lo
	s_cbranch_execz .LBB1238_1160
; %bb.1162:                             ;   in Loop: Header=BB1238_1161 Depth=1
	s_delay_alu instid0(VALU_DEP_1) | instskip(SKIP_2) | instid1(VALU_DEP_2)
	v_xad_u32 v25, v23, -1, v49
	v_lshl_add_u32 v31, v23, 3, v24
	s_mov_b32 s6, 0
                                        ; implicit-def: $sgpr7
                                        ; implicit-def: $sgpr11
                                        ; implicit-def: $sgpr14
	v_lshl_add_u32 v25, v25, 3, v30
	ds_load_b64 v[38:39], v31
	ds_load_b64 v[52:53], v25
	s_wait_dscnt 0x1
	v_mad_nc_u64_u32 v[34:35], v32, v38, v[8:9]
	s_wait_dscnt 0x0
	v_mad_nc_u64_u32 v[36:37], v32, v52, v[8:9]
	s_delay_alu instid0(VALU_DEP_2) | instskip(NEXT) | instid1(VALU_DEP_2)
	v_mad_u32 v25, v33, v38, v35
	v_mad_u32 v31, v33, v52, v37
	s_delay_alu instid0(VALU_DEP_2) | instskip(NEXT) | instid1(VALU_DEP_2)
	v_mad_u32 v35, v32, v39, v25
	v_mad_u32 v37, v32, v53, v31
	v_mov_b64_e32 v[38:39], v[6:7]
	s_branch .LBB1238_1164
.LBB1238_1163:                          ;   in Loop: Header=BB1238_1164 Depth=2
	s_or_b32 exec_lo, exec_lo, s14
	s_delay_alu instid0(SALU_CYCLE_1) | instskip(SKIP_4) | instid1(SALU_CYCLE_1)
	s_and_b32 s1, exec_lo, s13
	s_mov_b32 s14, s12
	s_or_b32 s6, s1, s6
	s_and_not1_b32 s1, s7, exec_lo
	s_and_b32 s7, s11, exec_lo
	s_or_b32 s7, s1, s7
	s_and_not1_b32 exec_lo, exec_lo, s6
	s_cbranch_execz .LBB1238_1159
.LBB1238_1164:                          ;   Parent Loop BB1238_1161 Depth=1
                                        ; =>  This Inner Loop Header: Depth=2
	flat_load_u16 v25, v[36:37]
	flat_load_u16 v31, v[34:35]
	s_mov_b32 s13, -1
	s_mov_b32 s15, 0
	s_mov_b32 s12, -1
	s_mov_b32 s16, exec_lo
	s_wait_loadcnt_dscnt 0x0
	v_cmpx_nlt_f16_e32 v25, v31
; %bb.1165:                             ;   in Loop: Header=BB1238_1164 Depth=2
	v_cmp_ngt_f16_e64 s1, v25, v31
	s_and_b32 s12, s1, s14
	s_and_b32 s15, s1, exec_lo
	s_or_not1_b32 s12, s12, exec_lo
; %bb.1166:                             ;   in Loop: Header=BB1238_1164 Depth=2
	s_or_b32 exec_lo, exec_lo, s16
	s_delay_alu instid0(SALU_CYCLE_1) | instskip(SKIP_1) | instid1(SALU_CYCLE_1)
	s_and_not1_b32 s1, s11, exec_lo
	s_and_b32 s11, s12, exec_lo
	s_or_b32 s11, s1, s11
	s_and_saveexec_b32 s14, s15
	s_cbranch_execz .LBB1238_1163
; %bb.1167:                             ;   in Loop: Header=BB1238_1164 Depth=2
	v_add_nc_u64_e32 v[38:39], -1, v[38:39]
	v_add_nc_u64_e32 v[34:35], 2, v[34:35]
	v_add_nc_u64_e32 v[36:37], 2, v[36:37]
	s_and_not1_b32 s11, s11, exec_lo
	s_delay_alu instid0(VALU_DEP_3)
	v_cmp_eq_u64_e64 s1, 0, v[38:39]
	s_or_not1_b32 s13, s1, exec_lo
	s_branch .LBB1238_1163
.LBB1238_1168:
	s_or_b32 exec_lo, exec_lo, s3
.LBB1238_1169:
	s_delay_alu instid0(SALU_CYCLE_1) | instskip(SKIP_1) | instid1(VALU_DEP_1)
	s_or_b32 exec_lo, exec_lo, s2
	v_dual_add_nc_u32 v24, v103, v49 :: v_dual_add_nc_u32 v23, v50, v48
	v_sub_nc_u32_e32 v24, v24, v50
	s_delay_alu instid0(VALU_DEP_2) | instskip(NEXT) | instid1(VALU_DEP_2)
	v_cmp_le_u32_e64 s1, v23, v103
	v_cmp_le_u32_e64 s2, v24, v86
	s_or_b32 s1, s1, s2
	s_delay_alu instid0(SALU_CYCLE_1)
	s_and_saveexec_b32 s5, s1
	s_cbranch_execz .LBB1238_1432
; %bb.1170:
	v_cmp_ge_u32_e64 s1, v23, v103
	s_mov_b32 s3, exec_lo
                                        ; implicit-def: $vgpr0_vgpr1
	v_cmpx_lt_u32_e64 v23, v103
; %bb.1171:
	v_lshl_add_u32 v0, v23, 3, v22
	ds_load_b64 v[0:1], v0
; %bb.1172:
	s_or_b32 exec_lo, exec_lo, s3
	v_cmp_ge_u32_e64 s2, v24, v86
	s_mov_b32 s6, exec_lo
                                        ; implicit-def: $vgpr2_vgpr3
	v_cmpx_lt_u32_e64 v24, v86
; %bb.1173:
	v_lshl_add_u32 v2, v24, 3, v22
	ds_load_b64 v[2:3], v2
; %bb.1174:
	s_or_b32 exec_lo, exec_lo, s6
	s_or_b32 s3, s1, s2
	s_xor_b32 s1, s1, -1
	s_nor_b32 s6, s3, s0
	s_or_b32 s2, s2, s1
	s_and_saveexec_b32 s3, s6
	s_cbranch_execz .LBB1238_1182
; %bb.1175:
	s_wait_dscnt 0x0
	v_mul_u64_e32 v[10:11], v[0:1], v[6:7]
	v_mul_u64_e32 v[12:13], v[2:3], v[6:7]
	v_mov_b64_e32 v[14:15], v[6:7]
	s_mov_b32 s6, 0
                                        ; implicit-def: $sgpr7
                                        ; implicit-def: $sgpr11
                                        ; implicit-def: $sgpr14
	s_delay_alu instid0(VALU_DEP_3) | instskip(NEXT) | instid1(VALU_DEP_3)
	v_lshl_add_u64 v[10:11], v[10:11], 1, v[8:9]
	v_lshl_add_u64 v[12:13], v[12:13], 1, v[8:9]
	s_branch .LBB1238_1177
.LBB1238_1176:                          ;   in Loop: Header=BB1238_1177 Depth=1
	s_or_b32 exec_lo, exec_lo, s14
	s_delay_alu instid0(SALU_CYCLE_1) | instskip(SKIP_4) | instid1(SALU_CYCLE_1)
	s_and_b32 s1, exec_lo, s13
	s_mov_b32 s14, s12
	s_or_b32 s6, s1, s6
	s_and_not1_b32 s1, s7, exec_lo
	s_and_b32 s7, s11, exec_lo
	s_or_b32 s7, s1, s7
	s_and_not1_b32 exec_lo, exec_lo, s6
	s_cbranch_execz .LBB1238_1181
.LBB1238_1177:                          ; =>This Inner Loop Header: Depth=1
	flat_load_u16 v16, v[12:13]
	flat_load_u16 v17, v[10:11]
	s_mov_b32 s13, -1
	s_mov_b32 s15, 0
	s_mov_b32 s12, -1
	s_mov_b32 s16, exec_lo
	s_wait_loadcnt_dscnt 0x0
	v_cmpx_nlt_f16_e32 v16, v17
; %bb.1178:                             ;   in Loop: Header=BB1238_1177 Depth=1
	v_cmp_ngt_f16_e64 s1, v16, v17
	s_and_b32 s12, s1, s14
	s_and_b32 s15, s1, exec_lo
	s_or_not1_b32 s12, s12, exec_lo
; %bb.1179:                             ;   in Loop: Header=BB1238_1177 Depth=1
	s_or_b32 exec_lo, exec_lo, s16
	s_delay_alu instid0(SALU_CYCLE_1) | instskip(SKIP_1) | instid1(SALU_CYCLE_1)
	s_and_not1_b32 s1, s11, exec_lo
	s_and_b32 s11, s12, exec_lo
	s_or_b32 s11, s1, s11
	s_and_saveexec_b32 s14, s15
	s_cbranch_execz .LBB1238_1176
; %bb.1180:                             ;   in Loop: Header=BB1238_1177 Depth=1
	v_add_nc_u64_e32 v[14:15], -1, v[14:15]
	v_add_nc_u64_e32 v[10:11], 2, v[10:11]
	v_add_nc_u64_e32 v[12:13], 2, v[12:13]
	s_and_not1_b32 s11, s11, exec_lo
	s_delay_alu instid0(VALU_DEP_3)
	v_cmp_eq_u64_e64 s1, 0, v[14:15]
	s_or_not1_b32 s13, s1, exec_lo
	s_branch .LBB1238_1176
.LBB1238_1181:
	s_or_b32 exec_lo, exec_lo, s6
	s_xor_b32 s1, s7, -1
	s_and_not1_b32 s2, s2, exec_lo
	s_and_b32 s1, s1, exec_lo
	s_delay_alu instid0(SALU_CYCLE_1)
	s_or_b32 s2, s2, s1
.LBB1238_1182:
	s_or_b32 exec_lo, exec_lo, s3
	v_cndmask_b32_e64 v10, v24, v23, s2
	v_cndmask_b32_e64 v11, v86, v103, s2
	s_mov_b32 s6, -1
	s_mov_b32 s3, -1
	s_mov_b32 s7, exec_lo
	v_add_nc_u32_e32 v12, 1, v10
	s_delay_alu instid0(VALU_DEP_1) | instskip(SKIP_1) | instid1(VALU_DEP_2)
	v_add_min_u32_e64 v10, v11, -1, v12
	v_cndmask_b32_e64 v17, v23, v12, s2
	v_lshl_add_u32 v10, v10, 3, v22
	ds_load_b64 v[10:11], v10
	s_wait_dscnt 0x0
	v_dual_cndmask_b32 v16, v12, v24, s2 :: v_dual_cndmask_b32 v19, v11, v3, s2
	v_dual_cndmask_b32 v18, v10, v2, s2 :: v_dual_cndmask_b32 v21, v1, v11, s2
	v_cndmask_b32_e64 v20, v0, v10, s2
	s_delay_alu instid0(VALU_DEP_3)
	v_cmpx_lt_u32_e64 v16, v86
	s_cbranch_execz .LBB1238_1202
; %bb.1183:
	v_cmp_lt_u32_e64 s3, v17, v103
	s_xor_b32 s1, s0, -1
	s_delay_alu instid0(SALU_CYCLE_1) | instskip(NEXT) | instid1(SALU_CYCLE_1)
	s_and_b32 s1, s3, s1
	s_and_saveexec_b32 s11, s1
	s_cbranch_execz .LBB1238_1201
; %bb.1184:
	v_mul_u64_e32 v[10:11], v[20:21], v[6:7]
	v_mul_u64_e32 v[12:13], v[18:19], v[6:7]
	v_mov_b64_e32 v[14:15], v[6:7]
	s_mov_b32 s12, 0
                                        ; implicit-def: $sgpr13
                                        ; implicit-def: $sgpr14
                                        ; implicit-def: $sgpr17
	s_delay_alu instid0(VALU_DEP_3) | instskip(NEXT) | instid1(VALU_DEP_3)
	v_lshl_add_u64 v[10:11], v[10:11], 1, v[8:9]
	v_lshl_add_u64 v[12:13], v[12:13], 1, v[8:9]
	s_branch .LBB1238_1186
.LBB1238_1185:                          ;   in Loop: Header=BB1238_1186 Depth=1
	s_or_b32 exec_lo, exec_lo, s17
	s_delay_alu instid0(SALU_CYCLE_1) | instskip(SKIP_4) | instid1(SALU_CYCLE_1)
	s_and_b32 s1, exec_lo, s16
	s_mov_b32 s17, s15
	s_or_b32 s12, s1, s12
	s_and_not1_b32 s1, s13, exec_lo
	s_and_b32 s13, s14, exec_lo
	s_or_b32 s13, s1, s13
	s_and_not1_b32 exec_lo, exec_lo, s12
	s_cbranch_execz .LBB1238_1200
.LBB1238_1186:                          ; =>This Inner Loop Header: Depth=1
	flat_load_u16 v23, v[12:13]
	flat_load_u16 v24, v[10:11]
	s_mov_b32 s16, -1
	s_mov_b32 s18, 0
	s_mov_b32 s15, -1
	s_mov_b32 s19, exec_lo
	s_wait_loadcnt_dscnt 0x0
	v_cmpx_nlt_f16_e32 v23, v24
; %bb.1187:                             ;   in Loop: Header=BB1238_1186 Depth=1
	v_cmp_ngt_f16_e64 s1, v23, v24
	s_and_b32 s15, s1, s17
	s_and_b32 s18, s1, exec_lo
	s_or_not1_b32 s15, s15, exec_lo
; %bb.1188:                             ;   in Loop: Header=BB1238_1186 Depth=1
	s_or_b32 exec_lo, exec_lo, s19
	s_delay_alu instid0(SALU_CYCLE_1) | instskip(SKIP_1) | instid1(SALU_CYCLE_1)
	s_and_not1_b32 s1, s14, exec_lo
	s_and_b32 s14, s15, exec_lo
	s_or_b32 s14, s1, s14
	s_and_saveexec_b32 s17, s18
	s_cbranch_execz .LBB1238_1185
; %bb.1189:                             ;   in Loop: Header=BB1238_1186 Depth=1
	v_add_nc_u64_e32 v[14:15], -1, v[14:15]
	v_add_nc_u64_e32 v[10:11], 2, v[10:11]
	v_add_nc_u64_e32 v[12:13], 2, v[12:13]
	s_and_not1_b32 s14, s14, exec_lo
	s_delay_alu instid0(VALU_DEP_3)
	v_cmp_eq_u64_e64 s1, 0, v[14:15]
	s_or_not1_b32 s16, s1, exec_lo
	s_branch .LBB1238_1185
.LBB1238_1190:
	s_or_b32 exec_lo, exec_lo, s19
	s_xor_b32 s9, s20, -1
	s_and_not1_b32 s11, s11, exec_lo
	s_and_b32 s9, s9, exec_lo
	s_delay_alu instid0(SALU_CYCLE_1)
	s_or_b32 s11, s11, s9
.LBB1238_1191:
	s_or_b32 exec_lo, exec_lo, s18
	s_delay_alu instid0(SALU_CYCLE_1)
	s_or_not1_b32 s11, s11, exec_lo
.LBB1238_1192:
	s_or_b32 exec_lo, exec_lo, s17
	v_dual_cndmask_b32 v14, v20, v21, s11 :: v_dual_cndmask_b32 v15, v97, v114, s11
	s_mov_b32 s17, exec_lo
	s_delay_alu instid0(VALU_DEP_1) | instskip(NEXT) | instid1(VALU_DEP_1)
	v_add_nc_u32_e32 v16, 1, v14
	v_add_min_u32_e64 v14, v15, -1, v16
	s_delay_alu instid0(VALU_DEP_1)
	v_lshl_add_u32 v14, v14, 3, v30
	ds_load_b64 v[14:15], v14
	s_wait_dscnt 0x0
	v_dual_cndmask_b32 v19, v15, v23, s11 :: v_dual_cndmask_b32 v31, v16, v20, s11
	v_dual_cndmask_b32 v18, v14, v22, s11 :: v_dual_cndmask_b32 v34, v21, v16, s11
	;; [unrolled: 1-line block ×3, first 2 shown]
	s_delay_alu instid0(VALU_DEP_3)
	v_cmpx_lt_u32_e64 v31, v97
	s_cbranch_execz .LBB1238_1212
; %bb.1193:
	s_delay_alu instid0(VALU_DEP_3) | instskip(SKIP_1) | instid1(SALU_CYCLE_1)
	v_cmp_lt_u32_e64 s16, v34, v114
	s_and_b32 s9, s16, s14
	s_and_saveexec_b32 s18, s9
	s_cbranch_execz .LBB1238_1211
; %bb.1194:
	v_mul_u64_e32 v[14:15], v[32:33], v[6:7]
	v_mul_u64_e32 v[16:17], v[18:19], v[6:7]
	v_mov_b64_e32 v[20:21], v[6:7]
	s_mov_b32 s19, 0
                                        ; implicit-def: $sgpr20
                                        ; implicit-def: $sgpr21
                                        ; implicit-def: $sgpr24
	s_delay_alu instid0(VALU_DEP_3) | instskip(NEXT) | instid1(VALU_DEP_3)
	v_lshl_add_u64 v[14:15], v[14:15], 1, v[8:9]
	v_lshl_add_u64 v[16:17], v[16:17], 1, v[8:9]
	s_branch .LBB1238_1196
.LBB1238_1195:                          ;   in Loop: Header=BB1238_1196 Depth=1
	s_or_b32 exec_lo, exec_lo, s24
	s_delay_alu instid0(SALU_CYCLE_1) | instskip(SKIP_4) | instid1(SALU_CYCLE_1)
	s_and_b32 s9, exec_lo, s23
	s_mov_b32 s24, s22
	s_or_b32 s19, s9, s19
	s_and_not1_b32 s9, s20, exec_lo
	s_and_b32 s20, s21, exec_lo
	s_or_b32 s20, s9, s20
	s_and_not1_b32 exec_lo, exec_lo, s19
	s_cbranch_execz .LBB1238_1210
.LBB1238_1196:                          ; =>This Inner Loop Header: Depth=1
	flat_load_u16 v35, v[16:17]
	flat_load_u16 v36, v[14:15]
	s_mov_b32 s23, -1
	s_mov_b32 s25, 0
	s_mov_b32 s22, -1
	s_mov_b32 s26, exec_lo
	s_wait_loadcnt_dscnt 0x0
	v_cmpx_nlt_f16_e32 v35, v36
; %bb.1197:                             ;   in Loop: Header=BB1238_1196 Depth=1
	v_cmp_ngt_f16_e64 s9, v35, v36
	s_and_b32 s22, s9, s24
	s_and_b32 s25, s9, exec_lo
	s_or_not1_b32 s22, s22, exec_lo
; %bb.1198:                             ;   in Loop: Header=BB1238_1196 Depth=1
	s_or_b32 exec_lo, exec_lo, s26
	s_delay_alu instid0(SALU_CYCLE_1) | instskip(SKIP_1) | instid1(SALU_CYCLE_1)
	s_and_not1_b32 s9, s21, exec_lo
	s_and_b32 s21, s22, exec_lo
	s_or_b32 s21, s9, s21
	s_and_saveexec_b32 s24, s25
	s_cbranch_execz .LBB1238_1195
; %bb.1199:                             ;   in Loop: Header=BB1238_1196 Depth=1
	v_add_nc_u64_e32 v[20:21], -1, v[20:21]
	v_add_nc_u64_e32 v[14:15], 2, v[14:15]
	v_add_nc_u64_e32 v[16:17], 2, v[16:17]
	s_and_not1_b32 s21, s21, exec_lo
	s_delay_alu instid0(VALU_DEP_3)
	v_cmp_eq_u64_e64 s9, 0, v[20:21]
	s_or_not1_b32 s23, s9, exec_lo
	s_branch .LBB1238_1195
.LBB1238_1200:
	s_or_b32 exec_lo, exec_lo, s12
	s_xor_b32 s1, s13, -1
	s_and_not1_b32 s3, s3, exec_lo
	s_and_b32 s1, s1, exec_lo
	s_delay_alu instid0(SALU_CYCLE_1)
	s_or_b32 s3, s3, s1
.LBB1238_1201:
	s_or_b32 exec_lo, exec_lo, s11
	s_delay_alu instid0(SALU_CYCLE_1)
	s_or_not1_b32 s3, s3, exec_lo
.LBB1238_1202:
	s_or_b32 exec_lo, exec_lo, s7
	v_dual_cndmask_b32 v10, v16, v17, s3 :: v_dual_cndmask_b32 v11, v86, v103, s3
	s_mov_b32 s7, exec_lo
	s_delay_alu instid0(VALU_DEP_1) | instskip(NEXT) | instid1(VALU_DEP_1)
	v_add_nc_u32_e32 v12, 1, v10
	v_add_min_u32_e64 v10, v11, -1, v12
	s_delay_alu instid0(VALU_DEP_1)
	v_lshl_add_u32 v10, v10, 3, v22
	ds_load_b64 v[10:11], v10
	s_wait_dscnt 0x0
	v_dual_cndmask_b32 v15, v11, v19, s3 :: v_dual_cndmask_b32 v23, v12, v16, s3
	v_dual_cndmask_b32 v14, v10, v18, s3 :: v_dual_cndmask_b32 v30, v17, v12, s3
	;; [unrolled: 1-line block ×3, first 2 shown]
	s_delay_alu instid0(VALU_DEP_3)
	v_cmpx_lt_u32_e64 v23, v86
	s_cbranch_execz .LBB1238_1222
; %bb.1203:
	s_delay_alu instid0(VALU_DEP_3) | instskip(SKIP_1) | instid1(SALU_CYCLE_1)
	v_cmp_lt_u32_e64 s6, v30, v103
	s_xor_b32 s1, s0, -1
	s_and_b32 s1, s6, s1
	s_delay_alu instid0(SALU_CYCLE_1)
	s_and_saveexec_b32 s11, s1
	s_cbranch_execz .LBB1238_1221
; %bb.1204:
	v_mul_u64_e32 v[10:11], v[24:25], v[6:7]
	v_mul_u64_e32 v[12:13], v[14:15], v[6:7]
	v_mov_b64_e32 v[16:17], v[6:7]
	s_mov_b32 s12, 0
                                        ; implicit-def: $sgpr13
                                        ; implicit-def: $sgpr14
                                        ; implicit-def: $sgpr17
	s_delay_alu instid0(VALU_DEP_3) | instskip(NEXT) | instid1(VALU_DEP_3)
	v_lshl_add_u64 v[10:11], v[10:11], 1, v[8:9]
	v_lshl_add_u64 v[12:13], v[12:13], 1, v[8:9]
	s_branch .LBB1238_1206
.LBB1238_1205:                          ;   in Loop: Header=BB1238_1206 Depth=1
	s_or_b32 exec_lo, exec_lo, s17
	s_delay_alu instid0(SALU_CYCLE_1) | instskip(SKIP_4) | instid1(SALU_CYCLE_1)
	s_and_b32 s1, exec_lo, s16
	s_mov_b32 s17, s15
	s_or_b32 s12, s1, s12
	s_and_not1_b32 s1, s13, exec_lo
	s_and_b32 s13, s14, exec_lo
	s_or_b32 s13, s1, s13
	s_and_not1_b32 exec_lo, exec_lo, s12
	s_cbranch_execz .LBB1238_1220
.LBB1238_1206:                          ; =>This Inner Loop Header: Depth=1
	flat_load_u16 v31, v[12:13]
	flat_load_u16 v32, v[10:11]
	s_mov_b32 s16, -1
	s_mov_b32 s18, 0
	s_mov_b32 s15, -1
	s_mov_b32 s19, exec_lo
	s_wait_loadcnt_dscnt 0x0
	v_cmpx_nlt_f16_e32 v31, v32
; %bb.1207:                             ;   in Loop: Header=BB1238_1206 Depth=1
	v_cmp_ngt_f16_e64 s1, v31, v32
	s_and_b32 s15, s1, s17
	s_and_b32 s18, s1, exec_lo
	s_or_not1_b32 s15, s15, exec_lo
; %bb.1208:                             ;   in Loop: Header=BB1238_1206 Depth=1
	s_or_b32 exec_lo, exec_lo, s19
	s_delay_alu instid0(SALU_CYCLE_1) | instskip(SKIP_1) | instid1(SALU_CYCLE_1)
	s_and_not1_b32 s1, s14, exec_lo
	s_and_b32 s14, s15, exec_lo
	s_or_b32 s14, s1, s14
	s_and_saveexec_b32 s17, s18
	s_cbranch_execz .LBB1238_1205
; %bb.1209:                             ;   in Loop: Header=BB1238_1206 Depth=1
	v_add_nc_u64_e32 v[16:17], -1, v[16:17]
	v_add_nc_u64_e32 v[10:11], 2, v[10:11]
	v_add_nc_u64_e32 v[12:13], 2, v[12:13]
	s_and_not1_b32 s14, s14, exec_lo
	s_delay_alu instid0(VALU_DEP_3)
	v_cmp_eq_u64_e64 s1, 0, v[16:17]
	s_or_not1_b32 s16, s1, exec_lo
	s_branch .LBB1238_1205
.LBB1238_1210:
	s_or_b32 exec_lo, exec_lo, s19
	s_xor_b32 s9, s20, -1
	s_and_not1_b32 s16, s16, exec_lo
	s_and_b32 s9, s9, exec_lo
	s_delay_alu instid0(SALU_CYCLE_1)
	s_or_b32 s16, s16, s9
.LBB1238_1211:
	s_or_b32 exec_lo, exec_lo, s18
	s_delay_alu instid0(SALU_CYCLE_1)
	s_or_not1_b32 s16, s16, exec_lo
.LBB1238_1212:
	s_or_b32 exec_lo, exec_lo, s17
	v_cndmask_b32_e64 v14, v31, v34, s16
	s_mov_b32 s18, -1
	s_mov_b32 s17, -1
	s_mov_b32 s19, exec_lo
	s_delay_alu instid0(VALU_DEP_1) | instskip(NEXT) | instid1(VALU_DEP_1)
	v_add_nc_u32_e32 v16, 1, v14
	v_dual_cndmask_b32 v15, v97, v114, s16 :: v_dual_cndmask_b32 v38, v34, v16, s16
	s_delay_alu instid0(VALU_DEP_1) | instskip(NEXT) | instid1(VALU_DEP_1)
	v_add_min_u32_e64 v14, v15, -1, v16
	v_lshl_add_u32 v14, v14, 3, v30
	ds_load_b64 v[14:15], v14
	s_wait_dscnt 0x0
	v_cndmask_b32_e64 v21, v15, v19, s16
	v_dual_cndmask_b32 v31, v16, v31, s16 :: v_dual_cndmask_b32 v20, v14, v18, s16
	v_dual_cndmask_b32 v35, v33, v15, s16 :: v_dual_cndmask_b32 v34, v32, v14, s16
	s_delay_alu instid0(VALU_DEP_2)
	v_cmpx_lt_u32_e64 v31, v97
	s_cbranch_execz .LBB1238_1232
; %bb.1213:
	v_cmp_lt_u32_e64 s17, v38, v114
	s_and_b32 s9, s17, s14
	s_delay_alu instid0(SALU_CYCLE_1)
	s_and_saveexec_b32 s20, s9
	s_cbranch_execz .LBB1238_1231
; %bb.1214:
	v_mul_u64_e32 v[14:15], v[34:35], v[6:7]
	v_mul_u64_e32 v[16:17], v[20:21], v[6:7]
	v_mov_b64_e32 v[36:37], v[6:7]
	s_mov_b32 s21, 0
                                        ; implicit-def: $sgpr22
                                        ; implicit-def: $sgpr23
                                        ; implicit-def: $sgpr26
	s_delay_alu instid0(VALU_DEP_3) | instskip(NEXT) | instid1(VALU_DEP_3)
	v_lshl_add_u64 v[14:15], v[14:15], 1, v[8:9]
	v_lshl_add_u64 v[16:17], v[16:17], 1, v[8:9]
	s_branch .LBB1238_1216
.LBB1238_1215:                          ;   in Loop: Header=BB1238_1216 Depth=1
	s_or_b32 exec_lo, exec_lo, s26
	s_delay_alu instid0(SALU_CYCLE_1) | instskip(SKIP_4) | instid1(SALU_CYCLE_1)
	s_and_b32 s9, exec_lo, s25
	s_mov_b32 s26, s24
	s_or_b32 s21, s9, s21
	s_and_not1_b32 s9, s22, exec_lo
	s_and_b32 s22, s23, exec_lo
	s_or_b32 s22, s9, s22
	s_and_not1_b32 exec_lo, exec_lo, s21
	s_cbranch_execz .LBB1238_1230
.LBB1238_1216:                          ; =>This Inner Loop Header: Depth=1
	flat_load_u16 v39, v[16:17]
	flat_load_u16 v48, v[14:15]
	s_mov_b32 s25, -1
	s_mov_b32 s27, 0
	s_mov_b32 s24, -1
	s_mov_b32 s28, exec_lo
	s_wait_loadcnt_dscnt 0x0
	v_cmpx_nlt_f16_e32 v39, v48
; %bb.1217:                             ;   in Loop: Header=BB1238_1216 Depth=1
	v_cmp_ngt_f16_e64 s9, v39, v48
	s_and_b32 s24, s9, s26
	s_and_b32 s27, s9, exec_lo
	s_or_not1_b32 s24, s24, exec_lo
; %bb.1218:                             ;   in Loop: Header=BB1238_1216 Depth=1
	s_or_b32 exec_lo, exec_lo, s28
	s_delay_alu instid0(SALU_CYCLE_1) | instskip(SKIP_1) | instid1(SALU_CYCLE_1)
	s_and_not1_b32 s9, s23, exec_lo
	s_and_b32 s23, s24, exec_lo
	s_or_b32 s23, s9, s23
	s_and_saveexec_b32 s26, s27
	s_cbranch_execz .LBB1238_1215
; %bb.1219:                             ;   in Loop: Header=BB1238_1216 Depth=1
	v_add_nc_u64_e32 v[36:37], -1, v[36:37]
	v_add_nc_u64_e32 v[14:15], 2, v[14:15]
	v_add_nc_u64_e32 v[16:17], 2, v[16:17]
	s_and_not1_b32 s23, s23, exec_lo
	s_delay_alu instid0(VALU_DEP_3)
	v_cmp_eq_u64_e64 s9, 0, v[36:37]
	s_or_not1_b32 s25, s9, exec_lo
	s_branch .LBB1238_1215
.LBB1238_1220:
	s_or_b32 exec_lo, exec_lo, s12
	s_xor_b32 s1, s13, -1
	s_and_not1_b32 s6, s6, exec_lo
	s_and_b32 s1, s1, exec_lo
	s_delay_alu instid0(SALU_CYCLE_1)
	s_or_b32 s6, s6, s1
.LBB1238_1221:
	s_or_b32 exec_lo, exec_lo, s11
	s_delay_alu instid0(SALU_CYCLE_1)
	s_or_not1_b32 s6, s6, exec_lo
.LBB1238_1222:
	s_or_b32 exec_lo, exec_lo, s7
	v_dual_cndmask_b32 v10, v23, v30, s6 :: v_dual_cndmask_b32 v11, v86, v103, s6
	s_mov_b32 s11, -1
	s_mov_b32 s7, -1
	s_mov_b32 s12, exec_lo
	s_delay_alu instid0(VALU_DEP_1) | instskip(NEXT) | instid1(VALU_DEP_1)
	v_add_nc_u32_e32 v12, 1, v10
	v_add_min_u32_e64 v10, v11, -1, v12
	s_delay_alu instid0(VALU_DEP_1)
	v_lshl_add_u32 v10, v10, 3, v22
	ds_load_b64 v[10:11], v10
	s_wait_dscnt 0x0
	v_cndmask_b32_e64 v17, v11, v15, s6
	v_dual_cndmask_b32 v23, v12, v23, s6 :: v_dual_cndmask_b32 v34, v30, v12, s6
	v_dual_cndmask_b32 v16, v10, v14, s6 :: v_dual_cndmask_b32 v31, v25, v11, s6
	v_cndmask_b32_e64 v30, v24, v10, s6
	s_delay_alu instid0(VALU_DEP_3)
	v_cmpx_lt_u32_e64 v23, v86
	s_cbranch_execz .LBB1238_1242
; %bb.1223:
	v_cmp_lt_u32_e64 s7, v34, v103
	s_xor_b32 s1, s0, -1
	s_delay_alu instid0(SALU_CYCLE_1) | instskip(NEXT) | instid1(SALU_CYCLE_1)
	s_and_b32 s1, s7, s1
	s_and_saveexec_b32 s13, s1
	s_cbranch_execz .LBB1238_1241
; %bb.1224:
	v_mul_u64_e32 v[10:11], v[30:31], v[6:7]
	v_mul_u64_e32 v[12:13], v[16:17], v[6:7]
	v_mov_b64_e32 v[32:33], v[6:7]
	s_mov_b32 s14, 0
                                        ; implicit-def: $sgpr15
                                        ; implicit-def: $sgpr16
                                        ; implicit-def: $sgpr19
	s_delay_alu instid0(VALU_DEP_3) | instskip(NEXT) | instid1(VALU_DEP_3)
	v_lshl_add_u64 v[10:11], v[10:11], 1, v[8:9]
	v_lshl_add_u64 v[12:13], v[12:13], 1, v[8:9]
	s_branch .LBB1238_1226
.LBB1238_1225:                          ;   in Loop: Header=BB1238_1226 Depth=1
	s_or_b32 exec_lo, exec_lo, s19
	s_delay_alu instid0(SALU_CYCLE_1) | instskip(SKIP_4) | instid1(SALU_CYCLE_1)
	s_and_b32 s1, exec_lo, s18
	s_mov_b32 s19, s17
	s_or_b32 s14, s1, s14
	s_and_not1_b32 s1, s15, exec_lo
	s_and_b32 s15, s16, exec_lo
	s_or_b32 s15, s1, s15
	s_and_not1_b32 exec_lo, exec_lo, s14
	s_cbranch_execz .LBB1238_1240
.LBB1238_1226:                          ; =>This Inner Loop Header: Depth=1
	flat_load_u16 v35, v[12:13]
	flat_load_u16 v36, v[10:11]
	s_mov_b32 s18, -1
	s_mov_b32 s20, 0
	s_mov_b32 s17, -1
	s_mov_b32 s21, exec_lo
	s_wait_loadcnt_dscnt 0x0
	v_cmpx_nlt_f16_e32 v35, v36
; %bb.1227:                             ;   in Loop: Header=BB1238_1226 Depth=1
	v_cmp_ngt_f16_e64 s1, v35, v36
	s_and_b32 s17, s1, s19
	s_and_b32 s20, s1, exec_lo
	s_or_not1_b32 s17, s17, exec_lo
; %bb.1228:                             ;   in Loop: Header=BB1238_1226 Depth=1
	s_or_b32 exec_lo, exec_lo, s21
	s_delay_alu instid0(SALU_CYCLE_1) | instskip(SKIP_1) | instid1(SALU_CYCLE_1)
	s_and_not1_b32 s1, s16, exec_lo
	s_and_b32 s16, s17, exec_lo
	s_or_b32 s16, s1, s16
	s_and_saveexec_b32 s19, s20
	s_cbranch_execz .LBB1238_1225
; %bb.1229:                             ;   in Loop: Header=BB1238_1226 Depth=1
	v_add_nc_u64_e32 v[32:33], -1, v[32:33]
	v_add_nc_u64_e32 v[10:11], 2, v[10:11]
	v_add_nc_u64_e32 v[12:13], 2, v[12:13]
	s_and_not1_b32 s16, s16, exec_lo
	s_delay_alu instid0(VALU_DEP_3)
	v_cmp_eq_u64_e64 s1, 0, v[32:33]
	s_or_not1_b32 s18, s1, exec_lo
	s_branch .LBB1238_1225
.LBB1238_1230:
	s_or_b32 exec_lo, exec_lo, s21
	s_xor_b32 s9, s22, -1
	s_and_not1_b32 s17, s17, exec_lo
	s_and_b32 s9, s9, exec_lo
	s_delay_alu instid0(SALU_CYCLE_1)
	s_or_b32 s17, s17, s9
.LBB1238_1231:
	s_or_b32 exec_lo, exec_lo, s20
	s_delay_alu instid0(SALU_CYCLE_1)
	s_or_not1_b32 s17, s17, exec_lo
.LBB1238_1232:
	s_or_b32 exec_lo, exec_lo, s19
	v_cndmask_b32_e64 v14, v31, v38, s17
	s_mov_b32 s19, exec_lo
	s_delay_alu instid0(VALU_DEP_1) | instskip(NEXT) | instid1(VALU_DEP_1)
	v_add_nc_u32_e32 v14, 1, v14
	v_dual_cndmask_b32 v15, v97, v114, s17 :: v_dual_cndmask_b32 v31, v14, v31, s17
	s_delay_alu instid0(VALU_DEP_1) | instskip(NEXT) | instid1(VALU_DEP_1)
	v_add_min_u32_e64 v15, v15, -1, v14
	v_lshl_add_u32 v15, v15, 3, v30
	ds_load_b64 v[16:17], v15
	s_wait_dscnt 0x0
	v_cndmask_b32_e64 v15, v17, v21, s17
	v_dual_cndmask_b32 v37, v35, v17, s17 :: v_dual_cndmask_b32 v50, v38, v14, s17
	v_cndmask_b32_e64 v14, v16, v20, s17
	v_cndmask_b32_e64 v36, v34, v16, s17
	v_cmpx_lt_u32_e64 v31, v97
	s_cbranch_execz .LBB1238_1252
; %bb.1233:
	v_cmp_lt_u32_e64 s18, v50, v114
	s_and_b32 s9, s18, s14
	s_delay_alu instid0(SALU_CYCLE_1)
	s_and_saveexec_b32 s20, s9
	s_cbranch_execz .LBB1238_1251
; %bb.1234:
	v_mul_u64_e32 v[16:17], v[36:37], v[6:7]
	v_mul_u64_e32 v[38:39], v[14:15], v[6:7]
	v_mov_b64_e32 v[48:49], v[6:7]
	s_mov_b32 s21, 0
                                        ; implicit-def: $sgpr22
                                        ; implicit-def: $sgpr23
                                        ; implicit-def: $sgpr26
	s_delay_alu instid0(VALU_DEP_3) | instskip(NEXT) | instid1(VALU_DEP_3)
	v_lshl_add_u64 v[16:17], v[16:17], 1, v[8:9]
	v_lshl_add_u64 v[38:39], v[38:39], 1, v[8:9]
	s_branch .LBB1238_1236
.LBB1238_1235:                          ;   in Loop: Header=BB1238_1236 Depth=1
	s_or_b32 exec_lo, exec_lo, s26
	s_delay_alu instid0(SALU_CYCLE_1) | instskip(SKIP_4) | instid1(SALU_CYCLE_1)
	s_and_b32 s9, exec_lo, s25
	s_mov_b32 s26, s24
	s_or_b32 s21, s9, s21
	s_and_not1_b32 s9, s22, exec_lo
	s_and_b32 s22, s23, exec_lo
	s_or_b32 s22, s9, s22
	s_and_not1_b32 exec_lo, exec_lo, s21
	s_cbranch_execz .LBB1238_1250
.LBB1238_1236:                          ; =>This Inner Loop Header: Depth=1
	flat_load_u16 v51, v[38:39]
	flat_load_u16 v52, v[16:17]
	s_mov_b32 s25, -1
	s_mov_b32 s27, 0
	s_mov_b32 s24, -1
	s_mov_b32 s28, exec_lo
	s_wait_loadcnt_dscnt 0x0
	v_cmpx_nlt_f16_e32 v51, v52
; %bb.1237:                             ;   in Loop: Header=BB1238_1236 Depth=1
	v_cmp_ngt_f16_e64 s9, v51, v52
	s_and_b32 s24, s9, s26
	s_and_b32 s27, s9, exec_lo
	s_or_not1_b32 s24, s24, exec_lo
; %bb.1238:                             ;   in Loop: Header=BB1238_1236 Depth=1
	s_or_b32 exec_lo, exec_lo, s28
	s_delay_alu instid0(SALU_CYCLE_1) | instskip(SKIP_1) | instid1(SALU_CYCLE_1)
	s_and_not1_b32 s9, s23, exec_lo
	s_and_b32 s23, s24, exec_lo
	s_or_b32 s23, s9, s23
	s_and_saveexec_b32 s26, s27
	s_cbranch_execz .LBB1238_1235
; %bb.1239:                             ;   in Loop: Header=BB1238_1236 Depth=1
	v_add_nc_u64_e32 v[48:49], -1, v[48:49]
	v_add_nc_u64_e32 v[16:17], 2, v[16:17]
	v_add_nc_u64_e32 v[38:39], 2, v[38:39]
	s_and_not1_b32 s23, s23, exec_lo
	s_delay_alu instid0(VALU_DEP_3)
	v_cmp_eq_u64_e64 s9, 0, v[48:49]
	s_or_not1_b32 s25, s9, exec_lo
	s_branch .LBB1238_1235
.LBB1238_1240:
	s_or_b32 exec_lo, exec_lo, s14
	s_xor_b32 s1, s15, -1
	s_and_not1_b32 s7, s7, exec_lo
	s_and_b32 s1, s1, exec_lo
	s_delay_alu instid0(SALU_CYCLE_1)
	s_or_b32 s7, s7, s1
.LBB1238_1241:
	s_or_b32 exec_lo, exec_lo, s13
	s_delay_alu instid0(SALU_CYCLE_1)
	s_or_not1_b32 s7, s7, exec_lo
.LBB1238_1242:
	s_or_b32 exec_lo, exec_lo, s12
	v_dual_cndmask_b32 v10, v23, v34, s7 :: v_dual_cndmask_b32 v11, v86, v103, s7
	s_mov_b32 s12, exec_lo
	s_delay_alu instid0(VALU_DEP_1) | instskip(NEXT) | instid1(VALU_DEP_1)
	v_add_nc_u32_e32 v10, 1, v10
	v_add_min_u32_e64 v11, v11, -1, v10
	s_delay_alu instid0(VALU_DEP_1)
	v_lshl_add_u32 v11, v11, 3, v22
	ds_load_b64 v[12:13], v11
	s_wait_dscnt 0x0
	v_dual_cndmask_b32 v11, v13, v17, s7 :: v_dual_cndmask_b32 v23, v10, v23, s7
	v_dual_cndmask_b32 v38, v34, v10, s7 :: v_dual_cndmask_b32 v33, v31, v13, s7
	v_cndmask_b32_e64 v10, v12, v16, s7
	v_cndmask_b32_e64 v32, v30, v12, s7
	s_delay_alu instid0(VALU_DEP_4)
	v_cmpx_lt_u32_e64 v23, v86
	s_cbranch_execz .LBB1238_1262
; %bb.1243:
	v_cmp_lt_u32_e64 s11, v38, v103
	s_xor_b32 s1, s0, -1
	s_delay_alu instid0(SALU_CYCLE_1) | instskip(NEXT) | instid1(SALU_CYCLE_1)
	s_and_b32 s1, s11, s1
	s_and_saveexec_b32 s13, s1
	s_cbranch_execz .LBB1238_1261
; %bb.1244:
	v_mul_u64_e32 v[12:13], v[32:33], v[6:7]
	v_mul_u64_e32 v[34:35], v[10:11], v[6:7]
	v_mov_b64_e32 v[36:37], v[6:7]
	s_mov_b32 s14, 0
                                        ; implicit-def: $sgpr15
                                        ; implicit-def: $sgpr16
                                        ; implicit-def: $sgpr19
	s_delay_alu instid0(VALU_DEP_3) | instskip(NEXT) | instid1(VALU_DEP_3)
	v_lshl_add_u64 v[12:13], v[12:13], 1, v[8:9]
	v_lshl_add_u64 v[34:35], v[34:35], 1, v[8:9]
	s_branch .LBB1238_1246
.LBB1238_1245:                          ;   in Loop: Header=BB1238_1246 Depth=1
	s_or_b32 exec_lo, exec_lo, s19
	s_delay_alu instid0(SALU_CYCLE_1) | instskip(SKIP_4) | instid1(SALU_CYCLE_1)
	s_and_b32 s1, exec_lo, s18
	s_mov_b32 s19, s17
	s_or_b32 s14, s1, s14
	s_and_not1_b32 s1, s15, exec_lo
	s_and_b32 s15, s16, exec_lo
	s_or_b32 s15, s1, s15
	s_and_not1_b32 exec_lo, exec_lo, s14
	s_cbranch_execz .LBB1238_1260
.LBB1238_1246:                          ; =>This Inner Loop Header: Depth=1
	flat_load_u16 v39, v[34:35]
	flat_load_u16 v48, v[12:13]
	s_mov_b32 s18, -1
	s_mov_b32 s20, 0
	s_mov_b32 s17, -1
	s_mov_b32 s21, exec_lo
	s_wait_loadcnt_dscnt 0x0
	v_cmpx_nlt_f16_e32 v39, v48
; %bb.1247:                             ;   in Loop: Header=BB1238_1246 Depth=1
	v_cmp_ngt_f16_e64 s1, v39, v48
	s_and_b32 s17, s1, s19
	s_and_b32 s20, s1, exec_lo
	s_or_not1_b32 s17, s17, exec_lo
; %bb.1248:                             ;   in Loop: Header=BB1238_1246 Depth=1
	s_or_b32 exec_lo, exec_lo, s21
	s_delay_alu instid0(SALU_CYCLE_1) | instskip(SKIP_1) | instid1(SALU_CYCLE_1)
	s_and_not1_b32 s1, s16, exec_lo
	s_and_b32 s16, s17, exec_lo
	s_or_b32 s16, s1, s16
	s_and_saveexec_b32 s19, s20
	s_cbranch_execz .LBB1238_1245
; %bb.1249:                             ;   in Loop: Header=BB1238_1246 Depth=1
	v_add_nc_u64_e32 v[36:37], -1, v[36:37]
	v_add_nc_u64_e32 v[12:13], 2, v[12:13]
	v_add_nc_u64_e32 v[34:35], 2, v[34:35]
	s_and_not1_b32 s16, s16, exec_lo
	s_delay_alu instid0(VALU_DEP_3)
	v_cmp_eq_u64_e64 s1, 0, v[36:37]
	s_or_not1_b32 s18, s1, exec_lo
	s_branch .LBB1238_1245
.LBB1238_1250:
	s_or_b32 exec_lo, exec_lo, s21
	s_xor_b32 s9, s22, -1
	s_and_not1_b32 s18, s18, exec_lo
	s_and_b32 s9, s9, exec_lo
	s_delay_alu instid0(SALU_CYCLE_1)
	s_or_b32 s18, s18, s9
.LBB1238_1251:
	s_or_b32 exec_lo, exec_lo, s20
	s_delay_alu instid0(SALU_CYCLE_1)
	s_or_not1_b32 s18, s18, exec_lo
.LBB1238_1252:
	s_or_b32 exec_lo, exec_lo, s19
	v_cndmask_b32_e64 v16, v31, v50, s18
	v_cndmask_b32_e64 v17, v97, v114, s18
	s_mov_b32 s19, -1
	s_mov_b32 s20, -1
	s_mov_b32 s21, exec_lo
	v_add_nc_u32_e32 v16, 1, v16
	s_delay_alu instid0(VALU_DEP_1) | instskip(SKIP_1) | instid1(VALU_DEP_2)
	v_add_min_u32_e64 v17, v17, -1, v16
	v_dual_cndmask_b32 v31, v16, v31, s18 :: v_dual_cndmask_b32 v54, v50, v16, s18
	v_lshl_add_u32 v17, v17, 3, v30
	ds_load_b64 v[38:39], v17
	s_wait_dscnt 0x0
	v_dual_cndmask_b32 v17, v39, v15, s18 :: v_dual_cndmask_b32 v16, v38, v14, s18
	v_dual_cndmask_b32 v39, v37, v39, s18 :: v_dual_cndmask_b32 v38, v36, v38, s18
	v_cmpx_lt_u32_e64 v31, v97
	s_cbranch_execz .LBB1238_1272
; %bb.1253:
	v_cmp_lt_u32_e64 s20, v54, v114
	s_and_b32 s9, s20, s14
	s_delay_alu instid0(SALU_CYCLE_1)
	s_and_saveexec_b32 s22, s9
	s_cbranch_execz .LBB1238_1271
; %bb.1254:
	v_mul_u64_e32 v[48:49], v[38:39], v[6:7]
	v_mul_u64_e32 v[50:51], v[16:17], v[6:7]
	v_mov_b64_e32 v[52:53], v[6:7]
	s_mov_b32 s23, 0
                                        ; implicit-def: $sgpr24
                                        ; implicit-def: $sgpr25
                                        ; implicit-def: $sgpr28
	s_delay_alu instid0(VALU_DEP_3) | instskip(NEXT) | instid1(VALU_DEP_3)
	v_lshl_add_u64 v[48:49], v[48:49], 1, v[8:9]
	v_lshl_add_u64 v[50:51], v[50:51], 1, v[8:9]
	s_branch .LBB1238_1256
.LBB1238_1255:                          ;   in Loop: Header=BB1238_1256 Depth=1
	s_or_b32 exec_lo, exec_lo, s28
	s_delay_alu instid0(SALU_CYCLE_1) | instskip(SKIP_4) | instid1(SALU_CYCLE_1)
	s_and_b32 s9, exec_lo, s27
	s_mov_b32 s28, s26
	s_or_b32 s23, s9, s23
	s_and_not1_b32 s9, s24, exec_lo
	s_and_b32 s24, s25, exec_lo
	s_or_b32 s24, s9, s24
	s_and_not1_b32 exec_lo, exec_lo, s23
	s_cbranch_execz .LBB1238_1270
.LBB1238_1256:                          ; =>This Inner Loop Header: Depth=1
	flat_load_u16 v55, v[50:51]
	flat_load_u16 v64, v[48:49]
	s_mov_b32 s27, -1
	s_mov_b32 s29, 0
	s_mov_b32 s26, -1
	s_mov_b32 s40, exec_lo
	s_wait_loadcnt_dscnt 0x0
	v_cmpx_nlt_f16_e32 v55, v64
; %bb.1257:                             ;   in Loop: Header=BB1238_1256 Depth=1
	v_cmp_ngt_f16_e64 s9, v55, v64
	s_and_b32 s26, s9, s28
	s_and_b32 s29, s9, exec_lo
	s_or_not1_b32 s26, s26, exec_lo
; %bb.1258:                             ;   in Loop: Header=BB1238_1256 Depth=1
	s_or_b32 exec_lo, exec_lo, s40
	s_delay_alu instid0(SALU_CYCLE_1) | instskip(SKIP_1) | instid1(SALU_CYCLE_1)
	s_and_not1_b32 s9, s25, exec_lo
	s_and_b32 s25, s26, exec_lo
	s_or_b32 s25, s9, s25
	s_and_saveexec_b32 s28, s29
	s_cbranch_execz .LBB1238_1255
; %bb.1259:                             ;   in Loop: Header=BB1238_1256 Depth=1
	v_add_nc_u64_e32 v[52:53], -1, v[52:53]
	v_add_nc_u64_e32 v[48:49], 2, v[48:49]
	v_add_nc_u64_e32 v[50:51], 2, v[50:51]
	s_and_not1_b32 s25, s25, exec_lo
	s_delay_alu instid0(VALU_DEP_3)
	v_cmp_eq_u64_e64 s9, 0, v[52:53]
	s_or_not1_b32 s27, s9, exec_lo
	s_branch .LBB1238_1255
.LBB1238_1260:
	s_or_b32 exec_lo, exec_lo, s14
	s_xor_b32 s1, s15, -1
	s_and_not1_b32 s11, s11, exec_lo
	s_and_b32 s1, s1, exec_lo
	s_delay_alu instid0(SALU_CYCLE_1)
	s_or_b32 s11, s11, s1
.LBB1238_1261:
	s_or_b32 exec_lo, exec_lo, s13
	s_delay_alu instid0(SALU_CYCLE_1)
	s_or_not1_b32 s11, s11, exec_lo
.LBB1238_1262:
	s_or_b32 exec_lo, exec_lo, s12
	v_dual_cndmask_b32 v12, v23, v38, s11 :: v_dual_cndmask_b32 v13, v86, v103, s11
	s_mov_b32 s12, -1
	s_mov_b32 s13, -1
	s_mov_b32 s14, exec_lo
	s_delay_alu instid0(VALU_DEP_1) | instskip(NEXT) | instid1(VALU_DEP_1)
	v_add_nc_u32_e32 v12, 1, v12
	v_add_min_u32_e64 v13, v13, -1, v12
	s_delay_alu instid0(VALU_DEP_1)
	v_lshl_add_u32 v13, v13, 3, v22
	ds_load_b64 v[34:35], v13
	s_wait_dscnt 0x0
	v_cndmask_b32_e64 v13, v35, v11, s11
	v_dual_cndmask_b32 v23, v12, v23, s11 :: v_dual_cndmask_b32 v50, v38, v12, s11
	v_dual_cndmask_b32 v12, v34, v10, s11 :: v_dual_cndmask_b32 v35, v33, v35, s11
	v_cndmask_b32_e64 v34, v32, v34, s11
	s_delay_alu instid0(VALU_DEP_3)
	v_cmpx_lt_u32_e64 v23, v86
	s_cbranch_execz .LBB1238_1282
; %bb.1263:
	v_cmp_lt_u32_e64 s13, v50, v103
	s_xor_b32 s1, s0, -1
	s_delay_alu instid0(SALU_CYCLE_1) | instskip(NEXT) | instid1(SALU_CYCLE_1)
	s_and_b32 s1, s13, s1
	s_and_saveexec_b32 s15, s1
	s_cbranch_execz .LBB1238_1281
; %bb.1264:
	v_mul_u64_e32 v[36:37], v[34:35], v[6:7]
	v_mul_u64_e32 v[38:39], v[12:13], v[6:7]
	v_mov_b64_e32 v[48:49], v[6:7]
	s_mov_b32 s16, 0
                                        ; implicit-def: $sgpr17
                                        ; implicit-def: $sgpr18
                                        ; implicit-def: $sgpr21
	s_delay_alu instid0(VALU_DEP_3) | instskip(NEXT) | instid1(VALU_DEP_3)
	v_lshl_add_u64 v[36:37], v[36:37], 1, v[8:9]
	v_lshl_add_u64 v[38:39], v[38:39], 1, v[8:9]
	s_branch .LBB1238_1266
.LBB1238_1265:                          ;   in Loop: Header=BB1238_1266 Depth=1
	s_or_b32 exec_lo, exec_lo, s21
	s_delay_alu instid0(SALU_CYCLE_1) | instskip(SKIP_4) | instid1(SALU_CYCLE_1)
	s_and_b32 s1, exec_lo, s20
	s_mov_b32 s21, s19
	s_or_b32 s16, s1, s16
	s_and_not1_b32 s1, s17, exec_lo
	s_and_b32 s17, s18, exec_lo
	s_or_b32 s17, s1, s17
	s_and_not1_b32 exec_lo, exec_lo, s16
	s_cbranch_execz .LBB1238_1280
.LBB1238_1266:                          ; =>This Inner Loop Header: Depth=1
	flat_load_u16 v51, v[38:39]
	flat_load_u16 v52, v[36:37]
	s_mov_b32 s20, -1
	s_mov_b32 s22, 0
	s_mov_b32 s19, -1
	s_mov_b32 s23, exec_lo
	s_wait_loadcnt_dscnt 0x0
	v_cmpx_nlt_f16_e32 v51, v52
; %bb.1267:                             ;   in Loop: Header=BB1238_1266 Depth=1
	v_cmp_ngt_f16_e64 s1, v51, v52
	s_and_b32 s19, s1, s21
	s_and_b32 s22, s1, exec_lo
	s_or_not1_b32 s19, s19, exec_lo
; %bb.1268:                             ;   in Loop: Header=BB1238_1266 Depth=1
	s_or_b32 exec_lo, exec_lo, s23
	s_delay_alu instid0(SALU_CYCLE_1) | instskip(SKIP_1) | instid1(SALU_CYCLE_1)
	s_and_not1_b32 s1, s18, exec_lo
	s_and_b32 s18, s19, exec_lo
	s_or_b32 s18, s1, s18
	s_and_saveexec_b32 s21, s22
	s_cbranch_execz .LBB1238_1265
; %bb.1269:                             ;   in Loop: Header=BB1238_1266 Depth=1
	v_add_nc_u64_e32 v[48:49], -1, v[48:49]
	v_add_nc_u64_e32 v[36:37], 2, v[36:37]
	v_add_nc_u64_e32 v[38:39], 2, v[38:39]
	s_and_not1_b32 s18, s18, exec_lo
	s_delay_alu instid0(VALU_DEP_3)
	v_cmp_eq_u64_e64 s1, 0, v[48:49]
	s_or_not1_b32 s20, s1, exec_lo
	s_branch .LBB1238_1265
.LBB1238_1270:
	s_or_b32 exec_lo, exec_lo, s23
	s_xor_b32 s9, s24, -1
	s_and_not1_b32 s20, s20, exec_lo
	s_and_b32 s9, s9, exec_lo
	s_delay_alu instid0(SALU_CYCLE_1)
	s_or_b32 s20, s20, s9
.LBB1238_1271:
	s_or_b32 exec_lo, exec_lo, s22
	s_delay_alu instid0(SALU_CYCLE_1)
	s_or_not1_b32 s20, s20, exec_lo
.LBB1238_1272:
	s_or_b32 exec_lo, exec_lo, s21
	v_cndmask_b32_e64 v48, v31, v54, s20
	v_cndmask_b32_e64 v49, v97, v114, s20
	s_mov_b32 s21, exec_lo
	s_delay_alu instid0(VALU_DEP_2) | instskip(NEXT) | instid1(VALU_DEP_1)
	v_add_nc_u32_e32 v48, 1, v48
	v_add_min_u32_e64 v49, v49, -1, v48
	v_dual_cndmask_b32 v98, v48, v31, s20 :: v_dual_cndmask_b32 v96, v54, v48, s20
	s_delay_alu instid0(VALU_DEP_2)
	v_lshl_add_u32 v49, v49, 3, v30
	ds_load_b64 v[50:51], v49
	s_wait_dscnt 0x0
	v_dual_cndmask_b32 v49, v51, v17, s20 :: v_dual_cndmask_b32 v48, v50, v16, s20
	v_dual_cndmask_b32 v51, v39, v51, s20 :: v_dual_cndmask_b32 v50, v38, v50, s20
	v_cmpx_lt_u32_e64 v98, v97
	s_cbranch_execz .LBB1238_1292
; %bb.1273:
	v_cmp_lt_u32_e64 s19, v96, v114
	s_and_b32 s9, s19, s14
	s_delay_alu instid0(SALU_CYCLE_1)
	s_and_saveexec_b32 s22, s9
	s_cbranch_execz .LBB1238_1291
; %bb.1274:
	v_mul_u64_e32 v[52:53], v[50:51], v[6:7]
	v_mul_u64_e32 v[54:55], v[48:49], v[6:7]
	v_mov_b64_e32 v[64:65], v[6:7]
	s_mov_b32 s23, 0
                                        ; implicit-def: $sgpr24
                                        ; implicit-def: $sgpr25
                                        ; implicit-def: $sgpr28
	s_delay_alu instid0(VALU_DEP_3) | instskip(NEXT) | instid1(VALU_DEP_3)
	v_lshl_add_u64 v[52:53], v[52:53], 1, v[8:9]
	v_lshl_add_u64 v[54:55], v[54:55], 1, v[8:9]
	s_branch .LBB1238_1276
.LBB1238_1275:                          ;   in Loop: Header=BB1238_1276 Depth=1
	s_or_b32 exec_lo, exec_lo, s28
	s_delay_alu instid0(SALU_CYCLE_1) | instskip(SKIP_4) | instid1(SALU_CYCLE_1)
	s_and_b32 s9, exec_lo, s27
	s_mov_b32 s28, s26
	s_or_b32 s23, s9, s23
	s_and_not1_b32 s9, s24, exec_lo
	s_and_b32 s24, s25, exec_lo
	s_or_b32 s24, s9, s24
	s_and_not1_b32 exec_lo, exec_lo, s23
	s_cbranch_execz .LBB1238_1290
.LBB1238_1276:                          ; =>This Inner Loop Header: Depth=1
	flat_load_u16 v31, v[54:55]
	flat_load_u16 v99, v[52:53]
	s_mov_b32 s27, -1
	s_mov_b32 s29, 0
	s_mov_b32 s26, -1
	s_mov_b32 s40, exec_lo
	s_wait_loadcnt_dscnt 0x0
	v_cmpx_nlt_f16_e32 v31, v99
; %bb.1277:                             ;   in Loop: Header=BB1238_1276 Depth=1
	v_cmp_ngt_f16_e64 s9, v31, v99
	s_and_b32 s26, s9, s28
	s_and_b32 s29, s9, exec_lo
	s_or_not1_b32 s26, s26, exec_lo
; %bb.1278:                             ;   in Loop: Header=BB1238_1276 Depth=1
	s_or_b32 exec_lo, exec_lo, s40
	s_delay_alu instid0(SALU_CYCLE_1) | instskip(SKIP_1) | instid1(SALU_CYCLE_1)
	s_and_not1_b32 s9, s25, exec_lo
	s_and_b32 s25, s26, exec_lo
	s_or_b32 s25, s9, s25
	s_and_saveexec_b32 s28, s29
	s_cbranch_execz .LBB1238_1275
; %bb.1279:                             ;   in Loop: Header=BB1238_1276 Depth=1
	v_add_nc_u64_e32 v[64:65], -1, v[64:65]
	v_add_nc_u64_e32 v[52:53], 2, v[52:53]
	v_add_nc_u64_e32 v[54:55], 2, v[54:55]
	s_and_not1_b32 s25, s25, exec_lo
	s_delay_alu instid0(VALU_DEP_3)
	v_cmp_eq_u64_e64 s9, 0, v[64:65]
	s_or_not1_b32 s27, s9, exec_lo
	s_branch .LBB1238_1275
.LBB1238_1280:
	s_or_b32 exec_lo, exec_lo, s16
	s_xor_b32 s1, s17, -1
	s_and_not1_b32 s13, s13, exec_lo
	s_and_b32 s1, s1, exec_lo
	s_delay_alu instid0(SALU_CYCLE_1)
	s_or_b32 s13, s13, s1
.LBB1238_1281:
	s_or_b32 exec_lo, exec_lo, s15
	s_delay_alu instid0(SALU_CYCLE_1)
	s_or_not1_b32 s13, s13, exec_lo
.LBB1238_1282:
	s_or_b32 exec_lo, exec_lo, s14
	v_dual_cndmask_b32 v36, v23, v50, s13 :: v_dual_cndmask_b32 v37, v86, v103, s13
	s_mov_b32 s14, exec_lo
	s_delay_alu instid0(VALU_DEP_1) | instskip(NEXT) | instid1(VALU_DEP_1)
	v_add_nc_u32_e32 v36, 1, v36
	v_add_min_u32_e64 v37, v37, -1, v36
	s_delay_alu instid0(VALU_DEP_1)
	v_lshl_add_u32 v37, v37, 3, v22
	ds_load_b64 v[38:39], v37
	s_wait_dscnt 0x0
	v_dual_cndmask_b32 v37, v39, v13, s13 :: v_dual_cndmask_b32 v87, v36, v23, s13
	v_cndmask_b32_e64 v85, v50, v36, s13
	v_dual_cndmask_b32 v36, v38, v12, s13 :: v_dual_cndmask_b32 v39, v35, v39, s13
	v_cndmask_b32_e64 v38, v34, v38, s13
	s_delay_alu instid0(VALU_DEP_4)
	v_cmpx_lt_u32_e64 v87, v86
	s_cbranch_execz .LBB1238_1302
; %bb.1283:
	v_cmp_lt_u32_e64 s12, v85, v103
	s_xor_b32 s1, s0, -1
	s_delay_alu instid0(SALU_CYCLE_1) | instskip(NEXT) | instid1(SALU_CYCLE_1)
	s_and_b32 s1, s12, s1
	s_and_saveexec_b32 s15, s1
	s_cbranch_execz .LBB1238_1301
; %bb.1284:
	v_mul_u64_e32 v[48:49], v[38:39], v[6:7]
	v_mul_u64_e32 v[50:51], v[36:37], v[6:7]
	v_mov_b64_e32 v[52:53], v[6:7]
	s_mov_b32 s16, 0
                                        ; implicit-def: $sgpr17
                                        ; implicit-def: $sgpr18
                                        ; implicit-def: $sgpr21
	s_delay_alu instid0(VALU_DEP_3) | instskip(NEXT) | instid1(VALU_DEP_3)
	v_lshl_add_u64 v[48:49], v[48:49], 1, v[8:9]
	v_lshl_add_u64 v[50:51], v[50:51], 1, v[8:9]
	s_branch .LBB1238_1286
.LBB1238_1285:                          ;   in Loop: Header=BB1238_1286 Depth=1
	s_or_b32 exec_lo, exec_lo, s21
	s_delay_alu instid0(SALU_CYCLE_1) | instskip(SKIP_4) | instid1(SALU_CYCLE_1)
	s_and_b32 s1, exec_lo, s20
	s_mov_b32 s21, s19
	s_or_b32 s16, s1, s16
	s_and_not1_b32 s1, s17, exec_lo
	s_and_b32 s17, s18, exec_lo
	s_or_b32 s17, s1, s17
	s_and_not1_b32 exec_lo, exec_lo, s16
	s_cbranch_execz .LBB1238_1300
.LBB1238_1286:                          ; =>This Inner Loop Header: Depth=1
	flat_load_u16 v23, v[50:51]
	flat_load_u16 v96, v[48:49]
	s_mov_b32 s20, -1
	s_mov_b32 s22, 0
	s_mov_b32 s19, -1
	s_mov_b32 s23, exec_lo
	s_wait_loadcnt_dscnt 0x0
	v_cmpx_nlt_f16_e32 v23, v96
; %bb.1287:                             ;   in Loop: Header=BB1238_1286 Depth=1
	v_cmp_ngt_f16_e64 s1, v23, v96
	s_and_b32 s19, s1, s21
	s_and_b32 s22, s1, exec_lo
	s_or_not1_b32 s19, s19, exec_lo
; %bb.1288:                             ;   in Loop: Header=BB1238_1286 Depth=1
	s_or_b32 exec_lo, exec_lo, s23
	s_delay_alu instid0(SALU_CYCLE_1) | instskip(SKIP_1) | instid1(SALU_CYCLE_1)
	s_and_not1_b32 s1, s18, exec_lo
	s_and_b32 s18, s19, exec_lo
	s_or_b32 s18, s1, s18
	s_and_saveexec_b32 s21, s22
	s_cbranch_execz .LBB1238_1285
; %bb.1289:                             ;   in Loop: Header=BB1238_1286 Depth=1
	v_add_nc_u64_e32 v[52:53], -1, v[52:53]
	v_add_nc_u64_e32 v[48:49], 2, v[48:49]
	v_add_nc_u64_e32 v[50:51], 2, v[50:51]
	s_and_not1_b32 s18, s18, exec_lo
	s_delay_alu instid0(VALU_DEP_3)
	v_cmp_eq_u64_e64 s1, 0, v[52:53]
	s_or_not1_b32 s20, s1, exec_lo
	s_branch .LBB1238_1285
.LBB1238_1290:
	s_or_b32 exec_lo, exec_lo, s23
	s_xor_b32 s9, s24, -1
	s_and_not1_b32 s19, s19, exec_lo
	s_and_b32 s9, s9, exec_lo
	s_delay_alu instid0(SALU_CYCLE_1)
	s_or_b32 s19, s19, s9
.LBB1238_1291:
	s_or_b32 exec_lo, exec_lo, s22
	s_delay_alu instid0(SALU_CYCLE_1)
	s_or_not1_b32 s19, s19, exec_lo
.LBB1238_1292:
	s_or_b32 exec_lo, exec_lo, s21
	v_dual_cndmask_b32 v31, v98, v96, s19 :: v_dual_cndmask_b32 v53, v97, v114, s19
	v_dual_cndmask_b32 v17, v17, v39, s20 :: v_dual_cndmask_b32 v15, v15, v37, s18
	;; [unrolled: 1-line block ×3, first 2 shown]
	s_delay_alu instid0(VALU_DEP_3) | instskip(SKIP_2) | instid1(VALU_DEP_3)
	v_dual_add_nc_u32 v52, 1, v31 :: v_dual_cndmask_b32 v16, v16, v38, s20
	v_dual_cndmask_b32 v20, v20, v34, s17 :: v_dual_cndmask_b32 v19, v19, v33, s16
	v_dual_cndmask_b32 v18, v18, v32, s16 :: v_dual_cndmask_b32 v25, v23, v25, s11
	v_add_min_u32_e64 v31, v53, -1, v52
	v_dual_cndmask_b32 v24, v22, v24, s11 :: v_dual_cndmask_b32 v23, v13, v11, s10
	v_dual_cndmask_b32 v22, v12, v10, s10 :: v_dual_cndmask_b32 v11, v49, v51, s19
	s_delay_alu instid0(VALU_DEP_3)
	v_lshl_add_u32 v30, v31, 3, v30
	v_cndmask_b32_e64 v10, v48, v50, s19
	s_mov_b32 s10, exec_lo
	ds_load_b64 v[30:31], v30
	s_wait_dscnt 0x0
	v_dual_cndmask_b32 v32, v52, v98, s19 :: v_dual_cndmask_b32 v13, v51, v31, s19
	v_cndmask_b32_e64 v12, v50, v30, s19
	s_delay_alu instid0(VALU_DEP_2)
	v_cmpx_lt_u32_e64 v32, v97
	s_cbranch_execz .LBB1238_1312
; %bb.1293:
	v_dual_cndmask_b32 v32, v96, v52, s19 :: v_dual_cndmask_b32 v31, v31, v49, s19
	s_delay_alu instid0(VALU_DEP_1) | instskip(NEXT) | instid1(VALU_DEP_1)
	v_cmp_ge_u32_e64 s9, v32, v114
	v_dual_cndmask_b32 v30, v30, v48, s19 :: v_dual_cndmask_b32 v33, v13, v31, s9
	s_delay_alu instid0(VALU_DEP_1) | instskip(SKIP_1) | instid1(SALU_CYCLE_1)
	v_cndmask_b32_e64 v32, v12, v30, s9
	s_nor_b32 s9, s9, s8
	s_and_saveexec_b32 s11, s9
	s_cbranch_execz .LBB1238_1311
; %bb.1294:
	v_mul_u64_e32 v[32:33], v[12:13], v[6:7]
	v_mul_u64_e32 v[34:35], v[30:31], v[6:7]
	v_mov_b64_e32 v[36:37], v[6:7]
	s_mov_b32 s16, 0
                                        ; implicit-def: $sgpr17
                                        ; implicit-def: $sgpr18
                                        ; implicit-def: $sgpr21
	s_delay_alu instid0(VALU_DEP_3) | instskip(NEXT) | instid1(VALU_DEP_3)
	v_lshl_add_u64 v[32:33], v[32:33], 1, v[8:9]
	v_lshl_add_u64 v[34:35], v[34:35], 1, v[8:9]
	s_branch .LBB1238_1296
.LBB1238_1295:                          ;   in Loop: Header=BB1238_1296 Depth=1
	s_or_b32 exec_lo, exec_lo, s21
	s_delay_alu instid0(SALU_CYCLE_1) | instskip(SKIP_4) | instid1(SALU_CYCLE_1)
	s_and_b32 s9, exec_lo, s20
	s_mov_b32 s21, s19
	s_or_b32 s16, s9, s16
	s_and_not1_b32 s9, s17, exec_lo
	s_and_b32 s17, s18, exec_lo
	s_or_b32 s17, s9, s17
	s_and_not1_b32 exec_lo, exec_lo, s16
	s_cbranch_execz .LBB1238_1310
.LBB1238_1296:                          ; =>This Inner Loop Header: Depth=1
	flat_load_u16 v38, v[34:35]
	flat_load_u16 v39, v[32:33]
	s_mov_b32 s20, -1
	s_mov_b32 s22, 0
	s_mov_b32 s19, -1
	s_mov_b32 s23, exec_lo
	s_wait_loadcnt_dscnt 0x0
	v_cmpx_nlt_f16_e32 v38, v39
; %bb.1297:                             ;   in Loop: Header=BB1238_1296 Depth=1
	v_cmp_ngt_f16_e64 s9, v38, v39
	s_and_b32 s19, s9, s21
	s_and_b32 s22, s9, exec_lo
	s_or_not1_b32 s19, s19, exec_lo
; %bb.1298:                             ;   in Loop: Header=BB1238_1296 Depth=1
	s_or_b32 exec_lo, exec_lo, s23
	s_delay_alu instid0(SALU_CYCLE_1) | instskip(SKIP_1) | instid1(SALU_CYCLE_1)
	s_and_not1_b32 s9, s18, exec_lo
	s_and_b32 s18, s19, exec_lo
	s_or_b32 s18, s9, s18
	s_and_saveexec_b32 s21, s22
	s_cbranch_execz .LBB1238_1295
; %bb.1299:                             ;   in Loop: Header=BB1238_1296 Depth=1
	v_add_nc_u64_e32 v[36:37], -1, v[36:37]
	v_add_nc_u64_e32 v[32:33], 2, v[32:33]
	v_add_nc_u64_e32 v[34:35], 2, v[34:35]
	s_and_not1_b32 s18, s18, exec_lo
	s_delay_alu instid0(VALU_DEP_3)
	v_cmp_eq_u64_e64 s9, 0, v[36:37]
	s_or_not1_b32 s20, s9, exec_lo
	s_branch .LBB1238_1295
.LBB1238_1300:
	s_or_b32 exec_lo, exec_lo, s16
	s_xor_b32 s1, s17, -1
	s_and_not1_b32 s12, s12, exec_lo
	s_and_b32 s1, s1, exec_lo
	s_delay_alu instid0(SALU_CYCLE_1)
	s_or_b32 s12, s12, s1
.LBB1238_1301:
	s_or_b32 exec_lo, exec_lo, s15
	s_delay_alu instid0(SALU_CYCLE_1)
	s_or_not1_b32 s12, s12, exec_lo
.LBB1238_1302:
	s_or_b32 exec_lo, exec_lo, s14
	v_dual_cndmask_b32 v23, v87, v85, s12 :: v_dual_cndmask_b32 v49, v86, v103, s12
	v_dual_cndmask_b32 v13, v13, v35, s13 :: v_dual_cndmask_b32 v11, v11, v33, s11
	;; [unrolled: 1-line block ×3, first 2 shown]
	s_delay_alu instid0(VALU_DEP_3) | instskip(SKIP_2) | instid1(VALU_DEP_3)
	v_dual_add_nc_u32 v48, 1, v23 :: v_dual_cndmask_b32 v12, v12, v34, s13
	v_dual_cndmask_b32 v16, v16, v30, s7 :: v_dual_cndmask_b32 v15, v15, v25, s6
	v_dual_cndmask_b32 v14, v14, v24, s6 :: v_dual_cndmask_b32 v21, v19, v21, s3
	v_add_min_u32_e64 v23, v49, -1, v48
	v_dual_cndmask_b32 v20, v18, v20, s3 :: v_dual_cndmask_b32 v19, v3, v1, s2
	v_dual_cndmask_b32 v18, v2, v0, s2 :: v_dual_cndmask_b32 v24, v48, v87, s12
	s_delay_alu instid0(VALU_DEP_3)
	v_lshl_add_u32 v22, v23, 3, v22
	v_dual_cndmask_b32 v1, v37, v39, s12 :: v_dual_cndmask_b32 v0, v36, v38, s12
	s_mov_b32 s2, exec_lo
	ds_load_b64 v[22:23], v22
	s_wait_dscnt 0x0
	v_dual_cndmask_b32 v3, v39, v23, s12 :: v_dual_cndmask_b32 v2, v38, v22, s12
	v_cmpx_lt_u32_e64 v24, v86
	s_cbranch_execz .LBB1238_1431
; %bb.1303:
	v_dual_cndmask_b32 v24, v85, v48, s12 :: v_dual_cndmask_b32 v23, v23, v37, s12
	s_delay_alu instid0(VALU_DEP_1) | instskip(NEXT) | instid1(VALU_DEP_1)
	v_cmp_ge_u32_e64 s1, v24, v103
	v_dual_cndmask_b32 v22, v22, v36, s12 :: v_dual_cndmask_b32 v25, v3, v23, s1
	s_delay_alu instid0(VALU_DEP_1) | instskip(SKIP_1) | instid1(SALU_CYCLE_1)
	v_cndmask_b32_e64 v24, v2, v22, s1
	s_nor_b32 s1, s1, s0
	s_and_saveexec_b32 s3, s1
	s_cbranch_execz .LBB1238_1430
; %bb.1304:
	v_mul_u64_e32 v[24:25], v[2:3], v[6:7]
	v_mul_u64_e32 v[30:31], v[22:23], v[6:7]
	v_mov_b64_e32 v[32:33], v[6:7]
	s_mov_b32 s6, 0
                                        ; implicit-def: $sgpr7
                                        ; implicit-def: $sgpr11
                                        ; implicit-def: $sgpr14
	s_delay_alu instid0(VALU_DEP_3) | instskip(NEXT) | instid1(VALU_DEP_3)
	v_lshl_add_u64 v[24:25], v[24:25], 1, v[8:9]
	v_lshl_add_u64 v[30:31], v[30:31], 1, v[8:9]
	s_branch .LBB1238_1306
.LBB1238_1305:                          ;   in Loop: Header=BB1238_1306 Depth=1
	s_or_b32 exec_lo, exec_lo, s14
	s_delay_alu instid0(SALU_CYCLE_1) | instskip(SKIP_4) | instid1(SALU_CYCLE_1)
	s_and_b32 s1, exec_lo, s13
	s_mov_b32 s14, s12
	s_or_b32 s6, s1, s6
	s_and_not1_b32 s1, s7, exec_lo
	s_and_b32 s7, s11, exec_lo
	s_or_b32 s7, s1, s7
	s_and_not1_b32 exec_lo, exec_lo, s6
	s_cbranch_execz .LBB1238_1429
.LBB1238_1306:                          ; =>This Inner Loop Header: Depth=1
	flat_load_u16 v34, v[30:31]
	flat_load_u16 v35, v[24:25]
	s_mov_b32 s13, -1
	s_mov_b32 s15, 0
	s_mov_b32 s12, -1
	s_mov_b32 s16, exec_lo
	s_wait_loadcnt_dscnt 0x0
	v_cmpx_nlt_f16_e32 v34, v35
; %bb.1307:                             ;   in Loop: Header=BB1238_1306 Depth=1
	v_cmp_ngt_f16_e64 s1, v34, v35
	s_and_b32 s12, s1, s14
	s_and_b32 s15, s1, exec_lo
	s_or_not1_b32 s12, s12, exec_lo
; %bb.1308:                             ;   in Loop: Header=BB1238_1306 Depth=1
	s_or_b32 exec_lo, exec_lo, s16
	s_delay_alu instid0(SALU_CYCLE_1) | instskip(SKIP_1) | instid1(SALU_CYCLE_1)
	s_and_not1_b32 s1, s11, exec_lo
	s_and_b32 s11, s12, exec_lo
	s_or_b32 s11, s1, s11
	s_and_saveexec_b32 s14, s15
	s_cbranch_execz .LBB1238_1305
; %bb.1309:                             ;   in Loop: Header=BB1238_1306 Depth=1
	v_add_nc_u64_e32 v[32:33], -1, v[32:33]
	v_add_nc_u64_e32 v[24:25], 2, v[24:25]
	v_add_nc_u64_e32 v[30:31], 2, v[30:31]
	s_and_not1_b32 s11, s11, exec_lo
	s_delay_alu instid0(VALU_DEP_3)
	v_cmp_eq_u64_e64 s1, 0, v[32:33]
	s_or_not1_b32 s13, s1, exec_lo
	s_branch .LBB1238_1305
.LBB1238_1310:
	s_or_b32 exec_lo, exec_lo, s16
	v_dual_cndmask_b32 v33, v13, v31, s17 :: v_dual_cndmask_b32 v32, v12, v30, s17
.LBB1238_1311:
	s_or_b32 exec_lo, exec_lo, s11
	s_delay_alu instid0(VALU_DEP_1)
	v_mov_b64_e32 v[12:13], v[32:33]
.LBB1238_1312:
	s_or_b32 exec_lo, exec_lo, s10
.LBB1238_1313:
	s_delay_alu instid0(SALU_CYCLE_1)
	s_or_b32 exec_lo, exec_lo, s15
	s_movk_i32 s16, 0x80
	s_mov_b32 s15, exec_lo
	; wave barrier
	s_wait_dscnt 0x0
	s_barrier_signal -1
	s_barrier_wait -1
	v_cmpx_lt_u32_e32 0x80, v0
	s_cbranch_execz .LBB1238_1413
; %bb.1314:
	v_dual_lshlrev_b32 v33, 3, v28 :: v_dual_mov_b32 v31, 0
	s_mov_b32 s17, 0
	s_delay_alu instid0(VALU_DEP_1)
	v_dual_add_nc_u32 v50, 8, v33 :: v_dual_add_nc_u32 v51, 16, v33
	v_dual_add_nc_u32 v52, 24, v33 :: v_dual_add_nc_u32 v53, 32, v33
	;; [unrolled: 1-line block ×3, first 2 shown]
	v_add_nc_u32_e32 v64, 56, v33
	s_branch .LBB1238_1319
.LBB1238_1315:                          ;   in Loop: Header=BB1238_1319 Depth=1
	s_or_b32 exec_lo, exec_lo, s26
	v_dual_cndmask_b32 v15, v13, v65, s27 :: v_dual_cndmask_b32 v14, v12, v115, s27
.LBB1238_1316:                          ;   in Loop: Header=BB1238_1319 Depth=1
	s_or_b32 exec_lo, exec_lo, s25
	s_delay_alu instid0(VALU_DEP_1)
	v_mov_b64_e32 v[12:13], v[14:15]
.LBB1238_1317:                          ;   in Loop: Header=BB1238_1319 Depth=1
	s_or_b32 exec_lo, exec_lo, s24
	v_dual_cndmask_b32 v17, v99, v101, s23 :: v_dual_cndmask_b32 v16, v100, v102, s23
	v_dual_cndmask_b32 v15, v49, v97, s21 :: v_dual_cndmask_b32 v14, v96, v98, s21
	;; [unrolled: 1-line block ×6, first 2 shown]
	v_cndmask_b32_e64 v22, v22, v10, s10
	v_cndmask_b32_e64 v10, v112, v114, s22
.LBB1238_1318:                          ;   in Loop: Header=BB1238_1319 Depth=1
	s_or_b32 exec_lo, exec_lo, s18
	v_cmp_ge_u32_e64 s9, s16, v0
	s_barrier_signal -1
	s_barrier_wait -1
	s_or_b32 s17, s9, s17
	s_delay_alu instid0(SALU_CYCLE_1)
	s_and_not1_b32 exec_lo, exec_lo, s17
	s_cbranch_execz .LBB1238_1412
.LBB1238_1319:                          ; =>This Loop Header: Depth=1
                                        ;     Child Loop BB1238_1323 Depth 2
                                        ;       Child Loop BB1238_1326 Depth 3
                                        ;     Child Loop BB1238_1339 Depth 2
                                        ;     Child Loop BB1238_1348 Depth 2
	;; [unrolled: 1-line block ×8, first 2 shown]
	s_mov_b32 s9, s16
	s_lshl_b32 s16, s16, 1
	s_mov_b32 s18, exec_lo
	s_sub_co_i32 s10, 0, s16
	ds_store_b64 v33, v[22:23]
	v_and_b32_e32 v96, s10, v28
	s_add_co_i32 s10, s16, -1
	ds_store_b64 v50, v[24:25]
	ds_store_b64 v51, v[18:19]
	;; [unrolled: 1-line block ×3, first 2 shown]
	v_and_b32_e32 v32, s10, v28
	ds_store_b64 v53, v[14:15]
	ds_store_b64 v54, v[16:17]
	;; [unrolled: 1-line block ×4, first 2 shown]
	v_add_min_u32_e64 v30, v96, s9, v0
	s_wait_dscnt 0x0
	s_barrier_signal -1
	v_min_u32_e32 v97, v32, v0
	s_barrier_wait -1
	v_add_min_u32_e64 v65, v30, s9, v0
	s_delay_alu instid0(VALU_DEP_1) | instskip(NEXT) | instid1(VALU_DEP_1)
	v_dual_sub_nc_u32 v32, v65, v30 :: v_dual_sub_nc_u32 v34, v30, v96
	v_sub_nc_u32_e64 v98, v97, v32 clamp
	s_delay_alu instid0(VALU_DEP_2) | instskip(NEXT) | instid1(VALU_DEP_1)
	v_min_u32_e32 v99, v97, v34
	v_cmpx_lt_u32_e64 v98, v99
	s_cbranch_execz .LBB1238_1331
; %bb.1320:                             ;   in Loop: Header=BB1238_1319 Depth=1
	s_mov_b64 s[10:11], src_shared_base
	s_mov_b32 s10, 0
	v_lshlrev_b32_e32 v32, 3, v96
	v_lshl_add_u64 v[34:35], v[30:31], 3, s[10:11]
	s_branch .LBB1238_1323
.LBB1238_1321:                          ;   in Loop: Header=BB1238_1323 Depth=2
	s_or_b32 exec_lo, exec_lo, s19
	s_delay_alu instid0(SALU_CYCLE_1)
	s_and_b32 s9, s20, exec_lo
.LBB1238_1322:                          ;   in Loop: Header=BB1238_1323 Depth=2
	s_or_b32 exec_lo, exec_lo, s11
	s_delay_alu instid0(VALU_DEP_1) | instskip(NEXT) | instid1(VALU_DEP_1)
	v_dual_add_nc_u32 v36, 1, v35 :: v_dual_cndmask_b32 v99, v99, v35, s9
	v_cndmask_b32_e64 v98, v36, v98, s9
	s_delay_alu instid0(VALU_DEP_1) | instskip(SKIP_1) | instid1(SALU_CYCLE_1)
	v_cmp_ge_u32_e64 s9, v98, v99
	s_or_b32 s10, s9, s10
	s_and_not1_b32 exec_lo, exec_lo, s10
	s_cbranch_execz .LBB1238_1330
.LBB1238_1323:                          ;   Parent Loop BB1238_1319 Depth=1
                                        ; =>  This Loop Header: Depth=2
                                        ;       Child Loop BB1238_1326 Depth 3
	v_add_nc_u32_e32 v35, v99, v98
	s_mov_b32 s9, 0
	s_delay_alu instid0(VALU_DEP_1)
	v_lshrrev_b32_e32 v35, 1, v35
	s_and_saveexec_b32 s11, s7
	s_cbranch_execz .LBB1238_1322
; %bb.1324:                             ;   in Loop: Header=BB1238_1323 Depth=2
	s_delay_alu instid0(VALU_DEP_1) | instskip(SKIP_2) | instid1(VALU_DEP_2)
	v_xad_u32 v36, v35, -1, v97
	v_lshl_add_u32 v37, v35, 3, v32
	s_mov_b32 s19, 0
                                        ; implicit-def: $sgpr20
                                        ; implicit-def: $sgpr21
                                        ; implicit-def: $sgpr24
	v_lshl_add_u32 v36, v36, 3, v34
	ds_load_b64 v[48:49], v37
	ds_load_b64 v[100:101], v36
	s_wait_dscnt 0x1
	v_mad_nc_u64_u32 v[36:37], v2, v48, v[8:9]
	s_wait_dscnt 0x0
	v_mad_nc_u64_u32 v[38:39], v2, v100, v[8:9]
	s_delay_alu instid0(VALU_DEP_2) | instskip(NEXT) | instid1(VALU_DEP_2)
	v_mad_u32 v37, v3, v48, v37
	v_mad_u32 v39, v3, v100, v39
	s_delay_alu instid0(VALU_DEP_2) | instskip(NEXT) | instid1(VALU_DEP_2)
	v_mad_u32 v37, v2, v49, v37
	v_mad_u32 v39, v2, v101, v39
	v_mov_b64_e32 v[48:49], v[6:7]
	s_branch .LBB1238_1326
.LBB1238_1325:                          ;   in Loop: Header=BB1238_1326 Depth=3
	s_or_b32 exec_lo, exec_lo, s24
	s_delay_alu instid0(SALU_CYCLE_1) | instskip(SKIP_4) | instid1(SALU_CYCLE_1)
	s_and_b32 s9, exec_lo, s23
	s_mov_b32 s24, s22
	s_or_b32 s19, s9, s19
	s_and_not1_b32 s9, s20, exec_lo
	s_and_b32 s20, s21, exec_lo
	s_or_b32 s20, s9, s20
	s_and_not1_b32 exec_lo, exec_lo, s19
	s_cbranch_execz .LBB1238_1321
.LBB1238_1326:                          ;   Parent Loop BB1238_1319 Depth=1
                                        ;     Parent Loop BB1238_1323 Depth=2
                                        ; =>    This Inner Loop Header: Depth=3
	flat_load_u16 v100, v[38:39]
	flat_load_u16 v101, v[36:37]
	s_mov_b32 s23, -1
	s_mov_b32 s25, 0
	s_mov_b32 s22, -1
	s_mov_b32 s26, exec_lo
	s_wait_loadcnt_dscnt 0x0
	v_cmpx_nlt_f16_e32 v100, v101
; %bb.1327:                             ;   in Loop: Header=BB1238_1326 Depth=3
	v_cmp_ngt_f16_e64 s9, v100, v101
	s_and_b32 s22, s9, s24
	s_and_b32 s25, s9, exec_lo
	s_or_not1_b32 s22, s22, exec_lo
; %bb.1328:                             ;   in Loop: Header=BB1238_1326 Depth=3
	s_or_b32 exec_lo, exec_lo, s26
	s_delay_alu instid0(SALU_CYCLE_1) | instskip(SKIP_1) | instid1(SALU_CYCLE_1)
	s_and_not1_b32 s9, s21, exec_lo
	s_and_b32 s21, s22, exec_lo
	s_or_b32 s21, s9, s21
	s_and_saveexec_b32 s24, s25
	s_cbranch_execz .LBB1238_1325
; %bb.1329:                             ;   in Loop: Header=BB1238_1326 Depth=3
	v_add_nc_u64_e32 v[48:49], -1, v[48:49]
	v_add_nc_u64_e32 v[36:37], 2, v[36:37]
	v_add_nc_u64_e32 v[38:39], 2, v[38:39]
	s_and_not1_b32 s21, s21, exec_lo
	s_delay_alu instid0(VALU_DEP_3)
	v_cmp_eq_u64_e64 s9, 0, v[48:49]
	s_or_not1_b32 s23, s9, exec_lo
	s_branch .LBB1238_1325
.LBB1238_1330:                          ;   in Loop: Header=BB1238_1319 Depth=1
	s_or_b32 exec_lo, exec_lo, s10
.LBB1238_1331:                          ;   in Loop: Header=BB1238_1319 Depth=1
	s_delay_alu instid0(SALU_CYCLE_1) | instskip(SKIP_1) | instid1(VALU_DEP_1)
	s_or_b32 exec_lo, exec_lo, s18
	v_dual_sub_nc_u32 v34, v97, v98 :: v_dual_add_nc_u32 v32, v98, v96
	v_add_nc_u32_e32 v34, v34, v30
	s_delay_alu instid0(VALU_DEP_2) | instskip(NEXT) | instid1(VALU_DEP_2)
	v_cmp_le_u32_e64 s9, v32, v30
	v_cmp_le_u32_e64 s10, v34, v65
	s_or_b32 s9, s9, s10
	s_delay_alu instid0(SALU_CYCLE_1)
	s_and_saveexec_b32 s18, s9
	s_cbranch_execz .LBB1238_1318
; %bb.1332:                             ;   in Loop: Header=BB1238_1319 Depth=1
	v_cmp_ge_u32_e64 s9, v32, v30
	s_mov_b32 s11, exec_lo
                                        ; implicit-def: $vgpr10_vgpr11
	v_cmpx_lt_u32_e64 v32, v30
; %bb.1333:                             ;   in Loop: Header=BB1238_1319 Depth=1
	v_lshlrev_b32_e32 v10, 3, v32
	ds_load_b64 v[10:11], v10
; %bb.1334:                             ;   in Loop: Header=BB1238_1319 Depth=1
	s_or_b32 exec_lo, exec_lo, s11
	v_cmp_ge_u32_e64 s10, v34, v65
	s_mov_b32 s19, exec_lo
                                        ; implicit-def: $vgpr22_vgpr23
	v_cmpx_lt_u32_e64 v34, v65
; %bb.1335:                             ;   in Loop: Header=BB1238_1319 Depth=1
	v_lshlrev_b32_e32 v12, 3, v34
	ds_load_b64 v[22:23], v12
; %bb.1336:                             ;   in Loop: Header=BB1238_1319 Depth=1
	s_or_b32 exec_lo, exec_lo, s19
	s_or_b32 s11, s9, s10
	s_xor_b32 s9, s9, -1
	s_nor_b32 s19, s11, s8
	s_or_b32 s10, s10, s9
	s_and_saveexec_b32 s11, s19
	s_cbranch_execz .LBB1238_1344
; %bb.1337:                             ;   in Loop: Header=BB1238_1319 Depth=1
	s_wait_dscnt 0x0
	v_mad_nc_u64_u32 v[12:13], v2, v10, v[8:9]
	v_mad_nc_u64_u32 v[14:15], v2, v22, v[8:9]
	v_mov_b64_e32 v[16:17], v[6:7]
	s_mov_b32 s19, 0
                                        ; implicit-def: $sgpr20
                                        ; implicit-def: $sgpr21
                                        ; implicit-def: $sgpr24
	s_delay_alu instid0(VALU_DEP_3) | instskip(NEXT) | instid1(VALU_DEP_3)
	v_mad_u32 v13, v3, v10, v13
	v_mad_u32 v15, v3, v22, v15
	s_delay_alu instid0(VALU_DEP_2) | instskip(NEXT) | instid1(VALU_DEP_2)
	v_mad_u32 v13, v2, v11, v13
	v_mad_u32 v15, v2, v23, v15
	s_branch .LBB1238_1339
.LBB1238_1338:                          ;   in Loop: Header=BB1238_1339 Depth=2
	s_or_b32 exec_lo, exec_lo, s24
	s_delay_alu instid0(SALU_CYCLE_1) | instskip(SKIP_4) | instid1(SALU_CYCLE_1)
	s_and_b32 s9, exec_lo, s23
	s_mov_b32 s24, s22
	s_or_b32 s19, s9, s19
	s_and_not1_b32 s9, s20, exec_lo
	s_and_b32 s20, s21, exec_lo
	s_or_b32 s20, s9, s20
	s_and_not1_b32 exec_lo, exec_lo, s19
	s_cbranch_execz .LBB1238_1343
.LBB1238_1339:                          ;   Parent Loop BB1238_1319 Depth=1
                                        ; =>  This Inner Loop Header: Depth=2
	flat_load_u16 v18, v[14:15]
	flat_load_u16 v19, v[12:13]
	s_mov_b32 s23, -1
	s_mov_b32 s25, 0
	s_mov_b32 s22, -1
	s_mov_b32 s26, exec_lo
	s_wait_loadcnt_dscnt 0x0
	v_cmpx_nlt_f16_e32 v18, v19
; %bb.1340:                             ;   in Loop: Header=BB1238_1339 Depth=2
	v_cmp_ngt_f16_e64 s9, v18, v19
	s_and_b32 s22, s9, s24
	s_and_b32 s25, s9, exec_lo
	s_or_not1_b32 s22, s22, exec_lo
; %bb.1341:                             ;   in Loop: Header=BB1238_1339 Depth=2
	s_or_b32 exec_lo, exec_lo, s26
	s_delay_alu instid0(SALU_CYCLE_1) | instskip(SKIP_1) | instid1(SALU_CYCLE_1)
	s_and_not1_b32 s9, s21, exec_lo
	s_and_b32 s21, s22, exec_lo
	s_or_b32 s21, s9, s21
	s_and_saveexec_b32 s24, s25
	s_cbranch_execz .LBB1238_1338
; %bb.1342:                             ;   in Loop: Header=BB1238_1339 Depth=2
	v_add_nc_u64_e32 v[16:17], -1, v[16:17]
	v_add_nc_u64_e32 v[12:13], 2, v[12:13]
	v_add_nc_u64_e32 v[14:15], 2, v[14:15]
	s_and_not1_b32 s21, s21, exec_lo
	s_delay_alu instid0(VALU_DEP_3)
	v_cmp_eq_u64_e64 s9, 0, v[16:17]
	s_or_not1_b32 s23, s9, exec_lo
	s_branch .LBB1238_1338
.LBB1238_1343:                          ;   in Loop: Header=BB1238_1319 Depth=1
	s_or_b32 exec_lo, exec_lo, s19
	s_xor_b32 s9, s20, -1
	s_and_not1_b32 s10, s10, exec_lo
	s_and_b32 s9, s9, exec_lo
	s_delay_alu instid0(SALU_CYCLE_1)
	s_or_b32 s10, s10, s9
.LBB1238_1344:                          ;   in Loop: Header=BB1238_1319 Depth=1
	s_or_b32 exec_lo, exec_lo, s11
	v_dual_cndmask_b32 v12, v34, v32, s10 :: v_dual_cndmask_b32 v13, v65, v30, s10
	s_mov_b32 s19, -1
	s_mov_b32 s11, -1
	s_mov_b32 s20, exec_lo
	s_delay_alu instid0(VALU_DEP_1) | instskip(NEXT) | instid1(VALU_DEP_1)
	v_add_nc_u32_e32 v14, 1, v12
	v_add_min_u32_e64 v12, v13, -1, v14
	s_delay_alu instid0(VALU_DEP_1)
	v_lshlrev_b32_e32 v12, 3, v12
	ds_load_b64 v[12:13], v12
	v_cndmask_b32_e64 v18, v14, v34, s10
	s_wait_dscnt 0x0
	v_dual_cndmask_b32 v19, v32, v14, s10 :: v_dual_cndmask_b32 v25, v11, v13, s10
	v_dual_cndmask_b32 v24, v13, v23, s10 :: v_dual_cndmask_b32 v32, v12, v22, s10
	v_cndmask_b32_e64 v34, v10, v12, s10
	v_cmpx_lt_u32_e64 v18, v65
	s_cbranch_execz .LBB1238_1354
; %bb.1345:                             ;   in Loop: Header=BB1238_1319 Depth=1
	v_cmp_lt_u32_e64 s11, v19, v30
	s_and_b32 s9, s11, s14
	s_delay_alu instid0(SALU_CYCLE_1)
	s_and_saveexec_b32 s21, s9
	s_cbranch_execz .LBB1238_1353
; %bb.1346:                             ;   in Loop: Header=BB1238_1319 Depth=1
	v_mad_nc_u64_u32 v[12:13], v2, v34, v[8:9]
	v_mad_nc_u64_u32 v[14:15], v2, v32, v[8:9]
	v_mov_b64_e32 v[16:17], v[6:7]
	s_mov_b32 s22, 0
                                        ; implicit-def: $sgpr23
                                        ; implicit-def: $sgpr24
                                        ; implicit-def: $sgpr27
	s_delay_alu instid0(VALU_DEP_3) | instskip(NEXT) | instid1(VALU_DEP_3)
	v_mad_u32 v13, v3, v34, v13
	v_mad_u32 v15, v3, v32, v15
	s_delay_alu instid0(VALU_DEP_2) | instskip(NEXT) | instid1(VALU_DEP_2)
	v_mad_u32 v13, v2, v25, v13
	v_mad_u32 v15, v2, v24, v15
	s_branch .LBB1238_1348
.LBB1238_1347:                          ;   in Loop: Header=BB1238_1348 Depth=2
	s_or_b32 exec_lo, exec_lo, s27
	s_delay_alu instid0(SALU_CYCLE_1) | instskip(SKIP_4) | instid1(SALU_CYCLE_1)
	s_and_b32 s9, exec_lo, s26
	s_mov_b32 s27, s25
	s_or_b32 s22, s9, s22
	s_and_not1_b32 s9, s23, exec_lo
	s_and_b32 s23, s24, exec_lo
	s_or_b32 s23, s9, s23
	s_and_not1_b32 exec_lo, exec_lo, s22
	s_cbranch_execz .LBB1238_1352
.LBB1238_1348:                          ;   Parent Loop BB1238_1319 Depth=1
                                        ; =>  This Inner Loop Header: Depth=2
	flat_load_u16 v20, v[14:15]
	flat_load_u16 v21, v[12:13]
	s_mov_b32 s26, -1
	s_mov_b32 s28, 0
	s_mov_b32 s25, -1
	s_mov_b32 s29, exec_lo
	s_wait_loadcnt_dscnt 0x0
	v_cmpx_nlt_f16_e32 v20, v21
; %bb.1349:                             ;   in Loop: Header=BB1238_1348 Depth=2
	v_cmp_ngt_f16_e64 s9, v20, v21
	s_and_b32 s25, s9, s27
	s_and_b32 s28, s9, exec_lo
	s_or_not1_b32 s25, s25, exec_lo
; %bb.1350:                             ;   in Loop: Header=BB1238_1348 Depth=2
	s_or_b32 exec_lo, exec_lo, s29
	s_delay_alu instid0(SALU_CYCLE_1) | instskip(SKIP_1) | instid1(SALU_CYCLE_1)
	s_and_not1_b32 s9, s24, exec_lo
	s_and_b32 s24, s25, exec_lo
	s_or_b32 s24, s9, s24
	s_and_saveexec_b32 s27, s28
	s_cbranch_execz .LBB1238_1347
; %bb.1351:                             ;   in Loop: Header=BB1238_1348 Depth=2
	v_add_nc_u64_e32 v[16:17], -1, v[16:17]
	v_add_nc_u64_e32 v[12:13], 2, v[12:13]
	v_add_nc_u64_e32 v[14:15], 2, v[14:15]
	s_and_not1_b32 s24, s24, exec_lo
	s_delay_alu instid0(VALU_DEP_3)
	v_cmp_eq_u64_e64 s9, 0, v[16:17]
	s_or_not1_b32 s26, s9, exec_lo
	s_branch .LBB1238_1347
.LBB1238_1352:                          ;   in Loop: Header=BB1238_1319 Depth=1
	s_or_b32 exec_lo, exec_lo, s22
	s_xor_b32 s9, s23, -1
	s_and_not1_b32 s11, s11, exec_lo
	s_and_b32 s9, s9, exec_lo
	s_delay_alu instid0(SALU_CYCLE_1)
	s_or_b32 s11, s11, s9
.LBB1238_1353:                          ;   in Loop: Header=BB1238_1319 Depth=1
	s_or_b32 exec_lo, exec_lo, s21
	s_delay_alu instid0(SALU_CYCLE_1)
	s_or_not1_b32 s11, s11, exec_lo
.LBB1238_1354:                          ;   in Loop: Header=BB1238_1319 Depth=1
	s_or_b32 exec_lo, exec_lo, s20
	v_dual_cndmask_b32 v12, v18, v19, s11 :: v_dual_cndmask_b32 v13, v65, v30, s11
	s_mov_b32 s20, exec_lo
	s_delay_alu instid0(VALU_DEP_1) | instskip(NEXT) | instid1(VALU_DEP_1)
	v_add_nc_u32_e32 v14, 1, v12
	v_add_min_u32_e64 v12, v13, -1, v14
	s_delay_alu instid0(VALU_DEP_1)
	v_lshlrev_b32_e32 v12, 3, v12
	ds_load_b64 v[12:13], v12
	v_cndmask_b32_e64 v18, v14, v18, s11
	s_wait_dscnt 0x0
	v_dual_cndmask_b32 v19, v19, v14, s11 :: v_dual_cndmask_b32 v36, v12, v32, s11
	v_cndmask_b32_e64 v35, v13, v24, s11
	v_dual_cndmask_b32 v37, v25, v13, s11 :: v_dual_cndmask_b32 v38, v34, v12, s11
	v_cmpx_lt_u32_e64 v18, v65
	s_cbranch_execz .LBB1238_1364
; %bb.1355:                             ;   in Loop: Header=BB1238_1319 Depth=1
	v_cmp_lt_u32_e64 s19, v19, v30
	s_and_b32 s9, s19, s14
	s_delay_alu instid0(SALU_CYCLE_1)
	s_and_saveexec_b32 s21, s9
	s_cbranch_execz .LBB1238_1363
; %bb.1356:                             ;   in Loop: Header=BB1238_1319 Depth=1
	v_mad_nc_u64_u32 v[12:13], v2, v38, v[8:9]
	v_mad_nc_u64_u32 v[14:15], v2, v36, v[8:9]
	v_mov_b64_e32 v[16:17], v[6:7]
	s_mov_b32 s22, 0
                                        ; implicit-def: $sgpr23
                                        ; implicit-def: $sgpr24
                                        ; implicit-def: $sgpr27
	s_delay_alu instid0(VALU_DEP_3) | instskip(NEXT) | instid1(VALU_DEP_3)
	v_mad_u32 v13, v3, v38, v13
	v_mad_u32 v15, v3, v36, v15
	s_delay_alu instid0(VALU_DEP_2) | instskip(NEXT) | instid1(VALU_DEP_2)
	v_mad_u32 v13, v2, v37, v13
	v_mad_u32 v15, v2, v35, v15
	s_branch .LBB1238_1358
.LBB1238_1357:                          ;   in Loop: Header=BB1238_1358 Depth=2
	s_or_b32 exec_lo, exec_lo, s27
	s_delay_alu instid0(SALU_CYCLE_1) | instskip(SKIP_4) | instid1(SALU_CYCLE_1)
	s_and_b32 s9, exec_lo, s26
	s_mov_b32 s27, s25
	s_or_b32 s22, s9, s22
	s_and_not1_b32 s9, s23, exec_lo
	s_and_b32 s23, s24, exec_lo
	s_or_b32 s23, s9, s23
	s_and_not1_b32 exec_lo, exec_lo, s22
	s_cbranch_execz .LBB1238_1362
.LBB1238_1358:                          ;   Parent Loop BB1238_1319 Depth=1
                                        ; =>  This Inner Loop Header: Depth=2
	flat_load_u16 v20, v[14:15]
	flat_load_u16 v21, v[12:13]
	s_mov_b32 s26, -1
	s_mov_b32 s28, 0
	s_mov_b32 s25, -1
	s_mov_b32 s29, exec_lo
	s_wait_loadcnt_dscnt 0x0
	v_cmpx_nlt_f16_e32 v20, v21
; %bb.1359:                             ;   in Loop: Header=BB1238_1358 Depth=2
	v_cmp_ngt_f16_e64 s9, v20, v21
	s_and_b32 s25, s9, s27
	s_and_b32 s28, s9, exec_lo
	s_or_not1_b32 s25, s25, exec_lo
; %bb.1360:                             ;   in Loop: Header=BB1238_1358 Depth=2
	s_or_b32 exec_lo, exec_lo, s29
	s_delay_alu instid0(SALU_CYCLE_1) | instskip(SKIP_1) | instid1(SALU_CYCLE_1)
	s_and_not1_b32 s9, s24, exec_lo
	s_and_b32 s24, s25, exec_lo
	s_or_b32 s24, s9, s24
	s_and_saveexec_b32 s27, s28
	s_cbranch_execz .LBB1238_1357
; %bb.1361:                             ;   in Loop: Header=BB1238_1358 Depth=2
	v_add_nc_u64_e32 v[16:17], -1, v[16:17]
	v_add_nc_u64_e32 v[12:13], 2, v[12:13]
	v_add_nc_u64_e32 v[14:15], 2, v[14:15]
	s_and_not1_b32 s24, s24, exec_lo
	s_delay_alu instid0(VALU_DEP_3)
	v_cmp_eq_u64_e64 s9, 0, v[16:17]
	s_or_not1_b32 s26, s9, exec_lo
	s_branch .LBB1238_1357
.LBB1238_1362:                          ;   in Loop: Header=BB1238_1319 Depth=1
	s_or_b32 exec_lo, exec_lo, s22
	s_xor_b32 s9, s23, -1
	s_and_not1_b32 s19, s19, exec_lo
	s_and_b32 s9, s9, exec_lo
	s_delay_alu instid0(SALU_CYCLE_1)
	s_or_b32 s19, s19, s9
.LBB1238_1363:                          ;   in Loop: Header=BB1238_1319 Depth=1
	s_or_b32 exec_lo, exec_lo, s21
	s_delay_alu instid0(SALU_CYCLE_1)
	s_or_not1_b32 s19, s19, exec_lo
.LBB1238_1364:                          ;   in Loop: Header=BB1238_1319 Depth=1
	s_or_b32 exec_lo, exec_lo, s20
	v_dual_cndmask_b32 v12, v18, v19, s19 :: v_dual_cndmask_b32 v13, v65, v30, s19
	s_mov_b32 s21, -1
	s_mov_b32 s20, -1
	s_mov_b32 s22, exec_lo
	s_delay_alu instid0(VALU_DEP_1) | instskip(NEXT) | instid1(VALU_DEP_1)
	v_add_nc_u32_e32 v14, 1, v12
	v_add_min_u32_e64 v12, v13, -1, v14
	s_delay_alu instid0(VALU_DEP_1)
	v_lshlrev_b32_e32 v12, 3, v12
	ds_load_b64 v[12:13], v12
	v_cndmask_b32_e64 v18, v14, v18, s19
	s_wait_dscnt 0x0
	v_dual_cndmask_b32 v19, v19, v14, s19 :: v_dual_cndmask_b32 v39, v12, v36, s19
	v_cndmask_b32_e64 v20, v13, v35, s19
	v_dual_cndmask_b32 v21, v37, v13, s19 :: v_dual_cndmask_b32 v48, v38, v12, s19
	v_cmpx_lt_u32_e64 v18, v65
	s_cbranch_execz .LBB1238_1374
; %bb.1365:                             ;   in Loop: Header=BB1238_1319 Depth=1
	v_cmp_lt_u32_e64 s20, v19, v30
	s_and_b32 s9, s20, s14
	s_delay_alu instid0(SALU_CYCLE_1)
	s_and_saveexec_b32 s23, s9
	s_cbranch_execz .LBB1238_1373
; %bb.1366:                             ;   in Loop: Header=BB1238_1319 Depth=1
	v_mad_nc_u64_u32 v[12:13], v2, v48, v[8:9]
	v_mad_nc_u64_u32 v[14:15], v2, v39, v[8:9]
	v_mov_b64_e32 v[16:17], v[6:7]
	s_mov_b32 s24, 0
                                        ; implicit-def: $sgpr25
                                        ; implicit-def: $sgpr26
                                        ; implicit-def: $sgpr29
	s_delay_alu instid0(VALU_DEP_3) | instskip(NEXT) | instid1(VALU_DEP_3)
	v_mad_u32 v13, v3, v48, v13
	v_mad_u32 v15, v3, v39, v15
	s_delay_alu instid0(VALU_DEP_2) | instskip(NEXT) | instid1(VALU_DEP_2)
	v_mad_u32 v13, v2, v21, v13
	v_mad_u32 v15, v2, v20, v15
	s_branch .LBB1238_1368
.LBB1238_1367:                          ;   in Loop: Header=BB1238_1368 Depth=2
	s_or_b32 exec_lo, exec_lo, s29
	s_delay_alu instid0(SALU_CYCLE_1) | instskip(SKIP_4) | instid1(SALU_CYCLE_1)
	s_and_b32 s9, exec_lo, s28
	s_mov_b32 s29, s27
	s_or_b32 s24, s9, s24
	s_and_not1_b32 s9, s25, exec_lo
	s_and_b32 s25, s26, exec_lo
	s_or_b32 s25, s9, s25
	s_and_not1_b32 exec_lo, exec_lo, s24
	s_cbranch_execz .LBB1238_1372
.LBB1238_1368:                          ;   Parent Loop BB1238_1319 Depth=1
                                        ; =>  This Inner Loop Header: Depth=2
	flat_load_u16 v49, v[14:15]
	flat_load_u16 v96, v[12:13]
	s_mov_b32 s28, -1
	s_mov_b32 s40, 0
	s_mov_b32 s27, -1
	s_mov_b32 s41, exec_lo
	s_wait_loadcnt_dscnt 0x0
	v_cmpx_nlt_f16_e32 v49, v96
; %bb.1369:                             ;   in Loop: Header=BB1238_1368 Depth=2
	v_cmp_ngt_f16_e64 s9, v49, v96
	s_and_b32 s27, s9, s29
	s_and_b32 s40, s9, exec_lo
	s_or_not1_b32 s27, s27, exec_lo
; %bb.1370:                             ;   in Loop: Header=BB1238_1368 Depth=2
	s_or_b32 exec_lo, exec_lo, s41
	s_delay_alu instid0(SALU_CYCLE_1) | instskip(SKIP_1) | instid1(SALU_CYCLE_1)
	s_and_not1_b32 s9, s26, exec_lo
	s_and_b32 s26, s27, exec_lo
	s_or_b32 s26, s9, s26
	s_and_saveexec_b32 s29, s40
	s_cbranch_execz .LBB1238_1367
; %bb.1371:                             ;   in Loop: Header=BB1238_1368 Depth=2
	v_add_nc_u64_e32 v[16:17], -1, v[16:17]
	v_add_nc_u64_e32 v[12:13], 2, v[12:13]
	v_add_nc_u64_e32 v[14:15], 2, v[14:15]
	s_and_not1_b32 s26, s26, exec_lo
	s_delay_alu instid0(VALU_DEP_3)
	v_cmp_eq_u64_e64 s9, 0, v[16:17]
	s_or_not1_b32 s28, s9, exec_lo
	s_branch .LBB1238_1367
.LBB1238_1372:                          ;   in Loop: Header=BB1238_1319 Depth=1
	s_or_b32 exec_lo, exec_lo, s24
	s_xor_b32 s9, s25, -1
	s_and_not1_b32 s20, s20, exec_lo
	s_and_b32 s9, s9, exec_lo
	s_delay_alu instid0(SALU_CYCLE_1)
	s_or_b32 s20, s20, s9
.LBB1238_1373:                          ;   in Loop: Header=BB1238_1319 Depth=1
	s_or_b32 exec_lo, exec_lo, s23
	s_delay_alu instid0(SALU_CYCLE_1)
	s_or_not1_b32 s20, s20, exec_lo
.LBB1238_1374:                          ;   in Loop: Header=BB1238_1319 Depth=1
	s_or_b32 exec_lo, exec_lo, s22
	v_dual_cndmask_b32 v12, v18, v19, s20 :: v_dual_cndmask_b32 v13, v65, v30, s20
	s_mov_b32 s22, exec_lo
	s_delay_alu instid0(VALU_DEP_1) | instskip(NEXT) | instid1(VALU_DEP_1)
	v_add_nc_u32_e32 v14, 1, v12
	v_add_min_u32_e64 v12, v13, -1, v14
	s_delay_alu instid0(VALU_DEP_1)
	v_lshlrev_b32_e32 v12, 3, v12
	ds_load_b64 v[12:13], v12
	v_cndmask_b32_e64 v18, v14, v18, s20
	s_wait_dscnt 0x0
	v_dual_cndmask_b32 v19, v19, v14, s20 :: v_dual_cndmask_b32 v96, v12, v39, s20
	v_cndmask_b32_e64 v49, v13, v20, s20
	v_dual_cndmask_b32 v97, v21, v13, s20 :: v_dual_cndmask_b32 v98, v48, v12, s20
	v_cmpx_lt_u32_e64 v18, v65
	s_cbranch_execz .LBB1238_1384
; %bb.1375:                             ;   in Loop: Header=BB1238_1319 Depth=1
	v_cmp_lt_u32_e64 s21, v19, v30
	s_and_b32 s9, s21, s14
	s_delay_alu instid0(SALU_CYCLE_1)
	s_and_saveexec_b32 s23, s9
	s_cbranch_execz .LBB1238_1383
; %bb.1376:                             ;   in Loop: Header=BB1238_1319 Depth=1
	v_mad_nc_u64_u32 v[12:13], v2, v98, v[8:9]
	v_mad_nc_u64_u32 v[14:15], v2, v96, v[8:9]
	v_mov_b64_e32 v[16:17], v[6:7]
	s_mov_b32 s24, 0
                                        ; implicit-def: $sgpr25
                                        ; implicit-def: $sgpr26
                                        ; implicit-def: $sgpr29
	s_delay_alu instid0(VALU_DEP_3) | instskip(NEXT) | instid1(VALU_DEP_3)
	v_mad_u32 v13, v3, v98, v13
	v_mad_u32 v15, v3, v96, v15
	s_delay_alu instid0(VALU_DEP_2) | instskip(NEXT) | instid1(VALU_DEP_2)
	v_mad_u32 v13, v2, v97, v13
	v_mad_u32 v15, v2, v49, v15
	s_branch .LBB1238_1378
.LBB1238_1377:                          ;   in Loop: Header=BB1238_1378 Depth=2
	s_or_b32 exec_lo, exec_lo, s29
	s_delay_alu instid0(SALU_CYCLE_1) | instskip(SKIP_4) | instid1(SALU_CYCLE_1)
	s_and_b32 s9, exec_lo, s28
	s_mov_b32 s29, s27
	s_or_b32 s24, s9, s24
	s_and_not1_b32 s9, s25, exec_lo
	s_and_b32 s25, s26, exec_lo
	s_or_b32 s25, s9, s25
	s_and_not1_b32 exec_lo, exec_lo, s24
	s_cbranch_execz .LBB1238_1382
.LBB1238_1378:                          ;   Parent Loop BB1238_1319 Depth=1
                                        ; =>  This Inner Loop Header: Depth=2
	flat_load_u16 v99, v[14:15]
	flat_load_u16 v100, v[12:13]
	s_mov_b32 s28, -1
	s_mov_b32 s40, 0
	s_mov_b32 s27, -1
	s_mov_b32 s41, exec_lo
	s_wait_loadcnt_dscnt 0x0
	v_cmpx_nlt_f16_e32 v99, v100
; %bb.1379:                             ;   in Loop: Header=BB1238_1378 Depth=2
	v_cmp_ngt_f16_e64 s9, v99, v100
	s_and_b32 s27, s9, s29
	s_and_b32 s40, s9, exec_lo
	s_or_not1_b32 s27, s27, exec_lo
; %bb.1380:                             ;   in Loop: Header=BB1238_1378 Depth=2
	s_or_b32 exec_lo, exec_lo, s41
	s_delay_alu instid0(SALU_CYCLE_1) | instskip(SKIP_1) | instid1(SALU_CYCLE_1)
	s_and_not1_b32 s9, s26, exec_lo
	s_and_b32 s26, s27, exec_lo
	s_or_b32 s26, s9, s26
	s_and_saveexec_b32 s29, s40
	s_cbranch_execz .LBB1238_1377
; %bb.1381:                             ;   in Loop: Header=BB1238_1378 Depth=2
	v_add_nc_u64_e32 v[16:17], -1, v[16:17]
	v_add_nc_u64_e32 v[12:13], 2, v[12:13]
	v_add_nc_u64_e32 v[14:15], 2, v[14:15]
	s_and_not1_b32 s26, s26, exec_lo
	s_delay_alu instid0(VALU_DEP_3)
	v_cmp_eq_u64_e64 s9, 0, v[16:17]
	s_or_not1_b32 s28, s9, exec_lo
	s_branch .LBB1238_1377
.LBB1238_1382:                          ;   in Loop: Header=BB1238_1319 Depth=1
	s_or_b32 exec_lo, exec_lo, s24
	s_xor_b32 s9, s25, -1
	s_and_not1_b32 s21, s21, exec_lo
	s_and_b32 s9, s9, exec_lo
	s_delay_alu instid0(SALU_CYCLE_1)
	s_or_b32 s21, s21, s9
.LBB1238_1383:                          ;   in Loop: Header=BB1238_1319 Depth=1
	s_or_b32 exec_lo, exec_lo, s23
	s_delay_alu instid0(SALU_CYCLE_1)
	s_or_not1_b32 s21, s21, exec_lo
.LBB1238_1384:                          ;   in Loop: Header=BB1238_1319 Depth=1
	s_or_b32 exec_lo, exec_lo, s22
	v_dual_cndmask_b32 v12, v18, v19, s21 :: v_dual_cndmask_b32 v13, v65, v30, s21
	s_mov_b32 s22, -1
	s_mov_b32 s23, -1
	s_mov_b32 s24, exec_lo
	s_delay_alu instid0(VALU_DEP_1) | instskip(NEXT) | instid1(VALU_DEP_1)
	v_add_nc_u32_e32 v14, 1, v12
	v_add_min_u32_e64 v12, v13, -1, v14
	s_delay_alu instid0(VALU_DEP_1)
	v_lshlrev_b32_e32 v12, 3, v12
	ds_load_b64 v[12:13], v12
	v_cndmask_b32_e64 v18, v14, v18, s21
	s_wait_dscnt 0x0
	v_dual_cndmask_b32 v19, v19, v14, s21 :: v_dual_cndmask_b32 v100, v12, v96, s21
	v_cndmask_b32_e64 v99, v13, v49, s21
	v_dual_cndmask_b32 v101, v97, v13, s21 :: v_dual_cndmask_b32 v102, v98, v12, s21
	v_cmpx_lt_u32_e64 v18, v65
	s_cbranch_execz .LBB1238_1394
; %bb.1385:                             ;   in Loop: Header=BB1238_1319 Depth=1
	v_cmp_lt_u32_e64 s23, v19, v30
	s_and_b32 s9, s23, s14
	s_delay_alu instid0(SALU_CYCLE_1)
	s_and_saveexec_b32 s25, s9
	s_cbranch_execz .LBB1238_1393
; %bb.1386:                             ;   in Loop: Header=BB1238_1319 Depth=1
	v_mad_nc_u64_u32 v[12:13], v2, v102, v[8:9]
	v_mad_nc_u64_u32 v[14:15], v2, v100, v[8:9]
	v_mov_b64_e32 v[16:17], v[6:7]
	s_mov_b32 s26, 0
                                        ; implicit-def: $sgpr27
                                        ; implicit-def: $sgpr28
                                        ; implicit-def: $sgpr41
	s_delay_alu instid0(VALU_DEP_3) | instskip(NEXT) | instid1(VALU_DEP_3)
	v_mad_u32 v13, v3, v102, v13
	v_mad_u32 v15, v3, v100, v15
	s_delay_alu instid0(VALU_DEP_2) | instskip(NEXT) | instid1(VALU_DEP_2)
	v_mad_u32 v13, v2, v101, v13
	v_mad_u32 v15, v2, v99, v15
	s_branch .LBB1238_1388
.LBB1238_1387:                          ;   in Loop: Header=BB1238_1388 Depth=2
	s_or_b32 exec_lo, exec_lo, s41
	s_delay_alu instid0(SALU_CYCLE_1) | instskip(SKIP_4) | instid1(SALU_CYCLE_1)
	s_and_b32 s9, exec_lo, s40
	s_mov_b32 s41, s29
	s_or_b32 s26, s9, s26
	s_and_not1_b32 s9, s27, exec_lo
	s_and_b32 s27, s28, exec_lo
	s_or_b32 s27, s9, s27
	s_and_not1_b32 exec_lo, exec_lo, s26
	s_cbranch_execz .LBB1238_1392
.LBB1238_1388:                          ;   Parent Loop BB1238_1319 Depth=1
                                        ; =>  This Inner Loop Header: Depth=2
	flat_load_u16 v103, v[14:15]
	flat_load_u16 v112, v[12:13]
	s_mov_b32 s40, -1
	s_mov_b32 s42, 0
	s_mov_b32 s29, -1
	s_mov_b32 s43, exec_lo
	s_wait_loadcnt_dscnt 0x0
	v_cmpx_nlt_f16_e32 v103, v112
; %bb.1389:                             ;   in Loop: Header=BB1238_1388 Depth=2
	v_cmp_ngt_f16_e64 s9, v103, v112
	s_and_b32 s29, s9, s41
	s_and_b32 s42, s9, exec_lo
	s_or_not1_b32 s29, s29, exec_lo
; %bb.1390:                             ;   in Loop: Header=BB1238_1388 Depth=2
	s_or_b32 exec_lo, exec_lo, s43
	s_delay_alu instid0(SALU_CYCLE_1) | instskip(SKIP_1) | instid1(SALU_CYCLE_1)
	s_and_not1_b32 s9, s28, exec_lo
	s_and_b32 s28, s29, exec_lo
	s_or_b32 s28, s9, s28
	s_and_saveexec_b32 s41, s42
	s_cbranch_execz .LBB1238_1387
; %bb.1391:                             ;   in Loop: Header=BB1238_1388 Depth=2
	v_add_nc_u64_e32 v[16:17], -1, v[16:17]
	v_add_nc_u64_e32 v[12:13], 2, v[12:13]
	v_add_nc_u64_e32 v[14:15], 2, v[14:15]
	s_and_not1_b32 s28, s28, exec_lo
	s_delay_alu instid0(VALU_DEP_3)
	v_cmp_eq_u64_e64 s9, 0, v[16:17]
	s_or_not1_b32 s40, s9, exec_lo
	s_branch .LBB1238_1387
.LBB1238_1392:                          ;   in Loop: Header=BB1238_1319 Depth=1
	s_or_b32 exec_lo, exec_lo, s26
	s_xor_b32 s9, s27, -1
	s_and_not1_b32 s23, s23, exec_lo
	s_and_b32 s9, s9, exec_lo
	s_delay_alu instid0(SALU_CYCLE_1)
	s_or_b32 s23, s23, s9
.LBB1238_1393:                          ;   in Loop: Header=BB1238_1319 Depth=1
	s_or_b32 exec_lo, exec_lo, s25
	s_delay_alu instid0(SALU_CYCLE_1)
	s_or_not1_b32 s23, s23, exec_lo
.LBB1238_1394:                          ;   in Loop: Header=BB1238_1319 Depth=1
	s_or_b32 exec_lo, exec_lo, s24
	v_dual_cndmask_b32 v12, v18, v19, s23 :: v_dual_cndmask_b32 v13, v65, v30, s23
	s_mov_b32 s24, exec_lo
	s_delay_alu instid0(VALU_DEP_1) | instskip(NEXT) | instid1(VALU_DEP_1)
	v_add_nc_u32_e32 v14, 1, v12
	v_add_min_u32_e64 v12, v13, -1, v14
	s_delay_alu instid0(VALU_DEP_1)
	v_lshlrev_b32_e32 v12, 3, v12
	ds_load_b64 v[12:13], v12
	v_cndmask_b32_e64 v115, v14, v18, s23
	s_wait_dscnt 0x0
	v_dual_cndmask_b32 v18, v19, v14, s23 :: v_dual_cndmask_b32 v112, v12, v100, s23
	v_cndmask_b32_e64 v103, v13, v99, s23
	v_dual_cndmask_b32 v113, v101, v13, s23 :: v_dual_cndmask_b32 v114, v102, v12, s23
	v_cmpx_lt_u32_e64 v115, v65
	s_cbranch_execz .LBB1238_1404
; %bb.1395:                             ;   in Loop: Header=BB1238_1319 Depth=1
	v_cmp_lt_u32_e64 s22, v18, v30
	s_and_b32 s9, s22, s14
	s_delay_alu instid0(SALU_CYCLE_1)
	s_and_saveexec_b32 s25, s9
	s_cbranch_execz .LBB1238_1403
; %bb.1396:                             ;   in Loop: Header=BB1238_1319 Depth=1
	v_mad_nc_u64_u32 v[12:13], v2, v114, v[8:9]
	v_mad_nc_u64_u32 v[14:15], v2, v112, v[8:9]
	v_mov_b64_e32 v[16:17], v[6:7]
	s_mov_b32 s26, 0
                                        ; implicit-def: $sgpr27
                                        ; implicit-def: $sgpr28
                                        ; implicit-def: $sgpr41
	s_delay_alu instid0(VALU_DEP_3) | instskip(NEXT) | instid1(VALU_DEP_3)
	v_mad_u32 v13, v3, v114, v13
	v_mad_u32 v15, v3, v112, v15
	s_delay_alu instid0(VALU_DEP_2) | instskip(NEXT) | instid1(VALU_DEP_2)
	v_mad_u32 v13, v2, v113, v13
	v_mad_u32 v15, v2, v103, v15
	s_branch .LBB1238_1398
.LBB1238_1397:                          ;   in Loop: Header=BB1238_1398 Depth=2
	s_or_b32 exec_lo, exec_lo, s41
	s_delay_alu instid0(SALU_CYCLE_1) | instskip(SKIP_4) | instid1(SALU_CYCLE_1)
	s_and_b32 s9, exec_lo, s40
	s_mov_b32 s41, s29
	s_or_b32 s26, s9, s26
	s_and_not1_b32 s9, s27, exec_lo
	s_and_b32 s27, s28, exec_lo
	s_or_b32 s27, s9, s27
	s_and_not1_b32 exec_lo, exec_lo, s26
	s_cbranch_execz .LBB1238_1402
.LBB1238_1398:                          ;   Parent Loop BB1238_1319 Depth=1
                                        ; =>  This Inner Loop Header: Depth=2
	flat_load_u16 v19, v[14:15]
	flat_load_u16 v116, v[12:13]
	s_mov_b32 s40, -1
	s_mov_b32 s42, 0
	s_mov_b32 s29, -1
	s_mov_b32 s43, exec_lo
	s_wait_loadcnt_dscnt 0x0
	v_cmpx_nlt_f16_e32 v19, v116
; %bb.1399:                             ;   in Loop: Header=BB1238_1398 Depth=2
	v_cmp_ngt_f16_e64 s9, v19, v116
	s_and_b32 s29, s9, s41
	s_and_b32 s42, s9, exec_lo
	s_or_not1_b32 s29, s29, exec_lo
; %bb.1400:                             ;   in Loop: Header=BB1238_1398 Depth=2
	s_or_b32 exec_lo, exec_lo, s43
	s_delay_alu instid0(SALU_CYCLE_1) | instskip(SKIP_1) | instid1(SALU_CYCLE_1)
	s_and_not1_b32 s9, s28, exec_lo
	s_and_b32 s28, s29, exec_lo
	s_or_b32 s28, s9, s28
	s_and_saveexec_b32 s41, s42
	s_cbranch_execz .LBB1238_1397
; %bb.1401:                             ;   in Loop: Header=BB1238_1398 Depth=2
	v_add_nc_u64_e32 v[16:17], -1, v[16:17]
	v_add_nc_u64_e32 v[12:13], 2, v[12:13]
	v_add_nc_u64_e32 v[14:15], 2, v[14:15]
	s_and_not1_b32 s28, s28, exec_lo
	s_delay_alu instid0(VALU_DEP_3)
	v_cmp_eq_u64_e64 s9, 0, v[16:17]
	s_or_not1_b32 s40, s9, exec_lo
	s_branch .LBB1238_1397
.LBB1238_1402:                          ;   in Loop: Header=BB1238_1319 Depth=1
	s_or_b32 exec_lo, exec_lo, s26
	s_xor_b32 s9, s27, -1
	s_and_not1_b32 s22, s22, exec_lo
	s_and_b32 s9, s9, exec_lo
	s_delay_alu instid0(SALU_CYCLE_1)
	s_or_b32 s22, s22, s9
.LBB1238_1403:                          ;   in Loop: Header=BB1238_1319 Depth=1
	s_or_b32 exec_lo, exec_lo, s25
	s_delay_alu instid0(SALU_CYCLE_1)
	s_or_not1_b32 s22, s22, exec_lo
.LBB1238_1404:                          ;   in Loop: Header=BB1238_1319 Depth=1
	s_or_b32 exec_lo, exec_lo, s24
	v_cndmask_b32_e64 v12, v115, v18, s22
	v_cndmask_b32_e64 v13, v65, v30, s22
	s_mov_b32 s24, exec_lo
	s_delay_alu instid0(VALU_DEP_2) | instskip(NEXT) | instid1(VALU_DEP_1)
	v_add_nc_u32_e32 v16, 1, v12
	v_add_min_u32_e64 v12, v13, -1, v16
	s_delay_alu instid0(VALU_DEP_1)
	v_dual_cndmask_b32 v17, v16, v115, s22 :: v_dual_lshlrev_b32 v12, 3, v12
	ds_load_b64 v[14:15], v12
	s_wait_dscnt 0x0
	v_dual_cndmask_b32 v13, v113, v15, s22 :: v_dual_cndmask_b32 v12, v114, v14, s22
	v_cmpx_lt_u32_e64 v17, v65
	s_cbranch_execz .LBB1238_1317
; %bb.1405:                             ;   in Loop: Header=BB1238_1319 Depth=1
	v_dual_cndmask_b32 v16, v18, v16, s22 :: v_dual_cndmask_b32 v65, v15, v103, s22
	s_delay_alu instid0(VALU_DEP_1) | instskip(NEXT) | instid1(VALU_DEP_1)
	v_cmp_ge_u32_e64 s9, v16, v30
	v_dual_cndmask_b32 v115, v14, v112, s22 :: v_dual_cndmask_b32 v15, v13, v65, s9
	s_delay_alu instid0(VALU_DEP_1) | instskip(SKIP_1) | instid1(SALU_CYCLE_1)
	v_cndmask_b32_e64 v14, v12, v115, s9
	s_nor_b32 s9, s9, s8
	s_and_saveexec_b32 s25, s9
	s_cbranch_execz .LBB1238_1316
; %bb.1406:                             ;   in Loop: Header=BB1238_1319 Depth=1
	v_mad_nc_u64_u32 v[14:15], v2, v12, v[8:9]
	v_mad_nc_u64_u32 v[16:17], v2, v115, v[8:9]
	v_mov_b64_e32 v[18:19], v[6:7]
	s_mov_b32 s26, 0
                                        ; implicit-def: $sgpr27
                                        ; implicit-def: $sgpr28
                                        ; implicit-def: $sgpr41
	s_delay_alu instid0(VALU_DEP_3) | instskip(NEXT) | instid1(VALU_DEP_3)
	v_mad_u32 v15, v3, v12, v15
	v_mad_u32 v17, v3, v115, v17
	s_delay_alu instid0(VALU_DEP_2) | instskip(NEXT) | instid1(VALU_DEP_2)
	v_mad_u32 v15, v2, v13, v15
	v_mad_u32 v17, v2, v65, v17
	s_branch .LBB1238_1408
.LBB1238_1407:                          ;   in Loop: Header=BB1238_1408 Depth=2
	s_or_b32 exec_lo, exec_lo, s41
	s_delay_alu instid0(SALU_CYCLE_1) | instskip(SKIP_4) | instid1(SALU_CYCLE_1)
	s_and_b32 s9, exec_lo, s40
	s_mov_b32 s41, s29
	s_or_b32 s26, s9, s26
	s_and_not1_b32 s9, s27, exec_lo
	s_and_b32 s27, s28, exec_lo
	s_or_b32 s27, s9, s27
	s_and_not1_b32 exec_lo, exec_lo, s26
	s_cbranch_execz .LBB1238_1315
.LBB1238_1408:                          ;   Parent Loop BB1238_1319 Depth=1
                                        ; =>  This Inner Loop Header: Depth=2
	flat_load_u16 v30, v[16:17]
	flat_load_u16 v116, v[14:15]
	s_mov_b32 s40, -1
	s_mov_b32 s42, 0
	s_mov_b32 s29, -1
	s_mov_b32 s43, exec_lo
	s_wait_loadcnt_dscnt 0x0
	v_cmpx_nlt_f16_e32 v30, v116
; %bb.1409:                             ;   in Loop: Header=BB1238_1408 Depth=2
	v_cmp_ngt_f16_e64 s9, v30, v116
	s_and_b32 s29, s9, s41
	s_and_b32 s42, s9, exec_lo
	s_or_not1_b32 s29, s29, exec_lo
; %bb.1410:                             ;   in Loop: Header=BB1238_1408 Depth=2
	s_or_b32 exec_lo, exec_lo, s43
	s_delay_alu instid0(SALU_CYCLE_1) | instskip(SKIP_1) | instid1(SALU_CYCLE_1)
	s_and_not1_b32 s9, s28, exec_lo
	s_and_b32 s28, s29, exec_lo
	s_or_b32 s28, s9, s28
	s_and_saveexec_b32 s41, s42
	s_cbranch_execz .LBB1238_1407
; %bb.1411:                             ;   in Loop: Header=BB1238_1408 Depth=2
	v_add_nc_u64_e32 v[18:19], -1, v[18:19]
	v_add_nc_u64_e32 v[14:15], 2, v[14:15]
	v_add_nc_u64_e32 v[16:17], 2, v[16:17]
	s_and_not1_b32 s28, s28, exec_lo
	s_delay_alu instid0(VALU_DEP_3)
	v_cmp_eq_u64_e64 s9, 0, v[18:19]
	s_or_not1_b32 s40, s9, exec_lo
	s_branch .LBB1238_1407
.LBB1238_1412:
	s_or_b32 exec_lo, exec_lo, s17
.LBB1238_1413:
	s_delay_alu instid0(SALU_CYCLE_1)
	s_or_b32 exec_lo, exec_lo, s15
	s_barrier_signal -1
	s_barrier_wait -1
	ds_store_b64 v1, v[22:23]
	ds_store_b64 v81, v[24:25]
	;; [unrolled: 1-line block ×8, first 2 shown]
	s_wait_dscnt 0x0
	s_barrier_signal -1
	s_barrier_wait -1
	ds_load_b64 v[16:17], v66
	ds_load_b64 v[14:15], v67
	;; [unrolled: 1-line block ×7, first 2 shown]
	v_dual_mov_b32 v3, 0 :: v_dual_lshlrev_b32 v2, 3, v26
	s_delay_alu instid0(VALU_DEP_1)
	v_add_nc_u64_e32 v[2:3], v[4:5], v[2:3]
	s_and_saveexec_b32 s7, vcc_lo
	s_cbranch_execz .LBB1238_1423
; %bb.1414:
	ds_load_b64 v[18:19], v29
	s_wait_dscnt 0x0
	flat_store_b64 v[2:3], v[18:19]
	s_wait_xcnt 0x0
	s_or_b32 exec_lo, exec_lo, s7
	s_and_saveexec_b32 s7, s0
	s_cbranch_execnz .LBB1238_1424
.LBB1238_1415:
	s_or_b32 exec_lo, exec_lo, s7
	s_and_saveexec_b32 s0, s1
	s_cbranch_execz .LBB1238_1425
.LBB1238_1416:
	s_wait_dscnt 0x5
	flat_store_b64 v[2:3], v[14:15] offset:4096
	s_wait_xcnt 0x0
	s_or_b32 exec_lo, exec_lo, s0
	s_and_saveexec_b32 s0, s2
	s_cbranch_execnz .LBB1238_1426
.LBB1238_1417:
	s_or_b32 exec_lo, exec_lo, s0
	s_and_saveexec_b32 s0, s3
	s_cbranch_execz .LBB1238_1427
.LBB1238_1418:
	s_wait_dscnt 0x3
	flat_store_b64 v[2:3], v[8:9] offset:8192
	s_wait_xcnt 0x0
	s_or_b32 exec_lo, exec_lo, s0
	s_and_saveexec_b32 s0, s4
	s_cbranch_execnz .LBB1238_1428
.LBB1238_1419:
	s_or_b32 exec_lo, exec_lo, s0
	s_and_saveexec_b32 s0, s5
	s_cbranch_execz .LBB1238_1421
.LBB1238_1420:
	s_wait_dscnt 0x1
	flat_store_b64 v[2:3], v[0:1] offset:12288
.LBB1238_1421:
	s_wait_xcnt 0x0
	s_or_b32 exec_lo, exec_lo, s0
	s_delay_alu instid0(SALU_CYCLE_1) | instskip(SKIP_1) | instid1(SALU_CYCLE_1)
	s_and_not1_b32 s0, s12, exec_lo
	s_and_b32 s1, s6, exec_lo
	s_or_b32 s12, s0, s1
	s_or_b32 exec_lo, exec_lo, s13
	s_and_saveexec_b32 s0, s12
	s_cbranch_execnz .LBB1238_1533
.LBB1238_1422:
	s_or_b32 exec_lo, exec_lo, s0
	s_wait_dscnt 0x0
	s_set_pc_i64 s[30:31]
.LBB1238_1423:
	s_or_b32 exec_lo, exec_lo, s7
	s_and_saveexec_b32 s7, s0
	s_cbranch_execz .LBB1238_1415
.LBB1238_1424:
	s_wait_dscnt 0x6
	flat_store_b64 v[2:3], v[16:17] offset:2048
	s_wait_xcnt 0x0
	s_or_b32 exec_lo, exec_lo, s7
	s_and_saveexec_b32 s0, s1
	s_cbranch_execnz .LBB1238_1416
.LBB1238_1425:
	s_or_b32 exec_lo, exec_lo, s0
	s_and_saveexec_b32 s0, s2
	s_cbranch_execz .LBB1238_1417
.LBB1238_1426:
	s_wait_dscnt 0x4
	flat_store_b64 v[2:3], v[12:13] offset:6144
	s_wait_xcnt 0x0
	s_or_b32 exec_lo, exec_lo, s0
	s_and_saveexec_b32 s0, s3
	s_cbranch_execnz .LBB1238_1418
.LBB1238_1427:
	s_or_b32 exec_lo, exec_lo, s0
	s_and_saveexec_b32 s0, s4
	s_cbranch_execz .LBB1238_1419
.LBB1238_1428:
	s_wait_dscnt 0x2
	flat_store_b64 v[2:3], v[6:7] offset:10240
	s_wait_xcnt 0x0
	s_or_b32 exec_lo, exec_lo, s0
	s_and_saveexec_b32 s0, s5
	s_cbranch_execnz .LBB1238_1420
	s_branch .LBB1238_1421
.LBB1238_1429:
	s_or_b32 exec_lo, exec_lo, s6
	v_dual_cndmask_b32 v25, v3, v23, s7 :: v_dual_cndmask_b32 v24, v2, v22, s7
.LBB1238_1430:
	s_or_b32 exec_lo, exec_lo, s3
	s_delay_alu instid0(VALU_DEP_1)
	v_mov_b64_e32 v[2:3], v[24:25]
.LBB1238_1431:
	s_or_b32 exec_lo, exec_lo, s2
.LBB1238_1432:
	s_delay_alu instid0(SALU_CYCLE_1) | instskip(SKIP_4) | instid1(VALU_DEP_2)
	s_or_b32 exec_lo, exec_lo, s5
	v_lshlrev_b32_e32 v25, 3, v28
	v_lshlrev_b64_e32 v[22:23], 1, v[6:7]
	s_movk_i32 s6, 0x80
	s_xor_b32 s5, s0, -1
	v_dual_add_nc_u32 v31, 8, v25 :: v_dual_add_nc_u32 v38, 16, v25
	v_dual_add_nc_u32 v39, 24, v25 :: v_dual_add_nc_u32 v48, 32, v25
	;; [unrolled: 1-line block ×3, first 2 shown]
	v_add_nc_u32_e32 v51, 56, v25
	; wave barrier
	s_wait_dscnt 0x0
	s_barrier_signal -1
	s_barrier_wait -1
.LBB1238_1433:                          ; =>This Loop Header: Depth=1
                                        ;     Child Loop BB1238_1437 Depth 2
                                        ;       Child Loop BB1238_1440 Depth 3
                                        ;     Child Loop BB1238_1453 Depth 2
                                        ;     Child Loop BB1238_1462 Depth 2
                                        ;     Child Loop BB1238_1472 Depth 2
                                        ;     Child Loop BB1238_1482 Depth 2
                                        ;     Child Loop BB1238_1492 Depth 2
                                        ;     Child Loop BB1238_1502 Depth 2
                                        ;     Child Loop BB1238_1512 Depth 2
                                        ;     Child Loop BB1238_1522 Depth 2
	s_lshl_b32 s7, s6, 1
	s_mov_b32 s2, exec_lo
	s_sub_co_i32 s1, 0, s7
	ds_store_b64 v25, v[18:19]
	v_and_b32_e32 v85, s1, v28
	s_add_co_i32 s1, s7, -1
	ds_store_b64 v31, v[20:21]
	ds_store_b64 v38, v[14:15]
	;; [unrolled: 1-line block ×7, first 2 shown]
	s_wait_dscnt 0x0
	v_add_min_u32_e64 v52, v85, s6, 0x800
	v_and_b32_e32 v24, s1, v28
	s_barrier_signal -1
	s_barrier_wait -1
	s_delay_alu instid0(VALU_DEP_2) | instskip(SKIP_2) | instid1(VALU_DEP_3)
	v_add_min_u32_e64 v53, v52, s6, 0x800
	v_sub_nc_u32_e32 v30, v52, v85
	v_min_u32_e32 v86, 0x800, v24
	v_sub_nc_u32_e32 v24, v53, v52
	s_delay_alu instid0(VALU_DEP_2) | instskip(NEXT) | instid1(VALU_DEP_2)
	v_min_u32_e32 v96, v86, v30
	v_sub_nc_u32_e64 v87, v86, v24 clamp
	s_delay_alu instid0(VALU_DEP_1)
	v_cmpx_lt_u32_e64 v87, v96
	s_cbranch_execz .LBB1238_1445
; %bb.1434:                             ;   in Loop: Header=BB1238_1433 Depth=1
	v_dual_lshlrev_b32 v24, 3, v85 :: v_dual_lshlrev_b32 v30, 3, v52
	s_mov_b32 s3, 0
	s_branch .LBB1238_1437
.LBB1238_1435:                          ;   in Loop: Header=BB1238_1437 Depth=2
	s_or_b32 exec_lo, exec_lo, s12
	s_delay_alu instid0(SALU_CYCLE_1)
	s_and_b32 s1, s13, exec_lo
.LBB1238_1436:                          ;   in Loop: Header=BB1238_1437 Depth=2
	s_or_b32 exec_lo, exec_lo, s11
	s_delay_alu instid0(VALU_DEP_1) | instskip(NEXT) | instid1(VALU_DEP_1)
	v_dual_add_nc_u32 v32, 1, v97 :: v_dual_cndmask_b32 v96, v96, v97, s1
	v_cndmask_b32_e64 v87, v32, v87, s1
	s_delay_alu instid0(VALU_DEP_1) | instskip(SKIP_1) | instid1(SALU_CYCLE_1)
	v_cmp_ge_u32_e64 s1, v87, v96
	s_or_b32 s3, s1, s3
	s_and_not1_b32 exec_lo, exec_lo, s3
	s_cbranch_execz .LBB1238_1444
.LBB1238_1437:                          ;   Parent Loop BB1238_1433 Depth=1
                                        ; =>  This Loop Header: Depth=2
                                        ;       Child Loop BB1238_1440 Depth 3
	v_add_nc_u32_e32 v32, v96, v87
	s_mov_b32 s1, 0
	s_delay_alu instid0(VALU_DEP_1)
	v_lshrrev_b32_e32 v97, 1, v32
	s_and_saveexec_b32 s11, vcc_lo
	s_cbranch_execz .LBB1238_1436
; %bb.1438:                             ;   in Loop: Header=BB1238_1437 Depth=2
	s_delay_alu instid0(VALU_DEP_1) | instskip(SKIP_2) | instid1(VALU_DEP_2)
	v_xad_u32 v32, v97, -1, v86
	v_lshl_add_u32 v33, v97, 3, v24
	s_mov_b32 s12, 0
                                        ; implicit-def: $sgpr13
                                        ; implicit-def: $sgpr14
                                        ; implicit-def: $sgpr17
	v_lshl_add_u32 v32, v32, 3, v30
	ds_load_b64 v[36:37], v33
	ds_load_b64 v[98:99], v32
	s_wait_dscnt 0x1
	v_mad_nc_u64_u32 v[32:33], v22, v36, v[8:9]
	s_wait_dscnt 0x0
	v_mad_nc_u64_u32 v[34:35], v22, v98, v[8:9]
	s_delay_alu instid0(VALU_DEP_2) | instskip(NEXT) | instid1(VALU_DEP_2)
	v_mad_u32 v33, v23, v36, v33
	v_mad_u32 v35, v23, v98, v35
	s_delay_alu instid0(VALU_DEP_2) | instskip(NEXT) | instid1(VALU_DEP_2)
	v_mad_u32 v33, v22, v37, v33
	v_mad_u32 v35, v22, v99, v35
	v_mov_b64_e32 v[36:37], v[6:7]
	s_branch .LBB1238_1440
.LBB1238_1439:                          ;   in Loop: Header=BB1238_1440 Depth=3
	s_or_b32 exec_lo, exec_lo, s17
	s_delay_alu instid0(SALU_CYCLE_1) | instskip(SKIP_4) | instid1(SALU_CYCLE_1)
	s_and_b32 s1, exec_lo, s16
	s_mov_b32 s17, s15
	s_or_b32 s12, s1, s12
	s_and_not1_b32 s1, s13, exec_lo
	s_and_b32 s13, s14, exec_lo
	s_or_b32 s13, s1, s13
	s_and_not1_b32 exec_lo, exec_lo, s12
	s_cbranch_execz .LBB1238_1435
.LBB1238_1440:                          ;   Parent Loop BB1238_1433 Depth=1
                                        ;     Parent Loop BB1238_1437 Depth=2
                                        ; =>    This Inner Loop Header: Depth=3
	flat_load_u16 v98, v[34:35]
	flat_load_u16 v99, v[32:33]
	s_mov_b32 s16, -1
	s_mov_b32 s18, 0
	s_mov_b32 s15, -1
	s_mov_b32 s19, exec_lo
	s_wait_loadcnt_dscnt 0x0
	v_cmpx_nlt_f16_e32 v98, v99
; %bb.1441:                             ;   in Loop: Header=BB1238_1440 Depth=3
	v_cmp_ngt_f16_e64 s1, v98, v99
	s_and_b32 s15, s1, s17
	s_and_b32 s18, s1, exec_lo
	s_or_not1_b32 s15, s15, exec_lo
; %bb.1442:                             ;   in Loop: Header=BB1238_1440 Depth=3
	s_or_b32 exec_lo, exec_lo, s19
	s_delay_alu instid0(SALU_CYCLE_1) | instskip(SKIP_1) | instid1(SALU_CYCLE_1)
	s_and_not1_b32 s1, s14, exec_lo
	s_and_b32 s14, s15, exec_lo
	s_or_b32 s14, s1, s14
	s_and_saveexec_b32 s17, s18
	s_cbranch_execz .LBB1238_1439
; %bb.1443:                             ;   in Loop: Header=BB1238_1440 Depth=3
	v_add_nc_u64_e32 v[36:37], -1, v[36:37]
	v_add_nc_u64_e32 v[32:33], 2, v[32:33]
	v_add_nc_u64_e32 v[34:35], 2, v[34:35]
	s_and_not1_b32 s14, s14, exec_lo
	s_delay_alu instid0(VALU_DEP_3)
	v_cmp_eq_u64_e64 s1, 0, v[36:37]
	s_or_not1_b32 s16, s1, exec_lo
	s_branch .LBB1238_1439
.LBB1238_1444:                          ;   in Loop: Header=BB1238_1433 Depth=1
	s_or_b32 exec_lo, exec_lo, s3
.LBB1238_1445:                          ;   in Loop: Header=BB1238_1433 Depth=1
	s_delay_alu instid0(SALU_CYCLE_1) | instskip(SKIP_1) | instid1(VALU_DEP_1)
	s_or_b32 exec_lo, exec_lo, s2
	v_dual_sub_nc_u32 v30, v86, v87 :: v_dual_add_nc_u32 v24, v87, v85
	v_add_nc_u32_e32 v30, v30, v52
	s_delay_alu instid0(VALU_DEP_2) | instskip(NEXT) | instid1(VALU_DEP_2)
	v_cmp_le_u32_e64 s1, v24, v52
	v_cmp_le_u32_e64 s2, v30, v53
	s_or_b32 s1, s1, s2
	s_delay_alu instid0(SALU_CYCLE_1)
	s_and_saveexec_b32 s11, s1
	s_cbranch_execz .LBB1238_1529
; %bb.1446:                             ;   in Loop: Header=BB1238_1433 Depth=1
	v_cmp_ge_u32_e64 s1, v24, v52
	s_mov_b32 s3, exec_lo
                                        ; implicit-def: $vgpr0_vgpr1
	v_cmpx_lt_u32_e64 v24, v52
; %bb.1447:                             ;   in Loop: Header=BB1238_1433 Depth=1
	v_lshlrev_b32_e32 v0, 3, v24
	ds_load_b64 v[0:1], v0
; %bb.1448:                             ;   in Loop: Header=BB1238_1433 Depth=1
	s_or_b32 exec_lo, exec_lo, s3
	v_cmp_ge_u32_e64 s2, v30, v53
	s_mov_b32 s12, exec_lo
                                        ; implicit-def: $vgpr18_vgpr19
	v_cmpx_lt_u32_e64 v30, v53
; %bb.1449:                             ;   in Loop: Header=BB1238_1433 Depth=1
	v_lshlrev_b32_e32 v2, 3, v30
	ds_load_b64 v[18:19], v2
; %bb.1450:                             ;   in Loop: Header=BB1238_1433 Depth=1
	s_or_b32 exec_lo, exec_lo, s12
	s_or_b32 s3, s1, s2
	s_xor_b32 s1, s1, -1
	s_nor_b32 s12, s3, s0
	s_or_b32 s2, s2, s1
	s_and_saveexec_b32 s3, s12
	s_cbranch_execz .LBB1238_1458
; %bb.1451:                             ;   in Loop: Header=BB1238_1433 Depth=1
	s_wait_dscnt 0x0
	v_mad_nc_u64_u32 v[2:3], v22, v0, v[8:9]
	v_mad_nc_u64_u32 v[10:11], v22, v18, v[8:9]
	v_mov_b64_e32 v[12:13], v[6:7]
	s_mov_b32 s12, 0
                                        ; implicit-def: $sgpr13
                                        ; implicit-def: $sgpr14
                                        ; implicit-def: $sgpr17
	s_delay_alu instid0(VALU_DEP_3) | instskip(NEXT) | instid1(VALU_DEP_3)
	v_mad_u32 v3, v23, v0, v3
	v_mad_u32 v11, v23, v18, v11
	s_delay_alu instid0(VALU_DEP_2) | instskip(NEXT) | instid1(VALU_DEP_2)
	v_mad_u32 v3, v22, v1, v3
	v_mad_u32 v11, v22, v19, v11
	s_branch .LBB1238_1453
.LBB1238_1452:                          ;   in Loop: Header=BB1238_1453 Depth=2
	s_or_b32 exec_lo, exec_lo, s17
	s_delay_alu instid0(SALU_CYCLE_1) | instskip(SKIP_4) | instid1(SALU_CYCLE_1)
	s_and_b32 s1, exec_lo, s16
	s_mov_b32 s17, s15
	s_or_b32 s12, s1, s12
	s_and_not1_b32 s1, s13, exec_lo
	s_and_b32 s13, s14, exec_lo
	s_or_b32 s13, s1, s13
	s_and_not1_b32 exec_lo, exec_lo, s12
	s_cbranch_execz .LBB1238_1457
.LBB1238_1453:                          ;   Parent Loop BB1238_1433 Depth=1
                                        ; =>  This Inner Loop Header: Depth=2
	flat_load_u16 v14, v[10:11]
	flat_load_u16 v15, v[2:3]
	s_mov_b32 s16, -1
	s_mov_b32 s18, 0
	s_mov_b32 s15, -1
	s_mov_b32 s19, exec_lo
	s_wait_loadcnt_dscnt 0x0
	v_cmpx_nlt_f16_e32 v14, v15
; %bb.1454:                             ;   in Loop: Header=BB1238_1453 Depth=2
	v_cmp_ngt_f16_e64 s1, v14, v15
	s_and_b32 s15, s1, s17
	s_and_b32 s18, s1, exec_lo
	s_or_not1_b32 s15, s15, exec_lo
; %bb.1455:                             ;   in Loop: Header=BB1238_1453 Depth=2
	s_or_b32 exec_lo, exec_lo, s19
	s_delay_alu instid0(SALU_CYCLE_1) | instskip(SKIP_1) | instid1(SALU_CYCLE_1)
	s_and_not1_b32 s1, s14, exec_lo
	s_and_b32 s14, s15, exec_lo
	s_or_b32 s14, s1, s14
	s_and_saveexec_b32 s17, s18
	s_cbranch_execz .LBB1238_1452
; %bb.1456:                             ;   in Loop: Header=BB1238_1453 Depth=2
	v_add_nc_u64_e32 v[12:13], -1, v[12:13]
	v_add_nc_u64_e32 v[2:3], 2, v[2:3]
	v_add_nc_u64_e32 v[10:11], 2, v[10:11]
	s_and_not1_b32 s14, s14, exec_lo
	s_delay_alu instid0(VALU_DEP_3)
	v_cmp_eq_u64_e64 s1, 0, v[12:13]
	s_or_not1_b32 s16, s1, exec_lo
	s_branch .LBB1238_1452
.LBB1238_1457:                          ;   in Loop: Header=BB1238_1433 Depth=1
	s_or_b32 exec_lo, exec_lo, s12
	s_xor_b32 s1, s13, -1
	s_and_not1_b32 s2, s2, exec_lo
	s_and_b32 s1, s1, exec_lo
	s_delay_alu instid0(SALU_CYCLE_1)
	s_or_b32 s2, s2, s1
.LBB1238_1458:                          ;   in Loop: Header=BB1238_1433 Depth=1
	s_or_b32 exec_lo, exec_lo, s3
	v_cndmask_b32_e64 v2, v30, v24, s2
	v_cndmask_b32_e64 v3, v53, v52, s2
	s_mov_b32 s12, -1
	s_mov_b32 s3, -1
	s_mov_b32 s13, exec_lo
	v_add_nc_u32_e32 v10, 1, v2
	s_delay_alu instid0(VALU_DEP_1) | instskip(SKIP_1) | instid1(VALU_DEP_2)
	v_add_min_u32_e64 v2, v3, -1, v10
	v_cndmask_b32_e64 v15, v24, v10, s2
	v_lshlrev_b32_e32 v2, 3, v2
	ds_load_b64 v[2:3], v2
	s_wait_dscnt 0x0
	v_dual_cndmask_b32 v14, v10, v30, s2 :: v_dual_cndmask_b32 v21, v1, v3, s2
	v_dual_cndmask_b32 v20, v3, v19, s2 :: v_dual_cndmask_b32 v24, v2, v18, s2
	v_cndmask_b32_e64 v30, v0, v2, s2
	s_delay_alu instid0(VALU_DEP_3)
	v_cmpx_lt_u32_e64 v14, v53
	s_cbranch_execz .LBB1238_1468
; %bb.1459:                             ;   in Loop: Header=BB1238_1433 Depth=1
	v_cmp_lt_u32_e64 s3, v15, v52
	s_and_b32 s1, s3, s5
	s_delay_alu instid0(SALU_CYCLE_1)
	s_and_saveexec_b32 s14, s1
	s_cbranch_execz .LBB1238_1467
; %bb.1460:                             ;   in Loop: Header=BB1238_1433 Depth=1
	v_mad_nc_u64_u32 v[2:3], v22, v30, v[8:9]
	v_mad_nc_u64_u32 v[10:11], v22, v24, v[8:9]
	v_mov_b64_e32 v[12:13], v[6:7]
	s_mov_b32 s15, 0
                                        ; implicit-def: $sgpr16
                                        ; implicit-def: $sgpr17
                                        ; implicit-def: $sgpr20
	s_delay_alu instid0(VALU_DEP_3) | instskip(NEXT) | instid1(VALU_DEP_3)
	v_mad_u32 v3, v23, v30, v3
	v_mad_u32 v11, v23, v24, v11
	s_delay_alu instid0(VALU_DEP_2) | instskip(NEXT) | instid1(VALU_DEP_2)
	v_mad_u32 v3, v22, v21, v3
	v_mad_u32 v11, v22, v20, v11
	s_branch .LBB1238_1462
.LBB1238_1461:                          ;   in Loop: Header=BB1238_1462 Depth=2
	s_or_b32 exec_lo, exec_lo, s20
	s_delay_alu instid0(SALU_CYCLE_1) | instskip(SKIP_4) | instid1(SALU_CYCLE_1)
	s_and_b32 s1, exec_lo, s19
	s_mov_b32 s20, s18
	s_or_b32 s15, s1, s15
	s_and_not1_b32 s1, s16, exec_lo
	s_and_b32 s16, s17, exec_lo
	s_or_b32 s16, s1, s16
	s_and_not1_b32 exec_lo, exec_lo, s15
	s_cbranch_execz .LBB1238_1466
.LBB1238_1462:                          ;   Parent Loop BB1238_1433 Depth=1
                                        ; =>  This Inner Loop Header: Depth=2
	flat_load_u16 v16, v[10:11]
	flat_load_u16 v17, v[2:3]
	s_mov_b32 s19, -1
	s_mov_b32 s21, 0
	s_mov_b32 s18, -1
	s_mov_b32 s22, exec_lo
	s_wait_loadcnt_dscnt 0x0
	v_cmpx_nlt_f16_e32 v16, v17
; %bb.1463:                             ;   in Loop: Header=BB1238_1462 Depth=2
	v_cmp_ngt_f16_e64 s1, v16, v17
	s_and_b32 s18, s1, s20
	s_and_b32 s21, s1, exec_lo
	s_or_not1_b32 s18, s18, exec_lo
; %bb.1464:                             ;   in Loop: Header=BB1238_1462 Depth=2
	s_or_b32 exec_lo, exec_lo, s22
	s_delay_alu instid0(SALU_CYCLE_1) | instskip(SKIP_1) | instid1(SALU_CYCLE_1)
	s_and_not1_b32 s1, s17, exec_lo
	s_and_b32 s17, s18, exec_lo
	s_or_b32 s17, s1, s17
	s_and_saveexec_b32 s20, s21
	s_cbranch_execz .LBB1238_1461
; %bb.1465:                             ;   in Loop: Header=BB1238_1462 Depth=2
	v_add_nc_u64_e32 v[12:13], -1, v[12:13]
	v_add_nc_u64_e32 v[2:3], 2, v[2:3]
	v_add_nc_u64_e32 v[10:11], 2, v[10:11]
	s_and_not1_b32 s17, s17, exec_lo
	s_delay_alu instid0(VALU_DEP_3)
	v_cmp_eq_u64_e64 s1, 0, v[12:13]
	s_or_not1_b32 s19, s1, exec_lo
	s_branch .LBB1238_1461
.LBB1238_1466:                          ;   in Loop: Header=BB1238_1433 Depth=1
	s_or_b32 exec_lo, exec_lo, s15
	s_xor_b32 s1, s16, -1
	s_and_not1_b32 s3, s3, exec_lo
	s_and_b32 s1, s1, exec_lo
	s_delay_alu instid0(SALU_CYCLE_1)
	s_or_b32 s3, s3, s1
.LBB1238_1467:                          ;   in Loop: Header=BB1238_1433 Depth=1
	s_or_b32 exec_lo, exec_lo, s14
	s_delay_alu instid0(SALU_CYCLE_1)
	s_or_not1_b32 s3, s3, exec_lo
.LBB1238_1468:                          ;   in Loop: Header=BB1238_1433 Depth=1
	s_or_b32 exec_lo, exec_lo, s13
	v_dual_cndmask_b32 v2, v14, v15, s3 :: v_dual_cndmask_b32 v3, v53, v52, s3
	s_mov_b32 s13, exec_lo
	s_delay_alu instid0(VALU_DEP_1) | instskip(NEXT) | instid1(VALU_DEP_1)
	v_add_nc_u32_e32 v10, 1, v2
	v_add_min_u32_e64 v2, v3, -1, v10
	s_delay_alu instid0(VALU_DEP_1)
	v_lshlrev_b32_e32 v2, 3, v2
	ds_load_b64 v[2:3], v2
	v_cndmask_b32_e64 v14, v10, v14, s3
	s_wait_dscnt 0x0
	v_dual_cndmask_b32 v15, v15, v10, s3 :: v_dual_cndmask_b32 v33, v2, v24, s3
	v_dual_cndmask_b32 v32, v3, v20, s3 :: v_dual_cndmask_b32 v34, v21, v3, s3
	v_cndmask_b32_e64 v35, v30, v2, s3
	v_cmpx_lt_u32_e64 v14, v53
	s_cbranch_execz .LBB1238_1478
; %bb.1469:                             ;   in Loop: Header=BB1238_1433 Depth=1
	v_cmp_lt_u32_e64 s12, v15, v52
	s_and_b32 s1, s12, s5
	s_delay_alu instid0(SALU_CYCLE_1)
	s_and_saveexec_b32 s14, s1
	s_cbranch_execz .LBB1238_1477
; %bb.1470:                             ;   in Loop: Header=BB1238_1433 Depth=1
	v_mad_nc_u64_u32 v[2:3], v22, v35, v[8:9]
	v_mad_nc_u64_u32 v[10:11], v22, v33, v[8:9]
	v_mov_b64_e32 v[12:13], v[6:7]
	s_mov_b32 s15, 0
                                        ; implicit-def: $sgpr16
                                        ; implicit-def: $sgpr17
                                        ; implicit-def: $sgpr20
	s_delay_alu instid0(VALU_DEP_3) | instskip(NEXT) | instid1(VALU_DEP_3)
	v_mad_u32 v3, v23, v35, v3
	v_mad_u32 v11, v23, v33, v11
	s_delay_alu instid0(VALU_DEP_2) | instskip(NEXT) | instid1(VALU_DEP_2)
	v_mad_u32 v3, v22, v34, v3
	v_mad_u32 v11, v22, v32, v11
	s_branch .LBB1238_1472
.LBB1238_1471:                          ;   in Loop: Header=BB1238_1472 Depth=2
	s_or_b32 exec_lo, exec_lo, s20
	s_delay_alu instid0(SALU_CYCLE_1) | instskip(SKIP_4) | instid1(SALU_CYCLE_1)
	s_and_b32 s1, exec_lo, s19
	s_mov_b32 s20, s18
	s_or_b32 s15, s1, s15
	s_and_not1_b32 s1, s16, exec_lo
	s_and_b32 s16, s17, exec_lo
	s_or_b32 s16, s1, s16
	s_and_not1_b32 exec_lo, exec_lo, s15
	s_cbranch_execz .LBB1238_1476
.LBB1238_1472:                          ;   Parent Loop BB1238_1433 Depth=1
                                        ; =>  This Inner Loop Header: Depth=2
	flat_load_u16 v16, v[10:11]
	flat_load_u16 v17, v[2:3]
	s_mov_b32 s19, -1
	s_mov_b32 s21, 0
	s_mov_b32 s18, -1
	s_mov_b32 s22, exec_lo
	s_wait_loadcnt_dscnt 0x0
	v_cmpx_nlt_f16_e32 v16, v17
; %bb.1473:                             ;   in Loop: Header=BB1238_1472 Depth=2
	v_cmp_ngt_f16_e64 s1, v16, v17
	s_and_b32 s18, s1, s20
	s_and_b32 s21, s1, exec_lo
	s_or_not1_b32 s18, s18, exec_lo
; %bb.1474:                             ;   in Loop: Header=BB1238_1472 Depth=2
	s_or_b32 exec_lo, exec_lo, s22
	s_delay_alu instid0(SALU_CYCLE_1) | instskip(SKIP_1) | instid1(SALU_CYCLE_1)
	s_and_not1_b32 s1, s17, exec_lo
	s_and_b32 s17, s18, exec_lo
	s_or_b32 s17, s1, s17
	s_and_saveexec_b32 s20, s21
	s_cbranch_execz .LBB1238_1471
; %bb.1475:                             ;   in Loop: Header=BB1238_1472 Depth=2
	v_add_nc_u64_e32 v[12:13], -1, v[12:13]
	v_add_nc_u64_e32 v[2:3], 2, v[2:3]
	v_add_nc_u64_e32 v[10:11], 2, v[10:11]
	s_and_not1_b32 s17, s17, exec_lo
	s_delay_alu instid0(VALU_DEP_3)
	v_cmp_eq_u64_e64 s1, 0, v[12:13]
	s_or_not1_b32 s19, s1, exec_lo
	s_branch .LBB1238_1471
.LBB1238_1476:                          ;   in Loop: Header=BB1238_1433 Depth=1
	s_or_b32 exec_lo, exec_lo, s15
	s_xor_b32 s1, s16, -1
	s_and_not1_b32 s12, s12, exec_lo
	s_and_b32 s1, s1, exec_lo
	s_delay_alu instid0(SALU_CYCLE_1)
	s_or_b32 s12, s12, s1
.LBB1238_1477:                          ;   in Loop: Header=BB1238_1433 Depth=1
	s_or_b32 exec_lo, exec_lo, s14
	s_delay_alu instid0(SALU_CYCLE_1)
	s_or_not1_b32 s12, s12, exec_lo
.LBB1238_1478:                          ;   in Loop: Header=BB1238_1433 Depth=1
	s_or_b32 exec_lo, exec_lo, s13
	v_dual_cndmask_b32 v2, v14, v15, s12 :: v_dual_cndmask_b32 v3, v53, v52, s12
	s_mov_b32 s14, -1
	s_mov_b32 s13, -1
	s_mov_b32 s15, exec_lo
	s_delay_alu instid0(VALU_DEP_1) | instskip(NEXT) | instid1(VALU_DEP_1)
	v_add_nc_u32_e32 v10, 1, v2
	v_add_min_u32_e64 v2, v3, -1, v10
	s_delay_alu instid0(VALU_DEP_1)
	v_lshlrev_b32_e32 v2, 3, v2
	ds_load_b64 v[2:3], v2
	v_cndmask_b32_e64 v14, v10, v14, s12
	s_wait_dscnt 0x0
	v_dual_cndmask_b32 v15, v15, v10, s12 :: v_dual_cndmask_b32 v36, v2, v33, s12
	v_dual_cndmask_b32 v16, v3, v32, s12 :: v_dual_cndmask_b32 v17, v34, v3, s12
	v_cndmask_b32_e64 v37, v35, v2, s12
	v_cmpx_lt_u32_e64 v14, v53
	s_cbranch_execz .LBB1238_1488
; %bb.1479:                             ;   in Loop: Header=BB1238_1433 Depth=1
	v_cmp_lt_u32_e64 s13, v15, v52
	s_and_b32 s1, s13, s5
	s_delay_alu instid0(SALU_CYCLE_1)
	s_and_saveexec_b32 s16, s1
	s_cbranch_execz .LBB1238_1487
; %bb.1480:                             ;   in Loop: Header=BB1238_1433 Depth=1
	v_mad_nc_u64_u32 v[2:3], v22, v37, v[8:9]
	v_mad_nc_u64_u32 v[10:11], v22, v36, v[8:9]
	v_mov_b64_e32 v[12:13], v[6:7]
	s_mov_b32 s17, 0
                                        ; implicit-def: $sgpr18
                                        ; implicit-def: $sgpr19
                                        ; implicit-def: $sgpr22
	s_delay_alu instid0(VALU_DEP_3) | instskip(NEXT) | instid1(VALU_DEP_3)
	v_mad_u32 v3, v23, v37, v3
	v_mad_u32 v11, v23, v36, v11
	s_delay_alu instid0(VALU_DEP_2) | instskip(NEXT) | instid1(VALU_DEP_2)
	v_mad_u32 v3, v22, v17, v3
	v_mad_u32 v11, v22, v16, v11
	s_branch .LBB1238_1482
.LBB1238_1481:                          ;   in Loop: Header=BB1238_1482 Depth=2
	s_or_b32 exec_lo, exec_lo, s22
	s_delay_alu instid0(SALU_CYCLE_1) | instskip(SKIP_4) | instid1(SALU_CYCLE_1)
	s_and_b32 s1, exec_lo, s21
	s_mov_b32 s22, s20
	s_or_b32 s17, s1, s17
	s_and_not1_b32 s1, s18, exec_lo
	s_and_b32 s18, s19, exec_lo
	s_or_b32 s18, s1, s18
	s_and_not1_b32 exec_lo, exec_lo, s17
	s_cbranch_execz .LBB1238_1486
.LBB1238_1482:                          ;   Parent Loop BB1238_1433 Depth=1
                                        ; =>  This Inner Loop Header: Depth=2
	flat_load_u16 v85, v[10:11]
	flat_load_u16 v86, v[2:3]
	s_mov_b32 s21, -1
	s_mov_b32 s23, 0
	s_mov_b32 s20, -1
	s_mov_b32 s24, exec_lo
	s_wait_loadcnt_dscnt 0x0
	v_cmpx_nlt_f16_e32 v85, v86
; %bb.1483:                             ;   in Loop: Header=BB1238_1482 Depth=2
	v_cmp_ngt_f16_e64 s1, v85, v86
	s_and_b32 s20, s1, s22
	s_and_b32 s23, s1, exec_lo
	s_or_not1_b32 s20, s20, exec_lo
; %bb.1484:                             ;   in Loop: Header=BB1238_1482 Depth=2
	s_or_b32 exec_lo, exec_lo, s24
	s_delay_alu instid0(SALU_CYCLE_1) | instskip(SKIP_1) | instid1(SALU_CYCLE_1)
	s_and_not1_b32 s1, s19, exec_lo
	s_and_b32 s19, s20, exec_lo
	s_or_b32 s19, s1, s19
	s_and_saveexec_b32 s22, s23
	s_cbranch_execz .LBB1238_1481
; %bb.1485:                             ;   in Loop: Header=BB1238_1482 Depth=2
	v_add_nc_u64_e32 v[12:13], -1, v[12:13]
	v_add_nc_u64_e32 v[2:3], 2, v[2:3]
	v_add_nc_u64_e32 v[10:11], 2, v[10:11]
	s_and_not1_b32 s19, s19, exec_lo
	s_delay_alu instid0(VALU_DEP_3)
	v_cmp_eq_u64_e64 s1, 0, v[12:13]
	s_or_not1_b32 s21, s1, exec_lo
	s_branch .LBB1238_1481
.LBB1238_1486:                          ;   in Loop: Header=BB1238_1433 Depth=1
	s_or_b32 exec_lo, exec_lo, s17
	s_xor_b32 s1, s18, -1
	s_and_not1_b32 s13, s13, exec_lo
	s_and_b32 s1, s1, exec_lo
	s_delay_alu instid0(SALU_CYCLE_1)
	s_or_b32 s13, s13, s1
.LBB1238_1487:                          ;   in Loop: Header=BB1238_1433 Depth=1
	s_or_b32 exec_lo, exec_lo, s16
	s_delay_alu instid0(SALU_CYCLE_1)
	s_or_not1_b32 s13, s13, exec_lo
.LBB1238_1488:                          ;   in Loop: Header=BB1238_1433 Depth=1
	s_or_b32 exec_lo, exec_lo, s15
	v_dual_cndmask_b32 v2, v14, v15, s13 :: v_dual_cndmask_b32 v3, v53, v52, s13
	s_mov_b32 s15, exec_lo
	s_delay_alu instid0(VALU_DEP_1) | instskip(NEXT) | instid1(VALU_DEP_1)
	v_add_nc_u32_e32 v10, 1, v2
	v_add_min_u32_e64 v2, v3, -1, v10
	s_delay_alu instid0(VALU_DEP_1)
	v_lshlrev_b32_e32 v2, 3, v2
	ds_load_b64 v[2:3], v2
	v_cndmask_b32_e64 v14, v10, v14, s13
	s_wait_dscnt 0x0
	v_dual_cndmask_b32 v15, v15, v10, s13 :: v_dual_cndmask_b32 v86, v2, v36, s13
	v_dual_cndmask_b32 v85, v3, v16, s13 :: v_dual_cndmask_b32 v87, v17, v3, s13
	v_cndmask_b32_e64 v96, v37, v2, s13
	v_cmpx_lt_u32_e64 v14, v53
	s_cbranch_execz .LBB1238_1498
; %bb.1489:                             ;   in Loop: Header=BB1238_1433 Depth=1
	v_cmp_lt_u32_e64 s14, v15, v52
	s_and_b32 s1, s14, s5
	s_delay_alu instid0(SALU_CYCLE_1)
	s_and_saveexec_b32 s16, s1
	s_cbranch_execz .LBB1238_1497
; %bb.1490:                             ;   in Loop: Header=BB1238_1433 Depth=1
	v_mad_nc_u64_u32 v[2:3], v22, v96, v[8:9]
	v_mad_nc_u64_u32 v[10:11], v22, v86, v[8:9]
	v_mov_b64_e32 v[12:13], v[6:7]
	s_mov_b32 s17, 0
                                        ; implicit-def: $sgpr18
                                        ; implicit-def: $sgpr19
                                        ; implicit-def: $sgpr22
	s_delay_alu instid0(VALU_DEP_3) | instskip(NEXT) | instid1(VALU_DEP_3)
	v_mad_u32 v3, v23, v96, v3
	v_mad_u32 v11, v23, v86, v11
	s_delay_alu instid0(VALU_DEP_2) | instskip(NEXT) | instid1(VALU_DEP_2)
	v_mad_u32 v3, v22, v87, v3
	v_mad_u32 v11, v22, v85, v11
	s_branch .LBB1238_1492
.LBB1238_1491:                          ;   in Loop: Header=BB1238_1492 Depth=2
	s_or_b32 exec_lo, exec_lo, s22
	s_delay_alu instid0(SALU_CYCLE_1) | instskip(SKIP_4) | instid1(SALU_CYCLE_1)
	s_and_b32 s1, exec_lo, s21
	s_mov_b32 s22, s20
	s_or_b32 s17, s1, s17
	s_and_not1_b32 s1, s18, exec_lo
	s_and_b32 s18, s19, exec_lo
	s_or_b32 s18, s1, s18
	s_and_not1_b32 exec_lo, exec_lo, s17
	s_cbranch_execz .LBB1238_1496
.LBB1238_1492:                          ;   Parent Loop BB1238_1433 Depth=1
                                        ; =>  This Inner Loop Header: Depth=2
	flat_load_u16 v97, v[10:11]
	flat_load_u16 v98, v[2:3]
	s_mov_b32 s21, -1
	s_mov_b32 s23, 0
	s_mov_b32 s20, -1
	s_mov_b32 s24, exec_lo
	s_wait_loadcnt_dscnt 0x0
	v_cmpx_nlt_f16_e32 v97, v98
; %bb.1493:                             ;   in Loop: Header=BB1238_1492 Depth=2
	v_cmp_ngt_f16_e64 s1, v97, v98
	s_and_b32 s20, s1, s22
	s_and_b32 s23, s1, exec_lo
	s_or_not1_b32 s20, s20, exec_lo
; %bb.1494:                             ;   in Loop: Header=BB1238_1492 Depth=2
	s_or_b32 exec_lo, exec_lo, s24
	s_delay_alu instid0(SALU_CYCLE_1) | instskip(SKIP_1) | instid1(SALU_CYCLE_1)
	s_and_not1_b32 s1, s19, exec_lo
	s_and_b32 s19, s20, exec_lo
	s_or_b32 s19, s1, s19
	s_and_saveexec_b32 s22, s23
	s_cbranch_execz .LBB1238_1491
; %bb.1495:                             ;   in Loop: Header=BB1238_1492 Depth=2
	v_add_nc_u64_e32 v[12:13], -1, v[12:13]
	v_add_nc_u64_e32 v[2:3], 2, v[2:3]
	v_add_nc_u64_e32 v[10:11], 2, v[10:11]
	s_and_not1_b32 s19, s19, exec_lo
	s_delay_alu instid0(VALU_DEP_3)
	v_cmp_eq_u64_e64 s1, 0, v[12:13]
	s_or_not1_b32 s21, s1, exec_lo
	s_branch .LBB1238_1491
.LBB1238_1496:                          ;   in Loop: Header=BB1238_1433 Depth=1
	s_or_b32 exec_lo, exec_lo, s17
	s_xor_b32 s1, s18, -1
	s_and_not1_b32 s14, s14, exec_lo
	s_and_b32 s1, s1, exec_lo
	s_delay_alu instid0(SALU_CYCLE_1)
	s_or_b32 s14, s14, s1
.LBB1238_1497:                          ;   in Loop: Header=BB1238_1433 Depth=1
	s_or_b32 exec_lo, exec_lo, s16
	s_delay_alu instid0(SALU_CYCLE_1)
	s_or_not1_b32 s14, s14, exec_lo
.LBB1238_1498:                          ;   in Loop: Header=BB1238_1433 Depth=1
	s_or_b32 exec_lo, exec_lo, s15
	v_dual_cndmask_b32 v2, v14, v15, s14 :: v_dual_cndmask_b32 v3, v53, v52, s14
	s_mov_b32 s15, -1
	s_mov_b32 s16, -1
	s_mov_b32 s17, exec_lo
	s_delay_alu instid0(VALU_DEP_1) | instskip(NEXT) | instid1(VALU_DEP_1)
	v_add_nc_u32_e32 v10, 1, v2
	v_add_min_u32_e64 v2, v3, -1, v10
	s_delay_alu instid0(VALU_DEP_1)
	v_lshlrev_b32_e32 v2, 3, v2
	v_cndmask_b32_e64 v15, v15, v10, s14
	ds_load_b64 v[2:3], v2
	s_wait_dscnt 0x0
	v_dual_cndmask_b32 v14, v10, v14, s14 :: v_dual_cndmask_b32 v97, v3, v85, s14
	v_dual_cndmask_b32 v98, v2, v86, s14 :: v_dual_cndmask_b32 v99, v87, v3, s14
	v_cndmask_b32_e64 v100, v96, v2, s14
	s_delay_alu instid0(VALU_DEP_3)
	v_cmpx_lt_u32_e64 v14, v53
	s_cbranch_execz .LBB1238_1508
; %bb.1499:                             ;   in Loop: Header=BB1238_1433 Depth=1
	v_cmp_lt_u32_e64 s16, v15, v52
	s_and_b32 s1, s16, s5
	s_delay_alu instid0(SALU_CYCLE_1)
	s_and_saveexec_b32 s18, s1
	s_cbranch_execz .LBB1238_1507
; %bb.1500:                             ;   in Loop: Header=BB1238_1433 Depth=1
	v_mad_nc_u64_u32 v[2:3], v22, v100, v[8:9]
	v_mad_nc_u64_u32 v[10:11], v22, v98, v[8:9]
	v_mov_b64_e32 v[12:13], v[6:7]
	s_mov_b32 s19, 0
                                        ; implicit-def: $sgpr20
                                        ; implicit-def: $sgpr21
                                        ; implicit-def: $sgpr24
	s_delay_alu instid0(VALU_DEP_3) | instskip(NEXT) | instid1(VALU_DEP_3)
	v_mad_u32 v3, v23, v100, v3
	v_mad_u32 v11, v23, v98, v11
	s_delay_alu instid0(VALU_DEP_2) | instskip(NEXT) | instid1(VALU_DEP_2)
	v_mad_u32 v3, v22, v99, v3
	v_mad_u32 v11, v22, v97, v11
	s_branch .LBB1238_1502
.LBB1238_1501:                          ;   in Loop: Header=BB1238_1502 Depth=2
	s_or_b32 exec_lo, exec_lo, s24
	s_delay_alu instid0(SALU_CYCLE_1) | instskip(SKIP_4) | instid1(SALU_CYCLE_1)
	s_and_b32 s1, exec_lo, s23
	s_mov_b32 s24, s22
	s_or_b32 s19, s1, s19
	s_and_not1_b32 s1, s20, exec_lo
	s_and_b32 s20, s21, exec_lo
	s_or_b32 s20, s1, s20
	s_and_not1_b32 exec_lo, exec_lo, s19
	s_cbranch_execz .LBB1238_1506
.LBB1238_1502:                          ;   Parent Loop BB1238_1433 Depth=1
                                        ; =>  This Inner Loop Header: Depth=2
	flat_load_u16 v101, v[10:11]
	flat_load_u16 v102, v[2:3]
	s_mov_b32 s23, -1
	s_mov_b32 s25, 0
	s_mov_b32 s22, -1
	s_mov_b32 s26, exec_lo
	s_wait_loadcnt_dscnt 0x0
	v_cmpx_nlt_f16_e32 v101, v102
; %bb.1503:                             ;   in Loop: Header=BB1238_1502 Depth=2
	v_cmp_ngt_f16_e64 s1, v101, v102
	s_and_b32 s22, s1, s24
	s_and_b32 s25, s1, exec_lo
	s_or_not1_b32 s22, s22, exec_lo
; %bb.1504:                             ;   in Loop: Header=BB1238_1502 Depth=2
	s_or_b32 exec_lo, exec_lo, s26
	s_delay_alu instid0(SALU_CYCLE_1) | instskip(SKIP_1) | instid1(SALU_CYCLE_1)
	s_and_not1_b32 s1, s21, exec_lo
	s_and_b32 s21, s22, exec_lo
	s_or_b32 s21, s1, s21
	s_and_saveexec_b32 s24, s25
	s_cbranch_execz .LBB1238_1501
; %bb.1505:                             ;   in Loop: Header=BB1238_1502 Depth=2
	v_add_nc_u64_e32 v[12:13], -1, v[12:13]
	v_add_nc_u64_e32 v[2:3], 2, v[2:3]
	v_add_nc_u64_e32 v[10:11], 2, v[10:11]
	s_and_not1_b32 s21, s21, exec_lo
	s_delay_alu instid0(VALU_DEP_3)
	v_cmp_eq_u64_e64 s1, 0, v[12:13]
	s_or_not1_b32 s23, s1, exec_lo
	s_branch .LBB1238_1501
.LBB1238_1506:                          ;   in Loop: Header=BB1238_1433 Depth=1
	s_or_b32 exec_lo, exec_lo, s19
	s_xor_b32 s1, s20, -1
	s_and_not1_b32 s16, s16, exec_lo
	s_and_b32 s1, s1, exec_lo
	s_delay_alu instid0(SALU_CYCLE_1)
	s_or_b32 s16, s16, s1
.LBB1238_1507:                          ;   in Loop: Header=BB1238_1433 Depth=1
	s_or_b32 exec_lo, exec_lo, s18
	s_delay_alu instid0(SALU_CYCLE_1)
	s_or_not1_b32 s16, s16, exec_lo
.LBB1238_1508:                          ;   in Loop: Header=BB1238_1433 Depth=1
	s_or_b32 exec_lo, exec_lo, s17
	v_dual_cndmask_b32 v2, v14, v15, s16 :: v_dual_cndmask_b32 v3, v53, v52, s16
	s_mov_b32 s17, exec_lo
	s_delay_alu instid0(VALU_DEP_1) | instskip(NEXT) | instid1(VALU_DEP_1)
	v_add_nc_u32_e32 v10, 1, v2
	v_add_min_u32_e64 v2, v3, -1, v10
	s_delay_alu instid0(VALU_DEP_1)
	v_lshlrev_b32_e32 v2, 3, v2
	ds_load_b64 v[2:3], v2
	v_cndmask_b32_e64 v113, v10, v14, s16
	v_cndmask_b32_e64 v14, v15, v10, s16
	s_wait_dscnt 0x0
	v_dual_cndmask_b32 v101, v3, v97, s16 :: v_dual_cndmask_b32 v102, v2, v98, s16
	v_dual_cndmask_b32 v103, v99, v3, s16 :: v_dual_cndmask_b32 v112, v100, v2, s16
	v_cmpx_lt_u32_e64 v113, v53
	s_cbranch_execz .LBB1238_1518
; %bb.1509:                             ;   in Loop: Header=BB1238_1433 Depth=1
	v_cmp_lt_u32_e64 s15, v14, v52
	s_and_b32 s1, s15, s5
	s_delay_alu instid0(SALU_CYCLE_1)
	s_and_saveexec_b32 s18, s1
	s_cbranch_execz .LBB1238_1517
; %bb.1510:                             ;   in Loop: Header=BB1238_1433 Depth=1
	v_mad_nc_u64_u32 v[2:3], v22, v112, v[8:9]
	v_mad_nc_u64_u32 v[10:11], v22, v102, v[8:9]
	v_mov_b64_e32 v[12:13], v[6:7]
	s_mov_b32 s19, 0
                                        ; implicit-def: $sgpr20
                                        ; implicit-def: $sgpr21
                                        ; implicit-def: $sgpr24
	s_delay_alu instid0(VALU_DEP_3) | instskip(NEXT) | instid1(VALU_DEP_3)
	v_mad_u32 v3, v23, v112, v3
	v_mad_u32 v11, v23, v102, v11
	s_delay_alu instid0(VALU_DEP_2) | instskip(NEXT) | instid1(VALU_DEP_2)
	v_mad_u32 v3, v22, v103, v3
	v_mad_u32 v11, v22, v101, v11
	s_branch .LBB1238_1512
.LBB1238_1511:                          ;   in Loop: Header=BB1238_1512 Depth=2
	s_or_b32 exec_lo, exec_lo, s24
	s_delay_alu instid0(SALU_CYCLE_1) | instskip(SKIP_4) | instid1(SALU_CYCLE_1)
	s_and_b32 s1, exec_lo, s23
	s_mov_b32 s24, s22
	s_or_b32 s19, s1, s19
	s_and_not1_b32 s1, s20, exec_lo
	s_and_b32 s20, s21, exec_lo
	s_or_b32 s20, s1, s20
	s_and_not1_b32 exec_lo, exec_lo, s19
	s_cbranch_execz .LBB1238_1516
.LBB1238_1512:                          ;   Parent Loop BB1238_1433 Depth=1
                                        ; =>  This Inner Loop Header: Depth=2
	flat_load_u16 v15, v[10:11]
	flat_load_u16 v114, v[2:3]
	s_mov_b32 s23, -1
	s_mov_b32 s25, 0
	s_mov_b32 s22, -1
	s_mov_b32 s26, exec_lo
	s_wait_loadcnt_dscnt 0x0
	v_cmpx_nlt_f16_e32 v15, v114
; %bb.1513:                             ;   in Loop: Header=BB1238_1512 Depth=2
	v_cmp_ngt_f16_e64 s1, v15, v114
	s_and_b32 s22, s1, s24
	s_and_b32 s25, s1, exec_lo
	s_or_not1_b32 s22, s22, exec_lo
; %bb.1514:                             ;   in Loop: Header=BB1238_1512 Depth=2
	s_or_b32 exec_lo, exec_lo, s26
	s_delay_alu instid0(SALU_CYCLE_1) | instskip(SKIP_1) | instid1(SALU_CYCLE_1)
	s_and_not1_b32 s1, s21, exec_lo
	s_and_b32 s21, s22, exec_lo
	s_or_b32 s21, s1, s21
	s_and_saveexec_b32 s24, s25
	s_cbranch_execz .LBB1238_1511
; %bb.1515:                             ;   in Loop: Header=BB1238_1512 Depth=2
	v_add_nc_u64_e32 v[12:13], -1, v[12:13]
	v_add_nc_u64_e32 v[2:3], 2, v[2:3]
	v_add_nc_u64_e32 v[10:11], 2, v[10:11]
	s_and_not1_b32 s21, s21, exec_lo
	s_delay_alu instid0(VALU_DEP_3)
	v_cmp_eq_u64_e64 s1, 0, v[12:13]
	s_or_not1_b32 s23, s1, exec_lo
	s_branch .LBB1238_1511
.LBB1238_1516:                          ;   in Loop: Header=BB1238_1433 Depth=1
	s_or_b32 exec_lo, exec_lo, s19
	s_xor_b32 s1, s20, -1
	s_and_not1_b32 s15, s15, exec_lo
	s_and_b32 s1, s1, exec_lo
	s_delay_alu instid0(SALU_CYCLE_1)
	s_or_b32 s15, s15, s1
.LBB1238_1517:                          ;   in Loop: Header=BB1238_1433 Depth=1
	s_or_b32 exec_lo, exec_lo, s18
	s_delay_alu instid0(SALU_CYCLE_1)
	s_or_not1_b32 s15, s15, exec_lo
.LBB1238_1518:                          ;   in Loop: Header=BB1238_1433 Depth=1
	s_or_b32 exec_lo, exec_lo, s17
	v_cndmask_b32_e64 v2, v113, v14, s15
	v_cndmask_b32_e64 v3, v53, v52, s15
	s_mov_b32 s17, exec_lo
	s_delay_alu instid0(VALU_DEP_2) | instskip(NEXT) | instid1(VALU_DEP_1)
	v_add_nc_u32_e32 v12, 1, v2
	v_add_min_u32_e64 v2, v3, -1, v12
	s_delay_alu instid0(VALU_DEP_1)
	v_dual_cndmask_b32 v13, v12, v113, s15 :: v_dual_lshlrev_b32 v2, 3, v2
	ds_load_b64 v[10:11], v2
	s_wait_dscnt 0x0
	v_dual_cndmask_b32 v3, v103, v11, s15 :: v_dual_cndmask_b32 v2, v112, v10, s15
	v_cmpx_lt_u32_e64 v13, v53
	s_cbranch_execz .LBB1238_1528
; %bb.1519:                             ;   in Loop: Header=BB1238_1433 Depth=1
	v_dual_cndmask_b32 v12, v14, v12, s15 :: v_dual_cndmask_b32 v53, v11, v101, s15
	s_delay_alu instid0(VALU_DEP_1) | instskip(NEXT) | instid1(VALU_DEP_1)
	v_cmp_ge_u32_e64 s1, v12, v52
	v_dual_cndmask_b32 v113, v10, v102, s15 :: v_dual_cndmask_b32 v11, v3, v53, s1
	s_delay_alu instid0(VALU_DEP_1) | instskip(SKIP_1) | instid1(SALU_CYCLE_1)
	v_cndmask_b32_e64 v10, v2, v113, s1
	s_nor_b32 s1, s1, s0
	s_and_saveexec_b32 s18, s1
	s_cbranch_execz .LBB1238_1527
; %bb.1520:                             ;   in Loop: Header=BB1238_1433 Depth=1
	v_mad_nc_u64_u32 v[10:11], v22, v2, v[8:9]
	v_mad_nc_u64_u32 v[12:13], v22, v113, v[8:9]
	v_mov_b64_e32 v[14:15], v[6:7]
	s_mov_b32 s19, 0
                                        ; implicit-def: $sgpr20
                                        ; implicit-def: $sgpr21
                                        ; implicit-def: $sgpr24
	s_delay_alu instid0(VALU_DEP_3) | instskip(NEXT) | instid1(VALU_DEP_3)
	v_mad_u32 v11, v23, v2, v11
	v_mad_u32 v13, v23, v113, v13
	s_delay_alu instid0(VALU_DEP_2) | instskip(NEXT) | instid1(VALU_DEP_2)
	v_mad_u32 v11, v22, v3, v11
	v_mad_u32 v13, v22, v53, v13
	s_branch .LBB1238_1522
.LBB1238_1521:                          ;   in Loop: Header=BB1238_1522 Depth=2
	s_or_b32 exec_lo, exec_lo, s24
	s_delay_alu instid0(SALU_CYCLE_1) | instskip(SKIP_4) | instid1(SALU_CYCLE_1)
	s_and_b32 s1, exec_lo, s23
	s_mov_b32 s24, s22
	s_or_b32 s19, s1, s19
	s_and_not1_b32 s1, s20, exec_lo
	s_and_b32 s20, s21, exec_lo
	s_or_b32 s20, s1, s20
	s_and_not1_b32 exec_lo, exec_lo, s19
	s_cbranch_execz .LBB1238_1526
.LBB1238_1522:                          ;   Parent Loop BB1238_1433 Depth=1
                                        ; =>  This Inner Loop Header: Depth=2
	flat_load_u16 v52, v[12:13]
	flat_load_u16 v114, v[10:11]
	s_mov_b32 s23, -1
	s_mov_b32 s25, 0
	s_mov_b32 s22, -1
	s_mov_b32 s26, exec_lo
	s_wait_loadcnt_dscnt 0x0
	v_cmpx_nlt_f16_e32 v52, v114
; %bb.1523:                             ;   in Loop: Header=BB1238_1522 Depth=2
	v_cmp_ngt_f16_e64 s1, v52, v114
	s_and_b32 s22, s1, s24
	s_and_b32 s25, s1, exec_lo
	s_or_not1_b32 s22, s22, exec_lo
; %bb.1524:                             ;   in Loop: Header=BB1238_1522 Depth=2
	s_or_b32 exec_lo, exec_lo, s26
	s_delay_alu instid0(SALU_CYCLE_1) | instskip(SKIP_1) | instid1(SALU_CYCLE_1)
	s_and_not1_b32 s1, s21, exec_lo
	s_and_b32 s21, s22, exec_lo
	s_or_b32 s21, s1, s21
	s_and_saveexec_b32 s24, s25
	s_cbranch_execz .LBB1238_1521
; %bb.1525:                             ;   in Loop: Header=BB1238_1522 Depth=2
	v_add_nc_u64_e32 v[14:15], -1, v[14:15]
	v_add_nc_u64_e32 v[10:11], 2, v[10:11]
	v_add_nc_u64_e32 v[12:13], 2, v[12:13]
	s_and_not1_b32 s21, s21, exec_lo
	s_delay_alu instid0(VALU_DEP_3)
	v_cmp_eq_u64_e64 s1, 0, v[14:15]
	s_or_not1_b32 s23, s1, exec_lo
	s_branch .LBB1238_1521
.LBB1238_1526:                          ;   in Loop: Header=BB1238_1433 Depth=1
	s_or_b32 exec_lo, exec_lo, s19
	v_cndmask_b32_e64 v11, v3, v53, s20
	v_cndmask_b32_e64 v10, v2, v113, s20
.LBB1238_1527:                          ;   in Loop: Header=BB1238_1433 Depth=1
	s_or_b32 exec_lo, exec_lo, s18
	s_delay_alu instid0(VALU_DEP_1)
	v_mov_b64_e32 v[2:3], v[10:11]
.LBB1238_1528:                          ;   in Loop: Header=BB1238_1433 Depth=1
	s_or_b32 exec_lo, exec_lo, s17
	v_dual_cndmask_b32 v13, v97, v99, s16 :: v_dual_cndmask_b32 v12, v98, v100, s16
	v_dual_cndmask_b32 v11, v85, v87, s14 :: v_dual_cndmask_b32 v10, v86, v96, s14
	;; [unrolled: 1-line block ×7, first 2 shown]
.LBB1238_1529:                          ;   in Loop: Header=BB1238_1433 Depth=1
	s_or_b32 exec_lo, exec_lo, s11
	s_cmp_lt_u32 s6, 0x400
	s_barrier_signal -1
	s_barrier_wait -1
	s_cbranch_scc0 .LBB1238_1531
; %bb.1530:                             ;   in Loop: Header=BB1238_1433 Depth=1
	s_mov_b32 s6, s7
	s_branch .LBB1238_1433
.LBB1238_1531:
	s_barrier_signal -1
	s_barrier_wait -1
	ds_store_b64 v54, v[18:19]
	ds_store_b64 v70, v[20:21]
	;; [unrolled: 1-line block ×8, first 2 shown]
	s_wait_dscnt 0x0
	s_barrier_signal -1
	s_barrier_wait -1
	ds_load_b64 v[0:1], v29
	ds_load_b64 v[2:3], v55
	;; [unrolled: 1-line block ×8, first 2 shown]
	v_mov_b32_e32 v29, 0
	s_mov_b32 s12, exec_lo
                                        ; implicit-def: $vgpr30
                                        ; implicit-def: $vgpr31
                                        ; implicit-def: $vgpr37
                                        ; implicit-def: $vgpr39
                                        ; implicit-def: $vgpr38
                                        ; implicit-def: $vgpr36
                                        ; implicit-def: $vgpr35
                                        ; implicit-def: $vgpr34
                                        ; implicit-def: $vgpr33
                                        ; implicit-def: $vgpr32
	s_delay_alu instid0(VALU_DEP_1)
	v_add_nc_u64_e32 v[18:19], v[4:5], v[28:29]
                                        ; implicit-def: $vgpr28
	s_wait_dscnt 0x7
	flat_store_b64 v[18:19], v[0:1]
	s_wait_dscnt 0x7
	flat_store_b64 v[18:19], v[2:3] offset:2048
	s_wait_dscnt 0x7
	flat_store_b64 v[18:19], v[6:7] offset:4096
	;; [unrolled: 2-line block ×6, first 2 shown]
                                        ; implicit-def: $vgpr0
                                        ; implicit-def: $vgpr6_vgpr7
                                        ; implicit-def: $vgpr2_vgpr3
                                        ; implicit-def: $vgpr8_vgpr9
                                        ; implicit-def: $vgpr1
	s_wait_xcnt 0x0
	s_and_not1_saveexec_b32 s13, s4
	s_cbranch_execnz .LBB1238_10
.LBB1238_1532:
	s_or_b32 exec_lo, exec_lo, s13
	s_and_saveexec_b32 s0, s12
	s_cbranch_execz .LBB1238_1422
.LBB1238_1533:
	s_wait_dscnt 0x1
	v_lshl_add_u64 v[0:1], v[26:27], 3, v[4:5]
	s_wait_dscnt 0x0
	flat_store_b64 v[0:1], v[10:11] offset:14336
	s_wait_xcnt 0x0
	s_or_b32 exec_lo, exec_lo, s0
	s_wait_dscnt 0x0
	s_set_pc_i64 s[30:31]
.Lfunc_end1238:
	.size	_ZN7rocprim17ROCPRIM_400000_NS6detail15block_sort_implIlNS0_10empty_typeELj256ELj8ELNS0_4arch9wavefront6targetE0EvE4sortIPlS9_PS3_SA_ZN2at6native12_GLOBAL__N_124unique_dim_cuda_templateIN3c104HalfEEESt5tupleIJNSB_6TensorESI_SI_EERKSI_lbbbEUlllE_EEvjbT_T0_T1_T2_T3_RNS7_12storage_typeE, .Lfunc_end1238-_ZN7rocprim17ROCPRIM_400000_NS6detail15block_sort_implIlNS0_10empty_typeELj256ELj8ELNS0_4arch9wavefront6targetE0EvE4sortIPlS9_PS3_SA_ZN2at6native12_GLOBAL__N_124unique_dim_cuda_templateIN3c104HalfEEESt5tupleIJNSB_6TensorESI_SI_EERKSI_lbbbEUlllE_EEvjbT_T0_T1_T2_T3_RNS7_12storage_typeE
                                        ; -- End function
	.set .L_ZN7rocprim17ROCPRIM_400000_NS6detail15block_sort_implIlNS0_10empty_typeELj256ELj8ELNS0_4arch9wavefront6targetE0EvE4sortIPlS9_PS3_SA_ZN2at6native12_GLOBAL__N_124unique_dim_cuda_templateIN3c104HalfEEESt5tupleIJNSB_6TensorESI_SI_EERKSI_lbbbEUlllE_EEvjbT_T0_T1_T2_T3_RNS7_12storage_typeE.num_vgpr, 120
	.set .L_ZN7rocprim17ROCPRIM_400000_NS6detail15block_sort_implIlNS0_10empty_typeELj256ELj8ELNS0_4arch9wavefront6targetE0EvE4sortIPlS9_PS3_SA_ZN2at6native12_GLOBAL__N_124unique_dim_cuda_templateIN3c104HalfEEESt5tupleIJNSB_6TensorESI_SI_EERKSI_lbbbEUlllE_EEvjbT_T0_T1_T2_T3_RNS7_12storage_typeE.num_agpr, 0
	.set .L_ZN7rocprim17ROCPRIM_400000_NS6detail15block_sort_implIlNS0_10empty_typeELj256ELj8ELNS0_4arch9wavefront6targetE0EvE4sortIPlS9_PS3_SA_ZN2at6native12_GLOBAL__N_124unique_dim_cuda_templateIN3c104HalfEEESt5tupleIJNSB_6TensorESI_SI_EERKSI_lbbbEUlllE_EEvjbT_T0_T1_T2_T3_RNS7_12storage_typeE.numbered_sgpr, 44
	.set .L_ZN7rocprim17ROCPRIM_400000_NS6detail15block_sort_implIlNS0_10empty_typeELj256ELj8ELNS0_4arch9wavefront6targetE0EvE4sortIPlS9_PS3_SA_ZN2at6native12_GLOBAL__N_124unique_dim_cuda_templateIN3c104HalfEEESt5tupleIJNSB_6TensorESI_SI_EERKSI_lbbbEUlllE_EEvjbT_T0_T1_T2_T3_RNS7_12storage_typeE.num_named_barrier, 0
	.set .L_ZN7rocprim17ROCPRIM_400000_NS6detail15block_sort_implIlNS0_10empty_typeELj256ELj8ELNS0_4arch9wavefront6targetE0EvE4sortIPlS9_PS3_SA_ZN2at6native12_GLOBAL__N_124unique_dim_cuda_templateIN3c104HalfEEESt5tupleIJNSB_6TensorESI_SI_EERKSI_lbbbEUlllE_EEvjbT_T0_T1_T2_T3_RNS7_12storage_typeE.private_seg_size, 0
	.set .L_ZN7rocprim17ROCPRIM_400000_NS6detail15block_sort_implIlNS0_10empty_typeELj256ELj8ELNS0_4arch9wavefront6targetE0EvE4sortIPlS9_PS3_SA_ZN2at6native12_GLOBAL__N_124unique_dim_cuda_templateIN3c104HalfEEESt5tupleIJNSB_6TensorESI_SI_EERKSI_lbbbEUlllE_EEvjbT_T0_T1_T2_T3_RNS7_12storage_typeE.uses_vcc, 1
	.set .L_ZN7rocprim17ROCPRIM_400000_NS6detail15block_sort_implIlNS0_10empty_typeELj256ELj8ELNS0_4arch9wavefront6targetE0EvE4sortIPlS9_PS3_SA_ZN2at6native12_GLOBAL__N_124unique_dim_cuda_templateIN3c104HalfEEESt5tupleIJNSB_6TensorESI_SI_EERKSI_lbbbEUlllE_EEvjbT_T0_T1_T2_T3_RNS7_12storage_typeE.uses_flat_scratch, 1
	.set .L_ZN7rocprim17ROCPRIM_400000_NS6detail15block_sort_implIlNS0_10empty_typeELj256ELj8ELNS0_4arch9wavefront6targetE0EvE4sortIPlS9_PS3_SA_ZN2at6native12_GLOBAL__N_124unique_dim_cuda_templateIN3c104HalfEEESt5tupleIJNSB_6TensorESI_SI_EERKSI_lbbbEUlllE_EEvjbT_T0_T1_T2_T3_RNS7_12storage_typeE.has_dyn_sized_stack, 0
	.set .L_ZN7rocprim17ROCPRIM_400000_NS6detail15block_sort_implIlNS0_10empty_typeELj256ELj8ELNS0_4arch9wavefront6targetE0EvE4sortIPlS9_PS3_SA_ZN2at6native12_GLOBAL__N_124unique_dim_cuda_templateIN3c104HalfEEESt5tupleIJNSB_6TensorESI_SI_EERKSI_lbbbEUlllE_EEvjbT_T0_T1_T2_T3_RNS7_12storage_typeE.has_recursion, 0
	.set .L_ZN7rocprim17ROCPRIM_400000_NS6detail15block_sort_implIlNS0_10empty_typeELj256ELj8ELNS0_4arch9wavefront6targetE0EvE4sortIPlS9_PS3_SA_ZN2at6native12_GLOBAL__N_124unique_dim_cuda_templateIN3c104HalfEEESt5tupleIJNSB_6TensorESI_SI_EERKSI_lbbbEUlllE_EEvjbT_T0_T1_T2_T3_RNS7_12storage_typeE.has_indirect_call, 0
	.section	.AMDGPU.csdata,"",@progbits
; Function info:
; codeLenInByte = 58068
; TotalNumSgprs: 46
; NumVgprs: 120
; ScratchSize: 0
; MemoryBound: 0
	.section	.text._ZN7rocprim17ROCPRIM_400000_NS6detail17trampoline_kernelINS0_14default_configENS1_37merge_sort_block_sort_config_selectorIlNS0_10empty_typeEEEZNS1_21merge_sort_block_sortIS3_PlS8_PS5_S9_ZN2at6native12_GLOBAL__N_124unique_dim_cuda_templateIN3c104HalfEEESt5tupleIJNSA_6TensorESH_SH_EERKSH_lbbbEUlllE_EE10hipError_tT0_T1_T2_T3_mRjT4_P12ihipStream_tbNS1_7vsmem_tEEUlT_E_NS1_11comp_targetILNS1_3genE0ELNS1_11target_archE4294967295ELNS1_3gpuE0ELNS1_3repE0EEENS1_30default_config_static_selectorELNS0_4arch9wavefront6targetE0EEEvSO_,"axG",@progbits,_ZN7rocprim17ROCPRIM_400000_NS6detail17trampoline_kernelINS0_14default_configENS1_37merge_sort_block_sort_config_selectorIlNS0_10empty_typeEEEZNS1_21merge_sort_block_sortIS3_PlS8_PS5_S9_ZN2at6native12_GLOBAL__N_124unique_dim_cuda_templateIN3c104HalfEEESt5tupleIJNSA_6TensorESH_SH_EERKSH_lbbbEUlllE_EE10hipError_tT0_T1_T2_T3_mRjT4_P12ihipStream_tbNS1_7vsmem_tEEUlT_E_NS1_11comp_targetILNS1_3genE0ELNS1_11target_archE4294967295ELNS1_3gpuE0ELNS1_3repE0EEENS1_30default_config_static_selectorELNS0_4arch9wavefront6targetE0EEEvSO_,comdat
	.globl	_ZN7rocprim17ROCPRIM_400000_NS6detail17trampoline_kernelINS0_14default_configENS1_37merge_sort_block_sort_config_selectorIlNS0_10empty_typeEEEZNS1_21merge_sort_block_sortIS3_PlS8_PS5_S9_ZN2at6native12_GLOBAL__N_124unique_dim_cuda_templateIN3c104HalfEEESt5tupleIJNSA_6TensorESH_SH_EERKSH_lbbbEUlllE_EE10hipError_tT0_T1_T2_T3_mRjT4_P12ihipStream_tbNS1_7vsmem_tEEUlT_E_NS1_11comp_targetILNS1_3genE0ELNS1_11target_archE4294967295ELNS1_3gpuE0ELNS1_3repE0EEENS1_30default_config_static_selectorELNS0_4arch9wavefront6targetE0EEEvSO_ ; -- Begin function _ZN7rocprim17ROCPRIM_400000_NS6detail17trampoline_kernelINS0_14default_configENS1_37merge_sort_block_sort_config_selectorIlNS0_10empty_typeEEEZNS1_21merge_sort_block_sortIS3_PlS8_PS5_S9_ZN2at6native12_GLOBAL__N_124unique_dim_cuda_templateIN3c104HalfEEESt5tupleIJNSA_6TensorESH_SH_EERKSH_lbbbEUlllE_EE10hipError_tT0_T1_T2_T3_mRjT4_P12ihipStream_tbNS1_7vsmem_tEEUlT_E_NS1_11comp_targetILNS1_3genE0ELNS1_11target_archE4294967295ELNS1_3gpuE0ELNS1_3repE0EEENS1_30default_config_static_selectorELNS0_4arch9wavefront6targetE0EEEvSO_
	.p2align	8
	.type	_ZN7rocprim17ROCPRIM_400000_NS6detail17trampoline_kernelINS0_14default_configENS1_37merge_sort_block_sort_config_selectorIlNS0_10empty_typeEEEZNS1_21merge_sort_block_sortIS3_PlS8_PS5_S9_ZN2at6native12_GLOBAL__N_124unique_dim_cuda_templateIN3c104HalfEEESt5tupleIJNSA_6TensorESH_SH_EERKSH_lbbbEUlllE_EE10hipError_tT0_T1_T2_T3_mRjT4_P12ihipStream_tbNS1_7vsmem_tEEUlT_E_NS1_11comp_targetILNS1_3genE0ELNS1_11target_archE4294967295ELNS1_3gpuE0ELNS1_3repE0EEENS1_30default_config_static_selectorELNS0_4arch9wavefront6targetE0EEEvSO_,@function
_ZN7rocprim17ROCPRIM_400000_NS6detail17trampoline_kernelINS0_14default_configENS1_37merge_sort_block_sort_config_selectorIlNS0_10empty_typeEEEZNS1_21merge_sort_block_sortIS3_PlS8_PS5_S9_ZN2at6native12_GLOBAL__N_124unique_dim_cuda_templateIN3c104HalfEEESt5tupleIJNSA_6TensorESH_SH_EERKSH_lbbbEUlllE_EE10hipError_tT0_T1_T2_T3_mRjT4_P12ihipStream_tbNS1_7vsmem_tEEUlT_E_NS1_11comp_targetILNS1_3genE0ELNS1_11target_archE4294967295ELNS1_3gpuE0ELNS1_3repE0EEENS1_30default_config_static_selectorELNS0_4arch9wavefront6targetE0EEEvSO_: ; @_ZN7rocprim17ROCPRIM_400000_NS6detail17trampoline_kernelINS0_14default_configENS1_37merge_sort_block_sort_config_selectorIlNS0_10empty_typeEEEZNS1_21merge_sort_block_sortIS3_PlS8_PS5_S9_ZN2at6native12_GLOBAL__N_124unique_dim_cuda_templateIN3c104HalfEEESt5tupleIJNSA_6TensorESH_SH_EERKSH_lbbbEUlllE_EE10hipError_tT0_T1_T2_T3_mRjT4_P12ihipStream_tbNS1_7vsmem_tEEUlT_E_NS1_11comp_targetILNS1_3genE0ELNS1_11target_archE4294967295ELNS1_3gpuE0ELNS1_3repE0EEENS1_30default_config_static_selectorELNS0_4arch9wavefront6targetE0EEEvSO_
; %bb.0:
	s_bfe_u32 s4, ttmp6, 0x40010
	s_and_b32 s6, ttmp7, 0xffff
	s_add_co_i32 s7, s4, 1
	s_clause 0x1
	s_load_b32 s8, s[2:3], 0x0
	s_load_b64 s[4:5], s[2:3], 0x48
	s_bfe_u32 s10, ttmp6, 0x4000c
	s_mul_i32 s7, s6, s7
	s_bfe_u32 s9, ttmp6, 0x40004
	s_add_co_i32 s10, s10, 1
	s_bfe_u32 s11, ttmp6, 0x40014
	s_add_co_i32 s9, s9, s7
	s_and_b32 s7, ttmp6, 15
	s_mul_i32 s10, ttmp9, s10
	s_lshr_b32 s12, ttmp7, 16
	s_add_co_i32 s11, s11, 1
	s_add_co_i32 s7, s7, s10
	s_mul_i32 s10, s12, s11
	s_bfe_u32 s11, ttmp6, 0x40008
	s_getreg_b32 s13, hwreg(HW_REG_IB_STS2, 6, 4)
	s_add_co_i32 s11, s11, s10
	s_cmp_eq_u32 s13, 0
	s_mov_b32 s32, 0
	s_cselect_b32 s10, s12, s11
	s_cselect_b32 s6, s6, s9
	s_wait_kmcnt 0x0
	s_mul_i32 s5, s5, s10
	s_cselect_b32 s7, ttmp9, s7
	s_add_co_i32 s5, s5, s6
	s_mov_b32 s11, 0
	s_mul_i32 s4, s5, s4
	s_delay_alu instid0(SALU_CYCLE_1) | instskip(NEXT) | instid1(SALU_CYCLE_1)
	s_add_co_i32 s10, s4, s7
	s_cmp_ge_u32 s10, s8
	s_cbranch_scc1 .LBB1239_2
; %bb.1:
	s_clause 0x2
	s_load_b64 s[18:19], s[2:3], 0x8
	s_load_b128 s[12:15], s[2:3], 0x18
	s_load_b128 s[4:7], s[2:3], 0x38
	s_mov_b64 s[16:17], src_shared_base
	s_lshl_b32 s16, s10, 11
	s_add_nc_u64 s[8:9], s[2:3], 0x48
	v_dual_mov_b32 v31, v0 :: v_dual_mov_b32 v10, 0
	v_mov_b32_e32 v11, s17
	s_wait_kmcnt 0x0
	s_lshr_b64 s[2:3], s[18:19], 11
	s_sub_co_i32 s16, s18, s16
	s_cmp_eq_u64 s[2:3], s[10:11]
	v_dual_mov_b32 v6, s4 :: v_dual_mov_b32 v7, s5
	s_cselect_b32 s18, -1, 0
	s_lshl_b64 s[10:11], s[10:11], 14
	v_cndmask_b32_e64 v1, 0, 1, s18
	s_add_nc_u64 s[12:13], s[12:13], s[10:11]
	s_add_nc_u64 s[10:11], s[14:15], s[10:11]
	v_dual_mov_b32 v8, s6 :: v_dual_mov_b32 v9, s7
	v_dual_mov_b32 v0, s16 :: v_dual_mov_b32 v2, s12
	;; [unrolled: 1-line block ×3, first 2 shown]
	v_mov_b32_e32 v5, s11
	s_get_pc_i64 s[2:3]
	s_add_nc_u64 s[2:3], s[2:3], _ZN7rocprim17ROCPRIM_400000_NS6detail15block_sort_implIlNS0_10empty_typeELj256ELj8ELNS0_4arch9wavefront6targetE0EvE4sortIPlS9_PS3_SA_ZN2at6native12_GLOBAL__N_124unique_dim_cuda_templateIN3c104HalfEEESt5tupleIJNSB_6TensorESI_SI_EERKSI_lbbbEUlllE_EEvjbT_T0_T1_T2_T3_RNS7_12storage_typeE@rel64+4
	s_mov_b64 s[6:7], s[0:1]
	s_swap_pc_i64 s[30:31], s[2:3]
.LBB1239_2:
	s_endpgm
	.section	.rodata,"a",@progbits
	.p2align	6, 0x0
	.amdhsa_kernel _ZN7rocprim17ROCPRIM_400000_NS6detail17trampoline_kernelINS0_14default_configENS1_37merge_sort_block_sort_config_selectorIlNS0_10empty_typeEEEZNS1_21merge_sort_block_sortIS3_PlS8_PS5_S9_ZN2at6native12_GLOBAL__N_124unique_dim_cuda_templateIN3c104HalfEEESt5tupleIJNSA_6TensorESH_SH_EERKSH_lbbbEUlllE_EE10hipError_tT0_T1_T2_T3_mRjT4_P12ihipStream_tbNS1_7vsmem_tEEUlT_E_NS1_11comp_targetILNS1_3genE0ELNS1_11target_archE4294967295ELNS1_3gpuE0ELNS1_3repE0EEENS1_30default_config_static_selectorELNS0_4arch9wavefront6targetE0EEEvSO_
		.amdhsa_group_segment_fixed_size 16896
		.amdhsa_private_segment_fixed_size 0
		.amdhsa_kernarg_size 328
		.amdhsa_user_sgpr_count 4
		.amdhsa_user_sgpr_dispatch_ptr 0
		.amdhsa_user_sgpr_queue_ptr 1
		.amdhsa_user_sgpr_kernarg_segment_ptr 1
		.amdhsa_user_sgpr_dispatch_id 0
		.amdhsa_user_sgpr_kernarg_preload_length 0
		.amdhsa_user_sgpr_kernarg_preload_offset 0
		.amdhsa_user_sgpr_private_segment_size 0
		.amdhsa_wavefront_size32 1
		.amdhsa_uses_dynamic_stack 0
		.amdhsa_enable_private_segment 0
		.amdhsa_system_sgpr_workgroup_id_x 1
		.amdhsa_system_sgpr_workgroup_id_y 1
		.amdhsa_system_sgpr_workgroup_id_z 1
		.amdhsa_system_sgpr_workgroup_info 0
		.amdhsa_system_vgpr_workitem_id 2
		.amdhsa_next_free_vgpr 120
		.amdhsa_next_free_sgpr 44
		.amdhsa_named_barrier_count 0
		.amdhsa_reserve_vcc 1
		.amdhsa_float_round_mode_32 0
		.amdhsa_float_round_mode_16_64 0
		.amdhsa_float_denorm_mode_32 3
		.amdhsa_float_denorm_mode_16_64 3
		.amdhsa_fp16_overflow 0
		.amdhsa_memory_ordered 1
		.amdhsa_forward_progress 1
		.amdhsa_inst_pref_size 3
		.amdhsa_round_robin_scheduling 0
		.amdhsa_exception_fp_ieee_invalid_op 0
		.amdhsa_exception_fp_denorm_src 0
		.amdhsa_exception_fp_ieee_div_zero 0
		.amdhsa_exception_fp_ieee_overflow 0
		.amdhsa_exception_fp_ieee_underflow 0
		.amdhsa_exception_fp_ieee_inexact 0
		.amdhsa_exception_int_div_zero 0
	.end_amdhsa_kernel
	.section	.text._ZN7rocprim17ROCPRIM_400000_NS6detail17trampoline_kernelINS0_14default_configENS1_37merge_sort_block_sort_config_selectorIlNS0_10empty_typeEEEZNS1_21merge_sort_block_sortIS3_PlS8_PS5_S9_ZN2at6native12_GLOBAL__N_124unique_dim_cuda_templateIN3c104HalfEEESt5tupleIJNSA_6TensorESH_SH_EERKSH_lbbbEUlllE_EE10hipError_tT0_T1_T2_T3_mRjT4_P12ihipStream_tbNS1_7vsmem_tEEUlT_E_NS1_11comp_targetILNS1_3genE0ELNS1_11target_archE4294967295ELNS1_3gpuE0ELNS1_3repE0EEENS1_30default_config_static_selectorELNS0_4arch9wavefront6targetE0EEEvSO_,"axG",@progbits,_ZN7rocprim17ROCPRIM_400000_NS6detail17trampoline_kernelINS0_14default_configENS1_37merge_sort_block_sort_config_selectorIlNS0_10empty_typeEEEZNS1_21merge_sort_block_sortIS3_PlS8_PS5_S9_ZN2at6native12_GLOBAL__N_124unique_dim_cuda_templateIN3c104HalfEEESt5tupleIJNSA_6TensorESH_SH_EERKSH_lbbbEUlllE_EE10hipError_tT0_T1_T2_T3_mRjT4_P12ihipStream_tbNS1_7vsmem_tEEUlT_E_NS1_11comp_targetILNS1_3genE0ELNS1_11target_archE4294967295ELNS1_3gpuE0ELNS1_3repE0EEENS1_30default_config_static_selectorELNS0_4arch9wavefront6targetE0EEEvSO_,comdat
.Lfunc_end1239:
	.size	_ZN7rocprim17ROCPRIM_400000_NS6detail17trampoline_kernelINS0_14default_configENS1_37merge_sort_block_sort_config_selectorIlNS0_10empty_typeEEEZNS1_21merge_sort_block_sortIS3_PlS8_PS5_S9_ZN2at6native12_GLOBAL__N_124unique_dim_cuda_templateIN3c104HalfEEESt5tupleIJNSA_6TensorESH_SH_EERKSH_lbbbEUlllE_EE10hipError_tT0_T1_T2_T3_mRjT4_P12ihipStream_tbNS1_7vsmem_tEEUlT_E_NS1_11comp_targetILNS1_3genE0ELNS1_11target_archE4294967295ELNS1_3gpuE0ELNS1_3repE0EEENS1_30default_config_static_selectorELNS0_4arch9wavefront6targetE0EEEvSO_, .Lfunc_end1239-_ZN7rocprim17ROCPRIM_400000_NS6detail17trampoline_kernelINS0_14default_configENS1_37merge_sort_block_sort_config_selectorIlNS0_10empty_typeEEEZNS1_21merge_sort_block_sortIS3_PlS8_PS5_S9_ZN2at6native12_GLOBAL__N_124unique_dim_cuda_templateIN3c104HalfEEESt5tupleIJNSA_6TensorESH_SH_EERKSH_lbbbEUlllE_EE10hipError_tT0_T1_T2_T3_mRjT4_P12ihipStream_tbNS1_7vsmem_tEEUlT_E_NS1_11comp_targetILNS1_3genE0ELNS1_11target_archE4294967295ELNS1_3gpuE0ELNS1_3repE0EEENS1_30default_config_static_selectorELNS0_4arch9wavefront6targetE0EEEvSO_
                                        ; -- End function
	.set _ZN7rocprim17ROCPRIM_400000_NS6detail17trampoline_kernelINS0_14default_configENS1_37merge_sort_block_sort_config_selectorIlNS0_10empty_typeEEEZNS1_21merge_sort_block_sortIS3_PlS8_PS5_S9_ZN2at6native12_GLOBAL__N_124unique_dim_cuda_templateIN3c104HalfEEESt5tupleIJNSA_6TensorESH_SH_EERKSH_lbbbEUlllE_EE10hipError_tT0_T1_T2_T3_mRjT4_P12ihipStream_tbNS1_7vsmem_tEEUlT_E_NS1_11comp_targetILNS1_3genE0ELNS1_11target_archE4294967295ELNS1_3gpuE0ELNS1_3repE0EEENS1_30default_config_static_selectorELNS0_4arch9wavefront6targetE0EEEvSO_.num_vgpr, max(32, .L_ZN7rocprim17ROCPRIM_400000_NS6detail15block_sort_implIlNS0_10empty_typeELj256ELj8ELNS0_4arch9wavefront6targetE0EvE4sortIPlS9_PS3_SA_ZN2at6native12_GLOBAL__N_124unique_dim_cuda_templateIN3c104HalfEEESt5tupleIJNSB_6TensorESI_SI_EERKSI_lbbbEUlllE_EEvjbT_T0_T1_T2_T3_RNS7_12storage_typeE.num_vgpr)
	.set _ZN7rocprim17ROCPRIM_400000_NS6detail17trampoline_kernelINS0_14default_configENS1_37merge_sort_block_sort_config_selectorIlNS0_10empty_typeEEEZNS1_21merge_sort_block_sortIS3_PlS8_PS5_S9_ZN2at6native12_GLOBAL__N_124unique_dim_cuda_templateIN3c104HalfEEESt5tupleIJNSA_6TensorESH_SH_EERKSH_lbbbEUlllE_EE10hipError_tT0_T1_T2_T3_mRjT4_P12ihipStream_tbNS1_7vsmem_tEEUlT_E_NS1_11comp_targetILNS1_3genE0ELNS1_11target_archE4294967295ELNS1_3gpuE0ELNS1_3repE0EEENS1_30default_config_static_selectorELNS0_4arch9wavefront6targetE0EEEvSO_.num_agpr, max(0, .L_ZN7rocprim17ROCPRIM_400000_NS6detail15block_sort_implIlNS0_10empty_typeELj256ELj8ELNS0_4arch9wavefront6targetE0EvE4sortIPlS9_PS3_SA_ZN2at6native12_GLOBAL__N_124unique_dim_cuda_templateIN3c104HalfEEESt5tupleIJNSB_6TensorESI_SI_EERKSI_lbbbEUlllE_EEvjbT_T0_T1_T2_T3_RNS7_12storage_typeE.num_agpr)
	.set _ZN7rocprim17ROCPRIM_400000_NS6detail17trampoline_kernelINS0_14default_configENS1_37merge_sort_block_sort_config_selectorIlNS0_10empty_typeEEEZNS1_21merge_sort_block_sortIS3_PlS8_PS5_S9_ZN2at6native12_GLOBAL__N_124unique_dim_cuda_templateIN3c104HalfEEESt5tupleIJNSA_6TensorESH_SH_EERKSH_lbbbEUlllE_EE10hipError_tT0_T1_T2_T3_mRjT4_P12ihipStream_tbNS1_7vsmem_tEEUlT_E_NS1_11comp_targetILNS1_3genE0ELNS1_11target_archE4294967295ELNS1_3gpuE0ELNS1_3repE0EEENS1_30default_config_static_selectorELNS0_4arch9wavefront6targetE0EEEvSO_.numbered_sgpr, max(33, .L_ZN7rocprim17ROCPRIM_400000_NS6detail15block_sort_implIlNS0_10empty_typeELj256ELj8ELNS0_4arch9wavefront6targetE0EvE4sortIPlS9_PS3_SA_ZN2at6native12_GLOBAL__N_124unique_dim_cuda_templateIN3c104HalfEEESt5tupleIJNSB_6TensorESI_SI_EERKSI_lbbbEUlllE_EEvjbT_T0_T1_T2_T3_RNS7_12storage_typeE.numbered_sgpr)
	.set _ZN7rocprim17ROCPRIM_400000_NS6detail17trampoline_kernelINS0_14default_configENS1_37merge_sort_block_sort_config_selectorIlNS0_10empty_typeEEEZNS1_21merge_sort_block_sortIS3_PlS8_PS5_S9_ZN2at6native12_GLOBAL__N_124unique_dim_cuda_templateIN3c104HalfEEESt5tupleIJNSA_6TensorESH_SH_EERKSH_lbbbEUlllE_EE10hipError_tT0_T1_T2_T3_mRjT4_P12ihipStream_tbNS1_7vsmem_tEEUlT_E_NS1_11comp_targetILNS1_3genE0ELNS1_11target_archE4294967295ELNS1_3gpuE0ELNS1_3repE0EEENS1_30default_config_static_selectorELNS0_4arch9wavefront6targetE0EEEvSO_.num_named_barrier, max(0, .L_ZN7rocprim17ROCPRIM_400000_NS6detail15block_sort_implIlNS0_10empty_typeELj256ELj8ELNS0_4arch9wavefront6targetE0EvE4sortIPlS9_PS3_SA_ZN2at6native12_GLOBAL__N_124unique_dim_cuda_templateIN3c104HalfEEESt5tupleIJNSB_6TensorESI_SI_EERKSI_lbbbEUlllE_EEvjbT_T0_T1_T2_T3_RNS7_12storage_typeE.num_named_barrier)
	.set _ZN7rocprim17ROCPRIM_400000_NS6detail17trampoline_kernelINS0_14default_configENS1_37merge_sort_block_sort_config_selectorIlNS0_10empty_typeEEEZNS1_21merge_sort_block_sortIS3_PlS8_PS5_S9_ZN2at6native12_GLOBAL__N_124unique_dim_cuda_templateIN3c104HalfEEESt5tupleIJNSA_6TensorESH_SH_EERKSH_lbbbEUlllE_EE10hipError_tT0_T1_T2_T3_mRjT4_P12ihipStream_tbNS1_7vsmem_tEEUlT_E_NS1_11comp_targetILNS1_3genE0ELNS1_11target_archE4294967295ELNS1_3gpuE0ELNS1_3repE0EEENS1_30default_config_static_selectorELNS0_4arch9wavefront6targetE0EEEvSO_.private_seg_size, 0+max(.L_ZN7rocprim17ROCPRIM_400000_NS6detail15block_sort_implIlNS0_10empty_typeELj256ELj8ELNS0_4arch9wavefront6targetE0EvE4sortIPlS9_PS3_SA_ZN2at6native12_GLOBAL__N_124unique_dim_cuda_templateIN3c104HalfEEESt5tupleIJNSB_6TensorESI_SI_EERKSI_lbbbEUlllE_EEvjbT_T0_T1_T2_T3_RNS7_12storage_typeE.private_seg_size)
	.set _ZN7rocprim17ROCPRIM_400000_NS6detail17trampoline_kernelINS0_14default_configENS1_37merge_sort_block_sort_config_selectorIlNS0_10empty_typeEEEZNS1_21merge_sort_block_sortIS3_PlS8_PS5_S9_ZN2at6native12_GLOBAL__N_124unique_dim_cuda_templateIN3c104HalfEEESt5tupleIJNSA_6TensorESH_SH_EERKSH_lbbbEUlllE_EE10hipError_tT0_T1_T2_T3_mRjT4_P12ihipStream_tbNS1_7vsmem_tEEUlT_E_NS1_11comp_targetILNS1_3genE0ELNS1_11target_archE4294967295ELNS1_3gpuE0ELNS1_3repE0EEENS1_30default_config_static_selectorELNS0_4arch9wavefront6targetE0EEEvSO_.uses_vcc, or(1, .L_ZN7rocprim17ROCPRIM_400000_NS6detail15block_sort_implIlNS0_10empty_typeELj256ELj8ELNS0_4arch9wavefront6targetE0EvE4sortIPlS9_PS3_SA_ZN2at6native12_GLOBAL__N_124unique_dim_cuda_templateIN3c104HalfEEESt5tupleIJNSB_6TensorESI_SI_EERKSI_lbbbEUlllE_EEvjbT_T0_T1_T2_T3_RNS7_12storage_typeE.uses_vcc)
	.set _ZN7rocprim17ROCPRIM_400000_NS6detail17trampoline_kernelINS0_14default_configENS1_37merge_sort_block_sort_config_selectorIlNS0_10empty_typeEEEZNS1_21merge_sort_block_sortIS3_PlS8_PS5_S9_ZN2at6native12_GLOBAL__N_124unique_dim_cuda_templateIN3c104HalfEEESt5tupleIJNSA_6TensorESH_SH_EERKSH_lbbbEUlllE_EE10hipError_tT0_T1_T2_T3_mRjT4_P12ihipStream_tbNS1_7vsmem_tEEUlT_E_NS1_11comp_targetILNS1_3genE0ELNS1_11target_archE4294967295ELNS1_3gpuE0ELNS1_3repE0EEENS1_30default_config_static_selectorELNS0_4arch9wavefront6targetE0EEEvSO_.uses_flat_scratch, or(0, .L_ZN7rocprim17ROCPRIM_400000_NS6detail15block_sort_implIlNS0_10empty_typeELj256ELj8ELNS0_4arch9wavefront6targetE0EvE4sortIPlS9_PS3_SA_ZN2at6native12_GLOBAL__N_124unique_dim_cuda_templateIN3c104HalfEEESt5tupleIJNSB_6TensorESI_SI_EERKSI_lbbbEUlllE_EEvjbT_T0_T1_T2_T3_RNS7_12storage_typeE.uses_flat_scratch)
	.set _ZN7rocprim17ROCPRIM_400000_NS6detail17trampoline_kernelINS0_14default_configENS1_37merge_sort_block_sort_config_selectorIlNS0_10empty_typeEEEZNS1_21merge_sort_block_sortIS3_PlS8_PS5_S9_ZN2at6native12_GLOBAL__N_124unique_dim_cuda_templateIN3c104HalfEEESt5tupleIJNSA_6TensorESH_SH_EERKSH_lbbbEUlllE_EE10hipError_tT0_T1_T2_T3_mRjT4_P12ihipStream_tbNS1_7vsmem_tEEUlT_E_NS1_11comp_targetILNS1_3genE0ELNS1_11target_archE4294967295ELNS1_3gpuE0ELNS1_3repE0EEENS1_30default_config_static_selectorELNS0_4arch9wavefront6targetE0EEEvSO_.has_dyn_sized_stack, or(0, .L_ZN7rocprim17ROCPRIM_400000_NS6detail15block_sort_implIlNS0_10empty_typeELj256ELj8ELNS0_4arch9wavefront6targetE0EvE4sortIPlS9_PS3_SA_ZN2at6native12_GLOBAL__N_124unique_dim_cuda_templateIN3c104HalfEEESt5tupleIJNSB_6TensorESI_SI_EERKSI_lbbbEUlllE_EEvjbT_T0_T1_T2_T3_RNS7_12storage_typeE.has_dyn_sized_stack)
	.set _ZN7rocprim17ROCPRIM_400000_NS6detail17trampoline_kernelINS0_14default_configENS1_37merge_sort_block_sort_config_selectorIlNS0_10empty_typeEEEZNS1_21merge_sort_block_sortIS3_PlS8_PS5_S9_ZN2at6native12_GLOBAL__N_124unique_dim_cuda_templateIN3c104HalfEEESt5tupleIJNSA_6TensorESH_SH_EERKSH_lbbbEUlllE_EE10hipError_tT0_T1_T2_T3_mRjT4_P12ihipStream_tbNS1_7vsmem_tEEUlT_E_NS1_11comp_targetILNS1_3genE0ELNS1_11target_archE4294967295ELNS1_3gpuE0ELNS1_3repE0EEENS1_30default_config_static_selectorELNS0_4arch9wavefront6targetE0EEEvSO_.has_recursion, or(0, .L_ZN7rocprim17ROCPRIM_400000_NS6detail15block_sort_implIlNS0_10empty_typeELj256ELj8ELNS0_4arch9wavefront6targetE0EvE4sortIPlS9_PS3_SA_ZN2at6native12_GLOBAL__N_124unique_dim_cuda_templateIN3c104HalfEEESt5tupleIJNSB_6TensorESI_SI_EERKSI_lbbbEUlllE_EEvjbT_T0_T1_T2_T3_RNS7_12storage_typeE.has_recursion)
	.set _ZN7rocprim17ROCPRIM_400000_NS6detail17trampoline_kernelINS0_14default_configENS1_37merge_sort_block_sort_config_selectorIlNS0_10empty_typeEEEZNS1_21merge_sort_block_sortIS3_PlS8_PS5_S9_ZN2at6native12_GLOBAL__N_124unique_dim_cuda_templateIN3c104HalfEEESt5tupleIJNSA_6TensorESH_SH_EERKSH_lbbbEUlllE_EE10hipError_tT0_T1_T2_T3_mRjT4_P12ihipStream_tbNS1_7vsmem_tEEUlT_E_NS1_11comp_targetILNS1_3genE0ELNS1_11target_archE4294967295ELNS1_3gpuE0ELNS1_3repE0EEENS1_30default_config_static_selectorELNS0_4arch9wavefront6targetE0EEEvSO_.has_indirect_call, or(0, .L_ZN7rocprim17ROCPRIM_400000_NS6detail15block_sort_implIlNS0_10empty_typeELj256ELj8ELNS0_4arch9wavefront6targetE0EvE4sortIPlS9_PS3_SA_ZN2at6native12_GLOBAL__N_124unique_dim_cuda_templateIN3c104HalfEEESt5tupleIJNSB_6TensorESI_SI_EERKSI_lbbbEUlllE_EEvjbT_T0_T1_T2_T3_RNS7_12storage_typeE.has_indirect_call)
	.section	.AMDGPU.csdata,"",@progbits
; Kernel info:
; codeLenInByte = 336
; TotalNumSgprs: 46
; NumVgprs: 120
; ScratchSize: 0
; MemoryBound: 0
; FloatMode: 240
; IeeeMode: 1
; LDSByteSize: 16896 bytes/workgroup (compile time only)
; SGPRBlocks: 0
; VGPRBlocks: 7
; NumSGPRsForWavesPerEU: 46
; NumVGPRsForWavesPerEU: 120
; NamedBarCnt: 0
; Occupancy: 8
; WaveLimiterHint : 1
; COMPUTE_PGM_RSRC2:SCRATCH_EN: 0
; COMPUTE_PGM_RSRC2:USER_SGPR: 4
; COMPUTE_PGM_RSRC2:TRAP_HANDLER: 0
; COMPUTE_PGM_RSRC2:TGID_X_EN: 1
; COMPUTE_PGM_RSRC2:TGID_Y_EN: 1
; COMPUTE_PGM_RSRC2:TGID_Z_EN: 1
; COMPUTE_PGM_RSRC2:TIDIG_COMP_CNT: 2
	.section	.text._ZN7rocprim17ROCPRIM_400000_NS6detail17trampoline_kernelINS0_14default_configENS1_37merge_sort_block_sort_config_selectorIlNS0_10empty_typeEEEZNS1_21merge_sort_block_sortIS3_PlS8_PS5_S9_ZN2at6native12_GLOBAL__N_124unique_dim_cuda_templateIN3c104HalfEEESt5tupleIJNSA_6TensorESH_SH_EERKSH_lbbbEUlllE_EE10hipError_tT0_T1_T2_T3_mRjT4_P12ihipStream_tbNS1_7vsmem_tEEUlT_E_NS1_11comp_targetILNS1_3genE5ELNS1_11target_archE942ELNS1_3gpuE9ELNS1_3repE0EEENS1_30default_config_static_selectorELNS0_4arch9wavefront6targetE0EEEvSO_,"axG",@progbits,_ZN7rocprim17ROCPRIM_400000_NS6detail17trampoline_kernelINS0_14default_configENS1_37merge_sort_block_sort_config_selectorIlNS0_10empty_typeEEEZNS1_21merge_sort_block_sortIS3_PlS8_PS5_S9_ZN2at6native12_GLOBAL__N_124unique_dim_cuda_templateIN3c104HalfEEESt5tupleIJNSA_6TensorESH_SH_EERKSH_lbbbEUlllE_EE10hipError_tT0_T1_T2_T3_mRjT4_P12ihipStream_tbNS1_7vsmem_tEEUlT_E_NS1_11comp_targetILNS1_3genE5ELNS1_11target_archE942ELNS1_3gpuE9ELNS1_3repE0EEENS1_30default_config_static_selectorELNS0_4arch9wavefront6targetE0EEEvSO_,comdat
	.globl	_ZN7rocprim17ROCPRIM_400000_NS6detail17trampoline_kernelINS0_14default_configENS1_37merge_sort_block_sort_config_selectorIlNS0_10empty_typeEEEZNS1_21merge_sort_block_sortIS3_PlS8_PS5_S9_ZN2at6native12_GLOBAL__N_124unique_dim_cuda_templateIN3c104HalfEEESt5tupleIJNSA_6TensorESH_SH_EERKSH_lbbbEUlllE_EE10hipError_tT0_T1_T2_T3_mRjT4_P12ihipStream_tbNS1_7vsmem_tEEUlT_E_NS1_11comp_targetILNS1_3genE5ELNS1_11target_archE942ELNS1_3gpuE9ELNS1_3repE0EEENS1_30default_config_static_selectorELNS0_4arch9wavefront6targetE0EEEvSO_ ; -- Begin function _ZN7rocprim17ROCPRIM_400000_NS6detail17trampoline_kernelINS0_14default_configENS1_37merge_sort_block_sort_config_selectorIlNS0_10empty_typeEEEZNS1_21merge_sort_block_sortIS3_PlS8_PS5_S9_ZN2at6native12_GLOBAL__N_124unique_dim_cuda_templateIN3c104HalfEEESt5tupleIJNSA_6TensorESH_SH_EERKSH_lbbbEUlllE_EE10hipError_tT0_T1_T2_T3_mRjT4_P12ihipStream_tbNS1_7vsmem_tEEUlT_E_NS1_11comp_targetILNS1_3genE5ELNS1_11target_archE942ELNS1_3gpuE9ELNS1_3repE0EEENS1_30default_config_static_selectorELNS0_4arch9wavefront6targetE0EEEvSO_
	.p2align	8
	.type	_ZN7rocprim17ROCPRIM_400000_NS6detail17trampoline_kernelINS0_14default_configENS1_37merge_sort_block_sort_config_selectorIlNS0_10empty_typeEEEZNS1_21merge_sort_block_sortIS3_PlS8_PS5_S9_ZN2at6native12_GLOBAL__N_124unique_dim_cuda_templateIN3c104HalfEEESt5tupleIJNSA_6TensorESH_SH_EERKSH_lbbbEUlllE_EE10hipError_tT0_T1_T2_T3_mRjT4_P12ihipStream_tbNS1_7vsmem_tEEUlT_E_NS1_11comp_targetILNS1_3genE5ELNS1_11target_archE942ELNS1_3gpuE9ELNS1_3repE0EEENS1_30default_config_static_selectorELNS0_4arch9wavefront6targetE0EEEvSO_,@function
_ZN7rocprim17ROCPRIM_400000_NS6detail17trampoline_kernelINS0_14default_configENS1_37merge_sort_block_sort_config_selectorIlNS0_10empty_typeEEEZNS1_21merge_sort_block_sortIS3_PlS8_PS5_S9_ZN2at6native12_GLOBAL__N_124unique_dim_cuda_templateIN3c104HalfEEESt5tupleIJNSA_6TensorESH_SH_EERKSH_lbbbEUlllE_EE10hipError_tT0_T1_T2_T3_mRjT4_P12ihipStream_tbNS1_7vsmem_tEEUlT_E_NS1_11comp_targetILNS1_3genE5ELNS1_11target_archE942ELNS1_3gpuE9ELNS1_3repE0EEENS1_30default_config_static_selectorELNS0_4arch9wavefront6targetE0EEEvSO_: ; @_ZN7rocprim17ROCPRIM_400000_NS6detail17trampoline_kernelINS0_14default_configENS1_37merge_sort_block_sort_config_selectorIlNS0_10empty_typeEEEZNS1_21merge_sort_block_sortIS3_PlS8_PS5_S9_ZN2at6native12_GLOBAL__N_124unique_dim_cuda_templateIN3c104HalfEEESt5tupleIJNSA_6TensorESH_SH_EERKSH_lbbbEUlllE_EE10hipError_tT0_T1_T2_T3_mRjT4_P12ihipStream_tbNS1_7vsmem_tEEUlT_E_NS1_11comp_targetILNS1_3genE5ELNS1_11target_archE942ELNS1_3gpuE9ELNS1_3repE0EEENS1_30default_config_static_selectorELNS0_4arch9wavefront6targetE0EEEvSO_
; %bb.0:
	.section	.rodata,"a",@progbits
	.p2align	6, 0x0
	.amdhsa_kernel _ZN7rocprim17ROCPRIM_400000_NS6detail17trampoline_kernelINS0_14default_configENS1_37merge_sort_block_sort_config_selectorIlNS0_10empty_typeEEEZNS1_21merge_sort_block_sortIS3_PlS8_PS5_S9_ZN2at6native12_GLOBAL__N_124unique_dim_cuda_templateIN3c104HalfEEESt5tupleIJNSA_6TensorESH_SH_EERKSH_lbbbEUlllE_EE10hipError_tT0_T1_T2_T3_mRjT4_P12ihipStream_tbNS1_7vsmem_tEEUlT_E_NS1_11comp_targetILNS1_3genE5ELNS1_11target_archE942ELNS1_3gpuE9ELNS1_3repE0EEENS1_30default_config_static_selectorELNS0_4arch9wavefront6targetE0EEEvSO_
		.amdhsa_group_segment_fixed_size 0
		.amdhsa_private_segment_fixed_size 0
		.amdhsa_kernarg_size 72
		.amdhsa_user_sgpr_count 2
		.amdhsa_user_sgpr_dispatch_ptr 0
		.amdhsa_user_sgpr_queue_ptr 0
		.amdhsa_user_sgpr_kernarg_segment_ptr 1
		.amdhsa_user_sgpr_dispatch_id 0
		.amdhsa_user_sgpr_kernarg_preload_length 0
		.amdhsa_user_sgpr_kernarg_preload_offset 0
		.amdhsa_user_sgpr_private_segment_size 0
		.amdhsa_wavefront_size32 1
		.amdhsa_uses_dynamic_stack 0
		.amdhsa_enable_private_segment 0
		.amdhsa_system_sgpr_workgroup_id_x 1
		.amdhsa_system_sgpr_workgroup_id_y 0
		.amdhsa_system_sgpr_workgroup_id_z 0
		.amdhsa_system_sgpr_workgroup_info 0
		.amdhsa_system_vgpr_workitem_id 0
		.amdhsa_next_free_vgpr 1
		.amdhsa_next_free_sgpr 1
		.amdhsa_named_barrier_count 0
		.amdhsa_reserve_vcc 0
		.amdhsa_float_round_mode_32 0
		.amdhsa_float_round_mode_16_64 0
		.amdhsa_float_denorm_mode_32 3
		.amdhsa_float_denorm_mode_16_64 3
		.amdhsa_fp16_overflow 0
		.amdhsa_memory_ordered 1
		.amdhsa_forward_progress 1
		.amdhsa_inst_pref_size 0
		.amdhsa_round_robin_scheduling 0
		.amdhsa_exception_fp_ieee_invalid_op 0
		.amdhsa_exception_fp_denorm_src 0
		.amdhsa_exception_fp_ieee_div_zero 0
		.amdhsa_exception_fp_ieee_overflow 0
		.amdhsa_exception_fp_ieee_underflow 0
		.amdhsa_exception_fp_ieee_inexact 0
		.amdhsa_exception_int_div_zero 0
	.end_amdhsa_kernel
	.section	.text._ZN7rocprim17ROCPRIM_400000_NS6detail17trampoline_kernelINS0_14default_configENS1_37merge_sort_block_sort_config_selectorIlNS0_10empty_typeEEEZNS1_21merge_sort_block_sortIS3_PlS8_PS5_S9_ZN2at6native12_GLOBAL__N_124unique_dim_cuda_templateIN3c104HalfEEESt5tupleIJNSA_6TensorESH_SH_EERKSH_lbbbEUlllE_EE10hipError_tT0_T1_T2_T3_mRjT4_P12ihipStream_tbNS1_7vsmem_tEEUlT_E_NS1_11comp_targetILNS1_3genE5ELNS1_11target_archE942ELNS1_3gpuE9ELNS1_3repE0EEENS1_30default_config_static_selectorELNS0_4arch9wavefront6targetE0EEEvSO_,"axG",@progbits,_ZN7rocprim17ROCPRIM_400000_NS6detail17trampoline_kernelINS0_14default_configENS1_37merge_sort_block_sort_config_selectorIlNS0_10empty_typeEEEZNS1_21merge_sort_block_sortIS3_PlS8_PS5_S9_ZN2at6native12_GLOBAL__N_124unique_dim_cuda_templateIN3c104HalfEEESt5tupleIJNSA_6TensorESH_SH_EERKSH_lbbbEUlllE_EE10hipError_tT0_T1_T2_T3_mRjT4_P12ihipStream_tbNS1_7vsmem_tEEUlT_E_NS1_11comp_targetILNS1_3genE5ELNS1_11target_archE942ELNS1_3gpuE9ELNS1_3repE0EEENS1_30default_config_static_selectorELNS0_4arch9wavefront6targetE0EEEvSO_,comdat
.Lfunc_end1240:
	.size	_ZN7rocprim17ROCPRIM_400000_NS6detail17trampoline_kernelINS0_14default_configENS1_37merge_sort_block_sort_config_selectorIlNS0_10empty_typeEEEZNS1_21merge_sort_block_sortIS3_PlS8_PS5_S9_ZN2at6native12_GLOBAL__N_124unique_dim_cuda_templateIN3c104HalfEEESt5tupleIJNSA_6TensorESH_SH_EERKSH_lbbbEUlllE_EE10hipError_tT0_T1_T2_T3_mRjT4_P12ihipStream_tbNS1_7vsmem_tEEUlT_E_NS1_11comp_targetILNS1_3genE5ELNS1_11target_archE942ELNS1_3gpuE9ELNS1_3repE0EEENS1_30default_config_static_selectorELNS0_4arch9wavefront6targetE0EEEvSO_, .Lfunc_end1240-_ZN7rocprim17ROCPRIM_400000_NS6detail17trampoline_kernelINS0_14default_configENS1_37merge_sort_block_sort_config_selectorIlNS0_10empty_typeEEEZNS1_21merge_sort_block_sortIS3_PlS8_PS5_S9_ZN2at6native12_GLOBAL__N_124unique_dim_cuda_templateIN3c104HalfEEESt5tupleIJNSA_6TensorESH_SH_EERKSH_lbbbEUlllE_EE10hipError_tT0_T1_T2_T3_mRjT4_P12ihipStream_tbNS1_7vsmem_tEEUlT_E_NS1_11comp_targetILNS1_3genE5ELNS1_11target_archE942ELNS1_3gpuE9ELNS1_3repE0EEENS1_30default_config_static_selectorELNS0_4arch9wavefront6targetE0EEEvSO_
                                        ; -- End function
	.set _ZN7rocprim17ROCPRIM_400000_NS6detail17trampoline_kernelINS0_14default_configENS1_37merge_sort_block_sort_config_selectorIlNS0_10empty_typeEEEZNS1_21merge_sort_block_sortIS3_PlS8_PS5_S9_ZN2at6native12_GLOBAL__N_124unique_dim_cuda_templateIN3c104HalfEEESt5tupleIJNSA_6TensorESH_SH_EERKSH_lbbbEUlllE_EE10hipError_tT0_T1_T2_T3_mRjT4_P12ihipStream_tbNS1_7vsmem_tEEUlT_E_NS1_11comp_targetILNS1_3genE5ELNS1_11target_archE942ELNS1_3gpuE9ELNS1_3repE0EEENS1_30default_config_static_selectorELNS0_4arch9wavefront6targetE0EEEvSO_.num_vgpr, 0
	.set _ZN7rocprim17ROCPRIM_400000_NS6detail17trampoline_kernelINS0_14default_configENS1_37merge_sort_block_sort_config_selectorIlNS0_10empty_typeEEEZNS1_21merge_sort_block_sortIS3_PlS8_PS5_S9_ZN2at6native12_GLOBAL__N_124unique_dim_cuda_templateIN3c104HalfEEESt5tupleIJNSA_6TensorESH_SH_EERKSH_lbbbEUlllE_EE10hipError_tT0_T1_T2_T3_mRjT4_P12ihipStream_tbNS1_7vsmem_tEEUlT_E_NS1_11comp_targetILNS1_3genE5ELNS1_11target_archE942ELNS1_3gpuE9ELNS1_3repE0EEENS1_30default_config_static_selectorELNS0_4arch9wavefront6targetE0EEEvSO_.num_agpr, 0
	.set _ZN7rocprim17ROCPRIM_400000_NS6detail17trampoline_kernelINS0_14default_configENS1_37merge_sort_block_sort_config_selectorIlNS0_10empty_typeEEEZNS1_21merge_sort_block_sortIS3_PlS8_PS5_S9_ZN2at6native12_GLOBAL__N_124unique_dim_cuda_templateIN3c104HalfEEESt5tupleIJNSA_6TensorESH_SH_EERKSH_lbbbEUlllE_EE10hipError_tT0_T1_T2_T3_mRjT4_P12ihipStream_tbNS1_7vsmem_tEEUlT_E_NS1_11comp_targetILNS1_3genE5ELNS1_11target_archE942ELNS1_3gpuE9ELNS1_3repE0EEENS1_30default_config_static_selectorELNS0_4arch9wavefront6targetE0EEEvSO_.numbered_sgpr, 0
	.set _ZN7rocprim17ROCPRIM_400000_NS6detail17trampoline_kernelINS0_14default_configENS1_37merge_sort_block_sort_config_selectorIlNS0_10empty_typeEEEZNS1_21merge_sort_block_sortIS3_PlS8_PS5_S9_ZN2at6native12_GLOBAL__N_124unique_dim_cuda_templateIN3c104HalfEEESt5tupleIJNSA_6TensorESH_SH_EERKSH_lbbbEUlllE_EE10hipError_tT0_T1_T2_T3_mRjT4_P12ihipStream_tbNS1_7vsmem_tEEUlT_E_NS1_11comp_targetILNS1_3genE5ELNS1_11target_archE942ELNS1_3gpuE9ELNS1_3repE0EEENS1_30default_config_static_selectorELNS0_4arch9wavefront6targetE0EEEvSO_.num_named_barrier, 0
	.set _ZN7rocprim17ROCPRIM_400000_NS6detail17trampoline_kernelINS0_14default_configENS1_37merge_sort_block_sort_config_selectorIlNS0_10empty_typeEEEZNS1_21merge_sort_block_sortIS3_PlS8_PS5_S9_ZN2at6native12_GLOBAL__N_124unique_dim_cuda_templateIN3c104HalfEEESt5tupleIJNSA_6TensorESH_SH_EERKSH_lbbbEUlllE_EE10hipError_tT0_T1_T2_T3_mRjT4_P12ihipStream_tbNS1_7vsmem_tEEUlT_E_NS1_11comp_targetILNS1_3genE5ELNS1_11target_archE942ELNS1_3gpuE9ELNS1_3repE0EEENS1_30default_config_static_selectorELNS0_4arch9wavefront6targetE0EEEvSO_.private_seg_size, 0
	.set _ZN7rocprim17ROCPRIM_400000_NS6detail17trampoline_kernelINS0_14default_configENS1_37merge_sort_block_sort_config_selectorIlNS0_10empty_typeEEEZNS1_21merge_sort_block_sortIS3_PlS8_PS5_S9_ZN2at6native12_GLOBAL__N_124unique_dim_cuda_templateIN3c104HalfEEESt5tupleIJNSA_6TensorESH_SH_EERKSH_lbbbEUlllE_EE10hipError_tT0_T1_T2_T3_mRjT4_P12ihipStream_tbNS1_7vsmem_tEEUlT_E_NS1_11comp_targetILNS1_3genE5ELNS1_11target_archE942ELNS1_3gpuE9ELNS1_3repE0EEENS1_30default_config_static_selectorELNS0_4arch9wavefront6targetE0EEEvSO_.uses_vcc, 0
	.set _ZN7rocprim17ROCPRIM_400000_NS6detail17trampoline_kernelINS0_14default_configENS1_37merge_sort_block_sort_config_selectorIlNS0_10empty_typeEEEZNS1_21merge_sort_block_sortIS3_PlS8_PS5_S9_ZN2at6native12_GLOBAL__N_124unique_dim_cuda_templateIN3c104HalfEEESt5tupleIJNSA_6TensorESH_SH_EERKSH_lbbbEUlllE_EE10hipError_tT0_T1_T2_T3_mRjT4_P12ihipStream_tbNS1_7vsmem_tEEUlT_E_NS1_11comp_targetILNS1_3genE5ELNS1_11target_archE942ELNS1_3gpuE9ELNS1_3repE0EEENS1_30default_config_static_selectorELNS0_4arch9wavefront6targetE0EEEvSO_.uses_flat_scratch, 0
	.set _ZN7rocprim17ROCPRIM_400000_NS6detail17trampoline_kernelINS0_14default_configENS1_37merge_sort_block_sort_config_selectorIlNS0_10empty_typeEEEZNS1_21merge_sort_block_sortIS3_PlS8_PS5_S9_ZN2at6native12_GLOBAL__N_124unique_dim_cuda_templateIN3c104HalfEEESt5tupleIJNSA_6TensorESH_SH_EERKSH_lbbbEUlllE_EE10hipError_tT0_T1_T2_T3_mRjT4_P12ihipStream_tbNS1_7vsmem_tEEUlT_E_NS1_11comp_targetILNS1_3genE5ELNS1_11target_archE942ELNS1_3gpuE9ELNS1_3repE0EEENS1_30default_config_static_selectorELNS0_4arch9wavefront6targetE0EEEvSO_.has_dyn_sized_stack, 0
	.set _ZN7rocprim17ROCPRIM_400000_NS6detail17trampoline_kernelINS0_14default_configENS1_37merge_sort_block_sort_config_selectorIlNS0_10empty_typeEEEZNS1_21merge_sort_block_sortIS3_PlS8_PS5_S9_ZN2at6native12_GLOBAL__N_124unique_dim_cuda_templateIN3c104HalfEEESt5tupleIJNSA_6TensorESH_SH_EERKSH_lbbbEUlllE_EE10hipError_tT0_T1_T2_T3_mRjT4_P12ihipStream_tbNS1_7vsmem_tEEUlT_E_NS1_11comp_targetILNS1_3genE5ELNS1_11target_archE942ELNS1_3gpuE9ELNS1_3repE0EEENS1_30default_config_static_selectorELNS0_4arch9wavefront6targetE0EEEvSO_.has_recursion, 0
	.set _ZN7rocprim17ROCPRIM_400000_NS6detail17trampoline_kernelINS0_14default_configENS1_37merge_sort_block_sort_config_selectorIlNS0_10empty_typeEEEZNS1_21merge_sort_block_sortIS3_PlS8_PS5_S9_ZN2at6native12_GLOBAL__N_124unique_dim_cuda_templateIN3c104HalfEEESt5tupleIJNSA_6TensorESH_SH_EERKSH_lbbbEUlllE_EE10hipError_tT0_T1_T2_T3_mRjT4_P12ihipStream_tbNS1_7vsmem_tEEUlT_E_NS1_11comp_targetILNS1_3genE5ELNS1_11target_archE942ELNS1_3gpuE9ELNS1_3repE0EEENS1_30default_config_static_selectorELNS0_4arch9wavefront6targetE0EEEvSO_.has_indirect_call, 0
	.section	.AMDGPU.csdata,"",@progbits
; Kernel info:
; codeLenInByte = 0
; TotalNumSgprs: 0
; NumVgprs: 0
; ScratchSize: 0
; MemoryBound: 0
; FloatMode: 240
; IeeeMode: 1
; LDSByteSize: 0 bytes/workgroup (compile time only)
; SGPRBlocks: 0
; VGPRBlocks: 0
; NumSGPRsForWavesPerEU: 1
; NumVGPRsForWavesPerEU: 1
; NamedBarCnt: 0
; Occupancy: 16
; WaveLimiterHint : 0
; COMPUTE_PGM_RSRC2:SCRATCH_EN: 0
; COMPUTE_PGM_RSRC2:USER_SGPR: 2
; COMPUTE_PGM_RSRC2:TRAP_HANDLER: 0
; COMPUTE_PGM_RSRC2:TGID_X_EN: 1
; COMPUTE_PGM_RSRC2:TGID_Y_EN: 0
; COMPUTE_PGM_RSRC2:TGID_Z_EN: 0
; COMPUTE_PGM_RSRC2:TIDIG_COMP_CNT: 0
	.section	.text._ZN7rocprim17ROCPRIM_400000_NS6detail17trampoline_kernelINS0_14default_configENS1_37merge_sort_block_sort_config_selectorIlNS0_10empty_typeEEEZNS1_21merge_sort_block_sortIS3_PlS8_PS5_S9_ZN2at6native12_GLOBAL__N_124unique_dim_cuda_templateIN3c104HalfEEESt5tupleIJNSA_6TensorESH_SH_EERKSH_lbbbEUlllE_EE10hipError_tT0_T1_T2_T3_mRjT4_P12ihipStream_tbNS1_7vsmem_tEEUlT_E_NS1_11comp_targetILNS1_3genE4ELNS1_11target_archE910ELNS1_3gpuE8ELNS1_3repE0EEENS1_30default_config_static_selectorELNS0_4arch9wavefront6targetE0EEEvSO_,"axG",@progbits,_ZN7rocprim17ROCPRIM_400000_NS6detail17trampoline_kernelINS0_14default_configENS1_37merge_sort_block_sort_config_selectorIlNS0_10empty_typeEEEZNS1_21merge_sort_block_sortIS3_PlS8_PS5_S9_ZN2at6native12_GLOBAL__N_124unique_dim_cuda_templateIN3c104HalfEEESt5tupleIJNSA_6TensorESH_SH_EERKSH_lbbbEUlllE_EE10hipError_tT0_T1_T2_T3_mRjT4_P12ihipStream_tbNS1_7vsmem_tEEUlT_E_NS1_11comp_targetILNS1_3genE4ELNS1_11target_archE910ELNS1_3gpuE8ELNS1_3repE0EEENS1_30default_config_static_selectorELNS0_4arch9wavefront6targetE0EEEvSO_,comdat
	.globl	_ZN7rocprim17ROCPRIM_400000_NS6detail17trampoline_kernelINS0_14default_configENS1_37merge_sort_block_sort_config_selectorIlNS0_10empty_typeEEEZNS1_21merge_sort_block_sortIS3_PlS8_PS5_S9_ZN2at6native12_GLOBAL__N_124unique_dim_cuda_templateIN3c104HalfEEESt5tupleIJNSA_6TensorESH_SH_EERKSH_lbbbEUlllE_EE10hipError_tT0_T1_T2_T3_mRjT4_P12ihipStream_tbNS1_7vsmem_tEEUlT_E_NS1_11comp_targetILNS1_3genE4ELNS1_11target_archE910ELNS1_3gpuE8ELNS1_3repE0EEENS1_30default_config_static_selectorELNS0_4arch9wavefront6targetE0EEEvSO_ ; -- Begin function _ZN7rocprim17ROCPRIM_400000_NS6detail17trampoline_kernelINS0_14default_configENS1_37merge_sort_block_sort_config_selectorIlNS0_10empty_typeEEEZNS1_21merge_sort_block_sortIS3_PlS8_PS5_S9_ZN2at6native12_GLOBAL__N_124unique_dim_cuda_templateIN3c104HalfEEESt5tupleIJNSA_6TensorESH_SH_EERKSH_lbbbEUlllE_EE10hipError_tT0_T1_T2_T3_mRjT4_P12ihipStream_tbNS1_7vsmem_tEEUlT_E_NS1_11comp_targetILNS1_3genE4ELNS1_11target_archE910ELNS1_3gpuE8ELNS1_3repE0EEENS1_30default_config_static_selectorELNS0_4arch9wavefront6targetE0EEEvSO_
	.p2align	8
	.type	_ZN7rocprim17ROCPRIM_400000_NS6detail17trampoline_kernelINS0_14default_configENS1_37merge_sort_block_sort_config_selectorIlNS0_10empty_typeEEEZNS1_21merge_sort_block_sortIS3_PlS8_PS5_S9_ZN2at6native12_GLOBAL__N_124unique_dim_cuda_templateIN3c104HalfEEESt5tupleIJNSA_6TensorESH_SH_EERKSH_lbbbEUlllE_EE10hipError_tT0_T1_T2_T3_mRjT4_P12ihipStream_tbNS1_7vsmem_tEEUlT_E_NS1_11comp_targetILNS1_3genE4ELNS1_11target_archE910ELNS1_3gpuE8ELNS1_3repE0EEENS1_30default_config_static_selectorELNS0_4arch9wavefront6targetE0EEEvSO_,@function
_ZN7rocprim17ROCPRIM_400000_NS6detail17trampoline_kernelINS0_14default_configENS1_37merge_sort_block_sort_config_selectorIlNS0_10empty_typeEEEZNS1_21merge_sort_block_sortIS3_PlS8_PS5_S9_ZN2at6native12_GLOBAL__N_124unique_dim_cuda_templateIN3c104HalfEEESt5tupleIJNSA_6TensorESH_SH_EERKSH_lbbbEUlllE_EE10hipError_tT0_T1_T2_T3_mRjT4_P12ihipStream_tbNS1_7vsmem_tEEUlT_E_NS1_11comp_targetILNS1_3genE4ELNS1_11target_archE910ELNS1_3gpuE8ELNS1_3repE0EEENS1_30default_config_static_selectorELNS0_4arch9wavefront6targetE0EEEvSO_: ; @_ZN7rocprim17ROCPRIM_400000_NS6detail17trampoline_kernelINS0_14default_configENS1_37merge_sort_block_sort_config_selectorIlNS0_10empty_typeEEEZNS1_21merge_sort_block_sortIS3_PlS8_PS5_S9_ZN2at6native12_GLOBAL__N_124unique_dim_cuda_templateIN3c104HalfEEESt5tupleIJNSA_6TensorESH_SH_EERKSH_lbbbEUlllE_EE10hipError_tT0_T1_T2_T3_mRjT4_P12ihipStream_tbNS1_7vsmem_tEEUlT_E_NS1_11comp_targetILNS1_3genE4ELNS1_11target_archE910ELNS1_3gpuE8ELNS1_3repE0EEENS1_30default_config_static_selectorELNS0_4arch9wavefront6targetE0EEEvSO_
; %bb.0:
	.section	.rodata,"a",@progbits
	.p2align	6, 0x0
	.amdhsa_kernel _ZN7rocprim17ROCPRIM_400000_NS6detail17trampoline_kernelINS0_14default_configENS1_37merge_sort_block_sort_config_selectorIlNS0_10empty_typeEEEZNS1_21merge_sort_block_sortIS3_PlS8_PS5_S9_ZN2at6native12_GLOBAL__N_124unique_dim_cuda_templateIN3c104HalfEEESt5tupleIJNSA_6TensorESH_SH_EERKSH_lbbbEUlllE_EE10hipError_tT0_T1_T2_T3_mRjT4_P12ihipStream_tbNS1_7vsmem_tEEUlT_E_NS1_11comp_targetILNS1_3genE4ELNS1_11target_archE910ELNS1_3gpuE8ELNS1_3repE0EEENS1_30default_config_static_selectorELNS0_4arch9wavefront6targetE0EEEvSO_
		.amdhsa_group_segment_fixed_size 0
		.amdhsa_private_segment_fixed_size 0
		.amdhsa_kernarg_size 72
		.amdhsa_user_sgpr_count 2
		.amdhsa_user_sgpr_dispatch_ptr 0
		.amdhsa_user_sgpr_queue_ptr 0
		.amdhsa_user_sgpr_kernarg_segment_ptr 1
		.amdhsa_user_sgpr_dispatch_id 0
		.amdhsa_user_sgpr_kernarg_preload_length 0
		.amdhsa_user_sgpr_kernarg_preload_offset 0
		.amdhsa_user_sgpr_private_segment_size 0
		.amdhsa_wavefront_size32 1
		.amdhsa_uses_dynamic_stack 0
		.amdhsa_enable_private_segment 0
		.amdhsa_system_sgpr_workgroup_id_x 1
		.amdhsa_system_sgpr_workgroup_id_y 0
		.amdhsa_system_sgpr_workgroup_id_z 0
		.amdhsa_system_sgpr_workgroup_info 0
		.amdhsa_system_vgpr_workitem_id 0
		.amdhsa_next_free_vgpr 1
		.amdhsa_next_free_sgpr 1
		.amdhsa_named_barrier_count 0
		.amdhsa_reserve_vcc 0
		.amdhsa_float_round_mode_32 0
		.amdhsa_float_round_mode_16_64 0
		.amdhsa_float_denorm_mode_32 3
		.amdhsa_float_denorm_mode_16_64 3
		.amdhsa_fp16_overflow 0
		.amdhsa_memory_ordered 1
		.amdhsa_forward_progress 1
		.amdhsa_inst_pref_size 0
		.amdhsa_round_robin_scheduling 0
		.amdhsa_exception_fp_ieee_invalid_op 0
		.amdhsa_exception_fp_denorm_src 0
		.amdhsa_exception_fp_ieee_div_zero 0
		.amdhsa_exception_fp_ieee_overflow 0
		.amdhsa_exception_fp_ieee_underflow 0
		.amdhsa_exception_fp_ieee_inexact 0
		.amdhsa_exception_int_div_zero 0
	.end_amdhsa_kernel
	.section	.text._ZN7rocprim17ROCPRIM_400000_NS6detail17trampoline_kernelINS0_14default_configENS1_37merge_sort_block_sort_config_selectorIlNS0_10empty_typeEEEZNS1_21merge_sort_block_sortIS3_PlS8_PS5_S9_ZN2at6native12_GLOBAL__N_124unique_dim_cuda_templateIN3c104HalfEEESt5tupleIJNSA_6TensorESH_SH_EERKSH_lbbbEUlllE_EE10hipError_tT0_T1_T2_T3_mRjT4_P12ihipStream_tbNS1_7vsmem_tEEUlT_E_NS1_11comp_targetILNS1_3genE4ELNS1_11target_archE910ELNS1_3gpuE8ELNS1_3repE0EEENS1_30default_config_static_selectorELNS0_4arch9wavefront6targetE0EEEvSO_,"axG",@progbits,_ZN7rocprim17ROCPRIM_400000_NS6detail17trampoline_kernelINS0_14default_configENS1_37merge_sort_block_sort_config_selectorIlNS0_10empty_typeEEEZNS1_21merge_sort_block_sortIS3_PlS8_PS5_S9_ZN2at6native12_GLOBAL__N_124unique_dim_cuda_templateIN3c104HalfEEESt5tupleIJNSA_6TensorESH_SH_EERKSH_lbbbEUlllE_EE10hipError_tT0_T1_T2_T3_mRjT4_P12ihipStream_tbNS1_7vsmem_tEEUlT_E_NS1_11comp_targetILNS1_3genE4ELNS1_11target_archE910ELNS1_3gpuE8ELNS1_3repE0EEENS1_30default_config_static_selectorELNS0_4arch9wavefront6targetE0EEEvSO_,comdat
.Lfunc_end1241:
	.size	_ZN7rocprim17ROCPRIM_400000_NS6detail17trampoline_kernelINS0_14default_configENS1_37merge_sort_block_sort_config_selectorIlNS0_10empty_typeEEEZNS1_21merge_sort_block_sortIS3_PlS8_PS5_S9_ZN2at6native12_GLOBAL__N_124unique_dim_cuda_templateIN3c104HalfEEESt5tupleIJNSA_6TensorESH_SH_EERKSH_lbbbEUlllE_EE10hipError_tT0_T1_T2_T3_mRjT4_P12ihipStream_tbNS1_7vsmem_tEEUlT_E_NS1_11comp_targetILNS1_3genE4ELNS1_11target_archE910ELNS1_3gpuE8ELNS1_3repE0EEENS1_30default_config_static_selectorELNS0_4arch9wavefront6targetE0EEEvSO_, .Lfunc_end1241-_ZN7rocprim17ROCPRIM_400000_NS6detail17trampoline_kernelINS0_14default_configENS1_37merge_sort_block_sort_config_selectorIlNS0_10empty_typeEEEZNS1_21merge_sort_block_sortIS3_PlS8_PS5_S9_ZN2at6native12_GLOBAL__N_124unique_dim_cuda_templateIN3c104HalfEEESt5tupleIJNSA_6TensorESH_SH_EERKSH_lbbbEUlllE_EE10hipError_tT0_T1_T2_T3_mRjT4_P12ihipStream_tbNS1_7vsmem_tEEUlT_E_NS1_11comp_targetILNS1_3genE4ELNS1_11target_archE910ELNS1_3gpuE8ELNS1_3repE0EEENS1_30default_config_static_selectorELNS0_4arch9wavefront6targetE0EEEvSO_
                                        ; -- End function
	.set _ZN7rocprim17ROCPRIM_400000_NS6detail17trampoline_kernelINS0_14default_configENS1_37merge_sort_block_sort_config_selectorIlNS0_10empty_typeEEEZNS1_21merge_sort_block_sortIS3_PlS8_PS5_S9_ZN2at6native12_GLOBAL__N_124unique_dim_cuda_templateIN3c104HalfEEESt5tupleIJNSA_6TensorESH_SH_EERKSH_lbbbEUlllE_EE10hipError_tT0_T1_T2_T3_mRjT4_P12ihipStream_tbNS1_7vsmem_tEEUlT_E_NS1_11comp_targetILNS1_3genE4ELNS1_11target_archE910ELNS1_3gpuE8ELNS1_3repE0EEENS1_30default_config_static_selectorELNS0_4arch9wavefront6targetE0EEEvSO_.num_vgpr, 0
	.set _ZN7rocprim17ROCPRIM_400000_NS6detail17trampoline_kernelINS0_14default_configENS1_37merge_sort_block_sort_config_selectorIlNS0_10empty_typeEEEZNS1_21merge_sort_block_sortIS3_PlS8_PS5_S9_ZN2at6native12_GLOBAL__N_124unique_dim_cuda_templateIN3c104HalfEEESt5tupleIJNSA_6TensorESH_SH_EERKSH_lbbbEUlllE_EE10hipError_tT0_T1_T2_T3_mRjT4_P12ihipStream_tbNS1_7vsmem_tEEUlT_E_NS1_11comp_targetILNS1_3genE4ELNS1_11target_archE910ELNS1_3gpuE8ELNS1_3repE0EEENS1_30default_config_static_selectorELNS0_4arch9wavefront6targetE0EEEvSO_.num_agpr, 0
	.set _ZN7rocprim17ROCPRIM_400000_NS6detail17trampoline_kernelINS0_14default_configENS1_37merge_sort_block_sort_config_selectorIlNS0_10empty_typeEEEZNS1_21merge_sort_block_sortIS3_PlS8_PS5_S9_ZN2at6native12_GLOBAL__N_124unique_dim_cuda_templateIN3c104HalfEEESt5tupleIJNSA_6TensorESH_SH_EERKSH_lbbbEUlllE_EE10hipError_tT0_T1_T2_T3_mRjT4_P12ihipStream_tbNS1_7vsmem_tEEUlT_E_NS1_11comp_targetILNS1_3genE4ELNS1_11target_archE910ELNS1_3gpuE8ELNS1_3repE0EEENS1_30default_config_static_selectorELNS0_4arch9wavefront6targetE0EEEvSO_.numbered_sgpr, 0
	.set _ZN7rocprim17ROCPRIM_400000_NS6detail17trampoline_kernelINS0_14default_configENS1_37merge_sort_block_sort_config_selectorIlNS0_10empty_typeEEEZNS1_21merge_sort_block_sortIS3_PlS8_PS5_S9_ZN2at6native12_GLOBAL__N_124unique_dim_cuda_templateIN3c104HalfEEESt5tupleIJNSA_6TensorESH_SH_EERKSH_lbbbEUlllE_EE10hipError_tT0_T1_T2_T3_mRjT4_P12ihipStream_tbNS1_7vsmem_tEEUlT_E_NS1_11comp_targetILNS1_3genE4ELNS1_11target_archE910ELNS1_3gpuE8ELNS1_3repE0EEENS1_30default_config_static_selectorELNS0_4arch9wavefront6targetE0EEEvSO_.num_named_barrier, 0
	.set _ZN7rocprim17ROCPRIM_400000_NS6detail17trampoline_kernelINS0_14default_configENS1_37merge_sort_block_sort_config_selectorIlNS0_10empty_typeEEEZNS1_21merge_sort_block_sortIS3_PlS8_PS5_S9_ZN2at6native12_GLOBAL__N_124unique_dim_cuda_templateIN3c104HalfEEESt5tupleIJNSA_6TensorESH_SH_EERKSH_lbbbEUlllE_EE10hipError_tT0_T1_T2_T3_mRjT4_P12ihipStream_tbNS1_7vsmem_tEEUlT_E_NS1_11comp_targetILNS1_3genE4ELNS1_11target_archE910ELNS1_3gpuE8ELNS1_3repE0EEENS1_30default_config_static_selectorELNS0_4arch9wavefront6targetE0EEEvSO_.private_seg_size, 0
	.set _ZN7rocprim17ROCPRIM_400000_NS6detail17trampoline_kernelINS0_14default_configENS1_37merge_sort_block_sort_config_selectorIlNS0_10empty_typeEEEZNS1_21merge_sort_block_sortIS3_PlS8_PS5_S9_ZN2at6native12_GLOBAL__N_124unique_dim_cuda_templateIN3c104HalfEEESt5tupleIJNSA_6TensorESH_SH_EERKSH_lbbbEUlllE_EE10hipError_tT0_T1_T2_T3_mRjT4_P12ihipStream_tbNS1_7vsmem_tEEUlT_E_NS1_11comp_targetILNS1_3genE4ELNS1_11target_archE910ELNS1_3gpuE8ELNS1_3repE0EEENS1_30default_config_static_selectorELNS0_4arch9wavefront6targetE0EEEvSO_.uses_vcc, 0
	.set _ZN7rocprim17ROCPRIM_400000_NS6detail17trampoline_kernelINS0_14default_configENS1_37merge_sort_block_sort_config_selectorIlNS0_10empty_typeEEEZNS1_21merge_sort_block_sortIS3_PlS8_PS5_S9_ZN2at6native12_GLOBAL__N_124unique_dim_cuda_templateIN3c104HalfEEESt5tupleIJNSA_6TensorESH_SH_EERKSH_lbbbEUlllE_EE10hipError_tT0_T1_T2_T3_mRjT4_P12ihipStream_tbNS1_7vsmem_tEEUlT_E_NS1_11comp_targetILNS1_3genE4ELNS1_11target_archE910ELNS1_3gpuE8ELNS1_3repE0EEENS1_30default_config_static_selectorELNS0_4arch9wavefront6targetE0EEEvSO_.uses_flat_scratch, 0
	.set _ZN7rocprim17ROCPRIM_400000_NS6detail17trampoline_kernelINS0_14default_configENS1_37merge_sort_block_sort_config_selectorIlNS0_10empty_typeEEEZNS1_21merge_sort_block_sortIS3_PlS8_PS5_S9_ZN2at6native12_GLOBAL__N_124unique_dim_cuda_templateIN3c104HalfEEESt5tupleIJNSA_6TensorESH_SH_EERKSH_lbbbEUlllE_EE10hipError_tT0_T1_T2_T3_mRjT4_P12ihipStream_tbNS1_7vsmem_tEEUlT_E_NS1_11comp_targetILNS1_3genE4ELNS1_11target_archE910ELNS1_3gpuE8ELNS1_3repE0EEENS1_30default_config_static_selectorELNS0_4arch9wavefront6targetE0EEEvSO_.has_dyn_sized_stack, 0
	.set _ZN7rocprim17ROCPRIM_400000_NS6detail17trampoline_kernelINS0_14default_configENS1_37merge_sort_block_sort_config_selectorIlNS0_10empty_typeEEEZNS1_21merge_sort_block_sortIS3_PlS8_PS5_S9_ZN2at6native12_GLOBAL__N_124unique_dim_cuda_templateIN3c104HalfEEESt5tupleIJNSA_6TensorESH_SH_EERKSH_lbbbEUlllE_EE10hipError_tT0_T1_T2_T3_mRjT4_P12ihipStream_tbNS1_7vsmem_tEEUlT_E_NS1_11comp_targetILNS1_3genE4ELNS1_11target_archE910ELNS1_3gpuE8ELNS1_3repE0EEENS1_30default_config_static_selectorELNS0_4arch9wavefront6targetE0EEEvSO_.has_recursion, 0
	.set _ZN7rocprim17ROCPRIM_400000_NS6detail17trampoline_kernelINS0_14default_configENS1_37merge_sort_block_sort_config_selectorIlNS0_10empty_typeEEEZNS1_21merge_sort_block_sortIS3_PlS8_PS5_S9_ZN2at6native12_GLOBAL__N_124unique_dim_cuda_templateIN3c104HalfEEESt5tupleIJNSA_6TensorESH_SH_EERKSH_lbbbEUlllE_EE10hipError_tT0_T1_T2_T3_mRjT4_P12ihipStream_tbNS1_7vsmem_tEEUlT_E_NS1_11comp_targetILNS1_3genE4ELNS1_11target_archE910ELNS1_3gpuE8ELNS1_3repE0EEENS1_30default_config_static_selectorELNS0_4arch9wavefront6targetE0EEEvSO_.has_indirect_call, 0
	.section	.AMDGPU.csdata,"",@progbits
; Kernel info:
; codeLenInByte = 0
; TotalNumSgprs: 0
; NumVgprs: 0
; ScratchSize: 0
; MemoryBound: 0
; FloatMode: 240
; IeeeMode: 1
; LDSByteSize: 0 bytes/workgroup (compile time only)
; SGPRBlocks: 0
; VGPRBlocks: 0
; NumSGPRsForWavesPerEU: 1
; NumVGPRsForWavesPerEU: 1
; NamedBarCnt: 0
; Occupancy: 16
; WaveLimiterHint : 0
; COMPUTE_PGM_RSRC2:SCRATCH_EN: 0
; COMPUTE_PGM_RSRC2:USER_SGPR: 2
; COMPUTE_PGM_RSRC2:TRAP_HANDLER: 0
; COMPUTE_PGM_RSRC2:TGID_X_EN: 1
; COMPUTE_PGM_RSRC2:TGID_Y_EN: 0
; COMPUTE_PGM_RSRC2:TGID_Z_EN: 0
; COMPUTE_PGM_RSRC2:TIDIG_COMP_CNT: 0
	.section	.text._ZN7rocprim17ROCPRIM_400000_NS6detail17trampoline_kernelINS0_14default_configENS1_37merge_sort_block_sort_config_selectorIlNS0_10empty_typeEEEZNS1_21merge_sort_block_sortIS3_PlS8_PS5_S9_ZN2at6native12_GLOBAL__N_124unique_dim_cuda_templateIN3c104HalfEEESt5tupleIJNSA_6TensorESH_SH_EERKSH_lbbbEUlllE_EE10hipError_tT0_T1_T2_T3_mRjT4_P12ihipStream_tbNS1_7vsmem_tEEUlT_E_NS1_11comp_targetILNS1_3genE3ELNS1_11target_archE908ELNS1_3gpuE7ELNS1_3repE0EEENS1_30default_config_static_selectorELNS0_4arch9wavefront6targetE0EEEvSO_,"axG",@progbits,_ZN7rocprim17ROCPRIM_400000_NS6detail17trampoline_kernelINS0_14default_configENS1_37merge_sort_block_sort_config_selectorIlNS0_10empty_typeEEEZNS1_21merge_sort_block_sortIS3_PlS8_PS5_S9_ZN2at6native12_GLOBAL__N_124unique_dim_cuda_templateIN3c104HalfEEESt5tupleIJNSA_6TensorESH_SH_EERKSH_lbbbEUlllE_EE10hipError_tT0_T1_T2_T3_mRjT4_P12ihipStream_tbNS1_7vsmem_tEEUlT_E_NS1_11comp_targetILNS1_3genE3ELNS1_11target_archE908ELNS1_3gpuE7ELNS1_3repE0EEENS1_30default_config_static_selectorELNS0_4arch9wavefront6targetE0EEEvSO_,comdat
	.globl	_ZN7rocprim17ROCPRIM_400000_NS6detail17trampoline_kernelINS0_14default_configENS1_37merge_sort_block_sort_config_selectorIlNS0_10empty_typeEEEZNS1_21merge_sort_block_sortIS3_PlS8_PS5_S9_ZN2at6native12_GLOBAL__N_124unique_dim_cuda_templateIN3c104HalfEEESt5tupleIJNSA_6TensorESH_SH_EERKSH_lbbbEUlllE_EE10hipError_tT0_T1_T2_T3_mRjT4_P12ihipStream_tbNS1_7vsmem_tEEUlT_E_NS1_11comp_targetILNS1_3genE3ELNS1_11target_archE908ELNS1_3gpuE7ELNS1_3repE0EEENS1_30default_config_static_selectorELNS0_4arch9wavefront6targetE0EEEvSO_ ; -- Begin function _ZN7rocprim17ROCPRIM_400000_NS6detail17trampoline_kernelINS0_14default_configENS1_37merge_sort_block_sort_config_selectorIlNS0_10empty_typeEEEZNS1_21merge_sort_block_sortIS3_PlS8_PS5_S9_ZN2at6native12_GLOBAL__N_124unique_dim_cuda_templateIN3c104HalfEEESt5tupleIJNSA_6TensorESH_SH_EERKSH_lbbbEUlllE_EE10hipError_tT0_T1_T2_T3_mRjT4_P12ihipStream_tbNS1_7vsmem_tEEUlT_E_NS1_11comp_targetILNS1_3genE3ELNS1_11target_archE908ELNS1_3gpuE7ELNS1_3repE0EEENS1_30default_config_static_selectorELNS0_4arch9wavefront6targetE0EEEvSO_
	.p2align	8
	.type	_ZN7rocprim17ROCPRIM_400000_NS6detail17trampoline_kernelINS0_14default_configENS1_37merge_sort_block_sort_config_selectorIlNS0_10empty_typeEEEZNS1_21merge_sort_block_sortIS3_PlS8_PS5_S9_ZN2at6native12_GLOBAL__N_124unique_dim_cuda_templateIN3c104HalfEEESt5tupleIJNSA_6TensorESH_SH_EERKSH_lbbbEUlllE_EE10hipError_tT0_T1_T2_T3_mRjT4_P12ihipStream_tbNS1_7vsmem_tEEUlT_E_NS1_11comp_targetILNS1_3genE3ELNS1_11target_archE908ELNS1_3gpuE7ELNS1_3repE0EEENS1_30default_config_static_selectorELNS0_4arch9wavefront6targetE0EEEvSO_,@function
_ZN7rocprim17ROCPRIM_400000_NS6detail17trampoline_kernelINS0_14default_configENS1_37merge_sort_block_sort_config_selectorIlNS0_10empty_typeEEEZNS1_21merge_sort_block_sortIS3_PlS8_PS5_S9_ZN2at6native12_GLOBAL__N_124unique_dim_cuda_templateIN3c104HalfEEESt5tupleIJNSA_6TensorESH_SH_EERKSH_lbbbEUlllE_EE10hipError_tT0_T1_T2_T3_mRjT4_P12ihipStream_tbNS1_7vsmem_tEEUlT_E_NS1_11comp_targetILNS1_3genE3ELNS1_11target_archE908ELNS1_3gpuE7ELNS1_3repE0EEENS1_30default_config_static_selectorELNS0_4arch9wavefront6targetE0EEEvSO_: ; @_ZN7rocprim17ROCPRIM_400000_NS6detail17trampoline_kernelINS0_14default_configENS1_37merge_sort_block_sort_config_selectorIlNS0_10empty_typeEEEZNS1_21merge_sort_block_sortIS3_PlS8_PS5_S9_ZN2at6native12_GLOBAL__N_124unique_dim_cuda_templateIN3c104HalfEEESt5tupleIJNSA_6TensorESH_SH_EERKSH_lbbbEUlllE_EE10hipError_tT0_T1_T2_T3_mRjT4_P12ihipStream_tbNS1_7vsmem_tEEUlT_E_NS1_11comp_targetILNS1_3genE3ELNS1_11target_archE908ELNS1_3gpuE7ELNS1_3repE0EEENS1_30default_config_static_selectorELNS0_4arch9wavefront6targetE0EEEvSO_
; %bb.0:
	.section	.rodata,"a",@progbits
	.p2align	6, 0x0
	.amdhsa_kernel _ZN7rocprim17ROCPRIM_400000_NS6detail17trampoline_kernelINS0_14default_configENS1_37merge_sort_block_sort_config_selectorIlNS0_10empty_typeEEEZNS1_21merge_sort_block_sortIS3_PlS8_PS5_S9_ZN2at6native12_GLOBAL__N_124unique_dim_cuda_templateIN3c104HalfEEESt5tupleIJNSA_6TensorESH_SH_EERKSH_lbbbEUlllE_EE10hipError_tT0_T1_T2_T3_mRjT4_P12ihipStream_tbNS1_7vsmem_tEEUlT_E_NS1_11comp_targetILNS1_3genE3ELNS1_11target_archE908ELNS1_3gpuE7ELNS1_3repE0EEENS1_30default_config_static_selectorELNS0_4arch9wavefront6targetE0EEEvSO_
		.amdhsa_group_segment_fixed_size 0
		.amdhsa_private_segment_fixed_size 0
		.amdhsa_kernarg_size 72
		.amdhsa_user_sgpr_count 2
		.amdhsa_user_sgpr_dispatch_ptr 0
		.amdhsa_user_sgpr_queue_ptr 0
		.amdhsa_user_sgpr_kernarg_segment_ptr 1
		.amdhsa_user_sgpr_dispatch_id 0
		.amdhsa_user_sgpr_kernarg_preload_length 0
		.amdhsa_user_sgpr_kernarg_preload_offset 0
		.amdhsa_user_sgpr_private_segment_size 0
		.amdhsa_wavefront_size32 1
		.amdhsa_uses_dynamic_stack 0
		.amdhsa_enable_private_segment 0
		.amdhsa_system_sgpr_workgroup_id_x 1
		.amdhsa_system_sgpr_workgroup_id_y 0
		.amdhsa_system_sgpr_workgroup_id_z 0
		.amdhsa_system_sgpr_workgroup_info 0
		.amdhsa_system_vgpr_workitem_id 0
		.amdhsa_next_free_vgpr 1
		.amdhsa_next_free_sgpr 1
		.amdhsa_named_barrier_count 0
		.amdhsa_reserve_vcc 0
		.amdhsa_float_round_mode_32 0
		.amdhsa_float_round_mode_16_64 0
		.amdhsa_float_denorm_mode_32 3
		.amdhsa_float_denorm_mode_16_64 3
		.amdhsa_fp16_overflow 0
		.amdhsa_memory_ordered 1
		.amdhsa_forward_progress 1
		.amdhsa_inst_pref_size 0
		.amdhsa_round_robin_scheduling 0
		.amdhsa_exception_fp_ieee_invalid_op 0
		.amdhsa_exception_fp_denorm_src 0
		.amdhsa_exception_fp_ieee_div_zero 0
		.amdhsa_exception_fp_ieee_overflow 0
		.amdhsa_exception_fp_ieee_underflow 0
		.amdhsa_exception_fp_ieee_inexact 0
		.amdhsa_exception_int_div_zero 0
	.end_amdhsa_kernel
	.section	.text._ZN7rocprim17ROCPRIM_400000_NS6detail17trampoline_kernelINS0_14default_configENS1_37merge_sort_block_sort_config_selectorIlNS0_10empty_typeEEEZNS1_21merge_sort_block_sortIS3_PlS8_PS5_S9_ZN2at6native12_GLOBAL__N_124unique_dim_cuda_templateIN3c104HalfEEESt5tupleIJNSA_6TensorESH_SH_EERKSH_lbbbEUlllE_EE10hipError_tT0_T1_T2_T3_mRjT4_P12ihipStream_tbNS1_7vsmem_tEEUlT_E_NS1_11comp_targetILNS1_3genE3ELNS1_11target_archE908ELNS1_3gpuE7ELNS1_3repE0EEENS1_30default_config_static_selectorELNS0_4arch9wavefront6targetE0EEEvSO_,"axG",@progbits,_ZN7rocprim17ROCPRIM_400000_NS6detail17trampoline_kernelINS0_14default_configENS1_37merge_sort_block_sort_config_selectorIlNS0_10empty_typeEEEZNS1_21merge_sort_block_sortIS3_PlS8_PS5_S9_ZN2at6native12_GLOBAL__N_124unique_dim_cuda_templateIN3c104HalfEEESt5tupleIJNSA_6TensorESH_SH_EERKSH_lbbbEUlllE_EE10hipError_tT0_T1_T2_T3_mRjT4_P12ihipStream_tbNS1_7vsmem_tEEUlT_E_NS1_11comp_targetILNS1_3genE3ELNS1_11target_archE908ELNS1_3gpuE7ELNS1_3repE0EEENS1_30default_config_static_selectorELNS0_4arch9wavefront6targetE0EEEvSO_,comdat
.Lfunc_end1242:
	.size	_ZN7rocprim17ROCPRIM_400000_NS6detail17trampoline_kernelINS0_14default_configENS1_37merge_sort_block_sort_config_selectorIlNS0_10empty_typeEEEZNS1_21merge_sort_block_sortIS3_PlS8_PS5_S9_ZN2at6native12_GLOBAL__N_124unique_dim_cuda_templateIN3c104HalfEEESt5tupleIJNSA_6TensorESH_SH_EERKSH_lbbbEUlllE_EE10hipError_tT0_T1_T2_T3_mRjT4_P12ihipStream_tbNS1_7vsmem_tEEUlT_E_NS1_11comp_targetILNS1_3genE3ELNS1_11target_archE908ELNS1_3gpuE7ELNS1_3repE0EEENS1_30default_config_static_selectorELNS0_4arch9wavefront6targetE0EEEvSO_, .Lfunc_end1242-_ZN7rocprim17ROCPRIM_400000_NS6detail17trampoline_kernelINS0_14default_configENS1_37merge_sort_block_sort_config_selectorIlNS0_10empty_typeEEEZNS1_21merge_sort_block_sortIS3_PlS8_PS5_S9_ZN2at6native12_GLOBAL__N_124unique_dim_cuda_templateIN3c104HalfEEESt5tupleIJNSA_6TensorESH_SH_EERKSH_lbbbEUlllE_EE10hipError_tT0_T1_T2_T3_mRjT4_P12ihipStream_tbNS1_7vsmem_tEEUlT_E_NS1_11comp_targetILNS1_3genE3ELNS1_11target_archE908ELNS1_3gpuE7ELNS1_3repE0EEENS1_30default_config_static_selectorELNS0_4arch9wavefront6targetE0EEEvSO_
                                        ; -- End function
	.set _ZN7rocprim17ROCPRIM_400000_NS6detail17trampoline_kernelINS0_14default_configENS1_37merge_sort_block_sort_config_selectorIlNS0_10empty_typeEEEZNS1_21merge_sort_block_sortIS3_PlS8_PS5_S9_ZN2at6native12_GLOBAL__N_124unique_dim_cuda_templateIN3c104HalfEEESt5tupleIJNSA_6TensorESH_SH_EERKSH_lbbbEUlllE_EE10hipError_tT0_T1_T2_T3_mRjT4_P12ihipStream_tbNS1_7vsmem_tEEUlT_E_NS1_11comp_targetILNS1_3genE3ELNS1_11target_archE908ELNS1_3gpuE7ELNS1_3repE0EEENS1_30default_config_static_selectorELNS0_4arch9wavefront6targetE0EEEvSO_.num_vgpr, 0
	.set _ZN7rocprim17ROCPRIM_400000_NS6detail17trampoline_kernelINS0_14default_configENS1_37merge_sort_block_sort_config_selectorIlNS0_10empty_typeEEEZNS1_21merge_sort_block_sortIS3_PlS8_PS5_S9_ZN2at6native12_GLOBAL__N_124unique_dim_cuda_templateIN3c104HalfEEESt5tupleIJNSA_6TensorESH_SH_EERKSH_lbbbEUlllE_EE10hipError_tT0_T1_T2_T3_mRjT4_P12ihipStream_tbNS1_7vsmem_tEEUlT_E_NS1_11comp_targetILNS1_3genE3ELNS1_11target_archE908ELNS1_3gpuE7ELNS1_3repE0EEENS1_30default_config_static_selectorELNS0_4arch9wavefront6targetE0EEEvSO_.num_agpr, 0
	.set _ZN7rocprim17ROCPRIM_400000_NS6detail17trampoline_kernelINS0_14default_configENS1_37merge_sort_block_sort_config_selectorIlNS0_10empty_typeEEEZNS1_21merge_sort_block_sortIS3_PlS8_PS5_S9_ZN2at6native12_GLOBAL__N_124unique_dim_cuda_templateIN3c104HalfEEESt5tupleIJNSA_6TensorESH_SH_EERKSH_lbbbEUlllE_EE10hipError_tT0_T1_T2_T3_mRjT4_P12ihipStream_tbNS1_7vsmem_tEEUlT_E_NS1_11comp_targetILNS1_3genE3ELNS1_11target_archE908ELNS1_3gpuE7ELNS1_3repE0EEENS1_30default_config_static_selectorELNS0_4arch9wavefront6targetE0EEEvSO_.numbered_sgpr, 0
	.set _ZN7rocprim17ROCPRIM_400000_NS6detail17trampoline_kernelINS0_14default_configENS1_37merge_sort_block_sort_config_selectorIlNS0_10empty_typeEEEZNS1_21merge_sort_block_sortIS3_PlS8_PS5_S9_ZN2at6native12_GLOBAL__N_124unique_dim_cuda_templateIN3c104HalfEEESt5tupleIJNSA_6TensorESH_SH_EERKSH_lbbbEUlllE_EE10hipError_tT0_T1_T2_T3_mRjT4_P12ihipStream_tbNS1_7vsmem_tEEUlT_E_NS1_11comp_targetILNS1_3genE3ELNS1_11target_archE908ELNS1_3gpuE7ELNS1_3repE0EEENS1_30default_config_static_selectorELNS0_4arch9wavefront6targetE0EEEvSO_.num_named_barrier, 0
	.set _ZN7rocprim17ROCPRIM_400000_NS6detail17trampoline_kernelINS0_14default_configENS1_37merge_sort_block_sort_config_selectorIlNS0_10empty_typeEEEZNS1_21merge_sort_block_sortIS3_PlS8_PS5_S9_ZN2at6native12_GLOBAL__N_124unique_dim_cuda_templateIN3c104HalfEEESt5tupleIJNSA_6TensorESH_SH_EERKSH_lbbbEUlllE_EE10hipError_tT0_T1_T2_T3_mRjT4_P12ihipStream_tbNS1_7vsmem_tEEUlT_E_NS1_11comp_targetILNS1_3genE3ELNS1_11target_archE908ELNS1_3gpuE7ELNS1_3repE0EEENS1_30default_config_static_selectorELNS0_4arch9wavefront6targetE0EEEvSO_.private_seg_size, 0
	.set _ZN7rocprim17ROCPRIM_400000_NS6detail17trampoline_kernelINS0_14default_configENS1_37merge_sort_block_sort_config_selectorIlNS0_10empty_typeEEEZNS1_21merge_sort_block_sortIS3_PlS8_PS5_S9_ZN2at6native12_GLOBAL__N_124unique_dim_cuda_templateIN3c104HalfEEESt5tupleIJNSA_6TensorESH_SH_EERKSH_lbbbEUlllE_EE10hipError_tT0_T1_T2_T3_mRjT4_P12ihipStream_tbNS1_7vsmem_tEEUlT_E_NS1_11comp_targetILNS1_3genE3ELNS1_11target_archE908ELNS1_3gpuE7ELNS1_3repE0EEENS1_30default_config_static_selectorELNS0_4arch9wavefront6targetE0EEEvSO_.uses_vcc, 0
	.set _ZN7rocprim17ROCPRIM_400000_NS6detail17trampoline_kernelINS0_14default_configENS1_37merge_sort_block_sort_config_selectorIlNS0_10empty_typeEEEZNS1_21merge_sort_block_sortIS3_PlS8_PS5_S9_ZN2at6native12_GLOBAL__N_124unique_dim_cuda_templateIN3c104HalfEEESt5tupleIJNSA_6TensorESH_SH_EERKSH_lbbbEUlllE_EE10hipError_tT0_T1_T2_T3_mRjT4_P12ihipStream_tbNS1_7vsmem_tEEUlT_E_NS1_11comp_targetILNS1_3genE3ELNS1_11target_archE908ELNS1_3gpuE7ELNS1_3repE0EEENS1_30default_config_static_selectorELNS0_4arch9wavefront6targetE0EEEvSO_.uses_flat_scratch, 0
	.set _ZN7rocprim17ROCPRIM_400000_NS6detail17trampoline_kernelINS0_14default_configENS1_37merge_sort_block_sort_config_selectorIlNS0_10empty_typeEEEZNS1_21merge_sort_block_sortIS3_PlS8_PS5_S9_ZN2at6native12_GLOBAL__N_124unique_dim_cuda_templateIN3c104HalfEEESt5tupleIJNSA_6TensorESH_SH_EERKSH_lbbbEUlllE_EE10hipError_tT0_T1_T2_T3_mRjT4_P12ihipStream_tbNS1_7vsmem_tEEUlT_E_NS1_11comp_targetILNS1_3genE3ELNS1_11target_archE908ELNS1_3gpuE7ELNS1_3repE0EEENS1_30default_config_static_selectorELNS0_4arch9wavefront6targetE0EEEvSO_.has_dyn_sized_stack, 0
	.set _ZN7rocprim17ROCPRIM_400000_NS6detail17trampoline_kernelINS0_14default_configENS1_37merge_sort_block_sort_config_selectorIlNS0_10empty_typeEEEZNS1_21merge_sort_block_sortIS3_PlS8_PS5_S9_ZN2at6native12_GLOBAL__N_124unique_dim_cuda_templateIN3c104HalfEEESt5tupleIJNSA_6TensorESH_SH_EERKSH_lbbbEUlllE_EE10hipError_tT0_T1_T2_T3_mRjT4_P12ihipStream_tbNS1_7vsmem_tEEUlT_E_NS1_11comp_targetILNS1_3genE3ELNS1_11target_archE908ELNS1_3gpuE7ELNS1_3repE0EEENS1_30default_config_static_selectorELNS0_4arch9wavefront6targetE0EEEvSO_.has_recursion, 0
	.set _ZN7rocprim17ROCPRIM_400000_NS6detail17trampoline_kernelINS0_14default_configENS1_37merge_sort_block_sort_config_selectorIlNS0_10empty_typeEEEZNS1_21merge_sort_block_sortIS3_PlS8_PS5_S9_ZN2at6native12_GLOBAL__N_124unique_dim_cuda_templateIN3c104HalfEEESt5tupleIJNSA_6TensorESH_SH_EERKSH_lbbbEUlllE_EE10hipError_tT0_T1_T2_T3_mRjT4_P12ihipStream_tbNS1_7vsmem_tEEUlT_E_NS1_11comp_targetILNS1_3genE3ELNS1_11target_archE908ELNS1_3gpuE7ELNS1_3repE0EEENS1_30default_config_static_selectorELNS0_4arch9wavefront6targetE0EEEvSO_.has_indirect_call, 0
	.section	.AMDGPU.csdata,"",@progbits
; Kernel info:
; codeLenInByte = 0
; TotalNumSgprs: 0
; NumVgprs: 0
; ScratchSize: 0
; MemoryBound: 0
; FloatMode: 240
; IeeeMode: 1
; LDSByteSize: 0 bytes/workgroup (compile time only)
; SGPRBlocks: 0
; VGPRBlocks: 0
; NumSGPRsForWavesPerEU: 1
; NumVGPRsForWavesPerEU: 1
; NamedBarCnt: 0
; Occupancy: 16
; WaveLimiterHint : 0
; COMPUTE_PGM_RSRC2:SCRATCH_EN: 0
; COMPUTE_PGM_RSRC2:USER_SGPR: 2
; COMPUTE_PGM_RSRC2:TRAP_HANDLER: 0
; COMPUTE_PGM_RSRC2:TGID_X_EN: 1
; COMPUTE_PGM_RSRC2:TGID_Y_EN: 0
; COMPUTE_PGM_RSRC2:TGID_Z_EN: 0
; COMPUTE_PGM_RSRC2:TIDIG_COMP_CNT: 0
	.section	.text._ZN7rocprim17ROCPRIM_400000_NS6detail17trampoline_kernelINS0_14default_configENS1_37merge_sort_block_sort_config_selectorIlNS0_10empty_typeEEEZNS1_21merge_sort_block_sortIS3_PlS8_PS5_S9_ZN2at6native12_GLOBAL__N_124unique_dim_cuda_templateIN3c104HalfEEESt5tupleIJNSA_6TensorESH_SH_EERKSH_lbbbEUlllE_EE10hipError_tT0_T1_T2_T3_mRjT4_P12ihipStream_tbNS1_7vsmem_tEEUlT_E_NS1_11comp_targetILNS1_3genE2ELNS1_11target_archE906ELNS1_3gpuE6ELNS1_3repE0EEENS1_30default_config_static_selectorELNS0_4arch9wavefront6targetE0EEEvSO_,"axG",@progbits,_ZN7rocprim17ROCPRIM_400000_NS6detail17trampoline_kernelINS0_14default_configENS1_37merge_sort_block_sort_config_selectorIlNS0_10empty_typeEEEZNS1_21merge_sort_block_sortIS3_PlS8_PS5_S9_ZN2at6native12_GLOBAL__N_124unique_dim_cuda_templateIN3c104HalfEEESt5tupleIJNSA_6TensorESH_SH_EERKSH_lbbbEUlllE_EE10hipError_tT0_T1_T2_T3_mRjT4_P12ihipStream_tbNS1_7vsmem_tEEUlT_E_NS1_11comp_targetILNS1_3genE2ELNS1_11target_archE906ELNS1_3gpuE6ELNS1_3repE0EEENS1_30default_config_static_selectorELNS0_4arch9wavefront6targetE0EEEvSO_,comdat
	.globl	_ZN7rocprim17ROCPRIM_400000_NS6detail17trampoline_kernelINS0_14default_configENS1_37merge_sort_block_sort_config_selectorIlNS0_10empty_typeEEEZNS1_21merge_sort_block_sortIS3_PlS8_PS5_S9_ZN2at6native12_GLOBAL__N_124unique_dim_cuda_templateIN3c104HalfEEESt5tupleIJNSA_6TensorESH_SH_EERKSH_lbbbEUlllE_EE10hipError_tT0_T1_T2_T3_mRjT4_P12ihipStream_tbNS1_7vsmem_tEEUlT_E_NS1_11comp_targetILNS1_3genE2ELNS1_11target_archE906ELNS1_3gpuE6ELNS1_3repE0EEENS1_30default_config_static_selectorELNS0_4arch9wavefront6targetE0EEEvSO_ ; -- Begin function _ZN7rocprim17ROCPRIM_400000_NS6detail17trampoline_kernelINS0_14default_configENS1_37merge_sort_block_sort_config_selectorIlNS0_10empty_typeEEEZNS1_21merge_sort_block_sortIS3_PlS8_PS5_S9_ZN2at6native12_GLOBAL__N_124unique_dim_cuda_templateIN3c104HalfEEESt5tupleIJNSA_6TensorESH_SH_EERKSH_lbbbEUlllE_EE10hipError_tT0_T1_T2_T3_mRjT4_P12ihipStream_tbNS1_7vsmem_tEEUlT_E_NS1_11comp_targetILNS1_3genE2ELNS1_11target_archE906ELNS1_3gpuE6ELNS1_3repE0EEENS1_30default_config_static_selectorELNS0_4arch9wavefront6targetE0EEEvSO_
	.p2align	8
	.type	_ZN7rocprim17ROCPRIM_400000_NS6detail17trampoline_kernelINS0_14default_configENS1_37merge_sort_block_sort_config_selectorIlNS0_10empty_typeEEEZNS1_21merge_sort_block_sortIS3_PlS8_PS5_S9_ZN2at6native12_GLOBAL__N_124unique_dim_cuda_templateIN3c104HalfEEESt5tupleIJNSA_6TensorESH_SH_EERKSH_lbbbEUlllE_EE10hipError_tT0_T1_T2_T3_mRjT4_P12ihipStream_tbNS1_7vsmem_tEEUlT_E_NS1_11comp_targetILNS1_3genE2ELNS1_11target_archE906ELNS1_3gpuE6ELNS1_3repE0EEENS1_30default_config_static_selectorELNS0_4arch9wavefront6targetE0EEEvSO_,@function
_ZN7rocprim17ROCPRIM_400000_NS6detail17trampoline_kernelINS0_14default_configENS1_37merge_sort_block_sort_config_selectorIlNS0_10empty_typeEEEZNS1_21merge_sort_block_sortIS3_PlS8_PS5_S9_ZN2at6native12_GLOBAL__N_124unique_dim_cuda_templateIN3c104HalfEEESt5tupleIJNSA_6TensorESH_SH_EERKSH_lbbbEUlllE_EE10hipError_tT0_T1_T2_T3_mRjT4_P12ihipStream_tbNS1_7vsmem_tEEUlT_E_NS1_11comp_targetILNS1_3genE2ELNS1_11target_archE906ELNS1_3gpuE6ELNS1_3repE0EEENS1_30default_config_static_selectorELNS0_4arch9wavefront6targetE0EEEvSO_: ; @_ZN7rocprim17ROCPRIM_400000_NS6detail17trampoline_kernelINS0_14default_configENS1_37merge_sort_block_sort_config_selectorIlNS0_10empty_typeEEEZNS1_21merge_sort_block_sortIS3_PlS8_PS5_S9_ZN2at6native12_GLOBAL__N_124unique_dim_cuda_templateIN3c104HalfEEESt5tupleIJNSA_6TensorESH_SH_EERKSH_lbbbEUlllE_EE10hipError_tT0_T1_T2_T3_mRjT4_P12ihipStream_tbNS1_7vsmem_tEEUlT_E_NS1_11comp_targetILNS1_3genE2ELNS1_11target_archE906ELNS1_3gpuE6ELNS1_3repE0EEENS1_30default_config_static_selectorELNS0_4arch9wavefront6targetE0EEEvSO_
; %bb.0:
	.section	.rodata,"a",@progbits
	.p2align	6, 0x0
	.amdhsa_kernel _ZN7rocprim17ROCPRIM_400000_NS6detail17trampoline_kernelINS0_14default_configENS1_37merge_sort_block_sort_config_selectorIlNS0_10empty_typeEEEZNS1_21merge_sort_block_sortIS3_PlS8_PS5_S9_ZN2at6native12_GLOBAL__N_124unique_dim_cuda_templateIN3c104HalfEEESt5tupleIJNSA_6TensorESH_SH_EERKSH_lbbbEUlllE_EE10hipError_tT0_T1_T2_T3_mRjT4_P12ihipStream_tbNS1_7vsmem_tEEUlT_E_NS1_11comp_targetILNS1_3genE2ELNS1_11target_archE906ELNS1_3gpuE6ELNS1_3repE0EEENS1_30default_config_static_selectorELNS0_4arch9wavefront6targetE0EEEvSO_
		.amdhsa_group_segment_fixed_size 0
		.amdhsa_private_segment_fixed_size 0
		.amdhsa_kernarg_size 72
		.amdhsa_user_sgpr_count 2
		.amdhsa_user_sgpr_dispatch_ptr 0
		.amdhsa_user_sgpr_queue_ptr 0
		.amdhsa_user_sgpr_kernarg_segment_ptr 1
		.amdhsa_user_sgpr_dispatch_id 0
		.amdhsa_user_sgpr_kernarg_preload_length 0
		.amdhsa_user_sgpr_kernarg_preload_offset 0
		.amdhsa_user_sgpr_private_segment_size 0
		.amdhsa_wavefront_size32 1
		.amdhsa_uses_dynamic_stack 0
		.amdhsa_enable_private_segment 0
		.amdhsa_system_sgpr_workgroup_id_x 1
		.amdhsa_system_sgpr_workgroup_id_y 0
		.amdhsa_system_sgpr_workgroup_id_z 0
		.amdhsa_system_sgpr_workgroup_info 0
		.amdhsa_system_vgpr_workitem_id 0
		.amdhsa_next_free_vgpr 1
		.amdhsa_next_free_sgpr 1
		.amdhsa_named_barrier_count 0
		.amdhsa_reserve_vcc 0
		.amdhsa_float_round_mode_32 0
		.amdhsa_float_round_mode_16_64 0
		.amdhsa_float_denorm_mode_32 3
		.amdhsa_float_denorm_mode_16_64 3
		.amdhsa_fp16_overflow 0
		.amdhsa_memory_ordered 1
		.amdhsa_forward_progress 1
		.amdhsa_inst_pref_size 0
		.amdhsa_round_robin_scheduling 0
		.amdhsa_exception_fp_ieee_invalid_op 0
		.amdhsa_exception_fp_denorm_src 0
		.amdhsa_exception_fp_ieee_div_zero 0
		.amdhsa_exception_fp_ieee_overflow 0
		.amdhsa_exception_fp_ieee_underflow 0
		.amdhsa_exception_fp_ieee_inexact 0
		.amdhsa_exception_int_div_zero 0
	.end_amdhsa_kernel
	.section	.text._ZN7rocprim17ROCPRIM_400000_NS6detail17trampoline_kernelINS0_14default_configENS1_37merge_sort_block_sort_config_selectorIlNS0_10empty_typeEEEZNS1_21merge_sort_block_sortIS3_PlS8_PS5_S9_ZN2at6native12_GLOBAL__N_124unique_dim_cuda_templateIN3c104HalfEEESt5tupleIJNSA_6TensorESH_SH_EERKSH_lbbbEUlllE_EE10hipError_tT0_T1_T2_T3_mRjT4_P12ihipStream_tbNS1_7vsmem_tEEUlT_E_NS1_11comp_targetILNS1_3genE2ELNS1_11target_archE906ELNS1_3gpuE6ELNS1_3repE0EEENS1_30default_config_static_selectorELNS0_4arch9wavefront6targetE0EEEvSO_,"axG",@progbits,_ZN7rocprim17ROCPRIM_400000_NS6detail17trampoline_kernelINS0_14default_configENS1_37merge_sort_block_sort_config_selectorIlNS0_10empty_typeEEEZNS1_21merge_sort_block_sortIS3_PlS8_PS5_S9_ZN2at6native12_GLOBAL__N_124unique_dim_cuda_templateIN3c104HalfEEESt5tupleIJNSA_6TensorESH_SH_EERKSH_lbbbEUlllE_EE10hipError_tT0_T1_T2_T3_mRjT4_P12ihipStream_tbNS1_7vsmem_tEEUlT_E_NS1_11comp_targetILNS1_3genE2ELNS1_11target_archE906ELNS1_3gpuE6ELNS1_3repE0EEENS1_30default_config_static_selectorELNS0_4arch9wavefront6targetE0EEEvSO_,comdat
.Lfunc_end1243:
	.size	_ZN7rocprim17ROCPRIM_400000_NS6detail17trampoline_kernelINS0_14default_configENS1_37merge_sort_block_sort_config_selectorIlNS0_10empty_typeEEEZNS1_21merge_sort_block_sortIS3_PlS8_PS5_S9_ZN2at6native12_GLOBAL__N_124unique_dim_cuda_templateIN3c104HalfEEESt5tupleIJNSA_6TensorESH_SH_EERKSH_lbbbEUlllE_EE10hipError_tT0_T1_T2_T3_mRjT4_P12ihipStream_tbNS1_7vsmem_tEEUlT_E_NS1_11comp_targetILNS1_3genE2ELNS1_11target_archE906ELNS1_3gpuE6ELNS1_3repE0EEENS1_30default_config_static_selectorELNS0_4arch9wavefront6targetE0EEEvSO_, .Lfunc_end1243-_ZN7rocprim17ROCPRIM_400000_NS6detail17trampoline_kernelINS0_14default_configENS1_37merge_sort_block_sort_config_selectorIlNS0_10empty_typeEEEZNS1_21merge_sort_block_sortIS3_PlS8_PS5_S9_ZN2at6native12_GLOBAL__N_124unique_dim_cuda_templateIN3c104HalfEEESt5tupleIJNSA_6TensorESH_SH_EERKSH_lbbbEUlllE_EE10hipError_tT0_T1_T2_T3_mRjT4_P12ihipStream_tbNS1_7vsmem_tEEUlT_E_NS1_11comp_targetILNS1_3genE2ELNS1_11target_archE906ELNS1_3gpuE6ELNS1_3repE0EEENS1_30default_config_static_selectorELNS0_4arch9wavefront6targetE0EEEvSO_
                                        ; -- End function
	.set _ZN7rocprim17ROCPRIM_400000_NS6detail17trampoline_kernelINS0_14default_configENS1_37merge_sort_block_sort_config_selectorIlNS0_10empty_typeEEEZNS1_21merge_sort_block_sortIS3_PlS8_PS5_S9_ZN2at6native12_GLOBAL__N_124unique_dim_cuda_templateIN3c104HalfEEESt5tupleIJNSA_6TensorESH_SH_EERKSH_lbbbEUlllE_EE10hipError_tT0_T1_T2_T3_mRjT4_P12ihipStream_tbNS1_7vsmem_tEEUlT_E_NS1_11comp_targetILNS1_3genE2ELNS1_11target_archE906ELNS1_3gpuE6ELNS1_3repE0EEENS1_30default_config_static_selectorELNS0_4arch9wavefront6targetE0EEEvSO_.num_vgpr, 0
	.set _ZN7rocprim17ROCPRIM_400000_NS6detail17trampoline_kernelINS0_14default_configENS1_37merge_sort_block_sort_config_selectorIlNS0_10empty_typeEEEZNS1_21merge_sort_block_sortIS3_PlS8_PS5_S9_ZN2at6native12_GLOBAL__N_124unique_dim_cuda_templateIN3c104HalfEEESt5tupleIJNSA_6TensorESH_SH_EERKSH_lbbbEUlllE_EE10hipError_tT0_T1_T2_T3_mRjT4_P12ihipStream_tbNS1_7vsmem_tEEUlT_E_NS1_11comp_targetILNS1_3genE2ELNS1_11target_archE906ELNS1_3gpuE6ELNS1_3repE0EEENS1_30default_config_static_selectorELNS0_4arch9wavefront6targetE0EEEvSO_.num_agpr, 0
	.set _ZN7rocprim17ROCPRIM_400000_NS6detail17trampoline_kernelINS0_14default_configENS1_37merge_sort_block_sort_config_selectorIlNS0_10empty_typeEEEZNS1_21merge_sort_block_sortIS3_PlS8_PS5_S9_ZN2at6native12_GLOBAL__N_124unique_dim_cuda_templateIN3c104HalfEEESt5tupleIJNSA_6TensorESH_SH_EERKSH_lbbbEUlllE_EE10hipError_tT0_T1_T2_T3_mRjT4_P12ihipStream_tbNS1_7vsmem_tEEUlT_E_NS1_11comp_targetILNS1_3genE2ELNS1_11target_archE906ELNS1_3gpuE6ELNS1_3repE0EEENS1_30default_config_static_selectorELNS0_4arch9wavefront6targetE0EEEvSO_.numbered_sgpr, 0
	.set _ZN7rocprim17ROCPRIM_400000_NS6detail17trampoline_kernelINS0_14default_configENS1_37merge_sort_block_sort_config_selectorIlNS0_10empty_typeEEEZNS1_21merge_sort_block_sortIS3_PlS8_PS5_S9_ZN2at6native12_GLOBAL__N_124unique_dim_cuda_templateIN3c104HalfEEESt5tupleIJNSA_6TensorESH_SH_EERKSH_lbbbEUlllE_EE10hipError_tT0_T1_T2_T3_mRjT4_P12ihipStream_tbNS1_7vsmem_tEEUlT_E_NS1_11comp_targetILNS1_3genE2ELNS1_11target_archE906ELNS1_3gpuE6ELNS1_3repE0EEENS1_30default_config_static_selectorELNS0_4arch9wavefront6targetE0EEEvSO_.num_named_barrier, 0
	.set _ZN7rocprim17ROCPRIM_400000_NS6detail17trampoline_kernelINS0_14default_configENS1_37merge_sort_block_sort_config_selectorIlNS0_10empty_typeEEEZNS1_21merge_sort_block_sortIS3_PlS8_PS5_S9_ZN2at6native12_GLOBAL__N_124unique_dim_cuda_templateIN3c104HalfEEESt5tupleIJNSA_6TensorESH_SH_EERKSH_lbbbEUlllE_EE10hipError_tT0_T1_T2_T3_mRjT4_P12ihipStream_tbNS1_7vsmem_tEEUlT_E_NS1_11comp_targetILNS1_3genE2ELNS1_11target_archE906ELNS1_3gpuE6ELNS1_3repE0EEENS1_30default_config_static_selectorELNS0_4arch9wavefront6targetE0EEEvSO_.private_seg_size, 0
	.set _ZN7rocprim17ROCPRIM_400000_NS6detail17trampoline_kernelINS0_14default_configENS1_37merge_sort_block_sort_config_selectorIlNS0_10empty_typeEEEZNS1_21merge_sort_block_sortIS3_PlS8_PS5_S9_ZN2at6native12_GLOBAL__N_124unique_dim_cuda_templateIN3c104HalfEEESt5tupleIJNSA_6TensorESH_SH_EERKSH_lbbbEUlllE_EE10hipError_tT0_T1_T2_T3_mRjT4_P12ihipStream_tbNS1_7vsmem_tEEUlT_E_NS1_11comp_targetILNS1_3genE2ELNS1_11target_archE906ELNS1_3gpuE6ELNS1_3repE0EEENS1_30default_config_static_selectorELNS0_4arch9wavefront6targetE0EEEvSO_.uses_vcc, 0
	.set _ZN7rocprim17ROCPRIM_400000_NS6detail17trampoline_kernelINS0_14default_configENS1_37merge_sort_block_sort_config_selectorIlNS0_10empty_typeEEEZNS1_21merge_sort_block_sortIS3_PlS8_PS5_S9_ZN2at6native12_GLOBAL__N_124unique_dim_cuda_templateIN3c104HalfEEESt5tupleIJNSA_6TensorESH_SH_EERKSH_lbbbEUlllE_EE10hipError_tT0_T1_T2_T3_mRjT4_P12ihipStream_tbNS1_7vsmem_tEEUlT_E_NS1_11comp_targetILNS1_3genE2ELNS1_11target_archE906ELNS1_3gpuE6ELNS1_3repE0EEENS1_30default_config_static_selectorELNS0_4arch9wavefront6targetE0EEEvSO_.uses_flat_scratch, 0
	.set _ZN7rocprim17ROCPRIM_400000_NS6detail17trampoline_kernelINS0_14default_configENS1_37merge_sort_block_sort_config_selectorIlNS0_10empty_typeEEEZNS1_21merge_sort_block_sortIS3_PlS8_PS5_S9_ZN2at6native12_GLOBAL__N_124unique_dim_cuda_templateIN3c104HalfEEESt5tupleIJNSA_6TensorESH_SH_EERKSH_lbbbEUlllE_EE10hipError_tT0_T1_T2_T3_mRjT4_P12ihipStream_tbNS1_7vsmem_tEEUlT_E_NS1_11comp_targetILNS1_3genE2ELNS1_11target_archE906ELNS1_3gpuE6ELNS1_3repE0EEENS1_30default_config_static_selectorELNS0_4arch9wavefront6targetE0EEEvSO_.has_dyn_sized_stack, 0
	.set _ZN7rocprim17ROCPRIM_400000_NS6detail17trampoline_kernelINS0_14default_configENS1_37merge_sort_block_sort_config_selectorIlNS0_10empty_typeEEEZNS1_21merge_sort_block_sortIS3_PlS8_PS5_S9_ZN2at6native12_GLOBAL__N_124unique_dim_cuda_templateIN3c104HalfEEESt5tupleIJNSA_6TensorESH_SH_EERKSH_lbbbEUlllE_EE10hipError_tT0_T1_T2_T3_mRjT4_P12ihipStream_tbNS1_7vsmem_tEEUlT_E_NS1_11comp_targetILNS1_3genE2ELNS1_11target_archE906ELNS1_3gpuE6ELNS1_3repE0EEENS1_30default_config_static_selectorELNS0_4arch9wavefront6targetE0EEEvSO_.has_recursion, 0
	.set _ZN7rocprim17ROCPRIM_400000_NS6detail17trampoline_kernelINS0_14default_configENS1_37merge_sort_block_sort_config_selectorIlNS0_10empty_typeEEEZNS1_21merge_sort_block_sortIS3_PlS8_PS5_S9_ZN2at6native12_GLOBAL__N_124unique_dim_cuda_templateIN3c104HalfEEESt5tupleIJNSA_6TensorESH_SH_EERKSH_lbbbEUlllE_EE10hipError_tT0_T1_T2_T3_mRjT4_P12ihipStream_tbNS1_7vsmem_tEEUlT_E_NS1_11comp_targetILNS1_3genE2ELNS1_11target_archE906ELNS1_3gpuE6ELNS1_3repE0EEENS1_30default_config_static_selectorELNS0_4arch9wavefront6targetE0EEEvSO_.has_indirect_call, 0
	.section	.AMDGPU.csdata,"",@progbits
; Kernel info:
; codeLenInByte = 0
; TotalNumSgprs: 0
; NumVgprs: 0
; ScratchSize: 0
; MemoryBound: 0
; FloatMode: 240
; IeeeMode: 1
; LDSByteSize: 0 bytes/workgroup (compile time only)
; SGPRBlocks: 0
; VGPRBlocks: 0
; NumSGPRsForWavesPerEU: 1
; NumVGPRsForWavesPerEU: 1
; NamedBarCnt: 0
; Occupancy: 16
; WaveLimiterHint : 0
; COMPUTE_PGM_RSRC2:SCRATCH_EN: 0
; COMPUTE_PGM_RSRC2:USER_SGPR: 2
; COMPUTE_PGM_RSRC2:TRAP_HANDLER: 0
; COMPUTE_PGM_RSRC2:TGID_X_EN: 1
; COMPUTE_PGM_RSRC2:TGID_Y_EN: 0
; COMPUTE_PGM_RSRC2:TGID_Z_EN: 0
; COMPUTE_PGM_RSRC2:TIDIG_COMP_CNT: 0
	.section	.text._ZN7rocprim17ROCPRIM_400000_NS6detail17trampoline_kernelINS0_14default_configENS1_37merge_sort_block_sort_config_selectorIlNS0_10empty_typeEEEZNS1_21merge_sort_block_sortIS3_PlS8_PS5_S9_ZN2at6native12_GLOBAL__N_124unique_dim_cuda_templateIN3c104HalfEEESt5tupleIJNSA_6TensorESH_SH_EERKSH_lbbbEUlllE_EE10hipError_tT0_T1_T2_T3_mRjT4_P12ihipStream_tbNS1_7vsmem_tEEUlT_E_NS1_11comp_targetILNS1_3genE10ELNS1_11target_archE1201ELNS1_3gpuE5ELNS1_3repE0EEENS1_30default_config_static_selectorELNS0_4arch9wavefront6targetE0EEEvSO_,"axG",@progbits,_ZN7rocprim17ROCPRIM_400000_NS6detail17trampoline_kernelINS0_14default_configENS1_37merge_sort_block_sort_config_selectorIlNS0_10empty_typeEEEZNS1_21merge_sort_block_sortIS3_PlS8_PS5_S9_ZN2at6native12_GLOBAL__N_124unique_dim_cuda_templateIN3c104HalfEEESt5tupleIJNSA_6TensorESH_SH_EERKSH_lbbbEUlllE_EE10hipError_tT0_T1_T2_T3_mRjT4_P12ihipStream_tbNS1_7vsmem_tEEUlT_E_NS1_11comp_targetILNS1_3genE10ELNS1_11target_archE1201ELNS1_3gpuE5ELNS1_3repE0EEENS1_30default_config_static_selectorELNS0_4arch9wavefront6targetE0EEEvSO_,comdat
	.globl	_ZN7rocprim17ROCPRIM_400000_NS6detail17trampoline_kernelINS0_14default_configENS1_37merge_sort_block_sort_config_selectorIlNS0_10empty_typeEEEZNS1_21merge_sort_block_sortIS3_PlS8_PS5_S9_ZN2at6native12_GLOBAL__N_124unique_dim_cuda_templateIN3c104HalfEEESt5tupleIJNSA_6TensorESH_SH_EERKSH_lbbbEUlllE_EE10hipError_tT0_T1_T2_T3_mRjT4_P12ihipStream_tbNS1_7vsmem_tEEUlT_E_NS1_11comp_targetILNS1_3genE10ELNS1_11target_archE1201ELNS1_3gpuE5ELNS1_3repE0EEENS1_30default_config_static_selectorELNS0_4arch9wavefront6targetE0EEEvSO_ ; -- Begin function _ZN7rocprim17ROCPRIM_400000_NS6detail17trampoline_kernelINS0_14default_configENS1_37merge_sort_block_sort_config_selectorIlNS0_10empty_typeEEEZNS1_21merge_sort_block_sortIS3_PlS8_PS5_S9_ZN2at6native12_GLOBAL__N_124unique_dim_cuda_templateIN3c104HalfEEESt5tupleIJNSA_6TensorESH_SH_EERKSH_lbbbEUlllE_EE10hipError_tT0_T1_T2_T3_mRjT4_P12ihipStream_tbNS1_7vsmem_tEEUlT_E_NS1_11comp_targetILNS1_3genE10ELNS1_11target_archE1201ELNS1_3gpuE5ELNS1_3repE0EEENS1_30default_config_static_selectorELNS0_4arch9wavefront6targetE0EEEvSO_
	.p2align	8
	.type	_ZN7rocprim17ROCPRIM_400000_NS6detail17trampoline_kernelINS0_14default_configENS1_37merge_sort_block_sort_config_selectorIlNS0_10empty_typeEEEZNS1_21merge_sort_block_sortIS3_PlS8_PS5_S9_ZN2at6native12_GLOBAL__N_124unique_dim_cuda_templateIN3c104HalfEEESt5tupleIJNSA_6TensorESH_SH_EERKSH_lbbbEUlllE_EE10hipError_tT0_T1_T2_T3_mRjT4_P12ihipStream_tbNS1_7vsmem_tEEUlT_E_NS1_11comp_targetILNS1_3genE10ELNS1_11target_archE1201ELNS1_3gpuE5ELNS1_3repE0EEENS1_30default_config_static_selectorELNS0_4arch9wavefront6targetE0EEEvSO_,@function
_ZN7rocprim17ROCPRIM_400000_NS6detail17trampoline_kernelINS0_14default_configENS1_37merge_sort_block_sort_config_selectorIlNS0_10empty_typeEEEZNS1_21merge_sort_block_sortIS3_PlS8_PS5_S9_ZN2at6native12_GLOBAL__N_124unique_dim_cuda_templateIN3c104HalfEEESt5tupleIJNSA_6TensorESH_SH_EERKSH_lbbbEUlllE_EE10hipError_tT0_T1_T2_T3_mRjT4_P12ihipStream_tbNS1_7vsmem_tEEUlT_E_NS1_11comp_targetILNS1_3genE10ELNS1_11target_archE1201ELNS1_3gpuE5ELNS1_3repE0EEENS1_30default_config_static_selectorELNS0_4arch9wavefront6targetE0EEEvSO_: ; @_ZN7rocprim17ROCPRIM_400000_NS6detail17trampoline_kernelINS0_14default_configENS1_37merge_sort_block_sort_config_selectorIlNS0_10empty_typeEEEZNS1_21merge_sort_block_sortIS3_PlS8_PS5_S9_ZN2at6native12_GLOBAL__N_124unique_dim_cuda_templateIN3c104HalfEEESt5tupleIJNSA_6TensorESH_SH_EERKSH_lbbbEUlllE_EE10hipError_tT0_T1_T2_T3_mRjT4_P12ihipStream_tbNS1_7vsmem_tEEUlT_E_NS1_11comp_targetILNS1_3genE10ELNS1_11target_archE1201ELNS1_3gpuE5ELNS1_3repE0EEENS1_30default_config_static_selectorELNS0_4arch9wavefront6targetE0EEEvSO_
; %bb.0:
	.section	.rodata,"a",@progbits
	.p2align	6, 0x0
	.amdhsa_kernel _ZN7rocprim17ROCPRIM_400000_NS6detail17trampoline_kernelINS0_14default_configENS1_37merge_sort_block_sort_config_selectorIlNS0_10empty_typeEEEZNS1_21merge_sort_block_sortIS3_PlS8_PS5_S9_ZN2at6native12_GLOBAL__N_124unique_dim_cuda_templateIN3c104HalfEEESt5tupleIJNSA_6TensorESH_SH_EERKSH_lbbbEUlllE_EE10hipError_tT0_T1_T2_T3_mRjT4_P12ihipStream_tbNS1_7vsmem_tEEUlT_E_NS1_11comp_targetILNS1_3genE10ELNS1_11target_archE1201ELNS1_3gpuE5ELNS1_3repE0EEENS1_30default_config_static_selectorELNS0_4arch9wavefront6targetE0EEEvSO_
		.amdhsa_group_segment_fixed_size 0
		.amdhsa_private_segment_fixed_size 0
		.amdhsa_kernarg_size 72
		.amdhsa_user_sgpr_count 2
		.amdhsa_user_sgpr_dispatch_ptr 0
		.amdhsa_user_sgpr_queue_ptr 0
		.amdhsa_user_sgpr_kernarg_segment_ptr 1
		.amdhsa_user_sgpr_dispatch_id 0
		.amdhsa_user_sgpr_kernarg_preload_length 0
		.amdhsa_user_sgpr_kernarg_preload_offset 0
		.amdhsa_user_sgpr_private_segment_size 0
		.amdhsa_wavefront_size32 1
		.amdhsa_uses_dynamic_stack 0
		.amdhsa_enable_private_segment 0
		.amdhsa_system_sgpr_workgroup_id_x 1
		.amdhsa_system_sgpr_workgroup_id_y 0
		.amdhsa_system_sgpr_workgroup_id_z 0
		.amdhsa_system_sgpr_workgroup_info 0
		.amdhsa_system_vgpr_workitem_id 0
		.amdhsa_next_free_vgpr 1
		.amdhsa_next_free_sgpr 1
		.amdhsa_named_barrier_count 0
		.amdhsa_reserve_vcc 0
		.amdhsa_float_round_mode_32 0
		.amdhsa_float_round_mode_16_64 0
		.amdhsa_float_denorm_mode_32 3
		.amdhsa_float_denorm_mode_16_64 3
		.amdhsa_fp16_overflow 0
		.amdhsa_memory_ordered 1
		.amdhsa_forward_progress 1
		.amdhsa_inst_pref_size 0
		.amdhsa_round_robin_scheduling 0
		.amdhsa_exception_fp_ieee_invalid_op 0
		.amdhsa_exception_fp_denorm_src 0
		.amdhsa_exception_fp_ieee_div_zero 0
		.amdhsa_exception_fp_ieee_overflow 0
		.amdhsa_exception_fp_ieee_underflow 0
		.amdhsa_exception_fp_ieee_inexact 0
		.amdhsa_exception_int_div_zero 0
	.end_amdhsa_kernel
	.section	.text._ZN7rocprim17ROCPRIM_400000_NS6detail17trampoline_kernelINS0_14default_configENS1_37merge_sort_block_sort_config_selectorIlNS0_10empty_typeEEEZNS1_21merge_sort_block_sortIS3_PlS8_PS5_S9_ZN2at6native12_GLOBAL__N_124unique_dim_cuda_templateIN3c104HalfEEESt5tupleIJNSA_6TensorESH_SH_EERKSH_lbbbEUlllE_EE10hipError_tT0_T1_T2_T3_mRjT4_P12ihipStream_tbNS1_7vsmem_tEEUlT_E_NS1_11comp_targetILNS1_3genE10ELNS1_11target_archE1201ELNS1_3gpuE5ELNS1_3repE0EEENS1_30default_config_static_selectorELNS0_4arch9wavefront6targetE0EEEvSO_,"axG",@progbits,_ZN7rocprim17ROCPRIM_400000_NS6detail17trampoline_kernelINS0_14default_configENS1_37merge_sort_block_sort_config_selectorIlNS0_10empty_typeEEEZNS1_21merge_sort_block_sortIS3_PlS8_PS5_S9_ZN2at6native12_GLOBAL__N_124unique_dim_cuda_templateIN3c104HalfEEESt5tupleIJNSA_6TensorESH_SH_EERKSH_lbbbEUlllE_EE10hipError_tT0_T1_T2_T3_mRjT4_P12ihipStream_tbNS1_7vsmem_tEEUlT_E_NS1_11comp_targetILNS1_3genE10ELNS1_11target_archE1201ELNS1_3gpuE5ELNS1_3repE0EEENS1_30default_config_static_selectorELNS0_4arch9wavefront6targetE0EEEvSO_,comdat
.Lfunc_end1244:
	.size	_ZN7rocprim17ROCPRIM_400000_NS6detail17trampoline_kernelINS0_14default_configENS1_37merge_sort_block_sort_config_selectorIlNS0_10empty_typeEEEZNS1_21merge_sort_block_sortIS3_PlS8_PS5_S9_ZN2at6native12_GLOBAL__N_124unique_dim_cuda_templateIN3c104HalfEEESt5tupleIJNSA_6TensorESH_SH_EERKSH_lbbbEUlllE_EE10hipError_tT0_T1_T2_T3_mRjT4_P12ihipStream_tbNS1_7vsmem_tEEUlT_E_NS1_11comp_targetILNS1_3genE10ELNS1_11target_archE1201ELNS1_3gpuE5ELNS1_3repE0EEENS1_30default_config_static_selectorELNS0_4arch9wavefront6targetE0EEEvSO_, .Lfunc_end1244-_ZN7rocprim17ROCPRIM_400000_NS6detail17trampoline_kernelINS0_14default_configENS1_37merge_sort_block_sort_config_selectorIlNS0_10empty_typeEEEZNS1_21merge_sort_block_sortIS3_PlS8_PS5_S9_ZN2at6native12_GLOBAL__N_124unique_dim_cuda_templateIN3c104HalfEEESt5tupleIJNSA_6TensorESH_SH_EERKSH_lbbbEUlllE_EE10hipError_tT0_T1_T2_T3_mRjT4_P12ihipStream_tbNS1_7vsmem_tEEUlT_E_NS1_11comp_targetILNS1_3genE10ELNS1_11target_archE1201ELNS1_3gpuE5ELNS1_3repE0EEENS1_30default_config_static_selectorELNS0_4arch9wavefront6targetE0EEEvSO_
                                        ; -- End function
	.set _ZN7rocprim17ROCPRIM_400000_NS6detail17trampoline_kernelINS0_14default_configENS1_37merge_sort_block_sort_config_selectorIlNS0_10empty_typeEEEZNS1_21merge_sort_block_sortIS3_PlS8_PS5_S9_ZN2at6native12_GLOBAL__N_124unique_dim_cuda_templateIN3c104HalfEEESt5tupleIJNSA_6TensorESH_SH_EERKSH_lbbbEUlllE_EE10hipError_tT0_T1_T2_T3_mRjT4_P12ihipStream_tbNS1_7vsmem_tEEUlT_E_NS1_11comp_targetILNS1_3genE10ELNS1_11target_archE1201ELNS1_3gpuE5ELNS1_3repE0EEENS1_30default_config_static_selectorELNS0_4arch9wavefront6targetE0EEEvSO_.num_vgpr, 0
	.set _ZN7rocprim17ROCPRIM_400000_NS6detail17trampoline_kernelINS0_14default_configENS1_37merge_sort_block_sort_config_selectorIlNS0_10empty_typeEEEZNS1_21merge_sort_block_sortIS3_PlS8_PS5_S9_ZN2at6native12_GLOBAL__N_124unique_dim_cuda_templateIN3c104HalfEEESt5tupleIJNSA_6TensorESH_SH_EERKSH_lbbbEUlllE_EE10hipError_tT0_T1_T2_T3_mRjT4_P12ihipStream_tbNS1_7vsmem_tEEUlT_E_NS1_11comp_targetILNS1_3genE10ELNS1_11target_archE1201ELNS1_3gpuE5ELNS1_3repE0EEENS1_30default_config_static_selectorELNS0_4arch9wavefront6targetE0EEEvSO_.num_agpr, 0
	.set _ZN7rocprim17ROCPRIM_400000_NS6detail17trampoline_kernelINS0_14default_configENS1_37merge_sort_block_sort_config_selectorIlNS0_10empty_typeEEEZNS1_21merge_sort_block_sortIS3_PlS8_PS5_S9_ZN2at6native12_GLOBAL__N_124unique_dim_cuda_templateIN3c104HalfEEESt5tupleIJNSA_6TensorESH_SH_EERKSH_lbbbEUlllE_EE10hipError_tT0_T1_T2_T3_mRjT4_P12ihipStream_tbNS1_7vsmem_tEEUlT_E_NS1_11comp_targetILNS1_3genE10ELNS1_11target_archE1201ELNS1_3gpuE5ELNS1_3repE0EEENS1_30default_config_static_selectorELNS0_4arch9wavefront6targetE0EEEvSO_.numbered_sgpr, 0
	.set _ZN7rocprim17ROCPRIM_400000_NS6detail17trampoline_kernelINS0_14default_configENS1_37merge_sort_block_sort_config_selectorIlNS0_10empty_typeEEEZNS1_21merge_sort_block_sortIS3_PlS8_PS5_S9_ZN2at6native12_GLOBAL__N_124unique_dim_cuda_templateIN3c104HalfEEESt5tupleIJNSA_6TensorESH_SH_EERKSH_lbbbEUlllE_EE10hipError_tT0_T1_T2_T3_mRjT4_P12ihipStream_tbNS1_7vsmem_tEEUlT_E_NS1_11comp_targetILNS1_3genE10ELNS1_11target_archE1201ELNS1_3gpuE5ELNS1_3repE0EEENS1_30default_config_static_selectorELNS0_4arch9wavefront6targetE0EEEvSO_.num_named_barrier, 0
	.set _ZN7rocprim17ROCPRIM_400000_NS6detail17trampoline_kernelINS0_14default_configENS1_37merge_sort_block_sort_config_selectorIlNS0_10empty_typeEEEZNS1_21merge_sort_block_sortIS3_PlS8_PS5_S9_ZN2at6native12_GLOBAL__N_124unique_dim_cuda_templateIN3c104HalfEEESt5tupleIJNSA_6TensorESH_SH_EERKSH_lbbbEUlllE_EE10hipError_tT0_T1_T2_T3_mRjT4_P12ihipStream_tbNS1_7vsmem_tEEUlT_E_NS1_11comp_targetILNS1_3genE10ELNS1_11target_archE1201ELNS1_3gpuE5ELNS1_3repE0EEENS1_30default_config_static_selectorELNS0_4arch9wavefront6targetE0EEEvSO_.private_seg_size, 0
	.set _ZN7rocprim17ROCPRIM_400000_NS6detail17trampoline_kernelINS0_14default_configENS1_37merge_sort_block_sort_config_selectorIlNS0_10empty_typeEEEZNS1_21merge_sort_block_sortIS3_PlS8_PS5_S9_ZN2at6native12_GLOBAL__N_124unique_dim_cuda_templateIN3c104HalfEEESt5tupleIJNSA_6TensorESH_SH_EERKSH_lbbbEUlllE_EE10hipError_tT0_T1_T2_T3_mRjT4_P12ihipStream_tbNS1_7vsmem_tEEUlT_E_NS1_11comp_targetILNS1_3genE10ELNS1_11target_archE1201ELNS1_3gpuE5ELNS1_3repE0EEENS1_30default_config_static_selectorELNS0_4arch9wavefront6targetE0EEEvSO_.uses_vcc, 0
	.set _ZN7rocprim17ROCPRIM_400000_NS6detail17trampoline_kernelINS0_14default_configENS1_37merge_sort_block_sort_config_selectorIlNS0_10empty_typeEEEZNS1_21merge_sort_block_sortIS3_PlS8_PS5_S9_ZN2at6native12_GLOBAL__N_124unique_dim_cuda_templateIN3c104HalfEEESt5tupleIJNSA_6TensorESH_SH_EERKSH_lbbbEUlllE_EE10hipError_tT0_T1_T2_T3_mRjT4_P12ihipStream_tbNS1_7vsmem_tEEUlT_E_NS1_11comp_targetILNS1_3genE10ELNS1_11target_archE1201ELNS1_3gpuE5ELNS1_3repE0EEENS1_30default_config_static_selectorELNS0_4arch9wavefront6targetE0EEEvSO_.uses_flat_scratch, 0
	.set _ZN7rocprim17ROCPRIM_400000_NS6detail17trampoline_kernelINS0_14default_configENS1_37merge_sort_block_sort_config_selectorIlNS0_10empty_typeEEEZNS1_21merge_sort_block_sortIS3_PlS8_PS5_S9_ZN2at6native12_GLOBAL__N_124unique_dim_cuda_templateIN3c104HalfEEESt5tupleIJNSA_6TensorESH_SH_EERKSH_lbbbEUlllE_EE10hipError_tT0_T1_T2_T3_mRjT4_P12ihipStream_tbNS1_7vsmem_tEEUlT_E_NS1_11comp_targetILNS1_3genE10ELNS1_11target_archE1201ELNS1_3gpuE5ELNS1_3repE0EEENS1_30default_config_static_selectorELNS0_4arch9wavefront6targetE0EEEvSO_.has_dyn_sized_stack, 0
	.set _ZN7rocprim17ROCPRIM_400000_NS6detail17trampoline_kernelINS0_14default_configENS1_37merge_sort_block_sort_config_selectorIlNS0_10empty_typeEEEZNS1_21merge_sort_block_sortIS3_PlS8_PS5_S9_ZN2at6native12_GLOBAL__N_124unique_dim_cuda_templateIN3c104HalfEEESt5tupleIJNSA_6TensorESH_SH_EERKSH_lbbbEUlllE_EE10hipError_tT0_T1_T2_T3_mRjT4_P12ihipStream_tbNS1_7vsmem_tEEUlT_E_NS1_11comp_targetILNS1_3genE10ELNS1_11target_archE1201ELNS1_3gpuE5ELNS1_3repE0EEENS1_30default_config_static_selectorELNS0_4arch9wavefront6targetE0EEEvSO_.has_recursion, 0
	.set _ZN7rocprim17ROCPRIM_400000_NS6detail17trampoline_kernelINS0_14default_configENS1_37merge_sort_block_sort_config_selectorIlNS0_10empty_typeEEEZNS1_21merge_sort_block_sortIS3_PlS8_PS5_S9_ZN2at6native12_GLOBAL__N_124unique_dim_cuda_templateIN3c104HalfEEESt5tupleIJNSA_6TensorESH_SH_EERKSH_lbbbEUlllE_EE10hipError_tT0_T1_T2_T3_mRjT4_P12ihipStream_tbNS1_7vsmem_tEEUlT_E_NS1_11comp_targetILNS1_3genE10ELNS1_11target_archE1201ELNS1_3gpuE5ELNS1_3repE0EEENS1_30default_config_static_selectorELNS0_4arch9wavefront6targetE0EEEvSO_.has_indirect_call, 0
	.section	.AMDGPU.csdata,"",@progbits
; Kernel info:
; codeLenInByte = 0
; TotalNumSgprs: 0
; NumVgprs: 0
; ScratchSize: 0
; MemoryBound: 0
; FloatMode: 240
; IeeeMode: 1
; LDSByteSize: 0 bytes/workgroup (compile time only)
; SGPRBlocks: 0
; VGPRBlocks: 0
; NumSGPRsForWavesPerEU: 1
; NumVGPRsForWavesPerEU: 1
; NamedBarCnt: 0
; Occupancy: 16
; WaveLimiterHint : 0
; COMPUTE_PGM_RSRC2:SCRATCH_EN: 0
; COMPUTE_PGM_RSRC2:USER_SGPR: 2
; COMPUTE_PGM_RSRC2:TRAP_HANDLER: 0
; COMPUTE_PGM_RSRC2:TGID_X_EN: 1
; COMPUTE_PGM_RSRC2:TGID_Y_EN: 0
; COMPUTE_PGM_RSRC2:TGID_Z_EN: 0
; COMPUTE_PGM_RSRC2:TIDIG_COMP_CNT: 0
	.section	.text._ZN7rocprim17ROCPRIM_400000_NS6detail17trampoline_kernelINS0_14default_configENS1_37merge_sort_block_sort_config_selectorIlNS0_10empty_typeEEEZNS1_21merge_sort_block_sortIS3_PlS8_PS5_S9_ZN2at6native12_GLOBAL__N_124unique_dim_cuda_templateIN3c104HalfEEESt5tupleIJNSA_6TensorESH_SH_EERKSH_lbbbEUlllE_EE10hipError_tT0_T1_T2_T3_mRjT4_P12ihipStream_tbNS1_7vsmem_tEEUlT_E_NS1_11comp_targetILNS1_3genE10ELNS1_11target_archE1200ELNS1_3gpuE4ELNS1_3repE0EEENS1_30default_config_static_selectorELNS0_4arch9wavefront6targetE0EEEvSO_,"axG",@progbits,_ZN7rocprim17ROCPRIM_400000_NS6detail17trampoline_kernelINS0_14default_configENS1_37merge_sort_block_sort_config_selectorIlNS0_10empty_typeEEEZNS1_21merge_sort_block_sortIS3_PlS8_PS5_S9_ZN2at6native12_GLOBAL__N_124unique_dim_cuda_templateIN3c104HalfEEESt5tupleIJNSA_6TensorESH_SH_EERKSH_lbbbEUlllE_EE10hipError_tT0_T1_T2_T3_mRjT4_P12ihipStream_tbNS1_7vsmem_tEEUlT_E_NS1_11comp_targetILNS1_3genE10ELNS1_11target_archE1200ELNS1_3gpuE4ELNS1_3repE0EEENS1_30default_config_static_selectorELNS0_4arch9wavefront6targetE0EEEvSO_,comdat
	.globl	_ZN7rocprim17ROCPRIM_400000_NS6detail17trampoline_kernelINS0_14default_configENS1_37merge_sort_block_sort_config_selectorIlNS0_10empty_typeEEEZNS1_21merge_sort_block_sortIS3_PlS8_PS5_S9_ZN2at6native12_GLOBAL__N_124unique_dim_cuda_templateIN3c104HalfEEESt5tupleIJNSA_6TensorESH_SH_EERKSH_lbbbEUlllE_EE10hipError_tT0_T1_T2_T3_mRjT4_P12ihipStream_tbNS1_7vsmem_tEEUlT_E_NS1_11comp_targetILNS1_3genE10ELNS1_11target_archE1200ELNS1_3gpuE4ELNS1_3repE0EEENS1_30default_config_static_selectorELNS0_4arch9wavefront6targetE0EEEvSO_ ; -- Begin function _ZN7rocprim17ROCPRIM_400000_NS6detail17trampoline_kernelINS0_14default_configENS1_37merge_sort_block_sort_config_selectorIlNS0_10empty_typeEEEZNS1_21merge_sort_block_sortIS3_PlS8_PS5_S9_ZN2at6native12_GLOBAL__N_124unique_dim_cuda_templateIN3c104HalfEEESt5tupleIJNSA_6TensorESH_SH_EERKSH_lbbbEUlllE_EE10hipError_tT0_T1_T2_T3_mRjT4_P12ihipStream_tbNS1_7vsmem_tEEUlT_E_NS1_11comp_targetILNS1_3genE10ELNS1_11target_archE1200ELNS1_3gpuE4ELNS1_3repE0EEENS1_30default_config_static_selectorELNS0_4arch9wavefront6targetE0EEEvSO_
	.p2align	8
	.type	_ZN7rocprim17ROCPRIM_400000_NS6detail17trampoline_kernelINS0_14default_configENS1_37merge_sort_block_sort_config_selectorIlNS0_10empty_typeEEEZNS1_21merge_sort_block_sortIS3_PlS8_PS5_S9_ZN2at6native12_GLOBAL__N_124unique_dim_cuda_templateIN3c104HalfEEESt5tupleIJNSA_6TensorESH_SH_EERKSH_lbbbEUlllE_EE10hipError_tT0_T1_T2_T3_mRjT4_P12ihipStream_tbNS1_7vsmem_tEEUlT_E_NS1_11comp_targetILNS1_3genE10ELNS1_11target_archE1200ELNS1_3gpuE4ELNS1_3repE0EEENS1_30default_config_static_selectorELNS0_4arch9wavefront6targetE0EEEvSO_,@function
_ZN7rocprim17ROCPRIM_400000_NS6detail17trampoline_kernelINS0_14default_configENS1_37merge_sort_block_sort_config_selectorIlNS0_10empty_typeEEEZNS1_21merge_sort_block_sortIS3_PlS8_PS5_S9_ZN2at6native12_GLOBAL__N_124unique_dim_cuda_templateIN3c104HalfEEESt5tupleIJNSA_6TensorESH_SH_EERKSH_lbbbEUlllE_EE10hipError_tT0_T1_T2_T3_mRjT4_P12ihipStream_tbNS1_7vsmem_tEEUlT_E_NS1_11comp_targetILNS1_3genE10ELNS1_11target_archE1200ELNS1_3gpuE4ELNS1_3repE0EEENS1_30default_config_static_selectorELNS0_4arch9wavefront6targetE0EEEvSO_: ; @_ZN7rocprim17ROCPRIM_400000_NS6detail17trampoline_kernelINS0_14default_configENS1_37merge_sort_block_sort_config_selectorIlNS0_10empty_typeEEEZNS1_21merge_sort_block_sortIS3_PlS8_PS5_S9_ZN2at6native12_GLOBAL__N_124unique_dim_cuda_templateIN3c104HalfEEESt5tupleIJNSA_6TensorESH_SH_EERKSH_lbbbEUlllE_EE10hipError_tT0_T1_T2_T3_mRjT4_P12ihipStream_tbNS1_7vsmem_tEEUlT_E_NS1_11comp_targetILNS1_3genE10ELNS1_11target_archE1200ELNS1_3gpuE4ELNS1_3repE0EEENS1_30default_config_static_selectorELNS0_4arch9wavefront6targetE0EEEvSO_
; %bb.0:
	.section	.rodata,"a",@progbits
	.p2align	6, 0x0
	.amdhsa_kernel _ZN7rocprim17ROCPRIM_400000_NS6detail17trampoline_kernelINS0_14default_configENS1_37merge_sort_block_sort_config_selectorIlNS0_10empty_typeEEEZNS1_21merge_sort_block_sortIS3_PlS8_PS5_S9_ZN2at6native12_GLOBAL__N_124unique_dim_cuda_templateIN3c104HalfEEESt5tupleIJNSA_6TensorESH_SH_EERKSH_lbbbEUlllE_EE10hipError_tT0_T1_T2_T3_mRjT4_P12ihipStream_tbNS1_7vsmem_tEEUlT_E_NS1_11comp_targetILNS1_3genE10ELNS1_11target_archE1200ELNS1_3gpuE4ELNS1_3repE0EEENS1_30default_config_static_selectorELNS0_4arch9wavefront6targetE0EEEvSO_
		.amdhsa_group_segment_fixed_size 0
		.amdhsa_private_segment_fixed_size 0
		.amdhsa_kernarg_size 72
		.amdhsa_user_sgpr_count 2
		.amdhsa_user_sgpr_dispatch_ptr 0
		.amdhsa_user_sgpr_queue_ptr 0
		.amdhsa_user_sgpr_kernarg_segment_ptr 1
		.amdhsa_user_sgpr_dispatch_id 0
		.amdhsa_user_sgpr_kernarg_preload_length 0
		.amdhsa_user_sgpr_kernarg_preload_offset 0
		.amdhsa_user_sgpr_private_segment_size 0
		.amdhsa_wavefront_size32 1
		.amdhsa_uses_dynamic_stack 0
		.amdhsa_enable_private_segment 0
		.amdhsa_system_sgpr_workgroup_id_x 1
		.amdhsa_system_sgpr_workgroup_id_y 0
		.amdhsa_system_sgpr_workgroup_id_z 0
		.amdhsa_system_sgpr_workgroup_info 0
		.amdhsa_system_vgpr_workitem_id 0
		.amdhsa_next_free_vgpr 1
		.amdhsa_next_free_sgpr 1
		.amdhsa_named_barrier_count 0
		.amdhsa_reserve_vcc 0
		.amdhsa_float_round_mode_32 0
		.amdhsa_float_round_mode_16_64 0
		.amdhsa_float_denorm_mode_32 3
		.amdhsa_float_denorm_mode_16_64 3
		.amdhsa_fp16_overflow 0
		.amdhsa_memory_ordered 1
		.amdhsa_forward_progress 1
		.amdhsa_inst_pref_size 0
		.amdhsa_round_robin_scheduling 0
		.amdhsa_exception_fp_ieee_invalid_op 0
		.amdhsa_exception_fp_denorm_src 0
		.amdhsa_exception_fp_ieee_div_zero 0
		.amdhsa_exception_fp_ieee_overflow 0
		.amdhsa_exception_fp_ieee_underflow 0
		.amdhsa_exception_fp_ieee_inexact 0
		.amdhsa_exception_int_div_zero 0
	.end_amdhsa_kernel
	.section	.text._ZN7rocprim17ROCPRIM_400000_NS6detail17trampoline_kernelINS0_14default_configENS1_37merge_sort_block_sort_config_selectorIlNS0_10empty_typeEEEZNS1_21merge_sort_block_sortIS3_PlS8_PS5_S9_ZN2at6native12_GLOBAL__N_124unique_dim_cuda_templateIN3c104HalfEEESt5tupleIJNSA_6TensorESH_SH_EERKSH_lbbbEUlllE_EE10hipError_tT0_T1_T2_T3_mRjT4_P12ihipStream_tbNS1_7vsmem_tEEUlT_E_NS1_11comp_targetILNS1_3genE10ELNS1_11target_archE1200ELNS1_3gpuE4ELNS1_3repE0EEENS1_30default_config_static_selectorELNS0_4arch9wavefront6targetE0EEEvSO_,"axG",@progbits,_ZN7rocprim17ROCPRIM_400000_NS6detail17trampoline_kernelINS0_14default_configENS1_37merge_sort_block_sort_config_selectorIlNS0_10empty_typeEEEZNS1_21merge_sort_block_sortIS3_PlS8_PS5_S9_ZN2at6native12_GLOBAL__N_124unique_dim_cuda_templateIN3c104HalfEEESt5tupleIJNSA_6TensorESH_SH_EERKSH_lbbbEUlllE_EE10hipError_tT0_T1_T2_T3_mRjT4_P12ihipStream_tbNS1_7vsmem_tEEUlT_E_NS1_11comp_targetILNS1_3genE10ELNS1_11target_archE1200ELNS1_3gpuE4ELNS1_3repE0EEENS1_30default_config_static_selectorELNS0_4arch9wavefront6targetE0EEEvSO_,comdat
.Lfunc_end1245:
	.size	_ZN7rocprim17ROCPRIM_400000_NS6detail17trampoline_kernelINS0_14default_configENS1_37merge_sort_block_sort_config_selectorIlNS0_10empty_typeEEEZNS1_21merge_sort_block_sortIS3_PlS8_PS5_S9_ZN2at6native12_GLOBAL__N_124unique_dim_cuda_templateIN3c104HalfEEESt5tupleIJNSA_6TensorESH_SH_EERKSH_lbbbEUlllE_EE10hipError_tT0_T1_T2_T3_mRjT4_P12ihipStream_tbNS1_7vsmem_tEEUlT_E_NS1_11comp_targetILNS1_3genE10ELNS1_11target_archE1200ELNS1_3gpuE4ELNS1_3repE0EEENS1_30default_config_static_selectorELNS0_4arch9wavefront6targetE0EEEvSO_, .Lfunc_end1245-_ZN7rocprim17ROCPRIM_400000_NS6detail17trampoline_kernelINS0_14default_configENS1_37merge_sort_block_sort_config_selectorIlNS0_10empty_typeEEEZNS1_21merge_sort_block_sortIS3_PlS8_PS5_S9_ZN2at6native12_GLOBAL__N_124unique_dim_cuda_templateIN3c104HalfEEESt5tupleIJNSA_6TensorESH_SH_EERKSH_lbbbEUlllE_EE10hipError_tT0_T1_T2_T3_mRjT4_P12ihipStream_tbNS1_7vsmem_tEEUlT_E_NS1_11comp_targetILNS1_3genE10ELNS1_11target_archE1200ELNS1_3gpuE4ELNS1_3repE0EEENS1_30default_config_static_selectorELNS0_4arch9wavefront6targetE0EEEvSO_
                                        ; -- End function
	.set _ZN7rocprim17ROCPRIM_400000_NS6detail17trampoline_kernelINS0_14default_configENS1_37merge_sort_block_sort_config_selectorIlNS0_10empty_typeEEEZNS1_21merge_sort_block_sortIS3_PlS8_PS5_S9_ZN2at6native12_GLOBAL__N_124unique_dim_cuda_templateIN3c104HalfEEESt5tupleIJNSA_6TensorESH_SH_EERKSH_lbbbEUlllE_EE10hipError_tT0_T1_T2_T3_mRjT4_P12ihipStream_tbNS1_7vsmem_tEEUlT_E_NS1_11comp_targetILNS1_3genE10ELNS1_11target_archE1200ELNS1_3gpuE4ELNS1_3repE0EEENS1_30default_config_static_selectorELNS0_4arch9wavefront6targetE0EEEvSO_.num_vgpr, 0
	.set _ZN7rocprim17ROCPRIM_400000_NS6detail17trampoline_kernelINS0_14default_configENS1_37merge_sort_block_sort_config_selectorIlNS0_10empty_typeEEEZNS1_21merge_sort_block_sortIS3_PlS8_PS5_S9_ZN2at6native12_GLOBAL__N_124unique_dim_cuda_templateIN3c104HalfEEESt5tupleIJNSA_6TensorESH_SH_EERKSH_lbbbEUlllE_EE10hipError_tT0_T1_T2_T3_mRjT4_P12ihipStream_tbNS1_7vsmem_tEEUlT_E_NS1_11comp_targetILNS1_3genE10ELNS1_11target_archE1200ELNS1_3gpuE4ELNS1_3repE0EEENS1_30default_config_static_selectorELNS0_4arch9wavefront6targetE0EEEvSO_.num_agpr, 0
	.set _ZN7rocprim17ROCPRIM_400000_NS6detail17trampoline_kernelINS0_14default_configENS1_37merge_sort_block_sort_config_selectorIlNS0_10empty_typeEEEZNS1_21merge_sort_block_sortIS3_PlS8_PS5_S9_ZN2at6native12_GLOBAL__N_124unique_dim_cuda_templateIN3c104HalfEEESt5tupleIJNSA_6TensorESH_SH_EERKSH_lbbbEUlllE_EE10hipError_tT0_T1_T2_T3_mRjT4_P12ihipStream_tbNS1_7vsmem_tEEUlT_E_NS1_11comp_targetILNS1_3genE10ELNS1_11target_archE1200ELNS1_3gpuE4ELNS1_3repE0EEENS1_30default_config_static_selectorELNS0_4arch9wavefront6targetE0EEEvSO_.numbered_sgpr, 0
	.set _ZN7rocprim17ROCPRIM_400000_NS6detail17trampoline_kernelINS0_14default_configENS1_37merge_sort_block_sort_config_selectorIlNS0_10empty_typeEEEZNS1_21merge_sort_block_sortIS3_PlS8_PS5_S9_ZN2at6native12_GLOBAL__N_124unique_dim_cuda_templateIN3c104HalfEEESt5tupleIJNSA_6TensorESH_SH_EERKSH_lbbbEUlllE_EE10hipError_tT0_T1_T2_T3_mRjT4_P12ihipStream_tbNS1_7vsmem_tEEUlT_E_NS1_11comp_targetILNS1_3genE10ELNS1_11target_archE1200ELNS1_3gpuE4ELNS1_3repE0EEENS1_30default_config_static_selectorELNS0_4arch9wavefront6targetE0EEEvSO_.num_named_barrier, 0
	.set _ZN7rocprim17ROCPRIM_400000_NS6detail17trampoline_kernelINS0_14default_configENS1_37merge_sort_block_sort_config_selectorIlNS0_10empty_typeEEEZNS1_21merge_sort_block_sortIS3_PlS8_PS5_S9_ZN2at6native12_GLOBAL__N_124unique_dim_cuda_templateIN3c104HalfEEESt5tupleIJNSA_6TensorESH_SH_EERKSH_lbbbEUlllE_EE10hipError_tT0_T1_T2_T3_mRjT4_P12ihipStream_tbNS1_7vsmem_tEEUlT_E_NS1_11comp_targetILNS1_3genE10ELNS1_11target_archE1200ELNS1_3gpuE4ELNS1_3repE0EEENS1_30default_config_static_selectorELNS0_4arch9wavefront6targetE0EEEvSO_.private_seg_size, 0
	.set _ZN7rocprim17ROCPRIM_400000_NS6detail17trampoline_kernelINS0_14default_configENS1_37merge_sort_block_sort_config_selectorIlNS0_10empty_typeEEEZNS1_21merge_sort_block_sortIS3_PlS8_PS5_S9_ZN2at6native12_GLOBAL__N_124unique_dim_cuda_templateIN3c104HalfEEESt5tupleIJNSA_6TensorESH_SH_EERKSH_lbbbEUlllE_EE10hipError_tT0_T1_T2_T3_mRjT4_P12ihipStream_tbNS1_7vsmem_tEEUlT_E_NS1_11comp_targetILNS1_3genE10ELNS1_11target_archE1200ELNS1_3gpuE4ELNS1_3repE0EEENS1_30default_config_static_selectorELNS0_4arch9wavefront6targetE0EEEvSO_.uses_vcc, 0
	.set _ZN7rocprim17ROCPRIM_400000_NS6detail17trampoline_kernelINS0_14default_configENS1_37merge_sort_block_sort_config_selectorIlNS0_10empty_typeEEEZNS1_21merge_sort_block_sortIS3_PlS8_PS5_S9_ZN2at6native12_GLOBAL__N_124unique_dim_cuda_templateIN3c104HalfEEESt5tupleIJNSA_6TensorESH_SH_EERKSH_lbbbEUlllE_EE10hipError_tT0_T1_T2_T3_mRjT4_P12ihipStream_tbNS1_7vsmem_tEEUlT_E_NS1_11comp_targetILNS1_3genE10ELNS1_11target_archE1200ELNS1_3gpuE4ELNS1_3repE0EEENS1_30default_config_static_selectorELNS0_4arch9wavefront6targetE0EEEvSO_.uses_flat_scratch, 0
	.set _ZN7rocprim17ROCPRIM_400000_NS6detail17trampoline_kernelINS0_14default_configENS1_37merge_sort_block_sort_config_selectorIlNS0_10empty_typeEEEZNS1_21merge_sort_block_sortIS3_PlS8_PS5_S9_ZN2at6native12_GLOBAL__N_124unique_dim_cuda_templateIN3c104HalfEEESt5tupleIJNSA_6TensorESH_SH_EERKSH_lbbbEUlllE_EE10hipError_tT0_T1_T2_T3_mRjT4_P12ihipStream_tbNS1_7vsmem_tEEUlT_E_NS1_11comp_targetILNS1_3genE10ELNS1_11target_archE1200ELNS1_3gpuE4ELNS1_3repE0EEENS1_30default_config_static_selectorELNS0_4arch9wavefront6targetE0EEEvSO_.has_dyn_sized_stack, 0
	.set _ZN7rocprim17ROCPRIM_400000_NS6detail17trampoline_kernelINS0_14default_configENS1_37merge_sort_block_sort_config_selectorIlNS0_10empty_typeEEEZNS1_21merge_sort_block_sortIS3_PlS8_PS5_S9_ZN2at6native12_GLOBAL__N_124unique_dim_cuda_templateIN3c104HalfEEESt5tupleIJNSA_6TensorESH_SH_EERKSH_lbbbEUlllE_EE10hipError_tT0_T1_T2_T3_mRjT4_P12ihipStream_tbNS1_7vsmem_tEEUlT_E_NS1_11comp_targetILNS1_3genE10ELNS1_11target_archE1200ELNS1_3gpuE4ELNS1_3repE0EEENS1_30default_config_static_selectorELNS0_4arch9wavefront6targetE0EEEvSO_.has_recursion, 0
	.set _ZN7rocprim17ROCPRIM_400000_NS6detail17trampoline_kernelINS0_14default_configENS1_37merge_sort_block_sort_config_selectorIlNS0_10empty_typeEEEZNS1_21merge_sort_block_sortIS3_PlS8_PS5_S9_ZN2at6native12_GLOBAL__N_124unique_dim_cuda_templateIN3c104HalfEEESt5tupleIJNSA_6TensorESH_SH_EERKSH_lbbbEUlllE_EE10hipError_tT0_T1_T2_T3_mRjT4_P12ihipStream_tbNS1_7vsmem_tEEUlT_E_NS1_11comp_targetILNS1_3genE10ELNS1_11target_archE1200ELNS1_3gpuE4ELNS1_3repE0EEENS1_30default_config_static_selectorELNS0_4arch9wavefront6targetE0EEEvSO_.has_indirect_call, 0
	.section	.AMDGPU.csdata,"",@progbits
; Kernel info:
; codeLenInByte = 0
; TotalNumSgprs: 0
; NumVgprs: 0
; ScratchSize: 0
; MemoryBound: 0
; FloatMode: 240
; IeeeMode: 1
; LDSByteSize: 0 bytes/workgroup (compile time only)
; SGPRBlocks: 0
; VGPRBlocks: 0
; NumSGPRsForWavesPerEU: 1
; NumVGPRsForWavesPerEU: 1
; NamedBarCnt: 0
; Occupancy: 16
; WaveLimiterHint : 0
; COMPUTE_PGM_RSRC2:SCRATCH_EN: 0
; COMPUTE_PGM_RSRC2:USER_SGPR: 2
; COMPUTE_PGM_RSRC2:TRAP_HANDLER: 0
; COMPUTE_PGM_RSRC2:TGID_X_EN: 1
; COMPUTE_PGM_RSRC2:TGID_Y_EN: 0
; COMPUTE_PGM_RSRC2:TGID_Z_EN: 0
; COMPUTE_PGM_RSRC2:TIDIG_COMP_CNT: 0
	.section	.text._ZN7rocprim17ROCPRIM_400000_NS6detail17trampoline_kernelINS0_14default_configENS1_37merge_sort_block_sort_config_selectorIlNS0_10empty_typeEEEZNS1_21merge_sort_block_sortIS3_PlS8_PS5_S9_ZN2at6native12_GLOBAL__N_124unique_dim_cuda_templateIN3c104HalfEEESt5tupleIJNSA_6TensorESH_SH_EERKSH_lbbbEUlllE_EE10hipError_tT0_T1_T2_T3_mRjT4_P12ihipStream_tbNS1_7vsmem_tEEUlT_E_NS1_11comp_targetILNS1_3genE9ELNS1_11target_archE1100ELNS1_3gpuE3ELNS1_3repE0EEENS1_30default_config_static_selectorELNS0_4arch9wavefront6targetE0EEEvSO_,"axG",@progbits,_ZN7rocprim17ROCPRIM_400000_NS6detail17trampoline_kernelINS0_14default_configENS1_37merge_sort_block_sort_config_selectorIlNS0_10empty_typeEEEZNS1_21merge_sort_block_sortIS3_PlS8_PS5_S9_ZN2at6native12_GLOBAL__N_124unique_dim_cuda_templateIN3c104HalfEEESt5tupleIJNSA_6TensorESH_SH_EERKSH_lbbbEUlllE_EE10hipError_tT0_T1_T2_T3_mRjT4_P12ihipStream_tbNS1_7vsmem_tEEUlT_E_NS1_11comp_targetILNS1_3genE9ELNS1_11target_archE1100ELNS1_3gpuE3ELNS1_3repE0EEENS1_30default_config_static_selectorELNS0_4arch9wavefront6targetE0EEEvSO_,comdat
	.globl	_ZN7rocprim17ROCPRIM_400000_NS6detail17trampoline_kernelINS0_14default_configENS1_37merge_sort_block_sort_config_selectorIlNS0_10empty_typeEEEZNS1_21merge_sort_block_sortIS3_PlS8_PS5_S9_ZN2at6native12_GLOBAL__N_124unique_dim_cuda_templateIN3c104HalfEEESt5tupleIJNSA_6TensorESH_SH_EERKSH_lbbbEUlllE_EE10hipError_tT0_T1_T2_T3_mRjT4_P12ihipStream_tbNS1_7vsmem_tEEUlT_E_NS1_11comp_targetILNS1_3genE9ELNS1_11target_archE1100ELNS1_3gpuE3ELNS1_3repE0EEENS1_30default_config_static_selectorELNS0_4arch9wavefront6targetE0EEEvSO_ ; -- Begin function _ZN7rocprim17ROCPRIM_400000_NS6detail17trampoline_kernelINS0_14default_configENS1_37merge_sort_block_sort_config_selectorIlNS0_10empty_typeEEEZNS1_21merge_sort_block_sortIS3_PlS8_PS5_S9_ZN2at6native12_GLOBAL__N_124unique_dim_cuda_templateIN3c104HalfEEESt5tupleIJNSA_6TensorESH_SH_EERKSH_lbbbEUlllE_EE10hipError_tT0_T1_T2_T3_mRjT4_P12ihipStream_tbNS1_7vsmem_tEEUlT_E_NS1_11comp_targetILNS1_3genE9ELNS1_11target_archE1100ELNS1_3gpuE3ELNS1_3repE0EEENS1_30default_config_static_selectorELNS0_4arch9wavefront6targetE0EEEvSO_
	.p2align	8
	.type	_ZN7rocprim17ROCPRIM_400000_NS6detail17trampoline_kernelINS0_14default_configENS1_37merge_sort_block_sort_config_selectorIlNS0_10empty_typeEEEZNS1_21merge_sort_block_sortIS3_PlS8_PS5_S9_ZN2at6native12_GLOBAL__N_124unique_dim_cuda_templateIN3c104HalfEEESt5tupleIJNSA_6TensorESH_SH_EERKSH_lbbbEUlllE_EE10hipError_tT0_T1_T2_T3_mRjT4_P12ihipStream_tbNS1_7vsmem_tEEUlT_E_NS1_11comp_targetILNS1_3genE9ELNS1_11target_archE1100ELNS1_3gpuE3ELNS1_3repE0EEENS1_30default_config_static_selectorELNS0_4arch9wavefront6targetE0EEEvSO_,@function
_ZN7rocprim17ROCPRIM_400000_NS6detail17trampoline_kernelINS0_14default_configENS1_37merge_sort_block_sort_config_selectorIlNS0_10empty_typeEEEZNS1_21merge_sort_block_sortIS3_PlS8_PS5_S9_ZN2at6native12_GLOBAL__N_124unique_dim_cuda_templateIN3c104HalfEEESt5tupleIJNSA_6TensorESH_SH_EERKSH_lbbbEUlllE_EE10hipError_tT0_T1_T2_T3_mRjT4_P12ihipStream_tbNS1_7vsmem_tEEUlT_E_NS1_11comp_targetILNS1_3genE9ELNS1_11target_archE1100ELNS1_3gpuE3ELNS1_3repE0EEENS1_30default_config_static_selectorELNS0_4arch9wavefront6targetE0EEEvSO_: ; @_ZN7rocprim17ROCPRIM_400000_NS6detail17trampoline_kernelINS0_14default_configENS1_37merge_sort_block_sort_config_selectorIlNS0_10empty_typeEEEZNS1_21merge_sort_block_sortIS3_PlS8_PS5_S9_ZN2at6native12_GLOBAL__N_124unique_dim_cuda_templateIN3c104HalfEEESt5tupleIJNSA_6TensorESH_SH_EERKSH_lbbbEUlllE_EE10hipError_tT0_T1_T2_T3_mRjT4_P12ihipStream_tbNS1_7vsmem_tEEUlT_E_NS1_11comp_targetILNS1_3genE9ELNS1_11target_archE1100ELNS1_3gpuE3ELNS1_3repE0EEENS1_30default_config_static_selectorELNS0_4arch9wavefront6targetE0EEEvSO_
; %bb.0:
	.section	.rodata,"a",@progbits
	.p2align	6, 0x0
	.amdhsa_kernel _ZN7rocprim17ROCPRIM_400000_NS6detail17trampoline_kernelINS0_14default_configENS1_37merge_sort_block_sort_config_selectorIlNS0_10empty_typeEEEZNS1_21merge_sort_block_sortIS3_PlS8_PS5_S9_ZN2at6native12_GLOBAL__N_124unique_dim_cuda_templateIN3c104HalfEEESt5tupleIJNSA_6TensorESH_SH_EERKSH_lbbbEUlllE_EE10hipError_tT0_T1_T2_T3_mRjT4_P12ihipStream_tbNS1_7vsmem_tEEUlT_E_NS1_11comp_targetILNS1_3genE9ELNS1_11target_archE1100ELNS1_3gpuE3ELNS1_3repE0EEENS1_30default_config_static_selectorELNS0_4arch9wavefront6targetE0EEEvSO_
		.amdhsa_group_segment_fixed_size 0
		.amdhsa_private_segment_fixed_size 0
		.amdhsa_kernarg_size 72
		.amdhsa_user_sgpr_count 2
		.amdhsa_user_sgpr_dispatch_ptr 0
		.amdhsa_user_sgpr_queue_ptr 0
		.amdhsa_user_sgpr_kernarg_segment_ptr 1
		.amdhsa_user_sgpr_dispatch_id 0
		.amdhsa_user_sgpr_kernarg_preload_length 0
		.amdhsa_user_sgpr_kernarg_preload_offset 0
		.amdhsa_user_sgpr_private_segment_size 0
		.amdhsa_wavefront_size32 1
		.amdhsa_uses_dynamic_stack 0
		.amdhsa_enable_private_segment 0
		.amdhsa_system_sgpr_workgroup_id_x 1
		.amdhsa_system_sgpr_workgroup_id_y 0
		.amdhsa_system_sgpr_workgroup_id_z 0
		.amdhsa_system_sgpr_workgroup_info 0
		.amdhsa_system_vgpr_workitem_id 0
		.amdhsa_next_free_vgpr 1
		.amdhsa_next_free_sgpr 1
		.amdhsa_named_barrier_count 0
		.amdhsa_reserve_vcc 0
		.amdhsa_float_round_mode_32 0
		.amdhsa_float_round_mode_16_64 0
		.amdhsa_float_denorm_mode_32 3
		.amdhsa_float_denorm_mode_16_64 3
		.amdhsa_fp16_overflow 0
		.amdhsa_memory_ordered 1
		.amdhsa_forward_progress 1
		.amdhsa_inst_pref_size 0
		.amdhsa_round_robin_scheduling 0
		.amdhsa_exception_fp_ieee_invalid_op 0
		.amdhsa_exception_fp_denorm_src 0
		.amdhsa_exception_fp_ieee_div_zero 0
		.amdhsa_exception_fp_ieee_overflow 0
		.amdhsa_exception_fp_ieee_underflow 0
		.amdhsa_exception_fp_ieee_inexact 0
		.amdhsa_exception_int_div_zero 0
	.end_amdhsa_kernel
	.section	.text._ZN7rocprim17ROCPRIM_400000_NS6detail17trampoline_kernelINS0_14default_configENS1_37merge_sort_block_sort_config_selectorIlNS0_10empty_typeEEEZNS1_21merge_sort_block_sortIS3_PlS8_PS5_S9_ZN2at6native12_GLOBAL__N_124unique_dim_cuda_templateIN3c104HalfEEESt5tupleIJNSA_6TensorESH_SH_EERKSH_lbbbEUlllE_EE10hipError_tT0_T1_T2_T3_mRjT4_P12ihipStream_tbNS1_7vsmem_tEEUlT_E_NS1_11comp_targetILNS1_3genE9ELNS1_11target_archE1100ELNS1_3gpuE3ELNS1_3repE0EEENS1_30default_config_static_selectorELNS0_4arch9wavefront6targetE0EEEvSO_,"axG",@progbits,_ZN7rocprim17ROCPRIM_400000_NS6detail17trampoline_kernelINS0_14default_configENS1_37merge_sort_block_sort_config_selectorIlNS0_10empty_typeEEEZNS1_21merge_sort_block_sortIS3_PlS8_PS5_S9_ZN2at6native12_GLOBAL__N_124unique_dim_cuda_templateIN3c104HalfEEESt5tupleIJNSA_6TensorESH_SH_EERKSH_lbbbEUlllE_EE10hipError_tT0_T1_T2_T3_mRjT4_P12ihipStream_tbNS1_7vsmem_tEEUlT_E_NS1_11comp_targetILNS1_3genE9ELNS1_11target_archE1100ELNS1_3gpuE3ELNS1_3repE0EEENS1_30default_config_static_selectorELNS0_4arch9wavefront6targetE0EEEvSO_,comdat
.Lfunc_end1246:
	.size	_ZN7rocprim17ROCPRIM_400000_NS6detail17trampoline_kernelINS0_14default_configENS1_37merge_sort_block_sort_config_selectorIlNS0_10empty_typeEEEZNS1_21merge_sort_block_sortIS3_PlS8_PS5_S9_ZN2at6native12_GLOBAL__N_124unique_dim_cuda_templateIN3c104HalfEEESt5tupleIJNSA_6TensorESH_SH_EERKSH_lbbbEUlllE_EE10hipError_tT0_T1_T2_T3_mRjT4_P12ihipStream_tbNS1_7vsmem_tEEUlT_E_NS1_11comp_targetILNS1_3genE9ELNS1_11target_archE1100ELNS1_3gpuE3ELNS1_3repE0EEENS1_30default_config_static_selectorELNS0_4arch9wavefront6targetE0EEEvSO_, .Lfunc_end1246-_ZN7rocprim17ROCPRIM_400000_NS6detail17trampoline_kernelINS0_14default_configENS1_37merge_sort_block_sort_config_selectorIlNS0_10empty_typeEEEZNS1_21merge_sort_block_sortIS3_PlS8_PS5_S9_ZN2at6native12_GLOBAL__N_124unique_dim_cuda_templateIN3c104HalfEEESt5tupleIJNSA_6TensorESH_SH_EERKSH_lbbbEUlllE_EE10hipError_tT0_T1_T2_T3_mRjT4_P12ihipStream_tbNS1_7vsmem_tEEUlT_E_NS1_11comp_targetILNS1_3genE9ELNS1_11target_archE1100ELNS1_3gpuE3ELNS1_3repE0EEENS1_30default_config_static_selectorELNS0_4arch9wavefront6targetE0EEEvSO_
                                        ; -- End function
	.set _ZN7rocprim17ROCPRIM_400000_NS6detail17trampoline_kernelINS0_14default_configENS1_37merge_sort_block_sort_config_selectorIlNS0_10empty_typeEEEZNS1_21merge_sort_block_sortIS3_PlS8_PS5_S9_ZN2at6native12_GLOBAL__N_124unique_dim_cuda_templateIN3c104HalfEEESt5tupleIJNSA_6TensorESH_SH_EERKSH_lbbbEUlllE_EE10hipError_tT0_T1_T2_T3_mRjT4_P12ihipStream_tbNS1_7vsmem_tEEUlT_E_NS1_11comp_targetILNS1_3genE9ELNS1_11target_archE1100ELNS1_3gpuE3ELNS1_3repE0EEENS1_30default_config_static_selectorELNS0_4arch9wavefront6targetE0EEEvSO_.num_vgpr, 0
	.set _ZN7rocprim17ROCPRIM_400000_NS6detail17trampoline_kernelINS0_14default_configENS1_37merge_sort_block_sort_config_selectorIlNS0_10empty_typeEEEZNS1_21merge_sort_block_sortIS3_PlS8_PS5_S9_ZN2at6native12_GLOBAL__N_124unique_dim_cuda_templateIN3c104HalfEEESt5tupleIJNSA_6TensorESH_SH_EERKSH_lbbbEUlllE_EE10hipError_tT0_T1_T2_T3_mRjT4_P12ihipStream_tbNS1_7vsmem_tEEUlT_E_NS1_11comp_targetILNS1_3genE9ELNS1_11target_archE1100ELNS1_3gpuE3ELNS1_3repE0EEENS1_30default_config_static_selectorELNS0_4arch9wavefront6targetE0EEEvSO_.num_agpr, 0
	.set _ZN7rocprim17ROCPRIM_400000_NS6detail17trampoline_kernelINS0_14default_configENS1_37merge_sort_block_sort_config_selectorIlNS0_10empty_typeEEEZNS1_21merge_sort_block_sortIS3_PlS8_PS5_S9_ZN2at6native12_GLOBAL__N_124unique_dim_cuda_templateIN3c104HalfEEESt5tupleIJNSA_6TensorESH_SH_EERKSH_lbbbEUlllE_EE10hipError_tT0_T1_T2_T3_mRjT4_P12ihipStream_tbNS1_7vsmem_tEEUlT_E_NS1_11comp_targetILNS1_3genE9ELNS1_11target_archE1100ELNS1_3gpuE3ELNS1_3repE0EEENS1_30default_config_static_selectorELNS0_4arch9wavefront6targetE0EEEvSO_.numbered_sgpr, 0
	.set _ZN7rocprim17ROCPRIM_400000_NS6detail17trampoline_kernelINS0_14default_configENS1_37merge_sort_block_sort_config_selectorIlNS0_10empty_typeEEEZNS1_21merge_sort_block_sortIS3_PlS8_PS5_S9_ZN2at6native12_GLOBAL__N_124unique_dim_cuda_templateIN3c104HalfEEESt5tupleIJNSA_6TensorESH_SH_EERKSH_lbbbEUlllE_EE10hipError_tT0_T1_T2_T3_mRjT4_P12ihipStream_tbNS1_7vsmem_tEEUlT_E_NS1_11comp_targetILNS1_3genE9ELNS1_11target_archE1100ELNS1_3gpuE3ELNS1_3repE0EEENS1_30default_config_static_selectorELNS0_4arch9wavefront6targetE0EEEvSO_.num_named_barrier, 0
	.set _ZN7rocprim17ROCPRIM_400000_NS6detail17trampoline_kernelINS0_14default_configENS1_37merge_sort_block_sort_config_selectorIlNS0_10empty_typeEEEZNS1_21merge_sort_block_sortIS3_PlS8_PS5_S9_ZN2at6native12_GLOBAL__N_124unique_dim_cuda_templateIN3c104HalfEEESt5tupleIJNSA_6TensorESH_SH_EERKSH_lbbbEUlllE_EE10hipError_tT0_T1_T2_T3_mRjT4_P12ihipStream_tbNS1_7vsmem_tEEUlT_E_NS1_11comp_targetILNS1_3genE9ELNS1_11target_archE1100ELNS1_3gpuE3ELNS1_3repE0EEENS1_30default_config_static_selectorELNS0_4arch9wavefront6targetE0EEEvSO_.private_seg_size, 0
	.set _ZN7rocprim17ROCPRIM_400000_NS6detail17trampoline_kernelINS0_14default_configENS1_37merge_sort_block_sort_config_selectorIlNS0_10empty_typeEEEZNS1_21merge_sort_block_sortIS3_PlS8_PS5_S9_ZN2at6native12_GLOBAL__N_124unique_dim_cuda_templateIN3c104HalfEEESt5tupleIJNSA_6TensorESH_SH_EERKSH_lbbbEUlllE_EE10hipError_tT0_T1_T2_T3_mRjT4_P12ihipStream_tbNS1_7vsmem_tEEUlT_E_NS1_11comp_targetILNS1_3genE9ELNS1_11target_archE1100ELNS1_3gpuE3ELNS1_3repE0EEENS1_30default_config_static_selectorELNS0_4arch9wavefront6targetE0EEEvSO_.uses_vcc, 0
	.set _ZN7rocprim17ROCPRIM_400000_NS6detail17trampoline_kernelINS0_14default_configENS1_37merge_sort_block_sort_config_selectorIlNS0_10empty_typeEEEZNS1_21merge_sort_block_sortIS3_PlS8_PS5_S9_ZN2at6native12_GLOBAL__N_124unique_dim_cuda_templateIN3c104HalfEEESt5tupleIJNSA_6TensorESH_SH_EERKSH_lbbbEUlllE_EE10hipError_tT0_T1_T2_T3_mRjT4_P12ihipStream_tbNS1_7vsmem_tEEUlT_E_NS1_11comp_targetILNS1_3genE9ELNS1_11target_archE1100ELNS1_3gpuE3ELNS1_3repE0EEENS1_30default_config_static_selectorELNS0_4arch9wavefront6targetE0EEEvSO_.uses_flat_scratch, 0
	.set _ZN7rocprim17ROCPRIM_400000_NS6detail17trampoline_kernelINS0_14default_configENS1_37merge_sort_block_sort_config_selectorIlNS0_10empty_typeEEEZNS1_21merge_sort_block_sortIS3_PlS8_PS5_S9_ZN2at6native12_GLOBAL__N_124unique_dim_cuda_templateIN3c104HalfEEESt5tupleIJNSA_6TensorESH_SH_EERKSH_lbbbEUlllE_EE10hipError_tT0_T1_T2_T3_mRjT4_P12ihipStream_tbNS1_7vsmem_tEEUlT_E_NS1_11comp_targetILNS1_3genE9ELNS1_11target_archE1100ELNS1_3gpuE3ELNS1_3repE0EEENS1_30default_config_static_selectorELNS0_4arch9wavefront6targetE0EEEvSO_.has_dyn_sized_stack, 0
	.set _ZN7rocprim17ROCPRIM_400000_NS6detail17trampoline_kernelINS0_14default_configENS1_37merge_sort_block_sort_config_selectorIlNS0_10empty_typeEEEZNS1_21merge_sort_block_sortIS3_PlS8_PS5_S9_ZN2at6native12_GLOBAL__N_124unique_dim_cuda_templateIN3c104HalfEEESt5tupleIJNSA_6TensorESH_SH_EERKSH_lbbbEUlllE_EE10hipError_tT0_T1_T2_T3_mRjT4_P12ihipStream_tbNS1_7vsmem_tEEUlT_E_NS1_11comp_targetILNS1_3genE9ELNS1_11target_archE1100ELNS1_3gpuE3ELNS1_3repE0EEENS1_30default_config_static_selectorELNS0_4arch9wavefront6targetE0EEEvSO_.has_recursion, 0
	.set _ZN7rocprim17ROCPRIM_400000_NS6detail17trampoline_kernelINS0_14default_configENS1_37merge_sort_block_sort_config_selectorIlNS0_10empty_typeEEEZNS1_21merge_sort_block_sortIS3_PlS8_PS5_S9_ZN2at6native12_GLOBAL__N_124unique_dim_cuda_templateIN3c104HalfEEESt5tupleIJNSA_6TensorESH_SH_EERKSH_lbbbEUlllE_EE10hipError_tT0_T1_T2_T3_mRjT4_P12ihipStream_tbNS1_7vsmem_tEEUlT_E_NS1_11comp_targetILNS1_3genE9ELNS1_11target_archE1100ELNS1_3gpuE3ELNS1_3repE0EEENS1_30default_config_static_selectorELNS0_4arch9wavefront6targetE0EEEvSO_.has_indirect_call, 0
	.section	.AMDGPU.csdata,"",@progbits
; Kernel info:
; codeLenInByte = 0
; TotalNumSgprs: 0
; NumVgprs: 0
; ScratchSize: 0
; MemoryBound: 0
; FloatMode: 240
; IeeeMode: 1
; LDSByteSize: 0 bytes/workgroup (compile time only)
; SGPRBlocks: 0
; VGPRBlocks: 0
; NumSGPRsForWavesPerEU: 1
; NumVGPRsForWavesPerEU: 1
; NamedBarCnt: 0
; Occupancy: 16
; WaveLimiterHint : 0
; COMPUTE_PGM_RSRC2:SCRATCH_EN: 0
; COMPUTE_PGM_RSRC2:USER_SGPR: 2
; COMPUTE_PGM_RSRC2:TRAP_HANDLER: 0
; COMPUTE_PGM_RSRC2:TGID_X_EN: 1
; COMPUTE_PGM_RSRC2:TGID_Y_EN: 0
; COMPUTE_PGM_RSRC2:TGID_Z_EN: 0
; COMPUTE_PGM_RSRC2:TIDIG_COMP_CNT: 0
	.section	.text._ZN7rocprim17ROCPRIM_400000_NS6detail17trampoline_kernelINS0_14default_configENS1_37merge_sort_block_sort_config_selectorIlNS0_10empty_typeEEEZNS1_21merge_sort_block_sortIS3_PlS8_PS5_S9_ZN2at6native12_GLOBAL__N_124unique_dim_cuda_templateIN3c104HalfEEESt5tupleIJNSA_6TensorESH_SH_EERKSH_lbbbEUlllE_EE10hipError_tT0_T1_T2_T3_mRjT4_P12ihipStream_tbNS1_7vsmem_tEEUlT_E_NS1_11comp_targetILNS1_3genE8ELNS1_11target_archE1030ELNS1_3gpuE2ELNS1_3repE0EEENS1_30default_config_static_selectorELNS0_4arch9wavefront6targetE0EEEvSO_,"axG",@progbits,_ZN7rocprim17ROCPRIM_400000_NS6detail17trampoline_kernelINS0_14default_configENS1_37merge_sort_block_sort_config_selectorIlNS0_10empty_typeEEEZNS1_21merge_sort_block_sortIS3_PlS8_PS5_S9_ZN2at6native12_GLOBAL__N_124unique_dim_cuda_templateIN3c104HalfEEESt5tupleIJNSA_6TensorESH_SH_EERKSH_lbbbEUlllE_EE10hipError_tT0_T1_T2_T3_mRjT4_P12ihipStream_tbNS1_7vsmem_tEEUlT_E_NS1_11comp_targetILNS1_3genE8ELNS1_11target_archE1030ELNS1_3gpuE2ELNS1_3repE0EEENS1_30default_config_static_selectorELNS0_4arch9wavefront6targetE0EEEvSO_,comdat
	.globl	_ZN7rocprim17ROCPRIM_400000_NS6detail17trampoline_kernelINS0_14default_configENS1_37merge_sort_block_sort_config_selectorIlNS0_10empty_typeEEEZNS1_21merge_sort_block_sortIS3_PlS8_PS5_S9_ZN2at6native12_GLOBAL__N_124unique_dim_cuda_templateIN3c104HalfEEESt5tupleIJNSA_6TensorESH_SH_EERKSH_lbbbEUlllE_EE10hipError_tT0_T1_T2_T3_mRjT4_P12ihipStream_tbNS1_7vsmem_tEEUlT_E_NS1_11comp_targetILNS1_3genE8ELNS1_11target_archE1030ELNS1_3gpuE2ELNS1_3repE0EEENS1_30default_config_static_selectorELNS0_4arch9wavefront6targetE0EEEvSO_ ; -- Begin function _ZN7rocprim17ROCPRIM_400000_NS6detail17trampoline_kernelINS0_14default_configENS1_37merge_sort_block_sort_config_selectorIlNS0_10empty_typeEEEZNS1_21merge_sort_block_sortIS3_PlS8_PS5_S9_ZN2at6native12_GLOBAL__N_124unique_dim_cuda_templateIN3c104HalfEEESt5tupleIJNSA_6TensorESH_SH_EERKSH_lbbbEUlllE_EE10hipError_tT0_T1_T2_T3_mRjT4_P12ihipStream_tbNS1_7vsmem_tEEUlT_E_NS1_11comp_targetILNS1_3genE8ELNS1_11target_archE1030ELNS1_3gpuE2ELNS1_3repE0EEENS1_30default_config_static_selectorELNS0_4arch9wavefront6targetE0EEEvSO_
	.p2align	8
	.type	_ZN7rocprim17ROCPRIM_400000_NS6detail17trampoline_kernelINS0_14default_configENS1_37merge_sort_block_sort_config_selectorIlNS0_10empty_typeEEEZNS1_21merge_sort_block_sortIS3_PlS8_PS5_S9_ZN2at6native12_GLOBAL__N_124unique_dim_cuda_templateIN3c104HalfEEESt5tupleIJNSA_6TensorESH_SH_EERKSH_lbbbEUlllE_EE10hipError_tT0_T1_T2_T3_mRjT4_P12ihipStream_tbNS1_7vsmem_tEEUlT_E_NS1_11comp_targetILNS1_3genE8ELNS1_11target_archE1030ELNS1_3gpuE2ELNS1_3repE0EEENS1_30default_config_static_selectorELNS0_4arch9wavefront6targetE0EEEvSO_,@function
_ZN7rocprim17ROCPRIM_400000_NS6detail17trampoline_kernelINS0_14default_configENS1_37merge_sort_block_sort_config_selectorIlNS0_10empty_typeEEEZNS1_21merge_sort_block_sortIS3_PlS8_PS5_S9_ZN2at6native12_GLOBAL__N_124unique_dim_cuda_templateIN3c104HalfEEESt5tupleIJNSA_6TensorESH_SH_EERKSH_lbbbEUlllE_EE10hipError_tT0_T1_T2_T3_mRjT4_P12ihipStream_tbNS1_7vsmem_tEEUlT_E_NS1_11comp_targetILNS1_3genE8ELNS1_11target_archE1030ELNS1_3gpuE2ELNS1_3repE0EEENS1_30default_config_static_selectorELNS0_4arch9wavefront6targetE0EEEvSO_: ; @_ZN7rocprim17ROCPRIM_400000_NS6detail17trampoline_kernelINS0_14default_configENS1_37merge_sort_block_sort_config_selectorIlNS0_10empty_typeEEEZNS1_21merge_sort_block_sortIS3_PlS8_PS5_S9_ZN2at6native12_GLOBAL__N_124unique_dim_cuda_templateIN3c104HalfEEESt5tupleIJNSA_6TensorESH_SH_EERKSH_lbbbEUlllE_EE10hipError_tT0_T1_T2_T3_mRjT4_P12ihipStream_tbNS1_7vsmem_tEEUlT_E_NS1_11comp_targetILNS1_3genE8ELNS1_11target_archE1030ELNS1_3gpuE2ELNS1_3repE0EEENS1_30default_config_static_selectorELNS0_4arch9wavefront6targetE0EEEvSO_
; %bb.0:
	.section	.rodata,"a",@progbits
	.p2align	6, 0x0
	.amdhsa_kernel _ZN7rocprim17ROCPRIM_400000_NS6detail17trampoline_kernelINS0_14default_configENS1_37merge_sort_block_sort_config_selectorIlNS0_10empty_typeEEEZNS1_21merge_sort_block_sortIS3_PlS8_PS5_S9_ZN2at6native12_GLOBAL__N_124unique_dim_cuda_templateIN3c104HalfEEESt5tupleIJNSA_6TensorESH_SH_EERKSH_lbbbEUlllE_EE10hipError_tT0_T1_T2_T3_mRjT4_P12ihipStream_tbNS1_7vsmem_tEEUlT_E_NS1_11comp_targetILNS1_3genE8ELNS1_11target_archE1030ELNS1_3gpuE2ELNS1_3repE0EEENS1_30default_config_static_selectorELNS0_4arch9wavefront6targetE0EEEvSO_
		.amdhsa_group_segment_fixed_size 0
		.amdhsa_private_segment_fixed_size 0
		.amdhsa_kernarg_size 72
		.amdhsa_user_sgpr_count 2
		.amdhsa_user_sgpr_dispatch_ptr 0
		.amdhsa_user_sgpr_queue_ptr 0
		.amdhsa_user_sgpr_kernarg_segment_ptr 1
		.amdhsa_user_sgpr_dispatch_id 0
		.amdhsa_user_sgpr_kernarg_preload_length 0
		.amdhsa_user_sgpr_kernarg_preload_offset 0
		.amdhsa_user_sgpr_private_segment_size 0
		.amdhsa_wavefront_size32 1
		.amdhsa_uses_dynamic_stack 0
		.amdhsa_enable_private_segment 0
		.amdhsa_system_sgpr_workgroup_id_x 1
		.amdhsa_system_sgpr_workgroup_id_y 0
		.amdhsa_system_sgpr_workgroup_id_z 0
		.amdhsa_system_sgpr_workgroup_info 0
		.amdhsa_system_vgpr_workitem_id 0
		.amdhsa_next_free_vgpr 1
		.amdhsa_next_free_sgpr 1
		.amdhsa_named_barrier_count 0
		.amdhsa_reserve_vcc 0
		.amdhsa_float_round_mode_32 0
		.amdhsa_float_round_mode_16_64 0
		.amdhsa_float_denorm_mode_32 3
		.amdhsa_float_denorm_mode_16_64 3
		.amdhsa_fp16_overflow 0
		.amdhsa_memory_ordered 1
		.amdhsa_forward_progress 1
		.amdhsa_inst_pref_size 0
		.amdhsa_round_robin_scheduling 0
		.amdhsa_exception_fp_ieee_invalid_op 0
		.amdhsa_exception_fp_denorm_src 0
		.amdhsa_exception_fp_ieee_div_zero 0
		.amdhsa_exception_fp_ieee_overflow 0
		.amdhsa_exception_fp_ieee_underflow 0
		.amdhsa_exception_fp_ieee_inexact 0
		.amdhsa_exception_int_div_zero 0
	.end_amdhsa_kernel
	.section	.text._ZN7rocprim17ROCPRIM_400000_NS6detail17trampoline_kernelINS0_14default_configENS1_37merge_sort_block_sort_config_selectorIlNS0_10empty_typeEEEZNS1_21merge_sort_block_sortIS3_PlS8_PS5_S9_ZN2at6native12_GLOBAL__N_124unique_dim_cuda_templateIN3c104HalfEEESt5tupleIJNSA_6TensorESH_SH_EERKSH_lbbbEUlllE_EE10hipError_tT0_T1_T2_T3_mRjT4_P12ihipStream_tbNS1_7vsmem_tEEUlT_E_NS1_11comp_targetILNS1_3genE8ELNS1_11target_archE1030ELNS1_3gpuE2ELNS1_3repE0EEENS1_30default_config_static_selectorELNS0_4arch9wavefront6targetE0EEEvSO_,"axG",@progbits,_ZN7rocprim17ROCPRIM_400000_NS6detail17trampoline_kernelINS0_14default_configENS1_37merge_sort_block_sort_config_selectorIlNS0_10empty_typeEEEZNS1_21merge_sort_block_sortIS3_PlS8_PS5_S9_ZN2at6native12_GLOBAL__N_124unique_dim_cuda_templateIN3c104HalfEEESt5tupleIJNSA_6TensorESH_SH_EERKSH_lbbbEUlllE_EE10hipError_tT0_T1_T2_T3_mRjT4_P12ihipStream_tbNS1_7vsmem_tEEUlT_E_NS1_11comp_targetILNS1_3genE8ELNS1_11target_archE1030ELNS1_3gpuE2ELNS1_3repE0EEENS1_30default_config_static_selectorELNS0_4arch9wavefront6targetE0EEEvSO_,comdat
.Lfunc_end1247:
	.size	_ZN7rocprim17ROCPRIM_400000_NS6detail17trampoline_kernelINS0_14default_configENS1_37merge_sort_block_sort_config_selectorIlNS0_10empty_typeEEEZNS1_21merge_sort_block_sortIS3_PlS8_PS5_S9_ZN2at6native12_GLOBAL__N_124unique_dim_cuda_templateIN3c104HalfEEESt5tupleIJNSA_6TensorESH_SH_EERKSH_lbbbEUlllE_EE10hipError_tT0_T1_T2_T3_mRjT4_P12ihipStream_tbNS1_7vsmem_tEEUlT_E_NS1_11comp_targetILNS1_3genE8ELNS1_11target_archE1030ELNS1_3gpuE2ELNS1_3repE0EEENS1_30default_config_static_selectorELNS0_4arch9wavefront6targetE0EEEvSO_, .Lfunc_end1247-_ZN7rocprim17ROCPRIM_400000_NS6detail17trampoline_kernelINS0_14default_configENS1_37merge_sort_block_sort_config_selectorIlNS0_10empty_typeEEEZNS1_21merge_sort_block_sortIS3_PlS8_PS5_S9_ZN2at6native12_GLOBAL__N_124unique_dim_cuda_templateIN3c104HalfEEESt5tupleIJNSA_6TensorESH_SH_EERKSH_lbbbEUlllE_EE10hipError_tT0_T1_T2_T3_mRjT4_P12ihipStream_tbNS1_7vsmem_tEEUlT_E_NS1_11comp_targetILNS1_3genE8ELNS1_11target_archE1030ELNS1_3gpuE2ELNS1_3repE0EEENS1_30default_config_static_selectorELNS0_4arch9wavefront6targetE0EEEvSO_
                                        ; -- End function
	.set _ZN7rocprim17ROCPRIM_400000_NS6detail17trampoline_kernelINS0_14default_configENS1_37merge_sort_block_sort_config_selectorIlNS0_10empty_typeEEEZNS1_21merge_sort_block_sortIS3_PlS8_PS5_S9_ZN2at6native12_GLOBAL__N_124unique_dim_cuda_templateIN3c104HalfEEESt5tupleIJNSA_6TensorESH_SH_EERKSH_lbbbEUlllE_EE10hipError_tT0_T1_T2_T3_mRjT4_P12ihipStream_tbNS1_7vsmem_tEEUlT_E_NS1_11comp_targetILNS1_3genE8ELNS1_11target_archE1030ELNS1_3gpuE2ELNS1_3repE0EEENS1_30default_config_static_selectorELNS0_4arch9wavefront6targetE0EEEvSO_.num_vgpr, 0
	.set _ZN7rocprim17ROCPRIM_400000_NS6detail17trampoline_kernelINS0_14default_configENS1_37merge_sort_block_sort_config_selectorIlNS0_10empty_typeEEEZNS1_21merge_sort_block_sortIS3_PlS8_PS5_S9_ZN2at6native12_GLOBAL__N_124unique_dim_cuda_templateIN3c104HalfEEESt5tupleIJNSA_6TensorESH_SH_EERKSH_lbbbEUlllE_EE10hipError_tT0_T1_T2_T3_mRjT4_P12ihipStream_tbNS1_7vsmem_tEEUlT_E_NS1_11comp_targetILNS1_3genE8ELNS1_11target_archE1030ELNS1_3gpuE2ELNS1_3repE0EEENS1_30default_config_static_selectorELNS0_4arch9wavefront6targetE0EEEvSO_.num_agpr, 0
	.set _ZN7rocprim17ROCPRIM_400000_NS6detail17trampoline_kernelINS0_14default_configENS1_37merge_sort_block_sort_config_selectorIlNS0_10empty_typeEEEZNS1_21merge_sort_block_sortIS3_PlS8_PS5_S9_ZN2at6native12_GLOBAL__N_124unique_dim_cuda_templateIN3c104HalfEEESt5tupleIJNSA_6TensorESH_SH_EERKSH_lbbbEUlllE_EE10hipError_tT0_T1_T2_T3_mRjT4_P12ihipStream_tbNS1_7vsmem_tEEUlT_E_NS1_11comp_targetILNS1_3genE8ELNS1_11target_archE1030ELNS1_3gpuE2ELNS1_3repE0EEENS1_30default_config_static_selectorELNS0_4arch9wavefront6targetE0EEEvSO_.numbered_sgpr, 0
	.set _ZN7rocprim17ROCPRIM_400000_NS6detail17trampoline_kernelINS0_14default_configENS1_37merge_sort_block_sort_config_selectorIlNS0_10empty_typeEEEZNS1_21merge_sort_block_sortIS3_PlS8_PS5_S9_ZN2at6native12_GLOBAL__N_124unique_dim_cuda_templateIN3c104HalfEEESt5tupleIJNSA_6TensorESH_SH_EERKSH_lbbbEUlllE_EE10hipError_tT0_T1_T2_T3_mRjT4_P12ihipStream_tbNS1_7vsmem_tEEUlT_E_NS1_11comp_targetILNS1_3genE8ELNS1_11target_archE1030ELNS1_3gpuE2ELNS1_3repE0EEENS1_30default_config_static_selectorELNS0_4arch9wavefront6targetE0EEEvSO_.num_named_barrier, 0
	.set _ZN7rocprim17ROCPRIM_400000_NS6detail17trampoline_kernelINS0_14default_configENS1_37merge_sort_block_sort_config_selectorIlNS0_10empty_typeEEEZNS1_21merge_sort_block_sortIS3_PlS8_PS5_S9_ZN2at6native12_GLOBAL__N_124unique_dim_cuda_templateIN3c104HalfEEESt5tupleIJNSA_6TensorESH_SH_EERKSH_lbbbEUlllE_EE10hipError_tT0_T1_T2_T3_mRjT4_P12ihipStream_tbNS1_7vsmem_tEEUlT_E_NS1_11comp_targetILNS1_3genE8ELNS1_11target_archE1030ELNS1_3gpuE2ELNS1_3repE0EEENS1_30default_config_static_selectorELNS0_4arch9wavefront6targetE0EEEvSO_.private_seg_size, 0
	.set _ZN7rocprim17ROCPRIM_400000_NS6detail17trampoline_kernelINS0_14default_configENS1_37merge_sort_block_sort_config_selectorIlNS0_10empty_typeEEEZNS1_21merge_sort_block_sortIS3_PlS8_PS5_S9_ZN2at6native12_GLOBAL__N_124unique_dim_cuda_templateIN3c104HalfEEESt5tupleIJNSA_6TensorESH_SH_EERKSH_lbbbEUlllE_EE10hipError_tT0_T1_T2_T3_mRjT4_P12ihipStream_tbNS1_7vsmem_tEEUlT_E_NS1_11comp_targetILNS1_3genE8ELNS1_11target_archE1030ELNS1_3gpuE2ELNS1_3repE0EEENS1_30default_config_static_selectorELNS0_4arch9wavefront6targetE0EEEvSO_.uses_vcc, 0
	.set _ZN7rocprim17ROCPRIM_400000_NS6detail17trampoline_kernelINS0_14default_configENS1_37merge_sort_block_sort_config_selectorIlNS0_10empty_typeEEEZNS1_21merge_sort_block_sortIS3_PlS8_PS5_S9_ZN2at6native12_GLOBAL__N_124unique_dim_cuda_templateIN3c104HalfEEESt5tupleIJNSA_6TensorESH_SH_EERKSH_lbbbEUlllE_EE10hipError_tT0_T1_T2_T3_mRjT4_P12ihipStream_tbNS1_7vsmem_tEEUlT_E_NS1_11comp_targetILNS1_3genE8ELNS1_11target_archE1030ELNS1_3gpuE2ELNS1_3repE0EEENS1_30default_config_static_selectorELNS0_4arch9wavefront6targetE0EEEvSO_.uses_flat_scratch, 0
	.set _ZN7rocprim17ROCPRIM_400000_NS6detail17trampoline_kernelINS0_14default_configENS1_37merge_sort_block_sort_config_selectorIlNS0_10empty_typeEEEZNS1_21merge_sort_block_sortIS3_PlS8_PS5_S9_ZN2at6native12_GLOBAL__N_124unique_dim_cuda_templateIN3c104HalfEEESt5tupleIJNSA_6TensorESH_SH_EERKSH_lbbbEUlllE_EE10hipError_tT0_T1_T2_T3_mRjT4_P12ihipStream_tbNS1_7vsmem_tEEUlT_E_NS1_11comp_targetILNS1_3genE8ELNS1_11target_archE1030ELNS1_3gpuE2ELNS1_3repE0EEENS1_30default_config_static_selectorELNS0_4arch9wavefront6targetE0EEEvSO_.has_dyn_sized_stack, 0
	.set _ZN7rocprim17ROCPRIM_400000_NS6detail17trampoline_kernelINS0_14default_configENS1_37merge_sort_block_sort_config_selectorIlNS0_10empty_typeEEEZNS1_21merge_sort_block_sortIS3_PlS8_PS5_S9_ZN2at6native12_GLOBAL__N_124unique_dim_cuda_templateIN3c104HalfEEESt5tupleIJNSA_6TensorESH_SH_EERKSH_lbbbEUlllE_EE10hipError_tT0_T1_T2_T3_mRjT4_P12ihipStream_tbNS1_7vsmem_tEEUlT_E_NS1_11comp_targetILNS1_3genE8ELNS1_11target_archE1030ELNS1_3gpuE2ELNS1_3repE0EEENS1_30default_config_static_selectorELNS0_4arch9wavefront6targetE0EEEvSO_.has_recursion, 0
	.set _ZN7rocprim17ROCPRIM_400000_NS6detail17trampoline_kernelINS0_14default_configENS1_37merge_sort_block_sort_config_selectorIlNS0_10empty_typeEEEZNS1_21merge_sort_block_sortIS3_PlS8_PS5_S9_ZN2at6native12_GLOBAL__N_124unique_dim_cuda_templateIN3c104HalfEEESt5tupleIJNSA_6TensorESH_SH_EERKSH_lbbbEUlllE_EE10hipError_tT0_T1_T2_T3_mRjT4_P12ihipStream_tbNS1_7vsmem_tEEUlT_E_NS1_11comp_targetILNS1_3genE8ELNS1_11target_archE1030ELNS1_3gpuE2ELNS1_3repE0EEENS1_30default_config_static_selectorELNS0_4arch9wavefront6targetE0EEEvSO_.has_indirect_call, 0
	.section	.AMDGPU.csdata,"",@progbits
; Kernel info:
; codeLenInByte = 0
; TotalNumSgprs: 0
; NumVgprs: 0
; ScratchSize: 0
; MemoryBound: 0
; FloatMode: 240
; IeeeMode: 1
; LDSByteSize: 0 bytes/workgroup (compile time only)
; SGPRBlocks: 0
; VGPRBlocks: 0
; NumSGPRsForWavesPerEU: 1
; NumVGPRsForWavesPerEU: 1
; NamedBarCnt: 0
; Occupancy: 16
; WaveLimiterHint : 0
; COMPUTE_PGM_RSRC2:SCRATCH_EN: 0
; COMPUTE_PGM_RSRC2:USER_SGPR: 2
; COMPUTE_PGM_RSRC2:TRAP_HANDLER: 0
; COMPUTE_PGM_RSRC2:TGID_X_EN: 1
; COMPUTE_PGM_RSRC2:TGID_Y_EN: 0
; COMPUTE_PGM_RSRC2:TGID_Z_EN: 0
; COMPUTE_PGM_RSRC2:TIDIG_COMP_CNT: 0
	.section	.text._ZN7rocprim17ROCPRIM_400000_NS6detail17trampoline_kernelINS0_14default_configENS1_38merge_sort_block_merge_config_selectorIlNS0_10empty_typeEEEZZNS1_27merge_sort_block_merge_implIS3_PlPS5_mZN2at6native12_GLOBAL__N_124unique_dim_cuda_templateIN3c104HalfEEESt5tupleIJNSA_6TensorESH_SH_EERKSH_lbbbEUlllE_EE10hipError_tT0_T1_T2_jT3_P12ihipStream_tbPNSt15iterator_traitsISN_E10value_typeEPNST_ISO_E10value_typeEPSP_NS1_7vsmem_tEENKUlT_SN_SO_SP_E_clIS8_S8_S9_S9_EESM_S12_SN_SO_SP_EUlS12_E_NS1_11comp_targetILNS1_3genE0ELNS1_11target_archE4294967295ELNS1_3gpuE0ELNS1_3repE0EEENS1_48merge_mergepath_partition_config_static_selectorELNS0_4arch9wavefront6targetE0EEEvSO_,"axG",@progbits,_ZN7rocprim17ROCPRIM_400000_NS6detail17trampoline_kernelINS0_14default_configENS1_38merge_sort_block_merge_config_selectorIlNS0_10empty_typeEEEZZNS1_27merge_sort_block_merge_implIS3_PlPS5_mZN2at6native12_GLOBAL__N_124unique_dim_cuda_templateIN3c104HalfEEESt5tupleIJNSA_6TensorESH_SH_EERKSH_lbbbEUlllE_EE10hipError_tT0_T1_T2_jT3_P12ihipStream_tbPNSt15iterator_traitsISN_E10value_typeEPNST_ISO_E10value_typeEPSP_NS1_7vsmem_tEENKUlT_SN_SO_SP_E_clIS8_S8_S9_S9_EESM_S12_SN_SO_SP_EUlS12_E_NS1_11comp_targetILNS1_3genE0ELNS1_11target_archE4294967295ELNS1_3gpuE0ELNS1_3repE0EEENS1_48merge_mergepath_partition_config_static_selectorELNS0_4arch9wavefront6targetE0EEEvSO_,comdat
	.globl	_ZN7rocprim17ROCPRIM_400000_NS6detail17trampoline_kernelINS0_14default_configENS1_38merge_sort_block_merge_config_selectorIlNS0_10empty_typeEEEZZNS1_27merge_sort_block_merge_implIS3_PlPS5_mZN2at6native12_GLOBAL__N_124unique_dim_cuda_templateIN3c104HalfEEESt5tupleIJNSA_6TensorESH_SH_EERKSH_lbbbEUlllE_EE10hipError_tT0_T1_T2_jT3_P12ihipStream_tbPNSt15iterator_traitsISN_E10value_typeEPNST_ISO_E10value_typeEPSP_NS1_7vsmem_tEENKUlT_SN_SO_SP_E_clIS8_S8_S9_S9_EESM_S12_SN_SO_SP_EUlS12_E_NS1_11comp_targetILNS1_3genE0ELNS1_11target_archE4294967295ELNS1_3gpuE0ELNS1_3repE0EEENS1_48merge_mergepath_partition_config_static_selectorELNS0_4arch9wavefront6targetE0EEEvSO_ ; -- Begin function _ZN7rocprim17ROCPRIM_400000_NS6detail17trampoline_kernelINS0_14default_configENS1_38merge_sort_block_merge_config_selectorIlNS0_10empty_typeEEEZZNS1_27merge_sort_block_merge_implIS3_PlPS5_mZN2at6native12_GLOBAL__N_124unique_dim_cuda_templateIN3c104HalfEEESt5tupleIJNSA_6TensorESH_SH_EERKSH_lbbbEUlllE_EE10hipError_tT0_T1_T2_jT3_P12ihipStream_tbPNSt15iterator_traitsISN_E10value_typeEPNST_ISO_E10value_typeEPSP_NS1_7vsmem_tEENKUlT_SN_SO_SP_E_clIS8_S8_S9_S9_EESM_S12_SN_SO_SP_EUlS12_E_NS1_11comp_targetILNS1_3genE0ELNS1_11target_archE4294967295ELNS1_3gpuE0ELNS1_3repE0EEENS1_48merge_mergepath_partition_config_static_selectorELNS0_4arch9wavefront6targetE0EEEvSO_
	.p2align	8
	.type	_ZN7rocprim17ROCPRIM_400000_NS6detail17trampoline_kernelINS0_14default_configENS1_38merge_sort_block_merge_config_selectorIlNS0_10empty_typeEEEZZNS1_27merge_sort_block_merge_implIS3_PlPS5_mZN2at6native12_GLOBAL__N_124unique_dim_cuda_templateIN3c104HalfEEESt5tupleIJNSA_6TensorESH_SH_EERKSH_lbbbEUlllE_EE10hipError_tT0_T1_T2_jT3_P12ihipStream_tbPNSt15iterator_traitsISN_E10value_typeEPNST_ISO_E10value_typeEPSP_NS1_7vsmem_tEENKUlT_SN_SO_SP_E_clIS8_S8_S9_S9_EESM_S12_SN_SO_SP_EUlS12_E_NS1_11comp_targetILNS1_3genE0ELNS1_11target_archE4294967295ELNS1_3gpuE0ELNS1_3repE0EEENS1_48merge_mergepath_partition_config_static_selectorELNS0_4arch9wavefront6targetE0EEEvSO_,@function
_ZN7rocprim17ROCPRIM_400000_NS6detail17trampoline_kernelINS0_14default_configENS1_38merge_sort_block_merge_config_selectorIlNS0_10empty_typeEEEZZNS1_27merge_sort_block_merge_implIS3_PlPS5_mZN2at6native12_GLOBAL__N_124unique_dim_cuda_templateIN3c104HalfEEESt5tupleIJNSA_6TensorESH_SH_EERKSH_lbbbEUlllE_EE10hipError_tT0_T1_T2_jT3_P12ihipStream_tbPNSt15iterator_traitsISN_E10value_typeEPNST_ISO_E10value_typeEPSP_NS1_7vsmem_tEENKUlT_SN_SO_SP_E_clIS8_S8_S9_S9_EESM_S12_SN_SO_SP_EUlS12_E_NS1_11comp_targetILNS1_3genE0ELNS1_11target_archE4294967295ELNS1_3gpuE0ELNS1_3repE0EEENS1_48merge_mergepath_partition_config_static_selectorELNS0_4arch9wavefront6targetE0EEEvSO_: ; @_ZN7rocprim17ROCPRIM_400000_NS6detail17trampoline_kernelINS0_14default_configENS1_38merge_sort_block_merge_config_selectorIlNS0_10empty_typeEEEZZNS1_27merge_sort_block_merge_implIS3_PlPS5_mZN2at6native12_GLOBAL__N_124unique_dim_cuda_templateIN3c104HalfEEESt5tupleIJNSA_6TensorESH_SH_EERKSH_lbbbEUlllE_EE10hipError_tT0_T1_T2_jT3_P12ihipStream_tbPNSt15iterator_traitsISN_E10value_typeEPNST_ISO_E10value_typeEPSP_NS1_7vsmem_tEENKUlT_SN_SO_SP_E_clIS8_S8_S9_S9_EESM_S12_SN_SO_SP_EUlS12_E_NS1_11comp_targetILNS1_3genE0ELNS1_11target_archE4294967295ELNS1_3gpuE0ELNS1_3repE0EEENS1_48merge_mergepath_partition_config_static_selectorELNS0_4arch9wavefront6targetE0EEEvSO_
; %bb.0:
	s_load_b32 s2, s[0:1], 0x0
	s_bfe_u32 s3, ttmp6, 0x4000c
	s_and_b32 s4, ttmp6, 15
	s_add_co_i32 s3, s3, 1
	s_getreg_b32 s5, hwreg(HW_REG_IB_STS2, 6, 4)
	s_mul_i32 s3, ttmp9, s3
	s_delay_alu instid0(SALU_CYCLE_1) | instskip(SKIP_2) | instid1(SALU_CYCLE_1)
	s_add_co_i32 s4, s4, s3
	s_cmp_eq_u32 s5, 0
	s_cselect_b32 s3, ttmp9, s4
	v_lshl_or_b32 v16, s3, 7, v0
	s_wait_kmcnt 0x0
	s_delay_alu instid0(VALU_DEP_1)
	v_cmp_gt_u32_e32 vcc_lo, s2, v16
	s_and_saveexec_b32 s2, vcc_lo
	s_cbranch_execz .LBB1248_14
; %bb.1:
	s_load_b128 s[4:7], s[0:1], 0x8
	s_mov_b32 s12, exec_lo
	s_wait_kmcnt 0x0
	s_lshr_b64 s[2:3], s[4:5], 9
	s_delay_alu instid0(SALU_CYCLE_1) | instskip(NEXT) | instid1(SALU_CYCLE_1)
	s_and_b32 s2, s2, -2
	s_sub_co_i32 s3, 0, s2
	s_delay_alu instid0(SALU_CYCLE_1) | instskip(SKIP_1) | instid1(VALU_DEP_1)
	v_dual_mov_b32 v3, 0 :: v_dual_bitop2_b32 v2, s3, v16 bitop3:0x40
	s_add_co_i32 s2, s2, -1
	v_lshlrev_b64_e32 v[0:1], 10, v[2:3]
	v_and_b32_e32 v2, s2, v16
	s_delay_alu instid0(VALU_DEP_1) | instskip(NEXT) | instid1(VALU_DEP_3)
	v_lshlrev_b64_e32 v[2:3], 10, v[2:3]
	v_add_nc_u64_e32 v[4:5], s[4:5], v[0:1]
	v_min_u64 v[0:1], s[6:7], v[0:1]
	s_delay_alu instid0(VALU_DEP_2) | instskip(NEXT) | instid1(VALU_DEP_1)
	v_min_u64 v[6:7], s[6:7], v[4:5]
	v_add_nc_u64_e32 v[4:5], s[4:5], v[6:7]
	s_delay_alu instid0(VALU_DEP_1) | instskip(SKIP_1) | instid1(VALU_DEP_1)
	v_min_u64 v[4:5], s[6:7], v[4:5]
	s_load_b256 s[4:11], s[0:1], 0x18
	v_sub_nc_u64_e32 v[8:9], v[4:5], v[0:1]
	s_delay_alu instid0(VALU_DEP_1) | instskip(SKIP_2) | instid1(VALU_DEP_2)
	v_min_u64 v[8:9], v[8:9], v[2:3]
	v_sub_nc_u64_e32 v[2:3], v[4:5], v[6:7]
	v_sub_nc_u64_e32 v[4:5], v[6:7], v[0:1]
	v_max_u64 v[10:11], v[8:9], v[2:3]
	s_delay_alu instid0(VALU_DEP_2) | instskip(NEXT) | instid1(VALU_DEP_2)
	v_min_u64 v[4:5], v[8:9], v[4:5]
	v_sub_nc_u64_e32 v[2:3], v[10:11], v[2:3]
	s_delay_alu instid0(VALU_DEP_1)
	v_cmpx_lt_u64_e64 v[2:3], v[4:5]
	s_cbranch_execz .LBB1248_13
; %bb.2:
	s_wait_kmcnt 0x0
	v_lshl_add_u64 v[10:11], v[6:7], 3, s[4:5]
	v_lshl_add_u64 v[6:7], v[0:1], 3, s[4:5]
	v_cmp_gt_i64_e64 s4, s[6:7], 0
	s_lshl_b64 s[0:1], s[6:7], 1
	s_mov_b32 s5, 0
	v_lshl_add_u64 v[8:9], v[8:9], 3, v[10:11]
	s_branch .LBB1248_5
.LBB1248_3:                             ;   in Loop: Header=BB1248_5 Depth=1
	s_or_b32 exec_lo, exec_lo, s14
.LBB1248_4:                             ;   in Loop: Header=BB1248_5 Depth=1
	s_delay_alu instid0(VALU_DEP_1) | instskip(SKIP_1) | instid1(VALU_DEP_2)
	v_add_nc_u64_e32 v[12:13], 1, v[10:11]
	v_dual_cndmask_b32 v5, v5, v11, s13 :: v_dual_cndmask_b32 v4, v4, v10, s13
	v_dual_cndmask_b32 v3, v13, v3, s13 :: v_dual_cndmask_b32 v2, v12, v2, s13
	s_delay_alu instid0(VALU_DEP_1) | instskip(SKIP_1) | instid1(SALU_CYCLE_1)
	v_cmp_ge_u64_e32 vcc_lo, v[2:3], v[4:5]
	s_or_b32 s5, vcc_lo, s5
	s_and_not1_b32 exec_lo, exec_lo, s5
	s_cbranch_execz .LBB1248_12
.LBB1248_5:                             ; =>This Loop Header: Depth=1
                                        ;     Child Loop BB1248_8 Depth 2
	v_add_nc_u64_e32 v[10:11], v[4:5], v[2:3]
	s_and_not1_b32 vcc_lo, exec_lo, s4
	s_mov_b32 s13, 0
	s_delay_alu instid0(VALU_DEP_1)
	v_lshrrev_b64 v[10:11], 1, v[10:11]
	s_cbranch_vccnz .LBB1248_4
; %bb.6:                                ;   in Loop: Header=BB1248_5 Depth=1
	s_delay_alu instid0(VALU_DEP_1) | instskip(NEXT) | instid1(VALU_DEP_2)
	v_not_b32_e32 v13, v11
	v_not_b32_e32 v12, v10
	v_lshl_add_u64 v[14:15], v[10:11], 3, v[6:7]
	s_mov_b32 s14, 0
	s_mov_b64 s[2:3], s[6:7]
                                        ; implicit-def: $sgpr13
                                        ; implicit-def: $sgpr15
                                        ; implicit-def: $sgpr18
	s_delay_alu instid0(VALU_DEP_2)
	v_lshl_add_u64 v[12:13], v[12:13], 3, v[8:9]
	s_clause 0x1
	global_load_b64 v[18:19], v[12:13], off
	global_load_b64 v[20:21], v[14:15], off
	s_wait_loadcnt 0x1
	s_wait_xcnt 0x1
	v_mad_nc_u64_u32 v[12:13], s0, v18, s[8:9]
	s_wait_loadcnt 0x0
	v_mad_nc_u64_u32 v[14:15], s0, v20, s[8:9]
	s_delay_alu instid0(VALU_DEP_2) | instskip(NEXT) | instid1(VALU_DEP_2)
	v_mad_u32 v13, s1, v18, v13
	v_mad_u32 v15, s1, v20, v15
	s_delay_alu instid0(VALU_DEP_2) | instskip(NEXT) | instid1(VALU_DEP_2)
	v_mad_u32 v13, s0, v19, v13
	v_mad_u32 v15, s0, v21, v15
	s_branch .LBB1248_8
.LBB1248_7:                             ;   in Loop: Header=BB1248_8 Depth=2
	s_or_b32 exec_lo, exec_lo, s18
	s_delay_alu instid0(SALU_CYCLE_1) | instskip(SKIP_4) | instid1(SALU_CYCLE_1)
	s_and_b32 s17, exec_lo, s17
	s_mov_b32 s18, s16
	s_or_b32 s14, s17, s14
	s_and_not1_b32 s13, s13, exec_lo
	s_and_b32 s17, s15, exec_lo
	s_or_b32 s13, s13, s17
	s_and_not1_b32 exec_lo, exec_lo, s14
	s_cbranch_execz .LBB1248_3
.LBB1248_8:                             ;   Parent Loop BB1248_5 Depth=1
                                        ; =>  This Inner Loop Header: Depth=2
	global_load_u16 v17, v[12:13], off
	global_load_u16 v18, v[14:15], off
	s_mov_b32 s17, -1
	s_mov_b32 s19, 0
	s_mov_b32 s16, -1
	s_mov_b32 s20, exec_lo
	s_wait_loadcnt 0x0
	v_cmpx_nlt_f16_e32 v17, v18
; %bb.9:                                ;   in Loop: Header=BB1248_8 Depth=2
	v_cmp_ngt_f16_e32 vcc_lo, v17, v18
	s_and_b32 s16, vcc_lo, s18
	s_and_b32 s19, vcc_lo, exec_lo
	s_or_not1_b32 s16, s16, exec_lo
; %bb.10:                               ;   in Loop: Header=BB1248_8 Depth=2
	s_or_b32 exec_lo, exec_lo, s20
	s_delay_alu instid0(SALU_CYCLE_1) | instskip(SKIP_1) | instid1(SALU_CYCLE_1)
	s_and_not1_b32 s15, s15, exec_lo
	s_and_b32 s18, s16, exec_lo
	s_or_b32 s15, s15, s18
	s_and_saveexec_b32 s18, s19
	s_cbranch_execz .LBB1248_7
; %bb.11:                               ;   in Loop: Header=BB1248_8 Depth=2
	s_add_nc_u64 s[2:3], s[2:3], -1
	v_add_nc_u64_e32 v[12:13], 2, v[12:13]
	v_add_nc_u64_e32 v[14:15], 2, v[14:15]
	s_cmp_eq_u64 s[2:3], 0
	s_cselect_b32 s17, -1, 0
	s_and_not1_b32 s15, s15, exec_lo
	s_or_not1_b32 s17, s17, exec_lo
	s_branch .LBB1248_7
.LBB1248_12:
	s_or_b32 exec_lo, exec_lo, s5
.LBB1248_13:
	s_delay_alu instid0(SALU_CYCLE_1)
	s_or_b32 exec_lo, exec_lo, s12
	v_add_nc_u64_e32 v[0:1], v[2:3], v[0:1]
	s_wait_kmcnt 0x0
	global_store_b64 v16, v[0:1], s[10:11] scale_offset
.LBB1248_14:
	s_endpgm
	.section	.rodata,"a",@progbits
	.p2align	6, 0x0
	.amdhsa_kernel _ZN7rocprim17ROCPRIM_400000_NS6detail17trampoline_kernelINS0_14default_configENS1_38merge_sort_block_merge_config_selectorIlNS0_10empty_typeEEEZZNS1_27merge_sort_block_merge_implIS3_PlPS5_mZN2at6native12_GLOBAL__N_124unique_dim_cuda_templateIN3c104HalfEEESt5tupleIJNSA_6TensorESH_SH_EERKSH_lbbbEUlllE_EE10hipError_tT0_T1_T2_jT3_P12ihipStream_tbPNSt15iterator_traitsISN_E10value_typeEPNST_ISO_E10value_typeEPSP_NS1_7vsmem_tEENKUlT_SN_SO_SP_E_clIS8_S8_S9_S9_EESM_S12_SN_SO_SP_EUlS12_E_NS1_11comp_targetILNS1_3genE0ELNS1_11target_archE4294967295ELNS1_3gpuE0ELNS1_3repE0EEENS1_48merge_mergepath_partition_config_static_selectorELNS0_4arch9wavefront6targetE0EEEvSO_
		.amdhsa_group_segment_fixed_size 0
		.amdhsa_private_segment_fixed_size 0
		.amdhsa_kernarg_size 56
		.amdhsa_user_sgpr_count 2
		.amdhsa_user_sgpr_dispatch_ptr 0
		.amdhsa_user_sgpr_queue_ptr 0
		.amdhsa_user_sgpr_kernarg_segment_ptr 1
		.amdhsa_user_sgpr_dispatch_id 0
		.amdhsa_user_sgpr_kernarg_preload_length 0
		.amdhsa_user_sgpr_kernarg_preload_offset 0
		.amdhsa_user_sgpr_private_segment_size 0
		.amdhsa_wavefront_size32 1
		.amdhsa_uses_dynamic_stack 0
		.amdhsa_enable_private_segment 0
		.amdhsa_system_sgpr_workgroup_id_x 1
		.amdhsa_system_sgpr_workgroup_id_y 0
		.amdhsa_system_sgpr_workgroup_id_z 0
		.amdhsa_system_sgpr_workgroup_info 0
		.amdhsa_system_vgpr_workitem_id 0
		.amdhsa_next_free_vgpr 22
		.amdhsa_next_free_sgpr 21
		.amdhsa_named_barrier_count 0
		.amdhsa_reserve_vcc 1
		.amdhsa_float_round_mode_32 0
		.amdhsa_float_round_mode_16_64 0
		.amdhsa_float_denorm_mode_32 3
		.amdhsa_float_denorm_mode_16_64 3
		.amdhsa_fp16_overflow 0
		.amdhsa_memory_ordered 1
		.amdhsa_forward_progress 1
		.amdhsa_inst_pref_size 6
		.amdhsa_round_robin_scheduling 0
		.amdhsa_exception_fp_ieee_invalid_op 0
		.amdhsa_exception_fp_denorm_src 0
		.amdhsa_exception_fp_ieee_div_zero 0
		.amdhsa_exception_fp_ieee_overflow 0
		.amdhsa_exception_fp_ieee_underflow 0
		.amdhsa_exception_fp_ieee_inexact 0
		.amdhsa_exception_int_div_zero 0
	.end_amdhsa_kernel
	.section	.text._ZN7rocprim17ROCPRIM_400000_NS6detail17trampoline_kernelINS0_14default_configENS1_38merge_sort_block_merge_config_selectorIlNS0_10empty_typeEEEZZNS1_27merge_sort_block_merge_implIS3_PlPS5_mZN2at6native12_GLOBAL__N_124unique_dim_cuda_templateIN3c104HalfEEESt5tupleIJNSA_6TensorESH_SH_EERKSH_lbbbEUlllE_EE10hipError_tT0_T1_T2_jT3_P12ihipStream_tbPNSt15iterator_traitsISN_E10value_typeEPNST_ISO_E10value_typeEPSP_NS1_7vsmem_tEENKUlT_SN_SO_SP_E_clIS8_S8_S9_S9_EESM_S12_SN_SO_SP_EUlS12_E_NS1_11comp_targetILNS1_3genE0ELNS1_11target_archE4294967295ELNS1_3gpuE0ELNS1_3repE0EEENS1_48merge_mergepath_partition_config_static_selectorELNS0_4arch9wavefront6targetE0EEEvSO_,"axG",@progbits,_ZN7rocprim17ROCPRIM_400000_NS6detail17trampoline_kernelINS0_14default_configENS1_38merge_sort_block_merge_config_selectorIlNS0_10empty_typeEEEZZNS1_27merge_sort_block_merge_implIS3_PlPS5_mZN2at6native12_GLOBAL__N_124unique_dim_cuda_templateIN3c104HalfEEESt5tupleIJNSA_6TensorESH_SH_EERKSH_lbbbEUlllE_EE10hipError_tT0_T1_T2_jT3_P12ihipStream_tbPNSt15iterator_traitsISN_E10value_typeEPNST_ISO_E10value_typeEPSP_NS1_7vsmem_tEENKUlT_SN_SO_SP_E_clIS8_S8_S9_S9_EESM_S12_SN_SO_SP_EUlS12_E_NS1_11comp_targetILNS1_3genE0ELNS1_11target_archE4294967295ELNS1_3gpuE0ELNS1_3repE0EEENS1_48merge_mergepath_partition_config_static_selectorELNS0_4arch9wavefront6targetE0EEEvSO_,comdat
.Lfunc_end1248:
	.size	_ZN7rocprim17ROCPRIM_400000_NS6detail17trampoline_kernelINS0_14default_configENS1_38merge_sort_block_merge_config_selectorIlNS0_10empty_typeEEEZZNS1_27merge_sort_block_merge_implIS3_PlPS5_mZN2at6native12_GLOBAL__N_124unique_dim_cuda_templateIN3c104HalfEEESt5tupleIJNSA_6TensorESH_SH_EERKSH_lbbbEUlllE_EE10hipError_tT0_T1_T2_jT3_P12ihipStream_tbPNSt15iterator_traitsISN_E10value_typeEPNST_ISO_E10value_typeEPSP_NS1_7vsmem_tEENKUlT_SN_SO_SP_E_clIS8_S8_S9_S9_EESM_S12_SN_SO_SP_EUlS12_E_NS1_11comp_targetILNS1_3genE0ELNS1_11target_archE4294967295ELNS1_3gpuE0ELNS1_3repE0EEENS1_48merge_mergepath_partition_config_static_selectorELNS0_4arch9wavefront6targetE0EEEvSO_, .Lfunc_end1248-_ZN7rocprim17ROCPRIM_400000_NS6detail17trampoline_kernelINS0_14default_configENS1_38merge_sort_block_merge_config_selectorIlNS0_10empty_typeEEEZZNS1_27merge_sort_block_merge_implIS3_PlPS5_mZN2at6native12_GLOBAL__N_124unique_dim_cuda_templateIN3c104HalfEEESt5tupleIJNSA_6TensorESH_SH_EERKSH_lbbbEUlllE_EE10hipError_tT0_T1_T2_jT3_P12ihipStream_tbPNSt15iterator_traitsISN_E10value_typeEPNST_ISO_E10value_typeEPSP_NS1_7vsmem_tEENKUlT_SN_SO_SP_E_clIS8_S8_S9_S9_EESM_S12_SN_SO_SP_EUlS12_E_NS1_11comp_targetILNS1_3genE0ELNS1_11target_archE4294967295ELNS1_3gpuE0ELNS1_3repE0EEENS1_48merge_mergepath_partition_config_static_selectorELNS0_4arch9wavefront6targetE0EEEvSO_
                                        ; -- End function
	.set _ZN7rocprim17ROCPRIM_400000_NS6detail17trampoline_kernelINS0_14default_configENS1_38merge_sort_block_merge_config_selectorIlNS0_10empty_typeEEEZZNS1_27merge_sort_block_merge_implIS3_PlPS5_mZN2at6native12_GLOBAL__N_124unique_dim_cuda_templateIN3c104HalfEEESt5tupleIJNSA_6TensorESH_SH_EERKSH_lbbbEUlllE_EE10hipError_tT0_T1_T2_jT3_P12ihipStream_tbPNSt15iterator_traitsISN_E10value_typeEPNST_ISO_E10value_typeEPSP_NS1_7vsmem_tEENKUlT_SN_SO_SP_E_clIS8_S8_S9_S9_EESM_S12_SN_SO_SP_EUlS12_E_NS1_11comp_targetILNS1_3genE0ELNS1_11target_archE4294967295ELNS1_3gpuE0ELNS1_3repE0EEENS1_48merge_mergepath_partition_config_static_selectorELNS0_4arch9wavefront6targetE0EEEvSO_.num_vgpr, 22
	.set _ZN7rocprim17ROCPRIM_400000_NS6detail17trampoline_kernelINS0_14default_configENS1_38merge_sort_block_merge_config_selectorIlNS0_10empty_typeEEEZZNS1_27merge_sort_block_merge_implIS3_PlPS5_mZN2at6native12_GLOBAL__N_124unique_dim_cuda_templateIN3c104HalfEEESt5tupleIJNSA_6TensorESH_SH_EERKSH_lbbbEUlllE_EE10hipError_tT0_T1_T2_jT3_P12ihipStream_tbPNSt15iterator_traitsISN_E10value_typeEPNST_ISO_E10value_typeEPSP_NS1_7vsmem_tEENKUlT_SN_SO_SP_E_clIS8_S8_S9_S9_EESM_S12_SN_SO_SP_EUlS12_E_NS1_11comp_targetILNS1_3genE0ELNS1_11target_archE4294967295ELNS1_3gpuE0ELNS1_3repE0EEENS1_48merge_mergepath_partition_config_static_selectorELNS0_4arch9wavefront6targetE0EEEvSO_.num_agpr, 0
	.set _ZN7rocprim17ROCPRIM_400000_NS6detail17trampoline_kernelINS0_14default_configENS1_38merge_sort_block_merge_config_selectorIlNS0_10empty_typeEEEZZNS1_27merge_sort_block_merge_implIS3_PlPS5_mZN2at6native12_GLOBAL__N_124unique_dim_cuda_templateIN3c104HalfEEESt5tupleIJNSA_6TensorESH_SH_EERKSH_lbbbEUlllE_EE10hipError_tT0_T1_T2_jT3_P12ihipStream_tbPNSt15iterator_traitsISN_E10value_typeEPNST_ISO_E10value_typeEPSP_NS1_7vsmem_tEENKUlT_SN_SO_SP_E_clIS8_S8_S9_S9_EESM_S12_SN_SO_SP_EUlS12_E_NS1_11comp_targetILNS1_3genE0ELNS1_11target_archE4294967295ELNS1_3gpuE0ELNS1_3repE0EEENS1_48merge_mergepath_partition_config_static_selectorELNS0_4arch9wavefront6targetE0EEEvSO_.numbered_sgpr, 21
	.set _ZN7rocprim17ROCPRIM_400000_NS6detail17trampoline_kernelINS0_14default_configENS1_38merge_sort_block_merge_config_selectorIlNS0_10empty_typeEEEZZNS1_27merge_sort_block_merge_implIS3_PlPS5_mZN2at6native12_GLOBAL__N_124unique_dim_cuda_templateIN3c104HalfEEESt5tupleIJNSA_6TensorESH_SH_EERKSH_lbbbEUlllE_EE10hipError_tT0_T1_T2_jT3_P12ihipStream_tbPNSt15iterator_traitsISN_E10value_typeEPNST_ISO_E10value_typeEPSP_NS1_7vsmem_tEENKUlT_SN_SO_SP_E_clIS8_S8_S9_S9_EESM_S12_SN_SO_SP_EUlS12_E_NS1_11comp_targetILNS1_3genE0ELNS1_11target_archE4294967295ELNS1_3gpuE0ELNS1_3repE0EEENS1_48merge_mergepath_partition_config_static_selectorELNS0_4arch9wavefront6targetE0EEEvSO_.num_named_barrier, 0
	.set _ZN7rocprim17ROCPRIM_400000_NS6detail17trampoline_kernelINS0_14default_configENS1_38merge_sort_block_merge_config_selectorIlNS0_10empty_typeEEEZZNS1_27merge_sort_block_merge_implIS3_PlPS5_mZN2at6native12_GLOBAL__N_124unique_dim_cuda_templateIN3c104HalfEEESt5tupleIJNSA_6TensorESH_SH_EERKSH_lbbbEUlllE_EE10hipError_tT0_T1_T2_jT3_P12ihipStream_tbPNSt15iterator_traitsISN_E10value_typeEPNST_ISO_E10value_typeEPSP_NS1_7vsmem_tEENKUlT_SN_SO_SP_E_clIS8_S8_S9_S9_EESM_S12_SN_SO_SP_EUlS12_E_NS1_11comp_targetILNS1_3genE0ELNS1_11target_archE4294967295ELNS1_3gpuE0ELNS1_3repE0EEENS1_48merge_mergepath_partition_config_static_selectorELNS0_4arch9wavefront6targetE0EEEvSO_.private_seg_size, 0
	.set _ZN7rocprim17ROCPRIM_400000_NS6detail17trampoline_kernelINS0_14default_configENS1_38merge_sort_block_merge_config_selectorIlNS0_10empty_typeEEEZZNS1_27merge_sort_block_merge_implIS3_PlPS5_mZN2at6native12_GLOBAL__N_124unique_dim_cuda_templateIN3c104HalfEEESt5tupleIJNSA_6TensorESH_SH_EERKSH_lbbbEUlllE_EE10hipError_tT0_T1_T2_jT3_P12ihipStream_tbPNSt15iterator_traitsISN_E10value_typeEPNST_ISO_E10value_typeEPSP_NS1_7vsmem_tEENKUlT_SN_SO_SP_E_clIS8_S8_S9_S9_EESM_S12_SN_SO_SP_EUlS12_E_NS1_11comp_targetILNS1_3genE0ELNS1_11target_archE4294967295ELNS1_3gpuE0ELNS1_3repE0EEENS1_48merge_mergepath_partition_config_static_selectorELNS0_4arch9wavefront6targetE0EEEvSO_.uses_vcc, 1
	.set _ZN7rocprim17ROCPRIM_400000_NS6detail17trampoline_kernelINS0_14default_configENS1_38merge_sort_block_merge_config_selectorIlNS0_10empty_typeEEEZZNS1_27merge_sort_block_merge_implIS3_PlPS5_mZN2at6native12_GLOBAL__N_124unique_dim_cuda_templateIN3c104HalfEEESt5tupleIJNSA_6TensorESH_SH_EERKSH_lbbbEUlllE_EE10hipError_tT0_T1_T2_jT3_P12ihipStream_tbPNSt15iterator_traitsISN_E10value_typeEPNST_ISO_E10value_typeEPSP_NS1_7vsmem_tEENKUlT_SN_SO_SP_E_clIS8_S8_S9_S9_EESM_S12_SN_SO_SP_EUlS12_E_NS1_11comp_targetILNS1_3genE0ELNS1_11target_archE4294967295ELNS1_3gpuE0ELNS1_3repE0EEENS1_48merge_mergepath_partition_config_static_selectorELNS0_4arch9wavefront6targetE0EEEvSO_.uses_flat_scratch, 0
	.set _ZN7rocprim17ROCPRIM_400000_NS6detail17trampoline_kernelINS0_14default_configENS1_38merge_sort_block_merge_config_selectorIlNS0_10empty_typeEEEZZNS1_27merge_sort_block_merge_implIS3_PlPS5_mZN2at6native12_GLOBAL__N_124unique_dim_cuda_templateIN3c104HalfEEESt5tupleIJNSA_6TensorESH_SH_EERKSH_lbbbEUlllE_EE10hipError_tT0_T1_T2_jT3_P12ihipStream_tbPNSt15iterator_traitsISN_E10value_typeEPNST_ISO_E10value_typeEPSP_NS1_7vsmem_tEENKUlT_SN_SO_SP_E_clIS8_S8_S9_S9_EESM_S12_SN_SO_SP_EUlS12_E_NS1_11comp_targetILNS1_3genE0ELNS1_11target_archE4294967295ELNS1_3gpuE0ELNS1_3repE0EEENS1_48merge_mergepath_partition_config_static_selectorELNS0_4arch9wavefront6targetE0EEEvSO_.has_dyn_sized_stack, 0
	.set _ZN7rocprim17ROCPRIM_400000_NS6detail17trampoline_kernelINS0_14default_configENS1_38merge_sort_block_merge_config_selectorIlNS0_10empty_typeEEEZZNS1_27merge_sort_block_merge_implIS3_PlPS5_mZN2at6native12_GLOBAL__N_124unique_dim_cuda_templateIN3c104HalfEEESt5tupleIJNSA_6TensorESH_SH_EERKSH_lbbbEUlllE_EE10hipError_tT0_T1_T2_jT3_P12ihipStream_tbPNSt15iterator_traitsISN_E10value_typeEPNST_ISO_E10value_typeEPSP_NS1_7vsmem_tEENKUlT_SN_SO_SP_E_clIS8_S8_S9_S9_EESM_S12_SN_SO_SP_EUlS12_E_NS1_11comp_targetILNS1_3genE0ELNS1_11target_archE4294967295ELNS1_3gpuE0ELNS1_3repE0EEENS1_48merge_mergepath_partition_config_static_selectorELNS0_4arch9wavefront6targetE0EEEvSO_.has_recursion, 0
	.set _ZN7rocprim17ROCPRIM_400000_NS6detail17trampoline_kernelINS0_14default_configENS1_38merge_sort_block_merge_config_selectorIlNS0_10empty_typeEEEZZNS1_27merge_sort_block_merge_implIS3_PlPS5_mZN2at6native12_GLOBAL__N_124unique_dim_cuda_templateIN3c104HalfEEESt5tupleIJNSA_6TensorESH_SH_EERKSH_lbbbEUlllE_EE10hipError_tT0_T1_T2_jT3_P12ihipStream_tbPNSt15iterator_traitsISN_E10value_typeEPNST_ISO_E10value_typeEPSP_NS1_7vsmem_tEENKUlT_SN_SO_SP_E_clIS8_S8_S9_S9_EESM_S12_SN_SO_SP_EUlS12_E_NS1_11comp_targetILNS1_3genE0ELNS1_11target_archE4294967295ELNS1_3gpuE0ELNS1_3repE0EEENS1_48merge_mergepath_partition_config_static_selectorELNS0_4arch9wavefront6targetE0EEEvSO_.has_indirect_call, 0
	.section	.AMDGPU.csdata,"",@progbits
; Kernel info:
; codeLenInByte = 728
; TotalNumSgprs: 23
; NumVgprs: 22
; ScratchSize: 0
; MemoryBound: 0
; FloatMode: 240
; IeeeMode: 1
; LDSByteSize: 0 bytes/workgroup (compile time only)
; SGPRBlocks: 0
; VGPRBlocks: 1
; NumSGPRsForWavesPerEU: 23
; NumVGPRsForWavesPerEU: 22
; NamedBarCnt: 0
; Occupancy: 16
; WaveLimiterHint : 0
; COMPUTE_PGM_RSRC2:SCRATCH_EN: 0
; COMPUTE_PGM_RSRC2:USER_SGPR: 2
; COMPUTE_PGM_RSRC2:TRAP_HANDLER: 0
; COMPUTE_PGM_RSRC2:TGID_X_EN: 1
; COMPUTE_PGM_RSRC2:TGID_Y_EN: 0
; COMPUTE_PGM_RSRC2:TGID_Z_EN: 0
; COMPUTE_PGM_RSRC2:TIDIG_COMP_CNT: 0
	.section	.text._ZN7rocprim17ROCPRIM_400000_NS6detail17trampoline_kernelINS0_14default_configENS1_38merge_sort_block_merge_config_selectorIlNS0_10empty_typeEEEZZNS1_27merge_sort_block_merge_implIS3_PlPS5_mZN2at6native12_GLOBAL__N_124unique_dim_cuda_templateIN3c104HalfEEESt5tupleIJNSA_6TensorESH_SH_EERKSH_lbbbEUlllE_EE10hipError_tT0_T1_T2_jT3_P12ihipStream_tbPNSt15iterator_traitsISN_E10value_typeEPNST_ISO_E10value_typeEPSP_NS1_7vsmem_tEENKUlT_SN_SO_SP_E_clIS8_S8_S9_S9_EESM_S12_SN_SO_SP_EUlS12_E_NS1_11comp_targetILNS1_3genE10ELNS1_11target_archE1201ELNS1_3gpuE5ELNS1_3repE0EEENS1_48merge_mergepath_partition_config_static_selectorELNS0_4arch9wavefront6targetE0EEEvSO_,"axG",@progbits,_ZN7rocprim17ROCPRIM_400000_NS6detail17trampoline_kernelINS0_14default_configENS1_38merge_sort_block_merge_config_selectorIlNS0_10empty_typeEEEZZNS1_27merge_sort_block_merge_implIS3_PlPS5_mZN2at6native12_GLOBAL__N_124unique_dim_cuda_templateIN3c104HalfEEESt5tupleIJNSA_6TensorESH_SH_EERKSH_lbbbEUlllE_EE10hipError_tT0_T1_T2_jT3_P12ihipStream_tbPNSt15iterator_traitsISN_E10value_typeEPNST_ISO_E10value_typeEPSP_NS1_7vsmem_tEENKUlT_SN_SO_SP_E_clIS8_S8_S9_S9_EESM_S12_SN_SO_SP_EUlS12_E_NS1_11comp_targetILNS1_3genE10ELNS1_11target_archE1201ELNS1_3gpuE5ELNS1_3repE0EEENS1_48merge_mergepath_partition_config_static_selectorELNS0_4arch9wavefront6targetE0EEEvSO_,comdat
	.globl	_ZN7rocprim17ROCPRIM_400000_NS6detail17trampoline_kernelINS0_14default_configENS1_38merge_sort_block_merge_config_selectorIlNS0_10empty_typeEEEZZNS1_27merge_sort_block_merge_implIS3_PlPS5_mZN2at6native12_GLOBAL__N_124unique_dim_cuda_templateIN3c104HalfEEESt5tupleIJNSA_6TensorESH_SH_EERKSH_lbbbEUlllE_EE10hipError_tT0_T1_T2_jT3_P12ihipStream_tbPNSt15iterator_traitsISN_E10value_typeEPNST_ISO_E10value_typeEPSP_NS1_7vsmem_tEENKUlT_SN_SO_SP_E_clIS8_S8_S9_S9_EESM_S12_SN_SO_SP_EUlS12_E_NS1_11comp_targetILNS1_3genE10ELNS1_11target_archE1201ELNS1_3gpuE5ELNS1_3repE0EEENS1_48merge_mergepath_partition_config_static_selectorELNS0_4arch9wavefront6targetE0EEEvSO_ ; -- Begin function _ZN7rocprim17ROCPRIM_400000_NS6detail17trampoline_kernelINS0_14default_configENS1_38merge_sort_block_merge_config_selectorIlNS0_10empty_typeEEEZZNS1_27merge_sort_block_merge_implIS3_PlPS5_mZN2at6native12_GLOBAL__N_124unique_dim_cuda_templateIN3c104HalfEEESt5tupleIJNSA_6TensorESH_SH_EERKSH_lbbbEUlllE_EE10hipError_tT0_T1_T2_jT3_P12ihipStream_tbPNSt15iterator_traitsISN_E10value_typeEPNST_ISO_E10value_typeEPSP_NS1_7vsmem_tEENKUlT_SN_SO_SP_E_clIS8_S8_S9_S9_EESM_S12_SN_SO_SP_EUlS12_E_NS1_11comp_targetILNS1_3genE10ELNS1_11target_archE1201ELNS1_3gpuE5ELNS1_3repE0EEENS1_48merge_mergepath_partition_config_static_selectorELNS0_4arch9wavefront6targetE0EEEvSO_
	.p2align	8
	.type	_ZN7rocprim17ROCPRIM_400000_NS6detail17trampoline_kernelINS0_14default_configENS1_38merge_sort_block_merge_config_selectorIlNS0_10empty_typeEEEZZNS1_27merge_sort_block_merge_implIS3_PlPS5_mZN2at6native12_GLOBAL__N_124unique_dim_cuda_templateIN3c104HalfEEESt5tupleIJNSA_6TensorESH_SH_EERKSH_lbbbEUlllE_EE10hipError_tT0_T1_T2_jT3_P12ihipStream_tbPNSt15iterator_traitsISN_E10value_typeEPNST_ISO_E10value_typeEPSP_NS1_7vsmem_tEENKUlT_SN_SO_SP_E_clIS8_S8_S9_S9_EESM_S12_SN_SO_SP_EUlS12_E_NS1_11comp_targetILNS1_3genE10ELNS1_11target_archE1201ELNS1_3gpuE5ELNS1_3repE0EEENS1_48merge_mergepath_partition_config_static_selectorELNS0_4arch9wavefront6targetE0EEEvSO_,@function
_ZN7rocprim17ROCPRIM_400000_NS6detail17trampoline_kernelINS0_14default_configENS1_38merge_sort_block_merge_config_selectorIlNS0_10empty_typeEEEZZNS1_27merge_sort_block_merge_implIS3_PlPS5_mZN2at6native12_GLOBAL__N_124unique_dim_cuda_templateIN3c104HalfEEESt5tupleIJNSA_6TensorESH_SH_EERKSH_lbbbEUlllE_EE10hipError_tT0_T1_T2_jT3_P12ihipStream_tbPNSt15iterator_traitsISN_E10value_typeEPNST_ISO_E10value_typeEPSP_NS1_7vsmem_tEENKUlT_SN_SO_SP_E_clIS8_S8_S9_S9_EESM_S12_SN_SO_SP_EUlS12_E_NS1_11comp_targetILNS1_3genE10ELNS1_11target_archE1201ELNS1_3gpuE5ELNS1_3repE0EEENS1_48merge_mergepath_partition_config_static_selectorELNS0_4arch9wavefront6targetE0EEEvSO_: ; @_ZN7rocprim17ROCPRIM_400000_NS6detail17trampoline_kernelINS0_14default_configENS1_38merge_sort_block_merge_config_selectorIlNS0_10empty_typeEEEZZNS1_27merge_sort_block_merge_implIS3_PlPS5_mZN2at6native12_GLOBAL__N_124unique_dim_cuda_templateIN3c104HalfEEESt5tupleIJNSA_6TensorESH_SH_EERKSH_lbbbEUlllE_EE10hipError_tT0_T1_T2_jT3_P12ihipStream_tbPNSt15iterator_traitsISN_E10value_typeEPNST_ISO_E10value_typeEPSP_NS1_7vsmem_tEENKUlT_SN_SO_SP_E_clIS8_S8_S9_S9_EESM_S12_SN_SO_SP_EUlS12_E_NS1_11comp_targetILNS1_3genE10ELNS1_11target_archE1201ELNS1_3gpuE5ELNS1_3repE0EEENS1_48merge_mergepath_partition_config_static_selectorELNS0_4arch9wavefront6targetE0EEEvSO_
; %bb.0:
	.section	.rodata,"a",@progbits
	.p2align	6, 0x0
	.amdhsa_kernel _ZN7rocprim17ROCPRIM_400000_NS6detail17trampoline_kernelINS0_14default_configENS1_38merge_sort_block_merge_config_selectorIlNS0_10empty_typeEEEZZNS1_27merge_sort_block_merge_implIS3_PlPS5_mZN2at6native12_GLOBAL__N_124unique_dim_cuda_templateIN3c104HalfEEESt5tupleIJNSA_6TensorESH_SH_EERKSH_lbbbEUlllE_EE10hipError_tT0_T1_T2_jT3_P12ihipStream_tbPNSt15iterator_traitsISN_E10value_typeEPNST_ISO_E10value_typeEPSP_NS1_7vsmem_tEENKUlT_SN_SO_SP_E_clIS8_S8_S9_S9_EESM_S12_SN_SO_SP_EUlS12_E_NS1_11comp_targetILNS1_3genE10ELNS1_11target_archE1201ELNS1_3gpuE5ELNS1_3repE0EEENS1_48merge_mergepath_partition_config_static_selectorELNS0_4arch9wavefront6targetE0EEEvSO_
		.amdhsa_group_segment_fixed_size 0
		.amdhsa_private_segment_fixed_size 0
		.amdhsa_kernarg_size 56
		.amdhsa_user_sgpr_count 2
		.amdhsa_user_sgpr_dispatch_ptr 0
		.amdhsa_user_sgpr_queue_ptr 0
		.amdhsa_user_sgpr_kernarg_segment_ptr 1
		.amdhsa_user_sgpr_dispatch_id 0
		.amdhsa_user_sgpr_kernarg_preload_length 0
		.amdhsa_user_sgpr_kernarg_preload_offset 0
		.amdhsa_user_sgpr_private_segment_size 0
		.amdhsa_wavefront_size32 1
		.amdhsa_uses_dynamic_stack 0
		.amdhsa_enable_private_segment 0
		.amdhsa_system_sgpr_workgroup_id_x 1
		.amdhsa_system_sgpr_workgroup_id_y 0
		.amdhsa_system_sgpr_workgroup_id_z 0
		.amdhsa_system_sgpr_workgroup_info 0
		.amdhsa_system_vgpr_workitem_id 0
		.amdhsa_next_free_vgpr 1
		.amdhsa_next_free_sgpr 1
		.amdhsa_named_barrier_count 0
		.amdhsa_reserve_vcc 0
		.amdhsa_float_round_mode_32 0
		.amdhsa_float_round_mode_16_64 0
		.amdhsa_float_denorm_mode_32 3
		.amdhsa_float_denorm_mode_16_64 3
		.amdhsa_fp16_overflow 0
		.amdhsa_memory_ordered 1
		.amdhsa_forward_progress 1
		.amdhsa_inst_pref_size 0
		.amdhsa_round_robin_scheduling 0
		.amdhsa_exception_fp_ieee_invalid_op 0
		.amdhsa_exception_fp_denorm_src 0
		.amdhsa_exception_fp_ieee_div_zero 0
		.amdhsa_exception_fp_ieee_overflow 0
		.amdhsa_exception_fp_ieee_underflow 0
		.amdhsa_exception_fp_ieee_inexact 0
		.amdhsa_exception_int_div_zero 0
	.end_amdhsa_kernel
	.section	.text._ZN7rocprim17ROCPRIM_400000_NS6detail17trampoline_kernelINS0_14default_configENS1_38merge_sort_block_merge_config_selectorIlNS0_10empty_typeEEEZZNS1_27merge_sort_block_merge_implIS3_PlPS5_mZN2at6native12_GLOBAL__N_124unique_dim_cuda_templateIN3c104HalfEEESt5tupleIJNSA_6TensorESH_SH_EERKSH_lbbbEUlllE_EE10hipError_tT0_T1_T2_jT3_P12ihipStream_tbPNSt15iterator_traitsISN_E10value_typeEPNST_ISO_E10value_typeEPSP_NS1_7vsmem_tEENKUlT_SN_SO_SP_E_clIS8_S8_S9_S9_EESM_S12_SN_SO_SP_EUlS12_E_NS1_11comp_targetILNS1_3genE10ELNS1_11target_archE1201ELNS1_3gpuE5ELNS1_3repE0EEENS1_48merge_mergepath_partition_config_static_selectorELNS0_4arch9wavefront6targetE0EEEvSO_,"axG",@progbits,_ZN7rocprim17ROCPRIM_400000_NS6detail17trampoline_kernelINS0_14default_configENS1_38merge_sort_block_merge_config_selectorIlNS0_10empty_typeEEEZZNS1_27merge_sort_block_merge_implIS3_PlPS5_mZN2at6native12_GLOBAL__N_124unique_dim_cuda_templateIN3c104HalfEEESt5tupleIJNSA_6TensorESH_SH_EERKSH_lbbbEUlllE_EE10hipError_tT0_T1_T2_jT3_P12ihipStream_tbPNSt15iterator_traitsISN_E10value_typeEPNST_ISO_E10value_typeEPSP_NS1_7vsmem_tEENKUlT_SN_SO_SP_E_clIS8_S8_S9_S9_EESM_S12_SN_SO_SP_EUlS12_E_NS1_11comp_targetILNS1_3genE10ELNS1_11target_archE1201ELNS1_3gpuE5ELNS1_3repE0EEENS1_48merge_mergepath_partition_config_static_selectorELNS0_4arch9wavefront6targetE0EEEvSO_,comdat
.Lfunc_end1249:
	.size	_ZN7rocprim17ROCPRIM_400000_NS6detail17trampoline_kernelINS0_14default_configENS1_38merge_sort_block_merge_config_selectorIlNS0_10empty_typeEEEZZNS1_27merge_sort_block_merge_implIS3_PlPS5_mZN2at6native12_GLOBAL__N_124unique_dim_cuda_templateIN3c104HalfEEESt5tupleIJNSA_6TensorESH_SH_EERKSH_lbbbEUlllE_EE10hipError_tT0_T1_T2_jT3_P12ihipStream_tbPNSt15iterator_traitsISN_E10value_typeEPNST_ISO_E10value_typeEPSP_NS1_7vsmem_tEENKUlT_SN_SO_SP_E_clIS8_S8_S9_S9_EESM_S12_SN_SO_SP_EUlS12_E_NS1_11comp_targetILNS1_3genE10ELNS1_11target_archE1201ELNS1_3gpuE5ELNS1_3repE0EEENS1_48merge_mergepath_partition_config_static_selectorELNS0_4arch9wavefront6targetE0EEEvSO_, .Lfunc_end1249-_ZN7rocprim17ROCPRIM_400000_NS6detail17trampoline_kernelINS0_14default_configENS1_38merge_sort_block_merge_config_selectorIlNS0_10empty_typeEEEZZNS1_27merge_sort_block_merge_implIS3_PlPS5_mZN2at6native12_GLOBAL__N_124unique_dim_cuda_templateIN3c104HalfEEESt5tupleIJNSA_6TensorESH_SH_EERKSH_lbbbEUlllE_EE10hipError_tT0_T1_T2_jT3_P12ihipStream_tbPNSt15iterator_traitsISN_E10value_typeEPNST_ISO_E10value_typeEPSP_NS1_7vsmem_tEENKUlT_SN_SO_SP_E_clIS8_S8_S9_S9_EESM_S12_SN_SO_SP_EUlS12_E_NS1_11comp_targetILNS1_3genE10ELNS1_11target_archE1201ELNS1_3gpuE5ELNS1_3repE0EEENS1_48merge_mergepath_partition_config_static_selectorELNS0_4arch9wavefront6targetE0EEEvSO_
                                        ; -- End function
	.set _ZN7rocprim17ROCPRIM_400000_NS6detail17trampoline_kernelINS0_14default_configENS1_38merge_sort_block_merge_config_selectorIlNS0_10empty_typeEEEZZNS1_27merge_sort_block_merge_implIS3_PlPS5_mZN2at6native12_GLOBAL__N_124unique_dim_cuda_templateIN3c104HalfEEESt5tupleIJNSA_6TensorESH_SH_EERKSH_lbbbEUlllE_EE10hipError_tT0_T1_T2_jT3_P12ihipStream_tbPNSt15iterator_traitsISN_E10value_typeEPNST_ISO_E10value_typeEPSP_NS1_7vsmem_tEENKUlT_SN_SO_SP_E_clIS8_S8_S9_S9_EESM_S12_SN_SO_SP_EUlS12_E_NS1_11comp_targetILNS1_3genE10ELNS1_11target_archE1201ELNS1_3gpuE5ELNS1_3repE0EEENS1_48merge_mergepath_partition_config_static_selectorELNS0_4arch9wavefront6targetE0EEEvSO_.num_vgpr, 0
	.set _ZN7rocprim17ROCPRIM_400000_NS6detail17trampoline_kernelINS0_14default_configENS1_38merge_sort_block_merge_config_selectorIlNS0_10empty_typeEEEZZNS1_27merge_sort_block_merge_implIS3_PlPS5_mZN2at6native12_GLOBAL__N_124unique_dim_cuda_templateIN3c104HalfEEESt5tupleIJNSA_6TensorESH_SH_EERKSH_lbbbEUlllE_EE10hipError_tT0_T1_T2_jT3_P12ihipStream_tbPNSt15iterator_traitsISN_E10value_typeEPNST_ISO_E10value_typeEPSP_NS1_7vsmem_tEENKUlT_SN_SO_SP_E_clIS8_S8_S9_S9_EESM_S12_SN_SO_SP_EUlS12_E_NS1_11comp_targetILNS1_3genE10ELNS1_11target_archE1201ELNS1_3gpuE5ELNS1_3repE0EEENS1_48merge_mergepath_partition_config_static_selectorELNS0_4arch9wavefront6targetE0EEEvSO_.num_agpr, 0
	.set _ZN7rocprim17ROCPRIM_400000_NS6detail17trampoline_kernelINS0_14default_configENS1_38merge_sort_block_merge_config_selectorIlNS0_10empty_typeEEEZZNS1_27merge_sort_block_merge_implIS3_PlPS5_mZN2at6native12_GLOBAL__N_124unique_dim_cuda_templateIN3c104HalfEEESt5tupleIJNSA_6TensorESH_SH_EERKSH_lbbbEUlllE_EE10hipError_tT0_T1_T2_jT3_P12ihipStream_tbPNSt15iterator_traitsISN_E10value_typeEPNST_ISO_E10value_typeEPSP_NS1_7vsmem_tEENKUlT_SN_SO_SP_E_clIS8_S8_S9_S9_EESM_S12_SN_SO_SP_EUlS12_E_NS1_11comp_targetILNS1_3genE10ELNS1_11target_archE1201ELNS1_3gpuE5ELNS1_3repE0EEENS1_48merge_mergepath_partition_config_static_selectorELNS0_4arch9wavefront6targetE0EEEvSO_.numbered_sgpr, 0
	.set _ZN7rocprim17ROCPRIM_400000_NS6detail17trampoline_kernelINS0_14default_configENS1_38merge_sort_block_merge_config_selectorIlNS0_10empty_typeEEEZZNS1_27merge_sort_block_merge_implIS3_PlPS5_mZN2at6native12_GLOBAL__N_124unique_dim_cuda_templateIN3c104HalfEEESt5tupleIJNSA_6TensorESH_SH_EERKSH_lbbbEUlllE_EE10hipError_tT0_T1_T2_jT3_P12ihipStream_tbPNSt15iterator_traitsISN_E10value_typeEPNST_ISO_E10value_typeEPSP_NS1_7vsmem_tEENKUlT_SN_SO_SP_E_clIS8_S8_S9_S9_EESM_S12_SN_SO_SP_EUlS12_E_NS1_11comp_targetILNS1_3genE10ELNS1_11target_archE1201ELNS1_3gpuE5ELNS1_3repE0EEENS1_48merge_mergepath_partition_config_static_selectorELNS0_4arch9wavefront6targetE0EEEvSO_.num_named_barrier, 0
	.set _ZN7rocprim17ROCPRIM_400000_NS6detail17trampoline_kernelINS0_14default_configENS1_38merge_sort_block_merge_config_selectorIlNS0_10empty_typeEEEZZNS1_27merge_sort_block_merge_implIS3_PlPS5_mZN2at6native12_GLOBAL__N_124unique_dim_cuda_templateIN3c104HalfEEESt5tupleIJNSA_6TensorESH_SH_EERKSH_lbbbEUlllE_EE10hipError_tT0_T1_T2_jT3_P12ihipStream_tbPNSt15iterator_traitsISN_E10value_typeEPNST_ISO_E10value_typeEPSP_NS1_7vsmem_tEENKUlT_SN_SO_SP_E_clIS8_S8_S9_S9_EESM_S12_SN_SO_SP_EUlS12_E_NS1_11comp_targetILNS1_3genE10ELNS1_11target_archE1201ELNS1_3gpuE5ELNS1_3repE0EEENS1_48merge_mergepath_partition_config_static_selectorELNS0_4arch9wavefront6targetE0EEEvSO_.private_seg_size, 0
	.set _ZN7rocprim17ROCPRIM_400000_NS6detail17trampoline_kernelINS0_14default_configENS1_38merge_sort_block_merge_config_selectorIlNS0_10empty_typeEEEZZNS1_27merge_sort_block_merge_implIS3_PlPS5_mZN2at6native12_GLOBAL__N_124unique_dim_cuda_templateIN3c104HalfEEESt5tupleIJNSA_6TensorESH_SH_EERKSH_lbbbEUlllE_EE10hipError_tT0_T1_T2_jT3_P12ihipStream_tbPNSt15iterator_traitsISN_E10value_typeEPNST_ISO_E10value_typeEPSP_NS1_7vsmem_tEENKUlT_SN_SO_SP_E_clIS8_S8_S9_S9_EESM_S12_SN_SO_SP_EUlS12_E_NS1_11comp_targetILNS1_3genE10ELNS1_11target_archE1201ELNS1_3gpuE5ELNS1_3repE0EEENS1_48merge_mergepath_partition_config_static_selectorELNS0_4arch9wavefront6targetE0EEEvSO_.uses_vcc, 0
	.set _ZN7rocprim17ROCPRIM_400000_NS6detail17trampoline_kernelINS0_14default_configENS1_38merge_sort_block_merge_config_selectorIlNS0_10empty_typeEEEZZNS1_27merge_sort_block_merge_implIS3_PlPS5_mZN2at6native12_GLOBAL__N_124unique_dim_cuda_templateIN3c104HalfEEESt5tupleIJNSA_6TensorESH_SH_EERKSH_lbbbEUlllE_EE10hipError_tT0_T1_T2_jT3_P12ihipStream_tbPNSt15iterator_traitsISN_E10value_typeEPNST_ISO_E10value_typeEPSP_NS1_7vsmem_tEENKUlT_SN_SO_SP_E_clIS8_S8_S9_S9_EESM_S12_SN_SO_SP_EUlS12_E_NS1_11comp_targetILNS1_3genE10ELNS1_11target_archE1201ELNS1_3gpuE5ELNS1_3repE0EEENS1_48merge_mergepath_partition_config_static_selectorELNS0_4arch9wavefront6targetE0EEEvSO_.uses_flat_scratch, 0
	.set _ZN7rocprim17ROCPRIM_400000_NS6detail17trampoline_kernelINS0_14default_configENS1_38merge_sort_block_merge_config_selectorIlNS0_10empty_typeEEEZZNS1_27merge_sort_block_merge_implIS3_PlPS5_mZN2at6native12_GLOBAL__N_124unique_dim_cuda_templateIN3c104HalfEEESt5tupleIJNSA_6TensorESH_SH_EERKSH_lbbbEUlllE_EE10hipError_tT0_T1_T2_jT3_P12ihipStream_tbPNSt15iterator_traitsISN_E10value_typeEPNST_ISO_E10value_typeEPSP_NS1_7vsmem_tEENKUlT_SN_SO_SP_E_clIS8_S8_S9_S9_EESM_S12_SN_SO_SP_EUlS12_E_NS1_11comp_targetILNS1_3genE10ELNS1_11target_archE1201ELNS1_3gpuE5ELNS1_3repE0EEENS1_48merge_mergepath_partition_config_static_selectorELNS0_4arch9wavefront6targetE0EEEvSO_.has_dyn_sized_stack, 0
	.set _ZN7rocprim17ROCPRIM_400000_NS6detail17trampoline_kernelINS0_14default_configENS1_38merge_sort_block_merge_config_selectorIlNS0_10empty_typeEEEZZNS1_27merge_sort_block_merge_implIS3_PlPS5_mZN2at6native12_GLOBAL__N_124unique_dim_cuda_templateIN3c104HalfEEESt5tupleIJNSA_6TensorESH_SH_EERKSH_lbbbEUlllE_EE10hipError_tT0_T1_T2_jT3_P12ihipStream_tbPNSt15iterator_traitsISN_E10value_typeEPNST_ISO_E10value_typeEPSP_NS1_7vsmem_tEENKUlT_SN_SO_SP_E_clIS8_S8_S9_S9_EESM_S12_SN_SO_SP_EUlS12_E_NS1_11comp_targetILNS1_3genE10ELNS1_11target_archE1201ELNS1_3gpuE5ELNS1_3repE0EEENS1_48merge_mergepath_partition_config_static_selectorELNS0_4arch9wavefront6targetE0EEEvSO_.has_recursion, 0
	.set _ZN7rocprim17ROCPRIM_400000_NS6detail17trampoline_kernelINS0_14default_configENS1_38merge_sort_block_merge_config_selectorIlNS0_10empty_typeEEEZZNS1_27merge_sort_block_merge_implIS3_PlPS5_mZN2at6native12_GLOBAL__N_124unique_dim_cuda_templateIN3c104HalfEEESt5tupleIJNSA_6TensorESH_SH_EERKSH_lbbbEUlllE_EE10hipError_tT0_T1_T2_jT3_P12ihipStream_tbPNSt15iterator_traitsISN_E10value_typeEPNST_ISO_E10value_typeEPSP_NS1_7vsmem_tEENKUlT_SN_SO_SP_E_clIS8_S8_S9_S9_EESM_S12_SN_SO_SP_EUlS12_E_NS1_11comp_targetILNS1_3genE10ELNS1_11target_archE1201ELNS1_3gpuE5ELNS1_3repE0EEENS1_48merge_mergepath_partition_config_static_selectorELNS0_4arch9wavefront6targetE0EEEvSO_.has_indirect_call, 0
	.section	.AMDGPU.csdata,"",@progbits
; Kernel info:
; codeLenInByte = 0
; TotalNumSgprs: 0
; NumVgprs: 0
; ScratchSize: 0
; MemoryBound: 0
; FloatMode: 240
; IeeeMode: 1
; LDSByteSize: 0 bytes/workgroup (compile time only)
; SGPRBlocks: 0
; VGPRBlocks: 0
; NumSGPRsForWavesPerEU: 1
; NumVGPRsForWavesPerEU: 1
; NamedBarCnt: 0
; Occupancy: 16
; WaveLimiterHint : 0
; COMPUTE_PGM_RSRC2:SCRATCH_EN: 0
; COMPUTE_PGM_RSRC2:USER_SGPR: 2
; COMPUTE_PGM_RSRC2:TRAP_HANDLER: 0
; COMPUTE_PGM_RSRC2:TGID_X_EN: 1
; COMPUTE_PGM_RSRC2:TGID_Y_EN: 0
; COMPUTE_PGM_RSRC2:TGID_Z_EN: 0
; COMPUTE_PGM_RSRC2:TIDIG_COMP_CNT: 0
	.section	.text._ZN7rocprim17ROCPRIM_400000_NS6detail17trampoline_kernelINS0_14default_configENS1_38merge_sort_block_merge_config_selectorIlNS0_10empty_typeEEEZZNS1_27merge_sort_block_merge_implIS3_PlPS5_mZN2at6native12_GLOBAL__N_124unique_dim_cuda_templateIN3c104HalfEEESt5tupleIJNSA_6TensorESH_SH_EERKSH_lbbbEUlllE_EE10hipError_tT0_T1_T2_jT3_P12ihipStream_tbPNSt15iterator_traitsISN_E10value_typeEPNST_ISO_E10value_typeEPSP_NS1_7vsmem_tEENKUlT_SN_SO_SP_E_clIS8_S8_S9_S9_EESM_S12_SN_SO_SP_EUlS12_E_NS1_11comp_targetILNS1_3genE5ELNS1_11target_archE942ELNS1_3gpuE9ELNS1_3repE0EEENS1_48merge_mergepath_partition_config_static_selectorELNS0_4arch9wavefront6targetE0EEEvSO_,"axG",@progbits,_ZN7rocprim17ROCPRIM_400000_NS6detail17trampoline_kernelINS0_14default_configENS1_38merge_sort_block_merge_config_selectorIlNS0_10empty_typeEEEZZNS1_27merge_sort_block_merge_implIS3_PlPS5_mZN2at6native12_GLOBAL__N_124unique_dim_cuda_templateIN3c104HalfEEESt5tupleIJNSA_6TensorESH_SH_EERKSH_lbbbEUlllE_EE10hipError_tT0_T1_T2_jT3_P12ihipStream_tbPNSt15iterator_traitsISN_E10value_typeEPNST_ISO_E10value_typeEPSP_NS1_7vsmem_tEENKUlT_SN_SO_SP_E_clIS8_S8_S9_S9_EESM_S12_SN_SO_SP_EUlS12_E_NS1_11comp_targetILNS1_3genE5ELNS1_11target_archE942ELNS1_3gpuE9ELNS1_3repE0EEENS1_48merge_mergepath_partition_config_static_selectorELNS0_4arch9wavefront6targetE0EEEvSO_,comdat
	.globl	_ZN7rocprim17ROCPRIM_400000_NS6detail17trampoline_kernelINS0_14default_configENS1_38merge_sort_block_merge_config_selectorIlNS0_10empty_typeEEEZZNS1_27merge_sort_block_merge_implIS3_PlPS5_mZN2at6native12_GLOBAL__N_124unique_dim_cuda_templateIN3c104HalfEEESt5tupleIJNSA_6TensorESH_SH_EERKSH_lbbbEUlllE_EE10hipError_tT0_T1_T2_jT3_P12ihipStream_tbPNSt15iterator_traitsISN_E10value_typeEPNST_ISO_E10value_typeEPSP_NS1_7vsmem_tEENKUlT_SN_SO_SP_E_clIS8_S8_S9_S9_EESM_S12_SN_SO_SP_EUlS12_E_NS1_11comp_targetILNS1_3genE5ELNS1_11target_archE942ELNS1_3gpuE9ELNS1_3repE0EEENS1_48merge_mergepath_partition_config_static_selectorELNS0_4arch9wavefront6targetE0EEEvSO_ ; -- Begin function _ZN7rocprim17ROCPRIM_400000_NS6detail17trampoline_kernelINS0_14default_configENS1_38merge_sort_block_merge_config_selectorIlNS0_10empty_typeEEEZZNS1_27merge_sort_block_merge_implIS3_PlPS5_mZN2at6native12_GLOBAL__N_124unique_dim_cuda_templateIN3c104HalfEEESt5tupleIJNSA_6TensorESH_SH_EERKSH_lbbbEUlllE_EE10hipError_tT0_T1_T2_jT3_P12ihipStream_tbPNSt15iterator_traitsISN_E10value_typeEPNST_ISO_E10value_typeEPSP_NS1_7vsmem_tEENKUlT_SN_SO_SP_E_clIS8_S8_S9_S9_EESM_S12_SN_SO_SP_EUlS12_E_NS1_11comp_targetILNS1_3genE5ELNS1_11target_archE942ELNS1_3gpuE9ELNS1_3repE0EEENS1_48merge_mergepath_partition_config_static_selectorELNS0_4arch9wavefront6targetE0EEEvSO_
	.p2align	8
	.type	_ZN7rocprim17ROCPRIM_400000_NS6detail17trampoline_kernelINS0_14default_configENS1_38merge_sort_block_merge_config_selectorIlNS0_10empty_typeEEEZZNS1_27merge_sort_block_merge_implIS3_PlPS5_mZN2at6native12_GLOBAL__N_124unique_dim_cuda_templateIN3c104HalfEEESt5tupleIJNSA_6TensorESH_SH_EERKSH_lbbbEUlllE_EE10hipError_tT0_T1_T2_jT3_P12ihipStream_tbPNSt15iterator_traitsISN_E10value_typeEPNST_ISO_E10value_typeEPSP_NS1_7vsmem_tEENKUlT_SN_SO_SP_E_clIS8_S8_S9_S9_EESM_S12_SN_SO_SP_EUlS12_E_NS1_11comp_targetILNS1_3genE5ELNS1_11target_archE942ELNS1_3gpuE9ELNS1_3repE0EEENS1_48merge_mergepath_partition_config_static_selectorELNS0_4arch9wavefront6targetE0EEEvSO_,@function
_ZN7rocprim17ROCPRIM_400000_NS6detail17trampoline_kernelINS0_14default_configENS1_38merge_sort_block_merge_config_selectorIlNS0_10empty_typeEEEZZNS1_27merge_sort_block_merge_implIS3_PlPS5_mZN2at6native12_GLOBAL__N_124unique_dim_cuda_templateIN3c104HalfEEESt5tupleIJNSA_6TensorESH_SH_EERKSH_lbbbEUlllE_EE10hipError_tT0_T1_T2_jT3_P12ihipStream_tbPNSt15iterator_traitsISN_E10value_typeEPNST_ISO_E10value_typeEPSP_NS1_7vsmem_tEENKUlT_SN_SO_SP_E_clIS8_S8_S9_S9_EESM_S12_SN_SO_SP_EUlS12_E_NS1_11comp_targetILNS1_3genE5ELNS1_11target_archE942ELNS1_3gpuE9ELNS1_3repE0EEENS1_48merge_mergepath_partition_config_static_selectorELNS0_4arch9wavefront6targetE0EEEvSO_: ; @_ZN7rocprim17ROCPRIM_400000_NS6detail17trampoline_kernelINS0_14default_configENS1_38merge_sort_block_merge_config_selectorIlNS0_10empty_typeEEEZZNS1_27merge_sort_block_merge_implIS3_PlPS5_mZN2at6native12_GLOBAL__N_124unique_dim_cuda_templateIN3c104HalfEEESt5tupleIJNSA_6TensorESH_SH_EERKSH_lbbbEUlllE_EE10hipError_tT0_T1_T2_jT3_P12ihipStream_tbPNSt15iterator_traitsISN_E10value_typeEPNST_ISO_E10value_typeEPSP_NS1_7vsmem_tEENKUlT_SN_SO_SP_E_clIS8_S8_S9_S9_EESM_S12_SN_SO_SP_EUlS12_E_NS1_11comp_targetILNS1_3genE5ELNS1_11target_archE942ELNS1_3gpuE9ELNS1_3repE0EEENS1_48merge_mergepath_partition_config_static_selectorELNS0_4arch9wavefront6targetE0EEEvSO_
; %bb.0:
	.section	.rodata,"a",@progbits
	.p2align	6, 0x0
	.amdhsa_kernel _ZN7rocprim17ROCPRIM_400000_NS6detail17trampoline_kernelINS0_14default_configENS1_38merge_sort_block_merge_config_selectorIlNS0_10empty_typeEEEZZNS1_27merge_sort_block_merge_implIS3_PlPS5_mZN2at6native12_GLOBAL__N_124unique_dim_cuda_templateIN3c104HalfEEESt5tupleIJNSA_6TensorESH_SH_EERKSH_lbbbEUlllE_EE10hipError_tT0_T1_T2_jT3_P12ihipStream_tbPNSt15iterator_traitsISN_E10value_typeEPNST_ISO_E10value_typeEPSP_NS1_7vsmem_tEENKUlT_SN_SO_SP_E_clIS8_S8_S9_S9_EESM_S12_SN_SO_SP_EUlS12_E_NS1_11comp_targetILNS1_3genE5ELNS1_11target_archE942ELNS1_3gpuE9ELNS1_3repE0EEENS1_48merge_mergepath_partition_config_static_selectorELNS0_4arch9wavefront6targetE0EEEvSO_
		.amdhsa_group_segment_fixed_size 0
		.amdhsa_private_segment_fixed_size 0
		.amdhsa_kernarg_size 56
		.amdhsa_user_sgpr_count 2
		.amdhsa_user_sgpr_dispatch_ptr 0
		.amdhsa_user_sgpr_queue_ptr 0
		.amdhsa_user_sgpr_kernarg_segment_ptr 1
		.amdhsa_user_sgpr_dispatch_id 0
		.amdhsa_user_sgpr_kernarg_preload_length 0
		.amdhsa_user_sgpr_kernarg_preload_offset 0
		.amdhsa_user_sgpr_private_segment_size 0
		.amdhsa_wavefront_size32 1
		.amdhsa_uses_dynamic_stack 0
		.amdhsa_enable_private_segment 0
		.amdhsa_system_sgpr_workgroup_id_x 1
		.amdhsa_system_sgpr_workgroup_id_y 0
		.amdhsa_system_sgpr_workgroup_id_z 0
		.amdhsa_system_sgpr_workgroup_info 0
		.amdhsa_system_vgpr_workitem_id 0
		.amdhsa_next_free_vgpr 1
		.amdhsa_next_free_sgpr 1
		.amdhsa_named_barrier_count 0
		.amdhsa_reserve_vcc 0
		.amdhsa_float_round_mode_32 0
		.amdhsa_float_round_mode_16_64 0
		.amdhsa_float_denorm_mode_32 3
		.amdhsa_float_denorm_mode_16_64 3
		.amdhsa_fp16_overflow 0
		.amdhsa_memory_ordered 1
		.amdhsa_forward_progress 1
		.amdhsa_inst_pref_size 0
		.amdhsa_round_robin_scheduling 0
		.amdhsa_exception_fp_ieee_invalid_op 0
		.amdhsa_exception_fp_denorm_src 0
		.amdhsa_exception_fp_ieee_div_zero 0
		.amdhsa_exception_fp_ieee_overflow 0
		.amdhsa_exception_fp_ieee_underflow 0
		.amdhsa_exception_fp_ieee_inexact 0
		.amdhsa_exception_int_div_zero 0
	.end_amdhsa_kernel
	.section	.text._ZN7rocprim17ROCPRIM_400000_NS6detail17trampoline_kernelINS0_14default_configENS1_38merge_sort_block_merge_config_selectorIlNS0_10empty_typeEEEZZNS1_27merge_sort_block_merge_implIS3_PlPS5_mZN2at6native12_GLOBAL__N_124unique_dim_cuda_templateIN3c104HalfEEESt5tupleIJNSA_6TensorESH_SH_EERKSH_lbbbEUlllE_EE10hipError_tT0_T1_T2_jT3_P12ihipStream_tbPNSt15iterator_traitsISN_E10value_typeEPNST_ISO_E10value_typeEPSP_NS1_7vsmem_tEENKUlT_SN_SO_SP_E_clIS8_S8_S9_S9_EESM_S12_SN_SO_SP_EUlS12_E_NS1_11comp_targetILNS1_3genE5ELNS1_11target_archE942ELNS1_3gpuE9ELNS1_3repE0EEENS1_48merge_mergepath_partition_config_static_selectorELNS0_4arch9wavefront6targetE0EEEvSO_,"axG",@progbits,_ZN7rocprim17ROCPRIM_400000_NS6detail17trampoline_kernelINS0_14default_configENS1_38merge_sort_block_merge_config_selectorIlNS0_10empty_typeEEEZZNS1_27merge_sort_block_merge_implIS3_PlPS5_mZN2at6native12_GLOBAL__N_124unique_dim_cuda_templateIN3c104HalfEEESt5tupleIJNSA_6TensorESH_SH_EERKSH_lbbbEUlllE_EE10hipError_tT0_T1_T2_jT3_P12ihipStream_tbPNSt15iterator_traitsISN_E10value_typeEPNST_ISO_E10value_typeEPSP_NS1_7vsmem_tEENKUlT_SN_SO_SP_E_clIS8_S8_S9_S9_EESM_S12_SN_SO_SP_EUlS12_E_NS1_11comp_targetILNS1_3genE5ELNS1_11target_archE942ELNS1_3gpuE9ELNS1_3repE0EEENS1_48merge_mergepath_partition_config_static_selectorELNS0_4arch9wavefront6targetE0EEEvSO_,comdat
.Lfunc_end1250:
	.size	_ZN7rocprim17ROCPRIM_400000_NS6detail17trampoline_kernelINS0_14default_configENS1_38merge_sort_block_merge_config_selectorIlNS0_10empty_typeEEEZZNS1_27merge_sort_block_merge_implIS3_PlPS5_mZN2at6native12_GLOBAL__N_124unique_dim_cuda_templateIN3c104HalfEEESt5tupleIJNSA_6TensorESH_SH_EERKSH_lbbbEUlllE_EE10hipError_tT0_T1_T2_jT3_P12ihipStream_tbPNSt15iterator_traitsISN_E10value_typeEPNST_ISO_E10value_typeEPSP_NS1_7vsmem_tEENKUlT_SN_SO_SP_E_clIS8_S8_S9_S9_EESM_S12_SN_SO_SP_EUlS12_E_NS1_11comp_targetILNS1_3genE5ELNS1_11target_archE942ELNS1_3gpuE9ELNS1_3repE0EEENS1_48merge_mergepath_partition_config_static_selectorELNS0_4arch9wavefront6targetE0EEEvSO_, .Lfunc_end1250-_ZN7rocprim17ROCPRIM_400000_NS6detail17trampoline_kernelINS0_14default_configENS1_38merge_sort_block_merge_config_selectorIlNS0_10empty_typeEEEZZNS1_27merge_sort_block_merge_implIS3_PlPS5_mZN2at6native12_GLOBAL__N_124unique_dim_cuda_templateIN3c104HalfEEESt5tupleIJNSA_6TensorESH_SH_EERKSH_lbbbEUlllE_EE10hipError_tT0_T1_T2_jT3_P12ihipStream_tbPNSt15iterator_traitsISN_E10value_typeEPNST_ISO_E10value_typeEPSP_NS1_7vsmem_tEENKUlT_SN_SO_SP_E_clIS8_S8_S9_S9_EESM_S12_SN_SO_SP_EUlS12_E_NS1_11comp_targetILNS1_3genE5ELNS1_11target_archE942ELNS1_3gpuE9ELNS1_3repE0EEENS1_48merge_mergepath_partition_config_static_selectorELNS0_4arch9wavefront6targetE0EEEvSO_
                                        ; -- End function
	.set _ZN7rocprim17ROCPRIM_400000_NS6detail17trampoline_kernelINS0_14default_configENS1_38merge_sort_block_merge_config_selectorIlNS0_10empty_typeEEEZZNS1_27merge_sort_block_merge_implIS3_PlPS5_mZN2at6native12_GLOBAL__N_124unique_dim_cuda_templateIN3c104HalfEEESt5tupleIJNSA_6TensorESH_SH_EERKSH_lbbbEUlllE_EE10hipError_tT0_T1_T2_jT3_P12ihipStream_tbPNSt15iterator_traitsISN_E10value_typeEPNST_ISO_E10value_typeEPSP_NS1_7vsmem_tEENKUlT_SN_SO_SP_E_clIS8_S8_S9_S9_EESM_S12_SN_SO_SP_EUlS12_E_NS1_11comp_targetILNS1_3genE5ELNS1_11target_archE942ELNS1_3gpuE9ELNS1_3repE0EEENS1_48merge_mergepath_partition_config_static_selectorELNS0_4arch9wavefront6targetE0EEEvSO_.num_vgpr, 0
	.set _ZN7rocprim17ROCPRIM_400000_NS6detail17trampoline_kernelINS0_14default_configENS1_38merge_sort_block_merge_config_selectorIlNS0_10empty_typeEEEZZNS1_27merge_sort_block_merge_implIS3_PlPS5_mZN2at6native12_GLOBAL__N_124unique_dim_cuda_templateIN3c104HalfEEESt5tupleIJNSA_6TensorESH_SH_EERKSH_lbbbEUlllE_EE10hipError_tT0_T1_T2_jT3_P12ihipStream_tbPNSt15iterator_traitsISN_E10value_typeEPNST_ISO_E10value_typeEPSP_NS1_7vsmem_tEENKUlT_SN_SO_SP_E_clIS8_S8_S9_S9_EESM_S12_SN_SO_SP_EUlS12_E_NS1_11comp_targetILNS1_3genE5ELNS1_11target_archE942ELNS1_3gpuE9ELNS1_3repE0EEENS1_48merge_mergepath_partition_config_static_selectorELNS0_4arch9wavefront6targetE0EEEvSO_.num_agpr, 0
	.set _ZN7rocprim17ROCPRIM_400000_NS6detail17trampoline_kernelINS0_14default_configENS1_38merge_sort_block_merge_config_selectorIlNS0_10empty_typeEEEZZNS1_27merge_sort_block_merge_implIS3_PlPS5_mZN2at6native12_GLOBAL__N_124unique_dim_cuda_templateIN3c104HalfEEESt5tupleIJNSA_6TensorESH_SH_EERKSH_lbbbEUlllE_EE10hipError_tT0_T1_T2_jT3_P12ihipStream_tbPNSt15iterator_traitsISN_E10value_typeEPNST_ISO_E10value_typeEPSP_NS1_7vsmem_tEENKUlT_SN_SO_SP_E_clIS8_S8_S9_S9_EESM_S12_SN_SO_SP_EUlS12_E_NS1_11comp_targetILNS1_3genE5ELNS1_11target_archE942ELNS1_3gpuE9ELNS1_3repE0EEENS1_48merge_mergepath_partition_config_static_selectorELNS0_4arch9wavefront6targetE0EEEvSO_.numbered_sgpr, 0
	.set _ZN7rocprim17ROCPRIM_400000_NS6detail17trampoline_kernelINS0_14default_configENS1_38merge_sort_block_merge_config_selectorIlNS0_10empty_typeEEEZZNS1_27merge_sort_block_merge_implIS3_PlPS5_mZN2at6native12_GLOBAL__N_124unique_dim_cuda_templateIN3c104HalfEEESt5tupleIJNSA_6TensorESH_SH_EERKSH_lbbbEUlllE_EE10hipError_tT0_T1_T2_jT3_P12ihipStream_tbPNSt15iterator_traitsISN_E10value_typeEPNST_ISO_E10value_typeEPSP_NS1_7vsmem_tEENKUlT_SN_SO_SP_E_clIS8_S8_S9_S9_EESM_S12_SN_SO_SP_EUlS12_E_NS1_11comp_targetILNS1_3genE5ELNS1_11target_archE942ELNS1_3gpuE9ELNS1_3repE0EEENS1_48merge_mergepath_partition_config_static_selectorELNS0_4arch9wavefront6targetE0EEEvSO_.num_named_barrier, 0
	.set _ZN7rocprim17ROCPRIM_400000_NS6detail17trampoline_kernelINS0_14default_configENS1_38merge_sort_block_merge_config_selectorIlNS0_10empty_typeEEEZZNS1_27merge_sort_block_merge_implIS3_PlPS5_mZN2at6native12_GLOBAL__N_124unique_dim_cuda_templateIN3c104HalfEEESt5tupleIJNSA_6TensorESH_SH_EERKSH_lbbbEUlllE_EE10hipError_tT0_T1_T2_jT3_P12ihipStream_tbPNSt15iterator_traitsISN_E10value_typeEPNST_ISO_E10value_typeEPSP_NS1_7vsmem_tEENKUlT_SN_SO_SP_E_clIS8_S8_S9_S9_EESM_S12_SN_SO_SP_EUlS12_E_NS1_11comp_targetILNS1_3genE5ELNS1_11target_archE942ELNS1_3gpuE9ELNS1_3repE0EEENS1_48merge_mergepath_partition_config_static_selectorELNS0_4arch9wavefront6targetE0EEEvSO_.private_seg_size, 0
	.set _ZN7rocprim17ROCPRIM_400000_NS6detail17trampoline_kernelINS0_14default_configENS1_38merge_sort_block_merge_config_selectorIlNS0_10empty_typeEEEZZNS1_27merge_sort_block_merge_implIS3_PlPS5_mZN2at6native12_GLOBAL__N_124unique_dim_cuda_templateIN3c104HalfEEESt5tupleIJNSA_6TensorESH_SH_EERKSH_lbbbEUlllE_EE10hipError_tT0_T1_T2_jT3_P12ihipStream_tbPNSt15iterator_traitsISN_E10value_typeEPNST_ISO_E10value_typeEPSP_NS1_7vsmem_tEENKUlT_SN_SO_SP_E_clIS8_S8_S9_S9_EESM_S12_SN_SO_SP_EUlS12_E_NS1_11comp_targetILNS1_3genE5ELNS1_11target_archE942ELNS1_3gpuE9ELNS1_3repE0EEENS1_48merge_mergepath_partition_config_static_selectorELNS0_4arch9wavefront6targetE0EEEvSO_.uses_vcc, 0
	.set _ZN7rocprim17ROCPRIM_400000_NS6detail17trampoline_kernelINS0_14default_configENS1_38merge_sort_block_merge_config_selectorIlNS0_10empty_typeEEEZZNS1_27merge_sort_block_merge_implIS3_PlPS5_mZN2at6native12_GLOBAL__N_124unique_dim_cuda_templateIN3c104HalfEEESt5tupleIJNSA_6TensorESH_SH_EERKSH_lbbbEUlllE_EE10hipError_tT0_T1_T2_jT3_P12ihipStream_tbPNSt15iterator_traitsISN_E10value_typeEPNST_ISO_E10value_typeEPSP_NS1_7vsmem_tEENKUlT_SN_SO_SP_E_clIS8_S8_S9_S9_EESM_S12_SN_SO_SP_EUlS12_E_NS1_11comp_targetILNS1_3genE5ELNS1_11target_archE942ELNS1_3gpuE9ELNS1_3repE0EEENS1_48merge_mergepath_partition_config_static_selectorELNS0_4arch9wavefront6targetE0EEEvSO_.uses_flat_scratch, 0
	.set _ZN7rocprim17ROCPRIM_400000_NS6detail17trampoline_kernelINS0_14default_configENS1_38merge_sort_block_merge_config_selectorIlNS0_10empty_typeEEEZZNS1_27merge_sort_block_merge_implIS3_PlPS5_mZN2at6native12_GLOBAL__N_124unique_dim_cuda_templateIN3c104HalfEEESt5tupleIJNSA_6TensorESH_SH_EERKSH_lbbbEUlllE_EE10hipError_tT0_T1_T2_jT3_P12ihipStream_tbPNSt15iterator_traitsISN_E10value_typeEPNST_ISO_E10value_typeEPSP_NS1_7vsmem_tEENKUlT_SN_SO_SP_E_clIS8_S8_S9_S9_EESM_S12_SN_SO_SP_EUlS12_E_NS1_11comp_targetILNS1_3genE5ELNS1_11target_archE942ELNS1_3gpuE9ELNS1_3repE0EEENS1_48merge_mergepath_partition_config_static_selectorELNS0_4arch9wavefront6targetE0EEEvSO_.has_dyn_sized_stack, 0
	.set _ZN7rocprim17ROCPRIM_400000_NS6detail17trampoline_kernelINS0_14default_configENS1_38merge_sort_block_merge_config_selectorIlNS0_10empty_typeEEEZZNS1_27merge_sort_block_merge_implIS3_PlPS5_mZN2at6native12_GLOBAL__N_124unique_dim_cuda_templateIN3c104HalfEEESt5tupleIJNSA_6TensorESH_SH_EERKSH_lbbbEUlllE_EE10hipError_tT0_T1_T2_jT3_P12ihipStream_tbPNSt15iterator_traitsISN_E10value_typeEPNST_ISO_E10value_typeEPSP_NS1_7vsmem_tEENKUlT_SN_SO_SP_E_clIS8_S8_S9_S9_EESM_S12_SN_SO_SP_EUlS12_E_NS1_11comp_targetILNS1_3genE5ELNS1_11target_archE942ELNS1_3gpuE9ELNS1_3repE0EEENS1_48merge_mergepath_partition_config_static_selectorELNS0_4arch9wavefront6targetE0EEEvSO_.has_recursion, 0
	.set _ZN7rocprim17ROCPRIM_400000_NS6detail17trampoline_kernelINS0_14default_configENS1_38merge_sort_block_merge_config_selectorIlNS0_10empty_typeEEEZZNS1_27merge_sort_block_merge_implIS3_PlPS5_mZN2at6native12_GLOBAL__N_124unique_dim_cuda_templateIN3c104HalfEEESt5tupleIJNSA_6TensorESH_SH_EERKSH_lbbbEUlllE_EE10hipError_tT0_T1_T2_jT3_P12ihipStream_tbPNSt15iterator_traitsISN_E10value_typeEPNST_ISO_E10value_typeEPSP_NS1_7vsmem_tEENKUlT_SN_SO_SP_E_clIS8_S8_S9_S9_EESM_S12_SN_SO_SP_EUlS12_E_NS1_11comp_targetILNS1_3genE5ELNS1_11target_archE942ELNS1_3gpuE9ELNS1_3repE0EEENS1_48merge_mergepath_partition_config_static_selectorELNS0_4arch9wavefront6targetE0EEEvSO_.has_indirect_call, 0
	.section	.AMDGPU.csdata,"",@progbits
; Kernel info:
; codeLenInByte = 0
; TotalNumSgprs: 0
; NumVgprs: 0
; ScratchSize: 0
; MemoryBound: 0
; FloatMode: 240
; IeeeMode: 1
; LDSByteSize: 0 bytes/workgroup (compile time only)
; SGPRBlocks: 0
; VGPRBlocks: 0
; NumSGPRsForWavesPerEU: 1
; NumVGPRsForWavesPerEU: 1
; NamedBarCnt: 0
; Occupancy: 16
; WaveLimiterHint : 0
; COMPUTE_PGM_RSRC2:SCRATCH_EN: 0
; COMPUTE_PGM_RSRC2:USER_SGPR: 2
; COMPUTE_PGM_RSRC2:TRAP_HANDLER: 0
; COMPUTE_PGM_RSRC2:TGID_X_EN: 1
; COMPUTE_PGM_RSRC2:TGID_Y_EN: 0
; COMPUTE_PGM_RSRC2:TGID_Z_EN: 0
; COMPUTE_PGM_RSRC2:TIDIG_COMP_CNT: 0
	.section	.text._ZN7rocprim17ROCPRIM_400000_NS6detail17trampoline_kernelINS0_14default_configENS1_38merge_sort_block_merge_config_selectorIlNS0_10empty_typeEEEZZNS1_27merge_sort_block_merge_implIS3_PlPS5_mZN2at6native12_GLOBAL__N_124unique_dim_cuda_templateIN3c104HalfEEESt5tupleIJNSA_6TensorESH_SH_EERKSH_lbbbEUlllE_EE10hipError_tT0_T1_T2_jT3_P12ihipStream_tbPNSt15iterator_traitsISN_E10value_typeEPNST_ISO_E10value_typeEPSP_NS1_7vsmem_tEENKUlT_SN_SO_SP_E_clIS8_S8_S9_S9_EESM_S12_SN_SO_SP_EUlS12_E_NS1_11comp_targetILNS1_3genE4ELNS1_11target_archE910ELNS1_3gpuE8ELNS1_3repE0EEENS1_48merge_mergepath_partition_config_static_selectorELNS0_4arch9wavefront6targetE0EEEvSO_,"axG",@progbits,_ZN7rocprim17ROCPRIM_400000_NS6detail17trampoline_kernelINS0_14default_configENS1_38merge_sort_block_merge_config_selectorIlNS0_10empty_typeEEEZZNS1_27merge_sort_block_merge_implIS3_PlPS5_mZN2at6native12_GLOBAL__N_124unique_dim_cuda_templateIN3c104HalfEEESt5tupleIJNSA_6TensorESH_SH_EERKSH_lbbbEUlllE_EE10hipError_tT0_T1_T2_jT3_P12ihipStream_tbPNSt15iterator_traitsISN_E10value_typeEPNST_ISO_E10value_typeEPSP_NS1_7vsmem_tEENKUlT_SN_SO_SP_E_clIS8_S8_S9_S9_EESM_S12_SN_SO_SP_EUlS12_E_NS1_11comp_targetILNS1_3genE4ELNS1_11target_archE910ELNS1_3gpuE8ELNS1_3repE0EEENS1_48merge_mergepath_partition_config_static_selectorELNS0_4arch9wavefront6targetE0EEEvSO_,comdat
	.globl	_ZN7rocprim17ROCPRIM_400000_NS6detail17trampoline_kernelINS0_14default_configENS1_38merge_sort_block_merge_config_selectorIlNS0_10empty_typeEEEZZNS1_27merge_sort_block_merge_implIS3_PlPS5_mZN2at6native12_GLOBAL__N_124unique_dim_cuda_templateIN3c104HalfEEESt5tupleIJNSA_6TensorESH_SH_EERKSH_lbbbEUlllE_EE10hipError_tT0_T1_T2_jT3_P12ihipStream_tbPNSt15iterator_traitsISN_E10value_typeEPNST_ISO_E10value_typeEPSP_NS1_7vsmem_tEENKUlT_SN_SO_SP_E_clIS8_S8_S9_S9_EESM_S12_SN_SO_SP_EUlS12_E_NS1_11comp_targetILNS1_3genE4ELNS1_11target_archE910ELNS1_3gpuE8ELNS1_3repE0EEENS1_48merge_mergepath_partition_config_static_selectorELNS0_4arch9wavefront6targetE0EEEvSO_ ; -- Begin function _ZN7rocprim17ROCPRIM_400000_NS6detail17trampoline_kernelINS0_14default_configENS1_38merge_sort_block_merge_config_selectorIlNS0_10empty_typeEEEZZNS1_27merge_sort_block_merge_implIS3_PlPS5_mZN2at6native12_GLOBAL__N_124unique_dim_cuda_templateIN3c104HalfEEESt5tupleIJNSA_6TensorESH_SH_EERKSH_lbbbEUlllE_EE10hipError_tT0_T1_T2_jT3_P12ihipStream_tbPNSt15iterator_traitsISN_E10value_typeEPNST_ISO_E10value_typeEPSP_NS1_7vsmem_tEENKUlT_SN_SO_SP_E_clIS8_S8_S9_S9_EESM_S12_SN_SO_SP_EUlS12_E_NS1_11comp_targetILNS1_3genE4ELNS1_11target_archE910ELNS1_3gpuE8ELNS1_3repE0EEENS1_48merge_mergepath_partition_config_static_selectorELNS0_4arch9wavefront6targetE0EEEvSO_
	.p2align	8
	.type	_ZN7rocprim17ROCPRIM_400000_NS6detail17trampoline_kernelINS0_14default_configENS1_38merge_sort_block_merge_config_selectorIlNS0_10empty_typeEEEZZNS1_27merge_sort_block_merge_implIS3_PlPS5_mZN2at6native12_GLOBAL__N_124unique_dim_cuda_templateIN3c104HalfEEESt5tupleIJNSA_6TensorESH_SH_EERKSH_lbbbEUlllE_EE10hipError_tT0_T1_T2_jT3_P12ihipStream_tbPNSt15iterator_traitsISN_E10value_typeEPNST_ISO_E10value_typeEPSP_NS1_7vsmem_tEENKUlT_SN_SO_SP_E_clIS8_S8_S9_S9_EESM_S12_SN_SO_SP_EUlS12_E_NS1_11comp_targetILNS1_3genE4ELNS1_11target_archE910ELNS1_3gpuE8ELNS1_3repE0EEENS1_48merge_mergepath_partition_config_static_selectorELNS0_4arch9wavefront6targetE0EEEvSO_,@function
_ZN7rocprim17ROCPRIM_400000_NS6detail17trampoline_kernelINS0_14default_configENS1_38merge_sort_block_merge_config_selectorIlNS0_10empty_typeEEEZZNS1_27merge_sort_block_merge_implIS3_PlPS5_mZN2at6native12_GLOBAL__N_124unique_dim_cuda_templateIN3c104HalfEEESt5tupleIJNSA_6TensorESH_SH_EERKSH_lbbbEUlllE_EE10hipError_tT0_T1_T2_jT3_P12ihipStream_tbPNSt15iterator_traitsISN_E10value_typeEPNST_ISO_E10value_typeEPSP_NS1_7vsmem_tEENKUlT_SN_SO_SP_E_clIS8_S8_S9_S9_EESM_S12_SN_SO_SP_EUlS12_E_NS1_11comp_targetILNS1_3genE4ELNS1_11target_archE910ELNS1_3gpuE8ELNS1_3repE0EEENS1_48merge_mergepath_partition_config_static_selectorELNS0_4arch9wavefront6targetE0EEEvSO_: ; @_ZN7rocprim17ROCPRIM_400000_NS6detail17trampoline_kernelINS0_14default_configENS1_38merge_sort_block_merge_config_selectorIlNS0_10empty_typeEEEZZNS1_27merge_sort_block_merge_implIS3_PlPS5_mZN2at6native12_GLOBAL__N_124unique_dim_cuda_templateIN3c104HalfEEESt5tupleIJNSA_6TensorESH_SH_EERKSH_lbbbEUlllE_EE10hipError_tT0_T1_T2_jT3_P12ihipStream_tbPNSt15iterator_traitsISN_E10value_typeEPNST_ISO_E10value_typeEPSP_NS1_7vsmem_tEENKUlT_SN_SO_SP_E_clIS8_S8_S9_S9_EESM_S12_SN_SO_SP_EUlS12_E_NS1_11comp_targetILNS1_3genE4ELNS1_11target_archE910ELNS1_3gpuE8ELNS1_3repE0EEENS1_48merge_mergepath_partition_config_static_selectorELNS0_4arch9wavefront6targetE0EEEvSO_
; %bb.0:
	.section	.rodata,"a",@progbits
	.p2align	6, 0x0
	.amdhsa_kernel _ZN7rocprim17ROCPRIM_400000_NS6detail17trampoline_kernelINS0_14default_configENS1_38merge_sort_block_merge_config_selectorIlNS0_10empty_typeEEEZZNS1_27merge_sort_block_merge_implIS3_PlPS5_mZN2at6native12_GLOBAL__N_124unique_dim_cuda_templateIN3c104HalfEEESt5tupleIJNSA_6TensorESH_SH_EERKSH_lbbbEUlllE_EE10hipError_tT0_T1_T2_jT3_P12ihipStream_tbPNSt15iterator_traitsISN_E10value_typeEPNST_ISO_E10value_typeEPSP_NS1_7vsmem_tEENKUlT_SN_SO_SP_E_clIS8_S8_S9_S9_EESM_S12_SN_SO_SP_EUlS12_E_NS1_11comp_targetILNS1_3genE4ELNS1_11target_archE910ELNS1_3gpuE8ELNS1_3repE0EEENS1_48merge_mergepath_partition_config_static_selectorELNS0_4arch9wavefront6targetE0EEEvSO_
		.amdhsa_group_segment_fixed_size 0
		.amdhsa_private_segment_fixed_size 0
		.amdhsa_kernarg_size 56
		.amdhsa_user_sgpr_count 2
		.amdhsa_user_sgpr_dispatch_ptr 0
		.amdhsa_user_sgpr_queue_ptr 0
		.amdhsa_user_sgpr_kernarg_segment_ptr 1
		.amdhsa_user_sgpr_dispatch_id 0
		.amdhsa_user_sgpr_kernarg_preload_length 0
		.amdhsa_user_sgpr_kernarg_preload_offset 0
		.amdhsa_user_sgpr_private_segment_size 0
		.amdhsa_wavefront_size32 1
		.amdhsa_uses_dynamic_stack 0
		.amdhsa_enable_private_segment 0
		.amdhsa_system_sgpr_workgroup_id_x 1
		.amdhsa_system_sgpr_workgroup_id_y 0
		.amdhsa_system_sgpr_workgroup_id_z 0
		.amdhsa_system_sgpr_workgroup_info 0
		.amdhsa_system_vgpr_workitem_id 0
		.amdhsa_next_free_vgpr 1
		.amdhsa_next_free_sgpr 1
		.amdhsa_named_barrier_count 0
		.amdhsa_reserve_vcc 0
		.amdhsa_float_round_mode_32 0
		.amdhsa_float_round_mode_16_64 0
		.amdhsa_float_denorm_mode_32 3
		.amdhsa_float_denorm_mode_16_64 3
		.amdhsa_fp16_overflow 0
		.amdhsa_memory_ordered 1
		.amdhsa_forward_progress 1
		.amdhsa_inst_pref_size 0
		.amdhsa_round_robin_scheduling 0
		.amdhsa_exception_fp_ieee_invalid_op 0
		.amdhsa_exception_fp_denorm_src 0
		.amdhsa_exception_fp_ieee_div_zero 0
		.amdhsa_exception_fp_ieee_overflow 0
		.amdhsa_exception_fp_ieee_underflow 0
		.amdhsa_exception_fp_ieee_inexact 0
		.amdhsa_exception_int_div_zero 0
	.end_amdhsa_kernel
	.section	.text._ZN7rocprim17ROCPRIM_400000_NS6detail17trampoline_kernelINS0_14default_configENS1_38merge_sort_block_merge_config_selectorIlNS0_10empty_typeEEEZZNS1_27merge_sort_block_merge_implIS3_PlPS5_mZN2at6native12_GLOBAL__N_124unique_dim_cuda_templateIN3c104HalfEEESt5tupleIJNSA_6TensorESH_SH_EERKSH_lbbbEUlllE_EE10hipError_tT0_T1_T2_jT3_P12ihipStream_tbPNSt15iterator_traitsISN_E10value_typeEPNST_ISO_E10value_typeEPSP_NS1_7vsmem_tEENKUlT_SN_SO_SP_E_clIS8_S8_S9_S9_EESM_S12_SN_SO_SP_EUlS12_E_NS1_11comp_targetILNS1_3genE4ELNS1_11target_archE910ELNS1_3gpuE8ELNS1_3repE0EEENS1_48merge_mergepath_partition_config_static_selectorELNS0_4arch9wavefront6targetE0EEEvSO_,"axG",@progbits,_ZN7rocprim17ROCPRIM_400000_NS6detail17trampoline_kernelINS0_14default_configENS1_38merge_sort_block_merge_config_selectorIlNS0_10empty_typeEEEZZNS1_27merge_sort_block_merge_implIS3_PlPS5_mZN2at6native12_GLOBAL__N_124unique_dim_cuda_templateIN3c104HalfEEESt5tupleIJNSA_6TensorESH_SH_EERKSH_lbbbEUlllE_EE10hipError_tT0_T1_T2_jT3_P12ihipStream_tbPNSt15iterator_traitsISN_E10value_typeEPNST_ISO_E10value_typeEPSP_NS1_7vsmem_tEENKUlT_SN_SO_SP_E_clIS8_S8_S9_S9_EESM_S12_SN_SO_SP_EUlS12_E_NS1_11comp_targetILNS1_3genE4ELNS1_11target_archE910ELNS1_3gpuE8ELNS1_3repE0EEENS1_48merge_mergepath_partition_config_static_selectorELNS0_4arch9wavefront6targetE0EEEvSO_,comdat
.Lfunc_end1251:
	.size	_ZN7rocprim17ROCPRIM_400000_NS6detail17trampoline_kernelINS0_14default_configENS1_38merge_sort_block_merge_config_selectorIlNS0_10empty_typeEEEZZNS1_27merge_sort_block_merge_implIS3_PlPS5_mZN2at6native12_GLOBAL__N_124unique_dim_cuda_templateIN3c104HalfEEESt5tupleIJNSA_6TensorESH_SH_EERKSH_lbbbEUlllE_EE10hipError_tT0_T1_T2_jT3_P12ihipStream_tbPNSt15iterator_traitsISN_E10value_typeEPNST_ISO_E10value_typeEPSP_NS1_7vsmem_tEENKUlT_SN_SO_SP_E_clIS8_S8_S9_S9_EESM_S12_SN_SO_SP_EUlS12_E_NS1_11comp_targetILNS1_3genE4ELNS1_11target_archE910ELNS1_3gpuE8ELNS1_3repE0EEENS1_48merge_mergepath_partition_config_static_selectorELNS0_4arch9wavefront6targetE0EEEvSO_, .Lfunc_end1251-_ZN7rocprim17ROCPRIM_400000_NS6detail17trampoline_kernelINS0_14default_configENS1_38merge_sort_block_merge_config_selectorIlNS0_10empty_typeEEEZZNS1_27merge_sort_block_merge_implIS3_PlPS5_mZN2at6native12_GLOBAL__N_124unique_dim_cuda_templateIN3c104HalfEEESt5tupleIJNSA_6TensorESH_SH_EERKSH_lbbbEUlllE_EE10hipError_tT0_T1_T2_jT3_P12ihipStream_tbPNSt15iterator_traitsISN_E10value_typeEPNST_ISO_E10value_typeEPSP_NS1_7vsmem_tEENKUlT_SN_SO_SP_E_clIS8_S8_S9_S9_EESM_S12_SN_SO_SP_EUlS12_E_NS1_11comp_targetILNS1_3genE4ELNS1_11target_archE910ELNS1_3gpuE8ELNS1_3repE0EEENS1_48merge_mergepath_partition_config_static_selectorELNS0_4arch9wavefront6targetE0EEEvSO_
                                        ; -- End function
	.set _ZN7rocprim17ROCPRIM_400000_NS6detail17trampoline_kernelINS0_14default_configENS1_38merge_sort_block_merge_config_selectorIlNS0_10empty_typeEEEZZNS1_27merge_sort_block_merge_implIS3_PlPS5_mZN2at6native12_GLOBAL__N_124unique_dim_cuda_templateIN3c104HalfEEESt5tupleIJNSA_6TensorESH_SH_EERKSH_lbbbEUlllE_EE10hipError_tT0_T1_T2_jT3_P12ihipStream_tbPNSt15iterator_traitsISN_E10value_typeEPNST_ISO_E10value_typeEPSP_NS1_7vsmem_tEENKUlT_SN_SO_SP_E_clIS8_S8_S9_S9_EESM_S12_SN_SO_SP_EUlS12_E_NS1_11comp_targetILNS1_3genE4ELNS1_11target_archE910ELNS1_3gpuE8ELNS1_3repE0EEENS1_48merge_mergepath_partition_config_static_selectorELNS0_4arch9wavefront6targetE0EEEvSO_.num_vgpr, 0
	.set _ZN7rocprim17ROCPRIM_400000_NS6detail17trampoline_kernelINS0_14default_configENS1_38merge_sort_block_merge_config_selectorIlNS0_10empty_typeEEEZZNS1_27merge_sort_block_merge_implIS3_PlPS5_mZN2at6native12_GLOBAL__N_124unique_dim_cuda_templateIN3c104HalfEEESt5tupleIJNSA_6TensorESH_SH_EERKSH_lbbbEUlllE_EE10hipError_tT0_T1_T2_jT3_P12ihipStream_tbPNSt15iterator_traitsISN_E10value_typeEPNST_ISO_E10value_typeEPSP_NS1_7vsmem_tEENKUlT_SN_SO_SP_E_clIS8_S8_S9_S9_EESM_S12_SN_SO_SP_EUlS12_E_NS1_11comp_targetILNS1_3genE4ELNS1_11target_archE910ELNS1_3gpuE8ELNS1_3repE0EEENS1_48merge_mergepath_partition_config_static_selectorELNS0_4arch9wavefront6targetE0EEEvSO_.num_agpr, 0
	.set _ZN7rocprim17ROCPRIM_400000_NS6detail17trampoline_kernelINS0_14default_configENS1_38merge_sort_block_merge_config_selectorIlNS0_10empty_typeEEEZZNS1_27merge_sort_block_merge_implIS3_PlPS5_mZN2at6native12_GLOBAL__N_124unique_dim_cuda_templateIN3c104HalfEEESt5tupleIJNSA_6TensorESH_SH_EERKSH_lbbbEUlllE_EE10hipError_tT0_T1_T2_jT3_P12ihipStream_tbPNSt15iterator_traitsISN_E10value_typeEPNST_ISO_E10value_typeEPSP_NS1_7vsmem_tEENKUlT_SN_SO_SP_E_clIS8_S8_S9_S9_EESM_S12_SN_SO_SP_EUlS12_E_NS1_11comp_targetILNS1_3genE4ELNS1_11target_archE910ELNS1_3gpuE8ELNS1_3repE0EEENS1_48merge_mergepath_partition_config_static_selectorELNS0_4arch9wavefront6targetE0EEEvSO_.numbered_sgpr, 0
	.set _ZN7rocprim17ROCPRIM_400000_NS6detail17trampoline_kernelINS0_14default_configENS1_38merge_sort_block_merge_config_selectorIlNS0_10empty_typeEEEZZNS1_27merge_sort_block_merge_implIS3_PlPS5_mZN2at6native12_GLOBAL__N_124unique_dim_cuda_templateIN3c104HalfEEESt5tupleIJNSA_6TensorESH_SH_EERKSH_lbbbEUlllE_EE10hipError_tT0_T1_T2_jT3_P12ihipStream_tbPNSt15iterator_traitsISN_E10value_typeEPNST_ISO_E10value_typeEPSP_NS1_7vsmem_tEENKUlT_SN_SO_SP_E_clIS8_S8_S9_S9_EESM_S12_SN_SO_SP_EUlS12_E_NS1_11comp_targetILNS1_3genE4ELNS1_11target_archE910ELNS1_3gpuE8ELNS1_3repE0EEENS1_48merge_mergepath_partition_config_static_selectorELNS0_4arch9wavefront6targetE0EEEvSO_.num_named_barrier, 0
	.set _ZN7rocprim17ROCPRIM_400000_NS6detail17trampoline_kernelINS0_14default_configENS1_38merge_sort_block_merge_config_selectorIlNS0_10empty_typeEEEZZNS1_27merge_sort_block_merge_implIS3_PlPS5_mZN2at6native12_GLOBAL__N_124unique_dim_cuda_templateIN3c104HalfEEESt5tupleIJNSA_6TensorESH_SH_EERKSH_lbbbEUlllE_EE10hipError_tT0_T1_T2_jT3_P12ihipStream_tbPNSt15iterator_traitsISN_E10value_typeEPNST_ISO_E10value_typeEPSP_NS1_7vsmem_tEENKUlT_SN_SO_SP_E_clIS8_S8_S9_S9_EESM_S12_SN_SO_SP_EUlS12_E_NS1_11comp_targetILNS1_3genE4ELNS1_11target_archE910ELNS1_3gpuE8ELNS1_3repE0EEENS1_48merge_mergepath_partition_config_static_selectorELNS0_4arch9wavefront6targetE0EEEvSO_.private_seg_size, 0
	.set _ZN7rocprim17ROCPRIM_400000_NS6detail17trampoline_kernelINS0_14default_configENS1_38merge_sort_block_merge_config_selectorIlNS0_10empty_typeEEEZZNS1_27merge_sort_block_merge_implIS3_PlPS5_mZN2at6native12_GLOBAL__N_124unique_dim_cuda_templateIN3c104HalfEEESt5tupleIJNSA_6TensorESH_SH_EERKSH_lbbbEUlllE_EE10hipError_tT0_T1_T2_jT3_P12ihipStream_tbPNSt15iterator_traitsISN_E10value_typeEPNST_ISO_E10value_typeEPSP_NS1_7vsmem_tEENKUlT_SN_SO_SP_E_clIS8_S8_S9_S9_EESM_S12_SN_SO_SP_EUlS12_E_NS1_11comp_targetILNS1_3genE4ELNS1_11target_archE910ELNS1_3gpuE8ELNS1_3repE0EEENS1_48merge_mergepath_partition_config_static_selectorELNS0_4arch9wavefront6targetE0EEEvSO_.uses_vcc, 0
	.set _ZN7rocprim17ROCPRIM_400000_NS6detail17trampoline_kernelINS0_14default_configENS1_38merge_sort_block_merge_config_selectorIlNS0_10empty_typeEEEZZNS1_27merge_sort_block_merge_implIS3_PlPS5_mZN2at6native12_GLOBAL__N_124unique_dim_cuda_templateIN3c104HalfEEESt5tupleIJNSA_6TensorESH_SH_EERKSH_lbbbEUlllE_EE10hipError_tT0_T1_T2_jT3_P12ihipStream_tbPNSt15iterator_traitsISN_E10value_typeEPNST_ISO_E10value_typeEPSP_NS1_7vsmem_tEENKUlT_SN_SO_SP_E_clIS8_S8_S9_S9_EESM_S12_SN_SO_SP_EUlS12_E_NS1_11comp_targetILNS1_3genE4ELNS1_11target_archE910ELNS1_3gpuE8ELNS1_3repE0EEENS1_48merge_mergepath_partition_config_static_selectorELNS0_4arch9wavefront6targetE0EEEvSO_.uses_flat_scratch, 0
	.set _ZN7rocprim17ROCPRIM_400000_NS6detail17trampoline_kernelINS0_14default_configENS1_38merge_sort_block_merge_config_selectorIlNS0_10empty_typeEEEZZNS1_27merge_sort_block_merge_implIS3_PlPS5_mZN2at6native12_GLOBAL__N_124unique_dim_cuda_templateIN3c104HalfEEESt5tupleIJNSA_6TensorESH_SH_EERKSH_lbbbEUlllE_EE10hipError_tT0_T1_T2_jT3_P12ihipStream_tbPNSt15iterator_traitsISN_E10value_typeEPNST_ISO_E10value_typeEPSP_NS1_7vsmem_tEENKUlT_SN_SO_SP_E_clIS8_S8_S9_S9_EESM_S12_SN_SO_SP_EUlS12_E_NS1_11comp_targetILNS1_3genE4ELNS1_11target_archE910ELNS1_3gpuE8ELNS1_3repE0EEENS1_48merge_mergepath_partition_config_static_selectorELNS0_4arch9wavefront6targetE0EEEvSO_.has_dyn_sized_stack, 0
	.set _ZN7rocprim17ROCPRIM_400000_NS6detail17trampoline_kernelINS0_14default_configENS1_38merge_sort_block_merge_config_selectorIlNS0_10empty_typeEEEZZNS1_27merge_sort_block_merge_implIS3_PlPS5_mZN2at6native12_GLOBAL__N_124unique_dim_cuda_templateIN3c104HalfEEESt5tupleIJNSA_6TensorESH_SH_EERKSH_lbbbEUlllE_EE10hipError_tT0_T1_T2_jT3_P12ihipStream_tbPNSt15iterator_traitsISN_E10value_typeEPNST_ISO_E10value_typeEPSP_NS1_7vsmem_tEENKUlT_SN_SO_SP_E_clIS8_S8_S9_S9_EESM_S12_SN_SO_SP_EUlS12_E_NS1_11comp_targetILNS1_3genE4ELNS1_11target_archE910ELNS1_3gpuE8ELNS1_3repE0EEENS1_48merge_mergepath_partition_config_static_selectorELNS0_4arch9wavefront6targetE0EEEvSO_.has_recursion, 0
	.set _ZN7rocprim17ROCPRIM_400000_NS6detail17trampoline_kernelINS0_14default_configENS1_38merge_sort_block_merge_config_selectorIlNS0_10empty_typeEEEZZNS1_27merge_sort_block_merge_implIS3_PlPS5_mZN2at6native12_GLOBAL__N_124unique_dim_cuda_templateIN3c104HalfEEESt5tupleIJNSA_6TensorESH_SH_EERKSH_lbbbEUlllE_EE10hipError_tT0_T1_T2_jT3_P12ihipStream_tbPNSt15iterator_traitsISN_E10value_typeEPNST_ISO_E10value_typeEPSP_NS1_7vsmem_tEENKUlT_SN_SO_SP_E_clIS8_S8_S9_S9_EESM_S12_SN_SO_SP_EUlS12_E_NS1_11comp_targetILNS1_3genE4ELNS1_11target_archE910ELNS1_3gpuE8ELNS1_3repE0EEENS1_48merge_mergepath_partition_config_static_selectorELNS0_4arch9wavefront6targetE0EEEvSO_.has_indirect_call, 0
	.section	.AMDGPU.csdata,"",@progbits
; Kernel info:
; codeLenInByte = 0
; TotalNumSgprs: 0
; NumVgprs: 0
; ScratchSize: 0
; MemoryBound: 0
; FloatMode: 240
; IeeeMode: 1
; LDSByteSize: 0 bytes/workgroup (compile time only)
; SGPRBlocks: 0
; VGPRBlocks: 0
; NumSGPRsForWavesPerEU: 1
; NumVGPRsForWavesPerEU: 1
; NamedBarCnt: 0
; Occupancy: 16
; WaveLimiterHint : 0
; COMPUTE_PGM_RSRC2:SCRATCH_EN: 0
; COMPUTE_PGM_RSRC2:USER_SGPR: 2
; COMPUTE_PGM_RSRC2:TRAP_HANDLER: 0
; COMPUTE_PGM_RSRC2:TGID_X_EN: 1
; COMPUTE_PGM_RSRC2:TGID_Y_EN: 0
; COMPUTE_PGM_RSRC2:TGID_Z_EN: 0
; COMPUTE_PGM_RSRC2:TIDIG_COMP_CNT: 0
	.section	.text._ZN7rocprim17ROCPRIM_400000_NS6detail17trampoline_kernelINS0_14default_configENS1_38merge_sort_block_merge_config_selectorIlNS0_10empty_typeEEEZZNS1_27merge_sort_block_merge_implIS3_PlPS5_mZN2at6native12_GLOBAL__N_124unique_dim_cuda_templateIN3c104HalfEEESt5tupleIJNSA_6TensorESH_SH_EERKSH_lbbbEUlllE_EE10hipError_tT0_T1_T2_jT3_P12ihipStream_tbPNSt15iterator_traitsISN_E10value_typeEPNST_ISO_E10value_typeEPSP_NS1_7vsmem_tEENKUlT_SN_SO_SP_E_clIS8_S8_S9_S9_EESM_S12_SN_SO_SP_EUlS12_E_NS1_11comp_targetILNS1_3genE3ELNS1_11target_archE908ELNS1_3gpuE7ELNS1_3repE0EEENS1_48merge_mergepath_partition_config_static_selectorELNS0_4arch9wavefront6targetE0EEEvSO_,"axG",@progbits,_ZN7rocprim17ROCPRIM_400000_NS6detail17trampoline_kernelINS0_14default_configENS1_38merge_sort_block_merge_config_selectorIlNS0_10empty_typeEEEZZNS1_27merge_sort_block_merge_implIS3_PlPS5_mZN2at6native12_GLOBAL__N_124unique_dim_cuda_templateIN3c104HalfEEESt5tupleIJNSA_6TensorESH_SH_EERKSH_lbbbEUlllE_EE10hipError_tT0_T1_T2_jT3_P12ihipStream_tbPNSt15iterator_traitsISN_E10value_typeEPNST_ISO_E10value_typeEPSP_NS1_7vsmem_tEENKUlT_SN_SO_SP_E_clIS8_S8_S9_S9_EESM_S12_SN_SO_SP_EUlS12_E_NS1_11comp_targetILNS1_3genE3ELNS1_11target_archE908ELNS1_3gpuE7ELNS1_3repE0EEENS1_48merge_mergepath_partition_config_static_selectorELNS0_4arch9wavefront6targetE0EEEvSO_,comdat
	.globl	_ZN7rocprim17ROCPRIM_400000_NS6detail17trampoline_kernelINS0_14default_configENS1_38merge_sort_block_merge_config_selectorIlNS0_10empty_typeEEEZZNS1_27merge_sort_block_merge_implIS3_PlPS5_mZN2at6native12_GLOBAL__N_124unique_dim_cuda_templateIN3c104HalfEEESt5tupleIJNSA_6TensorESH_SH_EERKSH_lbbbEUlllE_EE10hipError_tT0_T1_T2_jT3_P12ihipStream_tbPNSt15iterator_traitsISN_E10value_typeEPNST_ISO_E10value_typeEPSP_NS1_7vsmem_tEENKUlT_SN_SO_SP_E_clIS8_S8_S9_S9_EESM_S12_SN_SO_SP_EUlS12_E_NS1_11comp_targetILNS1_3genE3ELNS1_11target_archE908ELNS1_3gpuE7ELNS1_3repE0EEENS1_48merge_mergepath_partition_config_static_selectorELNS0_4arch9wavefront6targetE0EEEvSO_ ; -- Begin function _ZN7rocprim17ROCPRIM_400000_NS6detail17trampoline_kernelINS0_14default_configENS1_38merge_sort_block_merge_config_selectorIlNS0_10empty_typeEEEZZNS1_27merge_sort_block_merge_implIS3_PlPS5_mZN2at6native12_GLOBAL__N_124unique_dim_cuda_templateIN3c104HalfEEESt5tupleIJNSA_6TensorESH_SH_EERKSH_lbbbEUlllE_EE10hipError_tT0_T1_T2_jT3_P12ihipStream_tbPNSt15iterator_traitsISN_E10value_typeEPNST_ISO_E10value_typeEPSP_NS1_7vsmem_tEENKUlT_SN_SO_SP_E_clIS8_S8_S9_S9_EESM_S12_SN_SO_SP_EUlS12_E_NS1_11comp_targetILNS1_3genE3ELNS1_11target_archE908ELNS1_3gpuE7ELNS1_3repE0EEENS1_48merge_mergepath_partition_config_static_selectorELNS0_4arch9wavefront6targetE0EEEvSO_
	.p2align	8
	.type	_ZN7rocprim17ROCPRIM_400000_NS6detail17trampoline_kernelINS0_14default_configENS1_38merge_sort_block_merge_config_selectorIlNS0_10empty_typeEEEZZNS1_27merge_sort_block_merge_implIS3_PlPS5_mZN2at6native12_GLOBAL__N_124unique_dim_cuda_templateIN3c104HalfEEESt5tupleIJNSA_6TensorESH_SH_EERKSH_lbbbEUlllE_EE10hipError_tT0_T1_T2_jT3_P12ihipStream_tbPNSt15iterator_traitsISN_E10value_typeEPNST_ISO_E10value_typeEPSP_NS1_7vsmem_tEENKUlT_SN_SO_SP_E_clIS8_S8_S9_S9_EESM_S12_SN_SO_SP_EUlS12_E_NS1_11comp_targetILNS1_3genE3ELNS1_11target_archE908ELNS1_3gpuE7ELNS1_3repE0EEENS1_48merge_mergepath_partition_config_static_selectorELNS0_4arch9wavefront6targetE0EEEvSO_,@function
_ZN7rocprim17ROCPRIM_400000_NS6detail17trampoline_kernelINS0_14default_configENS1_38merge_sort_block_merge_config_selectorIlNS0_10empty_typeEEEZZNS1_27merge_sort_block_merge_implIS3_PlPS5_mZN2at6native12_GLOBAL__N_124unique_dim_cuda_templateIN3c104HalfEEESt5tupleIJNSA_6TensorESH_SH_EERKSH_lbbbEUlllE_EE10hipError_tT0_T1_T2_jT3_P12ihipStream_tbPNSt15iterator_traitsISN_E10value_typeEPNST_ISO_E10value_typeEPSP_NS1_7vsmem_tEENKUlT_SN_SO_SP_E_clIS8_S8_S9_S9_EESM_S12_SN_SO_SP_EUlS12_E_NS1_11comp_targetILNS1_3genE3ELNS1_11target_archE908ELNS1_3gpuE7ELNS1_3repE0EEENS1_48merge_mergepath_partition_config_static_selectorELNS0_4arch9wavefront6targetE0EEEvSO_: ; @_ZN7rocprim17ROCPRIM_400000_NS6detail17trampoline_kernelINS0_14default_configENS1_38merge_sort_block_merge_config_selectorIlNS0_10empty_typeEEEZZNS1_27merge_sort_block_merge_implIS3_PlPS5_mZN2at6native12_GLOBAL__N_124unique_dim_cuda_templateIN3c104HalfEEESt5tupleIJNSA_6TensorESH_SH_EERKSH_lbbbEUlllE_EE10hipError_tT0_T1_T2_jT3_P12ihipStream_tbPNSt15iterator_traitsISN_E10value_typeEPNST_ISO_E10value_typeEPSP_NS1_7vsmem_tEENKUlT_SN_SO_SP_E_clIS8_S8_S9_S9_EESM_S12_SN_SO_SP_EUlS12_E_NS1_11comp_targetILNS1_3genE3ELNS1_11target_archE908ELNS1_3gpuE7ELNS1_3repE0EEENS1_48merge_mergepath_partition_config_static_selectorELNS0_4arch9wavefront6targetE0EEEvSO_
; %bb.0:
	.section	.rodata,"a",@progbits
	.p2align	6, 0x0
	.amdhsa_kernel _ZN7rocprim17ROCPRIM_400000_NS6detail17trampoline_kernelINS0_14default_configENS1_38merge_sort_block_merge_config_selectorIlNS0_10empty_typeEEEZZNS1_27merge_sort_block_merge_implIS3_PlPS5_mZN2at6native12_GLOBAL__N_124unique_dim_cuda_templateIN3c104HalfEEESt5tupleIJNSA_6TensorESH_SH_EERKSH_lbbbEUlllE_EE10hipError_tT0_T1_T2_jT3_P12ihipStream_tbPNSt15iterator_traitsISN_E10value_typeEPNST_ISO_E10value_typeEPSP_NS1_7vsmem_tEENKUlT_SN_SO_SP_E_clIS8_S8_S9_S9_EESM_S12_SN_SO_SP_EUlS12_E_NS1_11comp_targetILNS1_3genE3ELNS1_11target_archE908ELNS1_3gpuE7ELNS1_3repE0EEENS1_48merge_mergepath_partition_config_static_selectorELNS0_4arch9wavefront6targetE0EEEvSO_
		.amdhsa_group_segment_fixed_size 0
		.amdhsa_private_segment_fixed_size 0
		.amdhsa_kernarg_size 56
		.amdhsa_user_sgpr_count 2
		.amdhsa_user_sgpr_dispatch_ptr 0
		.amdhsa_user_sgpr_queue_ptr 0
		.amdhsa_user_sgpr_kernarg_segment_ptr 1
		.amdhsa_user_sgpr_dispatch_id 0
		.amdhsa_user_sgpr_kernarg_preload_length 0
		.amdhsa_user_sgpr_kernarg_preload_offset 0
		.amdhsa_user_sgpr_private_segment_size 0
		.amdhsa_wavefront_size32 1
		.amdhsa_uses_dynamic_stack 0
		.amdhsa_enable_private_segment 0
		.amdhsa_system_sgpr_workgroup_id_x 1
		.amdhsa_system_sgpr_workgroup_id_y 0
		.amdhsa_system_sgpr_workgroup_id_z 0
		.amdhsa_system_sgpr_workgroup_info 0
		.amdhsa_system_vgpr_workitem_id 0
		.amdhsa_next_free_vgpr 1
		.amdhsa_next_free_sgpr 1
		.amdhsa_named_barrier_count 0
		.amdhsa_reserve_vcc 0
		.amdhsa_float_round_mode_32 0
		.amdhsa_float_round_mode_16_64 0
		.amdhsa_float_denorm_mode_32 3
		.amdhsa_float_denorm_mode_16_64 3
		.amdhsa_fp16_overflow 0
		.amdhsa_memory_ordered 1
		.amdhsa_forward_progress 1
		.amdhsa_inst_pref_size 0
		.amdhsa_round_robin_scheduling 0
		.amdhsa_exception_fp_ieee_invalid_op 0
		.amdhsa_exception_fp_denorm_src 0
		.amdhsa_exception_fp_ieee_div_zero 0
		.amdhsa_exception_fp_ieee_overflow 0
		.amdhsa_exception_fp_ieee_underflow 0
		.amdhsa_exception_fp_ieee_inexact 0
		.amdhsa_exception_int_div_zero 0
	.end_amdhsa_kernel
	.section	.text._ZN7rocprim17ROCPRIM_400000_NS6detail17trampoline_kernelINS0_14default_configENS1_38merge_sort_block_merge_config_selectorIlNS0_10empty_typeEEEZZNS1_27merge_sort_block_merge_implIS3_PlPS5_mZN2at6native12_GLOBAL__N_124unique_dim_cuda_templateIN3c104HalfEEESt5tupleIJNSA_6TensorESH_SH_EERKSH_lbbbEUlllE_EE10hipError_tT0_T1_T2_jT3_P12ihipStream_tbPNSt15iterator_traitsISN_E10value_typeEPNST_ISO_E10value_typeEPSP_NS1_7vsmem_tEENKUlT_SN_SO_SP_E_clIS8_S8_S9_S9_EESM_S12_SN_SO_SP_EUlS12_E_NS1_11comp_targetILNS1_3genE3ELNS1_11target_archE908ELNS1_3gpuE7ELNS1_3repE0EEENS1_48merge_mergepath_partition_config_static_selectorELNS0_4arch9wavefront6targetE0EEEvSO_,"axG",@progbits,_ZN7rocprim17ROCPRIM_400000_NS6detail17trampoline_kernelINS0_14default_configENS1_38merge_sort_block_merge_config_selectorIlNS0_10empty_typeEEEZZNS1_27merge_sort_block_merge_implIS3_PlPS5_mZN2at6native12_GLOBAL__N_124unique_dim_cuda_templateIN3c104HalfEEESt5tupleIJNSA_6TensorESH_SH_EERKSH_lbbbEUlllE_EE10hipError_tT0_T1_T2_jT3_P12ihipStream_tbPNSt15iterator_traitsISN_E10value_typeEPNST_ISO_E10value_typeEPSP_NS1_7vsmem_tEENKUlT_SN_SO_SP_E_clIS8_S8_S9_S9_EESM_S12_SN_SO_SP_EUlS12_E_NS1_11comp_targetILNS1_3genE3ELNS1_11target_archE908ELNS1_3gpuE7ELNS1_3repE0EEENS1_48merge_mergepath_partition_config_static_selectorELNS0_4arch9wavefront6targetE0EEEvSO_,comdat
.Lfunc_end1252:
	.size	_ZN7rocprim17ROCPRIM_400000_NS6detail17trampoline_kernelINS0_14default_configENS1_38merge_sort_block_merge_config_selectorIlNS0_10empty_typeEEEZZNS1_27merge_sort_block_merge_implIS3_PlPS5_mZN2at6native12_GLOBAL__N_124unique_dim_cuda_templateIN3c104HalfEEESt5tupleIJNSA_6TensorESH_SH_EERKSH_lbbbEUlllE_EE10hipError_tT0_T1_T2_jT3_P12ihipStream_tbPNSt15iterator_traitsISN_E10value_typeEPNST_ISO_E10value_typeEPSP_NS1_7vsmem_tEENKUlT_SN_SO_SP_E_clIS8_S8_S9_S9_EESM_S12_SN_SO_SP_EUlS12_E_NS1_11comp_targetILNS1_3genE3ELNS1_11target_archE908ELNS1_3gpuE7ELNS1_3repE0EEENS1_48merge_mergepath_partition_config_static_selectorELNS0_4arch9wavefront6targetE0EEEvSO_, .Lfunc_end1252-_ZN7rocprim17ROCPRIM_400000_NS6detail17trampoline_kernelINS0_14default_configENS1_38merge_sort_block_merge_config_selectorIlNS0_10empty_typeEEEZZNS1_27merge_sort_block_merge_implIS3_PlPS5_mZN2at6native12_GLOBAL__N_124unique_dim_cuda_templateIN3c104HalfEEESt5tupleIJNSA_6TensorESH_SH_EERKSH_lbbbEUlllE_EE10hipError_tT0_T1_T2_jT3_P12ihipStream_tbPNSt15iterator_traitsISN_E10value_typeEPNST_ISO_E10value_typeEPSP_NS1_7vsmem_tEENKUlT_SN_SO_SP_E_clIS8_S8_S9_S9_EESM_S12_SN_SO_SP_EUlS12_E_NS1_11comp_targetILNS1_3genE3ELNS1_11target_archE908ELNS1_3gpuE7ELNS1_3repE0EEENS1_48merge_mergepath_partition_config_static_selectorELNS0_4arch9wavefront6targetE0EEEvSO_
                                        ; -- End function
	.set _ZN7rocprim17ROCPRIM_400000_NS6detail17trampoline_kernelINS0_14default_configENS1_38merge_sort_block_merge_config_selectorIlNS0_10empty_typeEEEZZNS1_27merge_sort_block_merge_implIS3_PlPS5_mZN2at6native12_GLOBAL__N_124unique_dim_cuda_templateIN3c104HalfEEESt5tupleIJNSA_6TensorESH_SH_EERKSH_lbbbEUlllE_EE10hipError_tT0_T1_T2_jT3_P12ihipStream_tbPNSt15iterator_traitsISN_E10value_typeEPNST_ISO_E10value_typeEPSP_NS1_7vsmem_tEENKUlT_SN_SO_SP_E_clIS8_S8_S9_S9_EESM_S12_SN_SO_SP_EUlS12_E_NS1_11comp_targetILNS1_3genE3ELNS1_11target_archE908ELNS1_3gpuE7ELNS1_3repE0EEENS1_48merge_mergepath_partition_config_static_selectorELNS0_4arch9wavefront6targetE0EEEvSO_.num_vgpr, 0
	.set _ZN7rocprim17ROCPRIM_400000_NS6detail17trampoline_kernelINS0_14default_configENS1_38merge_sort_block_merge_config_selectorIlNS0_10empty_typeEEEZZNS1_27merge_sort_block_merge_implIS3_PlPS5_mZN2at6native12_GLOBAL__N_124unique_dim_cuda_templateIN3c104HalfEEESt5tupleIJNSA_6TensorESH_SH_EERKSH_lbbbEUlllE_EE10hipError_tT0_T1_T2_jT3_P12ihipStream_tbPNSt15iterator_traitsISN_E10value_typeEPNST_ISO_E10value_typeEPSP_NS1_7vsmem_tEENKUlT_SN_SO_SP_E_clIS8_S8_S9_S9_EESM_S12_SN_SO_SP_EUlS12_E_NS1_11comp_targetILNS1_3genE3ELNS1_11target_archE908ELNS1_3gpuE7ELNS1_3repE0EEENS1_48merge_mergepath_partition_config_static_selectorELNS0_4arch9wavefront6targetE0EEEvSO_.num_agpr, 0
	.set _ZN7rocprim17ROCPRIM_400000_NS6detail17trampoline_kernelINS0_14default_configENS1_38merge_sort_block_merge_config_selectorIlNS0_10empty_typeEEEZZNS1_27merge_sort_block_merge_implIS3_PlPS5_mZN2at6native12_GLOBAL__N_124unique_dim_cuda_templateIN3c104HalfEEESt5tupleIJNSA_6TensorESH_SH_EERKSH_lbbbEUlllE_EE10hipError_tT0_T1_T2_jT3_P12ihipStream_tbPNSt15iterator_traitsISN_E10value_typeEPNST_ISO_E10value_typeEPSP_NS1_7vsmem_tEENKUlT_SN_SO_SP_E_clIS8_S8_S9_S9_EESM_S12_SN_SO_SP_EUlS12_E_NS1_11comp_targetILNS1_3genE3ELNS1_11target_archE908ELNS1_3gpuE7ELNS1_3repE0EEENS1_48merge_mergepath_partition_config_static_selectorELNS0_4arch9wavefront6targetE0EEEvSO_.numbered_sgpr, 0
	.set _ZN7rocprim17ROCPRIM_400000_NS6detail17trampoline_kernelINS0_14default_configENS1_38merge_sort_block_merge_config_selectorIlNS0_10empty_typeEEEZZNS1_27merge_sort_block_merge_implIS3_PlPS5_mZN2at6native12_GLOBAL__N_124unique_dim_cuda_templateIN3c104HalfEEESt5tupleIJNSA_6TensorESH_SH_EERKSH_lbbbEUlllE_EE10hipError_tT0_T1_T2_jT3_P12ihipStream_tbPNSt15iterator_traitsISN_E10value_typeEPNST_ISO_E10value_typeEPSP_NS1_7vsmem_tEENKUlT_SN_SO_SP_E_clIS8_S8_S9_S9_EESM_S12_SN_SO_SP_EUlS12_E_NS1_11comp_targetILNS1_3genE3ELNS1_11target_archE908ELNS1_3gpuE7ELNS1_3repE0EEENS1_48merge_mergepath_partition_config_static_selectorELNS0_4arch9wavefront6targetE0EEEvSO_.num_named_barrier, 0
	.set _ZN7rocprim17ROCPRIM_400000_NS6detail17trampoline_kernelINS0_14default_configENS1_38merge_sort_block_merge_config_selectorIlNS0_10empty_typeEEEZZNS1_27merge_sort_block_merge_implIS3_PlPS5_mZN2at6native12_GLOBAL__N_124unique_dim_cuda_templateIN3c104HalfEEESt5tupleIJNSA_6TensorESH_SH_EERKSH_lbbbEUlllE_EE10hipError_tT0_T1_T2_jT3_P12ihipStream_tbPNSt15iterator_traitsISN_E10value_typeEPNST_ISO_E10value_typeEPSP_NS1_7vsmem_tEENKUlT_SN_SO_SP_E_clIS8_S8_S9_S9_EESM_S12_SN_SO_SP_EUlS12_E_NS1_11comp_targetILNS1_3genE3ELNS1_11target_archE908ELNS1_3gpuE7ELNS1_3repE0EEENS1_48merge_mergepath_partition_config_static_selectorELNS0_4arch9wavefront6targetE0EEEvSO_.private_seg_size, 0
	.set _ZN7rocprim17ROCPRIM_400000_NS6detail17trampoline_kernelINS0_14default_configENS1_38merge_sort_block_merge_config_selectorIlNS0_10empty_typeEEEZZNS1_27merge_sort_block_merge_implIS3_PlPS5_mZN2at6native12_GLOBAL__N_124unique_dim_cuda_templateIN3c104HalfEEESt5tupleIJNSA_6TensorESH_SH_EERKSH_lbbbEUlllE_EE10hipError_tT0_T1_T2_jT3_P12ihipStream_tbPNSt15iterator_traitsISN_E10value_typeEPNST_ISO_E10value_typeEPSP_NS1_7vsmem_tEENKUlT_SN_SO_SP_E_clIS8_S8_S9_S9_EESM_S12_SN_SO_SP_EUlS12_E_NS1_11comp_targetILNS1_3genE3ELNS1_11target_archE908ELNS1_3gpuE7ELNS1_3repE0EEENS1_48merge_mergepath_partition_config_static_selectorELNS0_4arch9wavefront6targetE0EEEvSO_.uses_vcc, 0
	.set _ZN7rocprim17ROCPRIM_400000_NS6detail17trampoline_kernelINS0_14default_configENS1_38merge_sort_block_merge_config_selectorIlNS0_10empty_typeEEEZZNS1_27merge_sort_block_merge_implIS3_PlPS5_mZN2at6native12_GLOBAL__N_124unique_dim_cuda_templateIN3c104HalfEEESt5tupleIJNSA_6TensorESH_SH_EERKSH_lbbbEUlllE_EE10hipError_tT0_T1_T2_jT3_P12ihipStream_tbPNSt15iterator_traitsISN_E10value_typeEPNST_ISO_E10value_typeEPSP_NS1_7vsmem_tEENKUlT_SN_SO_SP_E_clIS8_S8_S9_S9_EESM_S12_SN_SO_SP_EUlS12_E_NS1_11comp_targetILNS1_3genE3ELNS1_11target_archE908ELNS1_3gpuE7ELNS1_3repE0EEENS1_48merge_mergepath_partition_config_static_selectorELNS0_4arch9wavefront6targetE0EEEvSO_.uses_flat_scratch, 0
	.set _ZN7rocprim17ROCPRIM_400000_NS6detail17trampoline_kernelINS0_14default_configENS1_38merge_sort_block_merge_config_selectorIlNS0_10empty_typeEEEZZNS1_27merge_sort_block_merge_implIS3_PlPS5_mZN2at6native12_GLOBAL__N_124unique_dim_cuda_templateIN3c104HalfEEESt5tupleIJNSA_6TensorESH_SH_EERKSH_lbbbEUlllE_EE10hipError_tT0_T1_T2_jT3_P12ihipStream_tbPNSt15iterator_traitsISN_E10value_typeEPNST_ISO_E10value_typeEPSP_NS1_7vsmem_tEENKUlT_SN_SO_SP_E_clIS8_S8_S9_S9_EESM_S12_SN_SO_SP_EUlS12_E_NS1_11comp_targetILNS1_3genE3ELNS1_11target_archE908ELNS1_3gpuE7ELNS1_3repE0EEENS1_48merge_mergepath_partition_config_static_selectorELNS0_4arch9wavefront6targetE0EEEvSO_.has_dyn_sized_stack, 0
	.set _ZN7rocprim17ROCPRIM_400000_NS6detail17trampoline_kernelINS0_14default_configENS1_38merge_sort_block_merge_config_selectorIlNS0_10empty_typeEEEZZNS1_27merge_sort_block_merge_implIS3_PlPS5_mZN2at6native12_GLOBAL__N_124unique_dim_cuda_templateIN3c104HalfEEESt5tupleIJNSA_6TensorESH_SH_EERKSH_lbbbEUlllE_EE10hipError_tT0_T1_T2_jT3_P12ihipStream_tbPNSt15iterator_traitsISN_E10value_typeEPNST_ISO_E10value_typeEPSP_NS1_7vsmem_tEENKUlT_SN_SO_SP_E_clIS8_S8_S9_S9_EESM_S12_SN_SO_SP_EUlS12_E_NS1_11comp_targetILNS1_3genE3ELNS1_11target_archE908ELNS1_3gpuE7ELNS1_3repE0EEENS1_48merge_mergepath_partition_config_static_selectorELNS0_4arch9wavefront6targetE0EEEvSO_.has_recursion, 0
	.set _ZN7rocprim17ROCPRIM_400000_NS6detail17trampoline_kernelINS0_14default_configENS1_38merge_sort_block_merge_config_selectorIlNS0_10empty_typeEEEZZNS1_27merge_sort_block_merge_implIS3_PlPS5_mZN2at6native12_GLOBAL__N_124unique_dim_cuda_templateIN3c104HalfEEESt5tupleIJNSA_6TensorESH_SH_EERKSH_lbbbEUlllE_EE10hipError_tT0_T1_T2_jT3_P12ihipStream_tbPNSt15iterator_traitsISN_E10value_typeEPNST_ISO_E10value_typeEPSP_NS1_7vsmem_tEENKUlT_SN_SO_SP_E_clIS8_S8_S9_S9_EESM_S12_SN_SO_SP_EUlS12_E_NS1_11comp_targetILNS1_3genE3ELNS1_11target_archE908ELNS1_3gpuE7ELNS1_3repE0EEENS1_48merge_mergepath_partition_config_static_selectorELNS0_4arch9wavefront6targetE0EEEvSO_.has_indirect_call, 0
	.section	.AMDGPU.csdata,"",@progbits
; Kernel info:
; codeLenInByte = 0
; TotalNumSgprs: 0
; NumVgprs: 0
; ScratchSize: 0
; MemoryBound: 0
; FloatMode: 240
; IeeeMode: 1
; LDSByteSize: 0 bytes/workgroup (compile time only)
; SGPRBlocks: 0
; VGPRBlocks: 0
; NumSGPRsForWavesPerEU: 1
; NumVGPRsForWavesPerEU: 1
; NamedBarCnt: 0
; Occupancy: 16
; WaveLimiterHint : 0
; COMPUTE_PGM_RSRC2:SCRATCH_EN: 0
; COMPUTE_PGM_RSRC2:USER_SGPR: 2
; COMPUTE_PGM_RSRC2:TRAP_HANDLER: 0
; COMPUTE_PGM_RSRC2:TGID_X_EN: 1
; COMPUTE_PGM_RSRC2:TGID_Y_EN: 0
; COMPUTE_PGM_RSRC2:TGID_Z_EN: 0
; COMPUTE_PGM_RSRC2:TIDIG_COMP_CNT: 0
	.section	.text._ZN7rocprim17ROCPRIM_400000_NS6detail17trampoline_kernelINS0_14default_configENS1_38merge_sort_block_merge_config_selectorIlNS0_10empty_typeEEEZZNS1_27merge_sort_block_merge_implIS3_PlPS5_mZN2at6native12_GLOBAL__N_124unique_dim_cuda_templateIN3c104HalfEEESt5tupleIJNSA_6TensorESH_SH_EERKSH_lbbbEUlllE_EE10hipError_tT0_T1_T2_jT3_P12ihipStream_tbPNSt15iterator_traitsISN_E10value_typeEPNST_ISO_E10value_typeEPSP_NS1_7vsmem_tEENKUlT_SN_SO_SP_E_clIS8_S8_S9_S9_EESM_S12_SN_SO_SP_EUlS12_E_NS1_11comp_targetILNS1_3genE2ELNS1_11target_archE906ELNS1_3gpuE6ELNS1_3repE0EEENS1_48merge_mergepath_partition_config_static_selectorELNS0_4arch9wavefront6targetE0EEEvSO_,"axG",@progbits,_ZN7rocprim17ROCPRIM_400000_NS6detail17trampoline_kernelINS0_14default_configENS1_38merge_sort_block_merge_config_selectorIlNS0_10empty_typeEEEZZNS1_27merge_sort_block_merge_implIS3_PlPS5_mZN2at6native12_GLOBAL__N_124unique_dim_cuda_templateIN3c104HalfEEESt5tupleIJNSA_6TensorESH_SH_EERKSH_lbbbEUlllE_EE10hipError_tT0_T1_T2_jT3_P12ihipStream_tbPNSt15iterator_traitsISN_E10value_typeEPNST_ISO_E10value_typeEPSP_NS1_7vsmem_tEENKUlT_SN_SO_SP_E_clIS8_S8_S9_S9_EESM_S12_SN_SO_SP_EUlS12_E_NS1_11comp_targetILNS1_3genE2ELNS1_11target_archE906ELNS1_3gpuE6ELNS1_3repE0EEENS1_48merge_mergepath_partition_config_static_selectorELNS0_4arch9wavefront6targetE0EEEvSO_,comdat
	.globl	_ZN7rocprim17ROCPRIM_400000_NS6detail17trampoline_kernelINS0_14default_configENS1_38merge_sort_block_merge_config_selectorIlNS0_10empty_typeEEEZZNS1_27merge_sort_block_merge_implIS3_PlPS5_mZN2at6native12_GLOBAL__N_124unique_dim_cuda_templateIN3c104HalfEEESt5tupleIJNSA_6TensorESH_SH_EERKSH_lbbbEUlllE_EE10hipError_tT0_T1_T2_jT3_P12ihipStream_tbPNSt15iterator_traitsISN_E10value_typeEPNST_ISO_E10value_typeEPSP_NS1_7vsmem_tEENKUlT_SN_SO_SP_E_clIS8_S8_S9_S9_EESM_S12_SN_SO_SP_EUlS12_E_NS1_11comp_targetILNS1_3genE2ELNS1_11target_archE906ELNS1_3gpuE6ELNS1_3repE0EEENS1_48merge_mergepath_partition_config_static_selectorELNS0_4arch9wavefront6targetE0EEEvSO_ ; -- Begin function _ZN7rocprim17ROCPRIM_400000_NS6detail17trampoline_kernelINS0_14default_configENS1_38merge_sort_block_merge_config_selectorIlNS0_10empty_typeEEEZZNS1_27merge_sort_block_merge_implIS3_PlPS5_mZN2at6native12_GLOBAL__N_124unique_dim_cuda_templateIN3c104HalfEEESt5tupleIJNSA_6TensorESH_SH_EERKSH_lbbbEUlllE_EE10hipError_tT0_T1_T2_jT3_P12ihipStream_tbPNSt15iterator_traitsISN_E10value_typeEPNST_ISO_E10value_typeEPSP_NS1_7vsmem_tEENKUlT_SN_SO_SP_E_clIS8_S8_S9_S9_EESM_S12_SN_SO_SP_EUlS12_E_NS1_11comp_targetILNS1_3genE2ELNS1_11target_archE906ELNS1_3gpuE6ELNS1_3repE0EEENS1_48merge_mergepath_partition_config_static_selectorELNS0_4arch9wavefront6targetE0EEEvSO_
	.p2align	8
	.type	_ZN7rocprim17ROCPRIM_400000_NS6detail17trampoline_kernelINS0_14default_configENS1_38merge_sort_block_merge_config_selectorIlNS0_10empty_typeEEEZZNS1_27merge_sort_block_merge_implIS3_PlPS5_mZN2at6native12_GLOBAL__N_124unique_dim_cuda_templateIN3c104HalfEEESt5tupleIJNSA_6TensorESH_SH_EERKSH_lbbbEUlllE_EE10hipError_tT0_T1_T2_jT3_P12ihipStream_tbPNSt15iterator_traitsISN_E10value_typeEPNST_ISO_E10value_typeEPSP_NS1_7vsmem_tEENKUlT_SN_SO_SP_E_clIS8_S8_S9_S9_EESM_S12_SN_SO_SP_EUlS12_E_NS1_11comp_targetILNS1_3genE2ELNS1_11target_archE906ELNS1_3gpuE6ELNS1_3repE0EEENS1_48merge_mergepath_partition_config_static_selectorELNS0_4arch9wavefront6targetE0EEEvSO_,@function
_ZN7rocprim17ROCPRIM_400000_NS6detail17trampoline_kernelINS0_14default_configENS1_38merge_sort_block_merge_config_selectorIlNS0_10empty_typeEEEZZNS1_27merge_sort_block_merge_implIS3_PlPS5_mZN2at6native12_GLOBAL__N_124unique_dim_cuda_templateIN3c104HalfEEESt5tupleIJNSA_6TensorESH_SH_EERKSH_lbbbEUlllE_EE10hipError_tT0_T1_T2_jT3_P12ihipStream_tbPNSt15iterator_traitsISN_E10value_typeEPNST_ISO_E10value_typeEPSP_NS1_7vsmem_tEENKUlT_SN_SO_SP_E_clIS8_S8_S9_S9_EESM_S12_SN_SO_SP_EUlS12_E_NS1_11comp_targetILNS1_3genE2ELNS1_11target_archE906ELNS1_3gpuE6ELNS1_3repE0EEENS1_48merge_mergepath_partition_config_static_selectorELNS0_4arch9wavefront6targetE0EEEvSO_: ; @_ZN7rocprim17ROCPRIM_400000_NS6detail17trampoline_kernelINS0_14default_configENS1_38merge_sort_block_merge_config_selectorIlNS0_10empty_typeEEEZZNS1_27merge_sort_block_merge_implIS3_PlPS5_mZN2at6native12_GLOBAL__N_124unique_dim_cuda_templateIN3c104HalfEEESt5tupleIJNSA_6TensorESH_SH_EERKSH_lbbbEUlllE_EE10hipError_tT0_T1_T2_jT3_P12ihipStream_tbPNSt15iterator_traitsISN_E10value_typeEPNST_ISO_E10value_typeEPSP_NS1_7vsmem_tEENKUlT_SN_SO_SP_E_clIS8_S8_S9_S9_EESM_S12_SN_SO_SP_EUlS12_E_NS1_11comp_targetILNS1_3genE2ELNS1_11target_archE906ELNS1_3gpuE6ELNS1_3repE0EEENS1_48merge_mergepath_partition_config_static_selectorELNS0_4arch9wavefront6targetE0EEEvSO_
; %bb.0:
	.section	.rodata,"a",@progbits
	.p2align	6, 0x0
	.amdhsa_kernel _ZN7rocprim17ROCPRIM_400000_NS6detail17trampoline_kernelINS0_14default_configENS1_38merge_sort_block_merge_config_selectorIlNS0_10empty_typeEEEZZNS1_27merge_sort_block_merge_implIS3_PlPS5_mZN2at6native12_GLOBAL__N_124unique_dim_cuda_templateIN3c104HalfEEESt5tupleIJNSA_6TensorESH_SH_EERKSH_lbbbEUlllE_EE10hipError_tT0_T1_T2_jT3_P12ihipStream_tbPNSt15iterator_traitsISN_E10value_typeEPNST_ISO_E10value_typeEPSP_NS1_7vsmem_tEENKUlT_SN_SO_SP_E_clIS8_S8_S9_S9_EESM_S12_SN_SO_SP_EUlS12_E_NS1_11comp_targetILNS1_3genE2ELNS1_11target_archE906ELNS1_3gpuE6ELNS1_3repE0EEENS1_48merge_mergepath_partition_config_static_selectorELNS0_4arch9wavefront6targetE0EEEvSO_
		.amdhsa_group_segment_fixed_size 0
		.amdhsa_private_segment_fixed_size 0
		.amdhsa_kernarg_size 56
		.amdhsa_user_sgpr_count 2
		.amdhsa_user_sgpr_dispatch_ptr 0
		.amdhsa_user_sgpr_queue_ptr 0
		.amdhsa_user_sgpr_kernarg_segment_ptr 1
		.amdhsa_user_sgpr_dispatch_id 0
		.amdhsa_user_sgpr_kernarg_preload_length 0
		.amdhsa_user_sgpr_kernarg_preload_offset 0
		.amdhsa_user_sgpr_private_segment_size 0
		.amdhsa_wavefront_size32 1
		.amdhsa_uses_dynamic_stack 0
		.amdhsa_enable_private_segment 0
		.amdhsa_system_sgpr_workgroup_id_x 1
		.amdhsa_system_sgpr_workgroup_id_y 0
		.amdhsa_system_sgpr_workgroup_id_z 0
		.amdhsa_system_sgpr_workgroup_info 0
		.amdhsa_system_vgpr_workitem_id 0
		.amdhsa_next_free_vgpr 1
		.amdhsa_next_free_sgpr 1
		.amdhsa_named_barrier_count 0
		.amdhsa_reserve_vcc 0
		.amdhsa_float_round_mode_32 0
		.amdhsa_float_round_mode_16_64 0
		.amdhsa_float_denorm_mode_32 3
		.amdhsa_float_denorm_mode_16_64 3
		.amdhsa_fp16_overflow 0
		.amdhsa_memory_ordered 1
		.amdhsa_forward_progress 1
		.amdhsa_inst_pref_size 0
		.amdhsa_round_robin_scheduling 0
		.amdhsa_exception_fp_ieee_invalid_op 0
		.amdhsa_exception_fp_denorm_src 0
		.amdhsa_exception_fp_ieee_div_zero 0
		.amdhsa_exception_fp_ieee_overflow 0
		.amdhsa_exception_fp_ieee_underflow 0
		.amdhsa_exception_fp_ieee_inexact 0
		.amdhsa_exception_int_div_zero 0
	.end_amdhsa_kernel
	.section	.text._ZN7rocprim17ROCPRIM_400000_NS6detail17trampoline_kernelINS0_14default_configENS1_38merge_sort_block_merge_config_selectorIlNS0_10empty_typeEEEZZNS1_27merge_sort_block_merge_implIS3_PlPS5_mZN2at6native12_GLOBAL__N_124unique_dim_cuda_templateIN3c104HalfEEESt5tupleIJNSA_6TensorESH_SH_EERKSH_lbbbEUlllE_EE10hipError_tT0_T1_T2_jT3_P12ihipStream_tbPNSt15iterator_traitsISN_E10value_typeEPNST_ISO_E10value_typeEPSP_NS1_7vsmem_tEENKUlT_SN_SO_SP_E_clIS8_S8_S9_S9_EESM_S12_SN_SO_SP_EUlS12_E_NS1_11comp_targetILNS1_3genE2ELNS1_11target_archE906ELNS1_3gpuE6ELNS1_3repE0EEENS1_48merge_mergepath_partition_config_static_selectorELNS0_4arch9wavefront6targetE0EEEvSO_,"axG",@progbits,_ZN7rocprim17ROCPRIM_400000_NS6detail17trampoline_kernelINS0_14default_configENS1_38merge_sort_block_merge_config_selectorIlNS0_10empty_typeEEEZZNS1_27merge_sort_block_merge_implIS3_PlPS5_mZN2at6native12_GLOBAL__N_124unique_dim_cuda_templateIN3c104HalfEEESt5tupleIJNSA_6TensorESH_SH_EERKSH_lbbbEUlllE_EE10hipError_tT0_T1_T2_jT3_P12ihipStream_tbPNSt15iterator_traitsISN_E10value_typeEPNST_ISO_E10value_typeEPSP_NS1_7vsmem_tEENKUlT_SN_SO_SP_E_clIS8_S8_S9_S9_EESM_S12_SN_SO_SP_EUlS12_E_NS1_11comp_targetILNS1_3genE2ELNS1_11target_archE906ELNS1_3gpuE6ELNS1_3repE0EEENS1_48merge_mergepath_partition_config_static_selectorELNS0_4arch9wavefront6targetE0EEEvSO_,comdat
.Lfunc_end1253:
	.size	_ZN7rocprim17ROCPRIM_400000_NS6detail17trampoline_kernelINS0_14default_configENS1_38merge_sort_block_merge_config_selectorIlNS0_10empty_typeEEEZZNS1_27merge_sort_block_merge_implIS3_PlPS5_mZN2at6native12_GLOBAL__N_124unique_dim_cuda_templateIN3c104HalfEEESt5tupleIJNSA_6TensorESH_SH_EERKSH_lbbbEUlllE_EE10hipError_tT0_T1_T2_jT3_P12ihipStream_tbPNSt15iterator_traitsISN_E10value_typeEPNST_ISO_E10value_typeEPSP_NS1_7vsmem_tEENKUlT_SN_SO_SP_E_clIS8_S8_S9_S9_EESM_S12_SN_SO_SP_EUlS12_E_NS1_11comp_targetILNS1_3genE2ELNS1_11target_archE906ELNS1_3gpuE6ELNS1_3repE0EEENS1_48merge_mergepath_partition_config_static_selectorELNS0_4arch9wavefront6targetE0EEEvSO_, .Lfunc_end1253-_ZN7rocprim17ROCPRIM_400000_NS6detail17trampoline_kernelINS0_14default_configENS1_38merge_sort_block_merge_config_selectorIlNS0_10empty_typeEEEZZNS1_27merge_sort_block_merge_implIS3_PlPS5_mZN2at6native12_GLOBAL__N_124unique_dim_cuda_templateIN3c104HalfEEESt5tupleIJNSA_6TensorESH_SH_EERKSH_lbbbEUlllE_EE10hipError_tT0_T1_T2_jT3_P12ihipStream_tbPNSt15iterator_traitsISN_E10value_typeEPNST_ISO_E10value_typeEPSP_NS1_7vsmem_tEENKUlT_SN_SO_SP_E_clIS8_S8_S9_S9_EESM_S12_SN_SO_SP_EUlS12_E_NS1_11comp_targetILNS1_3genE2ELNS1_11target_archE906ELNS1_3gpuE6ELNS1_3repE0EEENS1_48merge_mergepath_partition_config_static_selectorELNS0_4arch9wavefront6targetE0EEEvSO_
                                        ; -- End function
	.set _ZN7rocprim17ROCPRIM_400000_NS6detail17trampoline_kernelINS0_14default_configENS1_38merge_sort_block_merge_config_selectorIlNS0_10empty_typeEEEZZNS1_27merge_sort_block_merge_implIS3_PlPS5_mZN2at6native12_GLOBAL__N_124unique_dim_cuda_templateIN3c104HalfEEESt5tupleIJNSA_6TensorESH_SH_EERKSH_lbbbEUlllE_EE10hipError_tT0_T1_T2_jT3_P12ihipStream_tbPNSt15iterator_traitsISN_E10value_typeEPNST_ISO_E10value_typeEPSP_NS1_7vsmem_tEENKUlT_SN_SO_SP_E_clIS8_S8_S9_S9_EESM_S12_SN_SO_SP_EUlS12_E_NS1_11comp_targetILNS1_3genE2ELNS1_11target_archE906ELNS1_3gpuE6ELNS1_3repE0EEENS1_48merge_mergepath_partition_config_static_selectorELNS0_4arch9wavefront6targetE0EEEvSO_.num_vgpr, 0
	.set _ZN7rocprim17ROCPRIM_400000_NS6detail17trampoline_kernelINS0_14default_configENS1_38merge_sort_block_merge_config_selectorIlNS0_10empty_typeEEEZZNS1_27merge_sort_block_merge_implIS3_PlPS5_mZN2at6native12_GLOBAL__N_124unique_dim_cuda_templateIN3c104HalfEEESt5tupleIJNSA_6TensorESH_SH_EERKSH_lbbbEUlllE_EE10hipError_tT0_T1_T2_jT3_P12ihipStream_tbPNSt15iterator_traitsISN_E10value_typeEPNST_ISO_E10value_typeEPSP_NS1_7vsmem_tEENKUlT_SN_SO_SP_E_clIS8_S8_S9_S9_EESM_S12_SN_SO_SP_EUlS12_E_NS1_11comp_targetILNS1_3genE2ELNS1_11target_archE906ELNS1_3gpuE6ELNS1_3repE0EEENS1_48merge_mergepath_partition_config_static_selectorELNS0_4arch9wavefront6targetE0EEEvSO_.num_agpr, 0
	.set _ZN7rocprim17ROCPRIM_400000_NS6detail17trampoline_kernelINS0_14default_configENS1_38merge_sort_block_merge_config_selectorIlNS0_10empty_typeEEEZZNS1_27merge_sort_block_merge_implIS3_PlPS5_mZN2at6native12_GLOBAL__N_124unique_dim_cuda_templateIN3c104HalfEEESt5tupleIJNSA_6TensorESH_SH_EERKSH_lbbbEUlllE_EE10hipError_tT0_T1_T2_jT3_P12ihipStream_tbPNSt15iterator_traitsISN_E10value_typeEPNST_ISO_E10value_typeEPSP_NS1_7vsmem_tEENKUlT_SN_SO_SP_E_clIS8_S8_S9_S9_EESM_S12_SN_SO_SP_EUlS12_E_NS1_11comp_targetILNS1_3genE2ELNS1_11target_archE906ELNS1_3gpuE6ELNS1_3repE0EEENS1_48merge_mergepath_partition_config_static_selectorELNS0_4arch9wavefront6targetE0EEEvSO_.numbered_sgpr, 0
	.set _ZN7rocprim17ROCPRIM_400000_NS6detail17trampoline_kernelINS0_14default_configENS1_38merge_sort_block_merge_config_selectorIlNS0_10empty_typeEEEZZNS1_27merge_sort_block_merge_implIS3_PlPS5_mZN2at6native12_GLOBAL__N_124unique_dim_cuda_templateIN3c104HalfEEESt5tupleIJNSA_6TensorESH_SH_EERKSH_lbbbEUlllE_EE10hipError_tT0_T1_T2_jT3_P12ihipStream_tbPNSt15iterator_traitsISN_E10value_typeEPNST_ISO_E10value_typeEPSP_NS1_7vsmem_tEENKUlT_SN_SO_SP_E_clIS8_S8_S9_S9_EESM_S12_SN_SO_SP_EUlS12_E_NS1_11comp_targetILNS1_3genE2ELNS1_11target_archE906ELNS1_3gpuE6ELNS1_3repE0EEENS1_48merge_mergepath_partition_config_static_selectorELNS0_4arch9wavefront6targetE0EEEvSO_.num_named_barrier, 0
	.set _ZN7rocprim17ROCPRIM_400000_NS6detail17trampoline_kernelINS0_14default_configENS1_38merge_sort_block_merge_config_selectorIlNS0_10empty_typeEEEZZNS1_27merge_sort_block_merge_implIS3_PlPS5_mZN2at6native12_GLOBAL__N_124unique_dim_cuda_templateIN3c104HalfEEESt5tupleIJNSA_6TensorESH_SH_EERKSH_lbbbEUlllE_EE10hipError_tT0_T1_T2_jT3_P12ihipStream_tbPNSt15iterator_traitsISN_E10value_typeEPNST_ISO_E10value_typeEPSP_NS1_7vsmem_tEENKUlT_SN_SO_SP_E_clIS8_S8_S9_S9_EESM_S12_SN_SO_SP_EUlS12_E_NS1_11comp_targetILNS1_3genE2ELNS1_11target_archE906ELNS1_3gpuE6ELNS1_3repE0EEENS1_48merge_mergepath_partition_config_static_selectorELNS0_4arch9wavefront6targetE0EEEvSO_.private_seg_size, 0
	.set _ZN7rocprim17ROCPRIM_400000_NS6detail17trampoline_kernelINS0_14default_configENS1_38merge_sort_block_merge_config_selectorIlNS0_10empty_typeEEEZZNS1_27merge_sort_block_merge_implIS3_PlPS5_mZN2at6native12_GLOBAL__N_124unique_dim_cuda_templateIN3c104HalfEEESt5tupleIJNSA_6TensorESH_SH_EERKSH_lbbbEUlllE_EE10hipError_tT0_T1_T2_jT3_P12ihipStream_tbPNSt15iterator_traitsISN_E10value_typeEPNST_ISO_E10value_typeEPSP_NS1_7vsmem_tEENKUlT_SN_SO_SP_E_clIS8_S8_S9_S9_EESM_S12_SN_SO_SP_EUlS12_E_NS1_11comp_targetILNS1_3genE2ELNS1_11target_archE906ELNS1_3gpuE6ELNS1_3repE0EEENS1_48merge_mergepath_partition_config_static_selectorELNS0_4arch9wavefront6targetE0EEEvSO_.uses_vcc, 0
	.set _ZN7rocprim17ROCPRIM_400000_NS6detail17trampoline_kernelINS0_14default_configENS1_38merge_sort_block_merge_config_selectorIlNS0_10empty_typeEEEZZNS1_27merge_sort_block_merge_implIS3_PlPS5_mZN2at6native12_GLOBAL__N_124unique_dim_cuda_templateIN3c104HalfEEESt5tupleIJNSA_6TensorESH_SH_EERKSH_lbbbEUlllE_EE10hipError_tT0_T1_T2_jT3_P12ihipStream_tbPNSt15iterator_traitsISN_E10value_typeEPNST_ISO_E10value_typeEPSP_NS1_7vsmem_tEENKUlT_SN_SO_SP_E_clIS8_S8_S9_S9_EESM_S12_SN_SO_SP_EUlS12_E_NS1_11comp_targetILNS1_3genE2ELNS1_11target_archE906ELNS1_3gpuE6ELNS1_3repE0EEENS1_48merge_mergepath_partition_config_static_selectorELNS0_4arch9wavefront6targetE0EEEvSO_.uses_flat_scratch, 0
	.set _ZN7rocprim17ROCPRIM_400000_NS6detail17trampoline_kernelINS0_14default_configENS1_38merge_sort_block_merge_config_selectorIlNS0_10empty_typeEEEZZNS1_27merge_sort_block_merge_implIS3_PlPS5_mZN2at6native12_GLOBAL__N_124unique_dim_cuda_templateIN3c104HalfEEESt5tupleIJNSA_6TensorESH_SH_EERKSH_lbbbEUlllE_EE10hipError_tT0_T1_T2_jT3_P12ihipStream_tbPNSt15iterator_traitsISN_E10value_typeEPNST_ISO_E10value_typeEPSP_NS1_7vsmem_tEENKUlT_SN_SO_SP_E_clIS8_S8_S9_S9_EESM_S12_SN_SO_SP_EUlS12_E_NS1_11comp_targetILNS1_3genE2ELNS1_11target_archE906ELNS1_3gpuE6ELNS1_3repE0EEENS1_48merge_mergepath_partition_config_static_selectorELNS0_4arch9wavefront6targetE0EEEvSO_.has_dyn_sized_stack, 0
	.set _ZN7rocprim17ROCPRIM_400000_NS6detail17trampoline_kernelINS0_14default_configENS1_38merge_sort_block_merge_config_selectorIlNS0_10empty_typeEEEZZNS1_27merge_sort_block_merge_implIS3_PlPS5_mZN2at6native12_GLOBAL__N_124unique_dim_cuda_templateIN3c104HalfEEESt5tupleIJNSA_6TensorESH_SH_EERKSH_lbbbEUlllE_EE10hipError_tT0_T1_T2_jT3_P12ihipStream_tbPNSt15iterator_traitsISN_E10value_typeEPNST_ISO_E10value_typeEPSP_NS1_7vsmem_tEENKUlT_SN_SO_SP_E_clIS8_S8_S9_S9_EESM_S12_SN_SO_SP_EUlS12_E_NS1_11comp_targetILNS1_3genE2ELNS1_11target_archE906ELNS1_3gpuE6ELNS1_3repE0EEENS1_48merge_mergepath_partition_config_static_selectorELNS0_4arch9wavefront6targetE0EEEvSO_.has_recursion, 0
	.set _ZN7rocprim17ROCPRIM_400000_NS6detail17trampoline_kernelINS0_14default_configENS1_38merge_sort_block_merge_config_selectorIlNS0_10empty_typeEEEZZNS1_27merge_sort_block_merge_implIS3_PlPS5_mZN2at6native12_GLOBAL__N_124unique_dim_cuda_templateIN3c104HalfEEESt5tupleIJNSA_6TensorESH_SH_EERKSH_lbbbEUlllE_EE10hipError_tT0_T1_T2_jT3_P12ihipStream_tbPNSt15iterator_traitsISN_E10value_typeEPNST_ISO_E10value_typeEPSP_NS1_7vsmem_tEENKUlT_SN_SO_SP_E_clIS8_S8_S9_S9_EESM_S12_SN_SO_SP_EUlS12_E_NS1_11comp_targetILNS1_3genE2ELNS1_11target_archE906ELNS1_3gpuE6ELNS1_3repE0EEENS1_48merge_mergepath_partition_config_static_selectorELNS0_4arch9wavefront6targetE0EEEvSO_.has_indirect_call, 0
	.section	.AMDGPU.csdata,"",@progbits
; Kernel info:
; codeLenInByte = 0
; TotalNumSgprs: 0
; NumVgprs: 0
; ScratchSize: 0
; MemoryBound: 0
; FloatMode: 240
; IeeeMode: 1
; LDSByteSize: 0 bytes/workgroup (compile time only)
; SGPRBlocks: 0
; VGPRBlocks: 0
; NumSGPRsForWavesPerEU: 1
; NumVGPRsForWavesPerEU: 1
; NamedBarCnt: 0
; Occupancy: 16
; WaveLimiterHint : 0
; COMPUTE_PGM_RSRC2:SCRATCH_EN: 0
; COMPUTE_PGM_RSRC2:USER_SGPR: 2
; COMPUTE_PGM_RSRC2:TRAP_HANDLER: 0
; COMPUTE_PGM_RSRC2:TGID_X_EN: 1
; COMPUTE_PGM_RSRC2:TGID_Y_EN: 0
; COMPUTE_PGM_RSRC2:TGID_Z_EN: 0
; COMPUTE_PGM_RSRC2:TIDIG_COMP_CNT: 0
	.section	.text._ZN7rocprim17ROCPRIM_400000_NS6detail17trampoline_kernelINS0_14default_configENS1_38merge_sort_block_merge_config_selectorIlNS0_10empty_typeEEEZZNS1_27merge_sort_block_merge_implIS3_PlPS5_mZN2at6native12_GLOBAL__N_124unique_dim_cuda_templateIN3c104HalfEEESt5tupleIJNSA_6TensorESH_SH_EERKSH_lbbbEUlllE_EE10hipError_tT0_T1_T2_jT3_P12ihipStream_tbPNSt15iterator_traitsISN_E10value_typeEPNST_ISO_E10value_typeEPSP_NS1_7vsmem_tEENKUlT_SN_SO_SP_E_clIS8_S8_S9_S9_EESM_S12_SN_SO_SP_EUlS12_E_NS1_11comp_targetILNS1_3genE9ELNS1_11target_archE1100ELNS1_3gpuE3ELNS1_3repE0EEENS1_48merge_mergepath_partition_config_static_selectorELNS0_4arch9wavefront6targetE0EEEvSO_,"axG",@progbits,_ZN7rocprim17ROCPRIM_400000_NS6detail17trampoline_kernelINS0_14default_configENS1_38merge_sort_block_merge_config_selectorIlNS0_10empty_typeEEEZZNS1_27merge_sort_block_merge_implIS3_PlPS5_mZN2at6native12_GLOBAL__N_124unique_dim_cuda_templateIN3c104HalfEEESt5tupleIJNSA_6TensorESH_SH_EERKSH_lbbbEUlllE_EE10hipError_tT0_T1_T2_jT3_P12ihipStream_tbPNSt15iterator_traitsISN_E10value_typeEPNST_ISO_E10value_typeEPSP_NS1_7vsmem_tEENKUlT_SN_SO_SP_E_clIS8_S8_S9_S9_EESM_S12_SN_SO_SP_EUlS12_E_NS1_11comp_targetILNS1_3genE9ELNS1_11target_archE1100ELNS1_3gpuE3ELNS1_3repE0EEENS1_48merge_mergepath_partition_config_static_selectorELNS0_4arch9wavefront6targetE0EEEvSO_,comdat
	.globl	_ZN7rocprim17ROCPRIM_400000_NS6detail17trampoline_kernelINS0_14default_configENS1_38merge_sort_block_merge_config_selectorIlNS0_10empty_typeEEEZZNS1_27merge_sort_block_merge_implIS3_PlPS5_mZN2at6native12_GLOBAL__N_124unique_dim_cuda_templateIN3c104HalfEEESt5tupleIJNSA_6TensorESH_SH_EERKSH_lbbbEUlllE_EE10hipError_tT0_T1_T2_jT3_P12ihipStream_tbPNSt15iterator_traitsISN_E10value_typeEPNST_ISO_E10value_typeEPSP_NS1_7vsmem_tEENKUlT_SN_SO_SP_E_clIS8_S8_S9_S9_EESM_S12_SN_SO_SP_EUlS12_E_NS1_11comp_targetILNS1_3genE9ELNS1_11target_archE1100ELNS1_3gpuE3ELNS1_3repE0EEENS1_48merge_mergepath_partition_config_static_selectorELNS0_4arch9wavefront6targetE0EEEvSO_ ; -- Begin function _ZN7rocprim17ROCPRIM_400000_NS6detail17trampoline_kernelINS0_14default_configENS1_38merge_sort_block_merge_config_selectorIlNS0_10empty_typeEEEZZNS1_27merge_sort_block_merge_implIS3_PlPS5_mZN2at6native12_GLOBAL__N_124unique_dim_cuda_templateIN3c104HalfEEESt5tupleIJNSA_6TensorESH_SH_EERKSH_lbbbEUlllE_EE10hipError_tT0_T1_T2_jT3_P12ihipStream_tbPNSt15iterator_traitsISN_E10value_typeEPNST_ISO_E10value_typeEPSP_NS1_7vsmem_tEENKUlT_SN_SO_SP_E_clIS8_S8_S9_S9_EESM_S12_SN_SO_SP_EUlS12_E_NS1_11comp_targetILNS1_3genE9ELNS1_11target_archE1100ELNS1_3gpuE3ELNS1_3repE0EEENS1_48merge_mergepath_partition_config_static_selectorELNS0_4arch9wavefront6targetE0EEEvSO_
	.p2align	8
	.type	_ZN7rocprim17ROCPRIM_400000_NS6detail17trampoline_kernelINS0_14default_configENS1_38merge_sort_block_merge_config_selectorIlNS0_10empty_typeEEEZZNS1_27merge_sort_block_merge_implIS3_PlPS5_mZN2at6native12_GLOBAL__N_124unique_dim_cuda_templateIN3c104HalfEEESt5tupleIJNSA_6TensorESH_SH_EERKSH_lbbbEUlllE_EE10hipError_tT0_T1_T2_jT3_P12ihipStream_tbPNSt15iterator_traitsISN_E10value_typeEPNST_ISO_E10value_typeEPSP_NS1_7vsmem_tEENKUlT_SN_SO_SP_E_clIS8_S8_S9_S9_EESM_S12_SN_SO_SP_EUlS12_E_NS1_11comp_targetILNS1_3genE9ELNS1_11target_archE1100ELNS1_3gpuE3ELNS1_3repE0EEENS1_48merge_mergepath_partition_config_static_selectorELNS0_4arch9wavefront6targetE0EEEvSO_,@function
_ZN7rocprim17ROCPRIM_400000_NS6detail17trampoline_kernelINS0_14default_configENS1_38merge_sort_block_merge_config_selectorIlNS0_10empty_typeEEEZZNS1_27merge_sort_block_merge_implIS3_PlPS5_mZN2at6native12_GLOBAL__N_124unique_dim_cuda_templateIN3c104HalfEEESt5tupleIJNSA_6TensorESH_SH_EERKSH_lbbbEUlllE_EE10hipError_tT0_T1_T2_jT3_P12ihipStream_tbPNSt15iterator_traitsISN_E10value_typeEPNST_ISO_E10value_typeEPSP_NS1_7vsmem_tEENKUlT_SN_SO_SP_E_clIS8_S8_S9_S9_EESM_S12_SN_SO_SP_EUlS12_E_NS1_11comp_targetILNS1_3genE9ELNS1_11target_archE1100ELNS1_3gpuE3ELNS1_3repE0EEENS1_48merge_mergepath_partition_config_static_selectorELNS0_4arch9wavefront6targetE0EEEvSO_: ; @_ZN7rocprim17ROCPRIM_400000_NS6detail17trampoline_kernelINS0_14default_configENS1_38merge_sort_block_merge_config_selectorIlNS0_10empty_typeEEEZZNS1_27merge_sort_block_merge_implIS3_PlPS5_mZN2at6native12_GLOBAL__N_124unique_dim_cuda_templateIN3c104HalfEEESt5tupleIJNSA_6TensorESH_SH_EERKSH_lbbbEUlllE_EE10hipError_tT0_T1_T2_jT3_P12ihipStream_tbPNSt15iterator_traitsISN_E10value_typeEPNST_ISO_E10value_typeEPSP_NS1_7vsmem_tEENKUlT_SN_SO_SP_E_clIS8_S8_S9_S9_EESM_S12_SN_SO_SP_EUlS12_E_NS1_11comp_targetILNS1_3genE9ELNS1_11target_archE1100ELNS1_3gpuE3ELNS1_3repE0EEENS1_48merge_mergepath_partition_config_static_selectorELNS0_4arch9wavefront6targetE0EEEvSO_
; %bb.0:
	.section	.rodata,"a",@progbits
	.p2align	6, 0x0
	.amdhsa_kernel _ZN7rocprim17ROCPRIM_400000_NS6detail17trampoline_kernelINS0_14default_configENS1_38merge_sort_block_merge_config_selectorIlNS0_10empty_typeEEEZZNS1_27merge_sort_block_merge_implIS3_PlPS5_mZN2at6native12_GLOBAL__N_124unique_dim_cuda_templateIN3c104HalfEEESt5tupleIJNSA_6TensorESH_SH_EERKSH_lbbbEUlllE_EE10hipError_tT0_T1_T2_jT3_P12ihipStream_tbPNSt15iterator_traitsISN_E10value_typeEPNST_ISO_E10value_typeEPSP_NS1_7vsmem_tEENKUlT_SN_SO_SP_E_clIS8_S8_S9_S9_EESM_S12_SN_SO_SP_EUlS12_E_NS1_11comp_targetILNS1_3genE9ELNS1_11target_archE1100ELNS1_3gpuE3ELNS1_3repE0EEENS1_48merge_mergepath_partition_config_static_selectorELNS0_4arch9wavefront6targetE0EEEvSO_
		.amdhsa_group_segment_fixed_size 0
		.amdhsa_private_segment_fixed_size 0
		.amdhsa_kernarg_size 56
		.amdhsa_user_sgpr_count 2
		.amdhsa_user_sgpr_dispatch_ptr 0
		.amdhsa_user_sgpr_queue_ptr 0
		.amdhsa_user_sgpr_kernarg_segment_ptr 1
		.amdhsa_user_sgpr_dispatch_id 0
		.amdhsa_user_sgpr_kernarg_preload_length 0
		.amdhsa_user_sgpr_kernarg_preload_offset 0
		.amdhsa_user_sgpr_private_segment_size 0
		.amdhsa_wavefront_size32 1
		.amdhsa_uses_dynamic_stack 0
		.amdhsa_enable_private_segment 0
		.amdhsa_system_sgpr_workgroup_id_x 1
		.amdhsa_system_sgpr_workgroup_id_y 0
		.amdhsa_system_sgpr_workgroup_id_z 0
		.amdhsa_system_sgpr_workgroup_info 0
		.amdhsa_system_vgpr_workitem_id 0
		.amdhsa_next_free_vgpr 1
		.amdhsa_next_free_sgpr 1
		.amdhsa_named_barrier_count 0
		.amdhsa_reserve_vcc 0
		.amdhsa_float_round_mode_32 0
		.amdhsa_float_round_mode_16_64 0
		.amdhsa_float_denorm_mode_32 3
		.amdhsa_float_denorm_mode_16_64 3
		.amdhsa_fp16_overflow 0
		.amdhsa_memory_ordered 1
		.amdhsa_forward_progress 1
		.amdhsa_inst_pref_size 0
		.amdhsa_round_robin_scheduling 0
		.amdhsa_exception_fp_ieee_invalid_op 0
		.amdhsa_exception_fp_denorm_src 0
		.amdhsa_exception_fp_ieee_div_zero 0
		.amdhsa_exception_fp_ieee_overflow 0
		.amdhsa_exception_fp_ieee_underflow 0
		.amdhsa_exception_fp_ieee_inexact 0
		.amdhsa_exception_int_div_zero 0
	.end_amdhsa_kernel
	.section	.text._ZN7rocprim17ROCPRIM_400000_NS6detail17trampoline_kernelINS0_14default_configENS1_38merge_sort_block_merge_config_selectorIlNS0_10empty_typeEEEZZNS1_27merge_sort_block_merge_implIS3_PlPS5_mZN2at6native12_GLOBAL__N_124unique_dim_cuda_templateIN3c104HalfEEESt5tupleIJNSA_6TensorESH_SH_EERKSH_lbbbEUlllE_EE10hipError_tT0_T1_T2_jT3_P12ihipStream_tbPNSt15iterator_traitsISN_E10value_typeEPNST_ISO_E10value_typeEPSP_NS1_7vsmem_tEENKUlT_SN_SO_SP_E_clIS8_S8_S9_S9_EESM_S12_SN_SO_SP_EUlS12_E_NS1_11comp_targetILNS1_3genE9ELNS1_11target_archE1100ELNS1_3gpuE3ELNS1_3repE0EEENS1_48merge_mergepath_partition_config_static_selectorELNS0_4arch9wavefront6targetE0EEEvSO_,"axG",@progbits,_ZN7rocprim17ROCPRIM_400000_NS6detail17trampoline_kernelINS0_14default_configENS1_38merge_sort_block_merge_config_selectorIlNS0_10empty_typeEEEZZNS1_27merge_sort_block_merge_implIS3_PlPS5_mZN2at6native12_GLOBAL__N_124unique_dim_cuda_templateIN3c104HalfEEESt5tupleIJNSA_6TensorESH_SH_EERKSH_lbbbEUlllE_EE10hipError_tT0_T1_T2_jT3_P12ihipStream_tbPNSt15iterator_traitsISN_E10value_typeEPNST_ISO_E10value_typeEPSP_NS1_7vsmem_tEENKUlT_SN_SO_SP_E_clIS8_S8_S9_S9_EESM_S12_SN_SO_SP_EUlS12_E_NS1_11comp_targetILNS1_3genE9ELNS1_11target_archE1100ELNS1_3gpuE3ELNS1_3repE0EEENS1_48merge_mergepath_partition_config_static_selectorELNS0_4arch9wavefront6targetE0EEEvSO_,comdat
.Lfunc_end1254:
	.size	_ZN7rocprim17ROCPRIM_400000_NS6detail17trampoline_kernelINS0_14default_configENS1_38merge_sort_block_merge_config_selectorIlNS0_10empty_typeEEEZZNS1_27merge_sort_block_merge_implIS3_PlPS5_mZN2at6native12_GLOBAL__N_124unique_dim_cuda_templateIN3c104HalfEEESt5tupleIJNSA_6TensorESH_SH_EERKSH_lbbbEUlllE_EE10hipError_tT0_T1_T2_jT3_P12ihipStream_tbPNSt15iterator_traitsISN_E10value_typeEPNST_ISO_E10value_typeEPSP_NS1_7vsmem_tEENKUlT_SN_SO_SP_E_clIS8_S8_S9_S9_EESM_S12_SN_SO_SP_EUlS12_E_NS1_11comp_targetILNS1_3genE9ELNS1_11target_archE1100ELNS1_3gpuE3ELNS1_3repE0EEENS1_48merge_mergepath_partition_config_static_selectorELNS0_4arch9wavefront6targetE0EEEvSO_, .Lfunc_end1254-_ZN7rocprim17ROCPRIM_400000_NS6detail17trampoline_kernelINS0_14default_configENS1_38merge_sort_block_merge_config_selectorIlNS0_10empty_typeEEEZZNS1_27merge_sort_block_merge_implIS3_PlPS5_mZN2at6native12_GLOBAL__N_124unique_dim_cuda_templateIN3c104HalfEEESt5tupleIJNSA_6TensorESH_SH_EERKSH_lbbbEUlllE_EE10hipError_tT0_T1_T2_jT3_P12ihipStream_tbPNSt15iterator_traitsISN_E10value_typeEPNST_ISO_E10value_typeEPSP_NS1_7vsmem_tEENKUlT_SN_SO_SP_E_clIS8_S8_S9_S9_EESM_S12_SN_SO_SP_EUlS12_E_NS1_11comp_targetILNS1_3genE9ELNS1_11target_archE1100ELNS1_3gpuE3ELNS1_3repE0EEENS1_48merge_mergepath_partition_config_static_selectorELNS0_4arch9wavefront6targetE0EEEvSO_
                                        ; -- End function
	.set _ZN7rocprim17ROCPRIM_400000_NS6detail17trampoline_kernelINS0_14default_configENS1_38merge_sort_block_merge_config_selectorIlNS0_10empty_typeEEEZZNS1_27merge_sort_block_merge_implIS3_PlPS5_mZN2at6native12_GLOBAL__N_124unique_dim_cuda_templateIN3c104HalfEEESt5tupleIJNSA_6TensorESH_SH_EERKSH_lbbbEUlllE_EE10hipError_tT0_T1_T2_jT3_P12ihipStream_tbPNSt15iterator_traitsISN_E10value_typeEPNST_ISO_E10value_typeEPSP_NS1_7vsmem_tEENKUlT_SN_SO_SP_E_clIS8_S8_S9_S9_EESM_S12_SN_SO_SP_EUlS12_E_NS1_11comp_targetILNS1_3genE9ELNS1_11target_archE1100ELNS1_3gpuE3ELNS1_3repE0EEENS1_48merge_mergepath_partition_config_static_selectorELNS0_4arch9wavefront6targetE0EEEvSO_.num_vgpr, 0
	.set _ZN7rocprim17ROCPRIM_400000_NS6detail17trampoline_kernelINS0_14default_configENS1_38merge_sort_block_merge_config_selectorIlNS0_10empty_typeEEEZZNS1_27merge_sort_block_merge_implIS3_PlPS5_mZN2at6native12_GLOBAL__N_124unique_dim_cuda_templateIN3c104HalfEEESt5tupleIJNSA_6TensorESH_SH_EERKSH_lbbbEUlllE_EE10hipError_tT0_T1_T2_jT3_P12ihipStream_tbPNSt15iterator_traitsISN_E10value_typeEPNST_ISO_E10value_typeEPSP_NS1_7vsmem_tEENKUlT_SN_SO_SP_E_clIS8_S8_S9_S9_EESM_S12_SN_SO_SP_EUlS12_E_NS1_11comp_targetILNS1_3genE9ELNS1_11target_archE1100ELNS1_3gpuE3ELNS1_3repE0EEENS1_48merge_mergepath_partition_config_static_selectorELNS0_4arch9wavefront6targetE0EEEvSO_.num_agpr, 0
	.set _ZN7rocprim17ROCPRIM_400000_NS6detail17trampoline_kernelINS0_14default_configENS1_38merge_sort_block_merge_config_selectorIlNS0_10empty_typeEEEZZNS1_27merge_sort_block_merge_implIS3_PlPS5_mZN2at6native12_GLOBAL__N_124unique_dim_cuda_templateIN3c104HalfEEESt5tupleIJNSA_6TensorESH_SH_EERKSH_lbbbEUlllE_EE10hipError_tT0_T1_T2_jT3_P12ihipStream_tbPNSt15iterator_traitsISN_E10value_typeEPNST_ISO_E10value_typeEPSP_NS1_7vsmem_tEENKUlT_SN_SO_SP_E_clIS8_S8_S9_S9_EESM_S12_SN_SO_SP_EUlS12_E_NS1_11comp_targetILNS1_3genE9ELNS1_11target_archE1100ELNS1_3gpuE3ELNS1_3repE0EEENS1_48merge_mergepath_partition_config_static_selectorELNS0_4arch9wavefront6targetE0EEEvSO_.numbered_sgpr, 0
	.set _ZN7rocprim17ROCPRIM_400000_NS6detail17trampoline_kernelINS0_14default_configENS1_38merge_sort_block_merge_config_selectorIlNS0_10empty_typeEEEZZNS1_27merge_sort_block_merge_implIS3_PlPS5_mZN2at6native12_GLOBAL__N_124unique_dim_cuda_templateIN3c104HalfEEESt5tupleIJNSA_6TensorESH_SH_EERKSH_lbbbEUlllE_EE10hipError_tT0_T1_T2_jT3_P12ihipStream_tbPNSt15iterator_traitsISN_E10value_typeEPNST_ISO_E10value_typeEPSP_NS1_7vsmem_tEENKUlT_SN_SO_SP_E_clIS8_S8_S9_S9_EESM_S12_SN_SO_SP_EUlS12_E_NS1_11comp_targetILNS1_3genE9ELNS1_11target_archE1100ELNS1_3gpuE3ELNS1_3repE0EEENS1_48merge_mergepath_partition_config_static_selectorELNS0_4arch9wavefront6targetE0EEEvSO_.num_named_barrier, 0
	.set _ZN7rocprim17ROCPRIM_400000_NS6detail17trampoline_kernelINS0_14default_configENS1_38merge_sort_block_merge_config_selectorIlNS0_10empty_typeEEEZZNS1_27merge_sort_block_merge_implIS3_PlPS5_mZN2at6native12_GLOBAL__N_124unique_dim_cuda_templateIN3c104HalfEEESt5tupleIJNSA_6TensorESH_SH_EERKSH_lbbbEUlllE_EE10hipError_tT0_T1_T2_jT3_P12ihipStream_tbPNSt15iterator_traitsISN_E10value_typeEPNST_ISO_E10value_typeEPSP_NS1_7vsmem_tEENKUlT_SN_SO_SP_E_clIS8_S8_S9_S9_EESM_S12_SN_SO_SP_EUlS12_E_NS1_11comp_targetILNS1_3genE9ELNS1_11target_archE1100ELNS1_3gpuE3ELNS1_3repE0EEENS1_48merge_mergepath_partition_config_static_selectorELNS0_4arch9wavefront6targetE0EEEvSO_.private_seg_size, 0
	.set _ZN7rocprim17ROCPRIM_400000_NS6detail17trampoline_kernelINS0_14default_configENS1_38merge_sort_block_merge_config_selectorIlNS0_10empty_typeEEEZZNS1_27merge_sort_block_merge_implIS3_PlPS5_mZN2at6native12_GLOBAL__N_124unique_dim_cuda_templateIN3c104HalfEEESt5tupleIJNSA_6TensorESH_SH_EERKSH_lbbbEUlllE_EE10hipError_tT0_T1_T2_jT3_P12ihipStream_tbPNSt15iterator_traitsISN_E10value_typeEPNST_ISO_E10value_typeEPSP_NS1_7vsmem_tEENKUlT_SN_SO_SP_E_clIS8_S8_S9_S9_EESM_S12_SN_SO_SP_EUlS12_E_NS1_11comp_targetILNS1_3genE9ELNS1_11target_archE1100ELNS1_3gpuE3ELNS1_3repE0EEENS1_48merge_mergepath_partition_config_static_selectorELNS0_4arch9wavefront6targetE0EEEvSO_.uses_vcc, 0
	.set _ZN7rocprim17ROCPRIM_400000_NS6detail17trampoline_kernelINS0_14default_configENS1_38merge_sort_block_merge_config_selectorIlNS0_10empty_typeEEEZZNS1_27merge_sort_block_merge_implIS3_PlPS5_mZN2at6native12_GLOBAL__N_124unique_dim_cuda_templateIN3c104HalfEEESt5tupleIJNSA_6TensorESH_SH_EERKSH_lbbbEUlllE_EE10hipError_tT0_T1_T2_jT3_P12ihipStream_tbPNSt15iterator_traitsISN_E10value_typeEPNST_ISO_E10value_typeEPSP_NS1_7vsmem_tEENKUlT_SN_SO_SP_E_clIS8_S8_S9_S9_EESM_S12_SN_SO_SP_EUlS12_E_NS1_11comp_targetILNS1_3genE9ELNS1_11target_archE1100ELNS1_3gpuE3ELNS1_3repE0EEENS1_48merge_mergepath_partition_config_static_selectorELNS0_4arch9wavefront6targetE0EEEvSO_.uses_flat_scratch, 0
	.set _ZN7rocprim17ROCPRIM_400000_NS6detail17trampoline_kernelINS0_14default_configENS1_38merge_sort_block_merge_config_selectorIlNS0_10empty_typeEEEZZNS1_27merge_sort_block_merge_implIS3_PlPS5_mZN2at6native12_GLOBAL__N_124unique_dim_cuda_templateIN3c104HalfEEESt5tupleIJNSA_6TensorESH_SH_EERKSH_lbbbEUlllE_EE10hipError_tT0_T1_T2_jT3_P12ihipStream_tbPNSt15iterator_traitsISN_E10value_typeEPNST_ISO_E10value_typeEPSP_NS1_7vsmem_tEENKUlT_SN_SO_SP_E_clIS8_S8_S9_S9_EESM_S12_SN_SO_SP_EUlS12_E_NS1_11comp_targetILNS1_3genE9ELNS1_11target_archE1100ELNS1_3gpuE3ELNS1_3repE0EEENS1_48merge_mergepath_partition_config_static_selectorELNS0_4arch9wavefront6targetE0EEEvSO_.has_dyn_sized_stack, 0
	.set _ZN7rocprim17ROCPRIM_400000_NS6detail17trampoline_kernelINS0_14default_configENS1_38merge_sort_block_merge_config_selectorIlNS0_10empty_typeEEEZZNS1_27merge_sort_block_merge_implIS3_PlPS5_mZN2at6native12_GLOBAL__N_124unique_dim_cuda_templateIN3c104HalfEEESt5tupleIJNSA_6TensorESH_SH_EERKSH_lbbbEUlllE_EE10hipError_tT0_T1_T2_jT3_P12ihipStream_tbPNSt15iterator_traitsISN_E10value_typeEPNST_ISO_E10value_typeEPSP_NS1_7vsmem_tEENKUlT_SN_SO_SP_E_clIS8_S8_S9_S9_EESM_S12_SN_SO_SP_EUlS12_E_NS1_11comp_targetILNS1_3genE9ELNS1_11target_archE1100ELNS1_3gpuE3ELNS1_3repE0EEENS1_48merge_mergepath_partition_config_static_selectorELNS0_4arch9wavefront6targetE0EEEvSO_.has_recursion, 0
	.set _ZN7rocprim17ROCPRIM_400000_NS6detail17trampoline_kernelINS0_14default_configENS1_38merge_sort_block_merge_config_selectorIlNS0_10empty_typeEEEZZNS1_27merge_sort_block_merge_implIS3_PlPS5_mZN2at6native12_GLOBAL__N_124unique_dim_cuda_templateIN3c104HalfEEESt5tupleIJNSA_6TensorESH_SH_EERKSH_lbbbEUlllE_EE10hipError_tT0_T1_T2_jT3_P12ihipStream_tbPNSt15iterator_traitsISN_E10value_typeEPNST_ISO_E10value_typeEPSP_NS1_7vsmem_tEENKUlT_SN_SO_SP_E_clIS8_S8_S9_S9_EESM_S12_SN_SO_SP_EUlS12_E_NS1_11comp_targetILNS1_3genE9ELNS1_11target_archE1100ELNS1_3gpuE3ELNS1_3repE0EEENS1_48merge_mergepath_partition_config_static_selectorELNS0_4arch9wavefront6targetE0EEEvSO_.has_indirect_call, 0
	.section	.AMDGPU.csdata,"",@progbits
; Kernel info:
; codeLenInByte = 0
; TotalNumSgprs: 0
; NumVgprs: 0
; ScratchSize: 0
; MemoryBound: 0
; FloatMode: 240
; IeeeMode: 1
; LDSByteSize: 0 bytes/workgroup (compile time only)
; SGPRBlocks: 0
; VGPRBlocks: 0
; NumSGPRsForWavesPerEU: 1
; NumVGPRsForWavesPerEU: 1
; NamedBarCnt: 0
; Occupancy: 16
; WaveLimiterHint : 0
; COMPUTE_PGM_RSRC2:SCRATCH_EN: 0
; COMPUTE_PGM_RSRC2:USER_SGPR: 2
; COMPUTE_PGM_RSRC2:TRAP_HANDLER: 0
; COMPUTE_PGM_RSRC2:TGID_X_EN: 1
; COMPUTE_PGM_RSRC2:TGID_Y_EN: 0
; COMPUTE_PGM_RSRC2:TGID_Z_EN: 0
; COMPUTE_PGM_RSRC2:TIDIG_COMP_CNT: 0
	.section	.text._ZN7rocprim17ROCPRIM_400000_NS6detail17trampoline_kernelINS0_14default_configENS1_38merge_sort_block_merge_config_selectorIlNS0_10empty_typeEEEZZNS1_27merge_sort_block_merge_implIS3_PlPS5_mZN2at6native12_GLOBAL__N_124unique_dim_cuda_templateIN3c104HalfEEESt5tupleIJNSA_6TensorESH_SH_EERKSH_lbbbEUlllE_EE10hipError_tT0_T1_T2_jT3_P12ihipStream_tbPNSt15iterator_traitsISN_E10value_typeEPNST_ISO_E10value_typeEPSP_NS1_7vsmem_tEENKUlT_SN_SO_SP_E_clIS8_S8_S9_S9_EESM_S12_SN_SO_SP_EUlS12_E_NS1_11comp_targetILNS1_3genE8ELNS1_11target_archE1030ELNS1_3gpuE2ELNS1_3repE0EEENS1_48merge_mergepath_partition_config_static_selectorELNS0_4arch9wavefront6targetE0EEEvSO_,"axG",@progbits,_ZN7rocprim17ROCPRIM_400000_NS6detail17trampoline_kernelINS0_14default_configENS1_38merge_sort_block_merge_config_selectorIlNS0_10empty_typeEEEZZNS1_27merge_sort_block_merge_implIS3_PlPS5_mZN2at6native12_GLOBAL__N_124unique_dim_cuda_templateIN3c104HalfEEESt5tupleIJNSA_6TensorESH_SH_EERKSH_lbbbEUlllE_EE10hipError_tT0_T1_T2_jT3_P12ihipStream_tbPNSt15iterator_traitsISN_E10value_typeEPNST_ISO_E10value_typeEPSP_NS1_7vsmem_tEENKUlT_SN_SO_SP_E_clIS8_S8_S9_S9_EESM_S12_SN_SO_SP_EUlS12_E_NS1_11comp_targetILNS1_3genE8ELNS1_11target_archE1030ELNS1_3gpuE2ELNS1_3repE0EEENS1_48merge_mergepath_partition_config_static_selectorELNS0_4arch9wavefront6targetE0EEEvSO_,comdat
	.globl	_ZN7rocprim17ROCPRIM_400000_NS6detail17trampoline_kernelINS0_14default_configENS1_38merge_sort_block_merge_config_selectorIlNS0_10empty_typeEEEZZNS1_27merge_sort_block_merge_implIS3_PlPS5_mZN2at6native12_GLOBAL__N_124unique_dim_cuda_templateIN3c104HalfEEESt5tupleIJNSA_6TensorESH_SH_EERKSH_lbbbEUlllE_EE10hipError_tT0_T1_T2_jT3_P12ihipStream_tbPNSt15iterator_traitsISN_E10value_typeEPNST_ISO_E10value_typeEPSP_NS1_7vsmem_tEENKUlT_SN_SO_SP_E_clIS8_S8_S9_S9_EESM_S12_SN_SO_SP_EUlS12_E_NS1_11comp_targetILNS1_3genE8ELNS1_11target_archE1030ELNS1_3gpuE2ELNS1_3repE0EEENS1_48merge_mergepath_partition_config_static_selectorELNS0_4arch9wavefront6targetE0EEEvSO_ ; -- Begin function _ZN7rocprim17ROCPRIM_400000_NS6detail17trampoline_kernelINS0_14default_configENS1_38merge_sort_block_merge_config_selectorIlNS0_10empty_typeEEEZZNS1_27merge_sort_block_merge_implIS3_PlPS5_mZN2at6native12_GLOBAL__N_124unique_dim_cuda_templateIN3c104HalfEEESt5tupleIJNSA_6TensorESH_SH_EERKSH_lbbbEUlllE_EE10hipError_tT0_T1_T2_jT3_P12ihipStream_tbPNSt15iterator_traitsISN_E10value_typeEPNST_ISO_E10value_typeEPSP_NS1_7vsmem_tEENKUlT_SN_SO_SP_E_clIS8_S8_S9_S9_EESM_S12_SN_SO_SP_EUlS12_E_NS1_11comp_targetILNS1_3genE8ELNS1_11target_archE1030ELNS1_3gpuE2ELNS1_3repE0EEENS1_48merge_mergepath_partition_config_static_selectorELNS0_4arch9wavefront6targetE0EEEvSO_
	.p2align	8
	.type	_ZN7rocprim17ROCPRIM_400000_NS6detail17trampoline_kernelINS0_14default_configENS1_38merge_sort_block_merge_config_selectorIlNS0_10empty_typeEEEZZNS1_27merge_sort_block_merge_implIS3_PlPS5_mZN2at6native12_GLOBAL__N_124unique_dim_cuda_templateIN3c104HalfEEESt5tupleIJNSA_6TensorESH_SH_EERKSH_lbbbEUlllE_EE10hipError_tT0_T1_T2_jT3_P12ihipStream_tbPNSt15iterator_traitsISN_E10value_typeEPNST_ISO_E10value_typeEPSP_NS1_7vsmem_tEENKUlT_SN_SO_SP_E_clIS8_S8_S9_S9_EESM_S12_SN_SO_SP_EUlS12_E_NS1_11comp_targetILNS1_3genE8ELNS1_11target_archE1030ELNS1_3gpuE2ELNS1_3repE0EEENS1_48merge_mergepath_partition_config_static_selectorELNS0_4arch9wavefront6targetE0EEEvSO_,@function
_ZN7rocprim17ROCPRIM_400000_NS6detail17trampoline_kernelINS0_14default_configENS1_38merge_sort_block_merge_config_selectorIlNS0_10empty_typeEEEZZNS1_27merge_sort_block_merge_implIS3_PlPS5_mZN2at6native12_GLOBAL__N_124unique_dim_cuda_templateIN3c104HalfEEESt5tupleIJNSA_6TensorESH_SH_EERKSH_lbbbEUlllE_EE10hipError_tT0_T1_T2_jT3_P12ihipStream_tbPNSt15iterator_traitsISN_E10value_typeEPNST_ISO_E10value_typeEPSP_NS1_7vsmem_tEENKUlT_SN_SO_SP_E_clIS8_S8_S9_S9_EESM_S12_SN_SO_SP_EUlS12_E_NS1_11comp_targetILNS1_3genE8ELNS1_11target_archE1030ELNS1_3gpuE2ELNS1_3repE0EEENS1_48merge_mergepath_partition_config_static_selectorELNS0_4arch9wavefront6targetE0EEEvSO_: ; @_ZN7rocprim17ROCPRIM_400000_NS6detail17trampoline_kernelINS0_14default_configENS1_38merge_sort_block_merge_config_selectorIlNS0_10empty_typeEEEZZNS1_27merge_sort_block_merge_implIS3_PlPS5_mZN2at6native12_GLOBAL__N_124unique_dim_cuda_templateIN3c104HalfEEESt5tupleIJNSA_6TensorESH_SH_EERKSH_lbbbEUlllE_EE10hipError_tT0_T1_T2_jT3_P12ihipStream_tbPNSt15iterator_traitsISN_E10value_typeEPNST_ISO_E10value_typeEPSP_NS1_7vsmem_tEENKUlT_SN_SO_SP_E_clIS8_S8_S9_S9_EESM_S12_SN_SO_SP_EUlS12_E_NS1_11comp_targetILNS1_3genE8ELNS1_11target_archE1030ELNS1_3gpuE2ELNS1_3repE0EEENS1_48merge_mergepath_partition_config_static_selectorELNS0_4arch9wavefront6targetE0EEEvSO_
; %bb.0:
	.section	.rodata,"a",@progbits
	.p2align	6, 0x0
	.amdhsa_kernel _ZN7rocprim17ROCPRIM_400000_NS6detail17trampoline_kernelINS0_14default_configENS1_38merge_sort_block_merge_config_selectorIlNS0_10empty_typeEEEZZNS1_27merge_sort_block_merge_implIS3_PlPS5_mZN2at6native12_GLOBAL__N_124unique_dim_cuda_templateIN3c104HalfEEESt5tupleIJNSA_6TensorESH_SH_EERKSH_lbbbEUlllE_EE10hipError_tT0_T1_T2_jT3_P12ihipStream_tbPNSt15iterator_traitsISN_E10value_typeEPNST_ISO_E10value_typeEPSP_NS1_7vsmem_tEENKUlT_SN_SO_SP_E_clIS8_S8_S9_S9_EESM_S12_SN_SO_SP_EUlS12_E_NS1_11comp_targetILNS1_3genE8ELNS1_11target_archE1030ELNS1_3gpuE2ELNS1_3repE0EEENS1_48merge_mergepath_partition_config_static_selectorELNS0_4arch9wavefront6targetE0EEEvSO_
		.amdhsa_group_segment_fixed_size 0
		.amdhsa_private_segment_fixed_size 0
		.amdhsa_kernarg_size 56
		.amdhsa_user_sgpr_count 2
		.amdhsa_user_sgpr_dispatch_ptr 0
		.amdhsa_user_sgpr_queue_ptr 0
		.amdhsa_user_sgpr_kernarg_segment_ptr 1
		.amdhsa_user_sgpr_dispatch_id 0
		.amdhsa_user_sgpr_kernarg_preload_length 0
		.amdhsa_user_sgpr_kernarg_preload_offset 0
		.amdhsa_user_sgpr_private_segment_size 0
		.amdhsa_wavefront_size32 1
		.amdhsa_uses_dynamic_stack 0
		.amdhsa_enable_private_segment 0
		.amdhsa_system_sgpr_workgroup_id_x 1
		.amdhsa_system_sgpr_workgroup_id_y 0
		.amdhsa_system_sgpr_workgroup_id_z 0
		.amdhsa_system_sgpr_workgroup_info 0
		.amdhsa_system_vgpr_workitem_id 0
		.amdhsa_next_free_vgpr 1
		.amdhsa_next_free_sgpr 1
		.amdhsa_named_barrier_count 0
		.amdhsa_reserve_vcc 0
		.amdhsa_float_round_mode_32 0
		.amdhsa_float_round_mode_16_64 0
		.amdhsa_float_denorm_mode_32 3
		.amdhsa_float_denorm_mode_16_64 3
		.amdhsa_fp16_overflow 0
		.amdhsa_memory_ordered 1
		.amdhsa_forward_progress 1
		.amdhsa_inst_pref_size 0
		.amdhsa_round_robin_scheduling 0
		.amdhsa_exception_fp_ieee_invalid_op 0
		.amdhsa_exception_fp_denorm_src 0
		.amdhsa_exception_fp_ieee_div_zero 0
		.amdhsa_exception_fp_ieee_overflow 0
		.amdhsa_exception_fp_ieee_underflow 0
		.amdhsa_exception_fp_ieee_inexact 0
		.amdhsa_exception_int_div_zero 0
	.end_amdhsa_kernel
	.section	.text._ZN7rocprim17ROCPRIM_400000_NS6detail17trampoline_kernelINS0_14default_configENS1_38merge_sort_block_merge_config_selectorIlNS0_10empty_typeEEEZZNS1_27merge_sort_block_merge_implIS3_PlPS5_mZN2at6native12_GLOBAL__N_124unique_dim_cuda_templateIN3c104HalfEEESt5tupleIJNSA_6TensorESH_SH_EERKSH_lbbbEUlllE_EE10hipError_tT0_T1_T2_jT3_P12ihipStream_tbPNSt15iterator_traitsISN_E10value_typeEPNST_ISO_E10value_typeEPSP_NS1_7vsmem_tEENKUlT_SN_SO_SP_E_clIS8_S8_S9_S9_EESM_S12_SN_SO_SP_EUlS12_E_NS1_11comp_targetILNS1_3genE8ELNS1_11target_archE1030ELNS1_3gpuE2ELNS1_3repE0EEENS1_48merge_mergepath_partition_config_static_selectorELNS0_4arch9wavefront6targetE0EEEvSO_,"axG",@progbits,_ZN7rocprim17ROCPRIM_400000_NS6detail17trampoline_kernelINS0_14default_configENS1_38merge_sort_block_merge_config_selectorIlNS0_10empty_typeEEEZZNS1_27merge_sort_block_merge_implIS3_PlPS5_mZN2at6native12_GLOBAL__N_124unique_dim_cuda_templateIN3c104HalfEEESt5tupleIJNSA_6TensorESH_SH_EERKSH_lbbbEUlllE_EE10hipError_tT0_T1_T2_jT3_P12ihipStream_tbPNSt15iterator_traitsISN_E10value_typeEPNST_ISO_E10value_typeEPSP_NS1_7vsmem_tEENKUlT_SN_SO_SP_E_clIS8_S8_S9_S9_EESM_S12_SN_SO_SP_EUlS12_E_NS1_11comp_targetILNS1_3genE8ELNS1_11target_archE1030ELNS1_3gpuE2ELNS1_3repE0EEENS1_48merge_mergepath_partition_config_static_selectorELNS0_4arch9wavefront6targetE0EEEvSO_,comdat
.Lfunc_end1255:
	.size	_ZN7rocprim17ROCPRIM_400000_NS6detail17trampoline_kernelINS0_14default_configENS1_38merge_sort_block_merge_config_selectorIlNS0_10empty_typeEEEZZNS1_27merge_sort_block_merge_implIS3_PlPS5_mZN2at6native12_GLOBAL__N_124unique_dim_cuda_templateIN3c104HalfEEESt5tupleIJNSA_6TensorESH_SH_EERKSH_lbbbEUlllE_EE10hipError_tT0_T1_T2_jT3_P12ihipStream_tbPNSt15iterator_traitsISN_E10value_typeEPNST_ISO_E10value_typeEPSP_NS1_7vsmem_tEENKUlT_SN_SO_SP_E_clIS8_S8_S9_S9_EESM_S12_SN_SO_SP_EUlS12_E_NS1_11comp_targetILNS1_3genE8ELNS1_11target_archE1030ELNS1_3gpuE2ELNS1_3repE0EEENS1_48merge_mergepath_partition_config_static_selectorELNS0_4arch9wavefront6targetE0EEEvSO_, .Lfunc_end1255-_ZN7rocprim17ROCPRIM_400000_NS6detail17trampoline_kernelINS0_14default_configENS1_38merge_sort_block_merge_config_selectorIlNS0_10empty_typeEEEZZNS1_27merge_sort_block_merge_implIS3_PlPS5_mZN2at6native12_GLOBAL__N_124unique_dim_cuda_templateIN3c104HalfEEESt5tupleIJNSA_6TensorESH_SH_EERKSH_lbbbEUlllE_EE10hipError_tT0_T1_T2_jT3_P12ihipStream_tbPNSt15iterator_traitsISN_E10value_typeEPNST_ISO_E10value_typeEPSP_NS1_7vsmem_tEENKUlT_SN_SO_SP_E_clIS8_S8_S9_S9_EESM_S12_SN_SO_SP_EUlS12_E_NS1_11comp_targetILNS1_3genE8ELNS1_11target_archE1030ELNS1_3gpuE2ELNS1_3repE0EEENS1_48merge_mergepath_partition_config_static_selectorELNS0_4arch9wavefront6targetE0EEEvSO_
                                        ; -- End function
	.set _ZN7rocprim17ROCPRIM_400000_NS6detail17trampoline_kernelINS0_14default_configENS1_38merge_sort_block_merge_config_selectorIlNS0_10empty_typeEEEZZNS1_27merge_sort_block_merge_implIS3_PlPS5_mZN2at6native12_GLOBAL__N_124unique_dim_cuda_templateIN3c104HalfEEESt5tupleIJNSA_6TensorESH_SH_EERKSH_lbbbEUlllE_EE10hipError_tT0_T1_T2_jT3_P12ihipStream_tbPNSt15iterator_traitsISN_E10value_typeEPNST_ISO_E10value_typeEPSP_NS1_7vsmem_tEENKUlT_SN_SO_SP_E_clIS8_S8_S9_S9_EESM_S12_SN_SO_SP_EUlS12_E_NS1_11comp_targetILNS1_3genE8ELNS1_11target_archE1030ELNS1_3gpuE2ELNS1_3repE0EEENS1_48merge_mergepath_partition_config_static_selectorELNS0_4arch9wavefront6targetE0EEEvSO_.num_vgpr, 0
	.set _ZN7rocprim17ROCPRIM_400000_NS6detail17trampoline_kernelINS0_14default_configENS1_38merge_sort_block_merge_config_selectorIlNS0_10empty_typeEEEZZNS1_27merge_sort_block_merge_implIS3_PlPS5_mZN2at6native12_GLOBAL__N_124unique_dim_cuda_templateIN3c104HalfEEESt5tupleIJNSA_6TensorESH_SH_EERKSH_lbbbEUlllE_EE10hipError_tT0_T1_T2_jT3_P12ihipStream_tbPNSt15iterator_traitsISN_E10value_typeEPNST_ISO_E10value_typeEPSP_NS1_7vsmem_tEENKUlT_SN_SO_SP_E_clIS8_S8_S9_S9_EESM_S12_SN_SO_SP_EUlS12_E_NS1_11comp_targetILNS1_3genE8ELNS1_11target_archE1030ELNS1_3gpuE2ELNS1_3repE0EEENS1_48merge_mergepath_partition_config_static_selectorELNS0_4arch9wavefront6targetE0EEEvSO_.num_agpr, 0
	.set _ZN7rocprim17ROCPRIM_400000_NS6detail17trampoline_kernelINS0_14default_configENS1_38merge_sort_block_merge_config_selectorIlNS0_10empty_typeEEEZZNS1_27merge_sort_block_merge_implIS3_PlPS5_mZN2at6native12_GLOBAL__N_124unique_dim_cuda_templateIN3c104HalfEEESt5tupleIJNSA_6TensorESH_SH_EERKSH_lbbbEUlllE_EE10hipError_tT0_T1_T2_jT3_P12ihipStream_tbPNSt15iterator_traitsISN_E10value_typeEPNST_ISO_E10value_typeEPSP_NS1_7vsmem_tEENKUlT_SN_SO_SP_E_clIS8_S8_S9_S9_EESM_S12_SN_SO_SP_EUlS12_E_NS1_11comp_targetILNS1_3genE8ELNS1_11target_archE1030ELNS1_3gpuE2ELNS1_3repE0EEENS1_48merge_mergepath_partition_config_static_selectorELNS0_4arch9wavefront6targetE0EEEvSO_.numbered_sgpr, 0
	.set _ZN7rocprim17ROCPRIM_400000_NS6detail17trampoline_kernelINS0_14default_configENS1_38merge_sort_block_merge_config_selectorIlNS0_10empty_typeEEEZZNS1_27merge_sort_block_merge_implIS3_PlPS5_mZN2at6native12_GLOBAL__N_124unique_dim_cuda_templateIN3c104HalfEEESt5tupleIJNSA_6TensorESH_SH_EERKSH_lbbbEUlllE_EE10hipError_tT0_T1_T2_jT3_P12ihipStream_tbPNSt15iterator_traitsISN_E10value_typeEPNST_ISO_E10value_typeEPSP_NS1_7vsmem_tEENKUlT_SN_SO_SP_E_clIS8_S8_S9_S9_EESM_S12_SN_SO_SP_EUlS12_E_NS1_11comp_targetILNS1_3genE8ELNS1_11target_archE1030ELNS1_3gpuE2ELNS1_3repE0EEENS1_48merge_mergepath_partition_config_static_selectorELNS0_4arch9wavefront6targetE0EEEvSO_.num_named_barrier, 0
	.set _ZN7rocprim17ROCPRIM_400000_NS6detail17trampoline_kernelINS0_14default_configENS1_38merge_sort_block_merge_config_selectorIlNS0_10empty_typeEEEZZNS1_27merge_sort_block_merge_implIS3_PlPS5_mZN2at6native12_GLOBAL__N_124unique_dim_cuda_templateIN3c104HalfEEESt5tupleIJNSA_6TensorESH_SH_EERKSH_lbbbEUlllE_EE10hipError_tT0_T1_T2_jT3_P12ihipStream_tbPNSt15iterator_traitsISN_E10value_typeEPNST_ISO_E10value_typeEPSP_NS1_7vsmem_tEENKUlT_SN_SO_SP_E_clIS8_S8_S9_S9_EESM_S12_SN_SO_SP_EUlS12_E_NS1_11comp_targetILNS1_3genE8ELNS1_11target_archE1030ELNS1_3gpuE2ELNS1_3repE0EEENS1_48merge_mergepath_partition_config_static_selectorELNS0_4arch9wavefront6targetE0EEEvSO_.private_seg_size, 0
	.set _ZN7rocprim17ROCPRIM_400000_NS6detail17trampoline_kernelINS0_14default_configENS1_38merge_sort_block_merge_config_selectorIlNS0_10empty_typeEEEZZNS1_27merge_sort_block_merge_implIS3_PlPS5_mZN2at6native12_GLOBAL__N_124unique_dim_cuda_templateIN3c104HalfEEESt5tupleIJNSA_6TensorESH_SH_EERKSH_lbbbEUlllE_EE10hipError_tT0_T1_T2_jT3_P12ihipStream_tbPNSt15iterator_traitsISN_E10value_typeEPNST_ISO_E10value_typeEPSP_NS1_7vsmem_tEENKUlT_SN_SO_SP_E_clIS8_S8_S9_S9_EESM_S12_SN_SO_SP_EUlS12_E_NS1_11comp_targetILNS1_3genE8ELNS1_11target_archE1030ELNS1_3gpuE2ELNS1_3repE0EEENS1_48merge_mergepath_partition_config_static_selectorELNS0_4arch9wavefront6targetE0EEEvSO_.uses_vcc, 0
	.set _ZN7rocprim17ROCPRIM_400000_NS6detail17trampoline_kernelINS0_14default_configENS1_38merge_sort_block_merge_config_selectorIlNS0_10empty_typeEEEZZNS1_27merge_sort_block_merge_implIS3_PlPS5_mZN2at6native12_GLOBAL__N_124unique_dim_cuda_templateIN3c104HalfEEESt5tupleIJNSA_6TensorESH_SH_EERKSH_lbbbEUlllE_EE10hipError_tT0_T1_T2_jT3_P12ihipStream_tbPNSt15iterator_traitsISN_E10value_typeEPNST_ISO_E10value_typeEPSP_NS1_7vsmem_tEENKUlT_SN_SO_SP_E_clIS8_S8_S9_S9_EESM_S12_SN_SO_SP_EUlS12_E_NS1_11comp_targetILNS1_3genE8ELNS1_11target_archE1030ELNS1_3gpuE2ELNS1_3repE0EEENS1_48merge_mergepath_partition_config_static_selectorELNS0_4arch9wavefront6targetE0EEEvSO_.uses_flat_scratch, 0
	.set _ZN7rocprim17ROCPRIM_400000_NS6detail17trampoline_kernelINS0_14default_configENS1_38merge_sort_block_merge_config_selectorIlNS0_10empty_typeEEEZZNS1_27merge_sort_block_merge_implIS3_PlPS5_mZN2at6native12_GLOBAL__N_124unique_dim_cuda_templateIN3c104HalfEEESt5tupleIJNSA_6TensorESH_SH_EERKSH_lbbbEUlllE_EE10hipError_tT0_T1_T2_jT3_P12ihipStream_tbPNSt15iterator_traitsISN_E10value_typeEPNST_ISO_E10value_typeEPSP_NS1_7vsmem_tEENKUlT_SN_SO_SP_E_clIS8_S8_S9_S9_EESM_S12_SN_SO_SP_EUlS12_E_NS1_11comp_targetILNS1_3genE8ELNS1_11target_archE1030ELNS1_3gpuE2ELNS1_3repE0EEENS1_48merge_mergepath_partition_config_static_selectorELNS0_4arch9wavefront6targetE0EEEvSO_.has_dyn_sized_stack, 0
	.set _ZN7rocprim17ROCPRIM_400000_NS6detail17trampoline_kernelINS0_14default_configENS1_38merge_sort_block_merge_config_selectorIlNS0_10empty_typeEEEZZNS1_27merge_sort_block_merge_implIS3_PlPS5_mZN2at6native12_GLOBAL__N_124unique_dim_cuda_templateIN3c104HalfEEESt5tupleIJNSA_6TensorESH_SH_EERKSH_lbbbEUlllE_EE10hipError_tT0_T1_T2_jT3_P12ihipStream_tbPNSt15iterator_traitsISN_E10value_typeEPNST_ISO_E10value_typeEPSP_NS1_7vsmem_tEENKUlT_SN_SO_SP_E_clIS8_S8_S9_S9_EESM_S12_SN_SO_SP_EUlS12_E_NS1_11comp_targetILNS1_3genE8ELNS1_11target_archE1030ELNS1_3gpuE2ELNS1_3repE0EEENS1_48merge_mergepath_partition_config_static_selectorELNS0_4arch9wavefront6targetE0EEEvSO_.has_recursion, 0
	.set _ZN7rocprim17ROCPRIM_400000_NS6detail17trampoline_kernelINS0_14default_configENS1_38merge_sort_block_merge_config_selectorIlNS0_10empty_typeEEEZZNS1_27merge_sort_block_merge_implIS3_PlPS5_mZN2at6native12_GLOBAL__N_124unique_dim_cuda_templateIN3c104HalfEEESt5tupleIJNSA_6TensorESH_SH_EERKSH_lbbbEUlllE_EE10hipError_tT0_T1_T2_jT3_P12ihipStream_tbPNSt15iterator_traitsISN_E10value_typeEPNST_ISO_E10value_typeEPSP_NS1_7vsmem_tEENKUlT_SN_SO_SP_E_clIS8_S8_S9_S9_EESM_S12_SN_SO_SP_EUlS12_E_NS1_11comp_targetILNS1_3genE8ELNS1_11target_archE1030ELNS1_3gpuE2ELNS1_3repE0EEENS1_48merge_mergepath_partition_config_static_selectorELNS0_4arch9wavefront6targetE0EEEvSO_.has_indirect_call, 0
	.section	.AMDGPU.csdata,"",@progbits
; Kernel info:
; codeLenInByte = 0
; TotalNumSgprs: 0
; NumVgprs: 0
; ScratchSize: 0
; MemoryBound: 0
; FloatMode: 240
; IeeeMode: 1
; LDSByteSize: 0 bytes/workgroup (compile time only)
; SGPRBlocks: 0
; VGPRBlocks: 0
; NumSGPRsForWavesPerEU: 1
; NumVGPRsForWavesPerEU: 1
; NamedBarCnt: 0
; Occupancy: 16
; WaveLimiterHint : 0
; COMPUTE_PGM_RSRC2:SCRATCH_EN: 0
; COMPUTE_PGM_RSRC2:USER_SGPR: 2
; COMPUTE_PGM_RSRC2:TRAP_HANDLER: 0
; COMPUTE_PGM_RSRC2:TGID_X_EN: 1
; COMPUTE_PGM_RSRC2:TGID_Y_EN: 0
; COMPUTE_PGM_RSRC2:TGID_Z_EN: 0
; COMPUTE_PGM_RSRC2:TIDIG_COMP_CNT: 0
	.section	.text._ZN7rocprim17ROCPRIM_400000_NS6detail17trampoline_kernelINS0_14default_configENS1_38merge_sort_block_merge_config_selectorIlNS0_10empty_typeEEEZZNS1_27merge_sort_block_merge_implIS3_PlPS5_mZN2at6native12_GLOBAL__N_124unique_dim_cuda_templateIN3c104HalfEEESt5tupleIJNSA_6TensorESH_SH_EERKSH_lbbbEUlllE_EE10hipError_tT0_T1_T2_jT3_P12ihipStream_tbPNSt15iterator_traitsISN_E10value_typeEPNST_ISO_E10value_typeEPSP_NS1_7vsmem_tEENKUlT_SN_SO_SP_E_clIS8_S8_S9_S9_EESM_S12_SN_SO_SP_EUlS12_E0_NS1_11comp_targetILNS1_3genE0ELNS1_11target_archE4294967295ELNS1_3gpuE0ELNS1_3repE0EEENS1_38merge_mergepath_config_static_selectorELNS0_4arch9wavefront6targetE0EEEvSO_,"axG",@progbits,_ZN7rocprim17ROCPRIM_400000_NS6detail17trampoline_kernelINS0_14default_configENS1_38merge_sort_block_merge_config_selectorIlNS0_10empty_typeEEEZZNS1_27merge_sort_block_merge_implIS3_PlPS5_mZN2at6native12_GLOBAL__N_124unique_dim_cuda_templateIN3c104HalfEEESt5tupleIJNSA_6TensorESH_SH_EERKSH_lbbbEUlllE_EE10hipError_tT0_T1_T2_jT3_P12ihipStream_tbPNSt15iterator_traitsISN_E10value_typeEPNST_ISO_E10value_typeEPSP_NS1_7vsmem_tEENKUlT_SN_SO_SP_E_clIS8_S8_S9_S9_EESM_S12_SN_SO_SP_EUlS12_E0_NS1_11comp_targetILNS1_3genE0ELNS1_11target_archE4294967295ELNS1_3gpuE0ELNS1_3repE0EEENS1_38merge_mergepath_config_static_selectorELNS0_4arch9wavefront6targetE0EEEvSO_,comdat
	.globl	_ZN7rocprim17ROCPRIM_400000_NS6detail17trampoline_kernelINS0_14default_configENS1_38merge_sort_block_merge_config_selectorIlNS0_10empty_typeEEEZZNS1_27merge_sort_block_merge_implIS3_PlPS5_mZN2at6native12_GLOBAL__N_124unique_dim_cuda_templateIN3c104HalfEEESt5tupleIJNSA_6TensorESH_SH_EERKSH_lbbbEUlllE_EE10hipError_tT0_T1_T2_jT3_P12ihipStream_tbPNSt15iterator_traitsISN_E10value_typeEPNST_ISO_E10value_typeEPSP_NS1_7vsmem_tEENKUlT_SN_SO_SP_E_clIS8_S8_S9_S9_EESM_S12_SN_SO_SP_EUlS12_E0_NS1_11comp_targetILNS1_3genE0ELNS1_11target_archE4294967295ELNS1_3gpuE0ELNS1_3repE0EEENS1_38merge_mergepath_config_static_selectorELNS0_4arch9wavefront6targetE0EEEvSO_ ; -- Begin function _ZN7rocprim17ROCPRIM_400000_NS6detail17trampoline_kernelINS0_14default_configENS1_38merge_sort_block_merge_config_selectorIlNS0_10empty_typeEEEZZNS1_27merge_sort_block_merge_implIS3_PlPS5_mZN2at6native12_GLOBAL__N_124unique_dim_cuda_templateIN3c104HalfEEESt5tupleIJNSA_6TensorESH_SH_EERKSH_lbbbEUlllE_EE10hipError_tT0_T1_T2_jT3_P12ihipStream_tbPNSt15iterator_traitsISN_E10value_typeEPNST_ISO_E10value_typeEPSP_NS1_7vsmem_tEENKUlT_SN_SO_SP_E_clIS8_S8_S9_S9_EESM_S12_SN_SO_SP_EUlS12_E0_NS1_11comp_targetILNS1_3genE0ELNS1_11target_archE4294967295ELNS1_3gpuE0ELNS1_3repE0EEENS1_38merge_mergepath_config_static_selectorELNS0_4arch9wavefront6targetE0EEEvSO_
	.p2align	8
	.type	_ZN7rocprim17ROCPRIM_400000_NS6detail17trampoline_kernelINS0_14default_configENS1_38merge_sort_block_merge_config_selectorIlNS0_10empty_typeEEEZZNS1_27merge_sort_block_merge_implIS3_PlPS5_mZN2at6native12_GLOBAL__N_124unique_dim_cuda_templateIN3c104HalfEEESt5tupleIJNSA_6TensorESH_SH_EERKSH_lbbbEUlllE_EE10hipError_tT0_T1_T2_jT3_P12ihipStream_tbPNSt15iterator_traitsISN_E10value_typeEPNST_ISO_E10value_typeEPSP_NS1_7vsmem_tEENKUlT_SN_SO_SP_E_clIS8_S8_S9_S9_EESM_S12_SN_SO_SP_EUlS12_E0_NS1_11comp_targetILNS1_3genE0ELNS1_11target_archE4294967295ELNS1_3gpuE0ELNS1_3repE0EEENS1_38merge_mergepath_config_static_selectorELNS0_4arch9wavefront6targetE0EEEvSO_,@function
_ZN7rocprim17ROCPRIM_400000_NS6detail17trampoline_kernelINS0_14default_configENS1_38merge_sort_block_merge_config_selectorIlNS0_10empty_typeEEEZZNS1_27merge_sort_block_merge_implIS3_PlPS5_mZN2at6native12_GLOBAL__N_124unique_dim_cuda_templateIN3c104HalfEEESt5tupleIJNSA_6TensorESH_SH_EERKSH_lbbbEUlllE_EE10hipError_tT0_T1_T2_jT3_P12ihipStream_tbPNSt15iterator_traitsISN_E10value_typeEPNST_ISO_E10value_typeEPSP_NS1_7vsmem_tEENKUlT_SN_SO_SP_E_clIS8_S8_S9_S9_EESM_S12_SN_SO_SP_EUlS12_E0_NS1_11comp_targetILNS1_3genE0ELNS1_11target_archE4294967295ELNS1_3gpuE0ELNS1_3repE0EEENS1_38merge_mergepath_config_static_selectorELNS0_4arch9wavefront6targetE0EEEvSO_: ; @_ZN7rocprim17ROCPRIM_400000_NS6detail17trampoline_kernelINS0_14default_configENS1_38merge_sort_block_merge_config_selectorIlNS0_10empty_typeEEEZZNS1_27merge_sort_block_merge_implIS3_PlPS5_mZN2at6native12_GLOBAL__N_124unique_dim_cuda_templateIN3c104HalfEEESt5tupleIJNSA_6TensorESH_SH_EERKSH_lbbbEUlllE_EE10hipError_tT0_T1_T2_jT3_P12ihipStream_tbPNSt15iterator_traitsISN_E10value_typeEPNST_ISO_E10value_typeEPSP_NS1_7vsmem_tEENKUlT_SN_SO_SP_E_clIS8_S8_S9_S9_EESM_S12_SN_SO_SP_EUlS12_E0_NS1_11comp_targetILNS1_3genE0ELNS1_11target_archE4294967295ELNS1_3gpuE0ELNS1_3repE0EEENS1_38merge_mergepath_config_static_selectorELNS0_4arch9wavefront6targetE0EEEvSO_
; %bb.0:
	s_bfe_u32 s2, ttmp6, 0x40010
	s_and_b32 s4, ttmp7, 0xffff
	s_add_co_i32 s5, s2, 1
	s_clause 0x1
	s_load_b32 s6, s[0:1], 0x38
	s_load_b64 s[2:3], s[0:1], 0x58
	s_bfe_u32 s8, ttmp6, 0x4000c
	s_mul_i32 s5, s4, s5
	s_bfe_u32 s7, ttmp6, 0x40004
	s_add_co_i32 s8, s8, 1
	s_bfe_u32 s9, ttmp6, 0x40014
	s_add_co_i32 s7, s7, s5
	s_and_b32 s5, ttmp6, 15
	s_mul_i32 s8, ttmp9, s8
	s_lshr_b32 s10, ttmp7, 16
	s_add_co_i32 s9, s9, 1
	s_add_co_i32 s5, s5, s8
	s_mul_i32 s8, s10, s9
	s_bfe_u32 s9, ttmp6, 0x40008
	s_getreg_b32 s11, hwreg(HW_REG_IB_STS2, 6, 4)
	s_add_co_i32 s9, s9, s8
	s_cmp_eq_u32 s11, 0
	s_mov_b32 s19, 0
	s_cselect_b32 s8, s10, s9
	s_cselect_b32 s4, s4, s7
	s_wait_kmcnt 0x0
	s_mul_i32 s8, s3, s8
	s_cselect_b32 s3, ttmp9, s5
	s_add_co_i32 s4, s8, s4
	s_delay_alu instid0(SALU_CYCLE_1) | instskip(NEXT) | instid1(SALU_CYCLE_1)
	s_mul_i32 s4, s4, s2
	s_add_co_i32 s18, s4, s3
	s_delay_alu instid0(SALU_CYCLE_1)
	s_cmp_ge_u32 s18, s6
	s_cbranch_scc1 .LBB1256_134
; %bb.1:
	s_clause 0x1
	s_load_b64 s[4:5], s[0:1], 0x50
	s_load_b128 s[8:11], s[0:1], 0x28
	s_lshl_b64 s[6:7], s[18:19], 3
	s_mov_b32 s23, s19
	s_add_nc_u64 s[20:21], s[0:1], 0x58
	s_wait_kmcnt 0x0
	s_add_nc_u64 s[16:17], s[4:5], s[6:7]
	s_load_b128 s[12:15], s[16:17], 0x0
	s_load_b128 s[4:7], s[0:1], 0x8
	s_wait_xcnt 0x0
	s_lshr_b64 s[16:17], s[10:11], 9
	s_delay_alu instid0(SALU_CYCLE_1) | instskip(NEXT) | instid1(SALU_CYCLE_1)
	s_and_b32 s16, s16, -2
	s_sub_co_i32 s30, 0, s16
	s_lshl_b64 s[16:17], s[18:19], 10
	s_and_b32 s22, s18, s30
	s_or_b32 s30, s18, s30
	s_lshl_b64 s[24:25], s[22:23], 10
	s_lshl_b64 s[22:23], s[22:23], 11
	s_sub_nc_u64 s[28:29], s[16:17], s[24:25]
	s_add_nc_u64 s[26:27], s[22:23], s[10:11]
	s_cmp_lg_u32 s30, -1
	s_add_nc_u64 s[22:23], s[26:27], s[28:29]
	s_mov_b32 s28, -1
	s_cbranch_scc0 .LBB1256_3
; %bb.2:
	s_wait_kmcnt 0x0
	s_sub_nc_u64 s[10:11], s[22:23], s[14:15]
	v_mov_b64_e32 v[2:3], s[14:15]
	s_add_nc_u64 s[10:11], s[10:11], 0x400
	s_branch .LBB1256_4
.LBB1256_3:
	s_wait_kmcnt 0x0
	s_sub_nc_u64 s[14:15], s[26:27], s[24:25]
	s_delay_alu instid0(SALU_CYCLE_1)
	v_min_u64 v[2:3], s[8:9], s[14:15]
	s_add_nc_u64 s[10:11], s[14:15], s[10:11]
.LBB1256_4:
	v_mov_b32_e32 v21, 0
	v_min_u64 v[4:5], s[8:9], s[10:11]
	s_sub_nc_u64 s[10:11], s[22:23], s[12:13]
	v_lshlrev_b32_e32 v20, 3, v0
	v_min_u64 v[6:7], s[8:9], s[10:11]
	global_load_b32 v1, v21, s[20:21] offset:14
	s_lshr_b64 s[10:11], s[8:9], 10
	s_delay_alu instid0(SALU_CYCLE_1)
	s_cmp_lg_u64 s[10:11], s[18:19]
	s_cselect_b32 s9, -1, 0
	s_lshl_b64 s[14:15], s[12:13], 3
	s_cmp_lt_u32 s3, s2
	s_mov_b32 s3, 0
	s_cselect_b32 s2, 12, 18
	s_cmp_eq_u64 s[10:11], s[18:19]
	s_add_nc_u64 s[2:3], s[20:21], s[2:3]
	s_add_nc_u64 s[10:11], s[4:5], s[14:15]
	s_load_u16 s2, s[2:3], 0x0
	v_lshlrev_b64_e32 v[8:9], 3, v[6:7]
	v_sub_nc_u32_e32 v24, v4, v6
	s_delay_alu instid0(VALU_DEP_2) | instskip(SKIP_3) | instid1(VALU_DEP_1)
	v_add_nc_u64_e32 v[22:23], s[4:5], v[8:9]
	s_wait_loadcnt 0x0
	v_lshrrev_b32_e32 v3, 16, v1
	v_and_b32_e32 v1, 0xffff, v1
	v_mul_lo_u32 v1, v1, v3
	s_wait_kmcnt 0x0
	s_delay_alu instid0(VALU_DEP_1)
	v_mul_lo_u32 v25, v1, s2
	v_subrev_nc_u32_e32 v1, s12, v2
	s_cbranch_scc1 .LBB1256_6
; %bb.5:
	s_delay_alu instid0(VALU_DEP_1) | instskip(SKIP_3) | instid1(VALU_DEP_3)
	v_sub_co_u32 v4, vcc_lo, v0, v1
	v_dual_mov_b32 v5, v21 :: v_dual_mov_b32 v7, v21
	v_add_nc_u64_e32 v[2:3], s[10:11], v[20:21]
	v_dual_mov_b32 v17, v21 :: v_dual_mov_b32 v19, v21
	v_lshl_add_u64 v[4:5], v[4:5], 3, v[22:23]
	v_add_nc_u32_e32 v6, v25, v0
	s_delay_alu instid0(VALU_DEP_2) | instskip(NEXT) | instid1(VALU_DEP_2)
	v_dual_add_nc_u32 v36, v1, v24 :: v_dual_cndmask_b32 v2, v4, v2, vcc_lo
	v_lshl_add_u64 v[8:9], v[6:7], 3, s[10:11]
	v_sub_co_u32 v10, s2, v6, v1
	v_dual_mov_b32 v11, v21 :: v_dual_add_nc_u32 v6, v6, v25
	v_cndmask_b32_e32 v3, v5, v3, vcc_lo
	s_delay_alu instid0(VALU_DEP_2) | instskip(NEXT) | instid1(VALU_DEP_3)
	v_lshl_add_u64 v[4:5], v[10:11], 3, v[22:23]
	v_lshl_add_u64 v[10:11], v[6:7], 3, s[10:11]
	v_sub_co_u32 v12, vcc_lo, v6, v1
	s_delay_alu instid0(VALU_DEP_3) | instskip(SKIP_3) | instid1(VALU_DEP_4)
	v_dual_mov_b32 v13, v21 :: v_dual_cndmask_b32 v4, v4, v8, s2
	v_add_nc_u32_e32 v6, v6, v25
	v_cndmask_b32_e64 v5, v5, v9, s2
	v_mov_b32_e32 v15, v21
	v_lshl_add_u64 v[8:9], v[12:13], 3, v[22:23]
	global_load_b64 v[2:3], v[2:3], off
	v_lshl_add_u64 v[12:13], v[6:7], 3, s[10:11]
	v_sub_co_u32 v14, s2, v6, v1
	v_dual_cndmask_b32 v9, v9, v11 :: v_dual_add_nc_u32 v6, v6, v25
	v_cndmask_b32_e32 v8, v8, v10, vcc_lo
	s_delay_alu instid0(VALU_DEP_3) | instskip(SKIP_4) | instid1(VALU_DEP_3)
	v_lshl_add_u64 v[10:11], v[14:15], 3, v[22:23]
	global_load_b64 v[4:5], v[4:5], off
	v_add_nc_u32_e32 v18, v6, v25
	v_sub_co_u32 v16, vcc_lo, v6, v1
	v_dual_cndmask_b32 v27, v11, v13, s2 :: v_dual_cndmask_b32 v26, v10, v12, s2
	v_dual_mov_b32 v13, v21 :: v_dual_add_nc_u32 v12, v18, v25
	v_lshl_add_u64 v[14:15], v[6:7], 3, s[10:11]
	global_load_b64 v[6:7], v[8:9], off
	s_wait_xcnt 0x0
	v_lshl_add_u64 v[8:9], v[16:17], 3, v[22:23]
	v_lshl_add_u64 v[10:11], v[18:19], 3, s[10:11]
	v_sub_co_u32 v16, s2, v18, v1
	s_delay_alu instid0(VALU_DEP_3) | instskip(SKIP_2) | instid1(VALU_DEP_3)
	v_dual_cndmask_b32 v33, v9, v15 :: v_dual_add_nc_u32 v18, v12, v25
	v_lshl_add_u64 v[28:29], v[12:13], 3, s[10:11]
	v_sub_co_u32 v12, s3, v12, v1
	v_lshl_add_u64 v[30:31], v[18:19], 3, s[10:11]
	v_sub_co_u32 v18, s4, v18, v1
	v_lshl_add_u64 v[16:17], v[16:17], 3, v[22:23]
	s_delay_alu instid0(VALU_DEP_4) | instskip(SKIP_1) | instid1(VALU_DEP_4)
	v_lshl_add_u64 v[12:13], v[12:13], 3, v[22:23]
	v_cndmask_b32_e32 v32, v8, v14, vcc_lo
	v_lshl_add_u64 v[8:9], v[18:19], 3, v[22:23]
	s_delay_alu instid0(VALU_DEP_4) | instskip(NEXT) | instid1(VALU_DEP_4)
	v_dual_cndmask_b32 v19, v17, v11, s2 :: v_dual_cndmask_b32 v18, v16, v10, s2
	v_dual_cndmask_b32 v29, v13, v29, s3 :: v_dual_cndmask_b32 v28, v12, v28, s3
	s_delay_alu instid0(VALU_DEP_3)
	v_dual_cndmask_b32 v31, v9, v31, s4 :: v_dual_cndmask_b32 v30, v8, v30, s4
	global_load_b64 v[8:9], v[26:27], off
	global_load_b64 v[10:11], v[32:33], off
	;; [unrolled: 1-line block ×5, first 2 shown]
	s_cbranch_execz .LBB1256_7
	s_branch .LBB1256_24
.LBB1256_6:
                                        ; implicit-def: $vgpr2_vgpr3_vgpr4_vgpr5_vgpr6_vgpr7_vgpr8_vgpr9_vgpr10_vgpr11_vgpr12_vgpr13_vgpr14_vgpr15_vgpr16_vgpr17
                                        ; implicit-def: $vgpr36
	s_and_not1_b32 vcc_lo, exec_lo, s28
	s_cbranch_vccnz .LBB1256_24
.LBB1256_7:
	s_wait_loadcnt 0x7
	v_dual_add_nc_u32 v36, v1, v24 :: v_dual_mov_b32 v2, 0
	s_mov_b32 s2, exec_lo
	s_wait_loadcnt 0x6
	s_delay_alu instid0(VALU_DEP_1)
	v_dual_mov_b32 v3, v2 :: v_dual_mov_b32 v4, v2
	s_wait_loadcnt 0x5
	v_dual_mov_b32 v5, v2 :: v_dual_mov_b32 v6, v2
	s_wait_loadcnt 0x4
	;; [unrolled: 2-line block ×6, first 2 shown]
	v_dual_mov_b32 v15, v2 :: v_dual_mov_b32 v16, v2
	v_mov_b32_e32 v17, v2
	v_cmpx_lt_u32_e64 v0, v36
	s_cbranch_execz .LBB1256_9
; %bb.8:
	v_dual_mov_b32 v21, v2 :: v_dual_mov_b32 v5, v2
	v_sub_co_u32 v4, vcc_lo, v0, v1
	v_dual_mov_b32 v18, v2 :: v_dual_mov_b32 v19, v2
	s_delay_alu instid0(VALU_DEP_3) | instskip(NEXT) | instid1(VALU_DEP_3)
	v_add_nc_u64_e32 v[6:7], s[10:11], v[20:21]
	v_lshl_add_u64 v[4:5], v[4:5], 3, v[22:23]
	v_dual_mov_b32 v8, v2 :: v_dual_mov_b32 v9, v2
	v_dual_mov_b32 v10, v2 :: v_dual_mov_b32 v11, v2
	v_dual_mov_b32 v12, v2 :: v_dual_mov_b32 v13, v2
	s_delay_alu instid0(VALU_DEP_4)
	v_dual_cndmask_b32 v5, v5, v7 :: v_dual_cndmask_b32 v4, v4, v6
	v_dual_mov_b32 v6, v2 :: v_dual_mov_b32 v7, v2
	v_dual_mov_b32 v14, v2 :: v_dual_mov_b32 v15, v2
	global_load_b64 v[4:5], v[4:5], off
	v_dual_mov_b32 v16, v2 :: v_dual_mov_b32 v17, v2
	s_wait_loadcnt 0x0
	v_mov_b64_e32 v[2:3], v[4:5]
	v_mov_b64_e32 v[4:5], v[6:7]
	;; [unrolled: 1-line block ×8, first 2 shown]
.LBB1256_9:
	s_or_b32 exec_lo, exec_lo, s2
	v_add_nc_u32_e32 v18, v25, v0
	s_mov_b32 s2, exec_lo
	s_delay_alu instid0(VALU_DEP_1)
	v_cmpx_lt_u32_e64 v18, v36
	s_cbranch_execz .LBB1256_11
; %bb.10:
	v_sub_co_u32 v26, vcc_lo, v18, v1
	v_mov_b32_e32 v19, 0
	s_delay_alu instid0(VALU_DEP_1) | instskip(SKIP_1) | instid1(VALU_DEP_1)
	v_lshl_add_u64 v[4:5], v[18:19], 3, s[10:11]
	v_mov_b32_e32 v27, v19
	v_lshl_add_u64 v[26:27], v[26:27], 3, v[22:23]
	s_delay_alu instid0(VALU_DEP_1)
	v_dual_cndmask_b32 v5, v27, v5 :: v_dual_cndmask_b32 v4, v26, v4
	global_load_b64 v[4:5], v[4:5], off
.LBB1256_11:
	s_wait_xcnt 0x0
	s_or_b32 exec_lo, exec_lo, s2
	v_add_nc_u32_e32 v18, v18, v25
	s_mov_b32 s2, exec_lo
	s_delay_alu instid0(VALU_DEP_1)
	v_cmpx_lt_u32_e64 v18, v36
	s_cbranch_execz .LBB1256_13
; %bb.12:
	v_sub_co_u32 v26, vcc_lo, v18, v1
	v_mov_b32_e32 v19, 0
	s_delay_alu instid0(VALU_DEP_1) | instskip(SKIP_1) | instid1(VALU_DEP_1)
	v_lshl_add_u64 v[6:7], v[18:19], 3, s[10:11]
	v_mov_b32_e32 v27, v19
	v_lshl_add_u64 v[26:27], v[26:27], 3, v[22:23]
	s_delay_alu instid0(VALU_DEP_1)
	v_dual_cndmask_b32 v7, v27, v7 :: v_dual_cndmask_b32 v6, v26, v6
	global_load_b64 v[6:7], v[6:7], off
.LBB1256_13:
	s_wait_xcnt 0x0
	;; [unrolled: 18-line block ×6, first 2 shown]
	s_or_b32 exec_lo, exec_lo, s2
	v_add_nc_u32_e32 v18, v18, v25
	s_mov_b32 s2, exec_lo
	s_delay_alu instid0(VALU_DEP_1)
	v_cmpx_lt_u32_e64 v18, v36
	s_cbranch_execz .LBB1256_23
; %bb.22:
	v_mov_b32_e32 v19, 0
	s_delay_alu instid0(VALU_DEP_1) | instskip(SKIP_1) | instid1(VALU_DEP_1)
	v_lshl_add_u64 v[16:17], v[18:19], 3, s[10:11]
	v_sub_co_u32 v18, vcc_lo, v18, v1
	v_lshl_add_u64 v[18:19], v[18:19], 3, v[22:23]
	s_delay_alu instid0(VALU_DEP_1)
	v_dual_cndmask_b32 v17, v19, v17 :: v_dual_cndmask_b32 v16, v18, v16
	global_load_b64 v[16:17], v[16:17], off
.LBB1256_23:
	s_wait_xcnt 0x0
	s_or_b32 exec_lo, exec_lo, s2
.LBB1256_24:
	s_load_b128 s[12:15], s[0:1], 0x40
	v_min_u32_e32 v25, v36, v20
	s_mov_b32 s4, exec_lo
	s_wait_loadcnt 0x0
	ds_store_2addr_stride64_b64 v20, v[2:3], v[4:5] offset1:2
	ds_store_2addr_stride64_b64 v20, v[6:7], v[8:9] offset0:4 offset1:6
	ds_store_2addr_stride64_b64 v20, v[10:11], v[12:13] offset0:8 offset1:10
	;; [unrolled: 1-line block ×3, first 2 shown]
	s_wait_dscnt 0x0
	s_barrier_signal -1
	v_sub_nc_u32_e64 v21, v25, v24 clamp
	v_min_u32_e32 v24, v25, v1
	s_barrier_wait -1
	s_delay_alu instid0(VALU_DEP_1)
	v_cmpx_lt_u32_e64 v21, v24
	s_cbranch_execz .LBB1256_36
; %bb.25:
	v_lshlrev_b32_e32 v18, 3, v25
	s_wait_kmcnt 0x0
	v_cmp_gt_i64_e64 s5, s[12:13], 0
	s_lshl_b64 s[0:1], s[12:13], 1
	s_mov_b32 s10, 0
	v_lshl_add_u32 v26, v1, 3, v18
	s_branch .LBB1256_28
.LBB1256_26:                            ;   in Loop: Header=BB1256_28 Depth=1
	s_or_b32 exec_lo, exec_lo, s18
.LBB1256_27:                            ;   in Loop: Header=BB1256_28 Depth=1
	s_delay_alu instid0(VALU_DEP_1) | instskip(NEXT) | instid1(VALU_DEP_1)
	v_dual_add_nc_u32 v18, 1, v27 :: v_dual_cndmask_b32 v24, v24, v27, s11
	v_cndmask_b32_e64 v21, v18, v21, s11
	s_delay_alu instid0(VALU_DEP_1) | instskip(SKIP_1) | instid1(SALU_CYCLE_1)
	v_cmp_ge_u32_e32 vcc_lo, v21, v24
	s_or_b32 s10, vcc_lo, s10
	s_and_not1_b32 exec_lo, exec_lo, s10
	s_cbranch_execz .LBB1256_35
.LBB1256_28:                            ; =>This Loop Header: Depth=1
                                        ;     Child Loop BB1256_31 Depth 2
	v_add_nc_u32_e32 v18, v24, v21
	s_and_not1_b32 vcc_lo, exec_lo, s5
	s_mov_b32 s11, 0
	s_delay_alu instid0(VALU_DEP_1)
	v_lshrrev_b32_e32 v27, 1, v18
	s_cbranch_vccnz .LBB1256_27
; %bb.29:                               ;   in Loop: Header=BB1256_28 Depth=1
	s_delay_alu instid0(VALU_DEP_1) | instskip(SKIP_3) | instid1(VALU_DEP_2)
	v_not_b32_e32 v18, v27
	v_lshlrev_b32_e32 v19, 3, v27
	s_mov_b32 s18, 0
	s_mov_b64 s[2:3], s[12:13]
                                        ; implicit-def: $sgpr11
                                        ; implicit-def: $sgpr19
                                        ; implicit-def: $sgpr22
	v_lshl_add_u32 v18, v18, 3, v26
	ds_load_b64 v[28:29], v18
	ds_load_b64 v[30:31], v19
	s_wait_dscnt 0x1
	v_mad_nc_u64_u32 v[18:19], s0, v28, s[14:15]
	s_wait_dscnt 0x0
	v_mad_nc_u64_u32 v[22:23], s0, v30, s[14:15]
	s_delay_alu instid0(VALU_DEP_2) | instskip(NEXT) | instid1(VALU_DEP_2)
	v_mad_u32 v19, s1, v28, v19
	v_mad_u32 v23, s1, v30, v23
	s_delay_alu instid0(VALU_DEP_2) | instskip(NEXT) | instid1(VALU_DEP_2)
	v_mad_u32 v19, s0, v29, v19
	v_mad_u32 v23, s0, v31, v23
	s_branch .LBB1256_31
.LBB1256_30:                            ;   in Loop: Header=BB1256_31 Depth=2
	s_or_b32 exec_lo, exec_lo, s22
	s_delay_alu instid0(SALU_CYCLE_1) | instskip(SKIP_4) | instid1(SALU_CYCLE_1)
	s_and_b32 s21, exec_lo, s21
	s_mov_b32 s22, s20
	s_or_b32 s18, s21, s18
	s_and_not1_b32 s11, s11, exec_lo
	s_and_b32 s21, s19, exec_lo
	s_or_b32 s11, s11, s21
	s_and_not1_b32 exec_lo, exec_lo, s18
	s_cbranch_execz .LBB1256_26
.LBB1256_31:                            ;   Parent Loop BB1256_28 Depth=1
                                        ; =>  This Inner Loop Header: Depth=2
	global_load_u16 v28, v[18:19], off
	global_load_u16 v29, v[22:23], off
	s_mov_b32 s21, -1
	s_mov_b32 s23, 0
	s_mov_b32 s20, -1
	s_mov_b32 s24, exec_lo
	s_wait_loadcnt 0x0
	v_cmpx_nlt_f16_e32 v28, v29
; %bb.32:                               ;   in Loop: Header=BB1256_31 Depth=2
	v_cmp_ngt_f16_e32 vcc_lo, v28, v29
	s_and_b32 s20, vcc_lo, s22
	s_and_b32 s23, vcc_lo, exec_lo
	s_or_not1_b32 s20, s20, exec_lo
; %bb.33:                               ;   in Loop: Header=BB1256_31 Depth=2
	s_or_b32 exec_lo, exec_lo, s24
	s_delay_alu instid0(SALU_CYCLE_1) | instskip(SKIP_1) | instid1(SALU_CYCLE_1)
	s_and_not1_b32 s19, s19, exec_lo
	s_and_b32 s22, s20, exec_lo
	s_or_b32 s19, s19, s22
	s_and_saveexec_b32 s22, s23
	s_cbranch_execz .LBB1256_30
; %bb.34:                               ;   in Loop: Header=BB1256_31 Depth=2
	s_add_nc_u64 s[2:3], s[2:3], -1
	v_add_nc_u64_e32 v[18:19], 2, v[18:19]
	v_add_nc_u64_e32 v[22:23], 2, v[22:23]
	s_cmp_eq_u64 s[2:3], 0
	s_cselect_b32 s21, -1, 0
	s_and_not1_b32 s19, s19, exec_lo
	s_or_not1_b32 s21, s21, exec_lo
	s_branch .LBB1256_30
.LBB1256_35:
	s_or_b32 exec_lo, exec_lo, s10
.LBB1256_36:
	s_delay_alu instid0(SALU_CYCLE_1) | instskip(SKIP_2) | instid1(VALU_DEP_2)
	s_or_b32 exec_lo, exec_lo, s4
	v_sub_nc_u32_e32 v18, v25, v21
	v_cmp_le_u32_e32 vcc_lo, v21, v1
	v_add_nc_u32_e32 v18, v18, v1
	s_wait_xcnt 0x0
	s_delay_alu instid0(VALU_DEP_1) | instskip(SKIP_1) | instid1(SALU_CYCLE_1)
	v_cmp_le_u32_e64 s0, v18, v36
	s_or_b32 s0, vcc_lo, s0
	s_and_saveexec_b32 s2, s0
	s_cbranch_execz .LBB1256_120
; %bb.37:
	s_mov_b32 s1, exec_lo
	v_cmp_ge_u32_e32 vcc_lo, v21, v1
                                        ; implicit-def: $vgpr2_vgpr3
	v_cmpx_lt_u32_e64 v21, v1
; %bb.38:
	v_lshlrev_b32_e32 v2, 3, v21
	ds_load_b64 v[2:3], v2
; %bb.39:
	s_or_b32 exec_lo, exec_lo, s1
	v_cmp_ge_u32_e64 s0, v18, v36
	s_mov_b32 s3, exec_lo
                                        ; implicit-def: $vgpr16_vgpr17
	v_cmpx_lt_u32_e64 v18, v36
; %bb.40:
	v_lshlrev_b32_e32 v4, 3, v18
	ds_load_b64 v[16:17], v4
; %bb.41:
	s_or_b32 exec_lo, exec_lo, s3
	s_wait_kmcnt 0x0
	v_cmp_lt_i64_e64 s4, s[12:13], 1
	s_or_b32 s1, vcc_lo, s0
	s_xor_b32 s3, vcc_lo, -1
	s_delay_alu instid0(SALU_CYCLE_1) | instskip(SKIP_1) | instid1(SALU_CYCLE_1)
	s_or_b32 s3, s0, s3
	s_nor_b32 s1, s1, s4
	s_and_saveexec_b32 s5, s1
	s_cbranch_execz .LBB1256_49
; %bb.42:
	s_wait_dscnt 0x0
	v_mul_u64_e32 v[4:5], s[12:13], v[16:17]
	v_mul_u64_e32 v[6:7], s[12:13], v[2:3]
	s_mov_b32 s10, 0
	s_mov_b64 s[0:1], s[12:13]
                                        ; implicit-def: $sgpr11
                                        ; implicit-def: $sgpr18
                                        ; implicit-def: $sgpr21
	s_delay_alu instid0(VALU_DEP_2) | instskip(NEXT) | instid1(VALU_DEP_2)
	v_lshl_add_u64 v[4:5], v[4:5], 1, s[14:15]
	v_lshl_add_u64 v[6:7], v[6:7], 1, s[14:15]
	s_branch .LBB1256_44
.LBB1256_43:                            ;   in Loop: Header=BB1256_44 Depth=1
	s_or_b32 exec_lo, exec_lo, s21
	s_delay_alu instid0(SALU_CYCLE_1) | instskip(SKIP_4) | instid1(SALU_CYCLE_1)
	s_and_b32 s20, exec_lo, s20
	s_mov_b32 s21, s19
	s_or_b32 s10, s20, s10
	s_and_not1_b32 s11, s11, exec_lo
	s_and_b32 s20, s18, exec_lo
	s_or_b32 s11, s11, s20
	s_and_not1_b32 exec_lo, exec_lo, s10
	s_cbranch_execz .LBB1256_48
.LBB1256_44:                            ; =>This Inner Loop Header: Depth=1
	global_load_u16 v8, v[4:5], off
	global_load_u16 v9, v[6:7], off
	s_mov_b32 s20, -1
	s_mov_b32 s22, 0
	s_mov_b32 s19, -1
	s_mov_b32 s23, exec_lo
	s_wait_loadcnt 0x0
	v_cmpx_nlt_f16_e32 v8, v9
; %bb.45:                               ;   in Loop: Header=BB1256_44 Depth=1
	v_cmp_ngt_f16_e32 vcc_lo, v8, v9
	s_and_b32 s19, vcc_lo, s21
	s_and_b32 s22, vcc_lo, exec_lo
	s_or_not1_b32 s19, s19, exec_lo
; %bb.46:                               ;   in Loop: Header=BB1256_44 Depth=1
	s_or_b32 exec_lo, exec_lo, s23
	s_delay_alu instid0(SALU_CYCLE_1) | instskip(SKIP_1) | instid1(SALU_CYCLE_1)
	s_and_not1_b32 s18, s18, exec_lo
	s_and_b32 s21, s19, exec_lo
	s_or_b32 s18, s18, s21
	s_and_saveexec_b32 s21, s22
	s_cbranch_execz .LBB1256_43
; %bb.47:                               ;   in Loop: Header=BB1256_44 Depth=1
	s_add_nc_u64 s[0:1], s[0:1], -1
	v_add_nc_u64_e32 v[4:5], 2, v[4:5]
	v_add_nc_u64_e32 v[6:7], 2, v[6:7]
	s_cmp_eq_u64 s[0:1], 0
	s_cselect_b32 s20, -1, 0
	s_and_not1_b32 s18, s18, exec_lo
	s_or_not1_b32 s20, s20, exec_lo
	s_branch .LBB1256_43
.LBB1256_48:
	s_or_b32 exec_lo, exec_lo, s10
	s_xor_b32 s0, s11, -1
	s_and_not1_b32 s1, s3, exec_lo
	s_and_b32 s0, s0, exec_lo
	s_delay_alu instid0(SALU_CYCLE_1)
	s_or_b32 s3, s1, s0
.LBB1256_49:
	s_or_b32 exec_lo, exec_lo, s5
	v_cndmask_b32_e64 v4, v18, v21, s3
	v_cndmask_b32_e64 v5, v36, v1, s3
	s_mov_b32 s10, -1
	s_mov_b32 s5, -1
	s_mov_b32 s11, exec_lo
	v_add_nc_u32_e32 v4, 1, v4
	s_delay_alu instid0(VALU_DEP_1) | instskip(NEXT) | instid1(VALU_DEP_1)
	v_add_min_u32_e64 v5, v5, -1, v4
	v_dual_cndmask_b32 v10, v4, v18, s3 :: v_dual_lshlrev_b32 v5, 3, v5
	ds_load_b64 v[6:7], v5
	s_wait_dscnt 0x0
	v_dual_cndmask_b32 v11, v21, v4, s3 :: v_dual_cndmask_b32 v5, v7, v17, s3
	v_dual_cndmask_b32 v4, v6, v16, s3 :: v_dual_cndmask_b32 v19, v3, v7, s3
	v_cndmask_b32_e64 v18, v2, v6, s3
	v_cmpx_lt_u32_e64 v10, v36
	s_cbranch_execz .LBB1256_59
; %bb.50:
	v_cmp_lt_u32_e64 s5, v11, v1
	s_xor_b32 s0, s4, -1
	s_delay_alu instid0(SALU_CYCLE_1) | instskip(NEXT) | instid1(SALU_CYCLE_1)
	s_and_b32 s0, s5, s0
	s_and_saveexec_b32 s18, s0
	s_cbranch_execz .LBB1256_58
; %bb.51:
	v_mul_u64_e32 v[6:7], s[12:13], v[4:5]
	v_mul_u64_e32 v[8:9], s[12:13], v[18:19]
	s_mov_b32 s19, 0
	s_mov_b64 s[0:1], s[12:13]
                                        ; implicit-def: $sgpr20
                                        ; implicit-def: $sgpr21
                                        ; implicit-def: $sgpr24
	s_delay_alu instid0(VALU_DEP_2) | instskip(NEXT) | instid1(VALU_DEP_2)
	v_lshl_add_u64 v[6:7], v[6:7], 1, s[14:15]
	v_lshl_add_u64 v[8:9], v[8:9], 1, s[14:15]
	s_branch .LBB1256_53
.LBB1256_52:                            ;   in Loop: Header=BB1256_53 Depth=1
	s_or_b32 exec_lo, exec_lo, s24
	s_delay_alu instid0(SALU_CYCLE_1) | instskip(SKIP_4) | instid1(SALU_CYCLE_1)
	s_and_b32 s23, exec_lo, s23
	s_mov_b32 s24, s22
	s_or_b32 s19, s23, s19
	s_and_not1_b32 s20, s20, exec_lo
	s_and_b32 s23, s21, exec_lo
	s_or_b32 s20, s20, s23
	s_and_not1_b32 exec_lo, exec_lo, s19
	s_cbranch_execz .LBB1256_57
.LBB1256_53:                            ; =>This Inner Loop Header: Depth=1
	global_load_u16 v12, v[6:7], off
	global_load_u16 v13, v[8:9], off
	s_mov_b32 s23, -1
	s_mov_b32 s25, 0
	s_mov_b32 s22, -1
	s_mov_b32 s26, exec_lo
	s_wait_loadcnt 0x0
	v_cmpx_nlt_f16_e32 v12, v13
; %bb.54:                               ;   in Loop: Header=BB1256_53 Depth=1
	v_cmp_ngt_f16_e32 vcc_lo, v12, v13
	s_and_b32 s22, vcc_lo, s24
	s_and_b32 s25, vcc_lo, exec_lo
	s_or_not1_b32 s22, s22, exec_lo
; %bb.55:                               ;   in Loop: Header=BB1256_53 Depth=1
	s_or_b32 exec_lo, exec_lo, s26
	s_delay_alu instid0(SALU_CYCLE_1) | instskip(SKIP_1) | instid1(SALU_CYCLE_1)
	s_and_not1_b32 s21, s21, exec_lo
	s_and_b32 s24, s22, exec_lo
	s_or_b32 s21, s21, s24
	s_and_saveexec_b32 s24, s25
	s_cbranch_execz .LBB1256_52
; %bb.56:                               ;   in Loop: Header=BB1256_53 Depth=1
	s_add_nc_u64 s[0:1], s[0:1], -1
	v_add_nc_u64_e32 v[6:7], 2, v[6:7]
	v_add_nc_u64_e32 v[8:9], 2, v[8:9]
	s_cmp_eq_u64 s[0:1], 0
	s_cselect_b32 s23, -1, 0
	s_and_not1_b32 s21, s21, exec_lo
	s_or_not1_b32 s23, s23, exec_lo
	s_branch .LBB1256_52
.LBB1256_57:
	s_or_b32 exec_lo, exec_lo, s19
	s_xor_b32 s0, s20, -1
	s_and_not1_b32 s1, s5, exec_lo
	s_and_b32 s0, s0, exec_lo
	s_delay_alu instid0(SALU_CYCLE_1)
	s_or_b32 s5, s1, s0
.LBB1256_58:
	s_or_b32 exec_lo, exec_lo, s18
	s_delay_alu instid0(SALU_CYCLE_1)
	s_or_not1_b32 s5, s5, exec_lo
.LBB1256_59:
	s_or_b32 exec_lo, exec_lo, s11
	v_dual_cndmask_b32 v6, v10, v11, s5 :: v_dual_cndmask_b32 v7, v36, v1, s5
	s_mov_b32 s11, exec_lo
	s_delay_alu instid0(VALU_DEP_1) | instskip(NEXT) | instid1(VALU_DEP_1)
	v_add_nc_u32_e32 v6, 1, v6
	v_add_min_u32_e64 v7, v7, -1, v6
	s_delay_alu instid0(VALU_DEP_1)
	v_lshlrev_b32_e32 v7, 3, v7
	ds_load_b64 v[8:9], v7
	v_cndmask_b32_e64 v12, v6, v10, s5
	s_wait_dscnt 0x0
	v_dual_cndmask_b32 v13, v11, v6, s5 :: v_dual_cndmask_b32 v6, v8, v4, s5
	v_cndmask_b32_e64 v7, v9, v5, s5
	v_dual_cndmask_b32 v23, v19, v9, s5 :: v_dual_cndmask_b32 v22, v18, v8, s5
	v_cmpx_lt_u32_e64 v12, v36
	s_cbranch_execz .LBB1256_69
; %bb.60:
	v_cmp_lt_u32_e64 s10, v13, v1
	s_xor_b32 s0, s4, -1
	s_delay_alu instid0(SALU_CYCLE_1) | instskip(NEXT) | instid1(SALU_CYCLE_1)
	s_and_b32 s0, s10, s0
	s_and_saveexec_b32 s18, s0
	s_cbranch_execz .LBB1256_68
; %bb.61:
	v_mul_u64_e32 v[8:9], s[12:13], v[6:7]
	v_mul_u64_e32 v[10:11], s[12:13], v[22:23]
	s_mov_b32 s19, 0
	s_mov_b64 s[0:1], s[12:13]
                                        ; implicit-def: $sgpr20
                                        ; implicit-def: $sgpr21
                                        ; implicit-def: $sgpr24
	s_delay_alu instid0(VALU_DEP_2) | instskip(NEXT) | instid1(VALU_DEP_2)
	v_lshl_add_u64 v[8:9], v[8:9], 1, s[14:15]
	v_lshl_add_u64 v[10:11], v[10:11], 1, s[14:15]
	s_branch .LBB1256_63
.LBB1256_62:                            ;   in Loop: Header=BB1256_63 Depth=1
	s_or_b32 exec_lo, exec_lo, s24
	s_delay_alu instid0(SALU_CYCLE_1) | instskip(SKIP_4) | instid1(SALU_CYCLE_1)
	s_and_b32 s23, exec_lo, s23
	s_mov_b32 s24, s22
	s_or_b32 s19, s23, s19
	s_and_not1_b32 s20, s20, exec_lo
	s_and_b32 s23, s21, exec_lo
	s_or_b32 s20, s20, s23
	s_and_not1_b32 exec_lo, exec_lo, s19
	s_cbranch_execz .LBB1256_67
.LBB1256_63:                            ; =>This Inner Loop Header: Depth=1
	global_load_u16 v14, v[8:9], off
	global_load_u16 v15, v[10:11], off
	s_mov_b32 s23, -1
	s_mov_b32 s25, 0
	s_mov_b32 s22, -1
	s_mov_b32 s26, exec_lo
	s_wait_loadcnt 0x0
	v_cmpx_nlt_f16_e32 v14, v15
; %bb.64:                               ;   in Loop: Header=BB1256_63 Depth=1
	v_cmp_ngt_f16_e32 vcc_lo, v14, v15
	s_and_b32 s22, vcc_lo, s24
	s_and_b32 s25, vcc_lo, exec_lo
	s_or_not1_b32 s22, s22, exec_lo
; %bb.65:                               ;   in Loop: Header=BB1256_63 Depth=1
	s_or_b32 exec_lo, exec_lo, s26
	s_delay_alu instid0(SALU_CYCLE_1) | instskip(SKIP_1) | instid1(SALU_CYCLE_1)
	s_and_not1_b32 s21, s21, exec_lo
	s_and_b32 s24, s22, exec_lo
	s_or_b32 s21, s21, s24
	s_and_saveexec_b32 s24, s25
	s_cbranch_execz .LBB1256_62
; %bb.66:                               ;   in Loop: Header=BB1256_63 Depth=1
	s_add_nc_u64 s[0:1], s[0:1], -1
	v_add_nc_u64_e32 v[8:9], 2, v[8:9]
	v_add_nc_u64_e32 v[10:11], 2, v[10:11]
	s_cmp_eq_u64 s[0:1], 0
	s_cselect_b32 s23, -1, 0
	s_and_not1_b32 s21, s21, exec_lo
	s_or_not1_b32 s23, s23, exec_lo
	s_branch .LBB1256_62
.LBB1256_67:
	s_or_b32 exec_lo, exec_lo, s19
	s_xor_b32 s0, s20, -1
	s_and_not1_b32 s1, s10, exec_lo
	s_and_b32 s0, s0, exec_lo
	s_delay_alu instid0(SALU_CYCLE_1)
	s_or_b32 s10, s1, s0
.LBB1256_68:
	s_or_b32 exec_lo, exec_lo, s18
	s_delay_alu instid0(SALU_CYCLE_1)
	s_or_not1_b32 s10, s10, exec_lo
.LBB1256_69:
	s_or_b32 exec_lo, exec_lo, s11
	v_cndmask_b32_e64 v8, v12, v13, s10
	v_cndmask_b32_e64 v9, v36, v1, s10
	s_mov_b32 s18, -1
	s_mov_b32 s11, -1
	s_mov_b32 s19, exec_lo
	v_add_nc_u32_e32 v8, 1, v8
	s_delay_alu instid0(VALU_DEP_1) | instskip(NEXT) | instid1(VALU_DEP_1)
	v_add_min_u32_e64 v9, v9, -1, v8
	v_dual_cndmask_b32 v14, v8, v12, s10 :: v_dual_lshlrev_b32 v9, 3, v9
	ds_load_b64 v[10:11], v9
	s_wait_dscnt 0x0
	v_dual_cndmask_b32 v15, v13, v8, s10 :: v_dual_cndmask_b32 v8, v10, v6, s10
	v_cndmask_b32_e64 v9, v11, v7, s10
	v_dual_cndmask_b32 v25, v23, v11, s10 :: v_dual_cndmask_b32 v24, v22, v10, s10
	v_cmpx_lt_u32_e64 v14, v36
	s_cbranch_execz .LBB1256_79
; %bb.70:
	v_cmp_lt_u32_e64 s11, v15, v1
	s_xor_b32 s0, s4, -1
	s_delay_alu instid0(SALU_CYCLE_1) | instskip(NEXT) | instid1(SALU_CYCLE_1)
	s_and_b32 s0, s11, s0
	s_and_saveexec_b32 s20, s0
	s_cbranch_execz .LBB1256_78
; %bb.71:
	v_mul_u64_e32 v[10:11], s[12:13], v[8:9]
	v_mul_u64_e32 v[12:13], s[12:13], v[24:25]
	s_mov_b32 s21, 0
	s_mov_b64 s[0:1], s[12:13]
                                        ; implicit-def: $sgpr22
                                        ; implicit-def: $sgpr23
                                        ; implicit-def: $sgpr26
	s_delay_alu instid0(VALU_DEP_2) | instskip(NEXT) | instid1(VALU_DEP_2)
	v_lshl_add_u64 v[10:11], v[10:11], 1, s[14:15]
	v_lshl_add_u64 v[12:13], v[12:13], 1, s[14:15]
	s_branch .LBB1256_73
.LBB1256_72:                            ;   in Loop: Header=BB1256_73 Depth=1
	s_or_b32 exec_lo, exec_lo, s26
	s_delay_alu instid0(SALU_CYCLE_1) | instskip(SKIP_4) | instid1(SALU_CYCLE_1)
	s_and_b32 s25, exec_lo, s25
	s_mov_b32 s26, s24
	s_or_b32 s21, s25, s21
	s_and_not1_b32 s22, s22, exec_lo
	s_and_b32 s25, s23, exec_lo
	s_or_b32 s22, s22, s25
	s_and_not1_b32 exec_lo, exec_lo, s21
	s_cbranch_execz .LBB1256_77
.LBB1256_73:                            ; =>This Inner Loop Header: Depth=1
	global_load_u16 v21, v[10:11], off
	global_load_u16 v26, v[12:13], off
	s_mov_b32 s25, -1
	s_mov_b32 s27, 0
	s_mov_b32 s24, -1
	s_mov_b32 s28, exec_lo
	s_wait_loadcnt 0x0
	v_cmpx_nlt_f16_e32 v21, v26
; %bb.74:                               ;   in Loop: Header=BB1256_73 Depth=1
	v_cmp_ngt_f16_e32 vcc_lo, v21, v26
	s_and_b32 s24, vcc_lo, s26
	s_and_b32 s27, vcc_lo, exec_lo
	s_or_not1_b32 s24, s24, exec_lo
; %bb.75:                               ;   in Loop: Header=BB1256_73 Depth=1
	s_or_b32 exec_lo, exec_lo, s28
	s_delay_alu instid0(SALU_CYCLE_1) | instskip(SKIP_1) | instid1(SALU_CYCLE_1)
	s_and_not1_b32 s23, s23, exec_lo
	s_and_b32 s26, s24, exec_lo
	s_or_b32 s23, s23, s26
	s_and_saveexec_b32 s26, s27
	s_cbranch_execz .LBB1256_72
; %bb.76:                               ;   in Loop: Header=BB1256_73 Depth=1
	s_add_nc_u64 s[0:1], s[0:1], -1
	v_add_nc_u64_e32 v[10:11], 2, v[10:11]
	v_add_nc_u64_e32 v[12:13], 2, v[12:13]
	s_cmp_eq_u64 s[0:1], 0
	s_cselect_b32 s25, -1, 0
	s_and_not1_b32 s23, s23, exec_lo
	s_or_not1_b32 s25, s25, exec_lo
	s_branch .LBB1256_72
.LBB1256_77:
	s_or_b32 exec_lo, exec_lo, s21
	s_xor_b32 s0, s22, -1
	s_and_not1_b32 s1, s11, exec_lo
	s_and_b32 s0, s0, exec_lo
	s_delay_alu instid0(SALU_CYCLE_1)
	s_or_b32 s11, s1, s0
.LBB1256_78:
	s_or_b32 exec_lo, exec_lo, s20
	s_delay_alu instid0(SALU_CYCLE_1)
	s_or_not1_b32 s11, s11, exec_lo
.LBB1256_79:
	s_or_b32 exec_lo, exec_lo, s19
	v_dual_cndmask_b32 v10, v14, v15, s11 :: v_dual_cndmask_b32 v11, v36, v1, s11
	s_mov_b32 s19, exec_lo
	s_delay_alu instid0(VALU_DEP_1) | instskip(NEXT) | instid1(VALU_DEP_1)
	v_add_nc_u32_e32 v10, 1, v10
	v_add_min_u32_e64 v11, v11, -1, v10
	s_delay_alu instid0(VALU_DEP_1)
	v_lshlrev_b32_e32 v11, 3, v11
	ds_load_b64 v[12:13], v11
	v_cndmask_b32_e64 v21, v10, v14, s11
	s_wait_dscnt 0x0
	v_dual_cndmask_b32 v28, v15, v10, s11 :: v_dual_cndmask_b32 v10, v12, v8, s11
	v_cndmask_b32_e64 v11, v13, v9, s11
	v_dual_cndmask_b32 v27, v25, v13, s11 :: v_dual_cndmask_b32 v26, v24, v12, s11
	v_cmpx_lt_u32_e64 v21, v36
	s_cbranch_execz .LBB1256_89
; %bb.80:
	v_cmp_lt_u32_e64 s18, v28, v1
	s_xor_b32 s0, s4, -1
	s_delay_alu instid0(SALU_CYCLE_1) | instskip(NEXT) | instid1(SALU_CYCLE_1)
	s_and_b32 s0, s18, s0
	s_and_saveexec_b32 s20, s0
	s_cbranch_execz .LBB1256_88
; %bb.81:
	v_mul_u64_e32 v[12:13], s[12:13], v[10:11]
	v_mul_u64_e32 v[14:15], s[12:13], v[26:27]
	s_mov_b32 s21, 0
	s_mov_b64 s[0:1], s[12:13]
                                        ; implicit-def: $sgpr22
                                        ; implicit-def: $sgpr23
                                        ; implicit-def: $sgpr26
	s_delay_alu instid0(VALU_DEP_2) | instskip(NEXT) | instid1(VALU_DEP_2)
	v_lshl_add_u64 v[12:13], v[12:13], 1, s[14:15]
	v_lshl_add_u64 v[14:15], v[14:15], 1, s[14:15]
	s_branch .LBB1256_83
.LBB1256_82:                            ;   in Loop: Header=BB1256_83 Depth=1
	s_or_b32 exec_lo, exec_lo, s26
	s_delay_alu instid0(SALU_CYCLE_1) | instskip(SKIP_4) | instid1(SALU_CYCLE_1)
	s_and_b32 s25, exec_lo, s25
	s_mov_b32 s26, s24
	s_or_b32 s21, s25, s21
	s_and_not1_b32 s22, s22, exec_lo
	s_and_b32 s25, s23, exec_lo
	s_or_b32 s22, s22, s25
	s_and_not1_b32 exec_lo, exec_lo, s21
	s_cbranch_execz .LBB1256_87
.LBB1256_83:                            ; =>This Inner Loop Header: Depth=1
	global_load_u16 v29, v[12:13], off
	global_load_u16 v30, v[14:15], off
	s_mov_b32 s25, -1
	s_mov_b32 s27, 0
	s_mov_b32 s24, -1
	s_mov_b32 s28, exec_lo
	s_wait_loadcnt 0x0
	v_cmpx_nlt_f16_e32 v29, v30
; %bb.84:                               ;   in Loop: Header=BB1256_83 Depth=1
	v_cmp_ngt_f16_e32 vcc_lo, v29, v30
	s_and_b32 s24, vcc_lo, s26
	s_and_b32 s27, vcc_lo, exec_lo
	s_or_not1_b32 s24, s24, exec_lo
; %bb.85:                               ;   in Loop: Header=BB1256_83 Depth=1
	s_or_b32 exec_lo, exec_lo, s28
	s_delay_alu instid0(SALU_CYCLE_1) | instskip(SKIP_1) | instid1(SALU_CYCLE_1)
	s_and_not1_b32 s23, s23, exec_lo
	s_and_b32 s26, s24, exec_lo
	s_or_b32 s23, s23, s26
	s_and_saveexec_b32 s26, s27
	s_cbranch_execz .LBB1256_82
; %bb.86:                               ;   in Loop: Header=BB1256_83 Depth=1
	s_add_nc_u64 s[0:1], s[0:1], -1
	v_add_nc_u64_e32 v[12:13], 2, v[12:13]
	v_add_nc_u64_e32 v[14:15], 2, v[14:15]
	s_cmp_eq_u64 s[0:1], 0
	s_cselect_b32 s25, -1, 0
	s_and_not1_b32 s23, s23, exec_lo
	s_or_not1_b32 s25, s25, exec_lo
	s_branch .LBB1256_82
.LBB1256_87:
	s_or_b32 exec_lo, exec_lo, s21
	s_xor_b32 s0, s22, -1
	s_and_not1_b32 s1, s18, exec_lo
	s_and_b32 s0, s0, exec_lo
	s_delay_alu instid0(SALU_CYCLE_1)
	s_or_b32 s18, s1, s0
.LBB1256_88:
	s_or_b32 exec_lo, exec_lo, s20
	s_delay_alu instid0(SALU_CYCLE_1)
	s_or_not1_b32 s18, s18, exec_lo
.LBB1256_89:
	s_or_b32 exec_lo, exec_lo, s19
	v_dual_cndmask_b32 v12, v21, v28, s18 :: v_dual_cndmask_b32 v13, v36, v1, s18
	s_mov_b32 s20, -1
	s_mov_b32 s19, -1
	s_mov_b32 s21, exec_lo
	s_delay_alu instid0(VALU_DEP_1) | instskip(NEXT) | instid1(VALU_DEP_1)
	v_add_nc_u32_e32 v12, 1, v12
	v_add_min_u32_e64 v13, v13, -1, v12
	s_delay_alu instid0(VALU_DEP_1)
	v_lshlrev_b32_e32 v13, 3, v13
	ds_load_b64 v[14:15], v13
	v_cndmask_b32_e64 v21, v12, v21, s18
	s_wait_dscnt 0x0
	v_dual_cndmask_b32 v32, v28, v12, s18 :: v_dual_cndmask_b32 v12, v14, v10, s18
	v_cndmask_b32_e64 v13, v15, v11, s18
	v_dual_cndmask_b32 v29, v27, v15, s18 :: v_dual_cndmask_b32 v28, v26, v14, s18
	v_cmpx_lt_u32_e64 v21, v36
	s_cbranch_execz .LBB1256_99
; %bb.90:
	v_cmp_lt_u32_e64 s19, v32, v1
	s_xor_b32 s0, s4, -1
	s_delay_alu instid0(SALU_CYCLE_1) | instskip(NEXT) | instid1(SALU_CYCLE_1)
	s_and_b32 s0, s19, s0
	s_and_saveexec_b32 s22, s0
	s_cbranch_execz .LBB1256_98
; %bb.91:
	v_mul_u64_e32 v[14:15], s[12:13], v[12:13]
	v_mul_u64_e32 v[30:31], s[12:13], v[28:29]
	s_mov_b32 s23, 0
	s_mov_b64 s[0:1], s[12:13]
                                        ; implicit-def: $sgpr24
                                        ; implicit-def: $sgpr25
                                        ; implicit-def: $sgpr28
	s_delay_alu instid0(VALU_DEP_2) | instskip(NEXT) | instid1(VALU_DEP_2)
	v_lshl_add_u64 v[14:15], v[14:15], 1, s[14:15]
	v_lshl_add_u64 v[30:31], v[30:31], 1, s[14:15]
	s_branch .LBB1256_93
.LBB1256_92:                            ;   in Loop: Header=BB1256_93 Depth=1
	s_or_b32 exec_lo, exec_lo, s28
	s_delay_alu instid0(SALU_CYCLE_1) | instskip(SKIP_4) | instid1(SALU_CYCLE_1)
	s_and_b32 s27, exec_lo, s27
	s_mov_b32 s28, s26
	s_or_b32 s23, s27, s23
	s_and_not1_b32 s24, s24, exec_lo
	s_and_b32 s27, s25, exec_lo
	s_or_b32 s24, s24, s27
	s_and_not1_b32 exec_lo, exec_lo, s23
	s_cbranch_execz .LBB1256_97
.LBB1256_93:                            ; =>This Inner Loop Header: Depth=1
	global_load_u16 v33, v[14:15], off
	global_load_u16 v34, v[30:31], off
	s_mov_b32 s27, -1
	s_mov_b32 s29, 0
	s_mov_b32 s26, -1
	s_mov_b32 s30, exec_lo
	s_wait_loadcnt 0x0
	v_cmpx_nlt_f16_e32 v33, v34
; %bb.94:                               ;   in Loop: Header=BB1256_93 Depth=1
	v_cmp_ngt_f16_e32 vcc_lo, v33, v34
	s_and_b32 s26, vcc_lo, s28
	s_and_b32 s29, vcc_lo, exec_lo
	s_or_not1_b32 s26, s26, exec_lo
; %bb.95:                               ;   in Loop: Header=BB1256_93 Depth=1
	s_or_b32 exec_lo, exec_lo, s30
	s_delay_alu instid0(SALU_CYCLE_1) | instskip(SKIP_1) | instid1(SALU_CYCLE_1)
	s_and_not1_b32 s25, s25, exec_lo
	s_and_b32 s28, s26, exec_lo
	s_or_b32 s25, s25, s28
	s_and_saveexec_b32 s28, s29
	s_cbranch_execz .LBB1256_92
; %bb.96:                               ;   in Loop: Header=BB1256_93 Depth=1
	s_add_nc_u64 s[0:1], s[0:1], -1
	v_add_nc_u64_e32 v[14:15], 2, v[14:15]
	v_add_nc_u64_e32 v[30:31], 2, v[30:31]
	s_cmp_eq_u64 s[0:1], 0
	s_cselect_b32 s27, -1, 0
	s_and_not1_b32 s25, s25, exec_lo
	s_or_not1_b32 s27, s27, exec_lo
	s_branch .LBB1256_92
.LBB1256_97:
	s_or_b32 exec_lo, exec_lo, s23
	s_xor_b32 s0, s24, -1
	s_and_not1_b32 s1, s19, exec_lo
	s_and_b32 s0, s0, exec_lo
	s_delay_alu instid0(SALU_CYCLE_1)
	s_or_b32 s19, s1, s0
.LBB1256_98:
	s_or_b32 exec_lo, exec_lo, s22
	s_delay_alu instid0(SALU_CYCLE_1)
	s_or_not1_b32 s19, s19, exec_lo
.LBB1256_99:
	s_or_b32 exec_lo, exec_lo, s21
	v_dual_cndmask_b32 v14, v21, v32, s19 :: v_dual_cndmask_b32 v15, v36, v1, s19
	s_mov_b32 s21, exec_lo
	s_delay_alu instid0(VALU_DEP_1) | instskip(NEXT) | instid1(VALU_DEP_1)
	v_add_nc_u32_e32 v14, 1, v14
	v_add_min_u32_e64 v15, v15, -1, v14
	s_delay_alu instid0(VALU_DEP_1)
	v_dual_lshlrev_b32 v15, 3, v15 :: v_dual_cndmask_b32 v37, v14, v21, s19
	v_cndmask_b32_e64 v21, v32, v14, s19
	ds_load_b64 v[30:31], v15
	s_wait_dscnt 0x0
	v_dual_cndmask_b32 v15, v31, v13, s19 :: v_dual_cndmask_b32 v14, v30, v12, s19
	v_dual_cndmask_b32 v31, v29, v31, s19 :: v_dual_cndmask_b32 v30, v28, v30, s19
	v_cmpx_lt_u32_e64 v37, v36
	s_cbranch_execz .LBB1256_109
; %bb.100:
	v_cmp_lt_u32_e64 s20, v21, v1
	s_xor_b32 s0, s4, -1
	s_delay_alu instid0(SALU_CYCLE_1) | instskip(NEXT) | instid1(SALU_CYCLE_1)
	s_and_b32 s0, s20, s0
	s_and_saveexec_b32 s22, s0
	s_cbranch_execz .LBB1256_108
; %bb.101:
	v_mul_u64_e32 v[32:33], s[12:13], v[14:15]
	v_mul_u64_e32 v[34:35], s[12:13], v[30:31]
	s_mov_b32 s23, 0
	s_mov_b64 s[0:1], s[12:13]
                                        ; implicit-def: $sgpr24
                                        ; implicit-def: $sgpr25
                                        ; implicit-def: $sgpr28
	s_delay_alu instid0(VALU_DEP_2) | instskip(NEXT) | instid1(VALU_DEP_2)
	v_lshl_add_u64 v[32:33], v[32:33], 1, s[14:15]
	v_lshl_add_u64 v[34:35], v[34:35], 1, s[14:15]
	s_branch .LBB1256_103
.LBB1256_102:                           ;   in Loop: Header=BB1256_103 Depth=1
	s_or_b32 exec_lo, exec_lo, s28
	s_delay_alu instid0(SALU_CYCLE_1) | instskip(SKIP_4) | instid1(SALU_CYCLE_1)
	s_and_b32 s27, exec_lo, s27
	s_mov_b32 s28, s26
	s_or_b32 s23, s27, s23
	s_and_not1_b32 s24, s24, exec_lo
	s_and_b32 s27, s25, exec_lo
	s_or_b32 s24, s24, s27
	s_and_not1_b32 exec_lo, exec_lo, s23
	s_cbranch_execz .LBB1256_107
.LBB1256_103:                           ; =>This Inner Loop Header: Depth=1
	global_load_u16 v38, v[32:33], off
	global_load_u16 v39, v[34:35], off
	s_mov_b32 s27, -1
	s_mov_b32 s29, 0
	s_mov_b32 s26, -1
	s_mov_b32 s30, exec_lo
	s_wait_loadcnt 0x0
	v_cmpx_nlt_f16_e32 v38, v39
; %bb.104:                              ;   in Loop: Header=BB1256_103 Depth=1
	v_cmp_ngt_f16_e32 vcc_lo, v38, v39
	s_and_b32 s26, vcc_lo, s28
	s_and_b32 s29, vcc_lo, exec_lo
	s_or_not1_b32 s26, s26, exec_lo
; %bb.105:                              ;   in Loop: Header=BB1256_103 Depth=1
	s_or_b32 exec_lo, exec_lo, s30
	s_delay_alu instid0(SALU_CYCLE_1) | instskip(SKIP_1) | instid1(SALU_CYCLE_1)
	s_and_not1_b32 s25, s25, exec_lo
	s_and_b32 s28, s26, exec_lo
	s_or_b32 s25, s25, s28
	s_and_saveexec_b32 s28, s29
	s_cbranch_execz .LBB1256_102
; %bb.106:                              ;   in Loop: Header=BB1256_103 Depth=1
	s_add_nc_u64 s[0:1], s[0:1], -1
	v_add_nc_u64_e32 v[32:33], 2, v[32:33]
	v_add_nc_u64_e32 v[34:35], 2, v[34:35]
	s_cmp_eq_u64 s[0:1], 0
	s_cselect_b32 s27, -1, 0
	s_and_not1_b32 s25, s25, exec_lo
	s_or_not1_b32 s27, s27, exec_lo
	s_branch .LBB1256_102
.LBB1256_107:
	s_or_b32 exec_lo, exec_lo, s23
	s_xor_b32 s0, s24, -1
	s_and_not1_b32 s1, s20, exec_lo
	s_and_b32 s0, s0, exec_lo
	s_delay_alu instid0(SALU_CYCLE_1)
	s_or_b32 s20, s1, s0
.LBB1256_108:
	s_or_b32 exec_lo, exec_lo, s22
	s_delay_alu instid0(SALU_CYCLE_1)
	s_or_not1_b32 s20, s20, exec_lo
.LBB1256_109:
	s_or_b32 exec_lo, exec_lo, s21
	v_cndmask_b32_e64 v32, v37, v21, s20
	v_cndmask_b32_e64 v33, v36, v1, s20
	s_mov_b32 s1, -1
	s_mov_b32 s0, exec_lo
	s_delay_alu instid0(VALU_DEP_2) | instskip(NEXT) | instid1(VALU_DEP_1)
	v_add_nc_u32_e32 v38, 1, v32
	v_add_min_u32_e64 v32, v33, -1, v38
	s_delay_alu instid0(VALU_DEP_1)
	v_dual_cndmask_b32 v37, v38, v37, s20 :: v_dual_lshlrev_b32 v32, 3, v32
	ds_load_b64 v[34:35], v32
	s_wait_dscnt 0x0
	v_dual_cndmask_b32 v33, v35, v15, s20 :: v_dual_cndmask_b32 v32, v34, v14, s20
	v_dual_cndmask_b32 v35, v31, v35, s20 :: v_dual_cndmask_b32 v34, v30, v34, s20
	v_cmpx_lt_u32_e64 v37, v36
	s_cbranch_execz .LBB1256_119
; %bb.110:
	v_cndmask_b32_e64 v21, v21, v38, s20
	s_xor_b32 s4, s4, -1
	s_delay_alu instid0(VALU_DEP_1) | instskip(SKIP_1) | instid1(SALU_CYCLE_1)
	v_cmp_lt_u32_e64 s1, v21, v1
	s_and_b32 s21, s1, s4
	s_and_saveexec_b32 s4, s21
	s_cbranch_execz .LBB1256_118
; %bb.111:
	v_mul_u64_e32 v[36:37], s[12:13], v[32:33]
	v_mul_u64_e32 v[38:39], s[12:13], v[34:35]
                                        ; implicit-def: $sgpr21
                                        ; implicit-def: $sgpr24
	s_delay_alu instid0(VALU_DEP_2) | instskip(NEXT) | instid1(VALU_DEP_2)
	v_lshl_add_u64 v[36:37], v[36:37], 1, s[14:15]
	v_lshl_add_u64 v[38:39], v[38:39], 1, s[14:15]
	s_mov_b32 s14, 0
                                        ; implicit-def: $sgpr15
	s_branch .LBB1256_113
.LBB1256_112:                           ;   in Loop: Header=BB1256_113 Depth=1
	s_or_b32 exec_lo, exec_lo, s24
	s_delay_alu instid0(SALU_CYCLE_1) | instskip(SKIP_4) | instid1(SALU_CYCLE_1)
	s_and_b32 s23, exec_lo, s23
	s_mov_b32 s24, s22
	s_or_b32 s14, s23, s14
	s_and_not1_b32 s15, s15, exec_lo
	s_and_b32 s23, s21, exec_lo
	s_or_b32 s15, s15, s23
	s_and_not1_b32 exec_lo, exec_lo, s14
	s_cbranch_execz .LBB1256_117
.LBB1256_113:                           ; =>This Inner Loop Header: Depth=1
	global_load_u16 v1, v[36:37], off
	global_load_u16 v21, v[38:39], off
	s_mov_b32 s23, -1
	s_mov_b32 s25, 0
	s_mov_b32 s22, -1
	s_mov_b32 s26, exec_lo
	s_wait_loadcnt 0x0
	v_cmpx_nlt_f16_e32 v1, v21
; %bb.114:                              ;   in Loop: Header=BB1256_113 Depth=1
	v_cmp_ngt_f16_e32 vcc_lo, v1, v21
	s_and_b32 s22, vcc_lo, s24
	s_and_b32 s25, vcc_lo, exec_lo
	s_or_not1_b32 s22, s22, exec_lo
; %bb.115:                              ;   in Loop: Header=BB1256_113 Depth=1
	s_or_b32 exec_lo, exec_lo, s26
	s_delay_alu instid0(SALU_CYCLE_1) | instskip(SKIP_1) | instid1(SALU_CYCLE_1)
	s_and_not1_b32 s21, s21, exec_lo
	s_and_b32 s24, s22, exec_lo
	s_or_b32 s21, s21, s24
	s_and_saveexec_b32 s24, s25
	s_cbranch_execz .LBB1256_112
; %bb.116:                              ;   in Loop: Header=BB1256_113 Depth=1
	s_add_nc_u64 s[12:13], s[12:13], -1
	v_add_nc_u64_e32 v[36:37], 2, v[36:37]
	v_add_nc_u64_e32 v[38:39], 2, v[38:39]
	s_cmp_eq_u64 s[12:13], 0
	s_cselect_b32 s23, -1, 0
	s_and_not1_b32 s21, s21, exec_lo
	s_or_not1_b32 s23, s23, exec_lo
	s_branch .LBB1256_112
.LBB1256_117:
	s_or_b32 exec_lo, exec_lo, s14
	s_xor_b32 s12, s15, -1
	s_and_not1_b32 s1, s1, exec_lo
	s_and_b32 s12, s12, exec_lo
	s_delay_alu instid0(SALU_CYCLE_1)
	s_or_b32 s1, s1, s12
.LBB1256_118:
	s_or_b32 exec_lo, exec_lo, s4
	s_delay_alu instid0(SALU_CYCLE_1)
	s_or_not1_b32 s1, s1, exec_lo
.LBB1256_119:
	s_or_b32 exec_lo, exec_lo, s0
	v_dual_cndmask_b32 v15, v15, v31, s20 :: v_dual_cndmask_b32 v14, v14, v30, s20
	v_dual_cndmask_b32 v13, v13, v29, s19 :: v_dual_cndmask_b32 v12, v12, v28, s19
	;; [unrolled: 1-line block ×8, first 2 shown]
.LBB1256_120:
	s_or_b32 exec_lo, exec_lo, s2
	v_or_b32_e32 v25, 0x80, v0
	v_lshrrev_b32_e32 v1, 2, v0
	v_or_b32_e32 v22, 0x100, v0
	v_lshlrev_b32_e32 v18, 3, v20
	s_delay_alu instid0(VALU_DEP_4) | instskip(SKIP_1) | instid1(VALU_DEP_3)
	v_lshrrev_b32_e32 v19, 2, v25
	s_barrier_signal -1
	v_lshrrev_b32_e32 v21, 2, v22
	s_delay_alu instid0(VALU_DEP_3)
	v_lshl_add_u32 v18, v1, 3, v18
	s_barrier_wait -1
	s_barrier_signal -1
	s_barrier_wait -1
	ds_store_2addr_b64 v18, v[2:3], v[4:5] offset1:1
	ds_store_2addr_b64 v18, v[6:7], v[8:9] offset0:2 offset1:3
	v_and_b32_e32 v2, 56, v19
	v_and_b32_e32 v1, 24, v1
	v_or_b32_e32 v24, 0x180, v0
	v_and_b32_e32 v3, 0x58, v21
	v_or_b32_e32 v23, 0x200, v0
	s_delay_alu instid0(VALU_DEP_4) | instskip(NEXT) | instid1(VALU_DEP_4)
	v_dual_add_nc_u32 v6, v2, v20 :: v_dual_add_nc_u32 v26, v1, v20
	v_lshrrev_b32_e32 v1, 2, v24
	ds_store_2addr_b64 v18, v[10:11], v[12:13] offset0:4 offset1:5
	ds_store_2addr_b64 v18, v[14:15], v[16:17] offset0:6 offset1:7
	v_or_b32_e32 v19, 0x280, v0
	v_add_nc_u32_e32 v7, v3, v20
	v_or_b32_e32 v18, 0x300, v0
	v_lshrrev_b32_e32 v3, 2, v23
	v_and_b32_e32 v2, 0x78, v1
	v_or_b32_e32 v1, 0x380, v0
	s_delay_alu instid0(VALU_DEP_4) | instskip(NEXT) | instid1(VALU_DEP_4)
	v_dual_lshrrev_b32 v4, 2, v19 :: v_dual_lshrrev_b32 v5, 2, v18
	v_and_b32_e32 v3, 0x98, v3
	s_delay_alu instid0(VALU_DEP_3)
	v_dual_add_nc_u32 v8, v2, v20 :: v_dual_lshrrev_b32 v2, 2, v1
	v_mov_b32_e32 v21, 0
	s_lshl_b64 s[0:1], s[16:17], 3
	v_and_b32_e32 v4, 0xb8, v4
	v_and_b32_e32 v5, 0xd8, v5
	;; [unrolled: 1-line block ×3, first 2 shown]
	s_add_nc_u64 s[0:1], s[6:7], s[0:1]
	s_delay_alu instid0(VALU_DEP_3) | instskip(SKIP_1) | instid1(VALU_DEP_3)
	v_dual_add_nc_u32 v9, v3, v20 :: v_dual_add_nc_u32 v27, v4, v20
	v_add_nc_u64_e32 v[2:3], s[0:1], v[20:21]
	v_dual_add_nc_u32 v28, v5, v20 :: v_dual_add_nc_u32 v20, v10, v20
	s_and_b32 vcc_lo, exec_lo, s9
	s_wait_dscnt 0x0
	s_cbranch_vccz .LBB1256_122
; %bb.121:
	s_barrier_signal -1
	s_barrier_wait -1
	ds_load_b64 v[10:11], v26
	ds_load_b64 v[12:13], v6 offset:1024
	ds_load_b64 v[14:15], v7 offset:2048
	ds_load_b64 v[16:17], v8 offset:3072
	ds_load_b64 v[30:31], v9 offset:4096
	ds_load_b64 v[32:33], v27 offset:5120
	ds_load_b64 v[34:35], v28 offset:6144
	ds_load_b64 v[4:5], v20 offset:7168
	s_mov_b32 s0, -1
	s_wait_dscnt 0x7
	global_store_b64 v[2:3], v[10:11], off
	s_wait_dscnt 0x6
	global_store_b64 v[2:3], v[12:13], off offset:1024
	s_wait_dscnt 0x5
	global_store_b64 v[2:3], v[14:15], off offset:2048
	;; [unrolled: 2-line block ×6, first 2 shown]
	s_cbranch_execz .LBB1256_123
	s_branch .LBB1256_132
.LBB1256_122:
	s_mov_b32 s0, 0
                                        ; implicit-def: $vgpr4_vgpr5
.LBB1256_123:
	s_barrier_signal -1
	s_barrier_wait -1
	s_wait_storecnt_dscnt 0x0
	s_wait_xcnt 0x3
	ds_load_b64 v[16:17], v6 offset:1024
	ds_load_b64 v[14:15], v7 offset:2048
	;; [unrolled: 1-line block ×7, first 2 shown]
	s_sub_co_i32 s0, s8, s16
	s_mov_b32 s1, exec_lo
	s_wait_xcnt 0x0
	v_cmpx_gt_u32_e64 s0, v0
	s_cbranch_execnz .LBB1256_135
; %bb.124:
	s_or_b32 exec_lo, exec_lo, s1
	s_delay_alu instid0(SALU_CYCLE_1)
	s_mov_b32 s1, exec_lo
	v_cmpx_gt_u32_e64 s0, v25
	s_cbranch_execnz .LBB1256_136
.LBB1256_125:
	s_or_b32 exec_lo, exec_lo, s1
	s_delay_alu instid0(SALU_CYCLE_1)
	s_mov_b32 s1, exec_lo
	v_cmpx_gt_u32_e64 s0, v22
	s_cbranch_execnz .LBB1256_137
.LBB1256_126:
	s_or_b32 exec_lo, exec_lo, s1
	s_delay_alu instid0(SALU_CYCLE_1)
	s_mov_b32 s1, exec_lo
	v_cmpx_gt_u32_e64 s0, v24
	s_cbranch_execnz .LBB1256_138
.LBB1256_127:
	s_or_b32 exec_lo, exec_lo, s1
	s_delay_alu instid0(SALU_CYCLE_1)
	s_mov_b32 s1, exec_lo
	v_cmpx_gt_u32_e64 s0, v23
	s_cbranch_execnz .LBB1256_139
.LBB1256_128:
	s_or_b32 exec_lo, exec_lo, s1
	s_delay_alu instid0(SALU_CYCLE_1)
	s_mov_b32 s1, exec_lo
	v_cmpx_gt_u32_e64 s0, v19
	s_cbranch_execnz .LBB1256_140
.LBB1256_129:
	s_or_b32 exec_lo, exec_lo, s1
	s_delay_alu instid0(SALU_CYCLE_1)
	s_mov_b32 s1, exec_lo
	v_cmpx_gt_u32_e64 s0, v18
	s_cbranch_execz .LBB1256_131
.LBB1256_130:
	s_wait_dscnt 0x1
	global_store_b64 v[2:3], v[6:7], off offset:6144
.LBB1256_131:
	s_wait_xcnt 0x0
	s_or_b32 exec_lo, exec_lo, s1
	v_cmp_gt_u32_e64 s0, s0, v1
.LBB1256_132:
	s_wait_xcnt 0x0
	s_delay_alu instid0(VALU_DEP_1)
	s_and_saveexec_b32 s1, s0
	s_cbranch_execz .LBB1256_134
; %bb.133:
	s_wait_dscnt 0x0
	global_store_b64 v[2:3], v[4:5], off offset:7168
.LBB1256_134:
	s_endpgm
.LBB1256_135:
	ds_load_b64 v[20:21], v26
	s_wait_dscnt 0x0
	global_store_b64 v[2:3], v[20:21], off
	s_wait_xcnt 0x0
	s_or_b32 exec_lo, exec_lo, s1
	s_delay_alu instid0(SALU_CYCLE_1)
	s_mov_b32 s1, exec_lo
	v_cmpx_gt_u32_e64 s0, v25
	s_cbranch_execz .LBB1256_125
.LBB1256_136:
	s_wait_dscnt 0x6
	global_store_b64 v[2:3], v[16:17], off offset:1024
	s_wait_xcnt 0x0
	s_or_b32 exec_lo, exec_lo, s1
	s_delay_alu instid0(SALU_CYCLE_1)
	s_mov_b32 s1, exec_lo
	v_cmpx_gt_u32_e64 s0, v22
	s_cbranch_execz .LBB1256_126
.LBB1256_137:
	s_wait_dscnt 0x5
	global_store_b64 v[2:3], v[14:15], off offset:2048
	s_wait_xcnt 0x0
	s_or_b32 exec_lo, exec_lo, s1
	s_delay_alu instid0(SALU_CYCLE_1)
	s_mov_b32 s1, exec_lo
	v_cmpx_gt_u32_e64 s0, v24
	s_cbranch_execz .LBB1256_127
.LBB1256_138:
	s_wait_dscnt 0x4
	global_store_b64 v[2:3], v[12:13], off offset:3072
	s_wait_xcnt 0x0
	s_or_b32 exec_lo, exec_lo, s1
	s_delay_alu instid0(SALU_CYCLE_1)
	s_mov_b32 s1, exec_lo
	v_cmpx_gt_u32_e64 s0, v23
	s_cbranch_execz .LBB1256_128
.LBB1256_139:
	s_wait_dscnt 0x3
	global_store_b64 v[2:3], v[10:11], off offset:4096
	s_wait_xcnt 0x0
	s_or_b32 exec_lo, exec_lo, s1
	s_delay_alu instid0(SALU_CYCLE_1)
	s_mov_b32 s1, exec_lo
	v_cmpx_gt_u32_e64 s0, v19
	s_cbranch_execz .LBB1256_129
.LBB1256_140:
	s_wait_dscnt 0x2
	global_store_b64 v[2:3], v[8:9], off offset:5120
	s_wait_xcnt 0x0
	s_or_b32 exec_lo, exec_lo, s1
	s_delay_alu instid0(SALU_CYCLE_1)
	s_mov_b32 s1, exec_lo
	v_cmpx_gt_u32_e64 s0, v18
	s_cbranch_execnz .LBB1256_130
	s_branch .LBB1256_131
	.section	.rodata,"a",@progbits
	.p2align	6, 0x0
	.amdhsa_kernel _ZN7rocprim17ROCPRIM_400000_NS6detail17trampoline_kernelINS0_14default_configENS1_38merge_sort_block_merge_config_selectorIlNS0_10empty_typeEEEZZNS1_27merge_sort_block_merge_implIS3_PlPS5_mZN2at6native12_GLOBAL__N_124unique_dim_cuda_templateIN3c104HalfEEESt5tupleIJNSA_6TensorESH_SH_EERKSH_lbbbEUlllE_EE10hipError_tT0_T1_T2_jT3_P12ihipStream_tbPNSt15iterator_traitsISN_E10value_typeEPNST_ISO_E10value_typeEPSP_NS1_7vsmem_tEENKUlT_SN_SO_SP_E_clIS8_S8_S9_S9_EESM_S12_SN_SO_SP_EUlS12_E0_NS1_11comp_targetILNS1_3genE0ELNS1_11target_archE4294967295ELNS1_3gpuE0ELNS1_3repE0EEENS1_38merge_mergepath_config_static_selectorELNS0_4arch9wavefront6targetE0EEEvSO_
		.amdhsa_group_segment_fixed_size 8448
		.amdhsa_private_segment_fixed_size 0
		.amdhsa_kernarg_size 344
		.amdhsa_user_sgpr_count 2
		.amdhsa_user_sgpr_dispatch_ptr 0
		.amdhsa_user_sgpr_queue_ptr 0
		.amdhsa_user_sgpr_kernarg_segment_ptr 1
		.amdhsa_user_sgpr_dispatch_id 0
		.amdhsa_user_sgpr_kernarg_preload_length 0
		.amdhsa_user_sgpr_kernarg_preload_offset 0
		.amdhsa_user_sgpr_private_segment_size 0
		.amdhsa_wavefront_size32 1
		.amdhsa_uses_dynamic_stack 0
		.amdhsa_enable_private_segment 0
		.amdhsa_system_sgpr_workgroup_id_x 1
		.amdhsa_system_sgpr_workgroup_id_y 1
		.amdhsa_system_sgpr_workgroup_id_z 1
		.amdhsa_system_sgpr_workgroup_info 0
		.amdhsa_system_vgpr_workitem_id 0
		.amdhsa_next_free_vgpr 40
		.amdhsa_next_free_sgpr 31
		.amdhsa_named_barrier_count 0
		.amdhsa_reserve_vcc 1
		.amdhsa_float_round_mode_32 0
		.amdhsa_float_round_mode_16_64 0
		.amdhsa_float_denorm_mode_32 3
		.amdhsa_float_denorm_mode_16_64 3
		.amdhsa_fp16_overflow 0
		.amdhsa_memory_ordered 1
		.amdhsa_forward_progress 1
		.amdhsa_inst_pref_size 52
		.amdhsa_round_robin_scheduling 0
		.amdhsa_exception_fp_ieee_invalid_op 0
		.amdhsa_exception_fp_denorm_src 0
		.amdhsa_exception_fp_ieee_div_zero 0
		.amdhsa_exception_fp_ieee_overflow 0
		.amdhsa_exception_fp_ieee_underflow 0
		.amdhsa_exception_fp_ieee_inexact 0
		.amdhsa_exception_int_div_zero 0
	.end_amdhsa_kernel
	.section	.text._ZN7rocprim17ROCPRIM_400000_NS6detail17trampoline_kernelINS0_14default_configENS1_38merge_sort_block_merge_config_selectorIlNS0_10empty_typeEEEZZNS1_27merge_sort_block_merge_implIS3_PlPS5_mZN2at6native12_GLOBAL__N_124unique_dim_cuda_templateIN3c104HalfEEESt5tupleIJNSA_6TensorESH_SH_EERKSH_lbbbEUlllE_EE10hipError_tT0_T1_T2_jT3_P12ihipStream_tbPNSt15iterator_traitsISN_E10value_typeEPNST_ISO_E10value_typeEPSP_NS1_7vsmem_tEENKUlT_SN_SO_SP_E_clIS8_S8_S9_S9_EESM_S12_SN_SO_SP_EUlS12_E0_NS1_11comp_targetILNS1_3genE0ELNS1_11target_archE4294967295ELNS1_3gpuE0ELNS1_3repE0EEENS1_38merge_mergepath_config_static_selectorELNS0_4arch9wavefront6targetE0EEEvSO_,"axG",@progbits,_ZN7rocprim17ROCPRIM_400000_NS6detail17trampoline_kernelINS0_14default_configENS1_38merge_sort_block_merge_config_selectorIlNS0_10empty_typeEEEZZNS1_27merge_sort_block_merge_implIS3_PlPS5_mZN2at6native12_GLOBAL__N_124unique_dim_cuda_templateIN3c104HalfEEESt5tupleIJNSA_6TensorESH_SH_EERKSH_lbbbEUlllE_EE10hipError_tT0_T1_T2_jT3_P12ihipStream_tbPNSt15iterator_traitsISN_E10value_typeEPNST_ISO_E10value_typeEPSP_NS1_7vsmem_tEENKUlT_SN_SO_SP_E_clIS8_S8_S9_S9_EESM_S12_SN_SO_SP_EUlS12_E0_NS1_11comp_targetILNS1_3genE0ELNS1_11target_archE4294967295ELNS1_3gpuE0ELNS1_3repE0EEENS1_38merge_mergepath_config_static_selectorELNS0_4arch9wavefront6targetE0EEEvSO_,comdat
.Lfunc_end1256:
	.size	_ZN7rocprim17ROCPRIM_400000_NS6detail17trampoline_kernelINS0_14default_configENS1_38merge_sort_block_merge_config_selectorIlNS0_10empty_typeEEEZZNS1_27merge_sort_block_merge_implIS3_PlPS5_mZN2at6native12_GLOBAL__N_124unique_dim_cuda_templateIN3c104HalfEEESt5tupleIJNSA_6TensorESH_SH_EERKSH_lbbbEUlllE_EE10hipError_tT0_T1_T2_jT3_P12ihipStream_tbPNSt15iterator_traitsISN_E10value_typeEPNST_ISO_E10value_typeEPSP_NS1_7vsmem_tEENKUlT_SN_SO_SP_E_clIS8_S8_S9_S9_EESM_S12_SN_SO_SP_EUlS12_E0_NS1_11comp_targetILNS1_3genE0ELNS1_11target_archE4294967295ELNS1_3gpuE0ELNS1_3repE0EEENS1_38merge_mergepath_config_static_selectorELNS0_4arch9wavefront6targetE0EEEvSO_, .Lfunc_end1256-_ZN7rocprim17ROCPRIM_400000_NS6detail17trampoline_kernelINS0_14default_configENS1_38merge_sort_block_merge_config_selectorIlNS0_10empty_typeEEEZZNS1_27merge_sort_block_merge_implIS3_PlPS5_mZN2at6native12_GLOBAL__N_124unique_dim_cuda_templateIN3c104HalfEEESt5tupleIJNSA_6TensorESH_SH_EERKSH_lbbbEUlllE_EE10hipError_tT0_T1_T2_jT3_P12ihipStream_tbPNSt15iterator_traitsISN_E10value_typeEPNST_ISO_E10value_typeEPSP_NS1_7vsmem_tEENKUlT_SN_SO_SP_E_clIS8_S8_S9_S9_EESM_S12_SN_SO_SP_EUlS12_E0_NS1_11comp_targetILNS1_3genE0ELNS1_11target_archE4294967295ELNS1_3gpuE0ELNS1_3repE0EEENS1_38merge_mergepath_config_static_selectorELNS0_4arch9wavefront6targetE0EEEvSO_
                                        ; -- End function
	.set _ZN7rocprim17ROCPRIM_400000_NS6detail17trampoline_kernelINS0_14default_configENS1_38merge_sort_block_merge_config_selectorIlNS0_10empty_typeEEEZZNS1_27merge_sort_block_merge_implIS3_PlPS5_mZN2at6native12_GLOBAL__N_124unique_dim_cuda_templateIN3c104HalfEEESt5tupleIJNSA_6TensorESH_SH_EERKSH_lbbbEUlllE_EE10hipError_tT0_T1_T2_jT3_P12ihipStream_tbPNSt15iterator_traitsISN_E10value_typeEPNST_ISO_E10value_typeEPSP_NS1_7vsmem_tEENKUlT_SN_SO_SP_E_clIS8_S8_S9_S9_EESM_S12_SN_SO_SP_EUlS12_E0_NS1_11comp_targetILNS1_3genE0ELNS1_11target_archE4294967295ELNS1_3gpuE0ELNS1_3repE0EEENS1_38merge_mergepath_config_static_selectorELNS0_4arch9wavefront6targetE0EEEvSO_.num_vgpr, 40
	.set _ZN7rocprim17ROCPRIM_400000_NS6detail17trampoline_kernelINS0_14default_configENS1_38merge_sort_block_merge_config_selectorIlNS0_10empty_typeEEEZZNS1_27merge_sort_block_merge_implIS3_PlPS5_mZN2at6native12_GLOBAL__N_124unique_dim_cuda_templateIN3c104HalfEEESt5tupleIJNSA_6TensorESH_SH_EERKSH_lbbbEUlllE_EE10hipError_tT0_T1_T2_jT3_P12ihipStream_tbPNSt15iterator_traitsISN_E10value_typeEPNST_ISO_E10value_typeEPSP_NS1_7vsmem_tEENKUlT_SN_SO_SP_E_clIS8_S8_S9_S9_EESM_S12_SN_SO_SP_EUlS12_E0_NS1_11comp_targetILNS1_3genE0ELNS1_11target_archE4294967295ELNS1_3gpuE0ELNS1_3repE0EEENS1_38merge_mergepath_config_static_selectorELNS0_4arch9wavefront6targetE0EEEvSO_.num_agpr, 0
	.set _ZN7rocprim17ROCPRIM_400000_NS6detail17trampoline_kernelINS0_14default_configENS1_38merge_sort_block_merge_config_selectorIlNS0_10empty_typeEEEZZNS1_27merge_sort_block_merge_implIS3_PlPS5_mZN2at6native12_GLOBAL__N_124unique_dim_cuda_templateIN3c104HalfEEESt5tupleIJNSA_6TensorESH_SH_EERKSH_lbbbEUlllE_EE10hipError_tT0_T1_T2_jT3_P12ihipStream_tbPNSt15iterator_traitsISN_E10value_typeEPNST_ISO_E10value_typeEPSP_NS1_7vsmem_tEENKUlT_SN_SO_SP_E_clIS8_S8_S9_S9_EESM_S12_SN_SO_SP_EUlS12_E0_NS1_11comp_targetILNS1_3genE0ELNS1_11target_archE4294967295ELNS1_3gpuE0ELNS1_3repE0EEENS1_38merge_mergepath_config_static_selectorELNS0_4arch9wavefront6targetE0EEEvSO_.numbered_sgpr, 31
	.set _ZN7rocprim17ROCPRIM_400000_NS6detail17trampoline_kernelINS0_14default_configENS1_38merge_sort_block_merge_config_selectorIlNS0_10empty_typeEEEZZNS1_27merge_sort_block_merge_implIS3_PlPS5_mZN2at6native12_GLOBAL__N_124unique_dim_cuda_templateIN3c104HalfEEESt5tupleIJNSA_6TensorESH_SH_EERKSH_lbbbEUlllE_EE10hipError_tT0_T1_T2_jT3_P12ihipStream_tbPNSt15iterator_traitsISN_E10value_typeEPNST_ISO_E10value_typeEPSP_NS1_7vsmem_tEENKUlT_SN_SO_SP_E_clIS8_S8_S9_S9_EESM_S12_SN_SO_SP_EUlS12_E0_NS1_11comp_targetILNS1_3genE0ELNS1_11target_archE4294967295ELNS1_3gpuE0ELNS1_3repE0EEENS1_38merge_mergepath_config_static_selectorELNS0_4arch9wavefront6targetE0EEEvSO_.num_named_barrier, 0
	.set _ZN7rocprim17ROCPRIM_400000_NS6detail17trampoline_kernelINS0_14default_configENS1_38merge_sort_block_merge_config_selectorIlNS0_10empty_typeEEEZZNS1_27merge_sort_block_merge_implIS3_PlPS5_mZN2at6native12_GLOBAL__N_124unique_dim_cuda_templateIN3c104HalfEEESt5tupleIJNSA_6TensorESH_SH_EERKSH_lbbbEUlllE_EE10hipError_tT0_T1_T2_jT3_P12ihipStream_tbPNSt15iterator_traitsISN_E10value_typeEPNST_ISO_E10value_typeEPSP_NS1_7vsmem_tEENKUlT_SN_SO_SP_E_clIS8_S8_S9_S9_EESM_S12_SN_SO_SP_EUlS12_E0_NS1_11comp_targetILNS1_3genE0ELNS1_11target_archE4294967295ELNS1_3gpuE0ELNS1_3repE0EEENS1_38merge_mergepath_config_static_selectorELNS0_4arch9wavefront6targetE0EEEvSO_.private_seg_size, 0
	.set _ZN7rocprim17ROCPRIM_400000_NS6detail17trampoline_kernelINS0_14default_configENS1_38merge_sort_block_merge_config_selectorIlNS0_10empty_typeEEEZZNS1_27merge_sort_block_merge_implIS3_PlPS5_mZN2at6native12_GLOBAL__N_124unique_dim_cuda_templateIN3c104HalfEEESt5tupleIJNSA_6TensorESH_SH_EERKSH_lbbbEUlllE_EE10hipError_tT0_T1_T2_jT3_P12ihipStream_tbPNSt15iterator_traitsISN_E10value_typeEPNST_ISO_E10value_typeEPSP_NS1_7vsmem_tEENKUlT_SN_SO_SP_E_clIS8_S8_S9_S9_EESM_S12_SN_SO_SP_EUlS12_E0_NS1_11comp_targetILNS1_3genE0ELNS1_11target_archE4294967295ELNS1_3gpuE0ELNS1_3repE0EEENS1_38merge_mergepath_config_static_selectorELNS0_4arch9wavefront6targetE0EEEvSO_.uses_vcc, 1
	.set _ZN7rocprim17ROCPRIM_400000_NS6detail17trampoline_kernelINS0_14default_configENS1_38merge_sort_block_merge_config_selectorIlNS0_10empty_typeEEEZZNS1_27merge_sort_block_merge_implIS3_PlPS5_mZN2at6native12_GLOBAL__N_124unique_dim_cuda_templateIN3c104HalfEEESt5tupleIJNSA_6TensorESH_SH_EERKSH_lbbbEUlllE_EE10hipError_tT0_T1_T2_jT3_P12ihipStream_tbPNSt15iterator_traitsISN_E10value_typeEPNST_ISO_E10value_typeEPSP_NS1_7vsmem_tEENKUlT_SN_SO_SP_E_clIS8_S8_S9_S9_EESM_S12_SN_SO_SP_EUlS12_E0_NS1_11comp_targetILNS1_3genE0ELNS1_11target_archE4294967295ELNS1_3gpuE0ELNS1_3repE0EEENS1_38merge_mergepath_config_static_selectorELNS0_4arch9wavefront6targetE0EEEvSO_.uses_flat_scratch, 0
	.set _ZN7rocprim17ROCPRIM_400000_NS6detail17trampoline_kernelINS0_14default_configENS1_38merge_sort_block_merge_config_selectorIlNS0_10empty_typeEEEZZNS1_27merge_sort_block_merge_implIS3_PlPS5_mZN2at6native12_GLOBAL__N_124unique_dim_cuda_templateIN3c104HalfEEESt5tupleIJNSA_6TensorESH_SH_EERKSH_lbbbEUlllE_EE10hipError_tT0_T1_T2_jT3_P12ihipStream_tbPNSt15iterator_traitsISN_E10value_typeEPNST_ISO_E10value_typeEPSP_NS1_7vsmem_tEENKUlT_SN_SO_SP_E_clIS8_S8_S9_S9_EESM_S12_SN_SO_SP_EUlS12_E0_NS1_11comp_targetILNS1_3genE0ELNS1_11target_archE4294967295ELNS1_3gpuE0ELNS1_3repE0EEENS1_38merge_mergepath_config_static_selectorELNS0_4arch9wavefront6targetE0EEEvSO_.has_dyn_sized_stack, 0
	.set _ZN7rocprim17ROCPRIM_400000_NS6detail17trampoline_kernelINS0_14default_configENS1_38merge_sort_block_merge_config_selectorIlNS0_10empty_typeEEEZZNS1_27merge_sort_block_merge_implIS3_PlPS5_mZN2at6native12_GLOBAL__N_124unique_dim_cuda_templateIN3c104HalfEEESt5tupleIJNSA_6TensorESH_SH_EERKSH_lbbbEUlllE_EE10hipError_tT0_T1_T2_jT3_P12ihipStream_tbPNSt15iterator_traitsISN_E10value_typeEPNST_ISO_E10value_typeEPSP_NS1_7vsmem_tEENKUlT_SN_SO_SP_E_clIS8_S8_S9_S9_EESM_S12_SN_SO_SP_EUlS12_E0_NS1_11comp_targetILNS1_3genE0ELNS1_11target_archE4294967295ELNS1_3gpuE0ELNS1_3repE0EEENS1_38merge_mergepath_config_static_selectorELNS0_4arch9wavefront6targetE0EEEvSO_.has_recursion, 0
	.set _ZN7rocprim17ROCPRIM_400000_NS6detail17trampoline_kernelINS0_14default_configENS1_38merge_sort_block_merge_config_selectorIlNS0_10empty_typeEEEZZNS1_27merge_sort_block_merge_implIS3_PlPS5_mZN2at6native12_GLOBAL__N_124unique_dim_cuda_templateIN3c104HalfEEESt5tupleIJNSA_6TensorESH_SH_EERKSH_lbbbEUlllE_EE10hipError_tT0_T1_T2_jT3_P12ihipStream_tbPNSt15iterator_traitsISN_E10value_typeEPNST_ISO_E10value_typeEPSP_NS1_7vsmem_tEENKUlT_SN_SO_SP_E_clIS8_S8_S9_S9_EESM_S12_SN_SO_SP_EUlS12_E0_NS1_11comp_targetILNS1_3genE0ELNS1_11target_archE4294967295ELNS1_3gpuE0ELNS1_3repE0EEENS1_38merge_mergepath_config_static_selectorELNS0_4arch9wavefront6targetE0EEEvSO_.has_indirect_call, 0
	.section	.AMDGPU.csdata,"",@progbits
; Kernel info:
; codeLenInByte = 6648
; TotalNumSgprs: 33
; NumVgprs: 40
; ScratchSize: 0
; MemoryBound: 0
; FloatMode: 240
; IeeeMode: 1
; LDSByteSize: 8448 bytes/workgroup (compile time only)
; SGPRBlocks: 0
; VGPRBlocks: 2
; NumSGPRsForWavesPerEU: 33
; NumVGPRsForWavesPerEU: 40
; NamedBarCnt: 0
; Occupancy: 16
; WaveLimiterHint : 1
; COMPUTE_PGM_RSRC2:SCRATCH_EN: 0
; COMPUTE_PGM_RSRC2:USER_SGPR: 2
; COMPUTE_PGM_RSRC2:TRAP_HANDLER: 0
; COMPUTE_PGM_RSRC2:TGID_X_EN: 1
; COMPUTE_PGM_RSRC2:TGID_Y_EN: 1
; COMPUTE_PGM_RSRC2:TGID_Z_EN: 1
; COMPUTE_PGM_RSRC2:TIDIG_COMP_CNT: 0
	.section	.text._ZN7rocprim17ROCPRIM_400000_NS6detail17trampoline_kernelINS0_14default_configENS1_38merge_sort_block_merge_config_selectorIlNS0_10empty_typeEEEZZNS1_27merge_sort_block_merge_implIS3_PlPS5_mZN2at6native12_GLOBAL__N_124unique_dim_cuda_templateIN3c104HalfEEESt5tupleIJNSA_6TensorESH_SH_EERKSH_lbbbEUlllE_EE10hipError_tT0_T1_T2_jT3_P12ihipStream_tbPNSt15iterator_traitsISN_E10value_typeEPNST_ISO_E10value_typeEPSP_NS1_7vsmem_tEENKUlT_SN_SO_SP_E_clIS8_S8_S9_S9_EESM_S12_SN_SO_SP_EUlS12_E0_NS1_11comp_targetILNS1_3genE10ELNS1_11target_archE1201ELNS1_3gpuE5ELNS1_3repE0EEENS1_38merge_mergepath_config_static_selectorELNS0_4arch9wavefront6targetE0EEEvSO_,"axG",@progbits,_ZN7rocprim17ROCPRIM_400000_NS6detail17trampoline_kernelINS0_14default_configENS1_38merge_sort_block_merge_config_selectorIlNS0_10empty_typeEEEZZNS1_27merge_sort_block_merge_implIS3_PlPS5_mZN2at6native12_GLOBAL__N_124unique_dim_cuda_templateIN3c104HalfEEESt5tupleIJNSA_6TensorESH_SH_EERKSH_lbbbEUlllE_EE10hipError_tT0_T1_T2_jT3_P12ihipStream_tbPNSt15iterator_traitsISN_E10value_typeEPNST_ISO_E10value_typeEPSP_NS1_7vsmem_tEENKUlT_SN_SO_SP_E_clIS8_S8_S9_S9_EESM_S12_SN_SO_SP_EUlS12_E0_NS1_11comp_targetILNS1_3genE10ELNS1_11target_archE1201ELNS1_3gpuE5ELNS1_3repE0EEENS1_38merge_mergepath_config_static_selectorELNS0_4arch9wavefront6targetE0EEEvSO_,comdat
	.globl	_ZN7rocprim17ROCPRIM_400000_NS6detail17trampoline_kernelINS0_14default_configENS1_38merge_sort_block_merge_config_selectorIlNS0_10empty_typeEEEZZNS1_27merge_sort_block_merge_implIS3_PlPS5_mZN2at6native12_GLOBAL__N_124unique_dim_cuda_templateIN3c104HalfEEESt5tupleIJNSA_6TensorESH_SH_EERKSH_lbbbEUlllE_EE10hipError_tT0_T1_T2_jT3_P12ihipStream_tbPNSt15iterator_traitsISN_E10value_typeEPNST_ISO_E10value_typeEPSP_NS1_7vsmem_tEENKUlT_SN_SO_SP_E_clIS8_S8_S9_S9_EESM_S12_SN_SO_SP_EUlS12_E0_NS1_11comp_targetILNS1_3genE10ELNS1_11target_archE1201ELNS1_3gpuE5ELNS1_3repE0EEENS1_38merge_mergepath_config_static_selectorELNS0_4arch9wavefront6targetE0EEEvSO_ ; -- Begin function _ZN7rocprim17ROCPRIM_400000_NS6detail17trampoline_kernelINS0_14default_configENS1_38merge_sort_block_merge_config_selectorIlNS0_10empty_typeEEEZZNS1_27merge_sort_block_merge_implIS3_PlPS5_mZN2at6native12_GLOBAL__N_124unique_dim_cuda_templateIN3c104HalfEEESt5tupleIJNSA_6TensorESH_SH_EERKSH_lbbbEUlllE_EE10hipError_tT0_T1_T2_jT3_P12ihipStream_tbPNSt15iterator_traitsISN_E10value_typeEPNST_ISO_E10value_typeEPSP_NS1_7vsmem_tEENKUlT_SN_SO_SP_E_clIS8_S8_S9_S9_EESM_S12_SN_SO_SP_EUlS12_E0_NS1_11comp_targetILNS1_3genE10ELNS1_11target_archE1201ELNS1_3gpuE5ELNS1_3repE0EEENS1_38merge_mergepath_config_static_selectorELNS0_4arch9wavefront6targetE0EEEvSO_
	.p2align	8
	.type	_ZN7rocprim17ROCPRIM_400000_NS6detail17trampoline_kernelINS0_14default_configENS1_38merge_sort_block_merge_config_selectorIlNS0_10empty_typeEEEZZNS1_27merge_sort_block_merge_implIS3_PlPS5_mZN2at6native12_GLOBAL__N_124unique_dim_cuda_templateIN3c104HalfEEESt5tupleIJNSA_6TensorESH_SH_EERKSH_lbbbEUlllE_EE10hipError_tT0_T1_T2_jT3_P12ihipStream_tbPNSt15iterator_traitsISN_E10value_typeEPNST_ISO_E10value_typeEPSP_NS1_7vsmem_tEENKUlT_SN_SO_SP_E_clIS8_S8_S9_S9_EESM_S12_SN_SO_SP_EUlS12_E0_NS1_11comp_targetILNS1_3genE10ELNS1_11target_archE1201ELNS1_3gpuE5ELNS1_3repE0EEENS1_38merge_mergepath_config_static_selectorELNS0_4arch9wavefront6targetE0EEEvSO_,@function
_ZN7rocprim17ROCPRIM_400000_NS6detail17trampoline_kernelINS0_14default_configENS1_38merge_sort_block_merge_config_selectorIlNS0_10empty_typeEEEZZNS1_27merge_sort_block_merge_implIS3_PlPS5_mZN2at6native12_GLOBAL__N_124unique_dim_cuda_templateIN3c104HalfEEESt5tupleIJNSA_6TensorESH_SH_EERKSH_lbbbEUlllE_EE10hipError_tT0_T1_T2_jT3_P12ihipStream_tbPNSt15iterator_traitsISN_E10value_typeEPNST_ISO_E10value_typeEPSP_NS1_7vsmem_tEENKUlT_SN_SO_SP_E_clIS8_S8_S9_S9_EESM_S12_SN_SO_SP_EUlS12_E0_NS1_11comp_targetILNS1_3genE10ELNS1_11target_archE1201ELNS1_3gpuE5ELNS1_3repE0EEENS1_38merge_mergepath_config_static_selectorELNS0_4arch9wavefront6targetE0EEEvSO_: ; @_ZN7rocprim17ROCPRIM_400000_NS6detail17trampoline_kernelINS0_14default_configENS1_38merge_sort_block_merge_config_selectorIlNS0_10empty_typeEEEZZNS1_27merge_sort_block_merge_implIS3_PlPS5_mZN2at6native12_GLOBAL__N_124unique_dim_cuda_templateIN3c104HalfEEESt5tupleIJNSA_6TensorESH_SH_EERKSH_lbbbEUlllE_EE10hipError_tT0_T1_T2_jT3_P12ihipStream_tbPNSt15iterator_traitsISN_E10value_typeEPNST_ISO_E10value_typeEPSP_NS1_7vsmem_tEENKUlT_SN_SO_SP_E_clIS8_S8_S9_S9_EESM_S12_SN_SO_SP_EUlS12_E0_NS1_11comp_targetILNS1_3genE10ELNS1_11target_archE1201ELNS1_3gpuE5ELNS1_3repE0EEENS1_38merge_mergepath_config_static_selectorELNS0_4arch9wavefront6targetE0EEEvSO_
; %bb.0:
	.section	.rodata,"a",@progbits
	.p2align	6, 0x0
	.amdhsa_kernel _ZN7rocprim17ROCPRIM_400000_NS6detail17trampoline_kernelINS0_14default_configENS1_38merge_sort_block_merge_config_selectorIlNS0_10empty_typeEEEZZNS1_27merge_sort_block_merge_implIS3_PlPS5_mZN2at6native12_GLOBAL__N_124unique_dim_cuda_templateIN3c104HalfEEESt5tupleIJNSA_6TensorESH_SH_EERKSH_lbbbEUlllE_EE10hipError_tT0_T1_T2_jT3_P12ihipStream_tbPNSt15iterator_traitsISN_E10value_typeEPNST_ISO_E10value_typeEPSP_NS1_7vsmem_tEENKUlT_SN_SO_SP_E_clIS8_S8_S9_S9_EESM_S12_SN_SO_SP_EUlS12_E0_NS1_11comp_targetILNS1_3genE10ELNS1_11target_archE1201ELNS1_3gpuE5ELNS1_3repE0EEENS1_38merge_mergepath_config_static_selectorELNS0_4arch9wavefront6targetE0EEEvSO_
		.amdhsa_group_segment_fixed_size 0
		.amdhsa_private_segment_fixed_size 0
		.amdhsa_kernarg_size 88
		.amdhsa_user_sgpr_count 2
		.amdhsa_user_sgpr_dispatch_ptr 0
		.amdhsa_user_sgpr_queue_ptr 0
		.amdhsa_user_sgpr_kernarg_segment_ptr 1
		.amdhsa_user_sgpr_dispatch_id 0
		.amdhsa_user_sgpr_kernarg_preload_length 0
		.amdhsa_user_sgpr_kernarg_preload_offset 0
		.amdhsa_user_sgpr_private_segment_size 0
		.amdhsa_wavefront_size32 1
		.amdhsa_uses_dynamic_stack 0
		.amdhsa_enable_private_segment 0
		.amdhsa_system_sgpr_workgroup_id_x 1
		.amdhsa_system_sgpr_workgroup_id_y 0
		.amdhsa_system_sgpr_workgroup_id_z 0
		.amdhsa_system_sgpr_workgroup_info 0
		.amdhsa_system_vgpr_workitem_id 0
		.amdhsa_next_free_vgpr 1
		.amdhsa_next_free_sgpr 1
		.amdhsa_named_barrier_count 0
		.amdhsa_reserve_vcc 0
		.amdhsa_float_round_mode_32 0
		.amdhsa_float_round_mode_16_64 0
		.amdhsa_float_denorm_mode_32 3
		.amdhsa_float_denorm_mode_16_64 3
		.amdhsa_fp16_overflow 0
		.amdhsa_memory_ordered 1
		.amdhsa_forward_progress 1
		.amdhsa_inst_pref_size 0
		.amdhsa_round_robin_scheduling 0
		.amdhsa_exception_fp_ieee_invalid_op 0
		.amdhsa_exception_fp_denorm_src 0
		.amdhsa_exception_fp_ieee_div_zero 0
		.amdhsa_exception_fp_ieee_overflow 0
		.amdhsa_exception_fp_ieee_underflow 0
		.amdhsa_exception_fp_ieee_inexact 0
		.amdhsa_exception_int_div_zero 0
	.end_amdhsa_kernel
	.section	.text._ZN7rocprim17ROCPRIM_400000_NS6detail17trampoline_kernelINS0_14default_configENS1_38merge_sort_block_merge_config_selectorIlNS0_10empty_typeEEEZZNS1_27merge_sort_block_merge_implIS3_PlPS5_mZN2at6native12_GLOBAL__N_124unique_dim_cuda_templateIN3c104HalfEEESt5tupleIJNSA_6TensorESH_SH_EERKSH_lbbbEUlllE_EE10hipError_tT0_T1_T2_jT3_P12ihipStream_tbPNSt15iterator_traitsISN_E10value_typeEPNST_ISO_E10value_typeEPSP_NS1_7vsmem_tEENKUlT_SN_SO_SP_E_clIS8_S8_S9_S9_EESM_S12_SN_SO_SP_EUlS12_E0_NS1_11comp_targetILNS1_3genE10ELNS1_11target_archE1201ELNS1_3gpuE5ELNS1_3repE0EEENS1_38merge_mergepath_config_static_selectorELNS0_4arch9wavefront6targetE0EEEvSO_,"axG",@progbits,_ZN7rocprim17ROCPRIM_400000_NS6detail17trampoline_kernelINS0_14default_configENS1_38merge_sort_block_merge_config_selectorIlNS0_10empty_typeEEEZZNS1_27merge_sort_block_merge_implIS3_PlPS5_mZN2at6native12_GLOBAL__N_124unique_dim_cuda_templateIN3c104HalfEEESt5tupleIJNSA_6TensorESH_SH_EERKSH_lbbbEUlllE_EE10hipError_tT0_T1_T2_jT3_P12ihipStream_tbPNSt15iterator_traitsISN_E10value_typeEPNST_ISO_E10value_typeEPSP_NS1_7vsmem_tEENKUlT_SN_SO_SP_E_clIS8_S8_S9_S9_EESM_S12_SN_SO_SP_EUlS12_E0_NS1_11comp_targetILNS1_3genE10ELNS1_11target_archE1201ELNS1_3gpuE5ELNS1_3repE0EEENS1_38merge_mergepath_config_static_selectorELNS0_4arch9wavefront6targetE0EEEvSO_,comdat
.Lfunc_end1257:
	.size	_ZN7rocprim17ROCPRIM_400000_NS6detail17trampoline_kernelINS0_14default_configENS1_38merge_sort_block_merge_config_selectorIlNS0_10empty_typeEEEZZNS1_27merge_sort_block_merge_implIS3_PlPS5_mZN2at6native12_GLOBAL__N_124unique_dim_cuda_templateIN3c104HalfEEESt5tupleIJNSA_6TensorESH_SH_EERKSH_lbbbEUlllE_EE10hipError_tT0_T1_T2_jT3_P12ihipStream_tbPNSt15iterator_traitsISN_E10value_typeEPNST_ISO_E10value_typeEPSP_NS1_7vsmem_tEENKUlT_SN_SO_SP_E_clIS8_S8_S9_S9_EESM_S12_SN_SO_SP_EUlS12_E0_NS1_11comp_targetILNS1_3genE10ELNS1_11target_archE1201ELNS1_3gpuE5ELNS1_3repE0EEENS1_38merge_mergepath_config_static_selectorELNS0_4arch9wavefront6targetE0EEEvSO_, .Lfunc_end1257-_ZN7rocprim17ROCPRIM_400000_NS6detail17trampoline_kernelINS0_14default_configENS1_38merge_sort_block_merge_config_selectorIlNS0_10empty_typeEEEZZNS1_27merge_sort_block_merge_implIS3_PlPS5_mZN2at6native12_GLOBAL__N_124unique_dim_cuda_templateIN3c104HalfEEESt5tupleIJNSA_6TensorESH_SH_EERKSH_lbbbEUlllE_EE10hipError_tT0_T1_T2_jT3_P12ihipStream_tbPNSt15iterator_traitsISN_E10value_typeEPNST_ISO_E10value_typeEPSP_NS1_7vsmem_tEENKUlT_SN_SO_SP_E_clIS8_S8_S9_S9_EESM_S12_SN_SO_SP_EUlS12_E0_NS1_11comp_targetILNS1_3genE10ELNS1_11target_archE1201ELNS1_3gpuE5ELNS1_3repE0EEENS1_38merge_mergepath_config_static_selectorELNS0_4arch9wavefront6targetE0EEEvSO_
                                        ; -- End function
	.set _ZN7rocprim17ROCPRIM_400000_NS6detail17trampoline_kernelINS0_14default_configENS1_38merge_sort_block_merge_config_selectorIlNS0_10empty_typeEEEZZNS1_27merge_sort_block_merge_implIS3_PlPS5_mZN2at6native12_GLOBAL__N_124unique_dim_cuda_templateIN3c104HalfEEESt5tupleIJNSA_6TensorESH_SH_EERKSH_lbbbEUlllE_EE10hipError_tT0_T1_T2_jT3_P12ihipStream_tbPNSt15iterator_traitsISN_E10value_typeEPNST_ISO_E10value_typeEPSP_NS1_7vsmem_tEENKUlT_SN_SO_SP_E_clIS8_S8_S9_S9_EESM_S12_SN_SO_SP_EUlS12_E0_NS1_11comp_targetILNS1_3genE10ELNS1_11target_archE1201ELNS1_3gpuE5ELNS1_3repE0EEENS1_38merge_mergepath_config_static_selectorELNS0_4arch9wavefront6targetE0EEEvSO_.num_vgpr, 0
	.set _ZN7rocprim17ROCPRIM_400000_NS6detail17trampoline_kernelINS0_14default_configENS1_38merge_sort_block_merge_config_selectorIlNS0_10empty_typeEEEZZNS1_27merge_sort_block_merge_implIS3_PlPS5_mZN2at6native12_GLOBAL__N_124unique_dim_cuda_templateIN3c104HalfEEESt5tupleIJNSA_6TensorESH_SH_EERKSH_lbbbEUlllE_EE10hipError_tT0_T1_T2_jT3_P12ihipStream_tbPNSt15iterator_traitsISN_E10value_typeEPNST_ISO_E10value_typeEPSP_NS1_7vsmem_tEENKUlT_SN_SO_SP_E_clIS8_S8_S9_S9_EESM_S12_SN_SO_SP_EUlS12_E0_NS1_11comp_targetILNS1_3genE10ELNS1_11target_archE1201ELNS1_3gpuE5ELNS1_3repE0EEENS1_38merge_mergepath_config_static_selectorELNS0_4arch9wavefront6targetE0EEEvSO_.num_agpr, 0
	.set _ZN7rocprim17ROCPRIM_400000_NS6detail17trampoline_kernelINS0_14default_configENS1_38merge_sort_block_merge_config_selectorIlNS0_10empty_typeEEEZZNS1_27merge_sort_block_merge_implIS3_PlPS5_mZN2at6native12_GLOBAL__N_124unique_dim_cuda_templateIN3c104HalfEEESt5tupleIJNSA_6TensorESH_SH_EERKSH_lbbbEUlllE_EE10hipError_tT0_T1_T2_jT3_P12ihipStream_tbPNSt15iterator_traitsISN_E10value_typeEPNST_ISO_E10value_typeEPSP_NS1_7vsmem_tEENKUlT_SN_SO_SP_E_clIS8_S8_S9_S9_EESM_S12_SN_SO_SP_EUlS12_E0_NS1_11comp_targetILNS1_3genE10ELNS1_11target_archE1201ELNS1_3gpuE5ELNS1_3repE0EEENS1_38merge_mergepath_config_static_selectorELNS0_4arch9wavefront6targetE0EEEvSO_.numbered_sgpr, 0
	.set _ZN7rocprim17ROCPRIM_400000_NS6detail17trampoline_kernelINS0_14default_configENS1_38merge_sort_block_merge_config_selectorIlNS0_10empty_typeEEEZZNS1_27merge_sort_block_merge_implIS3_PlPS5_mZN2at6native12_GLOBAL__N_124unique_dim_cuda_templateIN3c104HalfEEESt5tupleIJNSA_6TensorESH_SH_EERKSH_lbbbEUlllE_EE10hipError_tT0_T1_T2_jT3_P12ihipStream_tbPNSt15iterator_traitsISN_E10value_typeEPNST_ISO_E10value_typeEPSP_NS1_7vsmem_tEENKUlT_SN_SO_SP_E_clIS8_S8_S9_S9_EESM_S12_SN_SO_SP_EUlS12_E0_NS1_11comp_targetILNS1_3genE10ELNS1_11target_archE1201ELNS1_3gpuE5ELNS1_3repE0EEENS1_38merge_mergepath_config_static_selectorELNS0_4arch9wavefront6targetE0EEEvSO_.num_named_barrier, 0
	.set _ZN7rocprim17ROCPRIM_400000_NS6detail17trampoline_kernelINS0_14default_configENS1_38merge_sort_block_merge_config_selectorIlNS0_10empty_typeEEEZZNS1_27merge_sort_block_merge_implIS3_PlPS5_mZN2at6native12_GLOBAL__N_124unique_dim_cuda_templateIN3c104HalfEEESt5tupleIJNSA_6TensorESH_SH_EERKSH_lbbbEUlllE_EE10hipError_tT0_T1_T2_jT3_P12ihipStream_tbPNSt15iterator_traitsISN_E10value_typeEPNST_ISO_E10value_typeEPSP_NS1_7vsmem_tEENKUlT_SN_SO_SP_E_clIS8_S8_S9_S9_EESM_S12_SN_SO_SP_EUlS12_E0_NS1_11comp_targetILNS1_3genE10ELNS1_11target_archE1201ELNS1_3gpuE5ELNS1_3repE0EEENS1_38merge_mergepath_config_static_selectorELNS0_4arch9wavefront6targetE0EEEvSO_.private_seg_size, 0
	.set _ZN7rocprim17ROCPRIM_400000_NS6detail17trampoline_kernelINS0_14default_configENS1_38merge_sort_block_merge_config_selectorIlNS0_10empty_typeEEEZZNS1_27merge_sort_block_merge_implIS3_PlPS5_mZN2at6native12_GLOBAL__N_124unique_dim_cuda_templateIN3c104HalfEEESt5tupleIJNSA_6TensorESH_SH_EERKSH_lbbbEUlllE_EE10hipError_tT0_T1_T2_jT3_P12ihipStream_tbPNSt15iterator_traitsISN_E10value_typeEPNST_ISO_E10value_typeEPSP_NS1_7vsmem_tEENKUlT_SN_SO_SP_E_clIS8_S8_S9_S9_EESM_S12_SN_SO_SP_EUlS12_E0_NS1_11comp_targetILNS1_3genE10ELNS1_11target_archE1201ELNS1_3gpuE5ELNS1_3repE0EEENS1_38merge_mergepath_config_static_selectorELNS0_4arch9wavefront6targetE0EEEvSO_.uses_vcc, 0
	.set _ZN7rocprim17ROCPRIM_400000_NS6detail17trampoline_kernelINS0_14default_configENS1_38merge_sort_block_merge_config_selectorIlNS0_10empty_typeEEEZZNS1_27merge_sort_block_merge_implIS3_PlPS5_mZN2at6native12_GLOBAL__N_124unique_dim_cuda_templateIN3c104HalfEEESt5tupleIJNSA_6TensorESH_SH_EERKSH_lbbbEUlllE_EE10hipError_tT0_T1_T2_jT3_P12ihipStream_tbPNSt15iterator_traitsISN_E10value_typeEPNST_ISO_E10value_typeEPSP_NS1_7vsmem_tEENKUlT_SN_SO_SP_E_clIS8_S8_S9_S9_EESM_S12_SN_SO_SP_EUlS12_E0_NS1_11comp_targetILNS1_3genE10ELNS1_11target_archE1201ELNS1_3gpuE5ELNS1_3repE0EEENS1_38merge_mergepath_config_static_selectorELNS0_4arch9wavefront6targetE0EEEvSO_.uses_flat_scratch, 0
	.set _ZN7rocprim17ROCPRIM_400000_NS6detail17trampoline_kernelINS0_14default_configENS1_38merge_sort_block_merge_config_selectorIlNS0_10empty_typeEEEZZNS1_27merge_sort_block_merge_implIS3_PlPS5_mZN2at6native12_GLOBAL__N_124unique_dim_cuda_templateIN3c104HalfEEESt5tupleIJNSA_6TensorESH_SH_EERKSH_lbbbEUlllE_EE10hipError_tT0_T1_T2_jT3_P12ihipStream_tbPNSt15iterator_traitsISN_E10value_typeEPNST_ISO_E10value_typeEPSP_NS1_7vsmem_tEENKUlT_SN_SO_SP_E_clIS8_S8_S9_S9_EESM_S12_SN_SO_SP_EUlS12_E0_NS1_11comp_targetILNS1_3genE10ELNS1_11target_archE1201ELNS1_3gpuE5ELNS1_3repE0EEENS1_38merge_mergepath_config_static_selectorELNS0_4arch9wavefront6targetE0EEEvSO_.has_dyn_sized_stack, 0
	.set _ZN7rocprim17ROCPRIM_400000_NS6detail17trampoline_kernelINS0_14default_configENS1_38merge_sort_block_merge_config_selectorIlNS0_10empty_typeEEEZZNS1_27merge_sort_block_merge_implIS3_PlPS5_mZN2at6native12_GLOBAL__N_124unique_dim_cuda_templateIN3c104HalfEEESt5tupleIJNSA_6TensorESH_SH_EERKSH_lbbbEUlllE_EE10hipError_tT0_T1_T2_jT3_P12ihipStream_tbPNSt15iterator_traitsISN_E10value_typeEPNST_ISO_E10value_typeEPSP_NS1_7vsmem_tEENKUlT_SN_SO_SP_E_clIS8_S8_S9_S9_EESM_S12_SN_SO_SP_EUlS12_E0_NS1_11comp_targetILNS1_3genE10ELNS1_11target_archE1201ELNS1_3gpuE5ELNS1_3repE0EEENS1_38merge_mergepath_config_static_selectorELNS0_4arch9wavefront6targetE0EEEvSO_.has_recursion, 0
	.set _ZN7rocprim17ROCPRIM_400000_NS6detail17trampoline_kernelINS0_14default_configENS1_38merge_sort_block_merge_config_selectorIlNS0_10empty_typeEEEZZNS1_27merge_sort_block_merge_implIS3_PlPS5_mZN2at6native12_GLOBAL__N_124unique_dim_cuda_templateIN3c104HalfEEESt5tupleIJNSA_6TensorESH_SH_EERKSH_lbbbEUlllE_EE10hipError_tT0_T1_T2_jT3_P12ihipStream_tbPNSt15iterator_traitsISN_E10value_typeEPNST_ISO_E10value_typeEPSP_NS1_7vsmem_tEENKUlT_SN_SO_SP_E_clIS8_S8_S9_S9_EESM_S12_SN_SO_SP_EUlS12_E0_NS1_11comp_targetILNS1_3genE10ELNS1_11target_archE1201ELNS1_3gpuE5ELNS1_3repE0EEENS1_38merge_mergepath_config_static_selectorELNS0_4arch9wavefront6targetE0EEEvSO_.has_indirect_call, 0
	.section	.AMDGPU.csdata,"",@progbits
; Kernel info:
; codeLenInByte = 0
; TotalNumSgprs: 0
; NumVgprs: 0
; ScratchSize: 0
; MemoryBound: 0
; FloatMode: 240
; IeeeMode: 1
; LDSByteSize: 0 bytes/workgroup (compile time only)
; SGPRBlocks: 0
; VGPRBlocks: 0
; NumSGPRsForWavesPerEU: 1
; NumVGPRsForWavesPerEU: 1
; NamedBarCnt: 0
; Occupancy: 16
; WaveLimiterHint : 0
; COMPUTE_PGM_RSRC2:SCRATCH_EN: 0
; COMPUTE_PGM_RSRC2:USER_SGPR: 2
; COMPUTE_PGM_RSRC2:TRAP_HANDLER: 0
; COMPUTE_PGM_RSRC2:TGID_X_EN: 1
; COMPUTE_PGM_RSRC2:TGID_Y_EN: 0
; COMPUTE_PGM_RSRC2:TGID_Z_EN: 0
; COMPUTE_PGM_RSRC2:TIDIG_COMP_CNT: 0
	.section	.text._ZN7rocprim17ROCPRIM_400000_NS6detail17trampoline_kernelINS0_14default_configENS1_38merge_sort_block_merge_config_selectorIlNS0_10empty_typeEEEZZNS1_27merge_sort_block_merge_implIS3_PlPS5_mZN2at6native12_GLOBAL__N_124unique_dim_cuda_templateIN3c104HalfEEESt5tupleIJNSA_6TensorESH_SH_EERKSH_lbbbEUlllE_EE10hipError_tT0_T1_T2_jT3_P12ihipStream_tbPNSt15iterator_traitsISN_E10value_typeEPNST_ISO_E10value_typeEPSP_NS1_7vsmem_tEENKUlT_SN_SO_SP_E_clIS8_S8_S9_S9_EESM_S12_SN_SO_SP_EUlS12_E0_NS1_11comp_targetILNS1_3genE5ELNS1_11target_archE942ELNS1_3gpuE9ELNS1_3repE0EEENS1_38merge_mergepath_config_static_selectorELNS0_4arch9wavefront6targetE0EEEvSO_,"axG",@progbits,_ZN7rocprim17ROCPRIM_400000_NS6detail17trampoline_kernelINS0_14default_configENS1_38merge_sort_block_merge_config_selectorIlNS0_10empty_typeEEEZZNS1_27merge_sort_block_merge_implIS3_PlPS5_mZN2at6native12_GLOBAL__N_124unique_dim_cuda_templateIN3c104HalfEEESt5tupleIJNSA_6TensorESH_SH_EERKSH_lbbbEUlllE_EE10hipError_tT0_T1_T2_jT3_P12ihipStream_tbPNSt15iterator_traitsISN_E10value_typeEPNST_ISO_E10value_typeEPSP_NS1_7vsmem_tEENKUlT_SN_SO_SP_E_clIS8_S8_S9_S9_EESM_S12_SN_SO_SP_EUlS12_E0_NS1_11comp_targetILNS1_3genE5ELNS1_11target_archE942ELNS1_3gpuE9ELNS1_3repE0EEENS1_38merge_mergepath_config_static_selectorELNS0_4arch9wavefront6targetE0EEEvSO_,comdat
	.globl	_ZN7rocprim17ROCPRIM_400000_NS6detail17trampoline_kernelINS0_14default_configENS1_38merge_sort_block_merge_config_selectorIlNS0_10empty_typeEEEZZNS1_27merge_sort_block_merge_implIS3_PlPS5_mZN2at6native12_GLOBAL__N_124unique_dim_cuda_templateIN3c104HalfEEESt5tupleIJNSA_6TensorESH_SH_EERKSH_lbbbEUlllE_EE10hipError_tT0_T1_T2_jT3_P12ihipStream_tbPNSt15iterator_traitsISN_E10value_typeEPNST_ISO_E10value_typeEPSP_NS1_7vsmem_tEENKUlT_SN_SO_SP_E_clIS8_S8_S9_S9_EESM_S12_SN_SO_SP_EUlS12_E0_NS1_11comp_targetILNS1_3genE5ELNS1_11target_archE942ELNS1_3gpuE9ELNS1_3repE0EEENS1_38merge_mergepath_config_static_selectorELNS0_4arch9wavefront6targetE0EEEvSO_ ; -- Begin function _ZN7rocprim17ROCPRIM_400000_NS6detail17trampoline_kernelINS0_14default_configENS1_38merge_sort_block_merge_config_selectorIlNS0_10empty_typeEEEZZNS1_27merge_sort_block_merge_implIS3_PlPS5_mZN2at6native12_GLOBAL__N_124unique_dim_cuda_templateIN3c104HalfEEESt5tupleIJNSA_6TensorESH_SH_EERKSH_lbbbEUlllE_EE10hipError_tT0_T1_T2_jT3_P12ihipStream_tbPNSt15iterator_traitsISN_E10value_typeEPNST_ISO_E10value_typeEPSP_NS1_7vsmem_tEENKUlT_SN_SO_SP_E_clIS8_S8_S9_S9_EESM_S12_SN_SO_SP_EUlS12_E0_NS1_11comp_targetILNS1_3genE5ELNS1_11target_archE942ELNS1_3gpuE9ELNS1_3repE0EEENS1_38merge_mergepath_config_static_selectorELNS0_4arch9wavefront6targetE0EEEvSO_
	.p2align	8
	.type	_ZN7rocprim17ROCPRIM_400000_NS6detail17trampoline_kernelINS0_14default_configENS1_38merge_sort_block_merge_config_selectorIlNS0_10empty_typeEEEZZNS1_27merge_sort_block_merge_implIS3_PlPS5_mZN2at6native12_GLOBAL__N_124unique_dim_cuda_templateIN3c104HalfEEESt5tupleIJNSA_6TensorESH_SH_EERKSH_lbbbEUlllE_EE10hipError_tT0_T1_T2_jT3_P12ihipStream_tbPNSt15iterator_traitsISN_E10value_typeEPNST_ISO_E10value_typeEPSP_NS1_7vsmem_tEENKUlT_SN_SO_SP_E_clIS8_S8_S9_S9_EESM_S12_SN_SO_SP_EUlS12_E0_NS1_11comp_targetILNS1_3genE5ELNS1_11target_archE942ELNS1_3gpuE9ELNS1_3repE0EEENS1_38merge_mergepath_config_static_selectorELNS0_4arch9wavefront6targetE0EEEvSO_,@function
_ZN7rocprim17ROCPRIM_400000_NS6detail17trampoline_kernelINS0_14default_configENS1_38merge_sort_block_merge_config_selectorIlNS0_10empty_typeEEEZZNS1_27merge_sort_block_merge_implIS3_PlPS5_mZN2at6native12_GLOBAL__N_124unique_dim_cuda_templateIN3c104HalfEEESt5tupleIJNSA_6TensorESH_SH_EERKSH_lbbbEUlllE_EE10hipError_tT0_T1_T2_jT3_P12ihipStream_tbPNSt15iterator_traitsISN_E10value_typeEPNST_ISO_E10value_typeEPSP_NS1_7vsmem_tEENKUlT_SN_SO_SP_E_clIS8_S8_S9_S9_EESM_S12_SN_SO_SP_EUlS12_E0_NS1_11comp_targetILNS1_3genE5ELNS1_11target_archE942ELNS1_3gpuE9ELNS1_3repE0EEENS1_38merge_mergepath_config_static_selectorELNS0_4arch9wavefront6targetE0EEEvSO_: ; @_ZN7rocprim17ROCPRIM_400000_NS6detail17trampoline_kernelINS0_14default_configENS1_38merge_sort_block_merge_config_selectorIlNS0_10empty_typeEEEZZNS1_27merge_sort_block_merge_implIS3_PlPS5_mZN2at6native12_GLOBAL__N_124unique_dim_cuda_templateIN3c104HalfEEESt5tupleIJNSA_6TensorESH_SH_EERKSH_lbbbEUlllE_EE10hipError_tT0_T1_T2_jT3_P12ihipStream_tbPNSt15iterator_traitsISN_E10value_typeEPNST_ISO_E10value_typeEPSP_NS1_7vsmem_tEENKUlT_SN_SO_SP_E_clIS8_S8_S9_S9_EESM_S12_SN_SO_SP_EUlS12_E0_NS1_11comp_targetILNS1_3genE5ELNS1_11target_archE942ELNS1_3gpuE9ELNS1_3repE0EEENS1_38merge_mergepath_config_static_selectorELNS0_4arch9wavefront6targetE0EEEvSO_
; %bb.0:
	.section	.rodata,"a",@progbits
	.p2align	6, 0x0
	.amdhsa_kernel _ZN7rocprim17ROCPRIM_400000_NS6detail17trampoline_kernelINS0_14default_configENS1_38merge_sort_block_merge_config_selectorIlNS0_10empty_typeEEEZZNS1_27merge_sort_block_merge_implIS3_PlPS5_mZN2at6native12_GLOBAL__N_124unique_dim_cuda_templateIN3c104HalfEEESt5tupleIJNSA_6TensorESH_SH_EERKSH_lbbbEUlllE_EE10hipError_tT0_T1_T2_jT3_P12ihipStream_tbPNSt15iterator_traitsISN_E10value_typeEPNST_ISO_E10value_typeEPSP_NS1_7vsmem_tEENKUlT_SN_SO_SP_E_clIS8_S8_S9_S9_EESM_S12_SN_SO_SP_EUlS12_E0_NS1_11comp_targetILNS1_3genE5ELNS1_11target_archE942ELNS1_3gpuE9ELNS1_3repE0EEENS1_38merge_mergepath_config_static_selectorELNS0_4arch9wavefront6targetE0EEEvSO_
		.amdhsa_group_segment_fixed_size 0
		.amdhsa_private_segment_fixed_size 0
		.amdhsa_kernarg_size 88
		.amdhsa_user_sgpr_count 2
		.amdhsa_user_sgpr_dispatch_ptr 0
		.amdhsa_user_sgpr_queue_ptr 0
		.amdhsa_user_sgpr_kernarg_segment_ptr 1
		.amdhsa_user_sgpr_dispatch_id 0
		.amdhsa_user_sgpr_kernarg_preload_length 0
		.amdhsa_user_sgpr_kernarg_preload_offset 0
		.amdhsa_user_sgpr_private_segment_size 0
		.amdhsa_wavefront_size32 1
		.amdhsa_uses_dynamic_stack 0
		.amdhsa_enable_private_segment 0
		.amdhsa_system_sgpr_workgroup_id_x 1
		.amdhsa_system_sgpr_workgroup_id_y 0
		.amdhsa_system_sgpr_workgroup_id_z 0
		.amdhsa_system_sgpr_workgroup_info 0
		.amdhsa_system_vgpr_workitem_id 0
		.amdhsa_next_free_vgpr 1
		.amdhsa_next_free_sgpr 1
		.amdhsa_named_barrier_count 0
		.amdhsa_reserve_vcc 0
		.amdhsa_float_round_mode_32 0
		.amdhsa_float_round_mode_16_64 0
		.amdhsa_float_denorm_mode_32 3
		.amdhsa_float_denorm_mode_16_64 3
		.amdhsa_fp16_overflow 0
		.amdhsa_memory_ordered 1
		.amdhsa_forward_progress 1
		.amdhsa_inst_pref_size 0
		.amdhsa_round_robin_scheduling 0
		.amdhsa_exception_fp_ieee_invalid_op 0
		.amdhsa_exception_fp_denorm_src 0
		.amdhsa_exception_fp_ieee_div_zero 0
		.amdhsa_exception_fp_ieee_overflow 0
		.amdhsa_exception_fp_ieee_underflow 0
		.amdhsa_exception_fp_ieee_inexact 0
		.amdhsa_exception_int_div_zero 0
	.end_amdhsa_kernel
	.section	.text._ZN7rocprim17ROCPRIM_400000_NS6detail17trampoline_kernelINS0_14default_configENS1_38merge_sort_block_merge_config_selectorIlNS0_10empty_typeEEEZZNS1_27merge_sort_block_merge_implIS3_PlPS5_mZN2at6native12_GLOBAL__N_124unique_dim_cuda_templateIN3c104HalfEEESt5tupleIJNSA_6TensorESH_SH_EERKSH_lbbbEUlllE_EE10hipError_tT0_T1_T2_jT3_P12ihipStream_tbPNSt15iterator_traitsISN_E10value_typeEPNST_ISO_E10value_typeEPSP_NS1_7vsmem_tEENKUlT_SN_SO_SP_E_clIS8_S8_S9_S9_EESM_S12_SN_SO_SP_EUlS12_E0_NS1_11comp_targetILNS1_3genE5ELNS1_11target_archE942ELNS1_3gpuE9ELNS1_3repE0EEENS1_38merge_mergepath_config_static_selectorELNS0_4arch9wavefront6targetE0EEEvSO_,"axG",@progbits,_ZN7rocprim17ROCPRIM_400000_NS6detail17trampoline_kernelINS0_14default_configENS1_38merge_sort_block_merge_config_selectorIlNS0_10empty_typeEEEZZNS1_27merge_sort_block_merge_implIS3_PlPS5_mZN2at6native12_GLOBAL__N_124unique_dim_cuda_templateIN3c104HalfEEESt5tupleIJNSA_6TensorESH_SH_EERKSH_lbbbEUlllE_EE10hipError_tT0_T1_T2_jT3_P12ihipStream_tbPNSt15iterator_traitsISN_E10value_typeEPNST_ISO_E10value_typeEPSP_NS1_7vsmem_tEENKUlT_SN_SO_SP_E_clIS8_S8_S9_S9_EESM_S12_SN_SO_SP_EUlS12_E0_NS1_11comp_targetILNS1_3genE5ELNS1_11target_archE942ELNS1_3gpuE9ELNS1_3repE0EEENS1_38merge_mergepath_config_static_selectorELNS0_4arch9wavefront6targetE0EEEvSO_,comdat
.Lfunc_end1258:
	.size	_ZN7rocprim17ROCPRIM_400000_NS6detail17trampoline_kernelINS0_14default_configENS1_38merge_sort_block_merge_config_selectorIlNS0_10empty_typeEEEZZNS1_27merge_sort_block_merge_implIS3_PlPS5_mZN2at6native12_GLOBAL__N_124unique_dim_cuda_templateIN3c104HalfEEESt5tupleIJNSA_6TensorESH_SH_EERKSH_lbbbEUlllE_EE10hipError_tT0_T1_T2_jT3_P12ihipStream_tbPNSt15iterator_traitsISN_E10value_typeEPNST_ISO_E10value_typeEPSP_NS1_7vsmem_tEENKUlT_SN_SO_SP_E_clIS8_S8_S9_S9_EESM_S12_SN_SO_SP_EUlS12_E0_NS1_11comp_targetILNS1_3genE5ELNS1_11target_archE942ELNS1_3gpuE9ELNS1_3repE0EEENS1_38merge_mergepath_config_static_selectorELNS0_4arch9wavefront6targetE0EEEvSO_, .Lfunc_end1258-_ZN7rocprim17ROCPRIM_400000_NS6detail17trampoline_kernelINS0_14default_configENS1_38merge_sort_block_merge_config_selectorIlNS0_10empty_typeEEEZZNS1_27merge_sort_block_merge_implIS3_PlPS5_mZN2at6native12_GLOBAL__N_124unique_dim_cuda_templateIN3c104HalfEEESt5tupleIJNSA_6TensorESH_SH_EERKSH_lbbbEUlllE_EE10hipError_tT0_T1_T2_jT3_P12ihipStream_tbPNSt15iterator_traitsISN_E10value_typeEPNST_ISO_E10value_typeEPSP_NS1_7vsmem_tEENKUlT_SN_SO_SP_E_clIS8_S8_S9_S9_EESM_S12_SN_SO_SP_EUlS12_E0_NS1_11comp_targetILNS1_3genE5ELNS1_11target_archE942ELNS1_3gpuE9ELNS1_3repE0EEENS1_38merge_mergepath_config_static_selectorELNS0_4arch9wavefront6targetE0EEEvSO_
                                        ; -- End function
	.set _ZN7rocprim17ROCPRIM_400000_NS6detail17trampoline_kernelINS0_14default_configENS1_38merge_sort_block_merge_config_selectorIlNS0_10empty_typeEEEZZNS1_27merge_sort_block_merge_implIS3_PlPS5_mZN2at6native12_GLOBAL__N_124unique_dim_cuda_templateIN3c104HalfEEESt5tupleIJNSA_6TensorESH_SH_EERKSH_lbbbEUlllE_EE10hipError_tT0_T1_T2_jT3_P12ihipStream_tbPNSt15iterator_traitsISN_E10value_typeEPNST_ISO_E10value_typeEPSP_NS1_7vsmem_tEENKUlT_SN_SO_SP_E_clIS8_S8_S9_S9_EESM_S12_SN_SO_SP_EUlS12_E0_NS1_11comp_targetILNS1_3genE5ELNS1_11target_archE942ELNS1_3gpuE9ELNS1_3repE0EEENS1_38merge_mergepath_config_static_selectorELNS0_4arch9wavefront6targetE0EEEvSO_.num_vgpr, 0
	.set _ZN7rocprim17ROCPRIM_400000_NS6detail17trampoline_kernelINS0_14default_configENS1_38merge_sort_block_merge_config_selectorIlNS0_10empty_typeEEEZZNS1_27merge_sort_block_merge_implIS3_PlPS5_mZN2at6native12_GLOBAL__N_124unique_dim_cuda_templateIN3c104HalfEEESt5tupleIJNSA_6TensorESH_SH_EERKSH_lbbbEUlllE_EE10hipError_tT0_T1_T2_jT3_P12ihipStream_tbPNSt15iterator_traitsISN_E10value_typeEPNST_ISO_E10value_typeEPSP_NS1_7vsmem_tEENKUlT_SN_SO_SP_E_clIS8_S8_S9_S9_EESM_S12_SN_SO_SP_EUlS12_E0_NS1_11comp_targetILNS1_3genE5ELNS1_11target_archE942ELNS1_3gpuE9ELNS1_3repE0EEENS1_38merge_mergepath_config_static_selectorELNS0_4arch9wavefront6targetE0EEEvSO_.num_agpr, 0
	.set _ZN7rocprim17ROCPRIM_400000_NS6detail17trampoline_kernelINS0_14default_configENS1_38merge_sort_block_merge_config_selectorIlNS0_10empty_typeEEEZZNS1_27merge_sort_block_merge_implIS3_PlPS5_mZN2at6native12_GLOBAL__N_124unique_dim_cuda_templateIN3c104HalfEEESt5tupleIJNSA_6TensorESH_SH_EERKSH_lbbbEUlllE_EE10hipError_tT0_T1_T2_jT3_P12ihipStream_tbPNSt15iterator_traitsISN_E10value_typeEPNST_ISO_E10value_typeEPSP_NS1_7vsmem_tEENKUlT_SN_SO_SP_E_clIS8_S8_S9_S9_EESM_S12_SN_SO_SP_EUlS12_E0_NS1_11comp_targetILNS1_3genE5ELNS1_11target_archE942ELNS1_3gpuE9ELNS1_3repE0EEENS1_38merge_mergepath_config_static_selectorELNS0_4arch9wavefront6targetE0EEEvSO_.numbered_sgpr, 0
	.set _ZN7rocprim17ROCPRIM_400000_NS6detail17trampoline_kernelINS0_14default_configENS1_38merge_sort_block_merge_config_selectorIlNS0_10empty_typeEEEZZNS1_27merge_sort_block_merge_implIS3_PlPS5_mZN2at6native12_GLOBAL__N_124unique_dim_cuda_templateIN3c104HalfEEESt5tupleIJNSA_6TensorESH_SH_EERKSH_lbbbEUlllE_EE10hipError_tT0_T1_T2_jT3_P12ihipStream_tbPNSt15iterator_traitsISN_E10value_typeEPNST_ISO_E10value_typeEPSP_NS1_7vsmem_tEENKUlT_SN_SO_SP_E_clIS8_S8_S9_S9_EESM_S12_SN_SO_SP_EUlS12_E0_NS1_11comp_targetILNS1_3genE5ELNS1_11target_archE942ELNS1_3gpuE9ELNS1_3repE0EEENS1_38merge_mergepath_config_static_selectorELNS0_4arch9wavefront6targetE0EEEvSO_.num_named_barrier, 0
	.set _ZN7rocprim17ROCPRIM_400000_NS6detail17trampoline_kernelINS0_14default_configENS1_38merge_sort_block_merge_config_selectorIlNS0_10empty_typeEEEZZNS1_27merge_sort_block_merge_implIS3_PlPS5_mZN2at6native12_GLOBAL__N_124unique_dim_cuda_templateIN3c104HalfEEESt5tupleIJNSA_6TensorESH_SH_EERKSH_lbbbEUlllE_EE10hipError_tT0_T1_T2_jT3_P12ihipStream_tbPNSt15iterator_traitsISN_E10value_typeEPNST_ISO_E10value_typeEPSP_NS1_7vsmem_tEENKUlT_SN_SO_SP_E_clIS8_S8_S9_S9_EESM_S12_SN_SO_SP_EUlS12_E0_NS1_11comp_targetILNS1_3genE5ELNS1_11target_archE942ELNS1_3gpuE9ELNS1_3repE0EEENS1_38merge_mergepath_config_static_selectorELNS0_4arch9wavefront6targetE0EEEvSO_.private_seg_size, 0
	.set _ZN7rocprim17ROCPRIM_400000_NS6detail17trampoline_kernelINS0_14default_configENS1_38merge_sort_block_merge_config_selectorIlNS0_10empty_typeEEEZZNS1_27merge_sort_block_merge_implIS3_PlPS5_mZN2at6native12_GLOBAL__N_124unique_dim_cuda_templateIN3c104HalfEEESt5tupleIJNSA_6TensorESH_SH_EERKSH_lbbbEUlllE_EE10hipError_tT0_T1_T2_jT3_P12ihipStream_tbPNSt15iterator_traitsISN_E10value_typeEPNST_ISO_E10value_typeEPSP_NS1_7vsmem_tEENKUlT_SN_SO_SP_E_clIS8_S8_S9_S9_EESM_S12_SN_SO_SP_EUlS12_E0_NS1_11comp_targetILNS1_3genE5ELNS1_11target_archE942ELNS1_3gpuE9ELNS1_3repE0EEENS1_38merge_mergepath_config_static_selectorELNS0_4arch9wavefront6targetE0EEEvSO_.uses_vcc, 0
	.set _ZN7rocprim17ROCPRIM_400000_NS6detail17trampoline_kernelINS0_14default_configENS1_38merge_sort_block_merge_config_selectorIlNS0_10empty_typeEEEZZNS1_27merge_sort_block_merge_implIS3_PlPS5_mZN2at6native12_GLOBAL__N_124unique_dim_cuda_templateIN3c104HalfEEESt5tupleIJNSA_6TensorESH_SH_EERKSH_lbbbEUlllE_EE10hipError_tT0_T1_T2_jT3_P12ihipStream_tbPNSt15iterator_traitsISN_E10value_typeEPNST_ISO_E10value_typeEPSP_NS1_7vsmem_tEENKUlT_SN_SO_SP_E_clIS8_S8_S9_S9_EESM_S12_SN_SO_SP_EUlS12_E0_NS1_11comp_targetILNS1_3genE5ELNS1_11target_archE942ELNS1_3gpuE9ELNS1_3repE0EEENS1_38merge_mergepath_config_static_selectorELNS0_4arch9wavefront6targetE0EEEvSO_.uses_flat_scratch, 0
	.set _ZN7rocprim17ROCPRIM_400000_NS6detail17trampoline_kernelINS0_14default_configENS1_38merge_sort_block_merge_config_selectorIlNS0_10empty_typeEEEZZNS1_27merge_sort_block_merge_implIS3_PlPS5_mZN2at6native12_GLOBAL__N_124unique_dim_cuda_templateIN3c104HalfEEESt5tupleIJNSA_6TensorESH_SH_EERKSH_lbbbEUlllE_EE10hipError_tT0_T1_T2_jT3_P12ihipStream_tbPNSt15iterator_traitsISN_E10value_typeEPNST_ISO_E10value_typeEPSP_NS1_7vsmem_tEENKUlT_SN_SO_SP_E_clIS8_S8_S9_S9_EESM_S12_SN_SO_SP_EUlS12_E0_NS1_11comp_targetILNS1_3genE5ELNS1_11target_archE942ELNS1_3gpuE9ELNS1_3repE0EEENS1_38merge_mergepath_config_static_selectorELNS0_4arch9wavefront6targetE0EEEvSO_.has_dyn_sized_stack, 0
	.set _ZN7rocprim17ROCPRIM_400000_NS6detail17trampoline_kernelINS0_14default_configENS1_38merge_sort_block_merge_config_selectorIlNS0_10empty_typeEEEZZNS1_27merge_sort_block_merge_implIS3_PlPS5_mZN2at6native12_GLOBAL__N_124unique_dim_cuda_templateIN3c104HalfEEESt5tupleIJNSA_6TensorESH_SH_EERKSH_lbbbEUlllE_EE10hipError_tT0_T1_T2_jT3_P12ihipStream_tbPNSt15iterator_traitsISN_E10value_typeEPNST_ISO_E10value_typeEPSP_NS1_7vsmem_tEENKUlT_SN_SO_SP_E_clIS8_S8_S9_S9_EESM_S12_SN_SO_SP_EUlS12_E0_NS1_11comp_targetILNS1_3genE5ELNS1_11target_archE942ELNS1_3gpuE9ELNS1_3repE0EEENS1_38merge_mergepath_config_static_selectorELNS0_4arch9wavefront6targetE0EEEvSO_.has_recursion, 0
	.set _ZN7rocprim17ROCPRIM_400000_NS6detail17trampoline_kernelINS0_14default_configENS1_38merge_sort_block_merge_config_selectorIlNS0_10empty_typeEEEZZNS1_27merge_sort_block_merge_implIS3_PlPS5_mZN2at6native12_GLOBAL__N_124unique_dim_cuda_templateIN3c104HalfEEESt5tupleIJNSA_6TensorESH_SH_EERKSH_lbbbEUlllE_EE10hipError_tT0_T1_T2_jT3_P12ihipStream_tbPNSt15iterator_traitsISN_E10value_typeEPNST_ISO_E10value_typeEPSP_NS1_7vsmem_tEENKUlT_SN_SO_SP_E_clIS8_S8_S9_S9_EESM_S12_SN_SO_SP_EUlS12_E0_NS1_11comp_targetILNS1_3genE5ELNS1_11target_archE942ELNS1_3gpuE9ELNS1_3repE0EEENS1_38merge_mergepath_config_static_selectorELNS0_4arch9wavefront6targetE0EEEvSO_.has_indirect_call, 0
	.section	.AMDGPU.csdata,"",@progbits
; Kernel info:
; codeLenInByte = 0
; TotalNumSgprs: 0
; NumVgprs: 0
; ScratchSize: 0
; MemoryBound: 0
; FloatMode: 240
; IeeeMode: 1
; LDSByteSize: 0 bytes/workgroup (compile time only)
; SGPRBlocks: 0
; VGPRBlocks: 0
; NumSGPRsForWavesPerEU: 1
; NumVGPRsForWavesPerEU: 1
; NamedBarCnt: 0
; Occupancy: 16
; WaveLimiterHint : 0
; COMPUTE_PGM_RSRC2:SCRATCH_EN: 0
; COMPUTE_PGM_RSRC2:USER_SGPR: 2
; COMPUTE_PGM_RSRC2:TRAP_HANDLER: 0
; COMPUTE_PGM_RSRC2:TGID_X_EN: 1
; COMPUTE_PGM_RSRC2:TGID_Y_EN: 0
; COMPUTE_PGM_RSRC2:TGID_Z_EN: 0
; COMPUTE_PGM_RSRC2:TIDIG_COMP_CNT: 0
	.section	.text._ZN7rocprim17ROCPRIM_400000_NS6detail17trampoline_kernelINS0_14default_configENS1_38merge_sort_block_merge_config_selectorIlNS0_10empty_typeEEEZZNS1_27merge_sort_block_merge_implIS3_PlPS5_mZN2at6native12_GLOBAL__N_124unique_dim_cuda_templateIN3c104HalfEEESt5tupleIJNSA_6TensorESH_SH_EERKSH_lbbbEUlllE_EE10hipError_tT0_T1_T2_jT3_P12ihipStream_tbPNSt15iterator_traitsISN_E10value_typeEPNST_ISO_E10value_typeEPSP_NS1_7vsmem_tEENKUlT_SN_SO_SP_E_clIS8_S8_S9_S9_EESM_S12_SN_SO_SP_EUlS12_E0_NS1_11comp_targetILNS1_3genE4ELNS1_11target_archE910ELNS1_3gpuE8ELNS1_3repE0EEENS1_38merge_mergepath_config_static_selectorELNS0_4arch9wavefront6targetE0EEEvSO_,"axG",@progbits,_ZN7rocprim17ROCPRIM_400000_NS6detail17trampoline_kernelINS0_14default_configENS1_38merge_sort_block_merge_config_selectorIlNS0_10empty_typeEEEZZNS1_27merge_sort_block_merge_implIS3_PlPS5_mZN2at6native12_GLOBAL__N_124unique_dim_cuda_templateIN3c104HalfEEESt5tupleIJNSA_6TensorESH_SH_EERKSH_lbbbEUlllE_EE10hipError_tT0_T1_T2_jT3_P12ihipStream_tbPNSt15iterator_traitsISN_E10value_typeEPNST_ISO_E10value_typeEPSP_NS1_7vsmem_tEENKUlT_SN_SO_SP_E_clIS8_S8_S9_S9_EESM_S12_SN_SO_SP_EUlS12_E0_NS1_11comp_targetILNS1_3genE4ELNS1_11target_archE910ELNS1_3gpuE8ELNS1_3repE0EEENS1_38merge_mergepath_config_static_selectorELNS0_4arch9wavefront6targetE0EEEvSO_,comdat
	.globl	_ZN7rocprim17ROCPRIM_400000_NS6detail17trampoline_kernelINS0_14default_configENS1_38merge_sort_block_merge_config_selectorIlNS0_10empty_typeEEEZZNS1_27merge_sort_block_merge_implIS3_PlPS5_mZN2at6native12_GLOBAL__N_124unique_dim_cuda_templateIN3c104HalfEEESt5tupleIJNSA_6TensorESH_SH_EERKSH_lbbbEUlllE_EE10hipError_tT0_T1_T2_jT3_P12ihipStream_tbPNSt15iterator_traitsISN_E10value_typeEPNST_ISO_E10value_typeEPSP_NS1_7vsmem_tEENKUlT_SN_SO_SP_E_clIS8_S8_S9_S9_EESM_S12_SN_SO_SP_EUlS12_E0_NS1_11comp_targetILNS1_3genE4ELNS1_11target_archE910ELNS1_3gpuE8ELNS1_3repE0EEENS1_38merge_mergepath_config_static_selectorELNS0_4arch9wavefront6targetE0EEEvSO_ ; -- Begin function _ZN7rocprim17ROCPRIM_400000_NS6detail17trampoline_kernelINS0_14default_configENS1_38merge_sort_block_merge_config_selectorIlNS0_10empty_typeEEEZZNS1_27merge_sort_block_merge_implIS3_PlPS5_mZN2at6native12_GLOBAL__N_124unique_dim_cuda_templateIN3c104HalfEEESt5tupleIJNSA_6TensorESH_SH_EERKSH_lbbbEUlllE_EE10hipError_tT0_T1_T2_jT3_P12ihipStream_tbPNSt15iterator_traitsISN_E10value_typeEPNST_ISO_E10value_typeEPSP_NS1_7vsmem_tEENKUlT_SN_SO_SP_E_clIS8_S8_S9_S9_EESM_S12_SN_SO_SP_EUlS12_E0_NS1_11comp_targetILNS1_3genE4ELNS1_11target_archE910ELNS1_3gpuE8ELNS1_3repE0EEENS1_38merge_mergepath_config_static_selectorELNS0_4arch9wavefront6targetE0EEEvSO_
	.p2align	8
	.type	_ZN7rocprim17ROCPRIM_400000_NS6detail17trampoline_kernelINS0_14default_configENS1_38merge_sort_block_merge_config_selectorIlNS0_10empty_typeEEEZZNS1_27merge_sort_block_merge_implIS3_PlPS5_mZN2at6native12_GLOBAL__N_124unique_dim_cuda_templateIN3c104HalfEEESt5tupleIJNSA_6TensorESH_SH_EERKSH_lbbbEUlllE_EE10hipError_tT0_T1_T2_jT3_P12ihipStream_tbPNSt15iterator_traitsISN_E10value_typeEPNST_ISO_E10value_typeEPSP_NS1_7vsmem_tEENKUlT_SN_SO_SP_E_clIS8_S8_S9_S9_EESM_S12_SN_SO_SP_EUlS12_E0_NS1_11comp_targetILNS1_3genE4ELNS1_11target_archE910ELNS1_3gpuE8ELNS1_3repE0EEENS1_38merge_mergepath_config_static_selectorELNS0_4arch9wavefront6targetE0EEEvSO_,@function
_ZN7rocprim17ROCPRIM_400000_NS6detail17trampoline_kernelINS0_14default_configENS1_38merge_sort_block_merge_config_selectorIlNS0_10empty_typeEEEZZNS1_27merge_sort_block_merge_implIS3_PlPS5_mZN2at6native12_GLOBAL__N_124unique_dim_cuda_templateIN3c104HalfEEESt5tupleIJNSA_6TensorESH_SH_EERKSH_lbbbEUlllE_EE10hipError_tT0_T1_T2_jT3_P12ihipStream_tbPNSt15iterator_traitsISN_E10value_typeEPNST_ISO_E10value_typeEPSP_NS1_7vsmem_tEENKUlT_SN_SO_SP_E_clIS8_S8_S9_S9_EESM_S12_SN_SO_SP_EUlS12_E0_NS1_11comp_targetILNS1_3genE4ELNS1_11target_archE910ELNS1_3gpuE8ELNS1_3repE0EEENS1_38merge_mergepath_config_static_selectorELNS0_4arch9wavefront6targetE0EEEvSO_: ; @_ZN7rocprim17ROCPRIM_400000_NS6detail17trampoline_kernelINS0_14default_configENS1_38merge_sort_block_merge_config_selectorIlNS0_10empty_typeEEEZZNS1_27merge_sort_block_merge_implIS3_PlPS5_mZN2at6native12_GLOBAL__N_124unique_dim_cuda_templateIN3c104HalfEEESt5tupleIJNSA_6TensorESH_SH_EERKSH_lbbbEUlllE_EE10hipError_tT0_T1_T2_jT3_P12ihipStream_tbPNSt15iterator_traitsISN_E10value_typeEPNST_ISO_E10value_typeEPSP_NS1_7vsmem_tEENKUlT_SN_SO_SP_E_clIS8_S8_S9_S9_EESM_S12_SN_SO_SP_EUlS12_E0_NS1_11comp_targetILNS1_3genE4ELNS1_11target_archE910ELNS1_3gpuE8ELNS1_3repE0EEENS1_38merge_mergepath_config_static_selectorELNS0_4arch9wavefront6targetE0EEEvSO_
; %bb.0:
	.section	.rodata,"a",@progbits
	.p2align	6, 0x0
	.amdhsa_kernel _ZN7rocprim17ROCPRIM_400000_NS6detail17trampoline_kernelINS0_14default_configENS1_38merge_sort_block_merge_config_selectorIlNS0_10empty_typeEEEZZNS1_27merge_sort_block_merge_implIS3_PlPS5_mZN2at6native12_GLOBAL__N_124unique_dim_cuda_templateIN3c104HalfEEESt5tupleIJNSA_6TensorESH_SH_EERKSH_lbbbEUlllE_EE10hipError_tT0_T1_T2_jT3_P12ihipStream_tbPNSt15iterator_traitsISN_E10value_typeEPNST_ISO_E10value_typeEPSP_NS1_7vsmem_tEENKUlT_SN_SO_SP_E_clIS8_S8_S9_S9_EESM_S12_SN_SO_SP_EUlS12_E0_NS1_11comp_targetILNS1_3genE4ELNS1_11target_archE910ELNS1_3gpuE8ELNS1_3repE0EEENS1_38merge_mergepath_config_static_selectorELNS0_4arch9wavefront6targetE0EEEvSO_
		.amdhsa_group_segment_fixed_size 0
		.amdhsa_private_segment_fixed_size 0
		.amdhsa_kernarg_size 88
		.amdhsa_user_sgpr_count 2
		.amdhsa_user_sgpr_dispatch_ptr 0
		.amdhsa_user_sgpr_queue_ptr 0
		.amdhsa_user_sgpr_kernarg_segment_ptr 1
		.amdhsa_user_sgpr_dispatch_id 0
		.amdhsa_user_sgpr_kernarg_preload_length 0
		.amdhsa_user_sgpr_kernarg_preload_offset 0
		.amdhsa_user_sgpr_private_segment_size 0
		.amdhsa_wavefront_size32 1
		.amdhsa_uses_dynamic_stack 0
		.amdhsa_enable_private_segment 0
		.amdhsa_system_sgpr_workgroup_id_x 1
		.amdhsa_system_sgpr_workgroup_id_y 0
		.amdhsa_system_sgpr_workgroup_id_z 0
		.amdhsa_system_sgpr_workgroup_info 0
		.amdhsa_system_vgpr_workitem_id 0
		.amdhsa_next_free_vgpr 1
		.amdhsa_next_free_sgpr 1
		.amdhsa_named_barrier_count 0
		.amdhsa_reserve_vcc 0
		.amdhsa_float_round_mode_32 0
		.amdhsa_float_round_mode_16_64 0
		.amdhsa_float_denorm_mode_32 3
		.amdhsa_float_denorm_mode_16_64 3
		.amdhsa_fp16_overflow 0
		.amdhsa_memory_ordered 1
		.amdhsa_forward_progress 1
		.amdhsa_inst_pref_size 0
		.amdhsa_round_robin_scheduling 0
		.amdhsa_exception_fp_ieee_invalid_op 0
		.amdhsa_exception_fp_denorm_src 0
		.amdhsa_exception_fp_ieee_div_zero 0
		.amdhsa_exception_fp_ieee_overflow 0
		.amdhsa_exception_fp_ieee_underflow 0
		.amdhsa_exception_fp_ieee_inexact 0
		.amdhsa_exception_int_div_zero 0
	.end_amdhsa_kernel
	.section	.text._ZN7rocprim17ROCPRIM_400000_NS6detail17trampoline_kernelINS0_14default_configENS1_38merge_sort_block_merge_config_selectorIlNS0_10empty_typeEEEZZNS1_27merge_sort_block_merge_implIS3_PlPS5_mZN2at6native12_GLOBAL__N_124unique_dim_cuda_templateIN3c104HalfEEESt5tupleIJNSA_6TensorESH_SH_EERKSH_lbbbEUlllE_EE10hipError_tT0_T1_T2_jT3_P12ihipStream_tbPNSt15iterator_traitsISN_E10value_typeEPNST_ISO_E10value_typeEPSP_NS1_7vsmem_tEENKUlT_SN_SO_SP_E_clIS8_S8_S9_S9_EESM_S12_SN_SO_SP_EUlS12_E0_NS1_11comp_targetILNS1_3genE4ELNS1_11target_archE910ELNS1_3gpuE8ELNS1_3repE0EEENS1_38merge_mergepath_config_static_selectorELNS0_4arch9wavefront6targetE0EEEvSO_,"axG",@progbits,_ZN7rocprim17ROCPRIM_400000_NS6detail17trampoline_kernelINS0_14default_configENS1_38merge_sort_block_merge_config_selectorIlNS0_10empty_typeEEEZZNS1_27merge_sort_block_merge_implIS3_PlPS5_mZN2at6native12_GLOBAL__N_124unique_dim_cuda_templateIN3c104HalfEEESt5tupleIJNSA_6TensorESH_SH_EERKSH_lbbbEUlllE_EE10hipError_tT0_T1_T2_jT3_P12ihipStream_tbPNSt15iterator_traitsISN_E10value_typeEPNST_ISO_E10value_typeEPSP_NS1_7vsmem_tEENKUlT_SN_SO_SP_E_clIS8_S8_S9_S9_EESM_S12_SN_SO_SP_EUlS12_E0_NS1_11comp_targetILNS1_3genE4ELNS1_11target_archE910ELNS1_3gpuE8ELNS1_3repE0EEENS1_38merge_mergepath_config_static_selectorELNS0_4arch9wavefront6targetE0EEEvSO_,comdat
.Lfunc_end1259:
	.size	_ZN7rocprim17ROCPRIM_400000_NS6detail17trampoline_kernelINS0_14default_configENS1_38merge_sort_block_merge_config_selectorIlNS0_10empty_typeEEEZZNS1_27merge_sort_block_merge_implIS3_PlPS5_mZN2at6native12_GLOBAL__N_124unique_dim_cuda_templateIN3c104HalfEEESt5tupleIJNSA_6TensorESH_SH_EERKSH_lbbbEUlllE_EE10hipError_tT0_T1_T2_jT3_P12ihipStream_tbPNSt15iterator_traitsISN_E10value_typeEPNST_ISO_E10value_typeEPSP_NS1_7vsmem_tEENKUlT_SN_SO_SP_E_clIS8_S8_S9_S9_EESM_S12_SN_SO_SP_EUlS12_E0_NS1_11comp_targetILNS1_3genE4ELNS1_11target_archE910ELNS1_3gpuE8ELNS1_3repE0EEENS1_38merge_mergepath_config_static_selectorELNS0_4arch9wavefront6targetE0EEEvSO_, .Lfunc_end1259-_ZN7rocprim17ROCPRIM_400000_NS6detail17trampoline_kernelINS0_14default_configENS1_38merge_sort_block_merge_config_selectorIlNS0_10empty_typeEEEZZNS1_27merge_sort_block_merge_implIS3_PlPS5_mZN2at6native12_GLOBAL__N_124unique_dim_cuda_templateIN3c104HalfEEESt5tupleIJNSA_6TensorESH_SH_EERKSH_lbbbEUlllE_EE10hipError_tT0_T1_T2_jT3_P12ihipStream_tbPNSt15iterator_traitsISN_E10value_typeEPNST_ISO_E10value_typeEPSP_NS1_7vsmem_tEENKUlT_SN_SO_SP_E_clIS8_S8_S9_S9_EESM_S12_SN_SO_SP_EUlS12_E0_NS1_11comp_targetILNS1_3genE4ELNS1_11target_archE910ELNS1_3gpuE8ELNS1_3repE0EEENS1_38merge_mergepath_config_static_selectorELNS0_4arch9wavefront6targetE0EEEvSO_
                                        ; -- End function
	.set _ZN7rocprim17ROCPRIM_400000_NS6detail17trampoline_kernelINS0_14default_configENS1_38merge_sort_block_merge_config_selectorIlNS0_10empty_typeEEEZZNS1_27merge_sort_block_merge_implIS3_PlPS5_mZN2at6native12_GLOBAL__N_124unique_dim_cuda_templateIN3c104HalfEEESt5tupleIJNSA_6TensorESH_SH_EERKSH_lbbbEUlllE_EE10hipError_tT0_T1_T2_jT3_P12ihipStream_tbPNSt15iterator_traitsISN_E10value_typeEPNST_ISO_E10value_typeEPSP_NS1_7vsmem_tEENKUlT_SN_SO_SP_E_clIS8_S8_S9_S9_EESM_S12_SN_SO_SP_EUlS12_E0_NS1_11comp_targetILNS1_3genE4ELNS1_11target_archE910ELNS1_3gpuE8ELNS1_3repE0EEENS1_38merge_mergepath_config_static_selectorELNS0_4arch9wavefront6targetE0EEEvSO_.num_vgpr, 0
	.set _ZN7rocprim17ROCPRIM_400000_NS6detail17trampoline_kernelINS0_14default_configENS1_38merge_sort_block_merge_config_selectorIlNS0_10empty_typeEEEZZNS1_27merge_sort_block_merge_implIS3_PlPS5_mZN2at6native12_GLOBAL__N_124unique_dim_cuda_templateIN3c104HalfEEESt5tupleIJNSA_6TensorESH_SH_EERKSH_lbbbEUlllE_EE10hipError_tT0_T1_T2_jT3_P12ihipStream_tbPNSt15iterator_traitsISN_E10value_typeEPNST_ISO_E10value_typeEPSP_NS1_7vsmem_tEENKUlT_SN_SO_SP_E_clIS8_S8_S9_S9_EESM_S12_SN_SO_SP_EUlS12_E0_NS1_11comp_targetILNS1_3genE4ELNS1_11target_archE910ELNS1_3gpuE8ELNS1_3repE0EEENS1_38merge_mergepath_config_static_selectorELNS0_4arch9wavefront6targetE0EEEvSO_.num_agpr, 0
	.set _ZN7rocprim17ROCPRIM_400000_NS6detail17trampoline_kernelINS0_14default_configENS1_38merge_sort_block_merge_config_selectorIlNS0_10empty_typeEEEZZNS1_27merge_sort_block_merge_implIS3_PlPS5_mZN2at6native12_GLOBAL__N_124unique_dim_cuda_templateIN3c104HalfEEESt5tupleIJNSA_6TensorESH_SH_EERKSH_lbbbEUlllE_EE10hipError_tT0_T1_T2_jT3_P12ihipStream_tbPNSt15iterator_traitsISN_E10value_typeEPNST_ISO_E10value_typeEPSP_NS1_7vsmem_tEENKUlT_SN_SO_SP_E_clIS8_S8_S9_S9_EESM_S12_SN_SO_SP_EUlS12_E0_NS1_11comp_targetILNS1_3genE4ELNS1_11target_archE910ELNS1_3gpuE8ELNS1_3repE0EEENS1_38merge_mergepath_config_static_selectorELNS0_4arch9wavefront6targetE0EEEvSO_.numbered_sgpr, 0
	.set _ZN7rocprim17ROCPRIM_400000_NS6detail17trampoline_kernelINS0_14default_configENS1_38merge_sort_block_merge_config_selectorIlNS0_10empty_typeEEEZZNS1_27merge_sort_block_merge_implIS3_PlPS5_mZN2at6native12_GLOBAL__N_124unique_dim_cuda_templateIN3c104HalfEEESt5tupleIJNSA_6TensorESH_SH_EERKSH_lbbbEUlllE_EE10hipError_tT0_T1_T2_jT3_P12ihipStream_tbPNSt15iterator_traitsISN_E10value_typeEPNST_ISO_E10value_typeEPSP_NS1_7vsmem_tEENKUlT_SN_SO_SP_E_clIS8_S8_S9_S9_EESM_S12_SN_SO_SP_EUlS12_E0_NS1_11comp_targetILNS1_3genE4ELNS1_11target_archE910ELNS1_3gpuE8ELNS1_3repE0EEENS1_38merge_mergepath_config_static_selectorELNS0_4arch9wavefront6targetE0EEEvSO_.num_named_barrier, 0
	.set _ZN7rocprim17ROCPRIM_400000_NS6detail17trampoline_kernelINS0_14default_configENS1_38merge_sort_block_merge_config_selectorIlNS0_10empty_typeEEEZZNS1_27merge_sort_block_merge_implIS3_PlPS5_mZN2at6native12_GLOBAL__N_124unique_dim_cuda_templateIN3c104HalfEEESt5tupleIJNSA_6TensorESH_SH_EERKSH_lbbbEUlllE_EE10hipError_tT0_T1_T2_jT3_P12ihipStream_tbPNSt15iterator_traitsISN_E10value_typeEPNST_ISO_E10value_typeEPSP_NS1_7vsmem_tEENKUlT_SN_SO_SP_E_clIS8_S8_S9_S9_EESM_S12_SN_SO_SP_EUlS12_E0_NS1_11comp_targetILNS1_3genE4ELNS1_11target_archE910ELNS1_3gpuE8ELNS1_3repE0EEENS1_38merge_mergepath_config_static_selectorELNS0_4arch9wavefront6targetE0EEEvSO_.private_seg_size, 0
	.set _ZN7rocprim17ROCPRIM_400000_NS6detail17trampoline_kernelINS0_14default_configENS1_38merge_sort_block_merge_config_selectorIlNS0_10empty_typeEEEZZNS1_27merge_sort_block_merge_implIS3_PlPS5_mZN2at6native12_GLOBAL__N_124unique_dim_cuda_templateIN3c104HalfEEESt5tupleIJNSA_6TensorESH_SH_EERKSH_lbbbEUlllE_EE10hipError_tT0_T1_T2_jT3_P12ihipStream_tbPNSt15iterator_traitsISN_E10value_typeEPNST_ISO_E10value_typeEPSP_NS1_7vsmem_tEENKUlT_SN_SO_SP_E_clIS8_S8_S9_S9_EESM_S12_SN_SO_SP_EUlS12_E0_NS1_11comp_targetILNS1_3genE4ELNS1_11target_archE910ELNS1_3gpuE8ELNS1_3repE0EEENS1_38merge_mergepath_config_static_selectorELNS0_4arch9wavefront6targetE0EEEvSO_.uses_vcc, 0
	.set _ZN7rocprim17ROCPRIM_400000_NS6detail17trampoline_kernelINS0_14default_configENS1_38merge_sort_block_merge_config_selectorIlNS0_10empty_typeEEEZZNS1_27merge_sort_block_merge_implIS3_PlPS5_mZN2at6native12_GLOBAL__N_124unique_dim_cuda_templateIN3c104HalfEEESt5tupleIJNSA_6TensorESH_SH_EERKSH_lbbbEUlllE_EE10hipError_tT0_T1_T2_jT3_P12ihipStream_tbPNSt15iterator_traitsISN_E10value_typeEPNST_ISO_E10value_typeEPSP_NS1_7vsmem_tEENKUlT_SN_SO_SP_E_clIS8_S8_S9_S9_EESM_S12_SN_SO_SP_EUlS12_E0_NS1_11comp_targetILNS1_3genE4ELNS1_11target_archE910ELNS1_3gpuE8ELNS1_3repE0EEENS1_38merge_mergepath_config_static_selectorELNS0_4arch9wavefront6targetE0EEEvSO_.uses_flat_scratch, 0
	.set _ZN7rocprim17ROCPRIM_400000_NS6detail17trampoline_kernelINS0_14default_configENS1_38merge_sort_block_merge_config_selectorIlNS0_10empty_typeEEEZZNS1_27merge_sort_block_merge_implIS3_PlPS5_mZN2at6native12_GLOBAL__N_124unique_dim_cuda_templateIN3c104HalfEEESt5tupleIJNSA_6TensorESH_SH_EERKSH_lbbbEUlllE_EE10hipError_tT0_T1_T2_jT3_P12ihipStream_tbPNSt15iterator_traitsISN_E10value_typeEPNST_ISO_E10value_typeEPSP_NS1_7vsmem_tEENKUlT_SN_SO_SP_E_clIS8_S8_S9_S9_EESM_S12_SN_SO_SP_EUlS12_E0_NS1_11comp_targetILNS1_3genE4ELNS1_11target_archE910ELNS1_3gpuE8ELNS1_3repE0EEENS1_38merge_mergepath_config_static_selectorELNS0_4arch9wavefront6targetE0EEEvSO_.has_dyn_sized_stack, 0
	.set _ZN7rocprim17ROCPRIM_400000_NS6detail17trampoline_kernelINS0_14default_configENS1_38merge_sort_block_merge_config_selectorIlNS0_10empty_typeEEEZZNS1_27merge_sort_block_merge_implIS3_PlPS5_mZN2at6native12_GLOBAL__N_124unique_dim_cuda_templateIN3c104HalfEEESt5tupleIJNSA_6TensorESH_SH_EERKSH_lbbbEUlllE_EE10hipError_tT0_T1_T2_jT3_P12ihipStream_tbPNSt15iterator_traitsISN_E10value_typeEPNST_ISO_E10value_typeEPSP_NS1_7vsmem_tEENKUlT_SN_SO_SP_E_clIS8_S8_S9_S9_EESM_S12_SN_SO_SP_EUlS12_E0_NS1_11comp_targetILNS1_3genE4ELNS1_11target_archE910ELNS1_3gpuE8ELNS1_3repE0EEENS1_38merge_mergepath_config_static_selectorELNS0_4arch9wavefront6targetE0EEEvSO_.has_recursion, 0
	.set _ZN7rocprim17ROCPRIM_400000_NS6detail17trampoline_kernelINS0_14default_configENS1_38merge_sort_block_merge_config_selectorIlNS0_10empty_typeEEEZZNS1_27merge_sort_block_merge_implIS3_PlPS5_mZN2at6native12_GLOBAL__N_124unique_dim_cuda_templateIN3c104HalfEEESt5tupleIJNSA_6TensorESH_SH_EERKSH_lbbbEUlllE_EE10hipError_tT0_T1_T2_jT3_P12ihipStream_tbPNSt15iterator_traitsISN_E10value_typeEPNST_ISO_E10value_typeEPSP_NS1_7vsmem_tEENKUlT_SN_SO_SP_E_clIS8_S8_S9_S9_EESM_S12_SN_SO_SP_EUlS12_E0_NS1_11comp_targetILNS1_3genE4ELNS1_11target_archE910ELNS1_3gpuE8ELNS1_3repE0EEENS1_38merge_mergepath_config_static_selectorELNS0_4arch9wavefront6targetE0EEEvSO_.has_indirect_call, 0
	.section	.AMDGPU.csdata,"",@progbits
; Kernel info:
; codeLenInByte = 0
; TotalNumSgprs: 0
; NumVgprs: 0
; ScratchSize: 0
; MemoryBound: 0
; FloatMode: 240
; IeeeMode: 1
; LDSByteSize: 0 bytes/workgroup (compile time only)
; SGPRBlocks: 0
; VGPRBlocks: 0
; NumSGPRsForWavesPerEU: 1
; NumVGPRsForWavesPerEU: 1
; NamedBarCnt: 0
; Occupancy: 16
; WaveLimiterHint : 0
; COMPUTE_PGM_RSRC2:SCRATCH_EN: 0
; COMPUTE_PGM_RSRC2:USER_SGPR: 2
; COMPUTE_PGM_RSRC2:TRAP_HANDLER: 0
; COMPUTE_PGM_RSRC2:TGID_X_EN: 1
; COMPUTE_PGM_RSRC2:TGID_Y_EN: 0
; COMPUTE_PGM_RSRC2:TGID_Z_EN: 0
; COMPUTE_PGM_RSRC2:TIDIG_COMP_CNT: 0
	.section	.text._ZN7rocprim17ROCPRIM_400000_NS6detail17trampoline_kernelINS0_14default_configENS1_38merge_sort_block_merge_config_selectorIlNS0_10empty_typeEEEZZNS1_27merge_sort_block_merge_implIS3_PlPS5_mZN2at6native12_GLOBAL__N_124unique_dim_cuda_templateIN3c104HalfEEESt5tupleIJNSA_6TensorESH_SH_EERKSH_lbbbEUlllE_EE10hipError_tT0_T1_T2_jT3_P12ihipStream_tbPNSt15iterator_traitsISN_E10value_typeEPNST_ISO_E10value_typeEPSP_NS1_7vsmem_tEENKUlT_SN_SO_SP_E_clIS8_S8_S9_S9_EESM_S12_SN_SO_SP_EUlS12_E0_NS1_11comp_targetILNS1_3genE3ELNS1_11target_archE908ELNS1_3gpuE7ELNS1_3repE0EEENS1_38merge_mergepath_config_static_selectorELNS0_4arch9wavefront6targetE0EEEvSO_,"axG",@progbits,_ZN7rocprim17ROCPRIM_400000_NS6detail17trampoline_kernelINS0_14default_configENS1_38merge_sort_block_merge_config_selectorIlNS0_10empty_typeEEEZZNS1_27merge_sort_block_merge_implIS3_PlPS5_mZN2at6native12_GLOBAL__N_124unique_dim_cuda_templateIN3c104HalfEEESt5tupleIJNSA_6TensorESH_SH_EERKSH_lbbbEUlllE_EE10hipError_tT0_T1_T2_jT3_P12ihipStream_tbPNSt15iterator_traitsISN_E10value_typeEPNST_ISO_E10value_typeEPSP_NS1_7vsmem_tEENKUlT_SN_SO_SP_E_clIS8_S8_S9_S9_EESM_S12_SN_SO_SP_EUlS12_E0_NS1_11comp_targetILNS1_3genE3ELNS1_11target_archE908ELNS1_3gpuE7ELNS1_3repE0EEENS1_38merge_mergepath_config_static_selectorELNS0_4arch9wavefront6targetE0EEEvSO_,comdat
	.globl	_ZN7rocprim17ROCPRIM_400000_NS6detail17trampoline_kernelINS0_14default_configENS1_38merge_sort_block_merge_config_selectorIlNS0_10empty_typeEEEZZNS1_27merge_sort_block_merge_implIS3_PlPS5_mZN2at6native12_GLOBAL__N_124unique_dim_cuda_templateIN3c104HalfEEESt5tupleIJNSA_6TensorESH_SH_EERKSH_lbbbEUlllE_EE10hipError_tT0_T1_T2_jT3_P12ihipStream_tbPNSt15iterator_traitsISN_E10value_typeEPNST_ISO_E10value_typeEPSP_NS1_7vsmem_tEENKUlT_SN_SO_SP_E_clIS8_S8_S9_S9_EESM_S12_SN_SO_SP_EUlS12_E0_NS1_11comp_targetILNS1_3genE3ELNS1_11target_archE908ELNS1_3gpuE7ELNS1_3repE0EEENS1_38merge_mergepath_config_static_selectorELNS0_4arch9wavefront6targetE0EEEvSO_ ; -- Begin function _ZN7rocprim17ROCPRIM_400000_NS6detail17trampoline_kernelINS0_14default_configENS1_38merge_sort_block_merge_config_selectorIlNS0_10empty_typeEEEZZNS1_27merge_sort_block_merge_implIS3_PlPS5_mZN2at6native12_GLOBAL__N_124unique_dim_cuda_templateIN3c104HalfEEESt5tupleIJNSA_6TensorESH_SH_EERKSH_lbbbEUlllE_EE10hipError_tT0_T1_T2_jT3_P12ihipStream_tbPNSt15iterator_traitsISN_E10value_typeEPNST_ISO_E10value_typeEPSP_NS1_7vsmem_tEENKUlT_SN_SO_SP_E_clIS8_S8_S9_S9_EESM_S12_SN_SO_SP_EUlS12_E0_NS1_11comp_targetILNS1_3genE3ELNS1_11target_archE908ELNS1_3gpuE7ELNS1_3repE0EEENS1_38merge_mergepath_config_static_selectorELNS0_4arch9wavefront6targetE0EEEvSO_
	.p2align	8
	.type	_ZN7rocprim17ROCPRIM_400000_NS6detail17trampoline_kernelINS0_14default_configENS1_38merge_sort_block_merge_config_selectorIlNS0_10empty_typeEEEZZNS1_27merge_sort_block_merge_implIS3_PlPS5_mZN2at6native12_GLOBAL__N_124unique_dim_cuda_templateIN3c104HalfEEESt5tupleIJNSA_6TensorESH_SH_EERKSH_lbbbEUlllE_EE10hipError_tT0_T1_T2_jT3_P12ihipStream_tbPNSt15iterator_traitsISN_E10value_typeEPNST_ISO_E10value_typeEPSP_NS1_7vsmem_tEENKUlT_SN_SO_SP_E_clIS8_S8_S9_S9_EESM_S12_SN_SO_SP_EUlS12_E0_NS1_11comp_targetILNS1_3genE3ELNS1_11target_archE908ELNS1_3gpuE7ELNS1_3repE0EEENS1_38merge_mergepath_config_static_selectorELNS0_4arch9wavefront6targetE0EEEvSO_,@function
_ZN7rocprim17ROCPRIM_400000_NS6detail17trampoline_kernelINS0_14default_configENS1_38merge_sort_block_merge_config_selectorIlNS0_10empty_typeEEEZZNS1_27merge_sort_block_merge_implIS3_PlPS5_mZN2at6native12_GLOBAL__N_124unique_dim_cuda_templateIN3c104HalfEEESt5tupleIJNSA_6TensorESH_SH_EERKSH_lbbbEUlllE_EE10hipError_tT0_T1_T2_jT3_P12ihipStream_tbPNSt15iterator_traitsISN_E10value_typeEPNST_ISO_E10value_typeEPSP_NS1_7vsmem_tEENKUlT_SN_SO_SP_E_clIS8_S8_S9_S9_EESM_S12_SN_SO_SP_EUlS12_E0_NS1_11comp_targetILNS1_3genE3ELNS1_11target_archE908ELNS1_3gpuE7ELNS1_3repE0EEENS1_38merge_mergepath_config_static_selectorELNS0_4arch9wavefront6targetE0EEEvSO_: ; @_ZN7rocprim17ROCPRIM_400000_NS6detail17trampoline_kernelINS0_14default_configENS1_38merge_sort_block_merge_config_selectorIlNS0_10empty_typeEEEZZNS1_27merge_sort_block_merge_implIS3_PlPS5_mZN2at6native12_GLOBAL__N_124unique_dim_cuda_templateIN3c104HalfEEESt5tupleIJNSA_6TensorESH_SH_EERKSH_lbbbEUlllE_EE10hipError_tT0_T1_T2_jT3_P12ihipStream_tbPNSt15iterator_traitsISN_E10value_typeEPNST_ISO_E10value_typeEPSP_NS1_7vsmem_tEENKUlT_SN_SO_SP_E_clIS8_S8_S9_S9_EESM_S12_SN_SO_SP_EUlS12_E0_NS1_11comp_targetILNS1_3genE3ELNS1_11target_archE908ELNS1_3gpuE7ELNS1_3repE0EEENS1_38merge_mergepath_config_static_selectorELNS0_4arch9wavefront6targetE0EEEvSO_
; %bb.0:
	.section	.rodata,"a",@progbits
	.p2align	6, 0x0
	.amdhsa_kernel _ZN7rocprim17ROCPRIM_400000_NS6detail17trampoline_kernelINS0_14default_configENS1_38merge_sort_block_merge_config_selectorIlNS0_10empty_typeEEEZZNS1_27merge_sort_block_merge_implIS3_PlPS5_mZN2at6native12_GLOBAL__N_124unique_dim_cuda_templateIN3c104HalfEEESt5tupleIJNSA_6TensorESH_SH_EERKSH_lbbbEUlllE_EE10hipError_tT0_T1_T2_jT3_P12ihipStream_tbPNSt15iterator_traitsISN_E10value_typeEPNST_ISO_E10value_typeEPSP_NS1_7vsmem_tEENKUlT_SN_SO_SP_E_clIS8_S8_S9_S9_EESM_S12_SN_SO_SP_EUlS12_E0_NS1_11comp_targetILNS1_3genE3ELNS1_11target_archE908ELNS1_3gpuE7ELNS1_3repE0EEENS1_38merge_mergepath_config_static_selectorELNS0_4arch9wavefront6targetE0EEEvSO_
		.amdhsa_group_segment_fixed_size 0
		.amdhsa_private_segment_fixed_size 0
		.amdhsa_kernarg_size 88
		.amdhsa_user_sgpr_count 2
		.amdhsa_user_sgpr_dispatch_ptr 0
		.amdhsa_user_sgpr_queue_ptr 0
		.amdhsa_user_sgpr_kernarg_segment_ptr 1
		.amdhsa_user_sgpr_dispatch_id 0
		.amdhsa_user_sgpr_kernarg_preload_length 0
		.amdhsa_user_sgpr_kernarg_preload_offset 0
		.amdhsa_user_sgpr_private_segment_size 0
		.amdhsa_wavefront_size32 1
		.amdhsa_uses_dynamic_stack 0
		.amdhsa_enable_private_segment 0
		.amdhsa_system_sgpr_workgroup_id_x 1
		.amdhsa_system_sgpr_workgroup_id_y 0
		.amdhsa_system_sgpr_workgroup_id_z 0
		.amdhsa_system_sgpr_workgroup_info 0
		.amdhsa_system_vgpr_workitem_id 0
		.amdhsa_next_free_vgpr 1
		.amdhsa_next_free_sgpr 1
		.amdhsa_named_barrier_count 0
		.amdhsa_reserve_vcc 0
		.amdhsa_float_round_mode_32 0
		.amdhsa_float_round_mode_16_64 0
		.amdhsa_float_denorm_mode_32 3
		.amdhsa_float_denorm_mode_16_64 3
		.amdhsa_fp16_overflow 0
		.amdhsa_memory_ordered 1
		.amdhsa_forward_progress 1
		.amdhsa_inst_pref_size 0
		.amdhsa_round_robin_scheduling 0
		.amdhsa_exception_fp_ieee_invalid_op 0
		.amdhsa_exception_fp_denorm_src 0
		.amdhsa_exception_fp_ieee_div_zero 0
		.amdhsa_exception_fp_ieee_overflow 0
		.amdhsa_exception_fp_ieee_underflow 0
		.amdhsa_exception_fp_ieee_inexact 0
		.amdhsa_exception_int_div_zero 0
	.end_amdhsa_kernel
	.section	.text._ZN7rocprim17ROCPRIM_400000_NS6detail17trampoline_kernelINS0_14default_configENS1_38merge_sort_block_merge_config_selectorIlNS0_10empty_typeEEEZZNS1_27merge_sort_block_merge_implIS3_PlPS5_mZN2at6native12_GLOBAL__N_124unique_dim_cuda_templateIN3c104HalfEEESt5tupleIJNSA_6TensorESH_SH_EERKSH_lbbbEUlllE_EE10hipError_tT0_T1_T2_jT3_P12ihipStream_tbPNSt15iterator_traitsISN_E10value_typeEPNST_ISO_E10value_typeEPSP_NS1_7vsmem_tEENKUlT_SN_SO_SP_E_clIS8_S8_S9_S9_EESM_S12_SN_SO_SP_EUlS12_E0_NS1_11comp_targetILNS1_3genE3ELNS1_11target_archE908ELNS1_3gpuE7ELNS1_3repE0EEENS1_38merge_mergepath_config_static_selectorELNS0_4arch9wavefront6targetE0EEEvSO_,"axG",@progbits,_ZN7rocprim17ROCPRIM_400000_NS6detail17trampoline_kernelINS0_14default_configENS1_38merge_sort_block_merge_config_selectorIlNS0_10empty_typeEEEZZNS1_27merge_sort_block_merge_implIS3_PlPS5_mZN2at6native12_GLOBAL__N_124unique_dim_cuda_templateIN3c104HalfEEESt5tupleIJNSA_6TensorESH_SH_EERKSH_lbbbEUlllE_EE10hipError_tT0_T1_T2_jT3_P12ihipStream_tbPNSt15iterator_traitsISN_E10value_typeEPNST_ISO_E10value_typeEPSP_NS1_7vsmem_tEENKUlT_SN_SO_SP_E_clIS8_S8_S9_S9_EESM_S12_SN_SO_SP_EUlS12_E0_NS1_11comp_targetILNS1_3genE3ELNS1_11target_archE908ELNS1_3gpuE7ELNS1_3repE0EEENS1_38merge_mergepath_config_static_selectorELNS0_4arch9wavefront6targetE0EEEvSO_,comdat
.Lfunc_end1260:
	.size	_ZN7rocprim17ROCPRIM_400000_NS6detail17trampoline_kernelINS0_14default_configENS1_38merge_sort_block_merge_config_selectorIlNS0_10empty_typeEEEZZNS1_27merge_sort_block_merge_implIS3_PlPS5_mZN2at6native12_GLOBAL__N_124unique_dim_cuda_templateIN3c104HalfEEESt5tupleIJNSA_6TensorESH_SH_EERKSH_lbbbEUlllE_EE10hipError_tT0_T1_T2_jT3_P12ihipStream_tbPNSt15iterator_traitsISN_E10value_typeEPNST_ISO_E10value_typeEPSP_NS1_7vsmem_tEENKUlT_SN_SO_SP_E_clIS8_S8_S9_S9_EESM_S12_SN_SO_SP_EUlS12_E0_NS1_11comp_targetILNS1_3genE3ELNS1_11target_archE908ELNS1_3gpuE7ELNS1_3repE0EEENS1_38merge_mergepath_config_static_selectorELNS0_4arch9wavefront6targetE0EEEvSO_, .Lfunc_end1260-_ZN7rocprim17ROCPRIM_400000_NS6detail17trampoline_kernelINS0_14default_configENS1_38merge_sort_block_merge_config_selectorIlNS0_10empty_typeEEEZZNS1_27merge_sort_block_merge_implIS3_PlPS5_mZN2at6native12_GLOBAL__N_124unique_dim_cuda_templateIN3c104HalfEEESt5tupleIJNSA_6TensorESH_SH_EERKSH_lbbbEUlllE_EE10hipError_tT0_T1_T2_jT3_P12ihipStream_tbPNSt15iterator_traitsISN_E10value_typeEPNST_ISO_E10value_typeEPSP_NS1_7vsmem_tEENKUlT_SN_SO_SP_E_clIS8_S8_S9_S9_EESM_S12_SN_SO_SP_EUlS12_E0_NS1_11comp_targetILNS1_3genE3ELNS1_11target_archE908ELNS1_3gpuE7ELNS1_3repE0EEENS1_38merge_mergepath_config_static_selectorELNS0_4arch9wavefront6targetE0EEEvSO_
                                        ; -- End function
	.set _ZN7rocprim17ROCPRIM_400000_NS6detail17trampoline_kernelINS0_14default_configENS1_38merge_sort_block_merge_config_selectorIlNS0_10empty_typeEEEZZNS1_27merge_sort_block_merge_implIS3_PlPS5_mZN2at6native12_GLOBAL__N_124unique_dim_cuda_templateIN3c104HalfEEESt5tupleIJNSA_6TensorESH_SH_EERKSH_lbbbEUlllE_EE10hipError_tT0_T1_T2_jT3_P12ihipStream_tbPNSt15iterator_traitsISN_E10value_typeEPNST_ISO_E10value_typeEPSP_NS1_7vsmem_tEENKUlT_SN_SO_SP_E_clIS8_S8_S9_S9_EESM_S12_SN_SO_SP_EUlS12_E0_NS1_11comp_targetILNS1_3genE3ELNS1_11target_archE908ELNS1_3gpuE7ELNS1_3repE0EEENS1_38merge_mergepath_config_static_selectorELNS0_4arch9wavefront6targetE0EEEvSO_.num_vgpr, 0
	.set _ZN7rocprim17ROCPRIM_400000_NS6detail17trampoline_kernelINS0_14default_configENS1_38merge_sort_block_merge_config_selectorIlNS0_10empty_typeEEEZZNS1_27merge_sort_block_merge_implIS3_PlPS5_mZN2at6native12_GLOBAL__N_124unique_dim_cuda_templateIN3c104HalfEEESt5tupleIJNSA_6TensorESH_SH_EERKSH_lbbbEUlllE_EE10hipError_tT0_T1_T2_jT3_P12ihipStream_tbPNSt15iterator_traitsISN_E10value_typeEPNST_ISO_E10value_typeEPSP_NS1_7vsmem_tEENKUlT_SN_SO_SP_E_clIS8_S8_S9_S9_EESM_S12_SN_SO_SP_EUlS12_E0_NS1_11comp_targetILNS1_3genE3ELNS1_11target_archE908ELNS1_3gpuE7ELNS1_3repE0EEENS1_38merge_mergepath_config_static_selectorELNS0_4arch9wavefront6targetE0EEEvSO_.num_agpr, 0
	.set _ZN7rocprim17ROCPRIM_400000_NS6detail17trampoline_kernelINS0_14default_configENS1_38merge_sort_block_merge_config_selectorIlNS0_10empty_typeEEEZZNS1_27merge_sort_block_merge_implIS3_PlPS5_mZN2at6native12_GLOBAL__N_124unique_dim_cuda_templateIN3c104HalfEEESt5tupleIJNSA_6TensorESH_SH_EERKSH_lbbbEUlllE_EE10hipError_tT0_T1_T2_jT3_P12ihipStream_tbPNSt15iterator_traitsISN_E10value_typeEPNST_ISO_E10value_typeEPSP_NS1_7vsmem_tEENKUlT_SN_SO_SP_E_clIS8_S8_S9_S9_EESM_S12_SN_SO_SP_EUlS12_E0_NS1_11comp_targetILNS1_3genE3ELNS1_11target_archE908ELNS1_3gpuE7ELNS1_3repE0EEENS1_38merge_mergepath_config_static_selectorELNS0_4arch9wavefront6targetE0EEEvSO_.numbered_sgpr, 0
	.set _ZN7rocprim17ROCPRIM_400000_NS6detail17trampoline_kernelINS0_14default_configENS1_38merge_sort_block_merge_config_selectorIlNS0_10empty_typeEEEZZNS1_27merge_sort_block_merge_implIS3_PlPS5_mZN2at6native12_GLOBAL__N_124unique_dim_cuda_templateIN3c104HalfEEESt5tupleIJNSA_6TensorESH_SH_EERKSH_lbbbEUlllE_EE10hipError_tT0_T1_T2_jT3_P12ihipStream_tbPNSt15iterator_traitsISN_E10value_typeEPNST_ISO_E10value_typeEPSP_NS1_7vsmem_tEENKUlT_SN_SO_SP_E_clIS8_S8_S9_S9_EESM_S12_SN_SO_SP_EUlS12_E0_NS1_11comp_targetILNS1_3genE3ELNS1_11target_archE908ELNS1_3gpuE7ELNS1_3repE0EEENS1_38merge_mergepath_config_static_selectorELNS0_4arch9wavefront6targetE0EEEvSO_.num_named_barrier, 0
	.set _ZN7rocprim17ROCPRIM_400000_NS6detail17trampoline_kernelINS0_14default_configENS1_38merge_sort_block_merge_config_selectorIlNS0_10empty_typeEEEZZNS1_27merge_sort_block_merge_implIS3_PlPS5_mZN2at6native12_GLOBAL__N_124unique_dim_cuda_templateIN3c104HalfEEESt5tupleIJNSA_6TensorESH_SH_EERKSH_lbbbEUlllE_EE10hipError_tT0_T1_T2_jT3_P12ihipStream_tbPNSt15iterator_traitsISN_E10value_typeEPNST_ISO_E10value_typeEPSP_NS1_7vsmem_tEENKUlT_SN_SO_SP_E_clIS8_S8_S9_S9_EESM_S12_SN_SO_SP_EUlS12_E0_NS1_11comp_targetILNS1_3genE3ELNS1_11target_archE908ELNS1_3gpuE7ELNS1_3repE0EEENS1_38merge_mergepath_config_static_selectorELNS0_4arch9wavefront6targetE0EEEvSO_.private_seg_size, 0
	.set _ZN7rocprim17ROCPRIM_400000_NS6detail17trampoline_kernelINS0_14default_configENS1_38merge_sort_block_merge_config_selectorIlNS0_10empty_typeEEEZZNS1_27merge_sort_block_merge_implIS3_PlPS5_mZN2at6native12_GLOBAL__N_124unique_dim_cuda_templateIN3c104HalfEEESt5tupleIJNSA_6TensorESH_SH_EERKSH_lbbbEUlllE_EE10hipError_tT0_T1_T2_jT3_P12ihipStream_tbPNSt15iterator_traitsISN_E10value_typeEPNST_ISO_E10value_typeEPSP_NS1_7vsmem_tEENKUlT_SN_SO_SP_E_clIS8_S8_S9_S9_EESM_S12_SN_SO_SP_EUlS12_E0_NS1_11comp_targetILNS1_3genE3ELNS1_11target_archE908ELNS1_3gpuE7ELNS1_3repE0EEENS1_38merge_mergepath_config_static_selectorELNS0_4arch9wavefront6targetE0EEEvSO_.uses_vcc, 0
	.set _ZN7rocprim17ROCPRIM_400000_NS6detail17trampoline_kernelINS0_14default_configENS1_38merge_sort_block_merge_config_selectorIlNS0_10empty_typeEEEZZNS1_27merge_sort_block_merge_implIS3_PlPS5_mZN2at6native12_GLOBAL__N_124unique_dim_cuda_templateIN3c104HalfEEESt5tupleIJNSA_6TensorESH_SH_EERKSH_lbbbEUlllE_EE10hipError_tT0_T1_T2_jT3_P12ihipStream_tbPNSt15iterator_traitsISN_E10value_typeEPNST_ISO_E10value_typeEPSP_NS1_7vsmem_tEENKUlT_SN_SO_SP_E_clIS8_S8_S9_S9_EESM_S12_SN_SO_SP_EUlS12_E0_NS1_11comp_targetILNS1_3genE3ELNS1_11target_archE908ELNS1_3gpuE7ELNS1_3repE0EEENS1_38merge_mergepath_config_static_selectorELNS0_4arch9wavefront6targetE0EEEvSO_.uses_flat_scratch, 0
	.set _ZN7rocprim17ROCPRIM_400000_NS6detail17trampoline_kernelINS0_14default_configENS1_38merge_sort_block_merge_config_selectorIlNS0_10empty_typeEEEZZNS1_27merge_sort_block_merge_implIS3_PlPS5_mZN2at6native12_GLOBAL__N_124unique_dim_cuda_templateIN3c104HalfEEESt5tupleIJNSA_6TensorESH_SH_EERKSH_lbbbEUlllE_EE10hipError_tT0_T1_T2_jT3_P12ihipStream_tbPNSt15iterator_traitsISN_E10value_typeEPNST_ISO_E10value_typeEPSP_NS1_7vsmem_tEENKUlT_SN_SO_SP_E_clIS8_S8_S9_S9_EESM_S12_SN_SO_SP_EUlS12_E0_NS1_11comp_targetILNS1_3genE3ELNS1_11target_archE908ELNS1_3gpuE7ELNS1_3repE0EEENS1_38merge_mergepath_config_static_selectorELNS0_4arch9wavefront6targetE0EEEvSO_.has_dyn_sized_stack, 0
	.set _ZN7rocprim17ROCPRIM_400000_NS6detail17trampoline_kernelINS0_14default_configENS1_38merge_sort_block_merge_config_selectorIlNS0_10empty_typeEEEZZNS1_27merge_sort_block_merge_implIS3_PlPS5_mZN2at6native12_GLOBAL__N_124unique_dim_cuda_templateIN3c104HalfEEESt5tupleIJNSA_6TensorESH_SH_EERKSH_lbbbEUlllE_EE10hipError_tT0_T1_T2_jT3_P12ihipStream_tbPNSt15iterator_traitsISN_E10value_typeEPNST_ISO_E10value_typeEPSP_NS1_7vsmem_tEENKUlT_SN_SO_SP_E_clIS8_S8_S9_S9_EESM_S12_SN_SO_SP_EUlS12_E0_NS1_11comp_targetILNS1_3genE3ELNS1_11target_archE908ELNS1_3gpuE7ELNS1_3repE0EEENS1_38merge_mergepath_config_static_selectorELNS0_4arch9wavefront6targetE0EEEvSO_.has_recursion, 0
	.set _ZN7rocprim17ROCPRIM_400000_NS6detail17trampoline_kernelINS0_14default_configENS1_38merge_sort_block_merge_config_selectorIlNS0_10empty_typeEEEZZNS1_27merge_sort_block_merge_implIS3_PlPS5_mZN2at6native12_GLOBAL__N_124unique_dim_cuda_templateIN3c104HalfEEESt5tupleIJNSA_6TensorESH_SH_EERKSH_lbbbEUlllE_EE10hipError_tT0_T1_T2_jT3_P12ihipStream_tbPNSt15iterator_traitsISN_E10value_typeEPNST_ISO_E10value_typeEPSP_NS1_7vsmem_tEENKUlT_SN_SO_SP_E_clIS8_S8_S9_S9_EESM_S12_SN_SO_SP_EUlS12_E0_NS1_11comp_targetILNS1_3genE3ELNS1_11target_archE908ELNS1_3gpuE7ELNS1_3repE0EEENS1_38merge_mergepath_config_static_selectorELNS0_4arch9wavefront6targetE0EEEvSO_.has_indirect_call, 0
	.section	.AMDGPU.csdata,"",@progbits
; Kernel info:
; codeLenInByte = 0
; TotalNumSgprs: 0
; NumVgprs: 0
; ScratchSize: 0
; MemoryBound: 0
; FloatMode: 240
; IeeeMode: 1
; LDSByteSize: 0 bytes/workgroup (compile time only)
; SGPRBlocks: 0
; VGPRBlocks: 0
; NumSGPRsForWavesPerEU: 1
; NumVGPRsForWavesPerEU: 1
; NamedBarCnt: 0
; Occupancy: 16
; WaveLimiterHint : 0
; COMPUTE_PGM_RSRC2:SCRATCH_EN: 0
; COMPUTE_PGM_RSRC2:USER_SGPR: 2
; COMPUTE_PGM_RSRC2:TRAP_HANDLER: 0
; COMPUTE_PGM_RSRC2:TGID_X_EN: 1
; COMPUTE_PGM_RSRC2:TGID_Y_EN: 0
; COMPUTE_PGM_RSRC2:TGID_Z_EN: 0
; COMPUTE_PGM_RSRC2:TIDIG_COMP_CNT: 0
	.section	.text._ZN7rocprim17ROCPRIM_400000_NS6detail17trampoline_kernelINS0_14default_configENS1_38merge_sort_block_merge_config_selectorIlNS0_10empty_typeEEEZZNS1_27merge_sort_block_merge_implIS3_PlPS5_mZN2at6native12_GLOBAL__N_124unique_dim_cuda_templateIN3c104HalfEEESt5tupleIJNSA_6TensorESH_SH_EERKSH_lbbbEUlllE_EE10hipError_tT0_T1_T2_jT3_P12ihipStream_tbPNSt15iterator_traitsISN_E10value_typeEPNST_ISO_E10value_typeEPSP_NS1_7vsmem_tEENKUlT_SN_SO_SP_E_clIS8_S8_S9_S9_EESM_S12_SN_SO_SP_EUlS12_E0_NS1_11comp_targetILNS1_3genE2ELNS1_11target_archE906ELNS1_3gpuE6ELNS1_3repE0EEENS1_38merge_mergepath_config_static_selectorELNS0_4arch9wavefront6targetE0EEEvSO_,"axG",@progbits,_ZN7rocprim17ROCPRIM_400000_NS6detail17trampoline_kernelINS0_14default_configENS1_38merge_sort_block_merge_config_selectorIlNS0_10empty_typeEEEZZNS1_27merge_sort_block_merge_implIS3_PlPS5_mZN2at6native12_GLOBAL__N_124unique_dim_cuda_templateIN3c104HalfEEESt5tupleIJNSA_6TensorESH_SH_EERKSH_lbbbEUlllE_EE10hipError_tT0_T1_T2_jT3_P12ihipStream_tbPNSt15iterator_traitsISN_E10value_typeEPNST_ISO_E10value_typeEPSP_NS1_7vsmem_tEENKUlT_SN_SO_SP_E_clIS8_S8_S9_S9_EESM_S12_SN_SO_SP_EUlS12_E0_NS1_11comp_targetILNS1_3genE2ELNS1_11target_archE906ELNS1_3gpuE6ELNS1_3repE0EEENS1_38merge_mergepath_config_static_selectorELNS0_4arch9wavefront6targetE0EEEvSO_,comdat
	.globl	_ZN7rocprim17ROCPRIM_400000_NS6detail17trampoline_kernelINS0_14default_configENS1_38merge_sort_block_merge_config_selectorIlNS0_10empty_typeEEEZZNS1_27merge_sort_block_merge_implIS3_PlPS5_mZN2at6native12_GLOBAL__N_124unique_dim_cuda_templateIN3c104HalfEEESt5tupleIJNSA_6TensorESH_SH_EERKSH_lbbbEUlllE_EE10hipError_tT0_T1_T2_jT3_P12ihipStream_tbPNSt15iterator_traitsISN_E10value_typeEPNST_ISO_E10value_typeEPSP_NS1_7vsmem_tEENKUlT_SN_SO_SP_E_clIS8_S8_S9_S9_EESM_S12_SN_SO_SP_EUlS12_E0_NS1_11comp_targetILNS1_3genE2ELNS1_11target_archE906ELNS1_3gpuE6ELNS1_3repE0EEENS1_38merge_mergepath_config_static_selectorELNS0_4arch9wavefront6targetE0EEEvSO_ ; -- Begin function _ZN7rocprim17ROCPRIM_400000_NS6detail17trampoline_kernelINS0_14default_configENS1_38merge_sort_block_merge_config_selectorIlNS0_10empty_typeEEEZZNS1_27merge_sort_block_merge_implIS3_PlPS5_mZN2at6native12_GLOBAL__N_124unique_dim_cuda_templateIN3c104HalfEEESt5tupleIJNSA_6TensorESH_SH_EERKSH_lbbbEUlllE_EE10hipError_tT0_T1_T2_jT3_P12ihipStream_tbPNSt15iterator_traitsISN_E10value_typeEPNST_ISO_E10value_typeEPSP_NS1_7vsmem_tEENKUlT_SN_SO_SP_E_clIS8_S8_S9_S9_EESM_S12_SN_SO_SP_EUlS12_E0_NS1_11comp_targetILNS1_3genE2ELNS1_11target_archE906ELNS1_3gpuE6ELNS1_3repE0EEENS1_38merge_mergepath_config_static_selectorELNS0_4arch9wavefront6targetE0EEEvSO_
	.p2align	8
	.type	_ZN7rocprim17ROCPRIM_400000_NS6detail17trampoline_kernelINS0_14default_configENS1_38merge_sort_block_merge_config_selectorIlNS0_10empty_typeEEEZZNS1_27merge_sort_block_merge_implIS3_PlPS5_mZN2at6native12_GLOBAL__N_124unique_dim_cuda_templateIN3c104HalfEEESt5tupleIJNSA_6TensorESH_SH_EERKSH_lbbbEUlllE_EE10hipError_tT0_T1_T2_jT3_P12ihipStream_tbPNSt15iterator_traitsISN_E10value_typeEPNST_ISO_E10value_typeEPSP_NS1_7vsmem_tEENKUlT_SN_SO_SP_E_clIS8_S8_S9_S9_EESM_S12_SN_SO_SP_EUlS12_E0_NS1_11comp_targetILNS1_3genE2ELNS1_11target_archE906ELNS1_3gpuE6ELNS1_3repE0EEENS1_38merge_mergepath_config_static_selectorELNS0_4arch9wavefront6targetE0EEEvSO_,@function
_ZN7rocprim17ROCPRIM_400000_NS6detail17trampoline_kernelINS0_14default_configENS1_38merge_sort_block_merge_config_selectorIlNS0_10empty_typeEEEZZNS1_27merge_sort_block_merge_implIS3_PlPS5_mZN2at6native12_GLOBAL__N_124unique_dim_cuda_templateIN3c104HalfEEESt5tupleIJNSA_6TensorESH_SH_EERKSH_lbbbEUlllE_EE10hipError_tT0_T1_T2_jT3_P12ihipStream_tbPNSt15iterator_traitsISN_E10value_typeEPNST_ISO_E10value_typeEPSP_NS1_7vsmem_tEENKUlT_SN_SO_SP_E_clIS8_S8_S9_S9_EESM_S12_SN_SO_SP_EUlS12_E0_NS1_11comp_targetILNS1_3genE2ELNS1_11target_archE906ELNS1_3gpuE6ELNS1_3repE0EEENS1_38merge_mergepath_config_static_selectorELNS0_4arch9wavefront6targetE0EEEvSO_: ; @_ZN7rocprim17ROCPRIM_400000_NS6detail17trampoline_kernelINS0_14default_configENS1_38merge_sort_block_merge_config_selectorIlNS0_10empty_typeEEEZZNS1_27merge_sort_block_merge_implIS3_PlPS5_mZN2at6native12_GLOBAL__N_124unique_dim_cuda_templateIN3c104HalfEEESt5tupleIJNSA_6TensorESH_SH_EERKSH_lbbbEUlllE_EE10hipError_tT0_T1_T2_jT3_P12ihipStream_tbPNSt15iterator_traitsISN_E10value_typeEPNST_ISO_E10value_typeEPSP_NS1_7vsmem_tEENKUlT_SN_SO_SP_E_clIS8_S8_S9_S9_EESM_S12_SN_SO_SP_EUlS12_E0_NS1_11comp_targetILNS1_3genE2ELNS1_11target_archE906ELNS1_3gpuE6ELNS1_3repE0EEENS1_38merge_mergepath_config_static_selectorELNS0_4arch9wavefront6targetE0EEEvSO_
; %bb.0:
	.section	.rodata,"a",@progbits
	.p2align	6, 0x0
	.amdhsa_kernel _ZN7rocprim17ROCPRIM_400000_NS6detail17trampoline_kernelINS0_14default_configENS1_38merge_sort_block_merge_config_selectorIlNS0_10empty_typeEEEZZNS1_27merge_sort_block_merge_implIS3_PlPS5_mZN2at6native12_GLOBAL__N_124unique_dim_cuda_templateIN3c104HalfEEESt5tupleIJNSA_6TensorESH_SH_EERKSH_lbbbEUlllE_EE10hipError_tT0_T1_T2_jT3_P12ihipStream_tbPNSt15iterator_traitsISN_E10value_typeEPNST_ISO_E10value_typeEPSP_NS1_7vsmem_tEENKUlT_SN_SO_SP_E_clIS8_S8_S9_S9_EESM_S12_SN_SO_SP_EUlS12_E0_NS1_11comp_targetILNS1_3genE2ELNS1_11target_archE906ELNS1_3gpuE6ELNS1_3repE0EEENS1_38merge_mergepath_config_static_selectorELNS0_4arch9wavefront6targetE0EEEvSO_
		.amdhsa_group_segment_fixed_size 0
		.amdhsa_private_segment_fixed_size 0
		.amdhsa_kernarg_size 88
		.amdhsa_user_sgpr_count 2
		.amdhsa_user_sgpr_dispatch_ptr 0
		.amdhsa_user_sgpr_queue_ptr 0
		.amdhsa_user_sgpr_kernarg_segment_ptr 1
		.amdhsa_user_sgpr_dispatch_id 0
		.amdhsa_user_sgpr_kernarg_preload_length 0
		.amdhsa_user_sgpr_kernarg_preload_offset 0
		.amdhsa_user_sgpr_private_segment_size 0
		.amdhsa_wavefront_size32 1
		.amdhsa_uses_dynamic_stack 0
		.amdhsa_enable_private_segment 0
		.amdhsa_system_sgpr_workgroup_id_x 1
		.amdhsa_system_sgpr_workgroup_id_y 0
		.amdhsa_system_sgpr_workgroup_id_z 0
		.amdhsa_system_sgpr_workgroup_info 0
		.amdhsa_system_vgpr_workitem_id 0
		.amdhsa_next_free_vgpr 1
		.amdhsa_next_free_sgpr 1
		.amdhsa_named_barrier_count 0
		.amdhsa_reserve_vcc 0
		.amdhsa_float_round_mode_32 0
		.amdhsa_float_round_mode_16_64 0
		.amdhsa_float_denorm_mode_32 3
		.amdhsa_float_denorm_mode_16_64 3
		.amdhsa_fp16_overflow 0
		.amdhsa_memory_ordered 1
		.amdhsa_forward_progress 1
		.amdhsa_inst_pref_size 0
		.amdhsa_round_robin_scheduling 0
		.amdhsa_exception_fp_ieee_invalid_op 0
		.amdhsa_exception_fp_denorm_src 0
		.amdhsa_exception_fp_ieee_div_zero 0
		.amdhsa_exception_fp_ieee_overflow 0
		.amdhsa_exception_fp_ieee_underflow 0
		.amdhsa_exception_fp_ieee_inexact 0
		.amdhsa_exception_int_div_zero 0
	.end_amdhsa_kernel
	.section	.text._ZN7rocprim17ROCPRIM_400000_NS6detail17trampoline_kernelINS0_14default_configENS1_38merge_sort_block_merge_config_selectorIlNS0_10empty_typeEEEZZNS1_27merge_sort_block_merge_implIS3_PlPS5_mZN2at6native12_GLOBAL__N_124unique_dim_cuda_templateIN3c104HalfEEESt5tupleIJNSA_6TensorESH_SH_EERKSH_lbbbEUlllE_EE10hipError_tT0_T1_T2_jT3_P12ihipStream_tbPNSt15iterator_traitsISN_E10value_typeEPNST_ISO_E10value_typeEPSP_NS1_7vsmem_tEENKUlT_SN_SO_SP_E_clIS8_S8_S9_S9_EESM_S12_SN_SO_SP_EUlS12_E0_NS1_11comp_targetILNS1_3genE2ELNS1_11target_archE906ELNS1_3gpuE6ELNS1_3repE0EEENS1_38merge_mergepath_config_static_selectorELNS0_4arch9wavefront6targetE0EEEvSO_,"axG",@progbits,_ZN7rocprim17ROCPRIM_400000_NS6detail17trampoline_kernelINS0_14default_configENS1_38merge_sort_block_merge_config_selectorIlNS0_10empty_typeEEEZZNS1_27merge_sort_block_merge_implIS3_PlPS5_mZN2at6native12_GLOBAL__N_124unique_dim_cuda_templateIN3c104HalfEEESt5tupleIJNSA_6TensorESH_SH_EERKSH_lbbbEUlllE_EE10hipError_tT0_T1_T2_jT3_P12ihipStream_tbPNSt15iterator_traitsISN_E10value_typeEPNST_ISO_E10value_typeEPSP_NS1_7vsmem_tEENKUlT_SN_SO_SP_E_clIS8_S8_S9_S9_EESM_S12_SN_SO_SP_EUlS12_E0_NS1_11comp_targetILNS1_3genE2ELNS1_11target_archE906ELNS1_3gpuE6ELNS1_3repE0EEENS1_38merge_mergepath_config_static_selectorELNS0_4arch9wavefront6targetE0EEEvSO_,comdat
.Lfunc_end1261:
	.size	_ZN7rocprim17ROCPRIM_400000_NS6detail17trampoline_kernelINS0_14default_configENS1_38merge_sort_block_merge_config_selectorIlNS0_10empty_typeEEEZZNS1_27merge_sort_block_merge_implIS3_PlPS5_mZN2at6native12_GLOBAL__N_124unique_dim_cuda_templateIN3c104HalfEEESt5tupleIJNSA_6TensorESH_SH_EERKSH_lbbbEUlllE_EE10hipError_tT0_T1_T2_jT3_P12ihipStream_tbPNSt15iterator_traitsISN_E10value_typeEPNST_ISO_E10value_typeEPSP_NS1_7vsmem_tEENKUlT_SN_SO_SP_E_clIS8_S8_S9_S9_EESM_S12_SN_SO_SP_EUlS12_E0_NS1_11comp_targetILNS1_3genE2ELNS1_11target_archE906ELNS1_3gpuE6ELNS1_3repE0EEENS1_38merge_mergepath_config_static_selectorELNS0_4arch9wavefront6targetE0EEEvSO_, .Lfunc_end1261-_ZN7rocprim17ROCPRIM_400000_NS6detail17trampoline_kernelINS0_14default_configENS1_38merge_sort_block_merge_config_selectorIlNS0_10empty_typeEEEZZNS1_27merge_sort_block_merge_implIS3_PlPS5_mZN2at6native12_GLOBAL__N_124unique_dim_cuda_templateIN3c104HalfEEESt5tupleIJNSA_6TensorESH_SH_EERKSH_lbbbEUlllE_EE10hipError_tT0_T1_T2_jT3_P12ihipStream_tbPNSt15iterator_traitsISN_E10value_typeEPNST_ISO_E10value_typeEPSP_NS1_7vsmem_tEENKUlT_SN_SO_SP_E_clIS8_S8_S9_S9_EESM_S12_SN_SO_SP_EUlS12_E0_NS1_11comp_targetILNS1_3genE2ELNS1_11target_archE906ELNS1_3gpuE6ELNS1_3repE0EEENS1_38merge_mergepath_config_static_selectorELNS0_4arch9wavefront6targetE0EEEvSO_
                                        ; -- End function
	.set _ZN7rocprim17ROCPRIM_400000_NS6detail17trampoline_kernelINS0_14default_configENS1_38merge_sort_block_merge_config_selectorIlNS0_10empty_typeEEEZZNS1_27merge_sort_block_merge_implIS3_PlPS5_mZN2at6native12_GLOBAL__N_124unique_dim_cuda_templateIN3c104HalfEEESt5tupleIJNSA_6TensorESH_SH_EERKSH_lbbbEUlllE_EE10hipError_tT0_T1_T2_jT3_P12ihipStream_tbPNSt15iterator_traitsISN_E10value_typeEPNST_ISO_E10value_typeEPSP_NS1_7vsmem_tEENKUlT_SN_SO_SP_E_clIS8_S8_S9_S9_EESM_S12_SN_SO_SP_EUlS12_E0_NS1_11comp_targetILNS1_3genE2ELNS1_11target_archE906ELNS1_3gpuE6ELNS1_3repE0EEENS1_38merge_mergepath_config_static_selectorELNS0_4arch9wavefront6targetE0EEEvSO_.num_vgpr, 0
	.set _ZN7rocprim17ROCPRIM_400000_NS6detail17trampoline_kernelINS0_14default_configENS1_38merge_sort_block_merge_config_selectorIlNS0_10empty_typeEEEZZNS1_27merge_sort_block_merge_implIS3_PlPS5_mZN2at6native12_GLOBAL__N_124unique_dim_cuda_templateIN3c104HalfEEESt5tupleIJNSA_6TensorESH_SH_EERKSH_lbbbEUlllE_EE10hipError_tT0_T1_T2_jT3_P12ihipStream_tbPNSt15iterator_traitsISN_E10value_typeEPNST_ISO_E10value_typeEPSP_NS1_7vsmem_tEENKUlT_SN_SO_SP_E_clIS8_S8_S9_S9_EESM_S12_SN_SO_SP_EUlS12_E0_NS1_11comp_targetILNS1_3genE2ELNS1_11target_archE906ELNS1_3gpuE6ELNS1_3repE0EEENS1_38merge_mergepath_config_static_selectorELNS0_4arch9wavefront6targetE0EEEvSO_.num_agpr, 0
	.set _ZN7rocprim17ROCPRIM_400000_NS6detail17trampoline_kernelINS0_14default_configENS1_38merge_sort_block_merge_config_selectorIlNS0_10empty_typeEEEZZNS1_27merge_sort_block_merge_implIS3_PlPS5_mZN2at6native12_GLOBAL__N_124unique_dim_cuda_templateIN3c104HalfEEESt5tupleIJNSA_6TensorESH_SH_EERKSH_lbbbEUlllE_EE10hipError_tT0_T1_T2_jT3_P12ihipStream_tbPNSt15iterator_traitsISN_E10value_typeEPNST_ISO_E10value_typeEPSP_NS1_7vsmem_tEENKUlT_SN_SO_SP_E_clIS8_S8_S9_S9_EESM_S12_SN_SO_SP_EUlS12_E0_NS1_11comp_targetILNS1_3genE2ELNS1_11target_archE906ELNS1_3gpuE6ELNS1_3repE0EEENS1_38merge_mergepath_config_static_selectorELNS0_4arch9wavefront6targetE0EEEvSO_.numbered_sgpr, 0
	.set _ZN7rocprim17ROCPRIM_400000_NS6detail17trampoline_kernelINS0_14default_configENS1_38merge_sort_block_merge_config_selectorIlNS0_10empty_typeEEEZZNS1_27merge_sort_block_merge_implIS3_PlPS5_mZN2at6native12_GLOBAL__N_124unique_dim_cuda_templateIN3c104HalfEEESt5tupleIJNSA_6TensorESH_SH_EERKSH_lbbbEUlllE_EE10hipError_tT0_T1_T2_jT3_P12ihipStream_tbPNSt15iterator_traitsISN_E10value_typeEPNST_ISO_E10value_typeEPSP_NS1_7vsmem_tEENKUlT_SN_SO_SP_E_clIS8_S8_S9_S9_EESM_S12_SN_SO_SP_EUlS12_E0_NS1_11comp_targetILNS1_3genE2ELNS1_11target_archE906ELNS1_3gpuE6ELNS1_3repE0EEENS1_38merge_mergepath_config_static_selectorELNS0_4arch9wavefront6targetE0EEEvSO_.num_named_barrier, 0
	.set _ZN7rocprim17ROCPRIM_400000_NS6detail17trampoline_kernelINS0_14default_configENS1_38merge_sort_block_merge_config_selectorIlNS0_10empty_typeEEEZZNS1_27merge_sort_block_merge_implIS3_PlPS5_mZN2at6native12_GLOBAL__N_124unique_dim_cuda_templateIN3c104HalfEEESt5tupleIJNSA_6TensorESH_SH_EERKSH_lbbbEUlllE_EE10hipError_tT0_T1_T2_jT3_P12ihipStream_tbPNSt15iterator_traitsISN_E10value_typeEPNST_ISO_E10value_typeEPSP_NS1_7vsmem_tEENKUlT_SN_SO_SP_E_clIS8_S8_S9_S9_EESM_S12_SN_SO_SP_EUlS12_E0_NS1_11comp_targetILNS1_3genE2ELNS1_11target_archE906ELNS1_3gpuE6ELNS1_3repE0EEENS1_38merge_mergepath_config_static_selectorELNS0_4arch9wavefront6targetE0EEEvSO_.private_seg_size, 0
	.set _ZN7rocprim17ROCPRIM_400000_NS6detail17trampoline_kernelINS0_14default_configENS1_38merge_sort_block_merge_config_selectorIlNS0_10empty_typeEEEZZNS1_27merge_sort_block_merge_implIS3_PlPS5_mZN2at6native12_GLOBAL__N_124unique_dim_cuda_templateIN3c104HalfEEESt5tupleIJNSA_6TensorESH_SH_EERKSH_lbbbEUlllE_EE10hipError_tT0_T1_T2_jT3_P12ihipStream_tbPNSt15iterator_traitsISN_E10value_typeEPNST_ISO_E10value_typeEPSP_NS1_7vsmem_tEENKUlT_SN_SO_SP_E_clIS8_S8_S9_S9_EESM_S12_SN_SO_SP_EUlS12_E0_NS1_11comp_targetILNS1_3genE2ELNS1_11target_archE906ELNS1_3gpuE6ELNS1_3repE0EEENS1_38merge_mergepath_config_static_selectorELNS0_4arch9wavefront6targetE0EEEvSO_.uses_vcc, 0
	.set _ZN7rocprim17ROCPRIM_400000_NS6detail17trampoline_kernelINS0_14default_configENS1_38merge_sort_block_merge_config_selectorIlNS0_10empty_typeEEEZZNS1_27merge_sort_block_merge_implIS3_PlPS5_mZN2at6native12_GLOBAL__N_124unique_dim_cuda_templateIN3c104HalfEEESt5tupleIJNSA_6TensorESH_SH_EERKSH_lbbbEUlllE_EE10hipError_tT0_T1_T2_jT3_P12ihipStream_tbPNSt15iterator_traitsISN_E10value_typeEPNST_ISO_E10value_typeEPSP_NS1_7vsmem_tEENKUlT_SN_SO_SP_E_clIS8_S8_S9_S9_EESM_S12_SN_SO_SP_EUlS12_E0_NS1_11comp_targetILNS1_3genE2ELNS1_11target_archE906ELNS1_3gpuE6ELNS1_3repE0EEENS1_38merge_mergepath_config_static_selectorELNS0_4arch9wavefront6targetE0EEEvSO_.uses_flat_scratch, 0
	.set _ZN7rocprim17ROCPRIM_400000_NS6detail17trampoline_kernelINS0_14default_configENS1_38merge_sort_block_merge_config_selectorIlNS0_10empty_typeEEEZZNS1_27merge_sort_block_merge_implIS3_PlPS5_mZN2at6native12_GLOBAL__N_124unique_dim_cuda_templateIN3c104HalfEEESt5tupleIJNSA_6TensorESH_SH_EERKSH_lbbbEUlllE_EE10hipError_tT0_T1_T2_jT3_P12ihipStream_tbPNSt15iterator_traitsISN_E10value_typeEPNST_ISO_E10value_typeEPSP_NS1_7vsmem_tEENKUlT_SN_SO_SP_E_clIS8_S8_S9_S9_EESM_S12_SN_SO_SP_EUlS12_E0_NS1_11comp_targetILNS1_3genE2ELNS1_11target_archE906ELNS1_3gpuE6ELNS1_3repE0EEENS1_38merge_mergepath_config_static_selectorELNS0_4arch9wavefront6targetE0EEEvSO_.has_dyn_sized_stack, 0
	.set _ZN7rocprim17ROCPRIM_400000_NS6detail17trampoline_kernelINS0_14default_configENS1_38merge_sort_block_merge_config_selectorIlNS0_10empty_typeEEEZZNS1_27merge_sort_block_merge_implIS3_PlPS5_mZN2at6native12_GLOBAL__N_124unique_dim_cuda_templateIN3c104HalfEEESt5tupleIJNSA_6TensorESH_SH_EERKSH_lbbbEUlllE_EE10hipError_tT0_T1_T2_jT3_P12ihipStream_tbPNSt15iterator_traitsISN_E10value_typeEPNST_ISO_E10value_typeEPSP_NS1_7vsmem_tEENKUlT_SN_SO_SP_E_clIS8_S8_S9_S9_EESM_S12_SN_SO_SP_EUlS12_E0_NS1_11comp_targetILNS1_3genE2ELNS1_11target_archE906ELNS1_3gpuE6ELNS1_3repE0EEENS1_38merge_mergepath_config_static_selectorELNS0_4arch9wavefront6targetE0EEEvSO_.has_recursion, 0
	.set _ZN7rocprim17ROCPRIM_400000_NS6detail17trampoline_kernelINS0_14default_configENS1_38merge_sort_block_merge_config_selectorIlNS0_10empty_typeEEEZZNS1_27merge_sort_block_merge_implIS3_PlPS5_mZN2at6native12_GLOBAL__N_124unique_dim_cuda_templateIN3c104HalfEEESt5tupleIJNSA_6TensorESH_SH_EERKSH_lbbbEUlllE_EE10hipError_tT0_T1_T2_jT3_P12ihipStream_tbPNSt15iterator_traitsISN_E10value_typeEPNST_ISO_E10value_typeEPSP_NS1_7vsmem_tEENKUlT_SN_SO_SP_E_clIS8_S8_S9_S9_EESM_S12_SN_SO_SP_EUlS12_E0_NS1_11comp_targetILNS1_3genE2ELNS1_11target_archE906ELNS1_3gpuE6ELNS1_3repE0EEENS1_38merge_mergepath_config_static_selectorELNS0_4arch9wavefront6targetE0EEEvSO_.has_indirect_call, 0
	.section	.AMDGPU.csdata,"",@progbits
; Kernel info:
; codeLenInByte = 0
; TotalNumSgprs: 0
; NumVgprs: 0
; ScratchSize: 0
; MemoryBound: 0
; FloatMode: 240
; IeeeMode: 1
; LDSByteSize: 0 bytes/workgroup (compile time only)
; SGPRBlocks: 0
; VGPRBlocks: 0
; NumSGPRsForWavesPerEU: 1
; NumVGPRsForWavesPerEU: 1
; NamedBarCnt: 0
; Occupancy: 16
; WaveLimiterHint : 0
; COMPUTE_PGM_RSRC2:SCRATCH_EN: 0
; COMPUTE_PGM_RSRC2:USER_SGPR: 2
; COMPUTE_PGM_RSRC2:TRAP_HANDLER: 0
; COMPUTE_PGM_RSRC2:TGID_X_EN: 1
; COMPUTE_PGM_RSRC2:TGID_Y_EN: 0
; COMPUTE_PGM_RSRC2:TGID_Z_EN: 0
; COMPUTE_PGM_RSRC2:TIDIG_COMP_CNT: 0
	.section	.text._ZN7rocprim17ROCPRIM_400000_NS6detail17trampoline_kernelINS0_14default_configENS1_38merge_sort_block_merge_config_selectorIlNS0_10empty_typeEEEZZNS1_27merge_sort_block_merge_implIS3_PlPS5_mZN2at6native12_GLOBAL__N_124unique_dim_cuda_templateIN3c104HalfEEESt5tupleIJNSA_6TensorESH_SH_EERKSH_lbbbEUlllE_EE10hipError_tT0_T1_T2_jT3_P12ihipStream_tbPNSt15iterator_traitsISN_E10value_typeEPNST_ISO_E10value_typeEPSP_NS1_7vsmem_tEENKUlT_SN_SO_SP_E_clIS8_S8_S9_S9_EESM_S12_SN_SO_SP_EUlS12_E0_NS1_11comp_targetILNS1_3genE9ELNS1_11target_archE1100ELNS1_3gpuE3ELNS1_3repE0EEENS1_38merge_mergepath_config_static_selectorELNS0_4arch9wavefront6targetE0EEEvSO_,"axG",@progbits,_ZN7rocprim17ROCPRIM_400000_NS6detail17trampoline_kernelINS0_14default_configENS1_38merge_sort_block_merge_config_selectorIlNS0_10empty_typeEEEZZNS1_27merge_sort_block_merge_implIS3_PlPS5_mZN2at6native12_GLOBAL__N_124unique_dim_cuda_templateIN3c104HalfEEESt5tupleIJNSA_6TensorESH_SH_EERKSH_lbbbEUlllE_EE10hipError_tT0_T1_T2_jT3_P12ihipStream_tbPNSt15iterator_traitsISN_E10value_typeEPNST_ISO_E10value_typeEPSP_NS1_7vsmem_tEENKUlT_SN_SO_SP_E_clIS8_S8_S9_S9_EESM_S12_SN_SO_SP_EUlS12_E0_NS1_11comp_targetILNS1_3genE9ELNS1_11target_archE1100ELNS1_3gpuE3ELNS1_3repE0EEENS1_38merge_mergepath_config_static_selectorELNS0_4arch9wavefront6targetE0EEEvSO_,comdat
	.globl	_ZN7rocprim17ROCPRIM_400000_NS6detail17trampoline_kernelINS0_14default_configENS1_38merge_sort_block_merge_config_selectorIlNS0_10empty_typeEEEZZNS1_27merge_sort_block_merge_implIS3_PlPS5_mZN2at6native12_GLOBAL__N_124unique_dim_cuda_templateIN3c104HalfEEESt5tupleIJNSA_6TensorESH_SH_EERKSH_lbbbEUlllE_EE10hipError_tT0_T1_T2_jT3_P12ihipStream_tbPNSt15iterator_traitsISN_E10value_typeEPNST_ISO_E10value_typeEPSP_NS1_7vsmem_tEENKUlT_SN_SO_SP_E_clIS8_S8_S9_S9_EESM_S12_SN_SO_SP_EUlS12_E0_NS1_11comp_targetILNS1_3genE9ELNS1_11target_archE1100ELNS1_3gpuE3ELNS1_3repE0EEENS1_38merge_mergepath_config_static_selectorELNS0_4arch9wavefront6targetE0EEEvSO_ ; -- Begin function _ZN7rocprim17ROCPRIM_400000_NS6detail17trampoline_kernelINS0_14default_configENS1_38merge_sort_block_merge_config_selectorIlNS0_10empty_typeEEEZZNS1_27merge_sort_block_merge_implIS3_PlPS5_mZN2at6native12_GLOBAL__N_124unique_dim_cuda_templateIN3c104HalfEEESt5tupleIJNSA_6TensorESH_SH_EERKSH_lbbbEUlllE_EE10hipError_tT0_T1_T2_jT3_P12ihipStream_tbPNSt15iterator_traitsISN_E10value_typeEPNST_ISO_E10value_typeEPSP_NS1_7vsmem_tEENKUlT_SN_SO_SP_E_clIS8_S8_S9_S9_EESM_S12_SN_SO_SP_EUlS12_E0_NS1_11comp_targetILNS1_3genE9ELNS1_11target_archE1100ELNS1_3gpuE3ELNS1_3repE0EEENS1_38merge_mergepath_config_static_selectorELNS0_4arch9wavefront6targetE0EEEvSO_
	.p2align	8
	.type	_ZN7rocprim17ROCPRIM_400000_NS6detail17trampoline_kernelINS0_14default_configENS1_38merge_sort_block_merge_config_selectorIlNS0_10empty_typeEEEZZNS1_27merge_sort_block_merge_implIS3_PlPS5_mZN2at6native12_GLOBAL__N_124unique_dim_cuda_templateIN3c104HalfEEESt5tupleIJNSA_6TensorESH_SH_EERKSH_lbbbEUlllE_EE10hipError_tT0_T1_T2_jT3_P12ihipStream_tbPNSt15iterator_traitsISN_E10value_typeEPNST_ISO_E10value_typeEPSP_NS1_7vsmem_tEENKUlT_SN_SO_SP_E_clIS8_S8_S9_S9_EESM_S12_SN_SO_SP_EUlS12_E0_NS1_11comp_targetILNS1_3genE9ELNS1_11target_archE1100ELNS1_3gpuE3ELNS1_3repE0EEENS1_38merge_mergepath_config_static_selectorELNS0_4arch9wavefront6targetE0EEEvSO_,@function
_ZN7rocprim17ROCPRIM_400000_NS6detail17trampoline_kernelINS0_14default_configENS1_38merge_sort_block_merge_config_selectorIlNS0_10empty_typeEEEZZNS1_27merge_sort_block_merge_implIS3_PlPS5_mZN2at6native12_GLOBAL__N_124unique_dim_cuda_templateIN3c104HalfEEESt5tupleIJNSA_6TensorESH_SH_EERKSH_lbbbEUlllE_EE10hipError_tT0_T1_T2_jT3_P12ihipStream_tbPNSt15iterator_traitsISN_E10value_typeEPNST_ISO_E10value_typeEPSP_NS1_7vsmem_tEENKUlT_SN_SO_SP_E_clIS8_S8_S9_S9_EESM_S12_SN_SO_SP_EUlS12_E0_NS1_11comp_targetILNS1_3genE9ELNS1_11target_archE1100ELNS1_3gpuE3ELNS1_3repE0EEENS1_38merge_mergepath_config_static_selectorELNS0_4arch9wavefront6targetE0EEEvSO_: ; @_ZN7rocprim17ROCPRIM_400000_NS6detail17trampoline_kernelINS0_14default_configENS1_38merge_sort_block_merge_config_selectorIlNS0_10empty_typeEEEZZNS1_27merge_sort_block_merge_implIS3_PlPS5_mZN2at6native12_GLOBAL__N_124unique_dim_cuda_templateIN3c104HalfEEESt5tupleIJNSA_6TensorESH_SH_EERKSH_lbbbEUlllE_EE10hipError_tT0_T1_T2_jT3_P12ihipStream_tbPNSt15iterator_traitsISN_E10value_typeEPNST_ISO_E10value_typeEPSP_NS1_7vsmem_tEENKUlT_SN_SO_SP_E_clIS8_S8_S9_S9_EESM_S12_SN_SO_SP_EUlS12_E0_NS1_11comp_targetILNS1_3genE9ELNS1_11target_archE1100ELNS1_3gpuE3ELNS1_3repE0EEENS1_38merge_mergepath_config_static_selectorELNS0_4arch9wavefront6targetE0EEEvSO_
; %bb.0:
	.section	.rodata,"a",@progbits
	.p2align	6, 0x0
	.amdhsa_kernel _ZN7rocprim17ROCPRIM_400000_NS6detail17trampoline_kernelINS0_14default_configENS1_38merge_sort_block_merge_config_selectorIlNS0_10empty_typeEEEZZNS1_27merge_sort_block_merge_implIS3_PlPS5_mZN2at6native12_GLOBAL__N_124unique_dim_cuda_templateIN3c104HalfEEESt5tupleIJNSA_6TensorESH_SH_EERKSH_lbbbEUlllE_EE10hipError_tT0_T1_T2_jT3_P12ihipStream_tbPNSt15iterator_traitsISN_E10value_typeEPNST_ISO_E10value_typeEPSP_NS1_7vsmem_tEENKUlT_SN_SO_SP_E_clIS8_S8_S9_S9_EESM_S12_SN_SO_SP_EUlS12_E0_NS1_11comp_targetILNS1_3genE9ELNS1_11target_archE1100ELNS1_3gpuE3ELNS1_3repE0EEENS1_38merge_mergepath_config_static_selectorELNS0_4arch9wavefront6targetE0EEEvSO_
		.amdhsa_group_segment_fixed_size 0
		.amdhsa_private_segment_fixed_size 0
		.amdhsa_kernarg_size 88
		.amdhsa_user_sgpr_count 2
		.amdhsa_user_sgpr_dispatch_ptr 0
		.amdhsa_user_sgpr_queue_ptr 0
		.amdhsa_user_sgpr_kernarg_segment_ptr 1
		.amdhsa_user_sgpr_dispatch_id 0
		.amdhsa_user_sgpr_kernarg_preload_length 0
		.amdhsa_user_sgpr_kernarg_preload_offset 0
		.amdhsa_user_sgpr_private_segment_size 0
		.amdhsa_wavefront_size32 1
		.amdhsa_uses_dynamic_stack 0
		.amdhsa_enable_private_segment 0
		.amdhsa_system_sgpr_workgroup_id_x 1
		.amdhsa_system_sgpr_workgroup_id_y 0
		.amdhsa_system_sgpr_workgroup_id_z 0
		.amdhsa_system_sgpr_workgroup_info 0
		.amdhsa_system_vgpr_workitem_id 0
		.amdhsa_next_free_vgpr 1
		.amdhsa_next_free_sgpr 1
		.amdhsa_named_barrier_count 0
		.amdhsa_reserve_vcc 0
		.amdhsa_float_round_mode_32 0
		.amdhsa_float_round_mode_16_64 0
		.amdhsa_float_denorm_mode_32 3
		.amdhsa_float_denorm_mode_16_64 3
		.amdhsa_fp16_overflow 0
		.amdhsa_memory_ordered 1
		.amdhsa_forward_progress 1
		.amdhsa_inst_pref_size 0
		.amdhsa_round_robin_scheduling 0
		.amdhsa_exception_fp_ieee_invalid_op 0
		.amdhsa_exception_fp_denorm_src 0
		.amdhsa_exception_fp_ieee_div_zero 0
		.amdhsa_exception_fp_ieee_overflow 0
		.amdhsa_exception_fp_ieee_underflow 0
		.amdhsa_exception_fp_ieee_inexact 0
		.amdhsa_exception_int_div_zero 0
	.end_amdhsa_kernel
	.section	.text._ZN7rocprim17ROCPRIM_400000_NS6detail17trampoline_kernelINS0_14default_configENS1_38merge_sort_block_merge_config_selectorIlNS0_10empty_typeEEEZZNS1_27merge_sort_block_merge_implIS3_PlPS5_mZN2at6native12_GLOBAL__N_124unique_dim_cuda_templateIN3c104HalfEEESt5tupleIJNSA_6TensorESH_SH_EERKSH_lbbbEUlllE_EE10hipError_tT0_T1_T2_jT3_P12ihipStream_tbPNSt15iterator_traitsISN_E10value_typeEPNST_ISO_E10value_typeEPSP_NS1_7vsmem_tEENKUlT_SN_SO_SP_E_clIS8_S8_S9_S9_EESM_S12_SN_SO_SP_EUlS12_E0_NS1_11comp_targetILNS1_3genE9ELNS1_11target_archE1100ELNS1_3gpuE3ELNS1_3repE0EEENS1_38merge_mergepath_config_static_selectorELNS0_4arch9wavefront6targetE0EEEvSO_,"axG",@progbits,_ZN7rocprim17ROCPRIM_400000_NS6detail17trampoline_kernelINS0_14default_configENS1_38merge_sort_block_merge_config_selectorIlNS0_10empty_typeEEEZZNS1_27merge_sort_block_merge_implIS3_PlPS5_mZN2at6native12_GLOBAL__N_124unique_dim_cuda_templateIN3c104HalfEEESt5tupleIJNSA_6TensorESH_SH_EERKSH_lbbbEUlllE_EE10hipError_tT0_T1_T2_jT3_P12ihipStream_tbPNSt15iterator_traitsISN_E10value_typeEPNST_ISO_E10value_typeEPSP_NS1_7vsmem_tEENKUlT_SN_SO_SP_E_clIS8_S8_S9_S9_EESM_S12_SN_SO_SP_EUlS12_E0_NS1_11comp_targetILNS1_3genE9ELNS1_11target_archE1100ELNS1_3gpuE3ELNS1_3repE0EEENS1_38merge_mergepath_config_static_selectorELNS0_4arch9wavefront6targetE0EEEvSO_,comdat
.Lfunc_end1262:
	.size	_ZN7rocprim17ROCPRIM_400000_NS6detail17trampoline_kernelINS0_14default_configENS1_38merge_sort_block_merge_config_selectorIlNS0_10empty_typeEEEZZNS1_27merge_sort_block_merge_implIS3_PlPS5_mZN2at6native12_GLOBAL__N_124unique_dim_cuda_templateIN3c104HalfEEESt5tupleIJNSA_6TensorESH_SH_EERKSH_lbbbEUlllE_EE10hipError_tT0_T1_T2_jT3_P12ihipStream_tbPNSt15iterator_traitsISN_E10value_typeEPNST_ISO_E10value_typeEPSP_NS1_7vsmem_tEENKUlT_SN_SO_SP_E_clIS8_S8_S9_S9_EESM_S12_SN_SO_SP_EUlS12_E0_NS1_11comp_targetILNS1_3genE9ELNS1_11target_archE1100ELNS1_3gpuE3ELNS1_3repE0EEENS1_38merge_mergepath_config_static_selectorELNS0_4arch9wavefront6targetE0EEEvSO_, .Lfunc_end1262-_ZN7rocprim17ROCPRIM_400000_NS6detail17trampoline_kernelINS0_14default_configENS1_38merge_sort_block_merge_config_selectorIlNS0_10empty_typeEEEZZNS1_27merge_sort_block_merge_implIS3_PlPS5_mZN2at6native12_GLOBAL__N_124unique_dim_cuda_templateIN3c104HalfEEESt5tupleIJNSA_6TensorESH_SH_EERKSH_lbbbEUlllE_EE10hipError_tT0_T1_T2_jT3_P12ihipStream_tbPNSt15iterator_traitsISN_E10value_typeEPNST_ISO_E10value_typeEPSP_NS1_7vsmem_tEENKUlT_SN_SO_SP_E_clIS8_S8_S9_S9_EESM_S12_SN_SO_SP_EUlS12_E0_NS1_11comp_targetILNS1_3genE9ELNS1_11target_archE1100ELNS1_3gpuE3ELNS1_3repE0EEENS1_38merge_mergepath_config_static_selectorELNS0_4arch9wavefront6targetE0EEEvSO_
                                        ; -- End function
	.set _ZN7rocprim17ROCPRIM_400000_NS6detail17trampoline_kernelINS0_14default_configENS1_38merge_sort_block_merge_config_selectorIlNS0_10empty_typeEEEZZNS1_27merge_sort_block_merge_implIS3_PlPS5_mZN2at6native12_GLOBAL__N_124unique_dim_cuda_templateIN3c104HalfEEESt5tupleIJNSA_6TensorESH_SH_EERKSH_lbbbEUlllE_EE10hipError_tT0_T1_T2_jT3_P12ihipStream_tbPNSt15iterator_traitsISN_E10value_typeEPNST_ISO_E10value_typeEPSP_NS1_7vsmem_tEENKUlT_SN_SO_SP_E_clIS8_S8_S9_S9_EESM_S12_SN_SO_SP_EUlS12_E0_NS1_11comp_targetILNS1_3genE9ELNS1_11target_archE1100ELNS1_3gpuE3ELNS1_3repE0EEENS1_38merge_mergepath_config_static_selectorELNS0_4arch9wavefront6targetE0EEEvSO_.num_vgpr, 0
	.set _ZN7rocprim17ROCPRIM_400000_NS6detail17trampoline_kernelINS0_14default_configENS1_38merge_sort_block_merge_config_selectorIlNS0_10empty_typeEEEZZNS1_27merge_sort_block_merge_implIS3_PlPS5_mZN2at6native12_GLOBAL__N_124unique_dim_cuda_templateIN3c104HalfEEESt5tupleIJNSA_6TensorESH_SH_EERKSH_lbbbEUlllE_EE10hipError_tT0_T1_T2_jT3_P12ihipStream_tbPNSt15iterator_traitsISN_E10value_typeEPNST_ISO_E10value_typeEPSP_NS1_7vsmem_tEENKUlT_SN_SO_SP_E_clIS8_S8_S9_S9_EESM_S12_SN_SO_SP_EUlS12_E0_NS1_11comp_targetILNS1_3genE9ELNS1_11target_archE1100ELNS1_3gpuE3ELNS1_3repE0EEENS1_38merge_mergepath_config_static_selectorELNS0_4arch9wavefront6targetE0EEEvSO_.num_agpr, 0
	.set _ZN7rocprim17ROCPRIM_400000_NS6detail17trampoline_kernelINS0_14default_configENS1_38merge_sort_block_merge_config_selectorIlNS0_10empty_typeEEEZZNS1_27merge_sort_block_merge_implIS3_PlPS5_mZN2at6native12_GLOBAL__N_124unique_dim_cuda_templateIN3c104HalfEEESt5tupleIJNSA_6TensorESH_SH_EERKSH_lbbbEUlllE_EE10hipError_tT0_T1_T2_jT3_P12ihipStream_tbPNSt15iterator_traitsISN_E10value_typeEPNST_ISO_E10value_typeEPSP_NS1_7vsmem_tEENKUlT_SN_SO_SP_E_clIS8_S8_S9_S9_EESM_S12_SN_SO_SP_EUlS12_E0_NS1_11comp_targetILNS1_3genE9ELNS1_11target_archE1100ELNS1_3gpuE3ELNS1_3repE0EEENS1_38merge_mergepath_config_static_selectorELNS0_4arch9wavefront6targetE0EEEvSO_.numbered_sgpr, 0
	.set _ZN7rocprim17ROCPRIM_400000_NS6detail17trampoline_kernelINS0_14default_configENS1_38merge_sort_block_merge_config_selectorIlNS0_10empty_typeEEEZZNS1_27merge_sort_block_merge_implIS3_PlPS5_mZN2at6native12_GLOBAL__N_124unique_dim_cuda_templateIN3c104HalfEEESt5tupleIJNSA_6TensorESH_SH_EERKSH_lbbbEUlllE_EE10hipError_tT0_T1_T2_jT3_P12ihipStream_tbPNSt15iterator_traitsISN_E10value_typeEPNST_ISO_E10value_typeEPSP_NS1_7vsmem_tEENKUlT_SN_SO_SP_E_clIS8_S8_S9_S9_EESM_S12_SN_SO_SP_EUlS12_E0_NS1_11comp_targetILNS1_3genE9ELNS1_11target_archE1100ELNS1_3gpuE3ELNS1_3repE0EEENS1_38merge_mergepath_config_static_selectorELNS0_4arch9wavefront6targetE0EEEvSO_.num_named_barrier, 0
	.set _ZN7rocprim17ROCPRIM_400000_NS6detail17trampoline_kernelINS0_14default_configENS1_38merge_sort_block_merge_config_selectorIlNS0_10empty_typeEEEZZNS1_27merge_sort_block_merge_implIS3_PlPS5_mZN2at6native12_GLOBAL__N_124unique_dim_cuda_templateIN3c104HalfEEESt5tupleIJNSA_6TensorESH_SH_EERKSH_lbbbEUlllE_EE10hipError_tT0_T1_T2_jT3_P12ihipStream_tbPNSt15iterator_traitsISN_E10value_typeEPNST_ISO_E10value_typeEPSP_NS1_7vsmem_tEENKUlT_SN_SO_SP_E_clIS8_S8_S9_S9_EESM_S12_SN_SO_SP_EUlS12_E0_NS1_11comp_targetILNS1_3genE9ELNS1_11target_archE1100ELNS1_3gpuE3ELNS1_3repE0EEENS1_38merge_mergepath_config_static_selectorELNS0_4arch9wavefront6targetE0EEEvSO_.private_seg_size, 0
	.set _ZN7rocprim17ROCPRIM_400000_NS6detail17trampoline_kernelINS0_14default_configENS1_38merge_sort_block_merge_config_selectorIlNS0_10empty_typeEEEZZNS1_27merge_sort_block_merge_implIS3_PlPS5_mZN2at6native12_GLOBAL__N_124unique_dim_cuda_templateIN3c104HalfEEESt5tupleIJNSA_6TensorESH_SH_EERKSH_lbbbEUlllE_EE10hipError_tT0_T1_T2_jT3_P12ihipStream_tbPNSt15iterator_traitsISN_E10value_typeEPNST_ISO_E10value_typeEPSP_NS1_7vsmem_tEENKUlT_SN_SO_SP_E_clIS8_S8_S9_S9_EESM_S12_SN_SO_SP_EUlS12_E0_NS1_11comp_targetILNS1_3genE9ELNS1_11target_archE1100ELNS1_3gpuE3ELNS1_3repE0EEENS1_38merge_mergepath_config_static_selectorELNS0_4arch9wavefront6targetE0EEEvSO_.uses_vcc, 0
	.set _ZN7rocprim17ROCPRIM_400000_NS6detail17trampoline_kernelINS0_14default_configENS1_38merge_sort_block_merge_config_selectorIlNS0_10empty_typeEEEZZNS1_27merge_sort_block_merge_implIS3_PlPS5_mZN2at6native12_GLOBAL__N_124unique_dim_cuda_templateIN3c104HalfEEESt5tupleIJNSA_6TensorESH_SH_EERKSH_lbbbEUlllE_EE10hipError_tT0_T1_T2_jT3_P12ihipStream_tbPNSt15iterator_traitsISN_E10value_typeEPNST_ISO_E10value_typeEPSP_NS1_7vsmem_tEENKUlT_SN_SO_SP_E_clIS8_S8_S9_S9_EESM_S12_SN_SO_SP_EUlS12_E0_NS1_11comp_targetILNS1_3genE9ELNS1_11target_archE1100ELNS1_3gpuE3ELNS1_3repE0EEENS1_38merge_mergepath_config_static_selectorELNS0_4arch9wavefront6targetE0EEEvSO_.uses_flat_scratch, 0
	.set _ZN7rocprim17ROCPRIM_400000_NS6detail17trampoline_kernelINS0_14default_configENS1_38merge_sort_block_merge_config_selectorIlNS0_10empty_typeEEEZZNS1_27merge_sort_block_merge_implIS3_PlPS5_mZN2at6native12_GLOBAL__N_124unique_dim_cuda_templateIN3c104HalfEEESt5tupleIJNSA_6TensorESH_SH_EERKSH_lbbbEUlllE_EE10hipError_tT0_T1_T2_jT3_P12ihipStream_tbPNSt15iterator_traitsISN_E10value_typeEPNST_ISO_E10value_typeEPSP_NS1_7vsmem_tEENKUlT_SN_SO_SP_E_clIS8_S8_S9_S9_EESM_S12_SN_SO_SP_EUlS12_E0_NS1_11comp_targetILNS1_3genE9ELNS1_11target_archE1100ELNS1_3gpuE3ELNS1_3repE0EEENS1_38merge_mergepath_config_static_selectorELNS0_4arch9wavefront6targetE0EEEvSO_.has_dyn_sized_stack, 0
	.set _ZN7rocprim17ROCPRIM_400000_NS6detail17trampoline_kernelINS0_14default_configENS1_38merge_sort_block_merge_config_selectorIlNS0_10empty_typeEEEZZNS1_27merge_sort_block_merge_implIS3_PlPS5_mZN2at6native12_GLOBAL__N_124unique_dim_cuda_templateIN3c104HalfEEESt5tupleIJNSA_6TensorESH_SH_EERKSH_lbbbEUlllE_EE10hipError_tT0_T1_T2_jT3_P12ihipStream_tbPNSt15iterator_traitsISN_E10value_typeEPNST_ISO_E10value_typeEPSP_NS1_7vsmem_tEENKUlT_SN_SO_SP_E_clIS8_S8_S9_S9_EESM_S12_SN_SO_SP_EUlS12_E0_NS1_11comp_targetILNS1_3genE9ELNS1_11target_archE1100ELNS1_3gpuE3ELNS1_3repE0EEENS1_38merge_mergepath_config_static_selectorELNS0_4arch9wavefront6targetE0EEEvSO_.has_recursion, 0
	.set _ZN7rocprim17ROCPRIM_400000_NS6detail17trampoline_kernelINS0_14default_configENS1_38merge_sort_block_merge_config_selectorIlNS0_10empty_typeEEEZZNS1_27merge_sort_block_merge_implIS3_PlPS5_mZN2at6native12_GLOBAL__N_124unique_dim_cuda_templateIN3c104HalfEEESt5tupleIJNSA_6TensorESH_SH_EERKSH_lbbbEUlllE_EE10hipError_tT0_T1_T2_jT3_P12ihipStream_tbPNSt15iterator_traitsISN_E10value_typeEPNST_ISO_E10value_typeEPSP_NS1_7vsmem_tEENKUlT_SN_SO_SP_E_clIS8_S8_S9_S9_EESM_S12_SN_SO_SP_EUlS12_E0_NS1_11comp_targetILNS1_3genE9ELNS1_11target_archE1100ELNS1_3gpuE3ELNS1_3repE0EEENS1_38merge_mergepath_config_static_selectorELNS0_4arch9wavefront6targetE0EEEvSO_.has_indirect_call, 0
	.section	.AMDGPU.csdata,"",@progbits
; Kernel info:
; codeLenInByte = 0
; TotalNumSgprs: 0
; NumVgprs: 0
; ScratchSize: 0
; MemoryBound: 0
; FloatMode: 240
; IeeeMode: 1
; LDSByteSize: 0 bytes/workgroup (compile time only)
; SGPRBlocks: 0
; VGPRBlocks: 0
; NumSGPRsForWavesPerEU: 1
; NumVGPRsForWavesPerEU: 1
; NamedBarCnt: 0
; Occupancy: 16
; WaveLimiterHint : 0
; COMPUTE_PGM_RSRC2:SCRATCH_EN: 0
; COMPUTE_PGM_RSRC2:USER_SGPR: 2
; COMPUTE_PGM_RSRC2:TRAP_HANDLER: 0
; COMPUTE_PGM_RSRC2:TGID_X_EN: 1
; COMPUTE_PGM_RSRC2:TGID_Y_EN: 0
; COMPUTE_PGM_RSRC2:TGID_Z_EN: 0
; COMPUTE_PGM_RSRC2:TIDIG_COMP_CNT: 0
	.section	.text._ZN7rocprim17ROCPRIM_400000_NS6detail17trampoline_kernelINS0_14default_configENS1_38merge_sort_block_merge_config_selectorIlNS0_10empty_typeEEEZZNS1_27merge_sort_block_merge_implIS3_PlPS5_mZN2at6native12_GLOBAL__N_124unique_dim_cuda_templateIN3c104HalfEEESt5tupleIJNSA_6TensorESH_SH_EERKSH_lbbbEUlllE_EE10hipError_tT0_T1_T2_jT3_P12ihipStream_tbPNSt15iterator_traitsISN_E10value_typeEPNST_ISO_E10value_typeEPSP_NS1_7vsmem_tEENKUlT_SN_SO_SP_E_clIS8_S8_S9_S9_EESM_S12_SN_SO_SP_EUlS12_E0_NS1_11comp_targetILNS1_3genE8ELNS1_11target_archE1030ELNS1_3gpuE2ELNS1_3repE0EEENS1_38merge_mergepath_config_static_selectorELNS0_4arch9wavefront6targetE0EEEvSO_,"axG",@progbits,_ZN7rocprim17ROCPRIM_400000_NS6detail17trampoline_kernelINS0_14default_configENS1_38merge_sort_block_merge_config_selectorIlNS0_10empty_typeEEEZZNS1_27merge_sort_block_merge_implIS3_PlPS5_mZN2at6native12_GLOBAL__N_124unique_dim_cuda_templateIN3c104HalfEEESt5tupleIJNSA_6TensorESH_SH_EERKSH_lbbbEUlllE_EE10hipError_tT0_T1_T2_jT3_P12ihipStream_tbPNSt15iterator_traitsISN_E10value_typeEPNST_ISO_E10value_typeEPSP_NS1_7vsmem_tEENKUlT_SN_SO_SP_E_clIS8_S8_S9_S9_EESM_S12_SN_SO_SP_EUlS12_E0_NS1_11comp_targetILNS1_3genE8ELNS1_11target_archE1030ELNS1_3gpuE2ELNS1_3repE0EEENS1_38merge_mergepath_config_static_selectorELNS0_4arch9wavefront6targetE0EEEvSO_,comdat
	.globl	_ZN7rocprim17ROCPRIM_400000_NS6detail17trampoline_kernelINS0_14default_configENS1_38merge_sort_block_merge_config_selectorIlNS0_10empty_typeEEEZZNS1_27merge_sort_block_merge_implIS3_PlPS5_mZN2at6native12_GLOBAL__N_124unique_dim_cuda_templateIN3c104HalfEEESt5tupleIJNSA_6TensorESH_SH_EERKSH_lbbbEUlllE_EE10hipError_tT0_T1_T2_jT3_P12ihipStream_tbPNSt15iterator_traitsISN_E10value_typeEPNST_ISO_E10value_typeEPSP_NS1_7vsmem_tEENKUlT_SN_SO_SP_E_clIS8_S8_S9_S9_EESM_S12_SN_SO_SP_EUlS12_E0_NS1_11comp_targetILNS1_3genE8ELNS1_11target_archE1030ELNS1_3gpuE2ELNS1_3repE0EEENS1_38merge_mergepath_config_static_selectorELNS0_4arch9wavefront6targetE0EEEvSO_ ; -- Begin function _ZN7rocprim17ROCPRIM_400000_NS6detail17trampoline_kernelINS0_14default_configENS1_38merge_sort_block_merge_config_selectorIlNS0_10empty_typeEEEZZNS1_27merge_sort_block_merge_implIS3_PlPS5_mZN2at6native12_GLOBAL__N_124unique_dim_cuda_templateIN3c104HalfEEESt5tupleIJNSA_6TensorESH_SH_EERKSH_lbbbEUlllE_EE10hipError_tT0_T1_T2_jT3_P12ihipStream_tbPNSt15iterator_traitsISN_E10value_typeEPNST_ISO_E10value_typeEPSP_NS1_7vsmem_tEENKUlT_SN_SO_SP_E_clIS8_S8_S9_S9_EESM_S12_SN_SO_SP_EUlS12_E0_NS1_11comp_targetILNS1_3genE8ELNS1_11target_archE1030ELNS1_3gpuE2ELNS1_3repE0EEENS1_38merge_mergepath_config_static_selectorELNS0_4arch9wavefront6targetE0EEEvSO_
	.p2align	8
	.type	_ZN7rocprim17ROCPRIM_400000_NS6detail17trampoline_kernelINS0_14default_configENS1_38merge_sort_block_merge_config_selectorIlNS0_10empty_typeEEEZZNS1_27merge_sort_block_merge_implIS3_PlPS5_mZN2at6native12_GLOBAL__N_124unique_dim_cuda_templateIN3c104HalfEEESt5tupleIJNSA_6TensorESH_SH_EERKSH_lbbbEUlllE_EE10hipError_tT0_T1_T2_jT3_P12ihipStream_tbPNSt15iterator_traitsISN_E10value_typeEPNST_ISO_E10value_typeEPSP_NS1_7vsmem_tEENKUlT_SN_SO_SP_E_clIS8_S8_S9_S9_EESM_S12_SN_SO_SP_EUlS12_E0_NS1_11comp_targetILNS1_3genE8ELNS1_11target_archE1030ELNS1_3gpuE2ELNS1_3repE0EEENS1_38merge_mergepath_config_static_selectorELNS0_4arch9wavefront6targetE0EEEvSO_,@function
_ZN7rocprim17ROCPRIM_400000_NS6detail17trampoline_kernelINS0_14default_configENS1_38merge_sort_block_merge_config_selectorIlNS0_10empty_typeEEEZZNS1_27merge_sort_block_merge_implIS3_PlPS5_mZN2at6native12_GLOBAL__N_124unique_dim_cuda_templateIN3c104HalfEEESt5tupleIJNSA_6TensorESH_SH_EERKSH_lbbbEUlllE_EE10hipError_tT0_T1_T2_jT3_P12ihipStream_tbPNSt15iterator_traitsISN_E10value_typeEPNST_ISO_E10value_typeEPSP_NS1_7vsmem_tEENKUlT_SN_SO_SP_E_clIS8_S8_S9_S9_EESM_S12_SN_SO_SP_EUlS12_E0_NS1_11comp_targetILNS1_3genE8ELNS1_11target_archE1030ELNS1_3gpuE2ELNS1_3repE0EEENS1_38merge_mergepath_config_static_selectorELNS0_4arch9wavefront6targetE0EEEvSO_: ; @_ZN7rocprim17ROCPRIM_400000_NS6detail17trampoline_kernelINS0_14default_configENS1_38merge_sort_block_merge_config_selectorIlNS0_10empty_typeEEEZZNS1_27merge_sort_block_merge_implIS3_PlPS5_mZN2at6native12_GLOBAL__N_124unique_dim_cuda_templateIN3c104HalfEEESt5tupleIJNSA_6TensorESH_SH_EERKSH_lbbbEUlllE_EE10hipError_tT0_T1_T2_jT3_P12ihipStream_tbPNSt15iterator_traitsISN_E10value_typeEPNST_ISO_E10value_typeEPSP_NS1_7vsmem_tEENKUlT_SN_SO_SP_E_clIS8_S8_S9_S9_EESM_S12_SN_SO_SP_EUlS12_E0_NS1_11comp_targetILNS1_3genE8ELNS1_11target_archE1030ELNS1_3gpuE2ELNS1_3repE0EEENS1_38merge_mergepath_config_static_selectorELNS0_4arch9wavefront6targetE0EEEvSO_
; %bb.0:
	.section	.rodata,"a",@progbits
	.p2align	6, 0x0
	.amdhsa_kernel _ZN7rocprim17ROCPRIM_400000_NS6detail17trampoline_kernelINS0_14default_configENS1_38merge_sort_block_merge_config_selectorIlNS0_10empty_typeEEEZZNS1_27merge_sort_block_merge_implIS3_PlPS5_mZN2at6native12_GLOBAL__N_124unique_dim_cuda_templateIN3c104HalfEEESt5tupleIJNSA_6TensorESH_SH_EERKSH_lbbbEUlllE_EE10hipError_tT0_T1_T2_jT3_P12ihipStream_tbPNSt15iterator_traitsISN_E10value_typeEPNST_ISO_E10value_typeEPSP_NS1_7vsmem_tEENKUlT_SN_SO_SP_E_clIS8_S8_S9_S9_EESM_S12_SN_SO_SP_EUlS12_E0_NS1_11comp_targetILNS1_3genE8ELNS1_11target_archE1030ELNS1_3gpuE2ELNS1_3repE0EEENS1_38merge_mergepath_config_static_selectorELNS0_4arch9wavefront6targetE0EEEvSO_
		.amdhsa_group_segment_fixed_size 0
		.amdhsa_private_segment_fixed_size 0
		.amdhsa_kernarg_size 88
		.amdhsa_user_sgpr_count 2
		.amdhsa_user_sgpr_dispatch_ptr 0
		.amdhsa_user_sgpr_queue_ptr 0
		.amdhsa_user_sgpr_kernarg_segment_ptr 1
		.amdhsa_user_sgpr_dispatch_id 0
		.amdhsa_user_sgpr_kernarg_preload_length 0
		.amdhsa_user_sgpr_kernarg_preload_offset 0
		.amdhsa_user_sgpr_private_segment_size 0
		.amdhsa_wavefront_size32 1
		.amdhsa_uses_dynamic_stack 0
		.amdhsa_enable_private_segment 0
		.amdhsa_system_sgpr_workgroup_id_x 1
		.amdhsa_system_sgpr_workgroup_id_y 0
		.amdhsa_system_sgpr_workgroup_id_z 0
		.amdhsa_system_sgpr_workgroup_info 0
		.amdhsa_system_vgpr_workitem_id 0
		.amdhsa_next_free_vgpr 1
		.amdhsa_next_free_sgpr 1
		.amdhsa_named_barrier_count 0
		.amdhsa_reserve_vcc 0
		.amdhsa_float_round_mode_32 0
		.amdhsa_float_round_mode_16_64 0
		.amdhsa_float_denorm_mode_32 3
		.amdhsa_float_denorm_mode_16_64 3
		.amdhsa_fp16_overflow 0
		.amdhsa_memory_ordered 1
		.amdhsa_forward_progress 1
		.amdhsa_inst_pref_size 0
		.amdhsa_round_robin_scheduling 0
		.amdhsa_exception_fp_ieee_invalid_op 0
		.amdhsa_exception_fp_denorm_src 0
		.amdhsa_exception_fp_ieee_div_zero 0
		.amdhsa_exception_fp_ieee_overflow 0
		.amdhsa_exception_fp_ieee_underflow 0
		.amdhsa_exception_fp_ieee_inexact 0
		.amdhsa_exception_int_div_zero 0
	.end_amdhsa_kernel
	.section	.text._ZN7rocprim17ROCPRIM_400000_NS6detail17trampoline_kernelINS0_14default_configENS1_38merge_sort_block_merge_config_selectorIlNS0_10empty_typeEEEZZNS1_27merge_sort_block_merge_implIS3_PlPS5_mZN2at6native12_GLOBAL__N_124unique_dim_cuda_templateIN3c104HalfEEESt5tupleIJNSA_6TensorESH_SH_EERKSH_lbbbEUlllE_EE10hipError_tT0_T1_T2_jT3_P12ihipStream_tbPNSt15iterator_traitsISN_E10value_typeEPNST_ISO_E10value_typeEPSP_NS1_7vsmem_tEENKUlT_SN_SO_SP_E_clIS8_S8_S9_S9_EESM_S12_SN_SO_SP_EUlS12_E0_NS1_11comp_targetILNS1_3genE8ELNS1_11target_archE1030ELNS1_3gpuE2ELNS1_3repE0EEENS1_38merge_mergepath_config_static_selectorELNS0_4arch9wavefront6targetE0EEEvSO_,"axG",@progbits,_ZN7rocprim17ROCPRIM_400000_NS6detail17trampoline_kernelINS0_14default_configENS1_38merge_sort_block_merge_config_selectorIlNS0_10empty_typeEEEZZNS1_27merge_sort_block_merge_implIS3_PlPS5_mZN2at6native12_GLOBAL__N_124unique_dim_cuda_templateIN3c104HalfEEESt5tupleIJNSA_6TensorESH_SH_EERKSH_lbbbEUlllE_EE10hipError_tT0_T1_T2_jT3_P12ihipStream_tbPNSt15iterator_traitsISN_E10value_typeEPNST_ISO_E10value_typeEPSP_NS1_7vsmem_tEENKUlT_SN_SO_SP_E_clIS8_S8_S9_S9_EESM_S12_SN_SO_SP_EUlS12_E0_NS1_11comp_targetILNS1_3genE8ELNS1_11target_archE1030ELNS1_3gpuE2ELNS1_3repE0EEENS1_38merge_mergepath_config_static_selectorELNS0_4arch9wavefront6targetE0EEEvSO_,comdat
.Lfunc_end1263:
	.size	_ZN7rocprim17ROCPRIM_400000_NS6detail17trampoline_kernelINS0_14default_configENS1_38merge_sort_block_merge_config_selectorIlNS0_10empty_typeEEEZZNS1_27merge_sort_block_merge_implIS3_PlPS5_mZN2at6native12_GLOBAL__N_124unique_dim_cuda_templateIN3c104HalfEEESt5tupleIJNSA_6TensorESH_SH_EERKSH_lbbbEUlllE_EE10hipError_tT0_T1_T2_jT3_P12ihipStream_tbPNSt15iterator_traitsISN_E10value_typeEPNST_ISO_E10value_typeEPSP_NS1_7vsmem_tEENKUlT_SN_SO_SP_E_clIS8_S8_S9_S9_EESM_S12_SN_SO_SP_EUlS12_E0_NS1_11comp_targetILNS1_3genE8ELNS1_11target_archE1030ELNS1_3gpuE2ELNS1_3repE0EEENS1_38merge_mergepath_config_static_selectorELNS0_4arch9wavefront6targetE0EEEvSO_, .Lfunc_end1263-_ZN7rocprim17ROCPRIM_400000_NS6detail17trampoline_kernelINS0_14default_configENS1_38merge_sort_block_merge_config_selectorIlNS0_10empty_typeEEEZZNS1_27merge_sort_block_merge_implIS3_PlPS5_mZN2at6native12_GLOBAL__N_124unique_dim_cuda_templateIN3c104HalfEEESt5tupleIJNSA_6TensorESH_SH_EERKSH_lbbbEUlllE_EE10hipError_tT0_T1_T2_jT3_P12ihipStream_tbPNSt15iterator_traitsISN_E10value_typeEPNST_ISO_E10value_typeEPSP_NS1_7vsmem_tEENKUlT_SN_SO_SP_E_clIS8_S8_S9_S9_EESM_S12_SN_SO_SP_EUlS12_E0_NS1_11comp_targetILNS1_3genE8ELNS1_11target_archE1030ELNS1_3gpuE2ELNS1_3repE0EEENS1_38merge_mergepath_config_static_selectorELNS0_4arch9wavefront6targetE0EEEvSO_
                                        ; -- End function
	.set _ZN7rocprim17ROCPRIM_400000_NS6detail17trampoline_kernelINS0_14default_configENS1_38merge_sort_block_merge_config_selectorIlNS0_10empty_typeEEEZZNS1_27merge_sort_block_merge_implIS3_PlPS5_mZN2at6native12_GLOBAL__N_124unique_dim_cuda_templateIN3c104HalfEEESt5tupleIJNSA_6TensorESH_SH_EERKSH_lbbbEUlllE_EE10hipError_tT0_T1_T2_jT3_P12ihipStream_tbPNSt15iterator_traitsISN_E10value_typeEPNST_ISO_E10value_typeEPSP_NS1_7vsmem_tEENKUlT_SN_SO_SP_E_clIS8_S8_S9_S9_EESM_S12_SN_SO_SP_EUlS12_E0_NS1_11comp_targetILNS1_3genE8ELNS1_11target_archE1030ELNS1_3gpuE2ELNS1_3repE0EEENS1_38merge_mergepath_config_static_selectorELNS0_4arch9wavefront6targetE0EEEvSO_.num_vgpr, 0
	.set _ZN7rocprim17ROCPRIM_400000_NS6detail17trampoline_kernelINS0_14default_configENS1_38merge_sort_block_merge_config_selectorIlNS0_10empty_typeEEEZZNS1_27merge_sort_block_merge_implIS3_PlPS5_mZN2at6native12_GLOBAL__N_124unique_dim_cuda_templateIN3c104HalfEEESt5tupleIJNSA_6TensorESH_SH_EERKSH_lbbbEUlllE_EE10hipError_tT0_T1_T2_jT3_P12ihipStream_tbPNSt15iterator_traitsISN_E10value_typeEPNST_ISO_E10value_typeEPSP_NS1_7vsmem_tEENKUlT_SN_SO_SP_E_clIS8_S8_S9_S9_EESM_S12_SN_SO_SP_EUlS12_E0_NS1_11comp_targetILNS1_3genE8ELNS1_11target_archE1030ELNS1_3gpuE2ELNS1_3repE0EEENS1_38merge_mergepath_config_static_selectorELNS0_4arch9wavefront6targetE0EEEvSO_.num_agpr, 0
	.set _ZN7rocprim17ROCPRIM_400000_NS6detail17trampoline_kernelINS0_14default_configENS1_38merge_sort_block_merge_config_selectorIlNS0_10empty_typeEEEZZNS1_27merge_sort_block_merge_implIS3_PlPS5_mZN2at6native12_GLOBAL__N_124unique_dim_cuda_templateIN3c104HalfEEESt5tupleIJNSA_6TensorESH_SH_EERKSH_lbbbEUlllE_EE10hipError_tT0_T1_T2_jT3_P12ihipStream_tbPNSt15iterator_traitsISN_E10value_typeEPNST_ISO_E10value_typeEPSP_NS1_7vsmem_tEENKUlT_SN_SO_SP_E_clIS8_S8_S9_S9_EESM_S12_SN_SO_SP_EUlS12_E0_NS1_11comp_targetILNS1_3genE8ELNS1_11target_archE1030ELNS1_3gpuE2ELNS1_3repE0EEENS1_38merge_mergepath_config_static_selectorELNS0_4arch9wavefront6targetE0EEEvSO_.numbered_sgpr, 0
	.set _ZN7rocprim17ROCPRIM_400000_NS6detail17trampoline_kernelINS0_14default_configENS1_38merge_sort_block_merge_config_selectorIlNS0_10empty_typeEEEZZNS1_27merge_sort_block_merge_implIS3_PlPS5_mZN2at6native12_GLOBAL__N_124unique_dim_cuda_templateIN3c104HalfEEESt5tupleIJNSA_6TensorESH_SH_EERKSH_lbbbEUlllE_EE10hipError_tT0_T1_T2_jT3_P12ihipStream_tbPNSt15iterator_traitsISN_E10value_typeEPNST_ISO_E10value_typeEPSP_NS1_7vsmem_tEENKUlT_SN_SO_SP_E_clIS8_S8_S9_S9_EESM_S12_SN_SO_SP_EUlS12_E0_NS1_11comp_targetILNS1_3genE8ELNS1_11target_archE1030ELNS1_3gpuE2ELNS1_3repE0EEENS1_38merge_mergepath_config_static_selectorELNS0_4arch9wavefront6targetE0EEEvSO_.num_named_barrier, 0
	.set _ZN7rocprim17ROCPRIM_400000_NS6detail17trampoline_kernelINS0_14default_configENS1_38merge_sort_block_merge_config_selectorIlNS0_10empty_typeEEEZZNS1_27merge_sort_block_merge_implIS3_PlPS5_mZN2at6native12_GLOBAL__N_124unique_dim_cuda_templateIN3c104HalfEEESt5tupleIJNSA_6TensorESH_SH_EERKSH_lbbbEUlllE_EE10hipError_tT0_T1_T2_jT3_P12ihipStream_tbPNSt15iterator_traitsISN_E10value_typeEPNST_ISO_E10value_typeEPSP_NS1_7vsmem_tEENKUlT_SN_SO_SP_E_clIS8_S8_S9_S9_EESM_S12_SN_SO_SP_EUlS12_E0_NS1_11comp_targetILNS1_3genE8ELNS1_11target_archE1030ELNS1_3gpuE2ELNS1_3repE0EEENS1_38merge_mergepath_config_static_selectorELNS0_4arch9wavefront6targetE0EEEvSO_.private_seg_size, 0
	.set _ZN7rocprim17ROCPRIM_400000_NS6detail17trampoline_kernelINS0_14default_configENS1_38merge_sort_block_merge_config_selectorIlNS0_10empty_typeEEEZZNS1_27merge_sort_block_merge_implIS3_PlPS5_mZN2at6native12_GLOBAL__N_124unique_dim_cuda_templateIN3c104HalfEEESt5tupleIJNSA_6TensorESH_SH_EERKSH_lbbbEUlllE_EE10hipError_tT0_T1_T2_jT3_P12ihipStream_tbPNSt15iterator_traitsISN_E10value_typeEPNST_ISO_E10value_typeEPSP_NS1_7vsmem_tEENKUlT_SN_SO_SP_E_clIS8_S8_S9_S9_EESM_S12_SN_SO_SP_EUlS12_E0_NS1_11comp_targetILNS1_3genE8ELNS1_11target_archE1030ELNS1_3gpuE2ELNS1_3repE0EEENS1_38merge_mergepath_config_static_selectorELNS0_4arch9wavefront6targetE0EEEvSO_.uses_vcc, 0
	.set _ZN7rocprim17ROCPRIM_400000_NS6detail17trampoline_kernelINS0_14default_configENS1_38merge_sort_block_merge_config_selectorIlNS0_10empty_typeEEEZZNS1_27merge_sort_block_merge_implIS3_PlPS5_mZN2at6native12_GLOBAL__N_124unique_dim_cuda_templateIN3c104HalfEEESt5tupleIJNSA_6TensorESH_SH_EERKSH_lbbbEUlllE_EE10hipError_tT0_T1_T2_jT3_P12ihipStream_tbPNSt15iterator_traitsISN_E10value_typeEPNST_ISO_E10value_typeEPSP_NS1_7vsmem_tEENKUlT_SN_SO_SP_E_clIS8_S8_S9_S9_EESM_S12_SN_SO_SP_EUlS12_E0_NS1_11comp_targetILNS1_3genE8ELNS1_11target_archE1030ELNS1_3gpuE2ELNS1_3repE0EEENS1_38merge_mergepath_config_static_selectorELNS0_4arch9wavefront6targetE0EEEvSO_.uses_flat_scratch, 0
	.set _ZN7rocprim17ROCPRIM_400000_NS6detail17trampoline_kernelINS0_14default_configENS1_38merge_sort_block_merge_config_selectorIlNS0_10empty_typeEEEZZNS1_27merge_sort_block_merge_implIS3_PlPS5_mZN2at6native12_GLOBAL__N_124unique_dim_cuda_templateIN3c104HalfEEESt5tupleIJNSA_6TensorESH_SH_EERKSH_lbbbEUlllE_EE10hipError_tT0_T1_T2_jT3_P12ihipStream_tbPNSt15iterator_traitsISN_E10value_typeEPNST_ISO_E10value_typeEPSP_NS1_7vsmem_tEENKUlT_SN_SO_SP_E_clIS8_S8_S9_S9_EESM_S12_SN_SO_SP_EUlS12_E0_NS1_11comp_targetILNS1_3genE8ELNS1_11target_archE1030ELNS1_3gpuE2ELNS1_3repE0EEENS1_38merge_mergepath_config_static_selectorELNS0_4arch9wavefront6targetE0EEEvSO_.has_dyn_sized_stack, 0
	.set _ZN7rocprim17ROCPRIM_400000_NS6detail17trampoline_kernelINS0_14default_configENS1_38merge_sort_block_merge_config_selectorIlNS0_10empty_typeEEEZZNS1_27merge_sort_block_merge_implIS3_PlPS5_mZN2at6native12_GLOBAL__N_124unique_dim_cuda_templateIN3c104HalfEEESt5tupleIJNSA_6TensorESH_SH_EERKSH_lbbbEUlllE_EE10hipError_tT0_T1_T2_jT3_P12ihipStream_tbPNSt15iterator_traitsISN_E10value_typeEPNST_ISO_E10value_typeEPSP_NS1_7vsmem_tEENKUlT_SN_SO_SP_E_clIS8_S8_S9_S9_EESM_S12_SN_SO_SP_EUlS12_E0_NS1_11comp_targetILNS1_3genE8ELNS1_11target_archE1030ELNS1_3gpuE2ELNS1_3repE0EEENS1_38merge_mergepath_config_static_selectorELNS0_4arch9wavefront6targetE0EEEvSO_.has_recursion, 0
	.set _ZN7rocprim17ROCPRIM_400000_NS6detail17trampoline_kernelINS0_14default_configENS1_38merge_sort_block_merge_config_selectorIlNS0_10empty_typeEEEZZNS1_27merge_sort_block_merge_implIS3_PlPS5_mZN2at6native12_GLOBAL__N_124unique_dim_cuda_templateIN3c104HalfEEESt5tupleIJNSA_6TensorESH_SH_EERKSH_lbbbEUlllE_EE10hipError_tT0_T1_T2_jT3_P12ihipStream_tbPNSt15iterator_traitsISN_E10value_typeEPNST_ISO_E10value_typeEPSP_NS1_7vsmem_tEENKUlT_SN_SO_SP_E_clIS8_S8_S9_S9_EESM_S12_SN_SO_SP_EUlS12_E0_NS1_11comp_targetILNS1_3genE8ELNS1_11target_archE1030ELNS1_3gpuE2ELNS1_3repE0EEENS1_38merge_mergepath_config_static_selectorELNS0_4arch9wavefront6targetE0EEEvSO_.has_indirect_call, 0
	.section	.AMDGPU.csdata,"",@progbits
; Kernel info:
; codeLenInByte = 0
; TotalNumSgprs: 0
; NumVgprs: 0
; ScratchSize: 0
; MemoryBound: 0
; FloatMode: 240
; IeeeMode: 1
; LDSByteSize: 0 bytes/workgroup (compile time only)
; SGPRBlocks: 0
; VGPRBlocks: 0
; NumSGPRsForWavesPerEU: 1
; NumVGPRsForWavesPerEU: 1
; NamedBarCnt: 0
; Occupancy: 16
; WaveLimiterHint : 0
; COMPUTE_PGM_RSRC2:SCRATCH_EN: 0
; COMPUTE_PGM_RSRC2:USER_SGPR: 2
; COMPUTE_PGM_RSRC2:TRAP_HANDLER: 0
; COMPUTE_PGM_RSRC2:TGID_X_EN: 1
; COMPUTE_PGM_RSRC2:TGID_Y_EN: 0
; COMPUTE_PGM_RSRC2:TGID_Z_EN: 0
; COMPUTE_PGM_RSRC2:TIDIG_COMP_CNT: 0
	.section	.text._ZN7rocprim17ROCPRIM_400000_NS6detail17trampoline_kernelINS0_14default_configENS1_38merge_sort_block_merge_config_selectorIlNS0_10empty_typeEEEZZNS1_27merge_sort_block_merge_implIS3_PlPS5_mZN2at6native12_GLOBAL__N_124unique_dim_cuda_templateIN3c104HalfEEESt5tupleIJNSA_6TensorESH_SH_EERKSH_lbbbEUlllE_EE10hipError_tT0_T1_T2_jT3_P12ihipStream_tbPNSt15iterator_traitsISN_E10value_typeEPNST_ISO_E10value_typeEPSP_NS1_7vsmem_tEENKUlT_SN_SO_SP_E_clIS8_S8_S9_S9_EESM_S12_SN_SO_SP_EUlS12_E1_NS1_11comp_targetILNS1_3genE0ELNS1_11target_archE4294967295ELNS1_3gpuE0ELNS1_3repE0EEENS1_36merge_oddeven_config_static_selectorELNS0_4arch9wavefront6targetE0EEEvSO_,"axG",@progbits,_ZN7rocprim17ROCPRIM_400000_NS6detail17trampoline_kernelINS0_14default_configENS1_38merge_sort_block_merge_config_selectorIlNS0_10empty_typeEEEZZNS1_27merge_sort_block_merge_implIS3_PlPS5_mZN2at6native12_GLOBAL__N_124unique_dim_cuda_templateIN3c104HalfEEESt5tupleIJNSA_6TensorESH_SH_EERKSH_lbbbEUlllE_EE10hipError_tT0_T1_T2_jT3_P12ihipStream_tbPNSt15iterator_traitsISN_E10value_typeEPNST_ISO_E10value_typeEPSP_NS1_7vsmem_tEENKUlT_SN_SO_SP_E_clIS8_S8_S9_S9_EESM_S12_SN_SO_SP_EUlS12_E1_NS1_11comp_targetILNS1_3genE0ELNS1_11target_archE4294967295ELNS1_3gpuE0ELNS1_3repE0EEENS1_36merge_oddeven_config_static_selectorELNS0_4arch9wavefront6targetE0EEEvSO_,comdat
	.globl	_ZN7rocprim17ROCPRIM_400000_NS6detail17trampoline_kernelINS0_14default_configENS1_38merge_sort_block_merge_config_selectorIlNS0_10empty_typeEEEZZNS1_27merge_sort_block_merge_implIS3_PlPS5_mZN2at6native12_GLOBAL__N_124unique_dim_cuda_templateIN3c104HalfEEESt5tupleIJNSA_6TensorESH_SH_EERKSH_lbbbEUlllE_EE10hipError_tT0_T1_T2_jT3_P12ihipStream_tbPNSt15iterator_traitsISN_E10value_typeEPNST_ISO_E10value_typeEPSP_NS1_7vsmem_tEENKUlT_SN_SO_SP_E_clIS8_S8_S9_S9_EESM_S12_SN_SO_SP_EUlS12_E1_NS1_11comp_targetILNS1_3genE0ELNS1_11target_archE4294967295ELNS1_3gpuE0ELNS1_3repE0EEENS1_36merge_oddeven_config_static_selectorELNS0_4arch9wavefront6targetE0EEEvSO_ ; -- Begin function _ZN7rocprim17ROCPRIM_400000_NS6detail17trampoline_kernelINS0_14default_configENS1_38merge_sort_block_merge_config_selectorIlNS0_10empty_typeEEEZZNS1_27merge_sort_block_merge_implIS3_PlPS5_mZN2at6native12_GLOBAL__N_124unique_dim_cuda_templateIN3c104HalfEEESt5tupleIJNSA_6TensorESH_SH_EERKSH_lbbbEUlllE_EE10hipError_tT0_T1_T2_jT3_P12ihipStream_tbPNSt15iterator_traitsISN_E10value_typeEPNST_ISO_E10value_typeEPSP_NS1_7vsmem_tEENKUlT_SN_SO_SP_E_clIS8_S8_S9_S9_EESM_S12_SN_SO_SP_EUlS12_E1_NS1_11comp_targetILNS1_3genE0ELNS1_11target_archE4294967295ELNS1_3gpuE0ELNS1_3repE0EEENS1_36merge_oddeven_config_static_selectorELNS0_4arch9wavefront6targetE0EEEvSO_
	.p2align	8
	.type	_ZN7rocprim17ROCPRIM_400000_NS6detail17trampoline_kernelINS0_14default_configENS1_38merge_sort_block_merge_config_selectorIlNS0_10empty_typeEEEZZNS1_27merge_sort_block_merge_implIS3_PlPS5_mZN2at6native12_GLOBAL__N_124unique_dim_cuda_templateIN3c104HalfEEESt5tupleIJNSA_6TensorESH_SH_EERKSH_lbbbEUlllE_EE10hipError_tT0_T1_T2_jT3_P12ihipStream_tbPNSt15iterator_traitsISN_E10value_typeEPNST_ISO_E10value_typeEPSP_NS1_7vsmem_tEENKUlT_SN_SO_SP_E_clIS8_S8_S9_S9_EESM_S12_SN_SO_SP_EUlS12_E1_NS1_11comp_targetILNS1_3genE0ELNS1_11target_archE4294967295ELNS1_3gpuE0ELNS1_3repE0EEENS1_36merge_oddeven_config_static_selectorELNS0_4arch9wavefront6targetE0EEEvSO_,@function
_ZN7rocprim17ROCPRIM_400000_NS6detail17trampoline_kernelINS0_14default_configENS1_38merge_sort_block_merge_config_selectorIlNS0_10empty_typeEEEZZNS1_27merge_sort_block_merge_implIS3_PlPS5_mZN2at6native12_GLOBAL__N_124unique_dim_cuda_templateIN3c104HalfEEESt5tupleIJNSA_6TensorESH_SH_EERKSH_lbbbEUlllE_EE10hipError_tT0_T1_T2_jT3_P12ihipStream_tbPNSt15iterator_traitsISN_E10value_typeEPNST_ISO_E10value_typeEPSP_NS1_7vsmem_tEENKUlT_SN_SO_SP_E_clIS8_S8_S9_S9_EESM_S12_SN_SO_SP_EUlS12_E1_NS1_11comp_targetILNS1_3genE0ELNS1_11target_archE4294967295ELNS1_3gpuE0ELNS1_3repE0EEENS1_36merge_oddeven_config_static_selectorELNS0_4arch9wavefront6targetE0EEEvSO_: ; @_ZN7rocprim17ROCPRIM_400000_NS6detail17trampoline_kernelINS0_14default_configENS1_38merge_sort_block_merge_config_selectorIlNS0_10empty_typeEEEZZNS1_27merge_sort_block_merge_implIS3_PlPS5_mZN2at6native12_GLOBAL__N_124unique_dim_cuda_templateIN3c104HalfEEESt5tupleIJNSA_6TensorESH_SH_EERKSH_lbbbEUlllE_EE10hipError_tT0_T1_T2_jT3_P12ihipStream_tbPNSt15iterator_traitsISN_E10value_typeEPNST_ISO_E10value_typeEPSP_NS1_7vsmem_tEENKUlT_SN_SO_SP_E_clIS8_S8_S9_S9_EESM_S12_SN_SO_SP_EUlS12_E1_NS1_11comp_targetILNS1_3genE0ELNS1_11target_archE4294967295ELNS1_3gpuE0ELNS1_3repE0EEENS1_36merge_oddeven_config_static_selectorELNS0_4arch9wavefront6targetE0EEEvSO_
; %bb.0:
	s_load_b32 s3, s[0:1], 0x20
	s_bfe_u32 s2, ttmp6, 0x4000c
	s_and_b32 s4, ttmp6, 15
	s_add_co_i32 s2, s2, 1
	s_getreg_b32 s5, hwreg(HW_REG_IB_STS2, 6, 4)
	s_mul_i32 s2, ttmp9, s2
	s_mov_b32 s13, 0
	s_add_co_i32 s4, s4, s2
	s_cmp_eq_u32 s5, 0
	s_cselect_b32 s9, ttmp9, s4
	s_wait_kmcnt 0x0
	s_lshr_b32 s2, s3, 8
	s_delay_alu instid0(SALU_CYCLE_1) | instskip(SKIP_4) | instid1(SALU_CYCLE_1)
	s_cmp_lg_u32 s9, s2
	s_cselect_b32 s8, -1, 0
	s_cmp_eq_u32 s9, s2
	s_cselect_b32 s17, -1, 0
	s_lshl_b32 s12, s9, 8
	s_sub_co_i32 s2, s3, s12
	s_delay_alu instid0(SALU_CYCLE_1) | instskip(SKIP_1) | instid1(SALU_CYCLE_1)
	v_cmp_gt_u32_e64 s2, s2, v0
	s_or_b32 s4, s8, s2
	s_and_saveexec_b32 s5, s4
	s_cbranch_execz .LBB1264_62
; %bb.1:
	s_clause 0x1
	s_load_b128 s[4:7], s[0:1], 0x0
	s_load_b32 s18, s[0:1], 0x28
	s_lshl_b64 s[10:11], s[12:13], 3
	s_wait_kmcnt 0x0
	s_add_nc_u64 s[10:11], s[4:5], s[10:11]
	global_load_b64 v[2:3], v0, s[10:11] scale_offset
	s_wait_xcnt 0x0
	s_lshr_b32 s10, s18, 8
	s_delay_alu instid0(SALU_CYCLE_1) | instskip(NEXT) | instid1(SALU_CYCLE_1)
	s_sub_co_i32 s11, 0, s10
	s_and_b32 s9, s9, s11
	s_delay_alu instid0(SALU_CYCLE_1) | instskip(NEXT) | instid1(SALU_CYCLE_1)
	s_and_b32 s10, s9, s10
	s_cmp_lg_u32 s10, 0
	s_cselect_b32 s14, -1, 0
	s_lshl_b32 s19, s9, 8
	s_sub_co_i32 s9, 0, s18
	s_cmp_eq_u32 s10, 0
	s_cselect_b32 s15, s18, s9
	s_delay_alu instid0(SALU_CYCLE_1) | instskip(NEXT) | instid1(SALU_CYCLE_1)
	s_add_co_i32 s15, s15, s19
	s_cmp_lt_u32 s15, s3
	s_cbranch_scc1 .LBB1264_3
; %bb.2:
	v_add_nc_u32_e32 v1, s12, v0
	s_delay_alu instid0(VALU_DEP_1) | instskip(SKIP_1) | instid1(SALU_CYCLE_1)
	v_cmp_gt_u32_e32 vcc_lo, s3, v1
	s_or_b32 s9, vcc_lo, s8
	s_and_b32 s13, s9, exec_lo
	s_cbranch_execz .LBB1264_4
	s_branch .LBB1264_60
.LBB1264_3:
                                        ; implicit-def: $vgpr1
.LBB1264_4:
	s_load_b128 s[8:11], s[0:1], 0x30
	v_add_nc_u32_e32 v0, s12, v0
	s_min_u32 s16, s15, s3
	s_and_b32 vcc_lo, exec_lo, s17
	s_wait_xcnt 0x0
	s_add_co_i32 s0, s19, s16
	s_min_u32 s1, s19, s16
	v_subrev_nc_u32_e32 v0, s0, v0
	s_add_co_i32 s0, s16, s18
	s_delay_alu instid0(SALU_CYCLE_1) | instskip(NEXT) | instid1(VALU_DEP_1)
	s_min_u32 s17, s0, s3
	v_add_nc_u32_e32 v10, s1, v0
	s_wait_kmcnt 0x0
	v_cmp_gt_i64_e64 s12, s[8:9], 0
	s_cbranch_vccz .LBB1264_30
; %bb.5:
                                        ; implicit-def: $vgpr1
	s_and_saveexec_b32 s18, s2
	s_cbranch_execz .LBB1264_33
; %bb.6:
	v_mov_b32_e32 v11, s16
	s_cmp_ge_u32 s15, s17
	s_cbranch_scc1 .LBB1264_32
; %bb.7:
	s_wait_loadcnt 0x0
	v_mul_u64_e32 v[0:1], s[8:9], v[2:3]
	v_dual_mov_b32 v12, s17 :: v_dual_mov_b32 v11, s16
	s_lshl_b64 s[0:1], s[8:9], 1
	s_mov_b32 s19, 0
	s_delay_alu instid0(VALU_DEP_2)
	v_lshl_add_u64 v[0:1], v[0:1], 1, s[10:11]
	s_branch .LBB1264_10
.LBB1264_8:                             ;   in Loop: Header=BB1264_10 Depth=1
	s_or_b32 exec_lo, exec_lo, s21
.LBB1264_9:                             ;   in Loop: Header=BB1264_10 Depth=1
	s_wait_loadcnt 0x0
	v_dual_add_nc_u32 v4, 1, v13 :: v_dual_cndmask_b32 v12, v13, v12, s20
	s_delay_alu instid0(VALU_DEP_1) | instskip(NEXT) | instid1(VALU_DEP_1)
	v_cndmask_b32_e64 v11, v11, v4, s20
	v_cmp_ge_u32_e32 vcc_lo, v11, v12
	s_or_b32 s19, vcc_lo, s19
	s_delay_alu instid0(SALU_CYCLE_1)
	s_and_not1_b32 exec_lo, exec_lo, s19
	s_cbranch_execz .LBB1264_31
.LBB1264_10:                            ; =>This Loop Header: Depth=1
                                        ;     Child Loop BB1264_14 Depth 2
                                        ;     Child Loop BB1264_25 Depth 2
	v_add_nc_u32_e32 v4, v11, v12
	s_and_not1_b32 vcc_lo, exec_lo, s14
	s_mov_b32 s2, -1
                                        ; implicit-def: $sgpr20
	s_delay_alu instid0(VALU_DEP_1)
	v_lshrrev_b32_e32 v13, 1, v4
	global_load_b64 v[4:5], v13, s[4:5] scale_offset
	s_cbranch_vccnz .LBB1264_21
; %bb.11:                               ;   in Loop: Header=BB1264_10 Depth=1
	s_and_not1_b32 vcc_lo, exec_lo, s12
	s_cbranch_vccnz .LBB1264_19
; %bb.12:                               ;   in Loop: Header=BB1264_10 Depth=1
	s_wait_loadcnt 0x0
	v_mad_nc_u64_u32 v[6:7], s0, v4, s[10:11]
	v_mov_b64_e32 v[8:9], v[0:1]
	s_mov_b32 s20, 0
	s_mov_b64 s[2:3], s[8:9]
                                        ; implicit-def: $sgpr21
                                        ; implicit-def: $sgpr22
                                        ; implicit-def: $sgpr25
	s_delay_alu instid0(VALU_DEP_2) | instskip(NEXT) | instid1(VALU_DEP_1)
	v_mad_u32 v7, s1, v4, v7
	v_mad_u32 v7, s0, v5, v7
	s_branch .LBB1264_14
.LBB1264_13:                            ;   in Loop: Header=BB1264_14 Depth=2
	s_or_b32 exec_lo, exec_lo, s25
	s_delay_alu instid0(SALU_CYCLE_1) | instskip(SKIP_4) | instid1(SALU_CYCLE_1)
	s_and_b32 s24, exec_lo, s24
	s_mov_b32 s25, s23
	s_or_b32 s20, s24, s20
	s_and_not1_b32 s21, s21, exec_lo
	s_and_b32 s24, s22, exec_lo
	s_or_b32 s21, s21, s24
	s_and_not1_b32 exec_lo, exec_lo, s20
	s_cbranch_execz .LBB1264_18
.LBB1264_14:                            ;   Parent Loop BB1264_10 Depth=1
                                        ; =>  This Inner Loop Header: Depth=2
	global_load_u16 v14, v[8:9], off
	global_load_u16 v15, v[6:7], off
	s_mov_b32 s24, -1
	s_mov_b32 s26, 0
	s_mov_b32 s23, -1
	s_mov_b32 s27, exec_lo
	s_wait_loadcnt 0x0
	v_cmpx_nlt_f16_e32 v14, v15
; %bb.15:                               ;   in Loop: Header=BB1264_14 Depth=2
	v_cmp_ngt_f16_e32 vcc_lo, v14, v15
	s_and_b32 s23, vcc_lo, s25
	s_and_b32 s26, vcc_lo, exec_lo
	s_or_not1_b32 s23, s23, exec_lo
; %bb.16:                               ;   in Loop: Header=BB1264_14 Depth=2
	s_or_b32 exec_lo, exec_lo, s27
	s_delay_alu instid0(SALU_CYCLE_1) | instskip(SKIP_1) | instid1(SALU_CYCLE_1)
	s_and_not1_b32 s22, s22, exec_lo
	s_and_b32 s25, s23, exec_lo
	s_or_b32 s22, s22, s25
	s_and_saveexec_b32 s25, s26
	s_cbranch_execz .LBB1264_13
; %bb.17:                               ;   in Loop: Header=BB1264_14 Depth=2
	s_add_nc_u64 s[2:3], s[2:3], -1
	v_add_nc_u64_e32 v[8:9], 2, v[8:9]
	s_cmp_eq_u64 s[2:3], 0
	v_add_nc_u64_e32 v[6:7], 2, v[6:7]
	s_cselect_b32 s24, -1, 0
	s_and_not1_b32 s22, s22, exec_lo
	s_or_not1_b32 s24, s24, exec_lo
	s_branch .LBB1264_13
.LBB1264_18:                            ;   in Loop: Header=BB1264_10 Depth=1
	s_or_b32 exec_lo, exec_lo, s20
	s_xor_b32 s20, s21, -1
	s_branch .LBB1264_20
.LBB1264_19:                            ;   in Loop: Header=BB1264_10 Depth=1
	s_mov_b32 s20, -1
.LBB1264_20:                            ;   in Loop: Header=BB1264_10 Depth=1
	s_mov_b32 s2, 0
.LBB1264_21:                            ;   in Loop: Header=BB1264_10 Depth=1
	s_delay_alu instid0(SALU_CYCLE_1)
	s_and_not1_b32 vcc_lo, exec_lo, s2
	s_cbranch_vccnz .LBB1264_9
; %bb.22:                               ;   in Loop: Header=BB1264_10 Depth=1
	s_and_not1_b32 vcc_lo, exec_lo, s12
	s_cbranch_vccnz .LBB1264_29
; %bb.23:                               ;   in Loop: Header=BB1264_10 Depth=1
	s_wait_loadcnt 0x0
	v_mad_nc_u64_u32 v[6:7], s0, v4, s[10:11]
	s_mov_b32 s21, 0
	s_mov_b64 s[2:3], s[8:9]
                                        ; implicit-def: $sgpr20
                                        ; implicit-def: $sgpr22
                                        ; implicit-def: $sgpr25
	s_delay_alu instid0(VALU_DEP_1) | instskip(NEXT) | instid1(VALU_DEP_1)
	v_mad_u32 v4, s1, v4, v7
	v_mad_u32 v7, s0, v5, v4
	v_mov_b64_e32 v[4:5], v[0:1]
	s_branch .LBB1264_25
.LBB1264_24:                            ;   in Loop: Header=BB1264_25 Depth=2
	s_or_b32 exec_lo, exec_lo, s25
	s_delay_alu instid0(SALU_CYCLE_1) | instskip(SKIP_4) | instid1(SALU_CYCLE_1)
	s_and_b32 s24, exec_lo, s24
	s_mov_b32 s25, s23
	s_or_b32 s21, s24, s21
	s_and_not1_b32 s20, s20, exec_lo
	s_and_b32 s24, s22, exec_lo
	s_or_b32 s20, s20, s24
	s_and_not1_b32 exec_lo, exec_lo, s21
	s_cbranch_execz .LBB1264_8
.LBB1264_25:                            ;   Parent Loop BB1264_10 Depth=1
                                        ; =>  This Inner Loop Header: Depth=2
	global_load_u16 v8, v[6:7], off
	global_load_u16 v9, v[4:5], off
	s_mov_b32 s24, -1
	s_mov_b32 s26, 0
	s_mov_b32 s23, -1
	s_mov_b32 s27, exec_lo
	s_wait_loadcnt 0x0
	v_cmpx_nlt_f16_e32 v8, v9
; %bb.26:                               ;   in Loop: Header=BB1264_25 Depth=2
	v_cmp_ngt_f16_e32 vcc_lo, v8, v9
	s_and_b32 s23, vcc_lo, s25
	s_and_b32 s26, vcc_lo, exec_lo
	s_or_not1_b32 s23, s23, exec_lo
; %bb.27:                               ;   in Loop: Header=BB1264_25 Depth=2
	s_or_b32 exec_lo, exec_lo, s27
	s_delay_alu instid0(SALU_CYCLE_1) | instskip(SKIP_1) | instid1(SALU_CYCLE_1)
	s_and_not1_b32 s22, s22, exec_lo
	s_and_b32 s25, s23, exec_lo
	s_or_b32 s22, s22, s25
	s_and_saveexec_b32 s25, s26
	s_cbranch_execz .LBB1264_24
; %bb.28:                               ;   in Loop: Header=BB1264_25 Depth=2
	s_add_nc_u64 s[2:3], s[2:3], -1
	v_add_nc_u64_e32 v[6:7], 2, v[6:7]
	s_cmp_eq_u64 s[2:3], 0
	v_add_nc_u64_e32 v[4:5], 2, v[4:5]
	s_cselect_b32 s24, -1, 0
	s_and_not1_b32 s22, s22, exec_lo
	s_or_not1_b32 s24, s24, exec_lo
	s_branch .LBB1264_24
.LBB1264_29:                            ;   in Loop: Header=BB1264_10 Depth=1
	s_mov_b32 s20, 0
	s_branch .LBB1264_9
.LBB1264_30:
                                        ; implicit-def: $vgpr1
	s_cbranch_execnz .LBB1264_34
	s_branch .LBB1264_60
.LBB1264_31:
	s_or_b32 exec_lo, exec_lo, s19
.LBB1264_32:
	s_delay_alu instid0(VALU_DEP_1)
	v_add_nc_u32_e32 v1, v11, v10
	s_or_b32 s13, s13, exec_lo
.LBB1264_33:
	s_or_b32 exec_lo, exec_lo, s18
	s_branch .LBB1264_60
.LBB1264_34:
	v_mov_b32_e32 v11, s16
	s_cmp_ge_u32 s15, s17
	s_cbranch_scc1 .LBB1264_59
; %bb.35:
	s_wait_loadcnt 0x0
	v_mul_u64_e32 v[0:1], s[8:9], v[2:3]
	v_dual_mov_b32 v12, s17 :: v_dual_mov_b32 v11, s16
	v_cndmask_b32_e64 v13, 0, 1, s12
	s_lshl_b64 s[2:3], s[8:9], 1
	s_mov_b32 s13, 0
	s_delay_alu instid0(VALU_DEP_3)
	v_lshl_add_u64 v[0:1], v[0:1], 1, s[10:11]
	s_branch .LBB1264_38
.LBB1264_36:                            ;   in Loop: Header=BB1264_38 Depth=1
	s_or_b32 exec_lo, exec_lo, s16
.LBB1264_37:                            ;   in Loop: Header=BB1264_38 Depth=1
	s_wait_loadcnt 0x0
	v_dual_add_nc_u32 v4, 1, v14 :: v_dual_cndmask_b32 v12, v14, v12, s15
	s_delay_alu instid0(VALU_DEP_1) | instskip(NEXT) | instid1(VALU_DEP_1)
	v_cndmask_b32_e64 v11, v11, v4, s15
	v_cmp_ge_u32_e32 vcc_lo, v11, v12
	s_or_b32 s13, vcc_lo, s13
	s_delay_alu instid0(SALU_CYCLE_1)
	s_and_not1_b32 exec_lo, exec_lo, s13
	s_cbranch_execz .LBB1264_58
.LBB1264_38:                            ; =>This Loop Header: Depth=1
                                        ;     Child Loop BB1264_42 Depth 2
                                        ;     Child Loop BB1264_53 Depth 2
	v_add_nc_u32_e32 v4, v11, v12
	v_cmp_ne_u32_e64 s0, 1, v13
	s_and_not1_b32 vcc_lo, exec_lo, s14
	s_mov_b32 s1, -1
                                        ; implicit-def: $sgpr15
	v_lshrrev_b32_e32 v14, 1, v4
	global_load_b64 v[4:5], v14, s[4:5] scale_offset
	s_cbranch_vccnz .LBB1264_49
; %bb.39:                               ;   in Loop: Header=BB1264_38 Depth=1
	s_and_b32 vcc_lo, exec_lo, s0
	s_cbranch_vccnz .LBB1264_47
; %bb.40:                               ;   in Loop: Header=BB1264_38 Depth=1
	s_wait_loadcnt 0x0
	v_mad_nc_u64_u32 v[6:7], s2, v4, s[10:11]
	v_mov_b64_e32 v[8:9], v[0:1]
	s_mov_b32 s15, 0
	s_mov_b64 s[0:1], s[8:9]
                                        ; implicit-def: $sgpr16
                                        ; implicit-def: $sgpr17
                                        ; implicit-def: $sgpr20
	s_delay_alu instid0(VALU_DEP_2) | instskip(NEXT) | instid1(VALU_DEP_1)
	v_mad_u32 v7, s3, v4, v7
	v_mad_u32 v7, s2, v5, v7
	s_branch .LBB1264_42
.LBB1264_41:                            ;   in Loop: Header=BB1264_42 Depth=2
	s_or_b32 exec_lo, exec_lo, s20
	s_delay_alu instid0(SALU_CYCLE_1) | instskip(SKIP_4) | instid1(SALU_CYCLE_1)
	s_and_b32 s19, exec_lo, s19
	s_mov_b32 s20, s18
	s_or_b32 s15, s19, s15
	s_and_not1_b32 s16, s16, exec_lo
	s_and_b32 s19, s17, exec_lo
	s_or_b32 s16, s16, s19
	s_and_not1_b32 exec_lo, exec_lo, s15
	s_cbranch_execz .LBB1264_46
.LBB1264_42:                            ;   Parent Loop BB1264_38 Depth=1
                                        ; =>  This Inner Loop Header: Depth=2
	global_load_u16 v15, v[8:9], off
	global_load_u16 v16, v[6:7], off
	s_mov_b32 s19, -1
	s_mov_b32 s21, 0
	s_mov_b32 s18, -1
	s_mov_b32 s22, exec_lo
	s_wait_loadcnt 0x0
	v_cmpx_nlt_f16_e32 v15, v16
; %bb.43:                               ;   in Loop: Header=BB1264_42 Depth=2
	v_cmp_ngt_f16_e32 vcc_lo, v15, v16
	s_and_b32 s18, vcc_lo, s20
	s_and_b32 s21, vcc_lo, exec_lo
	s_or_not1_b32 s18, s18, exec_lo
; %bb.44:                               ;   in Loop: Header=BB1264_42 Depth=2
	s_or_b32 exec_lo, exec_lo, s22
	s_delay_alu instid0(SALU_CYCLE_1) | instskip(SKIP_1) | instid1(SALU_CYCLE_1)
	s_and_not1_b32 s17, s17, exec_lo
	s_and_b32 s20, s18, exec_lo
	s_or_b32 s17, s17, s20
	s_and_saveexec_b32 s20, s21
	s_cbranch_execz .LBB1264_41
; %bb.45:                               ;   in Loop: Header=BB1264_42 Depth=2
	s_add_nc_u64 s[0:1], s[0:1], -1
	v_add_nc_u64_e32 v[8:9], 2, v[8:9]
	s_cmp_eq_u64 s[0:1], 0
	v_add_nc_u64_e32 v[6:7], 2, v[6:7]
	s_cselect_b32 s19, -1, 0
	s_and_not1_b32 s17, s17, exec_lo
	s_or_not1_b32 s19, s19, exec_lo
	s_branch .LBB1264_41
.LBB1264_46:                            ;   in Loop: Header=BB1264_38 Depth=1
	s_or_b32 exec_lo, exec_lo, s15
	s_xor_b32 s15, s16, -1
	s_branch .LBB1264_48
.LBB1264_47:                            ;   in Loop: Header=BB1264_38 Depth=1
	s_mov_b32 s15, -1
.LBB1264_48:                            ;   in Loop: Header=BB1264_38 Depth=1
	s_mov_b32 s1, 0
.LBB1264_49:                            ;   in Loop: Header=BB1264_38 Depth=1
	s_delay_alu instid0(SALU_CYCLE_1)
	s_and_not1_b32 vcc_lo, exec_lo, s1
	s_cbranch_vccnz .LBB1264_37
; %bb.50:                               ;   in Loop: Header=BB1264_38 Depth=1
	s_and_not1_b32 vcc_lo, exec_lo, s12
	s_cbranch_vccnz .LBB1264_57
; %bb.51:                               ;   in Loop: Header=BB1264_38 Depth=1
	s_wait_loadcnt 0x0
	v_mad_nc_u64_u32 v[6:7], s2, v4, s[10:11]
	s_mov_b32 s16, 0
	s_mov_b64 s[0:1], s[8:9]
                                        ; implicit-def: $sgpr15
                                        ; implicit-def: $sgpr17
                                        ; implicit-def: $sgpr20
	s_delay_alu instid0(VALU_DEP_1) | instskip(NEXT) | instid1(VALU_DEP_1)
	v_mad_u32 v4, s3, v4, v7
	v_mad_u32 v7, s2, v5, v4
	v_mov_b64_e32 v[4:5], v[0:1]
	s_branch .LBB1264_53
.LBB1264_52:                            ;   in Loop: Header=BB1264_53 Depth=2
	s_or_b32 exec_lo, exec_lo, s20
	s_delay_alu instid0(SALU_CYCLE_1) | instskip(SKIP_4) | instid1(SALU_CYCLE_1)
	s_and_b32 s19, exec_lo, s19
	s_mov_b32 s20, s18
	s_or_b32 s16, s19, s16
	s_and_not1_b32 s15, s15, exec_lo
	s_and_b32 s19, s17, exec_lo
	s_or_b32 s15, s15, s19
	s_and_not1_b32 exec_lo, exec_lo, s16
	s_cbranch_execz .LBB1264_36
.LBB1264_53:                            ;   Parent Loop BB1264_38 Depth=1
                                        ; =>  This Inner Loop Header: Depth=2
	global_load_u16 v8, v[6:7], off
	global_load_u16 v9, v[4:5], off
	s_mov_b32 s19, -1
	s_mov_b32 s21, 0
	s_mov_b32 s18, -1
	s_mov_b32 s22, exec_lo
	s_wait_loadcnt 0x0
	v_cmpx_nlt_f16_e32 v8, v9
; %bb.54:                               ;   in Loop: Header=BB1264_53 Depth=2
	v_cmp_ngt_f16_e32 vcc_lo, v8, v9
	s_and_b32 s18, vcc_lo, s20
	s_and_b32 s21, vcc_lo, exec_lo
	s_or_not1_b32 s18, s18, exec_lo
; %bb.55:                               ;   in Loop: Header=BB1264_53 Depth=2
	s_or_b32 exec_lo, exec_lo, s22
	s_delay_alu instid0(SALU_CYCLE_1) | instskip(SKIP_1) | instid1(SALU_CYCLE_1)
	s_and_not1_b32 s17, s17, exec_lo
	s_and_b32 s20, s18, exec_lo
	s_or_b32 s17, s17, s20
	s_and_saveexec_b32 s20, s21
	s_cbranch_execz .LBB1264_52
; %bb.56:                               ;   in Loop: Header=BB1264_53 Depth=2
	s_add_nc_u64 s[0:1], s[0:1], -1
	v_add_nc_u64_e32 v[6:7], 2, v[6:7]
	s_cmp_eq_u64 s[0:1], 0
	v_add_nc_u64_e32 v[4:5], 2, v[4:5]
	s_cselect_b32 s19, -1, 0
	s_and_not1_b32 s17, s17, exec_lo
	s_or_not1_b32 s19, s19, exec_lo
	s_branch .LBB1264_52
.LBB1264_57:                            ;   in Loop: Header=BB1264_38 Depth=1
	s_mov_b32 s15, 0
	s_branch .LBB1264_37
.LBB1264_58:
	s_or_b32 exec_lo, exec_lo, s13
.LBB1264_59:
	s_delay_alu instid0(VALU_DEP_1)
	v_add_nc_u32_e32 v1, v11, v10
	s_mov_b32 s13, -1
.LBB1264_60:
	s_delay_alu instid0(SALU_CYCLE_1)
	s_and_b32 exec_lo, exec_lo, s13
	s_cbranch_execz .LBB1264_62
; %bb.61:
	s_wait_loadcnt 0x0
	global_store_b64 v1, v[2:3], s[6:7] scale_offset
.LBB1264_62:
	s_endpgm
	.section	.rodata,"a",@progbits
	.p2align	6, 0x0
	.amdhsa_kernel _ZN7rocprim17ROCPRIM_400000_NS6detail17trampoline_kernelINS0_14default_configENS1_38merge_sort_block_merge_config_selectorIlNS0_10empty_typeEEEZZNS1_27merge_sort_block_merge_implIS3_PlPS5_mZN2at6native12_GLOBAL__N_124unique_dim_cuda_templateIN3c104HalfEEESt5tupleIJNSA_6TensorESH_SH_EERKSH_lbbbEUlllE_EE10hipError_tT0_T1_T2_jT3_P12ihipStream_tbPNSt15iterator_traitsISN_E10value_typeEPNST_ISO_E10value_typeEPSP_NS1_7vsmem_tEENKUlT_SN_SO_SP_E_clIS8_S8_S9_S9_EESM_S12_SN_SO_SP_EUlS12_E1_NS1_11comp_targetILNS1_3genE0ELNS1_11target_archE4294967295ELNS1_3gpuE0ELNS1_3repE0EEENS1_36merge_oddeven_config_static_selectorELNS0_4arch9wavefront6targetE0EEEvSO_
		.amdhsa_group_segment_fixed_size 0
		.amdhsa_private_segment_fixed_size 0
		.amdhsa_kernarg_size 64
		.amdhsa_user_sgpr_count 2
		.amdhsa_user_sgpr_dispatch_ptr 0
		.amdhsa_user_sgpr_queue_ptr 0
		.amdhsa_user_sgpr_kernarg_segment_ptr 1
		.amdhsa_user_sgpr_dispatch_id 0
		.amdhsa_user_sgpr_kernarg_preload_length 0
		.amdhsa_user_sgpr_kernarg_preload_offset 0
		.amdhsa_user_sgpr_private_segment_size 0
		.amdhsa_wavefront_size32 1
		.amdhsa_uses_dynamic_stack 0
		.amdhsa_enable_private_segment 0
		.amdhsa_system_sgpr_workgroup_id_x 1
		.amdhsa_system_sgpr_workgroup_id_y 0
		.amdhsa_system_sgpr_workgroup_id_z 0
		.amdhsa_system_sgpr_workgroup_info 0
		.amdhsa_system_vgpr_workitem_id 0
		.amdhsa_next_free_vgpr 17
		.amdhsa_next_free_sgpr 28
		.amdhsa_named_barrier_count 0
		.amdhsa_reserve_vcc 1
		.amdhsa_float_round_mode_32 0
		.amdhsa_float_round_mode_16_64 0
		.amdhsa_float_denorm_mode_32 3
		.amdhsa_float_denorm_mode_16_64 3
		.amdhsa_fp16_overflow 0
		.amdhsa_memory_ordered 1
		.amdhsa_forward_progress 1
		.amdhsa_inst_pref_size 13
		.amdhsa_round_robin_scheduling 0
		.amdhsa_exception_fp_ieee_invalid_op 0
		.amdhsa_exception_fp_denorm_src 0
		.amdhsa_exception_fp_ieee_div_zero 0
		.amdhsa_exception_fp_ieee_overflow 0
		.amdhsa_exception_fp_ieee_underflow 0
		.amdhsa_exception_fp_ieee_inexact 0
		.amdhsa_exception_int_div_zero 0
	.end_amdhsa_kernel
	.section	.text._ZN7rocprim17ROCPRIM_400000_NS6detail17trampoline_kernelINS0_14default_configENS1_38merge_sort_block_merge_config_selectorIlNS0_10empty_typeEEEZZNS1_27merge_sort_block_merge_implIS3_PlPS5_mZN2at6native12_GLOBAL__N_124unique_dim_cuda_templateIN3c104HalfEEESt5tupleIJNSA_6TensorESH_SH_EERKSH_lbbbEUlllE_EE10hipError_tT0_T1_T2_jT3_P12ihipStream_tbPNSt15iterator_traitsISN_E10value_typeEPNST_ISO_E10value_typeEPSP_NS1_7vsmem_tEENKUlT_SN_SO_SP_E_clIS8_S8_S9_S9_EESM_S12_SN_SO_SP_EUlS12_E1_NS1_11comp_targetILNS1_3genE0ELNS1_11target_archE4294967295ELNS1_3gpuE0ELNS1_3repE0EEENS1_36merge_oddeven_config_static_selectorELNS0_4arch9wavefront6targetE0EEEvSO_,"axG",@progbits,_ZN7rocprim17ROCPRIM_400000_NS6detail17trampoline_kernelINS0_14default_configENS1_38merge_sort_block_merge_config_selectorIlNS0_10empty_typeEEEZZNS1_27merge_sort_block_merge_implIS3_PlPS5_mZN2at6native12_GLOBAL__N_124unique_dim_cuda_templateIN3c104HalfEEESt5tupleIJNSA_6TensorESH_SH_EERKSH_lbbbEUlllE_EE10hipError_tT0_T1_T2_jT3_P12ihipStream_tbPNSt15iterator_traitsISN_E10value_typeEPNST_ISO_E10value_typeEPSP_NS1_7vsmem_tEENKUlT_SN_SO_SP_E_clIS8_S8_S9_S9_EESM_S12_SN_SO_SP_EUlS12_E1_NS1_11comp_targetILNS1_3genE0ELNS1_11target_archE4294967295ELNS1_3gpuE0ELNS1_3repE0EEENS1_36merge_oddeven_config_static_selectorELNS0_4arch9wavefront6targetE0EEEvSO_,comdat
.Lfunc_end1264:
	.size	_ZN7rocprim17ROCPRIM_400000_NS6detail17trampoline_kernelINS0_14default_configENS1_38merge_sort_block_merge_config_selectorIlNS0_10empty_typeEEEZZNS1_27merge_sort_block_merge_implIS3_PlPS5_mZN2at6native12_GLOBAL__N_124unique_dim_cuda_templateIN3c104HalfEEESt5tupleIJNSA_6TensorESH_SH_EERKSH_lbbbEUlllE_EE10hipError_tT0_T1_T2_jT3_P12ihipStream_tbPNSt15iterator_traitsISN_E10value_typeEPNST_ISO_E10value_typeEPSP_NS1_7vsmem_tEENKUlT_SN_SO_SP_E_clIS8_S8_S9_S9_EESM_S12_SN_SO_SP_EUlS12_E1_NS1_11comp_targetILNS1_3genE0ELNS1_11target_archE4294967295ELNS1_3gpuE0ELNS1_3repE0EEENS1_36merge_oddeven_config_static_selectorELNS0_4arch9wavefront6targetE0EEEvSO_, .Lfunc_end1264-_ZN7rocprim17ROCPRIM_400000_NS6detail17trampoline_kernelINS0_14default_configENS1_38merge_sort_block_merge_config_selectorIlNS0_10empty_typeEEEZZNS1_27merge_sort_block_merge_implIS3_PlPS5_mZN2at6native12_GLOBAL__N_124unique_dim_cuda_templateIN3c104HalfEEESt5tupleIJNSA_6TensorESH_SH_EERKSH_lbbbEUlllE_EE10hipError_tT0_T1_T2_jT3_P12ihipStream_tbPNSt15iterator_traitsISN_E10value_typeEPNST_ISO_E10value_typeEPSP_NS1_7vsmem_tEENKUlT_SN_SO_SP_E_clIS8_S8_S9_S9_EESM_S12_SN_SO_SP_EUlS12_E1_NS1_11comp_targetILNS1_3genE0ELNS1_11target_archE4294967295ELNS1_3gpuE0ELNS1_3repE0EEENS1_36merge_oddeven_config_static_selectorELNS0_4arch9wavefront6targetE0EEEvSO_
                                        ; -- End function
	.set _ZN7rocprim17ROCPRIM_400000_NS6detail17trampoline_kernelINS0_14default_configENS1_38merge_sort_block_merge_config_selectorIlNS0_10empty_typeEEEZZNS1_27merge_sort_block_merge_implIS3_PlPS5_mZN2at6native12_GLOBAL__N_124unique_dim_cuda_templateIN3c104HalfEEESt5tupleIJNSA_6TensorESH_SH_EERKSH_lbbbEUlllE_EE10hipError_tT0_T1_T2_jT3_P12ihipStream_tbPNSt15iterator_traitsISN_E10value_typeEPNST_ISO_E10value_typeEPSP_NS1_7vsmem_tEENKUlT_SN_SO_SP_E_clIS8_S8_S9_S9_EESM_S12_SN_SO_SP_EUlS12_E1_NS1_11comp_targetILNS1_3genE0ELNS1_11target_archE4294967295ELNS1_3gpuE0ELNS1_3repE0EEENS1_36merge_oddeven_config_static_selectorELNS0_4arch9wavefront6targetE0EEEvSO_.num_vgpr, 17
	.set _ZN7rocprim17ROCPRIM_400000_NS6detail17trampoline_kernelINS0_14default_configENS1_38merge_sort_block_merge_config_selectorIlNS0_10empty_typeEEEZZNS1_27merge_sort_block_merge_implIS3_PlPS5_mZN2at6native12_GLOBAL__N_124unique_dim_cuda_templateIN3c104HalfEEESt5tupleIJNSA_6TensorESH_SH_EERKSH_lbbbEUlllE_EE10hipError_tT0_T1_T2_jT3_P12ihipStream_tbPNSt15iterator_traitsISN_E10value_typeEPNST_ISO_E10value_typeEPSP_NS1_7vsmem_tEENKUlT_SN_SO_SP_E_clIS8_S8_S9_S9_EESM_S12_SN_SO_SP_EUlS12_E1_NS1_11comp_targetILNS1_3genE0ELNS1_11target_archE4294967295ELNS1_3gpuE0ELNS1_3repE0EEENS1_36merge_oddeven_config_static_selectorELNS0_4arch9wavefront6targetE0EEEvSO_.num_agpr, 0
	.set _ZN7rocprim17ROCPRIM_400000_NS6detail17trampoline_kernelINS0_14default_configENS1_38merge_sort_block_merge_config_selectorIlNS0_10empty_typeEEEZZNS1_27merge_sort_block_merge_implIS3_PlPS5_mZN2at6native12_GLOBAL__N_124unique_dim_cuda_templateIN3c104HalfEEESt5tupleIJNSA_6TensorESH_SH_EERKSH_lbbbEUlllE_EE10hipError_tT0_T1_T2_jT3_P12ihipStream_tbPNSt15iterator_traitsISN_E10value_typeEPNST_ISO_E10value_typeEPSP_NS1_7vsmem_tEENKUlT_SN_SO_SP_E_clIS8_S8_S9_S9_EESM_S12_SN_SO_SP_EUlS12_E1_NS1_11comp_targetILNS1_3genE0ELNS1_11target_archE4294967295ELNS1_3gpuE0ELNS1_3repE0EEENS1_36merge_oddeven_config_static_selectorELNS0_4arch9wavefront6targetE0EEEvSO_.numbered_sgpr, 28
	.set _ZN7rocprim17ROCPRIM_400000_NS6detail17trampoline_kernelINS0_14default_configENS1_38merge_sort_block_merge_config_selectorIlNS0_10empty_typeEEEZZNS1_27merge_sort_block_merge_implIS3_PlPS5_mZN2at6native12_GLOBAL__N_124unique_dim_cuda_templateIN3c104HalfEEESt5tupleIJNSA_6TensorESH_SH_EERKSH_lbbbEUlllE_EE10hipError_tT0_T1_T2_jT3_P12ihipStream_tbPNSt15iterator_traitsISN_E10value_typeEPNST_ISO_E10value_typeEPSP_NS1_7vsmem_tEENKUlT_SN_SO_SP_E_clIS8_S8_S9_S9_EESM_S12_SN_SO_SP_EUlS12_E1_NS1_11comp_targetILNS1_3genE0ELNS1_11target_archE4294967295ELNS1_3gpuE0ELNS1_3repE0EEENS1_36merge_oddeven_config_static_selectorELNS0_4arch9wavefront6targetE0EEEvSO_.num_named_barrier, 0
	.set _ZN7rocprim17ROCPRIM_400000_NS6detail17trampoline_kernelINS0_14default_configENS1_38merge_sort_block_merge_config_selectorIlNS0_10empty_typeEEEZZNS1_27merge_sort_block_merge_implIS3_PlPS5_mZN2at6native12_GLOBAL__N_124unique_dim_cuda_templateIN3c104HalfEEESt5tupleIJNSA_6TensorESH_SH_EERKSH_lbbbEUlllE_EE10hipError_tT0_T1_T2_jT3_P12ihipStream_tbPNSt15iterator_traitsISN_E10value_typeEPNST_ISO_E10value_typeEPSP_NS1_7vsmem_tEENKUlT_SN_SO_SP_E_clIS8_S8_S9_S9_EESM_S12_SN_SO_SP_EUlS12_E1_NS1_11comp_targetILNS1_3genE0ELNS1_11target_archE4294967295ELNS1_3gpuE0ELNS1_3repE0EEENS1_36merge_oddeven_config_static_selectorELNS0_4arch9wavefront6targetE0EEEvSO_.private_seg_size, 0
	.set _ZN7rocprim17ROCPRIM_400000_NS6detail17trampoline_kernelINS0_14default_configENS1_38merge_sort_block_merge_config_selectorIlNS0_10empty_typeEEEZZNS1_27merge_sort_block_merge_implIS3_PlPS5_mZN2at6native12_GLOBAL__N_124unique_dim_cuda_templateIN3c104HalfEEESt5tupleIJNSA_6TensorESH_SH_EERKSH_lbbbEUlllE_EE10hipError_tT0_T1_T2_jT3_P12ihipStream_tbPNSt15iterator_traitsISN_E10value_typeEPNST_ISO_E10value_typeEPSP_NS1_7vsmem_tEENKUlT_SN_SO_SP_E_clIS8_S8_S9_S9_EESM_S12_SN_SO_SP_EUlS12_E1_NS1_11comp_targetILNS1_3genE0ELNS1_11target_archE4294967295ELNS1_3gpuE0ELNS1_3repE0EEENS1_36merge_oddeven_config_static_selectorELNS0_4arch9wavefront6targetE0EEEvSO_.uses_vcc, 1
	.set _ZN7rocprim17ROCPRIM_400000_NS6detail17trampoline_kernelINS0_14default_configENS1_38merge_sort_block_merge_config_selectorIlNS0_10empty_typeEEEZZNS1_27merge_sort_block_merge_implIS3_PlPS5_mZN2at6native12_GLOBAL__N_124unique_dim_cuda_templateIN3c104HalfEEESt5tupleIJNSA_6TensorESH_SH_EERKSH_lbbbEUlllE_EE10hipError_tT0_T1_T2_jT3_P12ihipStream_tbPNSt15iterator_traitsISN_E10value_typeEPNST_ISO_E10value_typeEPSP_NS1_7vsmem_tEENKUlT_SN_SO_SP_E_clIS8_S8_S9_S9_EESM_S12_SN_SO_SP_EUlS12_E1_NS1_11comp_targetILNS1_3genE0ELNS1_11target_archE4294967295ELNS1_3gpuE0ELNS1_3repE0EEENS1_36merge_oddeven_config_static_selectorELNS0_4arch9wavefront6targetE0EEEvSO_.uses_flat_scratch, 0
	.set _ZN7rocprim17ROCPRIM_400000_NS6detail17trampoline_kernelINS0_14default_configENS1_38merge_sort_block_merge_config_selectorIlNS0_10empty_typeEEEZZNS1_27merge_sort_block_merge_implIS3_PlPS5_mZN2at6native12_GLOBAL__N_124unique_dim_cuda_templateIN3c104HalfEEESt5tupleIJNSA_6TensorESH_SH_EERKSH_lbbbEUlllE_EE10hipError_tT0_T1_T2_jT3_P12ihipStream_tbPNSt15iterator_traitsISN_E10value_typeEPNST_ISO_E10value_typeEPSP_NS1_7vsmem_tEENKUlT_SN_SO_SP_E_clIS8_S8_S9_S9_EESM_S12_SN_SO_SP_EUlS12_E1_NS1_11comp_targetILNS1_3genE0ELNS1_11target_archE4294967295ELNS1_3gpuE0ELNS1_3repE0EEENS1_36merge_oddeven_config_static_selectorELNS0_4arch9wavefront6targetE0EEEvSO_.has_dyn_sized_stack, 0
	.set _ZN7rocprim17ROCPRIM_400000_NS6detail17trampoline_kernelINS0_14default_configENS1_38merge_sort_block_merge_config_selectorIlNS0_10empty_typeEEEZZNS1_27merge_sort_block_merge_implIS3_PlPS5_mZN2at6native12_GLOBAL__N_124unique_dim_cuda_templateIN3c104HalfEEESt5tupleIJNSA_6TensorESH_SH_EERKSH_lbbbEUlllE_EE10hipError_tT0_T1_T2_jT3_P12ihipStream_tbPNSt15iterator_traitsISN_E10value_typeEPNST_ISO_E10value_typeEPSP_NS1_7vsmem_tEENKUlT_SN_SO_SP_E_clIS8_S8_S9_S9_EESM_S12_SN_SO_SP_EUlS12_E1_NS1_11comp_targetILNS1_3genE0ELNS1_11target_archE4294967295ELNS1_3gpuE0ELNS1_3repE0EEENS1_36merge_oddeven_config_static_selectorELNS0_4arch9wavefront6targetE0EEEvSO_.has_recursion, 0
	.set _ZN7rocprim17ROCPRIM_400000_NS6detail17trampoline_kernelINS0_14default_configENS1_38merge_sort_block_merge_config_selectorIlNS0_10empty_typeEEEZZNS1_27merge_sort_block_merge_implIS3_PlPS5_mZN2at6native12_GLOBAL__N_124unique_dim_cuda_templateIN3c104HalfEEESt5tupleIJNSA_6TensorESH_SH_EERKSH_lbbbEUlllE_EE10hipError_tT0_T1_T2_jT3_P12ihipStream_tbPNSt15iterator_traitsISN_E10value_typeEPNST_ISO_E10value_typeEPSP_NS1_7vsmem_tEENKUlT_SN_SO_SP_E_clIS8_S8_S9_S9_EESM_S12_SN_SO_SP_EUlS12_E1_NS1_11comp_targetILNS1_3genE0ELNS1_11target_archE4294967295ELNS1_3gpuE0ELNS1_3repE0EEENS1_36merge_oddeven_config_static_selectorELNS0_4arch9wavefront6targetE0EEEvSO_.has_indirect_call, 0
	.section	.AMDGPU.csdata,"",@progbits
; Kernel info:
; codeLenInByte = 1656
; TotalNumSgprs: 30
; NumVgprs: 17
; ScratchSize: 0
; MemoryBound: 0
; FloatMode: 240
; IeeeMode: 1
; LDSByteSize: 0 bytes/workgroup (compile time only)
; SGPRBlocks: 0
; VGPRBlocks: 1
; NumSGPRsForWavesPerEU: 30
; NumVGPRsForWavesPerEU: 17
; NamedBarCnt: 0
; Occupancy: 16
; WaveLimiterHint : 0
; COMPUTE_PGM_RSRC2:SCRATCH_EN: 0
; COMPUTE_PGM_RSRC2:USER_SGPR: 2
; COMPUTE_PGM_RSRC2:TRAP_HANDLER: 0
; COMPUTE_PGM_RSRC2:TGID_X_EN: 1
; COMPUTE_PGM_RSRC2:TGID_Y_EN: 0
; COMPUTE_PGM_RSRC2:TGID_Z_EN: 0
; COMPUTE_PGM_RSRC2:TIDIG_COMP_CNT: 0
	.section	.text._ZN7rocprim17ROCPRIM_400000_NS6detail17trampoline_kernelINS0_14default_configENS1_38merge_sort_block_merge_config_selectorIlNS0_10empty_typeEEEZZNS1_27merge_sort_block_merge_implIS3_PlPS5_mZN2at6native12_GLOBAL__N_124unique_dim_cuda_templateIN3c104HalfEEESt5tupleIJNSA_6TensorESH_SH_EERKSH_lbbbEUlllE_EE10hipError_tT0_T1_T2_jT3_P12ihipStream_tbPNSt15iterator_traitsISN_E10value_typeEPNST_ISO_E10value_typeEPSP_NS1_7vsmem_tEENKUlT_SN_SO_SP_E_clIS8_S8_S9_S9_EESM_S12_SN_SO_SP_EUlS12_E1_NS1_11comp_targetILNS1_3genE10ELNS1_11target_archE1201ELNS1_3gpuE5ELNS1_3repE0EEENS1_36merge_oddeven_config_static_selectorELNS0_4arch9wavefront6targetE0EEEvSO_,"axG",@progbits,_ZN7rocprim17ROCPRIM_400000_NS6detail17trampoline_kernelINS0_14default_configENS1_38merge_sort_block_merge_config_selectorIlNS0_10empty_typeEEEZZNS1_27merge_sort_block_merge_implIS3_PlPS5_mZN2at6native12_GLOBAL__N_124unique_dim_cuda_templateIN3c104HalfEEESt5tupleIJNSA_6TensorESH_SH_EERKSH_lbbbEUlllE_EE10hipError_tT0_T1_T2_jT3_P12ihipStream_tbPNSt15iterator_traitsISN_E10value_typeEPNST_ISO_E10value_typeEPSP_NS1_7vsmem_tEENKUlT_SN_SO_SP_E_clIS8_S8_S9_S9_EESM_S12_SN_SO_SP_EUlS12_E1_NS1_11comp_targetILNS1_3genE10ELNS1_11target_archE1201ELNS1_3gpuE5ELNS1_3repE0EEENS1_36merge_oddeven_config_static_selectorELNS0_4arch9wavefront6targetE0EEEvSO_,comdat
	.globl	_ZN7rocprim17ROCPRIM_400000_NS6detail17trampoline_kernelINS0_14default_configENS1_38merge_sort_block_merge_config_selectorIlNS0_10empty_typeEEEZZNS1_27merge_sort_block_merge_implIS3_PlPS5_mZN2at6native12_GLOBAL__N_124unique_dim_cuda_templateIN3c104HalfEEESt5tupleIJNSA_6TensorESH_SH_EERKSH_lbbbEUlllE_EE10hipError_tT0_T1_T2_jT3_P12ihipStream_tbPNSt15iterator_traitsISN_E10value_typeEPNST_ISO_E10value_typeEPSP_NS1_7vsmem_tEENKUlT_SN_SO_SP_E_clIS8_S8_S9_S9_EESM_S12_SN_SO_SP_EUlS12_E1_NS1_11comp_targetILNS1_3genE10ELNS1_11target_archE1201ELNS1_3gpuE5ELNS1_3repE0EEENS1_36merge_oddeven_config_static_selectorELNS0_4arch9wavefront6targetE0EEEvSO_ ; -- Begin function _ZN7rocprim17ROCPRIM_400000_NS6detail17trampoline_kernelINS0_14default_configENS1_38merge_sort_block_merge_config_selectorIlNS0_10empty_typeEEEZZNS1_27merge_sort_block_merge_implIS3_PlPS5_mZN2at6native12_GLOBAL__N_124unique_dim_cuda_templateIN3c104HalfEEESt5tupleIJNSA_6TensorESH_SH_EERKSH_lbbbEUlllE_EE10hipError_tT0_T1_T2_jT3_P12ihipStream_tbPNSt15iterator_traitsISN_E10value_typeEPNST_ISO_E10value_typeEPSP_NS1_7vsmem_tEENKUlT_SN_SO_SP_E_clIS8_S8_S9_S9_EESM_S12_SN_SO_SP_EUlS12_E1_NS1_11comp_targetILNS1_3genE10ELNS1_11target_archE1201ELNS1_3gpuE5ELNS1_3repE0EEENS1_36merge_oddeven_config_static_selectorELNS0_4arch9wavefront6targetE0EEEvSO_
	.p2align	8
	.type	_ZN7rocprim17ROCPRIM_400000_NS6detail17trampoline_kernelINS0_14default_configENS1_38merge_sort_block_merge_config_selectorIlNS0_10empty_typeEEEZZNS1_27merge_sort_block_merge_implIS3_PlPS5_mZN2at6native12_GLOBAL__N_124unique_dim_cuda_templateIN3c104HalfEEESt5tupleIJNSA_6TensorESH_SH_EERKSH_lbbbEUlllE_EE10hipError_tT0_T1_T2_jT3_P12ihipStream_tbPNSt15iterator_traitsISN_E10value_typeEPNST_ISO_E10value_typeEPSP_NS1_7vsmem_tEENKUlT_SN_SO_SP_E_clIS8_S8_S9_S9_EESM_S12_SN_SO_SP_EUlS12_E1_NS1_11comp_targetILNS1_3genE10ELNS1_11target_archE1201ELNS1_3gpuE5ELNS1_3repE0EEENS1_36merge_oddeven_config_static_selectorELNS0_4arch9wavefront6targetE0EEEvSO_,@function
_ZN7rocprim17ROCPRIM_400000_NS6detail17trampoline_kernelINS0_14default_configENS1_38merge_sort_block_merge_config_selectorIlNS0_10empty_typeEEEZZNS1_27merge_sort_block_merge_implIS3_PlPS5_mZN2at6native12_GLOBAL__N_124unique_dim_cuda_templateIN3c104HalfEEESt5tupleIJNSA_6TensorESH_SH_EERKSH_lbbbEUlllE_EE10hipError_tT0_T1_T2_jT3_P12ihipStream_tbPNSt15iterator_traitsISN_E10value_typeEPNST_ISO_E10value_typeEPSP_NS1_7vsmem_tEENKUlT_SN_SO_SP_E_clIS8_S8_S9_S9_EESM_S12_SN_SO_SP_EUlS12_E1_NS1_11comp_targetILNS1_3genE10ELNS1_11target_archE1201ELNS1_3gpuE5ELNS1_3repE0EEENS1_36merge_oddeven_config_static_selectorELNS0_4arch9wavefront6targetE0EEEvSO_: ; @_ZN7rocprim17ROCPRIM_400000_NS6detail17trampoline_kernelINS0_14default_configENS1_38merge_sort_block_merge_config_selectorIlNS0_10empty_typeEEEZZNS1_27merge_sort_block_merge_implIS3_PlPS5_mZN2at6native12_GLOBAL__N_124unique_dim_cuda_templateIN3c104HalfEEESt5tupleIJNSA_6TensorESH_SH_EERKSH_lbbbEUlllE_EE10hipError_tT0_T1_T2_jT3_P12ihipStream_tbPNSt15iterator_traitsISN_E10value_typeEPNST_ISO_E10value_typeEPSP_NS1_7vsmem_tEENKUlT_SN_SO_SP_E_clIS8_S8_S9_S9_EESM_S12_SN_SO_SP_EUlS12_E1_NS1_11comp_targetILNS1_3genE10ELNS1_11target_archE1201ELNS1_3gpuE5ELNS1_3repE0EEENS1_36merge_oddeven_config_static_selectorELNS0_4arch9wavefront6targetE0EEEvSO_
; %bb.0:
	.section	.rodata,"a",@progbits
	.p2align	6, 0x0
	.amdhsa_kernel _ZN7rocprim17ROCPRIM_400000_NS6detail17trampoline_kernelINS0_14default_configENS1_38merge_sort_block_merge_config_selectorIlNS0_10empty_typeEEEZZNS1_27merge_sort_block_merge_implIS3_PlPS5_mZN2at6native12_GLOBAL__N_124unique_dim_cuda_templateIN3c104HalfEEESt5tupleIJNSA_6TensorESH_SH_EERKSH_lbbbEUlllE_EE10hipError_tT0_T1_T2_jT3_P12ihipStream_tbPNSt15iterator_traitsISN_E10value_typeEPNST_ISO_E10value_typeEPSP_NS1_7vsmem_tEENKUlT_SN_SO_SP_E_clIS8_S8_S9_S9_EESM_S12_SN_SO_SP_EUlS12_E1_NS1_11comp_targetILNS1_3genE10ELNS1_11target_archE1201ELNS1_3gpuE5ELNS1_3repE0EEENS1_36merge_oddeven_config_static_selectorELNS0_4arch9wavefront6targetE0EEEvSO_
		.amdhsa_group_segment_fixed_size 0
		.amdhsa_private_segment_fixed_size 0
		.amdhsa_kernarg_size 64
		.amdhsa_user_sgpr_count 2
		.amdhsa_user_sgpr_dispatch_ptr 0
		.amdhsa_user_sgpr_queue_ptr 0
		.amdhsa_user_sgpr_kernarg_segment_ptr 1
		.amdhsa_user_sgpr_dispatch_id 0
		.amdhsa_user_sgpr_kernarg_preload_length 0
		.amdhsa_user_sgpr_kernarg_preload_offset 0
		.amdhsa_user_sgpr_private_segment_size 0
		.amdhsa_wavefront_size32 1
		.amdhsa_uses_dynamic_stack 0
		.amdhsa_enable_private_segment 0
		.amdhsa_system_sgpr_workgroup_id_x 1
		.amdhsa_system_sgpr_workgroup_id_y 0
		.amdhsa_system_sgpr_workgroup_id_z 0
		.amdhsa_system_sgpr_workgroup_info 0
		.amdhsa_system_vgpr_workitem_id 0
		.amdhsa_next_free_vgpr 1
		.amdhsa_next_free_sgpr 1
		.amdhsa_named_barrier_count 0
		.amdhsa_reserve_vcc 0
		.amdhsa_float_round_mode_32 0
		.amdhsa_float_round_mode_16_64 0
		.amdhsa_float_denorm_mode_32 3
		.amdhsa_float_denorm_mode_16_64 3
		.amdhsa_fp16_overflow 0
		.amdhsa_memory_ordered 1
		.amdhsa_forward_progress 1
		.amdhsa_inst_pref_size 0
		.amdhsa_round_robin_scheduling 0
		.amdhsa_exception_fp_ieee_invalid_op 0
		.amdhsa_exception_fp_denorm_src 0
		.amdhsa_exception_fp_ieee_div_zero 0
		.amdhsa_exception_fp_ieee_overflow 0
		.amdhsa_exception_fp_ieee_underflow 0
		.amdhsa_exception_fp_ieee_inexact 0
		.amdhsa_exception_int_div_zero 0
	.end_amdhsa_kernel
	.section	.text._ZN7rocprim17ROCPRIM_400000_NS6detail17trampoline_kernelINS0_14default_configENS1_38merge_sort_block_merge_config_selectorIlNS0_10empty_typeEEEZZNS1_27merge_sort_block_merge_implIS3_PlPS5_mZN2at6native12_GLOBAL__N_124unique_dim_cuda_templateIN3c104HalfEEESt5tupleIJNSA_6TensorESH_SH_EERKSH_lbbbEUlllE_EE10hipError_tT0_T1_T2_jT3_P12ihipStream_tbPNSt15iterator_traitsISN_E10value_typeEPNST_ISO_E10value_typeEPSP_NS1_7vsmem_tEENKUlT_SN_SO_SP_E_clIS8_S8_S9_S9_EESM_S12_SN_SO_SP_EUlS12_E1_NS1_11comp_targetILNS1_3genE10ELNS1_11target_archE1201ELNS1_3gpuE5ELNS1_3repE0EEENS1_36merge_oddeven_config_static_selectorELNS0_4arch9wavefront6targetE0EEEvSO_,"axG",@progbits,_ZN7rocprim17ROCPRIM_400000_NS6detail17trampoline_kernelINS0_14default_configENS1_38merge_sort_block_merge_config_selectorIlNS0_10empty_typeEEEZZNS1_27merge_sort_block_merge_implIS3_PlPS5_mZN2at6native12_GLOBAL__N_124unique_dim_cuda_templateIN3c104HalfEEESt5tupleIJNSA_6TensorESH_SH_EERKSH_lbbbEUlllE_EE10hipError_tT0_T1_T2_jT3_P12ihipStream_tbPNSt15iterator_traitsISN_E10value_typeEPNST_ISO_E10value_typeEPSP_NS1_7vsmem_tEENKUlT_SN_SO_SP_E_clIS8_S8_S9_S9_EESM_S12_SN_SO_SP_EUlS12_E1_NS1_11comp_targetILNS1_3genE10ELNS1_11target_archE1201ELNS1_3gpuE5ELNS1_3repE0EEENS1_36merge_oddeven_config_static_selectorELNS0_4arch9wavefront6targetE0EEEvSO_,comdat
.Lfunc_end1265:
	.size	_ZN7rocprim17ROCPRIM_400000_NS6detail17trampoline_kernelINS0_14default_configENS1_38merge_sort_block_merge_config_selectorIlNS0_10empty_typeEEEZZNS1_27merge_sort_block_merge_implIS3_PlPS5_mZN2at6native12_GLOBAL__N_124unique_dim_cuda_templateIN3c104HalfEEESt5tupleIJNSA_6TensorESH_SH_EERKSH_lbbbEUlllE_EE10hipError_tT0_T1_T2_jT3_P12ihipStream_tbPNSt15iterator_traitsISN_E10value_typeEPNST_ISO_E10value_typeEPSP_NS1_7vsmem_tEENKUlT_SN_SO_SP_E_clIS8_S8_S9_S9_EESM_S12_SN_SO_SP_EUlS12_E1_NS1_11comp_targetILNS1_3genE10ELNS1_11target_archE1201ELNS1_3gpuE5ELNS1_3repE0EEENS1_36merge_oddeven_config_static_selectorELNS0_4arch9wavefront6targetE0EEEvSO_, .Lfunc_end1265-_ZN7rocprim17ROCPRIM_400000_NS6detail17trampoline_kernelINS0_14default_configENS1_38merge_sort_block_merge_config_selectorIlNS0_10empty_typeEEEZZNS1_27merge_sort_block_merge_implIS3_PlPS5_mZN2at6native12_GLOBAL__N_124unique_dim_cuda_templateIN3c104HalfEEESt5tupleIJNSA_6TensorESH_SH_EERKSH_lbbbEUlllE_EE10hipError_tT0_T1_T2_jT3_P12ihipStream_tbPNSt15iterator_traitsISN_E10value_typeEPNST_ISO_E10value_typeEPSP_NS1_7vsmem_tEENKUlT_SN_SO_SP_E_clIS8_S8_S9_S9_EESM_S12_SN_SO_SP_EUlS12_E1_NS1_11comp_targetILNS1_3genE10ELNS1_11target_archE1201ELNS1_3gpuE5ELNS1_3repE0EEENS1_36merge_oddeven_config_static_selectorELNS0_4arch9wavefront6targetE0EEEvSO_
                                        ; -- End function
	.set _ZN7rocprim17ROCPRIM_400000_NS6detail17trampoline_kernelINS0_14default_configENS1_38merge_sort_block_merge_config_selectorIlNS0_10empty_typeEEEZZNS1_27merge_sort_block_merge_implIS3_PlPS5_mZN2at6native12_GLOBAL__N_124unique_dim_cuda_templateIN3c104HalfEEESt5tupleIJNSA_6TensorESH_SH_EERKSH_lbbbEUlllE_EE10hipError_tT0_T1_T2_jT3_P12ihipStream_tbPNSt15iterator_traitsISN_E10value_typeEPNST_ISO_E10value_typeEPSP_NS1_7vsmem_tEENKUlT_SN_SO_SP_E_clIS8_S8_S9_S9_EESM_S12_SN_SO_SP_EUlS12_E1_NS1_11comp_targetILNS1_3genE10ELNS1_11target_archE1201ELNS1_3gpuE5ELNS1_3repE0EEENS1_36merge_oddeven_config_static_selectorELNS0_4arch9wavefront6targetE0EEEvSO_.num_vgpr, 0
	.set _ZN7rocprim17ROCPRIM_400000_NS6detail17trampoline_kernelINS0_14default_configENS1_38merge_sort_block_merge_config_selectorIlNS0_10empty_typeEEEZZNS1_27merge_sort_block_merge_implIS3_PlPS5_mZN2at6native12_GLOBAL__N_124unique_dim_cuda_templateIN3c104HalfEEESt5tupleIJNSA_6TensorESH_SH_EERKSH_lbbbEUlllE_EE10hipError_tT0_T1_T2_jT3_P12ihipStream_tbPNSt15iterator_traitsISN_E10value_typeEPNST_ISO_E10value_typeEPSP_NS1_7vsmem_tEENKUlT_SN_SO_SP_E_clIS8_S8_S9_S9_EESM_S12_SN_SO_SP_EUlS12_E1_NS1_11comp_targetILNS1_3genE10ELNS1_11target_archE1201ELNS1_3gpuE5ELNS1_3repE0EEENS1_36merge_oddeven_config_static_selectorELNS0_4arch9wavefront6targetE0EEEvSO_.num_agpr, 0
	.set _ZN7rocprim17ROCPRIM_400000_NS6detail17trampoline_kernelINS0_14default_configENS1_38merge_sort_block_merge_config_selectorIlNS0_10empty_typeEEEZZNS1_27merge_sort_block_merge_implIS3_PlPS5_mZN2at6native12_GLOBAL__N_124unique_dim_cuda_templateIN3c104HalfEEESt5tupleIJNSA_6TensorESH_SH_EERKSH_lbbbEUlllE_EE10hipError_tT0_T1_T2_jT3_P12ihipStream_tbPNSt15iterator_traitsISN_E10value_typeEPNST_ISO_E10value_typeEPSP_NS1_7vsmem_tEENKUlT_SN_SO_SP_E_clIS8_S8_S9_S9_EESM_S12_SN_SO_SP_EUlS12_E1_NS1_11comp_targetILNS1_3genE10ELNS1_11target_archE1201ELNS1_3gpuE5ELNS1_3repE0EEENS1_36merge_oddeven_config_static_selectorELNS0_4arch9wavefront6targetE0EEEvSO_.numbered_sgpr, 0
	.set _ZN7rocprim17ROCPRIM_400000_NS6detail17trampoline_kernelINS0_14default_configENS1_38merge_sort_block_merge_config_selectorIlNS0_10empty_typeEEEZZNS1_27merge_sort_block_merge_implIS3_PlPS5_mZN2at6native12_GLOBAL__N_124unique_dim_cuda_templateIN3c104HalfEEESt5tupleIJNSA_6TensorESH_SH_EERKSH_lbbbEUlllE_EE10hipError_tT0_T1_T2_jT3_P12ihipStream_tbPNSt15iterator_traitsISN_E10value_typeEPNST_ISO_E10value_typeEPSP_NS1_7vsmem_tEENKUlT_SN_SO_SP_E_clIS8_S8_S9_S9_EESM_S12_SN_SO_SP_EUlS12_E1_NS1_11comp_targetILNS1_3genE10ELNS1_11target_archE1201ELNS1_3gpuE5ELNS1_3repE0EEENS1_36merge_oddeven_config_static_selectorELNS0_4arch9wavefront6targetE0EEEvSO_.num_named_barrier, 0
	.set _ZN7rocprim17ROCPRIM_400000_NS6detail17trampoline_kernelINS0_14default_configENS1_38merge_sort_block_merge_config_selectorIlNS0_10empty_typeEEEZZNS1_27merge_sort_block_merge_implIS3_PlPS5_mZN2at6native12_GLOBAL__N_124unique_dim_cuda_templateIN3c104HalfEEESt5tupleIJNSA_6TensorESH_SH_EERKSH_lbbbEUlllE_EE10hipError_tT0_T1_T2_jT3_P12ihipStream_tbPNSt15iterator_traitsISN_E10value_typeEPNST_ISO_E10value_typeEPSP_NS1_7vsmem_tEENKUlT_SN_SO_SP_E_clIS8_S8_S9_S9_EESM_S12_SN_SO_SP_EUlS12_E1_NS1_11comp_targetILNS1_3genE10ELNS1_11target_archE1201ELNS1_3gpuE5ELNS1_3repE0EEENS1_36merge_oddeven_config_static_selectorELNS0_4arch9wavefront6targetE0EEEvSO_.private_seg_size, 0
	.set _ZN7rocprim17ROCPRIM_400000_NS6detail17trampoline_kernelINS0_14default_configENS1_38merge_sort_block_merge_config_selectorIlNS0_10empty_typeEEEZZNS1_27merge_sort_block_merge_implIS3_PlPS5_mZN2at6native12_GLOBAL__N_124unique_dim_cuda_templateIN3c104HalfEEESt5tupleIJNSA_6TensorESH_SH_EERKSH_lbbbEUlllE_EE10hipError_tT0_T1_T2_jT3_P12ihipStream_tbPNSt15iterator_traitsISN_E10value_typeEPNST_ISO_E10value_typeEPSP_NS1_7vsmem_tEENKUlT_SN_SO_SP_E_clIS8_S8_S9_S9_EESM_S12_SN_SO_SP_EUlS12_E1_NS1_11comp_targetILNS1_3genE10ELNS1_11target_archE1201ELNS1_3gpuE5ELNS1_3repE0EEENS1_36merge_oddeven_config_static_selectorELNS0_4arch9wavefront6targetE0EEEvSO_.uses_vcc, 0
	.set _ZN7rocprim17ROCPRIM_400000_NS6detail17trampoline_kernelINS0_14default_configENS1_38merge_sort_block_merge_config_selectorIlNS0_10empty_typeEEEZZNS1_27merge_sort_block_merge_implIS3_PlPS5_mZN2at6native12_GLOBAL__N_124unique_dim_cuda_templateIN3c104HalfEEESt5tupleIJNSA_6TensorESH_SH_EERKSH_lbbbEUlllE_EE10hipError_tT0_T1_T2_jT3_P12ihipStream_tbPNSt15iterator_traitsISN_E10value_typeEPNST_ISO_E10value_typeEPSP_NS1_7vsmem_tEENKUlT_SN_SO_SP_E_clIS8_S8_S9_S9_EESM_S12_SN_SO_SP_EUlS12_E1_NS1_11comp_targetILNS1_3genE10ELNS1_11target_archE1201ELNS1_3gpuE5ELNS1_3repE0EEENS1_36merge_oddeven_config_static_selectorELNS0_4arch9wavefront6targetE0EEEvSO_.uses_flat_scratch, 0
	.set _ZN7rocprim17ROCPRIM_400000_NS6detail17trampoline_kernelINS0_14default_configENS1_38merge_sort_block_merge_config_selectorIlNS0_10empty_typeEEEZZNS1_27merge_sort_block_merge_implIS3_PlPS5_mZN2at6native12_GLOBAL__N_124unique_dim_cuda_templateIN3c104HalfEEESt5tupleIJNSA_6TensorESH_SH_EERKSH_lbbbEUlllE_EE10hipError_tT0_T1_T2_jT3_P12ihipStream_tbPNSt15iterator_traitsISN_E10value_typeEPNST_ISO_E10value_typeEPSP_NS1_7vsmem_tEENKUlT_SN_SO_SP_E_clIS8_S8_S9_S9_EESM_S12_SN_SO_SP_EUlS12_E1_NS1_11comp_targetILNS1_3genE10ELNS1_11target_archE1201ELNS1_3gpuE5ELNS1_3repE0EEENS1_36merge_oddeven_config_static_selectorELNS0_4arch9wavefront6targetE0EEEvSO_.has_dyn_sized_stack, 0
	.set _ZN7rocprim17ROCPRIM_400000_NS6detail17trampoline_kernelINS0_14default_configENS1_38merge_sort_block_merge_config_selectorIlNS0_10empty_typeEEEZZNS1_27merge_sort_block_merge_implIS3_PlPS5_mZN2at6native12_GLOBAL__N_124unique_dim_cuda_templateIN3c104HalfEEESt5tupleIJNSA_6TensorESH_SH_EERKSH_lbbbEUlllE_EE10hipError_tT0_T1_T2_jT3_P12ihipStream_tbPNSt15iterator_traitsISN_E10value_typeEPNST_ISO_E10value_typeEPSP_NS1_7vsmem_tEENKUlT_SN_SO_SP_E_clIS8_S8_S9_S9_EESM_S12_SN_SO_SP_EUlS12_E1_NS1_11comp_targetILNS1_3genE10ELNS1_11target_archE1201ELNS1_3gpuE5ELNS1_3repE0EEENS1_36merge_oddeven_config_static_selectorELNS0_4arch9wavefront6targetE0EEEvSO_.has_recursion, 0
	.set _ZN7rocprim17ROCPRIM_400000_NS6detail17trampoline_kernelINS0_14default_configENS1_38merge_sort_block_merge_config_selectorIlNS0_10empty_typeEEEZZNS1_27merge_sort_block_merge_implIS3_PlPS5_mZN2at6native12_GLOBAL__N_124unique_dim_cuda_templateIN3c104HalfEEESt5tupleIJNSA_6TensorESH_SH_EERKSH_lbbbEUlllE_EE10hipError_tT0_T1_T2_jT3_P12ihipStream_tbPNSt15iterator_traitsISN_E10value_typeEPNST_ISO_E10value_typeEPSP_NS1_7vsmem_tEENKUlT_SN_SO_SP_E_clIS8_S8_S9_S9_EESM_S12_SN_SO_SP_EUlS12_E1_NS1_11comp_targetILNS1_3genE10ELNS1_11target_archE1201ELNS1_3gpuE5ELNS1_3repE0EEENS1_36merge_oddeven_config_static_selectorELNS0_4arch9wavefront6targetE0EEEvSO_.has_indirect_call, 0
	.section	.AMDGPU.csdata,"",@progbits
; Kernel info:
; codeLenInByte = 0
; TotalNumSgprs: 0
; NumVgprs: 0
; ScratchSize: 0
; MemoryBound: 0
; FloatMode: 240
; IeeeMode: 1
; LDSByteSize: 0 bytes/workgroup (compile time only)
; SGPRBlocks: 0
; VGPRBlocks: 0
; NumSGPRsForWavesPerEU: 1
; NumVGPRsForWavesPerEU: 1
; NamedBarCnt: 0
; Occupancy: 16
; WaveLimiterHint : 0
; COMPUTE_PGM_RSRC2:SCRATCH_EN: 0
; COMPUTE_PGM_RSRC2:USER_SGPR: 2
; COMPUTE_PGM_RSRC2:TRAP_HANDLER: 0
; COMPUTE_PGM_RSRC2:TGID_X_EN: 1
; COMPUTE_PGM_RSRC2:TGID_Y_EN: 0
; COMPUTE_PGM_RSRC2:TGID_Z_EN: 0
; COMPUTE_PGM_RSRC2:TIDIG_COMP_CNT: 0
	.section	.text._ZN7rocprim17ROCPRIM_400000_NS6detail17trampoline_kernelINS0_14default_configENS1_38merge_sort_block_merge_config_selectorIlNS0_10empty_typeEEEZZNS1_27merge_sort_block_merge_implIS3_PlPS5_mZN2at6native12_GLOBAL__N_124unique_dim_cuda_templateIN3c104HalfEEESt5tupleIJNSA_6TensorESH_SH_EERKSH_lbbbEUlllE_EE10hipError_tT0_T1_T2_jT3_P12ihipStream_tbPNSt15iterator_traitsISN_E10value_typeEPNST_ISO_E10value_typeEPSP_NS1_7vsmem_tEENKUlT_SN_SO_SP_E_clIS8_S8_S9_S9_EESM_S12_SN_SO_SP_EUlS12_E1_NS1_11comp_targetILNS1_3genE5ELNS1_11target_archE942ELNS1_3gpuE9ELNS1_3repE0EEENS1_36merge_oddeven_config_static_selectorELNS0_4arch9wavefront6targetE0EEEvSO_,"axG",@progbits,_ZN7rocprim17ROCPRIM_400000_NS6detail17trampoline_kernelINS0_14default_configENS1_38merge_sort_block_merge_config_selectorIlNS0_10empty_typeEEEZZNS1_27merge_sort_block_merge_implIS3_PlPS5_mZN2at6native12_GLOBAL__N_124unique_dim_cuda_templateIN3c104HalfEEESt5tupleIJNSA_6TensorESH_SH_EERKSH_lbbbEUlllE_EE10hipError_tT0_T1_T2_jT3_P12ihipStream_tbPNSt15iterator_traitsISN_E10value_typeEPNST_ISO_E10value_typeEPSP_NS1_7vsmem_tEENKUlT_SN_SO_SP_E_clIS8_S8_S9_S9_EESM_S12_SN_SO_SP_EUlS12_E1_NS1_11comp_targetILNS1_3genE5ELNS1_11target_archE942ELNS1_3gpuE9ELNS1_3repE0EEENS1_36merge_oddeven_config_static_selectorELNS0_4arch9wavefront6targetE0EEEvSO_,comdat
	.globl	_ZN7rocprim17ROCPRIM_400000_NS6detail17trampoline_kernelINS0_14default_configENS1_38merge_sort_block_merge_config_selectorIlNS0_10empty_typeEEEZZNS1_27merge_sort_block_merge_implIS3_PlPS5_mZN2at6native12_GLOBAL__N_124unique_dim_cuda_templateIN3c104HalfEEESt5tupleIJNSA_6TensorESH_SH_EERKSH_lbbbEUlllE_EE10hipError_tT0_T1_T2_jT3_P12ihipStream_tbPNSt15iterator_traitsISN_E10value_typeEPNST_ISO_E10value_typeEPSP_NS1_7vsmem_tEENKUlT_SN_SO_SP_E_clIS8_S8_S9_S9_EESM_S12_SN_SO_SP_EUlS12_E1_NS1_11comp_targetILNS1_3genE5ELNS1_11target_archE942ELNS1_3gpuE9ELNS1_3repE0EEENS1_36merge_oddeven_config_static_selectorELNS0_4arch9wavefront6targetE0EEEvSO_ ; -- Begin function _ZN7rocprim17ROCPRIM_400000_NS6detail17trampoline_kernelINS0_14default_configENS1_38merge_sort_block_merge_config_selectorIlNS0_10empty_typeEEEZZNS1_27merge_sort_block_merge_implIS3_PlPS5_mZN2at6native12_GLOBAL__N_124unique_dim_cuda_templateIN3c104HalfEEESt5tupleIJNSA_6TensorESH_SH_EERKSH_lbbbEUlllE_EE10hipError_tT0_T1_T2_jT3_P12ihipStream_tbPNSt15iterator_traitsISN_E10value_typeEPNST_ISO_E10value_typeEPSP_NS1_7vsmem_tEENKUlT_SN_SO_SP_E_clIS8_S8_S9_S9_EESM_S12_SN_SO_SP_EUlS12_E1_NS1_11comp_targetILNS1_3genE5ELNS1_11target_archE942ELNS1_3gpuE9ELNS1_3repE0EEENS1_36merge_oddeven_config_static_selectorELNS0_4arch9wavefront6targetE0EEEvSO_
	.p2align	8
	.type	_ZN7rocprim17ROCPRIM_400000_NS6detail17trampoline_kernelINS0_14default_configENS1_38merge_sort_block_merge_config_selectorIlNS0_10empty_typeEEEZZNS1_27merge_sort_block_merge_implIS3_PlPS5_mZN2at6native12_GLOBAL__N_124unique_dim_cuda_templateIN3c104HalfEEESt5tupleIJNSA_6TensorESH_SH_EERKSH_lbbbEUlllE_EE10hipError_tT0_T1_T2_jT3_P12ihipStream_tbPNSt15iterator_traitsISN_E10value_typeEPNST_ISO_E10value_typeEPSP_NS1_7vsmem_tEENKUlT_SN_SO_SP_E_clIS8_S8_S9_S9_EESM_S12_SN_SO_SP_EUlS12_E1_NS1_11comp_targetILNS1_3genE5ELNS1_11target_archE942ELNS1_3gpuE9ELNS1_3repE0EEENS1_36merge_oddeven_config_static_selectorELNS0_4arch9wavefront6targetE0EEEvSO_,@function
_ZN7rocprim17ROCPRIM_400000_NS6detail17trampoline_kernelINS0_14default_configENS1_38merge_sort_block_merge_config_selectorIlNS0_10empty_typeEEEZZNS1_27merge_sort_block_merge_implIS3_PlPS5_mZN2at6native12_GLOBAL__N_124unique_dim_cuda_templateIN3c104HalfEEESt5tupleIJNSA_6TensorESH_SH_EERKSH_lbbbEUlllE_EE10hipError_tT0_T1_T2_jT3_P12ihipStream_tbPNSt15iterator_traitsISN_E10value_typeEPNST_ISO_E10value_typeEPSP_NS1_7vsmem_tEENKUlT_SN_SO_SP_E_clIS8_S8_S9_S9_EESM_S12_SN_SO_SP_EUlS12_E1_NS1_11comp_targetILNS1_3genE5ELNS1_11target_archE942ELNS1_3gpuE9ELNS1_3repE0EEENS1_36merge_oddeven_config_static_selectorELNS0_4arch9wavefront6targetE0EEEvSO_: ; @_ZN7rocprim17ROCPRIM_400000_NS6detail17trampoline_kernelINS0_14default_configENS1_38merge_sort_block_merge_config_selectorIlNS0_10empty_typeEEEZZNS1_27merge_sort_block_merge_implIS3_PlPS5_mZN2at6native12_GLOBAL__N_124unique_dim_cuda_templateIN3c104HalfEEESt5tupleIJNSA_6TensorESH_SH_EERKSH_lbbbEUlllE_EE10hipError_tT0_T1_T2_jT3_P12ihipStream_tbPNSt15iterator_traitsISN_E10value_typeEPNST_ISO_E10value_typeEPSP_NS1_7vsmem_tEENKUlT_SN_SO_SP_E_clIS8_S8_S9_S9_EESM_S12_SN_SO_SP_EUlS12_E1_NS1_11comp_targetILNS1_3genE5ELNS1_11target_archE942ELNS1_3gpuE9ELNS1_3repE0EEENS1_36merge_oddeven_config_static_selectorELNS0_4arch9wavefront6targetE0EEEvSO_
; %bb.0:
	.section	.rodata,"a",@progbits
	.p2align	6, 0x0
	.amdhsa_kernel _ZN7rocprim17ROCPRIM_400000_NS6detail17trampoline_kernelINS0_14default_configENS1_38merge_sort_block_merge_config_selectorIlNS0_10empty_typeEEEZZNS1_27merge_sort_block_merge_implIS3_PlPS5_mZN2at6native12_GLOBAL__N_124unique_dim_cuda_templateIN3c104HalfEEESt5tupleIJNSA_6TensorESH_SH_EERKSH_lbbbEUlllE_EE10hipError_tT0_T1_T2_jT3_P12ihipStream_tbPNSt15iterator_traitsISN_E10value_typeEPNST_ISO_E10value_typeEPSP_NS1_7vsmem_tEENKUlT_SN_SO_SP_E_clIS8_S8_S9_S9_EESM_S12_SN_SO_SP_EUlS12_E1_NS1_11comp_targetILNS1_3genE5ELNS1_11target_archE942ELNS1_3gpuE9ELNS1_3repE0EEENS1_36merge_oddeven_config_static_selectorELNS0_4arch9wavefront6targetE0EEEvSO_
		.amdhsa_group_segment_fixed_size 0
		.amdhsa_private_segment_fixed_size 0
		.amdhsa_kernarg_size 64
		.amdhsa_user_sgpr_count 2
		.amdhsa_user_sgpr_dispatch_ptr 0
		.amdhsa_user_sgpr_queue_ptr 0
		.amdhsa_user_sgpr_kernarg_segment_ptr 1
		.amdhsa_user_sgpr_dispatch_id 0
		.amdhsa_user_sgpr_kernarg_preload_length 0
		.amdhsa_user_sgpr_kernarg_preload_offset 0
		.amdhsa_user_sgpr_private_segment_size 0
		.amdhsa_wavefront_size32 1
		.amdhsa_uses_dynamic_stack 0
		.amdhsa_enable_private_segment 0
		.amdhsa_system_sgpr_workgroup_id_x 1
		.amdhsa_system_sgpr_workgroup_id_y 0
		.amdhsa_system_sgpr_workgroup_id_z 0
		.amdhsa_system_sgpr_workgroup_info 0
		.amdhsa_system_vgpr_workitem_id 0
		.amdhsa_next_free_vgpr 1
		.amdhsa_next_free_sgpr 1
		.amdhsa_named_barrier_count 0
		.amdhsa_reserve_vcc 0
		.amdhsa_float_round_mode_32 0
		.amdhsa_float_round_mode_16_64 0
		.amdhsa_float_denorm_mode_32 3
		.amdhsa_float_denorm_mode_16_64 3
		.amdhsa_fp16_overflow 0
		.amdhsa_memory_ordered 1
		.amdhsa_forward_progress 1
		.amdhsa_inst_pref_size 0
		.amdhsa_round_robin_scheduling 0
		.amdhsa_exception_fp_ieee_invalid_op 0
		.amdhsa_exception_fp_denorm_src 0
		.amdhsa_exception_fp_ieee_div_zero 0
		.amdhsa_exception_fp_ieee_overflow 0
		.amdhsa_exception_fp_ieee_underflow 0
		.amdhsa_exception_fp_ieee_inexact 0
		.amdhsa_exception_int_div_zero 0
	.end_amdhsa_kernel
	.section	.text._ZN7rocprim17ROCPRIM_400000_NS6detail17trampoline_kernelINS0_14default_configENS1_38merge_sort_block_merge_config_selectorIlNS0_10empty_typeEEEZZNS1_27merge_sort_block_merge_implIS3_PlPS5_mZN2at6native12_GLOBAL__N_124unique_dim_cuda_templateIN3c104HalfEEESt5tupleIJNSA_6TensorESH_SH_EERKSH_lbbbEUlllE_EE10hipError_tT0_T1_T2_jT3_P12ihipStream_tbPNSt15iterator_traitsISN_E10value_typeEPNST_ISO_E10value_typeEPSP_NS1_7vsmem_tEENKUlT_SN_SO_SP_E_clIS8_S8_S9_S9_EESM_S12_SN_SO_SP_EUlS12_E1_NS1_11comp_targetILNS1_3genE5ELNS1_11target_archE942ELNS1_3gpuE9ELNS1_3repE0EEENS1_36merge_oddeven_config_static_selectorELNS0_4arch9wavefront6targetE0EEEvSO_,"axG",@progbits,_ZN7rocprim17ROCPRIM_400000_NS6detail17trampoline_kernelINS0_14default_configENS1_38merge_sort_block_merge_config_selectorIlNS0_10empty_typeEEEZZNS1_27merge_sort_block_merge_implIS3_PlPS5_mZN2at6native12_GLOBAL__N_124unique_dim_cuda_templateIN3c104HalfEEESt5tupleIJNSA_6TensorESH_SH_EERKSH_lbbbEUlllE_EE10hipError_tT0_T1_T2_jT3_P12ihipStream_tbPNSt15iterator_traitsISN_E10value_typeEPNST_ISO_E10value_typeEPSP_NS1_7vsmem_tEENKUlT_SN_SO_SP_E_clIS8_S8_S9_S9_EESM_S12_SN_SO_SP_EUlS12_E1_NS1_11comp_targetILNS1_3genE5ELNS1_11target_archE942ELNS1_3gpuE9ELNS1_3repE0EEENS1_36merge_oddeven_config_static_selectorELNS0_4arch9wavefront6targetE0EEEvSO_,comdat
.Lfunc_end1266:
	.size	_ZN7rocprim17ROCPRIM_400000_NS6detail17trampoline_kernelINS0_14default_configENS1_38merge_sort_block_merge_config_selectorIlNS0_10empty_typeEEEZZNS1_27merge_sort_block_merge_implIS3_PlPS5_mZN2at6native12_GLOBAL__N_124unique_dim_cuda_templateIN3c104HalfEEESt5tupleIJNSA_6TensorESH_SH_EERKSH_lbbbEUlllE_EE10hipError_tT0_T1_T2_jT3_P12ihipStream_tbPNSt15iterator_traitsISN_E10value_typeEPNST_ISO_E10value_typeEPSP_NS1_7vsmem_tEENKUlT_SN_SO_SP_E_clIS8_S8_S9_S9_EESM_S12_SN_SO_SP_EUlS12_E1_NS1_11comp_targetILNS1_3genE5ELNS1_11target_archE942ELNS1_3gpuE9ELNS1_3repE0EEENS1_36merge_oddeven_config_static_selectorELNS0_4arch9wavefront6targetE0EEEvSO_, .Lfunc_end1266-_ZN7rocprim17ROCPRIM_400000_NS6detail17trampoline_kernelINS0_14default_configENS1_38merge_sort_block_merge_config_selectorIlNS0_10empty_typeEEEZZNS1_27merge_sort_block_merge_implIS3_PlPS5_mZN2at6native12_GLOBAL__N_124unique_dim_cuda_templateIN3c104HalfEEESt5tupleIJNSA_6TensorESH_SH_EERKSH_lbbbEUlllE_EE10hipError_tT0_T1_T2_jT3_P12ihipStream_tbPNSt15iterator_traitsISN_E10value_typeEPNST_ISO_E10value_typeEPSP_NS1_7vsmem_tEENKUlT_SN_SO_SP_E_clIS8_S8_S9_S9_EESM_S12_SN_SO_SP_EUlS12_E1_NS1_11comp_targetILNS1_3genE5ELNS1_11target_archE942ELNS1_3gpuE9ELNS1_3repE0EEENS1_36merge_oddeven_config_static_selectorELNS0_4arch9wavefront6targetE0EEEvSO_
                                        ; -- End function
	.set _ZN7rocprim17ROCPRIM_400000_NS6detail17trampoline_kernelINS0_14default_configENS1_38merge_sort_block_merge_config_selectorIlNS0_10empty_typeEEEZZNS1_27merge_sort_block_merge_implIS3_PlPS5_mZN2at6native12_GLOBAL__N_124unique_dim_cuda_templateIN3c104HalfEEESt5tupleIJNSA_6TensorESH_SH_EERKSH_lbbbEUlllE_EE10hipError_tT0_T1_T2_jT3_P12ihipStream_tbPNSt15iterator_traitsISN_E10value_typeEPNST_ISO_E10value_typeEPSP_NS1_7vsmem_tEENKUlT_SN_SO_SP_E_clIS8_S8_S9_S9_EESM_S12_SN_SO_SP_EUlS12_E1_NS1_11comp_targetILNS1_3genE5ELNS1_11target_archE942ELNS1_3gpuE9ELNS1_3repE0EEENS1_36merge_oddeven_config_static_selectorELNS0_4arch9wavefront6targetE0EEEvSO_.num_vgpr, 0
	.set _ZN7rocprim17ROCPRIM_400000_NS6detail17trampoline_kernelINS0_14default_configENS1_38merge_sort_block_merge_config_selectorIlNS0_10empty_typeEEEZZNS1_27merge_sort_block_merge_implIS3_PlPS5_mZN2at6native12_GLOBAL__N_124unique_dim_cuda_templateIN3c104HalfEEESt5tupleIJNSA_6TensorESH_SH_EERKSH_lbbbEUlllE_EE10hipError_tT0_T1_T2_jT3_P12ihipStream_tbPNSt15iterator_traitsISN_E10value_typeEPNST_ISO_E10value_typeEPSP_NS1_7vsmem_tEENKUlT_SN_SO_SP_E_clIS8_S8_S9_S9_EESM_S12_SN_SO_SP_EUlS12_E1_NS1_11comp_targetILNS1_3genE5ELNS1_11target_archE942ELNS1_3gpuE9ELNS1_3repE0EEENS1_36merge_oddeven_config_static_selectorELNS0_4arch9wavefront6targetE0EEEvSO_.num_agpr, 0
	.set _ZN7rocprim17ROCPRIM_400000_NS6detail17trampoline_kernelINS0_14default_configENS1_38merge_sort_block_merge_config_selectorIlNS0_10empty_typeEEEZZNS1_27merge_sort_block_merge_implIS3_PlPS5_mZN2at6native12_GLOBAL__N_124unique_dim_cuda_templateIN3c104HalfEEESt5tupleIJNSA_6TensorESH_SH_EERKSH_lbbbEUlllE_EE10hipError_tT0_T1_T2_jT3_P12ihipStream_tbPNSt15iterator_traitsISN_E10value_typeEPNST_ISO_E10value_typeEPSP_NS1_7vsmem_tEENKUlT_SN_SO_SP_E_clIS8_S8_S9_S9_EESM_S12_SN_SO_SP_EUlS12_E1_NS1_11comp_targetILNS1_3genE5ELNS1_11target_archE942ELNS1_3gpuE9ELNS1_3repE0EEENS1_36merge_oddeven_config_static_selectorELNS0_4arch9wavefront6targetE0EEEvSO_.numbered_sgpr, 0
	.set _ZN7rocprim17ROCPRIM_400000_NS6detail17trampoline_kernelINS0_14default_configENS1_38merge_sort_block_merge_config_selectorIlNS0_10empty_typeEEEZZNS1_27merge_sort_block_merge_implIS3_PlPS5_mZN2at6native12_GLOBAL__N_124unique_dim_cuda_templateIN3c104HalfEEESt5tupleIJNSA_6TensorESH_SH_EERKSH_lbbbEUlllE_EE10hipError_tT0_T1_T2_jT3_P12ihipStream_tbPNSt15iterator_traitsISN_E10value_typeEPNST_ISO_E10value_typeEPSP_NS1_7vsmem_tEENKUlT_SN_SO_SP_E_clIS8_S8_S9_S9_EESM_S12_SN_SO_SP_EUlS12_E1_NS1_11comp_targetILNS1_3genE5ELNS1_11target_archE942ELNS1_3gpuE9ELNS1_3repE0EEENS1_36merge_oddeven_config_static_selectorELNS0_4arch9wavefront6targetE0EEEvSO_.num_named_barrier, 0
	.set _ZN7rocprim17ROCPRIM_400000_NS6detail17trampoline_kernelINS0_14default_configENS1_38merge_sort_block_merge_config_selectorIlNS0_10empty_typeEEEZZNS1_27merge_sort_block_merge_implIS3_PlPS5_mZN2at6native12_GLOBAL__N_124unique_dim_cuda_templateIN3c104HalfEEESt5tupleIJNSA_6TensorESH_SH_EERKSH_lbbbEUlllE_EE10hipError_tT0_T1_T2_jT3_P12ihipStream_tbPNSt15iterator_traitsISN_E10value_typeEPNST_ISO_E10value_typeEPSP_NS1_7vsmem_tEENKUlT_SN_SO_SP_E_clIS8_S8_S9_S9_EESM_S12_SN_SO_SP_EUlS12_E1_NS1_11comp_targetILNS1_3genE5ELNS1_11target_archE942ELNS1_3gpuE9ELNS1_3repE0EEENS1_36merge_oddeven_config_static_selectorELNS0_4arch9wavefront6targetE0EEEvSO_.private_seg_size, 0
	.set _ZN7rocprim17ROCPRIM_400000_NS6detail17trampoline_kernelINS0_14default_configENS1_38merge_sort_block_merge_config_selectorIlNS0_10empty_typeEEEZZNS1_27merge_sort_block_merge_implIS3_PlPS5_mZN2at6native12_GLOBAL__N_124unique_dim_cuda_templateIN3c104HalfEEESt5tupleIJNSA_6TensorESH_SH_EERKSH_lbbbEUlllE_EE10hipError_tT0_T1_T2_jT3_P12ihipStream_tbPNSt15iterator_traitsISN_E10value_typeEPNST_ISO_E10value_typeEPSP_NS1_7vsmem_tEENKUlT_SN_SO_SP_E_clIS8_S8_S9_S9_EESM_S12_SN_SO_SP_EUlS12_E1_NS1_11comp_targetILNS1_3genE5ELNS1_11target_archE942ELNS1_3gpuE9ELNS1_3repE0EEENS1_36merge_oddeven_config_static_selectorELNS0_4arch9wavefront6targetE0EEEvSO_.uses_vcc, 0
	.set _ZN7rocprim17ROCPRIM_400000_NS6detail17trampoline_kernelINS0_14default_configENS1_38merge_sort_block_merge_config_selectorIlNS0_10empty_typeEEEZZNS1_27merge_sort_block_merge_implIS3_PlPS5_mZN2at6native12_GLOBAL__N_124unique_dim_cuda_templateIN3c104HalfEEESt5tupleIJNSA_6TensorESH_SH_EERKSH_lbbbEUlllE_EE10hipError_tT0_T1_T2_jT3_P12ihipStream_tbPNSt15iterator_traitsISN_E10value_typeEPNST_ISO_E10value_typeEPSP_NS1_7vsmem_tEENKUlT_SN_SO_SP_E_clIS8_S8_S9_S9_EESM_S12_SN_SO_SP_EUlS12_E1_NS1_11comp_targetILNS1_3genE5ELNS1_11target_archE942ELNS1_3gpuE9ELNS1_3repE0EEENS1_36merge_oddeven_config_static_selectorELNS0_4arch9wavefront6targetE0EEEvSO_.uses_flat_scratch, 0
	.set _ZN7rocprim17ROCPRIM_400000_NS6detail17trampoline_kernelINS0_14default_configENS1_38merge_sort_block_merge_config_selectorIlNS0_10empty_typeEEEZZNS1_27merge_sort_block_merge_implIS3_PlPS5_mZN2at6native12_GLOBAL__N_124unique_dim_cuda_templateIN3c104HalfEEESt5tupleIJNSA_6TensorESH_SH_EERKSH_lbbbEUlllE_EE10hipError_tT0_T1_T2_jT3_P12ihipStream_tbPNSt15iterator_traitsISN_E10value_typeEPNST_ISO_E10value_typeEPSP_NS1_7vsmem_tEENKUlT_SN_SO_SP_E_clIS8_S8_S9_S9_EESM_S12_SN_SO_SP_EUlS12_E1_NS1_11comp_targetILNS1_3genE5ELNS1_11target_archE942ELNS1_3gpuE9ELNS1_3repE0EEENS1_36merge_oddeven_config_static_selectorELNS0_4arch9wavefront6targetE0EEEvSO_.has_dyn_sized_stack, 0
	.set _ZN7rocprim17ROCPRIM_400000_NS6detail17trampoline_kernelINS0_14default_configENS1_38merge_sort_block_merge_config_selectorIlNS0_10empty_typeEEEZZNS1_27merge_sort_block_merge_implIS3_PlPS5_mZN2at6native12_GLOBAL__N_124unique_dim_cuda_templateIN3c104HalfEEESt5tupleIJNSA_6TensorESH_SH_EERKSH_lbbbEUlllE_EE10hipError_tT0_T1_T2_jT3_P12ihipStream_tbPNSt15iterator_traitsISN_E10value_typeEPNST_ISO_E10value_typeEPSP_NS1_7vsmem_tEENKUlT_SN_SO_SP_E_clIS8_S8_S9_S9_EESM_S12_SN_SO_SP_EUlS12_E1_NS1_11comp_targetILNS1_3genE5ELNS1_11target_archE942ELNS1_3gpuE9ELNS1_3repE0EEENS1_36merge_oddeven_config_static_selectorELNS0_4arch9wavefront6targetE0EEEvSO_.has_recursion, 0
	.set _ZN7rocprim17ROCPRIM_400000_NS6detail17trampoline_kernelINS0_14default_configENS1_38merge_sort_block_merge_config_selectorIlNS0_10empty_typeEEEZZNS1_27merge_sort_block_merge_implIS3_PlPS5_mZN2at6native12_GLOBAL__N_124unique_dim_cuda_templateIN3c104HalfEEESt5tupleIJNSA_6TensorESH_SH_EERKSH_lbbbEUlllE_EE10hipError_tT0_T1_T2_jT3_P12ihipStream_tbPNSt15iterator_traitsISN_E10value_typeEPNST_ISO_E10value_typeEPSP_NS1_7vsmem_tEENKUlT_SN_SO_SP_E_clIS8_S8_S9_S9_EESM_S12_SN_SO_SP_EUlS12_E1_NS1_11comp_targetILNS1_3genE5ELNS1_11target_archE942ELNS1_3gpuE9ELNS1_3repE0EEENS1_36merge_oddeven_config_static_selectorELNS0_4arch9wavefront6targetE0EEEvSO_.has_indirect_call, 0
	.section	.AMDGPU.csdata,"",@progbits
; Kernel info:
; codeLenInByte = 0
; TotalNumSgprs: 0
; NumVgprs: 0
; ScratchSize: 0
; MemoryBound: 0
; FloatMode: 240
; IeeeMode: 1
; LDSByteSize: 0 bytes/workgroup (compile time only)
; SGPRBlocks: 0
; VGPRBlocks: 0
; NumSGPRsForWavesPerEU: 1
; NumVGPRsForWavesPerEU: 1
; NamedBarCnt: 0
; Occupancy: 16
; WaveLimiterHint : 0
; COMPUTE_PGM_RSRC2:SCRATCH_EN: 0
; COMPUTE_PGM_RSRC2:USER_SGPR: 2
; COMPUTE_PGM_RSRC2:TRAP_HANDLER: 0
; COMPUTE_PGM_RSRC2:TGID_X_EN: 1
; COMPUTE_PGM_RSRC2:TGID_Y_EN: 0
; COMPUTE_PGM_RSRC2:TGID_Z_EN: 0
; COMPUTE_PGM_RSRC2:TIDIG_COMP_CNT: 0
	.section	.text._ZN7rocprim17ROCPRIM_400000_NS6detail17trampoline_kernelINS0_14default_configENS1_38merge_sort_block_merge_config_selectorIlNS0_10empty_typeEEEZZNS1_27merge_sort_block_merge_implIS3_PlPS5_mZN2at6native12_GLOBAL__N_124unique_dim_cuda_templateIN3c104HalfEEESt5tupleIJNSA_6TensorESH_SH_EERKSH_lbbbEUlllE_EE10hipError_tT0_T1_T2_jT3_P12ihipStream_tbPNSt15iterator_traitsISN_E10value_typeEPNST_ISO_E10value_typeEPSP_NS1_7vsmem_tEENKUlT_SN_SO_SP_E_clIS8_S8_S9_S9_EESM_S12_SN_SO_SP_EUlS12_E1_NS1_11comp_targetILNS1_3genE4ELNS1_11target_archE910ELNS1_3gpuE8ELNS1_3repE0EEENS1_36merge_oddeven_config_static_selectorELNS0_4arch9wavefront6targetE0EEEvSO_,"axG",@progbits,_ZN7rocprim17ROCPRIM_400000_NS6detail17trampoline_kernelINS0_14default_configENS1_38merge_sort_block_merge_config_selectorIlNS0_10empty_typeEEEZZNS1_27merge_sort_block_merge_implIS3_PlPS5_mZN2at6native12_GLOBAL__N_124unique_dim_cuda_templateIN3c104HalfEEESt5tupleIJNSA_6TensorESH_SH_EERKSH_lbbbEUlllE_EE10hipError_tT0_T1_T2_jT3_P12ihipStream_tbPNSt15iterator_traitsISN_E10value_typeEPNST_ISO_E10value_typeEPSP_NS1_7vsmem_tEENKUlT_SN_SO_SP_E_clIS8_S8_S9_S9_EESM_S12_SN_SO_SP_EUlS12_E1_NS1_11comp_targetILNS1_3genE4ELNS1_11target_archE910ELNS1_3gpuE8ELNS1_3repE0EEENS1_36merge_oddeven_config_static_selectorELNS0_4arch9wavefront6targetE0EEEvSO_,comdat
	.globl	_ZN7rocprim17ROCPRIM_400000_NS6detail17trampoline_kernelINS0_14default_configENS1_38merge_sort_block_merge_config_selectorIlNS0_10empty_typeEEEZZNS1_27merge_sort_block_merge_implIS3_PlPS5_mZN2at6native12_GLOBAL__N_124unique_dim_cuda_templateIN3c104HalfEEESt5tupleIJNSA_6TensorESH_SH_EERKSH_lbbbEUlllE_EE10hipError_tT0_T1_T2_jT3_P12ihipStream_tbPNSt15iterator_traitsISN_E10value_typeEPNST_ISO_E10value_typeEPSP_NS1_7vsmem_tEENKUlT_SN_SO_SP_E_clIS8_S8_S9_S9_EESM_S12_SN_SO_SP_EUlS12_E1_NS1_11comp_targetILNS1_3genE4ELNS1_11target_archE910ELNS1_3gpuE8ELNS1_3repE0EEENS1_36merge_oddeven_config_static_selectorELNS0_4arch9wavefront6targetE0EEEvSO_ ; -- Begin function _ZN7rocprim17ROCPRIM_400000_NS6detail17trampoline_kernelINS0_14default_configENS1_38merge_sort_block_merge_config_selectorIlNS0_10empty_typeEEEZZNS1_27merge_sort_block_merge_implIS3_PlPS5_mZN2at6native12_GLOBAL__N_124unique_dim_cuda_templateIN3c104HalfEEESt5tupleIJNSA_6TensorESH_SH_EERKSH_lbbbEUlllE_EE10hipError_tT0_T1_T2_jT3_P12ihipStream_tbPNSt15iterator_traitsISN_E10value_typeEPNST_ISO_E10value_typeEPSP_NS1_7vsmem_tEENKUlT_SN_SO_SP_E_clIS8_S8_S9_S9_EESM_S12_SN_SO_SP_EUlS12_E1_NS1_11comp_targetILNS1_3genE4ELNS1_11target_archE910ELNS1_3gpuE8ELNS1_3repE0EEENS1_36merge_oddeven_config_static_selectorELNS0_4arch9wavefront6targetE0EEEvSO_
	.p2align	8
	.type	_ZN7rocprim17ROCPRIM_400000_NS6detail17trampoline_kernelINS0_14default_configENS1_38merge_sort_block_merge_config_selectorIlNS0_10empty_typeEEEZZNS1_27merge_sort_block_merge_implIS3_PlPS5_mZN2at6native12_GLOBAL__N_124unique_dim_cuda_templateIN3c104HalfEEESt5tupleIJNSA_6TensorESH_SH_EERKSH_lbbbEUlllE_EE10hipError_tT0_T1_T2_jT3_P12ihipStream_tbPNSt15iterator_traitsISN_E10value_typeEPNST_ISO_E10value_typeEPSP_NS1_7vsmem_tEENKUlT_SN_SO_SP_E_clIS8_S8_S9_S9_EESM_S12_SN_SO_SP_EUlS12_E1_NS1_11comp_targetILNS1_3genE4ELNS1_11target_archE910ELNS1_3gpuE8ELNS1_3repE0EEENS1_36merge_oddeven_config_static_selectorELNS0_4arch9wavefront6targetE0EEEvSO_,@function
_ZN7rocprim17ROCPRIM_400000_NS6detail17trampoline_kernelINS0_14default_configENS1_38merge_sort_block_merge_config_selectorIlNS0_10empty_typeEEEZZNS1_27merge_sort_block_merge_implIS3_PlPS5_mZN2at6native12_GLOBAL__N_124unique_dim_cuda_templateIN3c104HalfEEESt5tupleIJNSA_6TensorESH_SH_EERKSH_lbbbEUlllE_EE10hipError_tT0_T1_T2_jT3_P12ihipStream_tbPNSt15iterator_traitsISN_E10value_typeEPNST_ISO_E10value_typeEPSP_NS1_7vsmem_tEENKUlT_SN_SO_SP_E_clIS8_S8_S9_S9_EESM_S12_SN_SO_SP_EUlS12_E1_NS1_11comp_targetILNS1_3genE4ELNS1_11target_archE910ELNS1_3gpuE8ELNS1_3repE0EEENS1_36merge_oddeven_config_static_selectorELNS0_4arch9wavefront6targetE0EEEvSO_: ; @_ZN7rocprim17ROCPRIM_400000_NS6detail17trampoline_kernelINS0_14default_configENS1_38merge_sort_block_merge_config_selectorIlNS0_10empty_typeEEEZZNS1_27merge_sort_block_merge_implIS3_PlPS5_mZN2at6native12_GLOBAL__N_124unique_dim_cuda_templateIN3c104HalfEEESt5tupleIJNSA_6TensorESH_SH_EERKSH_lbbbEUlllE_EE10hipError_tT0_T1_T2_jT3_P12ihipStream_tbPNSt15iterator_traitsISN_E10value_typeEPNST_ISO_E10value_typeEPSP_NS1_7vsmem_tEENKUlT_SN_SO_SP_E_clIS8_S8_S9_S9_EESM_S12_SN_SO_SP_EUlS12_E1_NS1_11comp_targetILNS1_3genE4ELNS1_11target_archE910ELNS1_3gpuE8ELNS1_3repE0EEENS1_36merge_oddeven_config_static_selectorELNS0_4arch9wavefront6targetE0EEEvSO_
; %bb.0:
	.section	.rodata,"a",@progbits
	.p2align	6, 0x0
	.amdhsa_kernel _ZN7rocprim17ROCPRIM_400000_NS6detail17trampoline_kernelINS0_14default_configENS1_38merge_sort_block_merge_config_selectorIlNS0_10empty_typeEEEZZNS1_27merge_sort_block_merge_implIS3_PlPS5_mZN2at6native12_GLOBAL__N_124unique_dim_cuda_templateIN3c104HalfEEESt5tupleIJNSA_6TensorESH_SH_EERKSH_lbbbEUlllE_EE10hipError_tT0_T1_T2_jT3_P12ihipStream_tbPNSt15iterator_traitsISN_E10value_typeEPNST_ISO_E10value_typeEPSP_NS1_7vsmem_tEENKUlT_SN_SO_SP_E_clIS8_S8_S9_S9_EESM_S12_SN_SO_SP_EUlS12_E1_NS1_11comp_targetILNS1_3genE4ELNS1_11target_archE910ELNS1_3gpuE8ELNS1_3repE0EEENS1_36merge_oddeven_config_static_selectorELNS0_4arch9wavefront6targetE0EEEvSO_
		.amdhsa_group_segment_fixed_size 0
		.amdhsa_private_segment_fixed_size 0
		.amdhsa_kernarg_size 64
		.amdhsa_user_sgpr_count 2
		.amdhsa_user_sgpr_dispatch_ptr 0
		.amdhsa_user_sgpr_queue_ptr 0
		.amdhsa_user_sgpr_kernarg_segment_ptr 1
		.amdhsa_user_sgpr_dispatch_id 0
		.amdhsa_user_sgpr_kernarg_preload_length 0
		.amdhsa_user_sgpr_kernarg_preload_offset 0
		.amdhsa_user_sgpr_private_segment_size 0
		.amdhsa_wavefront_size32 1
		.amdhsa_uses_dynamic_stack 0
		.amdhsa_enable_private_segment 0
		.amdhsa_system_sgpr_workgroup_id_x 1
		.amdhsa_system_sgpr_workgroup_id_y 0
		.amdhsa_system_sgpr_workgroup_id_z 0
		.amdhsa_system_sgpr_workgroup_info 0
		.amdhsa_system_vgpr_workitem_id 0
		.amdhsa_next_free_vgpr 1
		.amdhsa_next_free_sgpr 1
		.amdhsa_named_barrier_count 0
		.amdhsa_reserve_vcc 0
		.amdhsa_float_round_mode_32 0
		.amdhsa_float_round_mode_16_64 0
		.amdhsa_float_denorm_mode_32 3
		.amdhsa_float_denorm_mode_16_64 3
		.amdhsa_fp16_overflow 0
		.amdhsa_memory_ordered 1
		.amdhsa_forward_progress 1
		.amdhsa_inst_pref_size 0
		.amdhsa_round_robin_scheduling 0
		.amdhsa_exception_fp_ieee_invalid_op 0
		.amdhsa_exception_fp_denorm_src 0
		.amdhsa_exception_fp_ieee_div_zero 0
		.amdhsa_exception_fp_ieee_overflow 0
		.amdhsa_exception_fp_ieee_underflow 0
		.amdhsa_exception_fp_ieee_inexact 0
		.amdhsa_exception_int_div_zero 0
	.end_amdhsa_kernel
	.section	.text._ZN7rocprim17ROCPRIM_400000_NS6detail17trampoline_kernelINS0_14default_configENS1_38merge_sort_block_merge_config_selectorIlNS0_10empty_typeEEEZZNS1_27merge_sort_block_merge_implIS3_PlPS5_mZN2at6native12_GLOBAL__N_124unique_dim_cuda_templateIN3c104HalfEEESt5tupleIJNSA_6TensorESH_SH_EERKSH_lbbbEUlllE_EE10hipError_tT0_T1_T2_jT3_P12ihipStream_tbPNSt15iterator_traitsISN_E10value_typeEPNST_ISO_E10value_typeEPSP_NS1_7vsmem_tEENKUlT_SN_SO_SP_E_clIS8_S8_S9_S9_EESM_S12_SN_SO_SP_EUlS12_E1_NS1_11comp_targetILNS1_3genE4ELNS1_11target_archE910ELNS1_3gpuE8ELNS1_3repE0EEENS1_36merge_oddeven_config_static_selectorELNS0_4arch9wavefront6targetE0EEEvSO_,"axG",@progbits,_ZN7rocprim17ROCPRIM_400000_NS6detail17trampoline_kernelINS0_14default_configENS1_38merge_sort_block_merge_config_selectorIlNS0_10empty_typeEEEZZNS1_27merge_sort_block_merge_implIS3_PlPS5_mZN2at6native12_GLOBAL__N_124unique_dim_cuda_templateIN3c104HalfEEESt5tupleIJNSA_6TensorESH_SH_EERKSH_lbbbEUlllE_EE10hipError_tT0_T1_T2_jT3_P12ihipStream_tbPNSt15iterator_traitsISN_E10value_typeEPNST_ISO_E10value_typeEPSP_NS1_7vsmem_tEENKUlT_SN_SO_SP_E_clIS8_S8_S9_S9_EESM_S12_SN_SO_SP_EUlS12_E1_NS1_11comp_targetILNS1_3genE4ELNS1_11target_archE910ELNS1_3gpuE8ELNS1_3repE0EEENS1_36merge_oddeven_config_static_selectorELNS0_4arch9wavefront6targetE0EEEvSO_,comdat
.Lfunc_end1267:
	.size	_ZN7rocprim17ROCPRIM_400000_NS6detail17trampoline_kernelINS0_14default_configENS1_38merge_sort_block_merge_config_selectorIlNS0_10empty_typeEEEZZNS1_27merge_sort_block_merge_implIS3_PlPS5_mZN2at6native12_GLOBAL__N_124unique_dim_cuda_templateIN3c104HalfEEESt5tupleIJNSA_6TensorESH_SH_EERKSH_lbbbEUlllE_EE10hipError_tT0_T1_T2_jT3_P12ihipStream_tbPNSt15iterator_traitsISN_E10value_typeEPNST_ISO_E10value_typeEPSP_NS1_7vsmem_tEENKUlT_SN_SO_SP_E_clIS8_S8_S9_S9_EESM_S12_SN_SO_SP_EUlS12_E1_NS1_11comp_targetILNS1_3genE4ELNS1_11target_archE910ELNS1_3gpuE8ELNS1_3repE0EEENS1_36merge_oddeven_config_static_selectorELNS0_4arch9wavefront6targetE0EEEvSO_, .Lfunc_end1267-_ZN7rocprim17ROCPRIM_400000_NS6detail17trampoline_kernelINS0_14default_configENS1_38merge_sort_block_merge_config_selectorIlNS0_10empty_typeEEEZZNS1_27merge_sort_block_merge_implIS3_PlPS5_mZN2at6native12_GLOBAL__N_124unique_dim_cuda_templateIN3c104HalfEEESt5tupleIJNSA_6TensorESH_SH_EERKSH_lbbbEUlllE_EE10hipError_tT0_T1_T2_jT3_P12ihipStream_tbPNSt15iterator_traitsISN_E10value_typeEPNST_ISO_E10value_typeEPSP_NS1_7vsmem_tEENKUlT_SN_SO_SP_E_clIS8_S8_S9_S9_EESM_S12_SN_SO_SP_EUlS12_E1_NS1_11comp_targetILNS1_3genE4ELNS1_11target_archE910ELNS1_3gpuE8ELNS1_3repE0EEENS1_36merge_oddeven_config_static_selectorELNS0_4arch9wavefront6targetE0EEEvSO_
                                        ; -- End function
	.set _ZN7rocprim17ROCPRIM_400000_NS6detail17trampoline_kernelINS0_14default_configENS1_38merge_sort_block_merge_config_selectorIlNS0_10empty_typeEEEZZNS1_27merge_sort_block_merge_implIS3_PlPS5_mZN2at6native12_GLOBAL__N_124unique_dim_cuda_templateIN3c104HalfEEESt5tupleIJNSA_6TensorESH_SH_EERKSH_lbbbEUlllE_EE10hipError_tT0_T1_T2_jT3_P12ihipStream_tbPNSt15iterator_traitsISN_E10value_typeEPNST_ISO_E10value_typeEPSP_NS1_7vsmem_tEENKUlT_SN_SO_SP_E_clIS8_S8_S9_S9_EESM_S12_SN_SO_SP_EUlS12_E1_NS1_11comp_targetILNS1_3genE4ELNS1_11target_archE910ELNS1_3gpuE8ELNS1_3repE0EEENS1_36merge_oddeven_config_static_selectorELNS0_4arch9wavefront6targetE0EEEvSO_.num_vgpr, 0
	.set _ZN7rocprim17ROCPRIM_400000_NS6detail17trampoline_kernelINS0_14default_configENS1_38merge_sort_block_merge_config_selectorIlNS0_10empty_typeEEEZZNS1_27merge_sort_block_merge_implIS3_PlPS5_mZN2at6native12_GLOBAL__N_124unique_dim_cuda_templateIN3c104HalfEEESt5tupleIJNSA_6TensorESH_SH_EERKSH_lbbbEUlllE_EE10hipError_tT0_T1_T2_jT3_P12ihipStream_tbPNSt15iterator_traitsISN_E10value_typeEPNST_ISO_E10value_typeEPSP_NS1_7vsmem_tEENKUlT_SN_SO_SP_E_clIS8_S8_S9_S9_EESM_S12_SN_SO_SP_EUlS12_E1_NS1_11comp_targetILNS1_3genE4ELNS1_11target_archE910ELNS1_3gpuE8ELNS1_3repE0EEENS1_36merge_oddeven_config_static_selectorELNS0_4arch9wavefront6targetE0EEEvSO_.num_agpr, 0
	.set _ZN7rocprim17ROCPRIM_400000_NS6detail17trampoline_kernelINS0_14default_configENS1_38merge_sort_block_merge_config_selectorIlNS0_10empty_typeEEEZZNS1_27merge_sort_block_merge_implIS3_PlPS5_mZN2at6native12_GLOBAL__N_124unique_dim_cuda_templateIN3c104HalfEEESt5tupleIJNSA_6TensorESH_SH_EERKSH_lbbbEUlllE_EE10hipError_tT0_T1_T2_jT3_P12ihipStream_tbPNSt15iterator_traitsISN_E10value_typeEPNST_ISO_E10value_typeEPSP_NS1_7vsmem_tEENKUlT_SN_SO_SP_E_clIS8_S8_S9_S9_EESM_S12_SN_SO_SP_EUlS12_E1_NS1_11comp_targetILNS1_3genE4ELNS1_11target_archE910ELNS1_3gpuE8ELNS1_3repE0EEENS1_36merge_oddeven_config_static_selectorELNS0_4arch9wavefront6targetE0EEEvSO_.numbered_sgpr, 0
	.set _ZN7rocprim17ROCPRIM_400000_NS6detail17trampoline_kernelINS0_14default_configENS1_38merge_sort_block_merge_config_selectorIlNS0_10empty_typeEEEZZNS1_27merge_sort_block_merge_implIS3_PlPS5_mZN2at6native12_GLOBAL__N_124unique_dim_cuda_templateIN3c104HalfEEESt5tupleIJNSA_6TensorESH_SH_EERKSH_lbbbEUlllE_EE10hipError_tT0_T1_T2_jT3_P12ihipStream_tbPNSt15iterator_traitsISN_E10value_typeEPNST_ISO_E10value_typeEPSP_NS1_7vsmem_tEENKUlT_SN_SO_SP_E_clIS8_S8_S9_S9_EESM_S12_SN_SO_SP_EUlS12_E1_NS1_11comp_targetILNS1_3genE4ELNS1_11target_archE910ELNS1_3gpuE8ELNS1_3repE0EEENS1_36merge_oddeven_config_static_selectorELNS0_4arch9wavefront6targetE0EEEvSO_.num_named_barrier, 0
	.set _ZN7rocprim17ROCPRIM_400000_NS6detail17trampoline_kernelINS0_14default_configENS1_38merge_sort_block_merge_config_selectorIlNS0_10empty_typeEEEZZNS1_27merge_sort_block_merge_implIS3_PlPS5_mZN2at6native12_GLOBAL__N_124unique_dim_cuda_templateIN3c104HalfEEESt5tupleIJNSA_6TensorESH_SH_EERKSH_lbbbEUlllE_EE10hipError_tT0_T1_T2_jT3_P12ihipStream_tbPNSt15iterator_traitsISN_E10value_typeEPNST_ISO_E10value_typeEPSP_NS1_7vsmem_tEENKUlT_SN_SO_SP_E_clIS8_S8_S9_S9_EESM_S12_SN_SO_SP_EUlS12_E1_NS1_11comp_targetILNS1_3genE4ELNS1_11target_archE910ELNS1_3gpuE8ELNS1_3repE0EEENS1_36merge_oddeven_config_static_selectorELNS0_4arch9wavefront6targetE0EEEvSO_.private_seg_size, 0
	.set _ZN7rocprim17ROCPRIM_400000_NS6detail17trampoline_kernelINS0_14default_configENS1_38merge_sort_block_merge_config_selectorIlNS0_10empty_typeEEEZZNS1_27merge_sort_block_merge_implIS3_PlPS5_mZN2at6native12_GLOBAL__N_124unique_dim_cuda_templateIN3c104HalfEEESt5tupleIJNSA_6TensorESH_SH_EERKSH_lbbbEUlllE_EE10hipError_tT0_T1_T2_jT3_P12ihipStream_tbPNSt15iterator_traitsISN_E10value_typeEPNST_ISO_E10value_typeEPSP_NS1_7vsmem_tEENKUlT_SN_SO_SP_E_clIS8_S8_S9_S9_EESM_S12_SN_SO_SP_EUlS12_E1_NS1_11comp_targetILNS1_3genE4ELNS1_11target_archE910ELNS1_3gpuE8ELNS1_3repE0EEENS1_36merge_oddeven_config_static_selectorELNS0_4arch9wavefront6targetE0EEEvSO_.uses_vcc, 0
	.set _ZN7rocprim17ROCPRIM_400000_NS6detail17trampoline_kernelINS0_14default_configENS1_38merge_sort_block_merge_config_selectorIlNS0_10empty_typeEEEZZNS1_27merge_sort_block_merge_implIS3_PlPS5_mZN2at6native12_GLOBAL__N_124unique_dim_cuda_templateIN3c104HalfEEESt5tupleIJNSA_6TensorESH_SH_EERKSH_lbbbEUlllE_EE10hipError_tT0_T1_T2_jT3_P12ihipStream_tbPNSt15iterator_traitsISN_E10value_typeEPNST_ISO_E10value_typeEPSP_NS1_7vsmem_tEENKUlT_SN_SO_SP_E_clIS8_S8_S9_S9_EESM_S12_SN_SO_SP_EUlS12_E1_NS1_11comp_targetILNS1_3genE4ELNS1_11target_archE910ELNS1_3gpuE8ELNS1_3repE0EEENS1_36merge_oddeven_config_static_selectorELNS0_4arch9wavefront6targetE0EEEvSO_.uses_flat_scratch, 0
	.set _ZN7rocprim17ROCPRIM_400000_NS6detail17trampoline_kernelINS0_14default_configENS1_38merge_sort_block_merge_config_selectorIlNS0_10empty_typeEEEZZNS1_27merge_sort_block_merge_implIS3_PlPS5_mZN2at6native12_GLOBAL__N_124unique_dim_cuda_templateIN3c104HalfEEESt5tupleIJNSA_6TensorESH_SH_EERKSH_lbbbEUlllE_EE10hipError_tT0_T1_T2_jT3_P12ihipStream_tbPNSt15iterator_traitsISN_E10value_typeEPNST_ISO_E10value_typeEPSP_NS1_7vsmem_tEENKUlT_SN_SO_SP_E_clIS8_S8_S9_S9_EESM_S12_SN_SO_SP_EUlS12_E1_NS1_11comp_targetILNS1_3genE4ELNS1_11target_archE910ELNS1_3gpuE8ELNS1_3repE0EEENS1_36merge_oddeven_config_static_selectorELNS0_4arch9wavefront6targetE0EEEvSO_.has_dyn_sized_stack, 0
	.set _ZN7rocprim17ROCPRIM_400000_NS6detail17trampoline_kernelINS0_14default_configENS1_38merge_sort_block_merge_config_selectorIlNS0_10empty_typeEEEZZNS1_27merge_sort_block_merge_implIS3_PlPS5_mZN2at6native12_GLOBAL__N_124unique_dim_cuda_templateIN3c104HalfEEESt5tupleIJNSA_6TensorESH_SH_EERKSH_lbbbEUlllE_EE10hipError_tT0_T1_T2_jT3_P12ihipStream_tbPNSt15iterator_traitsISN_E10value_typeEPNST_ISO_E10value_typeEPSP_NS1_7vsmem_tEENKUlT_SN_SO_SP_E_clIS8_S8_S9_S9_EESM_S12_SN_SO_SP_EUlS12_E1_NS1_11comp_targetILNS1_3genE4ELNS1_11target_archE910ELNS1_3gpuE8ELNS1_3repE0EEENS1_36merge_oddeven_config_static_selectorELNS0_4arch9wavefront6targetE0EEEvSO_.has_recursion, 0
	.set _ZN7rocprim17ROCPRIM_400000_NS6detail17trampoline_kernelINS0_14default_configENS1_38merge_sort_block_merge_config_selectorIlNS0_10empty_typeEEEZZNS1_27merge_sort_block_merge_implIS3_PlPS5_mZN2at6native12_GLOBAL__N_124unique_dim_cuda_templateIN3c104HalfEEESt5tupleIJNSA_6TensorESH_SH_EERKSH_lbbbEUlllE_EE10hipError_tT0_T1_T2_jT3_P12ihipStream_tbPNSt15iterator_traitsISN_E10value_typeEPNST_ISO_E10value_typeEPSP_NS1_7vsmem_tEENKUlT_SN_SO_SP_E_clIS8_S8_S9_S9_EESM_S12_SN_SO_SP_EUlS12_E1_NS1_11comp_targetILNS1_3genE4ELNS1_11target_archE910ELNS1_3gpuE8ELNS1_3repE0EEENS1_36merge_oddeven_config_static_selectorELNS0_4arch9wavefront6targetE0EEEvSO_.has_indirect_call, 0
	.section	.AMDGPU.csdata,"",@progbits
; Kernel info:
; codeLenInByte = 0
; TotalNumSgprs: 0
; NumVgprs: 0
; ScratchSize: 0
; MemoryBound: 0
; FloatMode: 240
; IeeeMode: 1
; LDSByteSize: 0 bytes/workgroup (compile time only)
; SGPRBlocks: 0
; VGPRBlocks: 0
; NumSGPRsForWavesPerEU: 1
; NumVGPRsForWavesPerEU: 1
; NamedBarCnt: 0
; Occupancy: 16
; WaveLimiterHint : 0
; COMPUTE_PGM_RSRC2:SCRATCH_EN: 0
; COMPUTE_PGM_RSRC2:USER_SGPR: 2
; COMPUTE_PGM_RSRC2:TRAP_HANDLER: 0
; COMPUTE_PGM_RSRC2:TGID_X_EN: 1
; COMPUTE_PGM_RSRC2:TGID_Y_EN: 0
; COMPUTE_PGM_RSRC2:TGID_Z_EN: 0
; COMPUTE_PGM_RSRC2:TIDIG_COMP_CNT: 0
	.section	.text._ZN7rocprim17ROCPRIM_400000_NS6detail17trampoline_kernelINS0_14default_configENS1_38merge_sort_block_merge_config_selectorIlNS0_10empty_typeEEEZZNS1_27merge_sort_block_merge_implIS3_PlPS5_mZN2at6native12_GLOBAL__N_124unique_dim_cuda_templateIN3c104HalfEEESt5tupleIJNSA_6TensorESH_SH_EERKSH_lbbbEUlllE_EE10hipError_tT0_T1_T2_jT3_P12ihipStream_tbPNSt15iterator_traitsISN_E10value_typeEPNST_ISO_E10value_typeEPSP_NS1_7vsmem_tEENKUlT_SN_SO_SP_E_clIS8_S8_S9_S9_EESM_S12_SN_SO_SP_EUlS12_E1_NS1_11comp_targetILNS1_3genE3ELNS1_11target_archE908ELNS1_3gpuE7ELNS1_3repE0EEENS1_36merge_oddeven_config_static_selectorELNS0_4arch9wavefront6targetE0EEEvSO_,"axG",@progbits,_ZN7rocprim17ROCPRIM_400000_NS6detail17trampoline_kernelINS0_14default_configENS1_38merge_sort_block_merge_config_selectorIlNS0_10empty_typeEEEZZNS1_27merge_sort_block_merge_implIS3_PlPS5_mZN2at6native12_GLOBAL__N_124unique_dim_cuda_templateIN3c104HalfEEESt5tupleIJNSA_6TensorESH_SH_EERKSH_lbbbEUlllE_EE10hipError_tT0_T1_T2_jT3_P12ihipStream_tbPNSt15iterator_traitsISN_E10value_typeEPNST_ISO_E10value_typeEPSP_NS1_7vsmem_tEENKUlT_SN_SO_SP_E_clIS8_S8_S9_S9_EESM_S12_SN_SO_SP_EUlS12_E1_NS1_11comp_targetILNS1_3genE3ELNS1_11target_archE908ELNS1_3gpuE7ELNS1_3repE0EEENS1_36merge_oddeven_config_static_selectorELNS0_4arch9wavefront6targetE0EEEvSO_,comdat
	.globl	_ZN7rocprim17ROCPRIM_400000_NS6detail17trampoline_kernelINS0_14default_configENS1_38merge_sort_block_merge_config_selectorIlNS0_10empty_typeEEEZZNS1_27merge_sort_block_merge_implIS3_PlPS5_mZN2at6native12_GLOBAL__N_124unique_dim_cuda_templateIN3c104HalfEEESt5tupleIJNSA_6TensorESH_SH_EERKSH_lbbbEUlllE_EE10hipError_tT0_T1_T2_jT3_P12ihipStream_tbPNSt15iterator_traitsISN_E10value_typeEPNST_ISO_E10value_typeEPSP_NS1_7vsmem_tEENKUlT_SN_SO_SP_E_clIS8_S8_S9_S9_EESM_S12_SN_SO_SP_EUlS12_E1_NS1_11comp_targetILNS1_3genE3ELNS1_11target_archE908ELNS1_3gpuE7ELNS1_3repE0EEENS1_36merge_oddeven_config_static_selectorELNS0_4arch9wavefront6targetE0EEEvSO_ ; -- Begin function _ZN7rocprim17ROCPRIM_400000_NS6detail17trampoline_kernelINS0_14default_configENS1_38merge_sort_block_merge_config_selectorIlNS0_10empty_typeEEEZZNS1_27merge_sort_block_merge_implIS3_PlPS5_mZN2at6native12_GLOBAL__N_124unique_dim_cuda_templateIN3c104HalfEEESt5tupleIJNSA_6TensorESH_SH_EERKSH_lbbbEUlllE_EE10hipError_tT0_T1_T2_jT3_P12ihipStream_tbPNSt15iterator_traitsISN_E10value_typeEPNST_ISO_E10value_typeEPSP_NS1_7vsmem_tEENKUlT_SN_SO_SP_E_clIS8_S8_S9_S9_EESM_S12_SN_SO_SP_EUlS12_E1_NS1_11comp_targetILNS1_3genE3ELNS1_11target_archE908ELNS1_3gpuE7ELNS1_3repE0EEENS1_36merge_oddeven_config_static_selectorELNS0_4arch9wavefront6targetE0EEEvSO_
	.p2align	8
	.type	_ZN7rocprim17ROCPRIM_400000_NS6detail17trampoline_kernelINS0_14default_configENS1_38merge_sort_block_merge_config_selectorIlNS0_10empty_typeEEEZZNS1_27merge_sort_block_merge_implIS3_PlPS5_mZN2at6native12_GLOBAL__N_124unique_dim_cuda_templateIN3c104HalfEEESt5tupleIJNSA_6TensorESH_SH_EERKSH_lbbbEUlllE_EE10hipError_tT0_T1_T2_jT3_P12ihipStream_tbPNSt15iterator_traitsISN_E10value_typeEPNST_ISO_E10value_typeEPSP_NS1_7vsmem_tEENKUlT_SN_SO_SP_E_clIS8_S8_S9_S9_EESM_S12_SN_SO_SP_EUlS12_E1_NS1_11comp_targetILNS1_3genE3ELNS1_11target_archE908ELNS1_3gpuE7ELNS1_3repE0EEENS1_36merge_oddeven_config_static_selectorELNS0_4arch9wavefront6targetE0EEEvSO_,@function
_ZN7rocprim17ROCPRIM_400000_NS6detail17trampoline_kernelINS0_14default_configENS1_38merge_sort_block_merge_config_selectorIlNS0_10empty_typeEEEZZNS1_27merge_sort_block_merge_implIS3_PlPS5_mZN2at6native12_GLOBAL__N_124unique_dim_cuda_templateIN3c104HalfEEESt5tupleIJNSA_6TensorESH_SH_EERKSH_lbbbEUlllE_EE10hipError_tT0_T1_T2_jT3_P12ihipStream_tbPNSt15iterator_traitsISN_E10value_typeEPNST_ISO_E10value_typeEPSP_NS1_7vsmem_tEENKUlT_SN_SO_SP_E_clIS8_S8_S9_S9_EESM_S12_SN_SO_SP_EUlS12_E1_NS1_11comp_targetILNS1_3genE3ELNS1_11target_archE908ELNS1_3gpuE7ELNS1_3repE0EEENS1_36merge_oddeven_config_static_selectorELNS0_4arch9wavefront6targetE0EEEvSO_: ; @_ZN7rocprim17ROCPRIM_400000_NS6detail17trampoline_kernelINS0_14default_configENS1_38merge_sort_block_merge_config_selectorIlNS0_10empty_typeEEEZZNS1_27merge_sort_block_merge_implIS3_PlPS5_mZN2at6native12_GLOBAL__N_124unique_dim_cuda_templateIN3c104HalfEEESt5tupleIJNSA_6TensorESH_SH_EERKSH_lbbbEUlllE_EE10hipError_tT0_T1_T2_jT3_P12ihipStream_tbPNSt15iterator_traitsISN_E10value_typeEPNST_ISO_E10value_typeEPSP_NS1_7vsmem_tEENKUlT_SN_SO_SP_E_clIS8_S8_S9_S9_EESM_S12_SN_SO_SP_EUlS12_E1_NS1_11comp_targetILNS1_3genE3ELNS1_11target_archE908ELNS1_3gpuE7ELNS1_3repE0EEENS1_36merge_oddeven_config_static_selectorELNS0_4arch9wavefront6targetE0EEEvSO_
; %bb.0:
	.section	.rodata,"a",@progbits
	.p2align	6, 0x0
	.amdhsa_kernel _ZN7rocprim17ROCPRIM_400000_NS6detail17trampoline_kernelINS0_14default_configENS1_38merge_sort_block_merge_config_selectorIlNS0_10empty_typeEEEZZNS1_27merge_sort_block_merge_implIS3_PlPS5_mZN2at6native12_GLOBAL__N_124unique_dim_cuda_templateIN3c104HalfEEESt5tupleIJNSA_6TensorESH_SH_EERKSH_lbbbEUlllE_EE10hipError_tT0_T1_T2_jT3_P12ihipStream_tbPNSt15iterator_traitsISN_E10value_typeEPNST_ISO_E10value_typeEPSP_NS1_7vsmem_tEENKUlT_SN_SO_SP_E_clIS8_S8_S9_S9_EESM_S12_SN_SO_SP_EUlS12_E1_NS1_11comp_targetILNS1_3genE3ELNS1_11target_archE908ELNS1_3gpuE7ELNS1_3repE0EEENS1_36merge_oddeven_config_static_selectorELNS0_4arch9wavefront6targetE0EEEvSO_
		.amdhsa_group_segment_fixed_size 0
		.amdhsa_private_segment_fixed_size 0
		.amdhsa_kernarg_size 64
		.amdhsa_user_sgpr_count 2
		.amdhsa_user_sgpr_dispatch_ptr 0
		.amdhsa_user_sgpr_queue_ptr 0
		.amdhsa_user_sgpr_kernarg_segment_ptr 1
		.amdhsa_user_sgpr_dispatch_id 0
		.amdhsa_user_sgpr_kernarg_preload_length 0
		.amdhsa_user_sgpr_kernarg_preload_offset 0
		.amdhsa_user_sgpr_private_segment_size 0
		.amdhsa_wavefront_size32 1
		.amdhsa_uses_dynamic_stack 0
		.amdhsa_enable_private_segment 0
		.amdhsa_system_sgpr_workgroup_id_x 1
		.amdhsa_system_sgpr_workgroup_id_y 0
		.amdhsa_system_sgpr_workgroup_id_z 0
		.amdhsa_system_sgpr_workgroup_info 0
		.amdhsa_system_vgpr_workitem_id 0
		.amdhsa_next_free_vgpr 1
		.amdhsa_next_free_sgpr 1
		.amdhsa_named_barrier_count 0
		.amdhsa_reserve_vcc 0
		.amdhsa_float_round_mode_32 0
		.amdhsa_float_round_mode_16_64 0
		.amdhsa_float_denorm_mode_32 3
		.amdhsa_float_denorm_mode_16_64 3
		.amdhsa_fp16_overflow 0
		.amdhsa_memory_ordered 1
		.amdhsa_forward_progress 1
		.amdhsa_inst_pref_size 0
		.amdhsa_round_robin_scheduling 0
		.amdhsa_exception_fp_ieee_invalid_op 0
		.amdhsa_exception_fp_denorm_src 0
		.amdhsa_exception_fp_ieee_div_zero 0
		.amdhsa_exception_fp_ieee_overflow 0
		.amdhsa_exception_fp_ieee_underflow 0
		.amdhsa_exception_fp_ieee_inexact 0
		.amdhsa_exception_int_div_zero 0
	.end_amdhsa_kernel
	.section	.text._ZN7rocprim17ROCPRIM_400000_NS6detail17trampoline_kernelINS0_14default_configENS1_38merge_sort_block_merge_config_selectorIlNS0_10empty_typeEEEZZNS1_27merge_sort_block_merge_implIS3_PlPS5_mZN2at6native12_GLOBAL__N_124unique_dim_cuda_templateIN3c104HalfEEESt5tupleIJNSA_6TensorESH_SH_EERKSH_lbbbEUlllE_EE10hipError_tT0_T1_T2_jT3_P12ihipStream_tbPNSt15iterator_traitsISN_E10value_typeEPNST_ISO_E10value_typeEPSP_NS1_7vsmem_tEENKUlT_SN_SO_SP_E_clIS8_S8_S9_S9_EESM_S12_SN_SO_SP_EUlS12_E1_NS1_11comp_targetILNS1_3genE3ELNS1_11target_archE908ELNS1_3gpuE7ELNS1_3repE0EEENS1_36merge_oddeven_config_static_selectorELNS0_4arch9wavefront6targetE0EEEvSO_,"axG",@progbits,_ZN7rocprim17ROCPRIM_400000_NS6detail17trampoline_kernelINS0_14default_configENS1_38merge_sort_block_merge_config_selectorIlNS0_10empty_typeEEEZZNS1_27merge_sort_block_merge_implIS3_PlPS5_mZN2at6native12_GLOBAL__N_124unique_dim_cuda_templateIN3c104HalfEEESt5tupleIJNSA_6TensorESH_SH_EERKSH_lbbbEUlllE_EE10hipError_tT0_T1_T2_jT3_P12ihipStream_tbPNSt15iterator_traitsISN_E10value_typeEPNST_ISO_E10value_typeEPSP_NS1_7vsmem_tEENKUlT_SN_SO_SP_E_clIS8_S8_S9_S9_EESM_S12_SN_SO_SP_EUlS12_E1_NS1_11comp_targetILNS1_3genE3ELNS1_11target_archE908ELNS1_3gpuE7ELNS1_3repE0EEENS1_36merge_oddeven_config_static_selectorELNS0_4arch9wavefront6targetE0EEEvSO_,comdat
.Lfunc_end1268:
	.size	_ZN7rocprim17ROCPRIM_400000_NS6detail17trampoline_kernelINS0_14default_configENS1_38merge_sort_block_merge_config_selectorIlNS0_10empty_typeEEEZZNS1_27merge_sort_block_merge_implIS3_PlPS5_mZN2at6native12_GLOBAL__N_124unique_dim_cuda_templateIN3c104HalfEEESt5tupleIJNSA_6TensorESH_SH_EERKSH_lbbbEUlllE_EE10hipError_tT0_T1_T2_jT3_P12ihipStream_tbPNSt15iterator_traitsISN_E10value_typeEPNST_ISO_E10value_typeEPSP_NS1_7vsmem_tEENKUlT_SN_SO_SP_E_clIS8_S8_S9_S9_EESM_S12_SN_SO_SP_EUlS12_E1_NS1_11comp_targetILNS1_3genE3ELNS1_11target_archE908ELNS1_3gpuE7ELNS1_3repE0EEENS1_36merge_oddeven_config_static_selectorELNS0_4arch9wavefront6targetE0EEEvSO_, .Lfunc_end1268-_ZN7rocprim17ROCPRIM_400000_NS6detail17trampoline_kernelINS0_14default_configENS1_38merge_sort_block_merge_config_selectorIlNS0_10empty_typeEEEZZNS1_27merge_sort_block_merge_implIS3_PlPS5_mZN2at6native12_GLOBAL__N_124unique_dim_cuda_templateIN3c104HalfEEESt5tupleIJNSA_6TensorESH_SH_EERKSH_lbbbEUlllE_EE10hipError_tT0_T1_T2_jT3_P12ihipStream_tbPNSt15iterator_traitsISN_E10value_typeEPNST_ISO_E10value_typeEPSP_NS1_7vsmem_tEENKUlT_SN_SO_SP_E_clIS8_S8_S9_S9_EESM_S12_SN_SO_SP_EUlS12_E1_NS1_11comp_targetILNS1_3genE3ELNS1_11target_archE908ELNS1_3gpuE7ELNS1_3repE0EEENS1_36merge_oddeven_config_static_selectorELNS0_4arch9wavefront6targetE0EEEvSO_
                                        ; -- End function
	.set _ZN7rocprim17ROCPRIM_400000_NS6detail17trampoline_kernelINS0_14default_configENS1_38merge_sort_block_merge_config_selectorIlNS0_10empty_typeEEEZZNS1_27merge_sort_block_merge_implIS3_PlPS5_mZN2at6native12_GLOBAL__N_124unique_dim_cuda_templateIN3c104HalfEEESt5tupleIJNSA_6TensorESH_SH_EERKSH_lbbbEUlllE_EE10hipError_tT0_T1_T2_jT3_P12ihipStream_tbPNSt15iterator_traitsISN_E10value_typeEPNST_ISO_E10value_typeEPSP_NS1_7vsmem_tEENKUlT_SN_SO_SP_E_clIS8_S8_S9_S9_EESM_S12_SN_SO_SP_EUlS12_E1_NS1_11comp_targetILNS1_3genE3ELNS1_11target_archE908ELNS1_3gpuE7ELNS1_3repE0EEENS1_36merge_oddeven_config_static_selectorELNS0_4arch9wavefront6targetE0EEEvSO_.num_vgpr, 0
	.set _ZN7rocprim17ROCPRIM_400000_NS6detail17trampoline_kernelINS0_14default_configENS1_38merge_sort_block_merge_config_selectorIlNS0_10empty_typeEEEZZNS1_27merge_sort_block_merge_implIS3_PlPS5_mZN2at6native12_GLOBAL__N_124unique_dim_cuda_templateIN3c104HalfEEESt5tupleIJNSA_6TensorESH_SH_EERKSH_lbbbEUlllE_EE10hipError_tT0_T1_T2_jT3_P12ihipStream_tbPNSt15iterator_traitsISN_E10value_typeEPNST_ISO_E10value_typeEPSP_NS1_7vsmem_tEENKUlT_SN_SO_SP_E_clIS8_S8_S9_S9_EESM_S12_SN_SO_SP_EUlS12_E1_NS1_11comp_targetILNS1_3genE3ELNS1_11target_archE908ELNS1_3gpuE7ELNS1_3repE0EEENS1_36merge_oddeven_config_static_selectorELNS0_4arch9wavefront6targetE0EEEvSO_.num_agpr, 0
	.set _ZN7rocprim17ROCPRIM_400000_NS6detail17trampoline_kernelINS0_14default_configENS1_38merge_sort_block_merge_config_selectorIlNS0_10empty_typeEEEZZNS1_27merge_sort_block_merge_implIS3_PlPS5_mZN2at6native12_GLOBAL__N_124unique_dim_cuda_templateIN3c104HalfEEESt5tupleIJNSA_6TensorESH_SH_EERKSH_lbbbEUlllE_EE10hipError_tT0_T1_T2_jT3_P12ihipStream_tbPNSt15iterator_traitsISN_E10value_typeEPNST_ISO_E10value_typeEPSP_NS1_7vsmem_tEENKUlT_SN_SO_SP_E_clIS8_S8_S9_S9_EESM_S12_SN_SO_SP_EUlS12_E1_NS1_11comp_targetILNS1_3genE3ELNS1_11target_archE908ELNS1_3gpuE7ELNS1_3repE0EEENS1_36merge_oddeven_config_static_selectorELNS0_4arch9wavefront6targetE0EEEvSO_.numbered_sgpr, 0
	.set _ZN7rocprim17ROCPRIM_400000_NS6detail17trampoline_kernelINS0_14default_configENS1_38merge_sort_block_merge_config_selectorIlNS0_10empty_typeEEEZZNS1_27merge_sort_block_merge_implIS3_PlPS5_mZN2at6native12_GLOBAL__N_124unique_dim_cuda_templateIN3c104HalfEEESt5tupleIJNSA_6TensorESH_SH_EERKSH_lbbbEUlllE_EE10hipError_tT0_T1_T2_jT3_P12ihipStream_tbPNSt15iterator_traitsISN_E10value_typeEPNST_ISO_E10value_typeEPSP_NS1_7vsmem_tEENKUlT_SN_SO_SP_E_clIS8_S8_S9_S9_EESM_S12_SN_SO_SP_EUlS12_E1_NS1_11comp_targetILNS1_3genE3ELNS1_11target_archE908ELNS1_3gpuE7ELNS1_3repE0EEENS1_36merge_oddeven_config_static_selectorELNS0_4arch9wavefront6targetE0EEEvSO_.num_named_barrier, 0
	.set _ZN7rocprim17ROCPRIM_400000_NS6detail17trampoline_kernelINS0_14default_configENS1_38merge_sort_block_merge_config_selectorIlNS0_10empty_typeEEEZZNS1_27merge_sort_block_merge_implIS3_PlPS5_mZN2at6native12_GLOBAL__N_124unique_dim_cuda_templateIN3c104HalfEEESt5tupleIJNSA_6TensorESH_SH_EERKSH_lbbbEUlllE_EE10hipError_tT0_T1_T2_jT3_P12ihipStream_tbPNSt15iterator_traitsISN_E10value_typeEPNST_ISO_E10value_typeEPSP_NS1_7vsmem_tEENKUlT_SN_SO_SP_E_clIS8_S8_S9_S9_EESM_S12_SN_SO_SP_EUlS12_E1_NS1_11comp_targetILNS1_3genE3ELNS1_11target_archE908ELNS1_3gpuE7ELNS1_3repE0EEENS1_36merge_oddeven_config_static_selectorELNS0_4arch9wavefront6targetE0EEEvSO_.private_seg_size, 0
	.set _ZN7rocprim17ROCPRIM_400000_NS6detail17trampoline_kernelINS0_14default_configENS1_38merge_sort_block_merge_config_selectorIlNS0_10empty_typeEEEZZNS1_27merge_sort_block_merge_implIS3_PlPS5_mZN2at6native12_GLOBAL__N_124unique_dim_cuda_templateIN3c104HalfEEESt5tupleIJNSA_6TensorESH_SH_EERKSH_lbbbEUlllE_EE10hipError_tT0_T1_T2_jT3_P12ihipStream_tbPNSt15iterator_traitsISN_E10value_typeEPNST_ISO_E10value_typeEPSP_NS1_7vsmem_tEENKUlT_SN_SO_SP_E_clIS8_S8_S9_S9_EESM_S12_SN_SO_SP_EUlS12_E1_NS1_11comp_targetILNS1_3genE3ELNS1_11target_archE908ELNS1_3gpuE7ELNS1_3repE0EEENS1_36merge_oddeven_config_static_selectorELNS0_4arch9wavefront6targetE0EEEvSO_.uses_vcc, 0
	.set _ZN7rocprim17ROCPRIM_400000_NS6detail17trampoline_kernelINS0_14default_configENS1_38merge_sort_block_merge_config_selectorIlNS0_10empty_typeEEEZZNS1_27merge_sort_block_merge_implIS3_PlPS5_mZN2at6native12_GLOBAL__N_124unique_dim_cuda_templateIN3c104HalfEEESt5tupleIJNSA_6TensorESH_SH_EERKSH_lbbbEUlllE_EE10hipError_tT0_T1_T2_jT3_P12ihipStream_tbPNSt15iterator_traitsISN_E10value_typeEPNST_ISO_E10value_typeEPSP_NS1_7vsmem_tEENKUlT_SN_SO_SP_E_clIS8_S8_S9_S9_EESM_S12_SN_SO_SP_EUlS12_E1_NS1_11comp_targetILNS1_3genE3ELNS1_11target_archE908ELNS1_3gpuE7ELNS1_3repE0EEENS1_36merge_oddeven_config_static_selectorELNS0_4arch9wavefront6targetE0EEEvSO_.uses_flat_scratch, 0
	.set _ZN7rocprim17ROCPRIM_400000_NS6detail17trampoline_kernelINS0_14default_configENS1_38merge_sort_block_merge_config_selectorIlNS0_10empty_typeEEEZZNS1_27merge_sort_block_merge_implIS3_PlPS5_mZN2at6native12_GLOBAL__N_124unique_dim_cuda_templateIN3c104HalfEEESt5tupleIJNSA_6TensorESH_SH_EERKSH_lbbbEUlllE_EE10hipError_tT0_T1_T2_jT3_P12ihipStream_tbPNSt15iterator_traitsISN_E10value_typeEPNST_ISO_E10value_typeEPSP_NS1_7vsmem_tEENKUlT_SN_SO_SP_E_clIS8_S8_S9_S9_EESM_S12_SN_SO_SP_EUlS12_E1_NS1_11comp_targetILNS1_3genE3ELNS1_11target_archE908ELNS1_3gpuE7ELNS1_3repE0EEENS1_36merge_oddeven_config_static_selectorELNS0_4arch9wavefront6targetE0EEEvSO_.has_dyn_sized_stack, 0
	.set _ZN7rocprim17ROCPRIM_400000_NS6detail17trampoline_kernelINS0_14default_configENS1_38merge_sort_block_merge_config_selectorIlNS0_10empty_typeEEEZZNS1_27merge_sort_block_merge_implIS3_PlPS5_mZN2at6native12_GLOBAL__N_124unique_dim_cuda_templateIN3c104HalfEEESt5tupleIJNSA_6TensorESH_SH_EERKSH_lbbbEUlllE_EE10hipError_tT0_T1_T2_jT3_P12ihipStream_tbPNSt15iterator_traitsISN_E10value_typeEPNST_ISO_E10value_typeEPSP_NS1_7vsmem_tEENKUlT_SN_SO_SP_E_clIS8_S8_S9_S9_EESM_S12_SN_SO_SP_EUlS12_E1_NS1_11comp_targetILNS1_3genE3ELNS1_11target_archE908ELNS1_3gpuE7ELNS1_3repE0EEENS1_36merge_oddeven_config_static_selectorELNS0_4arch9wavefront6targetE0EEEvSO_.has_recursion, 0
	.set _ZN7rocprim17ROCPRIM_400000_NS6detail17trampoline_kernelINS0_14default_configENS1_38merge_sort_block_merge_config_selectorIlNS0_10empty_typeEEEZZNS1_27merge_sort_block_merge_implIS3_PlPS5_mZN2at6native12_GLOBAL__N_124unique_dim_cuda_templateIN3c104HalfEEESt5tupleIJNSA_6TensorESH_SH_EERKSH_lbbbEUlllE_EE10hipError_tT0_T1_T2_jT3_P12ihipStream_tbPNSt15iterator_traitsISN_E10value_typeEPNST_ISO_E10value_typeEPSP_NS1_7vsmem_tEENKUlT_SN_SO_SP_E_clIS8_S8_S9_S9_EESM_S12_SN_SO_SP_EUlS12_E1_NS1_11comp_targetILNS1_3genE3ELNS1_11target_archE908ELNS1_3gpuE7ELNS1_3repE0EEENS1_36merge_oddeven_config_static_selectorELNS0_4arch9wavefront6targetE0EEEvSO_.has_indirect_call, 0
	.section	.AMDGPU.csdata,"",@progbits
; Kernel info:
; codeLenInByte = 0
; TotalNumSgprs: 0
; NumVgprs: 0
; ScratchSize: 0
; MemoryBound: 0
; FloatMode: 240
; IeeeMode: 1
; LDSByteSize: 0 bytes/workgroup (compile time only)
; SGPRBlocks: 0
; VGPRBlocks: 0
; NumSGPRsForWavesPerEU: 1
; NumVGPRsForWavesPerEU: 1
; NamedBarCnt: 0
; Occupancy: 16
; WaveLimiterHint : 0
; COMPUTE_PGM_RSRC2:SCRATCH_EN: 0
; COMPUTE_PGM_RSRC2:USER_SGPR: 2
; COMPUTE_PGM_RSRC2:TRAP_HANDLER: 0
; COMPUTE_PGM_RSRC2:TGID_X_EN: 1
; COMPUTE_PGM_RSRC2:TGID_Y_EN: 0
; COMPUTE_PGM_RSRC2:TGID_Z_EN: 0
; COMPUTE_PGM_RSRC2:TIDIG_COMP_CNT: 0
	.section	.text._ZN7rocprim17ROCPRIM_400000_NS6detail17trampoline_kernelINS0_14default_configENS1_38merge_sort_block_merge_config_selectorIlNS0_10empty_typeEEEZZNS1_27merge_sort_block_merge_implIS3_PlPS5_mZN2at6native12_GLOBAL__N_124unique_dim_cuda_templateIN3c104HalfEEESt5tupleIJNSA_6TensorESH_SH_EERKSH_lbbbEUlllE_EE10hipError_tT0_T1_T2_jT3_P12ihipStream_tbPNSt15iterator_traitsISN_E10value_typeEPNST_ISO_E10value_typeEPSP_NS1_7vsmem_tEENKUlT_SN_SO_SP_E_clIS8_S8_S9_S9_EESM_S12_SN_SO_SP_EUlS12_E1_NS1_11comp_targetILNS1_3genE2ELNS1_11target_archE906ELNS1_3gpuE6ELNS1_3repE0EEENS1_36merge_oddeven_config_static_selectorELNS0_4arch9wavefront6targetE0EEEvSO_,"axG",@progbits,_ZN7rocprim17ROCPRIM_400000_NS6detail17trampoline_kernelINS0_14default_configENS1_38merge_sort_block_merge_config_selectorIlNS0_10empty_typeEEEZZNS1_27merge_sort_block_merge_implIS3_PlPS5_mZN2at6native12_GLOBAL__N_124unique_dim_cuda_templateIN3c104HalfEEESt5tupleIJNSA_6TensorESH_SH_EERKSH_lbbbEUlllE_EE10hipError_tT0_T1_T2_jT3_P12ihipStream_tbPNSt15iterator_traitsISN_E10value_typeEPNST_ISO_E10value_typeEPSP_NS1_7vsmem_tEENKUlT_SN_SO_SP_E_clIS8_S8_S9_S9_EESM_S12_SN_SO_SP_EUlS12_E1_NS1_11comp_targetILNS1_3genE2ELNS1_11target_archE906ELNS1_3gpuE6ELNS1_3repE0EEENS1_36merge_oddeven_config_static_selectorELNS0_4arch9wavefront6targetE0EEEvSO_,comdat
	.globl	_ZN7rocprim17ROCPRIM_400000_NS6detail17trampoline_kernelINS0_14default_configENS1_38merge_sort_block_merge_config_selectorIlNS0_10empty_typeEEEZZNS1_27merge_sort_block_merge_implIS3_PlPS5_mZN2at6native12_GLOBAL__N_124unique_dim_cuda_templateIN3c104HalfEEESt5tupleIJNSA_6TensorESH_SH_EERKSH_lbbbEUlllE_EE10hipError_tT0_T1_T2_jT3_P12ihipStream_tbPNSt15iterator_traitsISN_E10value_typeEPNST_ISO_E10value_typeEPSP_NS1_7vsmem_tEENKUlT_SN_SO_SP_E_clIS8_S8_S9_S9_EESM_S12_SN_SO_SP_EUlS12_E1_NS1_11comp_targetILNS1_3genE2ELNS1_11target_archE906ELNS1_3gpuE6ELNS1_3repE0EEENS1_36merge_oddeven_config_static_selectorELNS0_4arch9wavefront6targetE0EEEvSO_ ; -- Begin function _ZN7rocprim17ROCPRIM_400000_NS6detail17trampoline_kernelINS0_14default_configENS1_38merge_sort_block_merge_config_selectorIlNS0_10empty_typeEEEZZNS1_27merge_sort_block_merge_implIS3_PlPS5_mZN2at6native12_GLOBAL__N_124unique_dim_cuda_templateIN3c104HalfEEESt5tupleIJNSA_6TensorESH_SH_EERKSH_lbbbEUlllE_EE10hipError_tT0_T1_T2_jT3_P12ihipStream_tbPNSt15iterator_traitsISN_E10value_typeEPNST_ISO_E10value_typeEPSP_NS1_7vsmem_tEENKUlT_SN_SO_SP_E_clIS8_S8_S9_S9_EESM_S12_SN_SO_SP_EUlS12_E1_NS1_11comp_targetILNS1_3genE2ELNS1_11target_archE906ELNS1_3gpuE6ELNS1_3repE0EEENS1_36merge_oddeven_config_static_selectorELNS0_4arch9wavefront6targetE0EEEvSO_
	.p2align	8
	.type	_ZN7rocprim17ROCPRIM_400000_NS6detail17trampoline_kernelINS0_14default_configENS1_38merge_sort_block_merge_config_selectorIlNS0_10empty_typeEEEZZNS1_27merge_sort_block_merge_implIS3_PlPS5_mZN2at6native12_GLOBAL__N_124unique_dim_cuda_templateIN3c104HalfEEESt5tupleIJNSA_6TensorESH_SH_EERKSH_lbbbEUlllE_EE10hipError_tT0_T1_T2_jT3_P12ihipStream_tbPNSt15iterator_traitsISN_E10value_typeEPNST_ISO_E10value_typeEPSP_NS1_7vsmem_tEENKUlT_SN_SO_SP_E_clIS8_S8_S9_S9_EESM_S12_SN_SO_SP_EUlS12_E1_NS1_11comp_targetILNS1_3genE2ELNS1_11target_archE906ELNS1_3gpuE6ELNS1_3repE0EEENS1_36merge_oddeven_config_static_selectorELNS0_4arch9wavefront6targetE0EEEvSO_,@function
_ZN7rocprim17ROCPRIM_400000_NS6detail17trampoline_kernelINS0_14default_configENS1_38merge_sort_block_merge_config_selectorIlNS0_10empty_typeEEEZZNS1_27merge_sort_block_merge_implIS3_PlPS5_mZN2at6native12_GLOBAL__N_124unique_dim_cuda_templateIN3c104HalfEEESt5tupleIJNSA_6TensorESH_SH_EERKSH_lbbbEUlllE_EE10hipError_tT0_T1_T2_jT3_P12ihipStream_tbPNSt15iterator_traitsISN_E10value_typeEPNST_ISO_E10value_typeEPSP_NS1_7vsmem_tEENKUlT_SN_SO_SP_E_clIS8_S8_S9_S9_EESM_S12_SN_SO_SP_EUlS12_E1_NS1_11comp_targetILNS1_3genE2ELNS1_11target_archE906ELNS1_3gpuE6ELNS1_3repE0EEENS1_36merge_oddeven_config_static_selectorELNS0_4arch9wavefront6targetE0EEEvSO_: ; @_ZN7rocprim17ROCPRIM_400000_NS6detail17trampoline_kernelINS0_14default_configENS1_38merge_sort_block_merge_config_selectorIlNS0_10empty_typeEEEZZNS1_27merge_sort_block_merge_implIS3_PlPS5_mZN2at6native12_GLOBAL__N_124unique_dim_cuda_templateIN3c104HalfEEESt5tupleIJNSA_6TensorESH_SH_EERKSH_lbbbEUlllE_EE10hipError_tT0_T1_T2_jT3_P12ihipStream_tbPNSt15iterator_traitsISN_E10value_typeEPNST_ISO_E10value_typeEPSP_NS1_7vsmem_tEENKUlT_SN_SO_SP_E_clIS8_S8_S9_S9_EESM_S12_SN_SO_SP_EUlS12_E1_NS1_11comp_targetILNS1_3genE2ELNS1_11target_archE906ELNS1_3gpuE6ELNS1_3repE0EEENS1_36merge_oddeven_config_static_selectorELNS0_4arch9wavefront6targetE0EEEvSO_
; %bb.0:
	.section	.rodata,"a",@progbits
	.p2align	6, 0x0
	.amdhsa_kernel _ZN7rocprim17ROCPRIM_400000_NS6detail17trampoline_kernelINS0_14default_configENS1_38merge_sort_block_merge_config_selectorIlNS0_10empty_typeEEEZZNS1_27merge_sort_block_merge_implIS3_PlPS5_mZN2at6native12_GLOBAL__N_124unique_dim_cuda_templateIN3c104HalfEEESt5tupleIJNSA_6TensorESH_SH_EERKSH_lbbbEUlllE_EE10hipError_tT0_T1_T2_jT3_P12ihipStream_tbPNSt15iterator_traitsISN_E10value_typeEPNST_ISO_E10value_typeEPSP_NS1_7vsmem_tEENKUlT_SN_SO_SP_E_clIS8_S8_S9_S9_EESM_S12_SN_SO_SP_EUlS12_E1_NS1_11comp_targetILNS1_3genE2ELNS1_11target_archE906ELNS1_3gpuE6ELNS1_3repE0EEENS1_36merge_oddeven_config_static_selectorELNS0_4arch9wavefront6targetE0EEEvSO_
		.amdhsa_group_segment_fixed_size 0
		.amdhsa_private_segment_fixed_size 0
		.amdhsa_kernarg_size 64
		.amdhsa_user_sgpr_count 2
		.amdhsa_user_sgpr_dispatch_ptr 0
		.amdhsa_user_sgpr_queue_ptr 0
		.amdhsa_user_sgpr_kernarg_segment_ptr 1
		.amdhsa_user_sgpr_dispatch_id 0
		.amdhsa_user_sgpr_kernarg_preload_length 0
		.amdhsa_user_sgpr_kernarg_preload_offset 0
		.amdhsa_user_sgpr_private_segment_size 0
		.amdhsa_wavefront_size32 1
		.amdhsa_uses_dynamic_stack 0
		.amdhsa_enable_private_segment 0
		.amdhsa_system_sgpr_workgroup_id_x 1
		.amdhsa_system_sgpr_workgroup_id_y 0
		.amdhsa_system_sgpr_workgroup_id_z 0
		.amdhsa_system_sgpr_workgroup_info 0
		.amdhsa_system_vgpr_workitem_id 0
		.amdhsa_next_free_vgpr 1
		.amdhsa_next_free_sgpr 1
		.amdhsa_named_barrier_count 0
		.amdhsa_reserve_vcc 0
		.amdhsa_float_round_mode_32 0
		.amdhsa_float_round_mode_16_64 0
		.amdhsa_float_denorm_mode_32 3
		.amdhsa_float_denorm_mode_16_64 3
		.amdhsa_fp16_overflow 0
		.amdhsa_memory_ordered 1
		.amdhsa_forward_progress 1
		.amdhsa_inst_pref_size 0
		.amdhsa_round_robin_scheduling 0
		.amdhsa_exception_fp_ieee_invalid_op 0
		.amdhsa_exception_fp_denorm_src 0
		.amdhsa_exception_fp_ieee_div_zero 0
		.amdhsa_exception_fp_ieee_overflow 0
		.amdhsa_exception_fp_ieee_underflow 0
		.amdhsa_exception_fp_ieee_inexact 0
		.amdhsa_exception_int_div_zero 0
	.end_amdhsa_kernel
	.section	.text._ZN7rocprim17ROCPRIM_400000_NS6detail17trampoline_kernelINS0_14default_configENS1_38merge_sort_block_merge_config_selectorIlNS0_10empty_typeEEEZZNS1_27merge_sort_block_merge_implIS3_PlPS5_mZN2at6native12_GLOBAL__N_124unique_dim_cuda_templateIN3c104HalfEEESt5tupleIJNSA_6TensorESH_SH_EERKSH_lbbbEUlllE_EE10hipError_tT0_T1_T2_jT3_P12ihipStream_tbPNSt15iterator_traitsISN_E10value_typeEPNST_ISO_E10value_typeEPSP_NS1_7vsmem_tEENKUlT_SN_SO_SP_E_clIS8_S8_S9_S9_EESM_S12_SN_SO_SP_EUlS12_E1_NS1_11comp_targetILNS1_3genE2ELNS1_11target_archE906ELNS1_3gpuE6ELNS1_3repE0EEENS1_36merge_oddeven_config_static_selectorELNS0_4arch9wavefront6targetE0EEEvSO_,"axG",@progbits,_ZN7rocprim17ROCPRIM_400000_NS6detail17trampoline_kernelINS0_14default_configENS1_38merge_sort_block_merge_config_selectorIlNS0_10empty_typeEEEZZNS1_27merge_sort_block_merge_implIS3_PlPS5_mZN2at6native12_GLOBAL__N_124unique_dim_cuda_templateIN3c104HalfEEESt5tupleIJNSA_6TensorESH_SH_EERKSH_lbbbEUlllE_EE10hipError_tT0_T1_T2_jT3_P12ihipStream_tbPNSt15iterator_traitsISN_E10value_typeEPNST_ISO_E10value_typeEPSP_NS1_7vsmem_tEENKUlT_SN_SO_SP_E_clIS8_S8_S9_S9_EESM_S12_SN_SO_SP_EUlS12_E1_NS1_11comp_targetILNS1_3genE2ELNS1_11target_archE906ELNS1_3gpuE6ELNS1_3repE0EEENS1_36merge_oddeven_config_static_selectorELNS0_4arch9wavefront6targetE0EEEvSO_,comdat
.Lfunc_end1269:
	.size	_ZN7rocprim17ROCPRIM_400000_NS6detail17trampoline_kernelINS0_14default_configENS1_38merge_sort_block_merge_config_selectorIlNS0_10empty_typeEEEZZNS1_27merge_sort_block_merge_implIS3_PlPS5_mZN2at6native12_GLOBAL__N_124unique_dim_cuda_templateIN3c104HalfEEESt5tupleIJNSA_6TensorESH_SH_EERKSH_lbbbEUlllE_EE10hipError_tT0_T1_T2_jT3_P12ihipStream_tbPNSt15iterator_traitsISN_E10value_typeEPNST_ISO_E10value_typeEPSP_NS1_7vsmem_tEENKUlT_SN_SO_SP_E_clIS8_S8_S9_S9_EESM_S12_SN_SO_SP_EUlS12_E1_NS1_11comp_targetILNS1_3genE2ELNS1_11target_archE906ELNS1_3gpuE6ELNS1_3repE0EEENS1_36merge_oddeven_config_static_selectorELNS0_4arch9wavefront6targetE0EEEvSO_, .Lfunc_end1269-_ZN7rocprim17ROCPRIM_400000_NS6detail17trampoline_kernelINS0_14default_configENS1_38merge_sort_block_merge_config_selectorIlNS0_10empty_typeEEEZZNS1_27merge_sort_block_merge_implIS3_PlPS5_mZN2at6native12_GLOBAL__N_124unique_dim_cuda_templateIN3c104HalfEEESt5tupleIJNSA_6TensorESH_SH_EERKSH_lbbbEUlllE_EE10hipError_tT0_T1_T2_jT3_P12ihipStream_tbPNSt15iterator_traitsISN_E10value_typeEPNST_ISO_E10value_typeEPSP_NS1_7vsmem_tEENKUlT_SN_SO_SP_E_clIS8_S8_S9_S9_EESM_S12_SN_SO_SP_EUlS12_E1_NS1_11comp_targetILNS1_3genE2ELNS1_11target_archE906ELNS1_3gpuE6ELNS1_3repE0EEENS1_36merge_oddeven_config_static_selectorELNS0_4arch9wavefront6targetE0EEEvSO_
                                        ; -- End function
	.set _ZN7rocprim17ROCPRIM_400000_NS6detail17trampoline_kernelINS0_14default_configENS1_38merge_sort_block_merge_config_selectorIlNS0_10empty_typeEEEZZNS1_27merge_sort_block_merge_implIS3_PlPS5_mZN2at6native12_GLOBAL__N_124unique_dim_cuda_templateIN3c104HalfEEESt5tupleIJNSA_6TensorESH_SH_EERKSH_lbbbEUlllE_EE10hipError_tT0_T1_T2_jT3_P12ihipStream_tbPNSt15iterator_traitsISN_E10value_typeEPNST_ISO_E10value_typeEPSP_NS1_7vsmem_tEENKUlT_SN_SO_SP_E_clIS8_S8_S9_S9_EESM_S12_SN_SO_SP_EUlS12_E1_NS1_11comp_targetILNS1_3genE2ELNS1_11target_archE906ELNS1_3gpuE6ELNS1_3repE0EEENS1_36merge_oddeven_config_static_selectorELNS0_4arch9wavefront6targetE0EEEvSO_.num_vgpr, 0
	.set _ZN7rocprim17ROCPRIM_400000_NS6detail17trampoline_kernelINS0_14default_configENS1_38merge_sort_block_merge_config_selectorIlNS0_10empty_typeEEEZZNS1_27merge_sort_block_merge_implIS3_PlPS5_mZN2at6native12_GLOBAL__N_124unique_dim_cuda_templateIN3c104HalfEEESt5tupleIJNSA_6TensorESH_SH_EERKSH_lbbbEUlllE_EE10hipError_tT0_T1_T2_jT3_P12ihipStream_tbPNSt15iterator_traitsISN_E10value_typeEPNST_ISO_E10value_typeEPSP_NS1_7vsmem_tEENKUlT_SN_SO_SP_E_clIS8_S8_S9_S9_EESM_S12_SN_SO_SP_EUlS12_E1_NS1_11comp_targetILNS1_3genE2ELNS1_11target_archE906ELNS1_3gpuE6ELNS1_3repE0EEENS1_36merge_oddeven_config_static_selectorELNS0_4arch9wavefront6targetE0EEEvSO_.num_agpr, 0
	.set _ZN7rocprim17ROCPRIM_400000_NS6detail17trampoline_kernelINS0_14default_configENS1_38merge_sort_block_merge_config_selectorIlNS0_10empty_typeEEEZZNS1_27merge_sort_block_merge_implIS3_PlPS5_mZN2at6native12_GLOBAL__N_124unique_dim_cuda_templateIN3c104HalfEEESt5tupleIJNSA_6TensorESH_SH_EERKSH_lbbbEUlllE_EE10hipError_tT0_T1_T2_jT3_P12ihipStream_tbPNSt15iterator_traitsISN_E10value_typeEPNST_ISO_E10value_typeEPSP_NS1_7vsmem_tEENKUlT_SN_SO_SP_E_clIS8_S8_S9_S9_EESM_S12_SN_SO_SP_EUlS12_E1_NS1_11comp_targetILNS1_3genE2ELNS1_11target_archE906ELNS1_3gpuE6ELNS1_3repE0EEENS1_36merge_oddeven_config_static_selectorELNS0_4arch9wavefront6targetE0EEEvSO_.numbered_sgpr, 0
	.set _ZN7rocprim17ROCPRIM_400000_NS6detail17trampoline_kernelINS0_14default_configENS1_38merge_sort_block_merge_config_selectorIlNS0_10empty_typeEEEZZNS1_27merge_sort_block_merge_implIS3_PlPS5_mZN2at6native12_GLOBAL__N_124unique_dim_cuda_templateIN3c104HalfEEESt5tupleIJNSA_6TensorESH_SH_EERKSH_lbbbEUlllE_EE10hipError_tT0_T1_T2_jT3_P12ihipStream_tbPNSt15iterator_traitsISN_E10value_typeEPNST_ISO_E10value_typeEPSP_NS1_7vsmem_tEENKUlT_SN_SO_SP_E_clIS8_S8_S9_S9_EESM_S12_SN_SO_SP_EUlS12_E1_NS1_11comp_targetILNS1_3genE2ELNS1_11target_archE906ELNS1_3gpuE6ELNS1_3repE0EEENS1_36merge_oddeven_config_static_selectorELNS0_4arch9wavefront6targetE0EEEvSO_.num_named_barrier, 0
	.set _ZN7rocprim17ROCPRIM_400000_NS6detail17trampoline_kernelINS0_14default_configENS1_38merge_sort_block_merge_config_selectorIlNS0_10empty_typeEEEZZNS1_27merge_sort_block_merge_implIS3_PlPS5_mZN2at6native12_GLOBAL__N_124unique_dim_cuda_templateIN3c104HalfEEESt5tupleIJNSA_6TensorESH_SH_EERKSH_lbbbEUlllE_EE10hipError_tT0_T1_T2_jT3_P12ihipStream_tbPNSt15iterator_traitsISN_E10value_typeEPNST_ISO_E10value_typeEPSP_NS1_7vsmem_tEENKUlT_SN_SO_SP_E_clIS8_S8_S9_S9_EESM_S12_SN_SO_SP_EUlS12_E1_NS1_11comp_targetILNS1_3genE2ELNS1_11target_archE906ELNS1_3gpuE6ELNS1_3repE0EEENS1_36merge_oddeven_config_static_selectorELNS0_4arch9wavefront6targetE0EEEvSO_.private_seg_size, 0
	.set _ZN7rocprim17ROCPRIM_400000_NS6detail17trampoline_kernelINS0_14default_configENS1_38merge_sort_block_merge_config_selectorIlNS0_10empty_typeEEEZZNS1_27merge_sort_block_merge_implIS3_PlPS5_mZN2at6native12_GLOBAL__N_124unique_dim_cuda_templateIN3c104HalfEEESt5tupleIJNSA_6TensorESH_SH_EERKSH_lbbbEUlllE_EE10hipError_tT0_T1_T2_jT3_P12ihipStream_tbPNSt15iterator_traitsISN_E10value_typeEPNST_ISO_E10value_typeEPSP_NS1_7vsmem_tEENKUlT_SN_SO_SP_E_clIS8_S8_S9_S9_EESM_S12_SN_SO_SP_EUlS12_E1_NS1_11comp_targetILNS1_3genE2ELNS1_11target_archE906ELNS1_3gpuE6ELNS1_3repE0EEENS1_36merge_oddeven_config_static_selectorELNS0_4arch9wavefront6targetE0EEEvSO_.uses_vcc, 0
	.set _ZN7rocprim17ROCPRIM_400000_NS6detail17trampoline_kernelINS0_14default_configENS1_38merge_sort_block_merge_config_selectorIlNS0_10empty_typeEEEZZNS1_27merge_sort_block_merge_implIS3_PlPS5_mZN2at6native12_GLOBAL__N_124unique_dim_cuda_templateIN3c104HalfEEESt5tupleIJNSA_6TensorESH_SH_EERKSH_lbbbEUlllE_EE10hipError_tT0_T1_T2_jT3_P12ihipStream_tbPNSt15iterator_traitsISN_E10value_typeEPNST_ISO_E10value_typeEPSP_NS1_7vsmem_tEENKUlT_SN_SO_SP_E_clIS8_S8_S9_S9_EESM_S12_SN_SO_SP_EUlS12_E1_NS1_11comp_targetILNS1_3genE2ELNS1_11target_archE906ELNS1_3gpuE6ELNS1_3repE0EEENS1_36merge_oddeven_config_static_selectorELNS0_4arch9wavefront6targetE0EEEvSO_.uses_flat_scratch, 0
	.set _ZN7rocprim17ROCPRIM_400000_NS6detail17trampoline_kernelINS0_14default_configENS1_38merge_sort_block_merge_config_selectorIlNS0_10empty_typeEEEZZNS1_27merge_sort_block_merge_implIS3_PlPS5_mZN2at6native12_GLOBAL__N_124unique_dim_cuda_templateIN3c104HalfEEESt5tupleIJNSA_6TensorESH_SH_EERKSH_lbbbEUlllE_EE10hipError_tT0_T1_T2_jT3_P12ihipStream_tbPNSt15iterator_traitsISN_E10value_typeEPNST_ISO_E10value_typeEPSP_NS1_7vsmem_tEENKUlT_SN_SO_SP_E_clIS8_S8_S9_S9_EESM_S12_SN_SO_SP_EUlS12_E1_NS1_11comp_targetILNS1_3genE2ELNS1_11target_archE906ELNS1_3gpuE6ELNS1_3repE0EEENS1_36merge_oddeven_config_static_selectorELNS0_4arch9wavefront6targetE0EEEvSO_.has_dyn_sized_stack, 0
	.set _ZN7rocprim17ROCPRIM_400000_NS6detail17trampoline_kernelINS0_14default_configENS1_38merge_sort_block_merge_config_selectorIlNS0_10empty_typeEEEZZNS1_27merge_sort_block_merge_implIS3_PlPS5_mZN2at6native12_GLOBAL__N_124unique_dim_cuda_templateIN3c104HalfEEESt5tupleIJNSA_6TensorESH_SH_EERKSH_lbbbEUlllE_EE10hipError_tT0_T1_T2_jT3_P12ihipStream_tbPNSt15iterator_traitsISN_E10value_typeEPNST_ISO_E10value_typeEPSP_NS1_7vsmem_tEENKUlT_SN_SO_SP_E_clIS8_S8_S9_S9_EESM_S12_SN_SO_SP_EUlS12_E1_NS1_11comp_targetILNS1_3genE2ELNS1_11target_archE906ELNS1_3gpuE6ELNS1_3repE0EEENS1_36merge_oddeven_config_static_selectorELNS0_4arch9wavefront6targetE0EEEvSO_.has_recursion, 0
	.set _ZN7rocprim17ROCPRIM_400000_NS6detail17trampoline_kernelINS0_14default_configENS1_38merge_sort_block_merge_config_selectorIlNS0_10empty_typeEEEZZNS1_27merge_sort_block_merge_implIS3_PlPS5_mZN2at6native12_GLOBAL__N_124unique_dim_cuda_templateIN3c104HalfEEESt5tupleIJNSA_6TensorESH_SH_EERKSH_lbbbEUlllE_EE10hipError_tT0_T1_T2_jT3_P12ihipStream_tbPNSt15iterator_traitsISN_E10value_typeEPNST_ISO_E10value_typeEPSP_NS1_7vsmem_tEENKUlT_SN_SO_SP_E_clIS8_S8_S9_S9_EESM_S12_SN_SO_SP_EUlS12_E1_NS1_11comp_targetILNS1_3genE2ELNS1_11target_archE906ELNS1_3gpuE6ELNS1_3repE0EEENS1_36merge_oddeven_config_static_selectorELNS0_4arch9wavefront6targetE0EEEvSO_.has_indirect_call, 0
	.section	.AMDGPU.csdata,"",@progbits
; Kernel info:
; codeLenInByte = 0
; TotalNumSgprs: 0
; NumVgprs: 0
; ScratchSize: 0
; MemoryBound: 0
; FloatMode: 240
; IeeeMode: 1
; LDSByteSize: 0 bytes/workgroup (compile time only)
; SGPRBlocks: 0
; VGPRBlocks: 0
; NumSGPRsForWavesPerEU: 1
; NumVGPRsForWavesPerEU: 1
; NamedBarCnt: 0
; Occupancy: 16
; WaveLimiterHint : 0
; COMPUTE_PGM_RSRC2:SCRATCH_EN: 0
; COMPUTE_PGM_RSRC2:USER_SGPR: 2
; COMPUTE_PGM_RSRC2:TRAP_HANDLER: 0
; COMPUTE_PGM_RSRC2:TGID_X_EN: 1
; COMPUTE_PGM_RSRC2:TGID_Y_EN: 0
; COMPUTE_PGM_RSRC2:TGID_Z_EN: 0
; COMPUTE_PGM_RSRC2:TIDIG_COMP_CNT: 0
	.section	.text._ZN7rocprim17ROCPRIM_400000_NS6detail17trampoline_kernelINS0_14default_configENS1_38merge_sort_block_merge_config_selectorIlNS0_10empty_typeEEEZZNS1_27merge_sort_block_merge_implIS3_PlPS5_mZN2at6native12_GLOBAL__N_124unique_dim_cuda_templateIN3c104HalfEEESt5tupleIJNSA_6TensorESH_SH_EERKSH_lbbbEUlllE_EE10hipError_tT0_T1_T2_jT3_P12ihipStream_tbPNSt15iterator_traitsISN_E10value_typeEPNST_ISO_E10value_typeEPSP_NS1_7vsmem_tEENKUlT_SN_SO_SP_E_clIS8_S8_S9_S9_EESM_S12_SN_SO_SP_EUlS12_E1_NS1_11comp_targetILNS1_3genE9ELNS1_11target_archE1100ELNS1_3gpuE3ELNS1_3repE0EEENS1_36merge_oddeven_config_static_selectorELNS0_4arch9wavefront6targetE0EEEvSO_,"axG",@progbits,_ZN7rocprim17ROCPRIM_400000_NS6detail17trampoline_kernelINS0_14default_configENS1_38merge_sort_block_merge_config_selectorIlNS0_10empty_typeEEEZZNS1_27merge_sort_block_merge_implIS3_PlPS5_mZN2at6native12_GLOBAL__N_124unique_dim_cuda_templateIN3c104HalfEEESt5tupleIJNSA_6TensorESH_SH_EERKSH_lbbbEUlllE_EE10hipError_tT0_T1_T2_jT3_P12ihipStream_tbPNSt15iterator_traitsISN_E10value_typeEPNST_ISO_E10value_typeEPSP_NS1_7vsmem_tEENKUlT_SN_SO_SP_E_clIS8_S8_S9_S9_EESM_S12_SN_SO_SP_EUlS12_E1_NS1_11comp_targetILNS1_3genE9ELNS1_11target_archE1100ELNS1_3gpuE3ELNS1_3repE0EEENS1_36merge_oddeven_config_static_selectorELNS0_4arch9wavefront6targetE0EEEvSO_,comdat
	.globl	_ZN7rocprim17ROCPRIM_400000_NS6detail17trampoline_kernelINS0_14default_configENS1_38merge_sort_block_merge_config_selectorIlNS0_10empty_typeEEEZZNS1_27merge_sort_block_merge_implIS3_PlPS5_mZN2at6native12_GLOBAL__N_124unique_dim_cuda_templateIN3c104HalfEEESt5tupleIJNSA_6TensorESH_SH_EERKSH_lbbbEUlllE_EE10hipError_tT0_T1_T2_jT3_P12ihipStream_tbPNSt15iterator_traitsISN_E10value_typeEPNST_ISO_E10value_typeEPSP_NS1_7vsmem_tEENKUlT_SN_SO_SP_E_clIS8_S8_S9_S9_EESM_S12_SN_SO_SP_EUlS12_E1_NS1_11comp_targetILNS1_3genE9ELNS1_11target_archE1100ELNS1_3gpuE3ELNS1_3repE0EEENS1_36merge_oddeven_config_static_selectorELNS0_4arch9wavefront6targetE0EEEvSO_ ; -- Begin function _ZN7rocprim17ROCPRIM_400000_NS6detail17trampoline_kernelINS0_14default_configENS1_38merge_sort_block_merge_config_selectorIlNS0_10empty_typeEEEZZNS1_27merge_sort_block_merge_implIS3_PlPS5_mZN2at6native12_GLOBAL__N_124unique_dim_cuda_templateIN3c104HalfEEESt5tupleIJNSA_6TensorESH_SH_EERKSH_lbbbEUlllE_EE10hipError_tT0_T1_T2_jT3_P12ihipStream_tbPNSt15iterator_traitsISN_E10value_typeEPNST_ISO_E10value_typeEPSP_NS1_7vsmem_tEENKUlT_SN_SO_SP_E_clIS8_S8_S9_S9_EESM_S12_SN_SO_SP_EUlS12_E1_NS1_11comp_targetILNS1_3genE9ELNS1_11target_archE1100ELNS1_3gpuE3ELNS1_3repE0EEENS1_36merge_oddeven_config_static_selectorELNS0_4arch9wavefront6targetE0EEEvSO_
	.p2align	8
	.type	_ZN7rocprim17ROCPRIM_400000_NS6detail17trampoline_kernelINS0_14default_configENS1_38merge_sort_block_merge_config_selectorIlNS0_10empty_typeEEEZZNS1_27merge_sort_block_merge_implIS3_PlPS5_mZN2at6native12_GLOBAL__N_124unique_dim_cuda_templateIN3c104HalfEEESt5tupleIJNSA_6TensorESH_SH_EERKSH_lbbbEUlllE_EE10hipError_tT0_T1_T2_jT3_P12ihipStream_tbPNSt15iterator_traitsISN_E10value_typeEPNST_ISO_E10value_typeEPSP_NS1_7vsmem_tEENKUlT_SN_SO_SP_E_clIS8_S8_S9_S9_EESM_S12_SN_SO_SP_EUlS12_E1_NS1_11comp_targetILNS1_3genE9ELNS1_11target_archE1100ELNS1_3gpuE3ELNS1_3repE0EEENS1_36merge_oddeven_config_static_selectorELNS0_4arch9wavefront6targetE0EEEvSO_,@function
_ZN7rocprim17ROCPRIM_400000_NS6detail17trampoline_kernelINS0_14default_configENS1_38merge_sort_block_merge_config_selectorIlNS0_10empty_typeEEEZZNS1_27merge_sort_block_merge_implIS3_PlPS5_mZN2at6native12_GLOBAL__N_124unique_dim_cuda_templateIN3c104HalfEEESt5tupleIJNSA_6TensorESH_SH_EERKSH_lbbbEUlllE_EE10hipError_tT0_T1_T2_jT3_P12ihipStream_tbPNSt15iterator_traitsISN_E10value_typeEPNST_ISO_E10value_typeEPSP_NS1_7vsmem_tEENKUlT_SN_SO_SP_E_clIS8_S8_S9_S9_EESM_S12_SN_SO_SP_EUlS12_E1_NS1_11comp_targetILNS1_3genE9ELNS1_11target_archE1100ELNS1_3gpuE3ELNS1_3repE0EEENS1_36merge_oddeven_config_static_selectorELNS0_4arch9wavefront6targetE0EEEvSO_: ; @_ZN7rocprim17ROCPRIM_400000_NS6detail17trampoline_kernelINS0_14default_configENS1_38merge_sort_block_merge_config_selectorIlNS0_10empty_typeEEEZZNS1_27merge_sort_block_merge_implIS3_PlPS5_mZN2at6native12_GLOBAL__N_124unique_dim_cuda_templateIN3c104HalfEEESt5tupleIJNSA_6TensorESH_SH_EERKSH_lbbbEUlllE_EE10hipError_tT0_T1_T2_jT3_P12ihipStream_tbPNSt15iterator_traitsISN_E10value_typeEPNST_ISO_E10value_typeEPSP_NS1_7vsmem_tEENKUlT_SN_SO_SP_E_clIS8_S8_S9_S9_EESM_S12_SN_SO_SP_EUlS12_E1_NS1_11comp_targetILNS1_3genE9ELNS1_11target_archE1100ELNS1_3gpuE3ELNS1_3repE0EEENS1_36merge_oddeven_config_static_selectorELNS0_4arch9wavefront6targetE0EEEvSO_
; %bb.0:
	.section	.rodata,"a",@progbits
	.p2align	6, 0x0
	.amdhsa_kernel _ZN7rocprim17ROCPRIM_400000_NS6detail17trampoline_kernelINS0_14default_configENS1_38merge_sort_block_merge_config_selectorIlNS0_10empty_typeEEEZZNS1_27merge_sort_block_merge_implIS3_PlPS5_mZN2at6native12_GLOBAL__N_124unique_dim_cuda_templateIN3c104HalfEEESt5tupleIJNSA_6TensorESH_SH_EERKSH_lbbbEUlllE_EE10hipError_tT0_T1_T2_jT3_P12ihipStream_tbPNSt15iterator_traitsISN_E10value_typeEPNST_ISO_E10value_typeEPSP_NS1_7vsmem_tEENKUlT_SN_SO_SP_E_clIS8_S8_S9_S9_EESM_S12_SN_SO_SP_EUlS12_E1_NS1_11comp_targetILNS1_3genE9ELNS1_11target_archE1100ELNS1_3gpuE3ELNS1_3repE0EEENS1_36merge_oddeven_config_static_selectorELNS0_4arch9wavefront6targetE0EEEvSO_
		.amdhsa_group_segment_fixed_size 0
		.amdhsa_private_segment_fixed_size 0
		.amdhsa_kernarg_size 64
		.amdhsa_user_sgpr_count 2
		.amdhsa_user_sgpr_dispatch_ptr 0
		.amdhsa_user_sgpr_queue_ptr 0
		.amdhsa_user_sgpr_kernarg_segment_ptr 1
		.amdhsa_user_sgpr_dispatch_id 0
		.amdhsa_user_sgpr_kernarg_preload_length 0
		.amdhsa_user_sgpr_kernarg_preload_offset 0
		.amdhsa_user_sgpr_private_segment_size 0
		.amdhsa_wavefront_size32 1
		.amdhsa_uses_dynamic_stack 0
		.amdhsa_enable_private_segment 0
		.amdhsa_system_sgpr_workgroup_id_x 1
		.amdhsa_system_sgpr_workgroup_id_y 0
		.amdhsa_system_sgpr_workgroup_id_z 0
		.amdhsa_system_sgpr_workgroup_info 0
		.amdhsa_system_vgpr_workitem_id 0
		.amdhsa_next_free_vgpr 1
		.amdhsa_next_free_sgpr 1
		.amdhsa_named_barrier_count 0
		.amdhsa_reserve_vcc 0
		.amdhsa_float_round_mode_32 0
		.amdhsa_float_round_mode_16_64 0
		.amdhsa_float_denorm_mode_32 3
		.amdhsa_float_denorm_mode_16_64 3
		.amdhsa_fp16_overflow 0
		.amdhsa_memory_ordered 1
		.amdhsa_forward_progress 1
		.amdhsa_inst_pref_size 0
		.amdhsa_round_robin_scheduling 0
		.amdhsa_exception_fp_ieee_invalid_op 0
		.amdhsa_exception_fp_denorm_src 0
		.amdhsa_exception_fp_ieee_div_zero 0
		.amdhsa_exception_fp_ieee_overflow 0
		.amdhsa_exception_fp_ieee_underflow 0
		.amdhsa_exception_fp_ieee_inexact 0
		.amdhsa_exception_int_div_zero 0
	.end_amdhsa_kernel
	.section	.text._ZN7rocprim17ROCPRIM_400000_NS6detail17trampoline_kernelINS0_14default_configENS1_38merge_sort_block_merge_config_selectorIlNS0_10empty_typeEEEZZNS1_27merge_sort_block_merge_implIS3_PlPS5_mZN2at6native12_GLOBAL__N_124unique_dim_cuda_templateIN3c104HalfEEESt5tupleIJNSA_6TensorESH_SH_EERKSH_lbbbEUlllE_EE10hipError_tT0_T1_T2_jT3_P12ihipStream_tbPNSt15iterator_traitsISN_E10value_typeEPNST_ISO_E10value_typeEPSP_NS1_7vsmem_tEENKUlT_SN_SO_SP_E_clIS8_S8_S9_S9_EESM_S12_SN_SO_SP_EUlS12_E1_NS1_11comp_targetILNS1_3genE9ELNS1_11target_archE1100ELNS1_3gpuE3ELNS1_3repE0EEENS1_36merge_oddeven_config_static_selectorELNS0_4arch9wavefront6targetE0EEEvSO_,"axG",@progbits,_ZN7rocprim17ROCPRIM_400000_NS6detail17trampoline_kernelINS0_14default_configENS1_38merge_sort_block_merge_config_selectorIlNS0_10empty_typeEEEZZNS1_27merge_sort_block_merge_implIS3_PlPS5_mZN2at6native12_GLOBAL__N_124unique_dim_cuda_templateIN3c104HalfEEESt5tupleIJNSA_6TensorESH_SH_EERKSH_lbbbEUlllE_EE10hipError_tT0_T1_T2_jT3_P12ihipStream_tbPNSt15iterator_traitsISN_E10value_typeEPNST_ISO_E10value_typeEPSP_NS1_7vsmem_tEENKUlT_SN_SO_SP_E_clIS8_S8_S9_S9_EESM_S12_SN_SO_SP_EUlS12_E1_NS1_11comp_targetILNS1_3genE9ELNS1_11target_archE1100ELNS1_3gpuE3ELNS1_3repE0EEENS1_36merge_oddeven_config_static_selectorELNS0_4arch9wavefront6targetE0EEEvSO_,comdat
.Lfunc_end1270:
	.size	_ZN7rocprim17ROCPRIM_400000_NS6detail17trampoline_kernelINS0_14default_configENS1_38merge_sort_block_merge_config_selectorIlNS0_10empty_typeEEEZZNS1_27merge_sort_block_merge_implIS3_PlPS5_mZN2at6native12_GLOBAL__N_124unique_dim_cuda_templateIN3c104HalfEEESt5tupleIJNSA_6TensorESH_SH_EERKSH_lbbbEUlllE_EE10hipError_tT0_T1_T2_jT3_P12ihipStream_tbPNSt15iterator_traitsISN_E10value_typeEPNST_ISO_E10value_typeEPSP_NS1_7vsmem_tEENKUlT_SN_SO_SP_E_clIS8_S8_S9_S9_EESM_S12_SN_SO_SP_EUlS12_E1_NS1_11comp_targetILNS1_3genE9ELNS1_11target_archE1100ELNS1_3gpuE3ELNS1_3repE0EEENS1_36merge_oddeven_config_static_selectorELNS0_4arch9wavefront6targetE0EEEvSO_, .Lfunc_end1270-_ZN7rocprim17ROCPRIM_400000_NS6detail17trampoline_kernelINS0_14default_configENS1_38merge_sort_block_merge_config_selectorIlNS0_10empty_typeEEEZZNS1_27merge_sort_block_merge_implIS3_PlPS5_mZN2at6native12_GLOBAL__N_124unique_dim_cuda_templateIN3c104HalfEEESt5tupleIJNSA_6TensorESH_SH_EERKSH_lbbbEUlllE_EE10hipError_tT0_T1_T2_jT3_P12ihipStream_tbPNSt15iterator_traitsISN_E10value_typeEPNST_ISO_E10value_typeEPSP_NS1_7vsmem_tEENKUlT_SN_SO_SP_E_clIS8_S8_S9_S9_EESM_S12_SN_SO_SP_EUlS12_E1_NS1_11comp_targetILNS1_3genE9ELNS1_11target_archE1100ELNS1_3gpuE3ELNS1_3repE0EEENS1_36merge_oddeven_config_static_selectorELNS0_4arch9wavefront6targetE0EEEvSO_
                                        ; -- End function
	.set _ZN7rocprim17ROCPRIM_400000_NS6detail17trampoline_kernelINS0_14default_configENS1_38merge_sort_block_merge_config_selectorIlNS0_10empty_typeEEEZZNS1_27merge_sort_block_merge_implIS3_PlPS5_mZN2at6native12_GLOBAL__N_124unique_dim_cuda_templateIN3c104HalfEEESt5tupleIJNSA_6TensorESH_SH_EERKSH_lbbbEUlllE_EE10hipError_tT0_T1_T2_jT3_P12ihipStream_tbPNSt15iterator_traitsISN_E10value_typeEPNST_ISO_E10value_typeEPSP_NS1_7vsmem_tEENKUlT_SN_SO_SP_E_clIS8_S8_S9_S9_EESM_S12_SN_SO_SP_EUlS12_E1_NS1_11comp_targetILNS1_3genE9ELNS1_11target_archE1100ELNS1_3gpuE3ELNS1_3repE0EEENS1_36merge_oddeven_config_static_selectorELNS0_4arch9wavefront6targetE0EEEvSO_.num_vgpr, 0
	.set _ZN7rocprim17ROCPRIM_400000_NS6detail17trampoline_kernelINS0_14default_configENS1_38merge_sort_block_merge_config_selectorIlNS0_10empty_typeEEEZZNS1_27merge_sort_block_merge_implIS3_PlPS5_mZN2at6native12_GLOBAL__N_124unique_dim_cuda_templateIN3c104HalfEEESt5tupleIJNSA_6TensorESH_SH_EERKSH_lbbbEUlllE_EE10hipError_tT0_T1_T2_jT3_P12ihipStream_tbPNSt15iterator_traitsISN_E10value_typeEPNST_ISO_E10value_typeEPSP_NS1_7vsmem_tEENKUlT_SN_SO_SP_E_clIS8_S8_S9_S9_EESM_S12_SN_SO_SP_EUlS12_E1_NS1_11comp_targetILNS1_3genE9ELNS1_11target_archE1100ELNS1_3gpuE3ELNS1_3repE0EEENS1_36merge_oddeven_config_static_selectorELNS0_4arch9wavefront6targetE0EEEvSO_.num_agpr, 0
	.set _ZN7rocprim17ROCPRIM_400000_NS6detail17trampoline_kernelINS0_14default_configENS1_38merge_sort_block_merge_config_selectorIlNS0_10empty_typeEEEZZNS1_27merge_sort_block_merge_implIS3_PlPS5_mZN2at6native12_GLOBAL__N_124unique_dim_cuda_templateIN3c104HalfEEESt5tupleIJNSA_6TensorESH_SH_EERKSH_lbbbEUlllE_EE10hipError_tT0_T1_T2_jT3_P12ihipStream_tbPNSt15iterator_traitsISN_E10value_typeEPNST_ISO_E10value_typeEPSP_NS1_7vsmem_tEENKUlT_SN_SO_SP_E_clIS8_S8_S9_S9_EESM_S12_SN_SO_SP_EUlS12_E1_NS1_11comp_targetILNS1_3genE9ELNS1_11target_archE1100ELNS1_3gpuE3ELNS1_3repE0EEENS1_36merge_oddeven_config_static_selectorELNS0_4arch9wavefront6targetE0EEEvSO_.numbered_sgpr, 0
	.set _ZN7rocprim17ROCPRIM_400000_NS6detail17trampoline_kernelINS0_14default_configENS1_38merge_sort_block_merge_config_selectorIlNS0_10empty_typeEEEZZNS1_27merge_sort_block_merge_implIS3_PlPS5_mZN2at6native12_GLOBAL__N_124unique_dim_cuda_templateIN3c104HalfEEESt5tupleIJNSA_6TensorESH_SH_EERKSH_lbbbEUlllE_EE10hipError_tT0_T1_T2_jT3_P12ihipStream_tbPNSt15iterator_traitsISN_E10value_typeEPNST_ISO_E10value_typeEPSP_NS1_7vsmem_tEENKUlT_SN_SO_SP_E_clIS8_S8_S9_S9_EESM_S12_SN_SO_SP_EUlS12_E1_NS1_11comp_targetILNS1_3genE9ELNS1_11target_archE1100ELNS1_3gpuE3ELNS1_3repE0EEENS1_36merge_oddeven_config_static_selectorELNS0_4arch9wavefront6targetE0EEEvSO_.num_named_barrier, 0
	.set _ZN7rocprim17ROCPRIM_400000_NS6detail17trampoline_kernelINS0_14default_configENS1_38merge_sort_block_merge_config_selectorIlNS0_10empty_typeEEEZZNS1_27merge_sort_block_merge_implIS3_PlPS5_mZN2at6native12_GLOBAL__N_124unique_dim_cuda_templateIN3c104HalfEEESt5tupleIJNSA_6TensorESH_SH_EERKSH_lbbbEUlllE_EE10hipError_tT0_T1_T2_jT3_P12ihipStream_tbPNSt15iterator_traitsISN_E10value_typeEPNST_ISO_E10value_typeEPSP_NS1_7vsmem_tEENKUlT_SN_SO_SP_E_clIS8_S8_S9_S9_EESM_S12_SN_SO_SP_EUlS12_E1_NS1_11comp_targetILNS1_3genE9ELNS1_11target_archE1100ELNS1_3gpuE3ELNS1_3repE0EEENS1_36merge_oddeven_config_static_selectorELNS0_4arch9wavefront6targetE0EEEvSO_.private_seg_size, 0
	.set _ZN7rocprim17ROCPRIM_400000_NS6detail17trampoline_kernelINS0_14default_configENS1_38merge_sort_block_merge_config_selectorIlNS0_10empty_typeEEEZZNS1_27merge_sort_block_merge_implIS3_PlPS5_mZN2at6native12_GLOBAL__N_124unique_dim_cuda_templateIN3c104HalfEEESt5tupleIJNSA_6TensorESH_SH_EERKSH_lbbbEUlllE_EE10hipError_tT0_T1_T2_jT3_P12ihipStream_tbPNSt15iterator_traitsISN_E10value_typeEPNST_ISO_E10value_typeEPSP_NS1_7vsmem_tEENKUlT_SN_SO_SP_E_clIS8_S8_S9_S9_EESM_S12_SN_SO_SP_EUlS12_E1_NS1_11comp_targetILNS1_3genE9ELNS1_11target_archE1100ELNS1_3gpuE3ELNS1_3repE0EEENS1_36merge_oddeven_config_static_selectorELNS0_4arch9wavefront6targetE0EEEvSO_.uses_vcc, 0
	.set _ZN7rocprim17ROCPRIM_400000_NS6detail17trampoline_kernelINS0_14default_configENS1_38merge_sort_block_merge_config_selectorIlNS0_10empty_typeEEEZZNS1_27merge_sort_block_merge_implIS3_PlPS5_mZN2at6native12_GLOBAL__N_124unique_dim_cuda_templateIN3c104HalfEEESt5tupleIJNSA_6TensorESH_SH_EERKSH_lbbbEUlllE_EE10hipError_tT0_T1_T2_jT3_P12ihipStream_tbPNSt15iterator_traitsISN_E10value_typeEPNST_ISO_E10value_typeEPSP_NS1_7vsmem_tEENKUlT_SN_SO_SP_E_clIS8_S8_S9_S9_EESM_S12_SN_SO_SP_EUlS12_E1_NS1_11comp_targetILNS1_3genE9ELNS1_11target_archE1100ELNS1_3gpuE3ELNS1_3repE0EEENS1_36merge_oddeven_config_static_selectorELNS0_4arch9wavefront6targetE0EEEvSO_.uses_flat_scratch, 0
	.set _ZN7rocprim17ROCPRIM_400000_NS6detail17trampoline_kernelINS0_14default_configENS1_38merge_sort_block_merge_config_selectorIlNS0_10empty_typeEEEZZNS1_27merge_sort_block_merge_implIS3_PlPS5_mZN2at6native12_GLOBAL__N_124unique_dim_cuda_templateIN3c104HalfEEESt5tupleIJNSA_6TensorESH_SH_EERKSH_lbbbEUlllE_EE10hipError_tT0_T1_T2_jT3_P12ihipStream_tbPNSt15iterator_traitsISN_E10value_typeEPNST_ISO_E10value_typeEPSP_NS1_7vsmem_tEENKUlT_SN_SO_SP_E_clIS8_S8_S9_S9_EESM_S12_SN_SO_SP_EUlS12_E1_NS1_11comp_targetILNS1_3genE9ELNS1_11target_archE1100ELNS1_3gpuE3ELNS1_3repE0EEENS1_36merge_oddeven_config_static_selectorELNS0_4arch9wavefront6targetE0EEEvSO_.has_dyn_sized_stack, 0
	.set _ZN7rocprim17ROCPRIM_400000_NS6detail17trampoline_kernelINS0_14default_configENS1_38merge_sort_block_merge_config_selectorIlNS0_10empty_typeEEEZZNS1_27merge_sort_block_merge_implIS3_PlPS5_mZN2at6native12_GLOBAL__N_124unique_dim_cuda_templateIN3c104HalfEEESt5tupleIJNSA_6TensorESH_SH_EERKSH_lbbbEUlllE_EE10hipError_tT0_T1_T2_jT3_P12ihipStream_tbPNSt15iterator_traitsISN_E10value_typeEPNST_ISO_E10value_typeEPSP_NS1_7vsmem_tEENKUlT_SN_SO_SP_E_clIS8_S8_S9_S9_EESM_S12_SN_SO_SP_EUlS12_E1_NS1_11comp_targetILNS1_3genE9ELNS1_11target_archE1100ELNS1_3gpuE3ELNS1_3repE0EEENS1_36merge_oddeven_config_static_selectorELNS0_4arch9wavefront6targetE0EEEvSO_.has_recursion, 0
	.set _ZN7rocprim17ROCPRIM_400000_NS6detail17trampoline_kernelINS0_14default_configENS1_38merge_sort_block_merge_config_selectorIlNS0_10empty_typeEEEZZNS1_27merge_sort_block_merge_implIS3_PlPS5_mZN2at6native12_GLOBAL__N_124unique_dim_cuda_templateIN3c104HalfEEESt5tupleIJNSA_6TensorESH_SH_EERKSH_lbbbEUlllE_EE10hipError_tT0_T1_T2_jT3_P12ihipStream_tbPNSt15iterator_traitsISN_E10value_typeEPNST_ISO_E10value_typeEPSP_NS1_7vsmem_tEENKUlT_SN_SO_SP_E_clIS8_S8_S9_S9_EESM_S12_SN_SO_SP_EUlS12_E1_NS1_11comp_targetILNS1_3genE9ELNS1_11target_archE1100ELNS1_3gpuE3ELNS1_3repE0EEENS1_36merge_oddeven_config_static_selectorELNS0_4arch9wavefront6targetE0EEEvSO_.has_indirect_call, 0
	.section	.AMDGPU.csdata,"",@progbits
; Kernel info:
; codeLenInByte = 0
; TotalNumSgprs: 0
; NumVgprs: 0
; ScratchSize: 0
; MemoryBound: 0
; FloatMode: 240
; IeeeMode: 1
; LDSByteSize: 0 bytes/workgroup (compile time only)
; SGPRBlocks: 0
; VGPRBlocks: 0
; NumSGPRsForWavesPerEU: 1
; NumVGPRsForWavesPerEU: 1
; NamedBarCnt: 0
; Occupancy: 16
; WaveLimiterHint : 0
; COMPUTE_PGM_RSRC2:SCRATCH_EN: 0
; COMPUTE_PGM_RSRC2:USER_SGPR: 2
; COMPUTE_PGM_RSRC2:TRAP_HANDLER: 0
; COMPUTE_PGM_RSRC2:TGID_X_EN: 1
; COMPUTE_PGM_RSRC2:TGID_Y_EN: 0
; COMPUTE_PGM_RSRC2:TGID_Z_EN: 0
; COMPUTE_PGM_RSRC2:TIDIG_COMP_CNT: 0
	.section	.text._ZN7rocprim17ROCPRIM_400000_NS6detail17trampoline_kernelINS0_14default_configENS1_38merge_sort_block_merge_config_selectorIlNS0_10empty_typeEEEZZNS1_27merge_sort_block_merge_implIS3_PlPS5_mZN2at6native12_GLOBAL__N_124unique_dim_cuda_templateIN3c104HalfEEESt5tupleIJNSA_6TensorESH_SH_EERKSH_lbbbEUlllE_EE10hipError_tT0_T1_T2_jT3_P12ihipStream_tbPNSt15iterator_traitsISN_E10value_typeEPNST_ISO_E10value_typeEPSP_NS1_7vsmem_tEENKUlT_SN_SO_SP_E_clIS8_S8_S9_S9_EESM_S12_SN_SO_SP_EUlS12_E1_NS1_11comp_targetILNS1_3genE8ELNS1_11target_archE1030ELNS1_3gpuE2ELNS1_3repE0EEENS1_36merge_oddeven_config_static_selectorELNS0_4arch9wavefront6targetE0EEEvSO_,"axG",@progbits,_ZN7rocprim17ROCPRIM_400000_NS6detail17trampoline_kernelINS0_14default_configENS1_38merge_sort_block_merge_config_selectorIlNS0_10empty_typeEEEZZNS1_27merge_sort_block_merge_implIS3_PlPS5_mZN2at6native12_GLOBAL__N_124unique_dim_cuda_templateIN3c104HalfEEESt5tupleIJNSA_6TensorESH_SH_EERKSH_lbbbEUlllE_EE10hipError_tT0_T1_T2_jT3_P12ihipStream_tbPNSt15iterator_traitsISN_E10value_typeEPNST_ISO_E10value_typeEPSP_NS1_7vsmem_tEENKUlT_SN_SO_SP_E_clIS8_S8_S9_S9_EESM_S12_SN_SO_SP_EUlS12_E1_NS1_11comp_targetILNS1_3genE8ELNS1_11target_archE1030ELNS1_3gpuE2ELNS1_3repE0EEENS1_36merge_oddeven_config_static_selectorELNS0_4arch9wavefront6targetE0EEEvSO_,comdat
	.globl	_ZN7rocprim17ROCPRIM_400000_NS6detail17trampoline_kernelINS0_14default_configENS1_38merge_sort_block_merge_config_selectorIlNS0_10empty_typeEEEZZNS1_27merge_sort_block_merge_implIS3_PlPS5_mZN2at6native12_GLOBAL__N_124unique_dim_cuda_templateIN3c104HalfEEESt5tupleIJNSA_6TensorESH_SH_EERKSH_lbbbEUlllE_EE10hipError_tT0_T1_T2_jT3_P12ihipStream_tbPNSt15iterator_traitsISN_E10value_typeEPNST_ISO_E10value_typeEPSP_NS1_7vsmem_tEENKUlT_SN_SO_SP_E_clIS8_S8_S9_S9_EESM_S12_SN_SO_SP_EUlS12_E1_NS1_11comp_targetILNS1_3genE8ELNS1_11target_archE1030ELNS1_3gpuE2ELNS1_3repE0EEENS1_36merge_oddeven_config_static_selectorELNS0_4arch9wavefront6targetE0EEEvSO_ ; -- Begin function _ZN7rocprim17ROCPRIM_400000_NS6detail17trampoline_kernelINS0_14default_configENS1_38merge_sort_block_merge_config_selectorIlNS0_10empty_typeEEEZZNS1_27merge_sort_block_merge_implIS3_PlPS5_mZN2at6native12_GLOBAL__N_124unique_dim_cuda_templateIN3c104HalfEEESt5tupleIJNSA_6TensorESH_SH_EERKSH_lbbbEUlllE_EE10hipError_tT0_T1_T2_jT3_P12ihipStream_tbPNSt15iterator_traitsISN_E10value_typeEPNST_ISO_E10value_typeEPSP_NS1_7vsmem_tEENKUlT_SN_SO_SP_E_clIS8_S8_S9_S9_EESM_S12_SN_SO_SP_EUlS12_E1_NS1_11comp_targetILNS1_3genE8ELNS1_11target_archE1030ELNS1_3gpuE2ELNS1_3repE0EEENS1_36merge_oddeven_config_static_selectorELNS0_4arch9wavefront6targetE0EEEvSO_
	.p2align	8
	.type	_ZN7rocprim17ROCPRIM_400000_NS6detail17trampoline_kernelINS0_14default_configENS1_38merge_sort_block_merge_config_selectorIlNS0_10empty_typeEEEZZNS1_27merge_sort_block_merge_implIS3_PlPS5_mZN2at6native12_GLOBAL__N_124unique_dim_cuda_templateIN3c104HalfEEESt5tupleIJNSA_6TensorESH_SH_EERKSH_lbbbEUlllE_EE10hipError_tT0_T1_T2_jT3_P12ihipStream_tbPNSt15iterator_traitsISN_E10value_typeEPNST_ISO_E10value_typeEPSP_NS1_7vsmem_tEENKUlT_SN_SO_SP_E_clIS8_S8_S9_S9_EESM_S12_SN_SO_SP_EUlS12_E1_NS1_11comp_targetILNS1_3genE8ELNS1_11target_archE1030ELNS1_3gpuE2ELNS1_3repE0EEENS1_36merge_oddeven_config_static_selectorELNS0_4arch9wavefront6targetE0EEEvSO_,@function
_ZN7rocprim17ROCPRIM_400000_NS6detail17trampoline_kernelINS0_14default_configENS1_38merge_sort_block_merge_config_selectorIlNS0_10empty_typeEEEZZNS1_27merge_sort_block_merge_implIS3_PlPS5_mZN2at6native12_GLOBAL__N_124unique_dim_cuda_templateIN3c104HalfEEESt5tupleIJNSA_6TensorESH_SH_EERKSH_lbbbEUlllE_EE10hipError_tT0_T1_T2_jT3_P12ihipStream_tbPNSt15iterator_traitsISN_E10value_typeEPNST_ISO_E10value_typeEPSP_NS1_7vsmem_tEENKUlT_SN_SO_SP_E_clIS8_S8_S9_S9_EESM_S12_SN_SO_SP_EUlS12_E1_NS1_11comp_targetILNS1_3genE8ELNS1_11target_archE1030ELNS1_3gpuE2ELNS1_3repE0EEENS1_36merge_oddeven_config_static_selectorELNS0_4arch9wavefront6targetE0EEEvSO_: ; @_ZN7rocprim17ROCPRIM_400000_NS6detail17trampoline_kernelINS0_14default_configENS1_38merge_sort_block_merge_config_selectorIlNS0_10empty_typeEEEZZNS1_27merge_sort_block_merge_implIS3_PlPS5_mZN2at6native12_GLOBAL__N_124unique_dim_cuda_templateIN3c104HalfEEESt5tupleIJNSA_6TensorESH_SH_EERKSH_lbbbEUlllE_EE10hipError_tT0_T1_T2_jT3_P12ihipStream_tbPNSt15iterator_traitsISN_E10value_typeEPNST_ISO_E10value_typeEPSP_NS1_7vsmem_tEENKUlT_SN_SO_SP_E_clIS8_S8_S9_S9_EESM_S12_SN_SO_SP_EUlS12_E1_NS1_11comp_targetILNS1_3genE8ELNS1_11target_archE1030ELNS1_3gpuE2ELNS1_3repE0EEENS1_36merge_oddeven_config_static_selectorELNS0_4arch9wavefront6targetE0EEEvSO_
; %bb.0:
	.section	.rodata,"a",@progbits
	.p2align	6, 0x0
	.amdhsa_kernel _ZN7rocprim17ROCPRIM_400000_NS6detail17trampoline_kernelINS0_14default_configENS1_38merge_sort_block_merge_config_selectorIlNS0_10empty_typeEEEZZNS1_27merge_sort_block_merge_implIS3_PlPS5_mZN2at6native12_GLOBAL__N_124unique_dim_cuda_templateIN3c104HalfEEESt5tupleIJNSA_6TensorESH_SH_EERKSH_lbbbEUlllE_EE10hipError_tT0_T1_T2_jT3_P12ihipStream_tbPNSt15iterator_traitsISN_E10value_typeEPNST_ISO_E10value_typeEPSP_NS1_7vsmem_tEENKUlT_SN_SO_SP_E_clIS8_S8_S9_S9_EESM_S12_SN_SO_SP_EUlS12_E1_NS1_11comp_targetILNS1_3genE8ELNS1_11target_archE1030ELNS1_3gpuE2ELNS1_3repE0EEENS1_36merge_oddeven_config_static_selectorELNS0_4arch9wavefront6targetE0EEEvSO_
		.amdhsa_group_segment_fixed_size 0
		.amdhsa_private_segment_fixed_size 0
		.amdhsa_kernarg_size 64
		.amdhsa_user_sgpr_count 2
		.amdhsa_user_sgpr_dispatch_ptr 0
		.amdhsa_user_sgpr_queue_ptr 0
		.amdhsa_user_sgpr_kernarg_segment_ptr 1
		.amdhsa_user_sgpr_dispatch_id 0
		.amdhsa_user_sgpr_kernarg_preload_length 0
		.amdhsa_user_sgpr_kernarg_preload_offset 0
		.amdhsa_user_sgpr_private_segment_size 0
		.amdhsa_wavefront_size32 1
		.amdhsa_uses_dynamic_stack 0
		.amdhsa_enable_private_segment 0
		.amdhsa_system_sgpr_workgroup_id_x 1
		.amdhsa_system_sgpr_workgroup_id_y 0
		.amdhsa_system_sgpr_workgroup_id_z 0
		.amdhsa_system_sgpr_workgroup_info 0
		.amdhsa_system_vgpr_workitem_id 0
		.amdhsa_next_free_vgpr 1
		.amdhsa_next_free_sgpr 1
		.amdhsa_named_barrier_count 0
		.amdhsa_reserve_vcc 0
		.amdhsa_float_round_mode_32 0
		.amdhsa_float_round_mode_16_64 0
		.amdhsa_float_denorm_mode_32 3
		.amdhsa_float_denorm_mode_16_64 3
		.amdhsa_fp16_overflow 0
		.amdhsa_memory_ordered 1
		.amdhsa_forward_progress 1
		.amdhsa_inst_pref_size 0
		.amdhsa_round_robin_scheduling 0
		.amdhsa_exception_fp_ieee_invalid_op 0
		.amdhsa_exception_fp_denorm_src 0
		.amdhsa_exception_fp_ieee_div_zero 0
		.amdhsa_exception_fp_ieee_overflow 0
		.amdhsa_exception_fp_ieee_underflow 0
		.amdhsa_exception_fp_ieee_inexact 0
		.amdhsa_exception_int_div_zero 0
	.end_amdhsa_kernel
	.section	.text._ZN7rocprim17ROCPRIM_400000_NS6detail17trampoline_kernelINS0_14default_configENS1_38merge_sort_block_merge_config_selectorIlNS0_10empty_typeEEEZZNS1_27merge_sort_block_merge_implIS3_PlPS5_mZN2at6native12_GLOBAL__N_124unique_dim_cuda_templateIN3c104HalfEEESt5tupleIJNSA_6TensorESH_SH_EERKSH_lbbbEUlllE_EE10hipError_tT0_T1_T2_jT3_P12ihipStream_tbPNSt15iterator_traitsISN_E10value_typeEPNST_ISO_E10value_typeEPSP_NS1_7vsmem_tEENKUlT_SN_SO_SP_E_clIS8_S8_S9_S9_EESM_S12_SN_SO_SP_EUlS12_E1_NS1_11comp_targetILNS1_3genE8ELNS1_11target_archE1030ELNS1_3gpuE2ELNS1_3repE0EEENS1_36merge_oddeven_config_static_selectorELNS0_4arch9wavefront6targetE0EEEvSO_,"axG",@progbits,_ZN7rocprim17ROCPRIM_400000_NS6detail17trampoline_kernelINS0_14default_configENS1_38merge_sort_block_merge_config_selectorIlNS0_10empty_typeEEEZZNS1_27merge_sort_block_merge_implIS3_PlPS5_mZN2at6native12_GLOBAL__N_124unique_dim_cuda_templateIN3c104HalfEEESt5tupleIJNSA_6TensorESH_SH_EERKSH_lbbbEUlllE_EE10hipError_tT0_T1_T2_jT3_P12ihipStream_tbPNSt15iterator_traitsISN_E10value_typeEPNST_ISO_E10value_typeEPSP_NS1_7vsmem_tEENKUlT_SN_SO_SP_E_clIS8_S8_S9_S9_EESM_S12_SN_SO_SP_EUlS12_E1_NS1_11comp_targetILNS1_3genE8ELNS1_11target_archE1030ELNS1_3gpuE2ELNS1_3repE0EEENS1_36merge_oddeven_config_static_selectorELNS0_4arch9wavefront6targetE0EEEvSO_,comdat
.Lfunc_end1271:
	.size	_ZN7rocprim17ROCPRIM_400000_NS6detail17trampoline_kernelINS0_14default_configENS1_38merge_sort_block_merge_config_selectorIlNS0_10empty_typeEEEZZNS1_27merge_sort_block_merge_implIS3_PlPS5_mZN2at6native12_GLOBAL__N_124unique_dim_cuda_templateIN3c104HalfEEESt5tupleIJNSA_6TensorESH_SH_EERKSH_lbbbEUlllE_EE10hipError_tT0_T1_T2_jT3_P12ihipStream_tbPNSt15iterator_traitsISN_E10value_typeEPNST_ISO_E10value_typeEPSP_NS1_7vsmem_tEENKUlT_SN_SO_SP_E_clIS8_S8_S9_S9_EESM_S12_SN_SO_SP_EUlS12_E1_NS1_11comp_targetILNS1_3genE8ELNS1_11target_archE1030ELNS1_3gpuE2ELNS1_3repE0EEENS1_36merge_oddeven_config_static_selectorELNS0_4arch9wavefront6targetE0EEEvSO_, .Lfunc_end1271-_ZN7rocprim17ROCPRIM_400000_NS6detail17trampoline_kernelINS0_14default_configENS1_38merge_sort_block_merge_config_selectorIlNS0_10empty_typeEEEZZNS1_27merge_sort_block_merge_implIS3_PlPS5_mZN2at6native12_GLOBAL__N_124unique_dim_cuda_templateIN3c104HalfEEESt5tupleIJNSA_6TensorESH_SH_EERKSH_lbbbEUlllE_EE10hipError_tT0_T1_T2_jT3_P12ihipStream_tbPNSt15iterator_traitsISN_E10value_typeEPNST_ISO_E10value_typeEPSP_NS1_7vsmem_tEENKUlT_SN_SO_SP_E_clIS8_S8_S9_S9_EESM_S12_SN_SO_SP_EUlS12_E1_NS1_11comp_targetILNS1_3genE8ELNS1_11target_archE1030ELNS1_3gpuE2ELNS1_3repE0EEENS1_36merge_oddeven_config_static_selectorELNS0_4arch9wavefront6targetE0EEEvSO_
                                        ; -- End function
	.set _ZN7rocprim17ROCPRIM_400000_NS6detail17trampoline_kernelINS0_14default_configENS1_38merge_sort_block_merge_config_selectorIlNS0_10empty_typeEEEZZNS1_27merge_sort_block_merge_implIS3_PlPS5_mZN2at6native12_GLOBAL__N_124unique_dim_cuda_templateIN3c104HalfEEESt5tupleIJNSA_6TensorESH_SH_EERKSH_lbbbEUlllE_EE10hipError_tT0_T1_T2_jT3_P12ihipStream_tbPNSt15iterator_traitsISN_E10value_typeEPNST_ISO_E10value_typeEPSP_NS1_7vsmem_tEENKUlT_SN_SO_SP_E_clIS8_S8_S9_S9_EESM_S12_SN_SO_SP_EUlS12_E1_NS1_11comp_targetILNS1_3genE8ELNS1_11target_archE1030ELNS1_3gpuE2ELNS1_3repE0EEENS1_36merge_oddeven_config_static_selectorELNS0_4arch9wavefront6targetE0EEEvSO_.num_vgpr, 0
	.set _ZN7rocprim17ROCPRIM_400000_NS6detail17trampoline_kernelINS0_14default_configENS1_38merge_sort_block_merge_config_selectorIlNS0_10empty_typeEEEZZNS1_27merge_sort_block_merge_implIS3_PlPS5_mZN2at6native12_GLOBAL__N_124unique_dim_cuda_templateIN3c104HalfEEESt5tupleIJNSA_6TensorESH_SH_EERKSH_lbbbEUlllE_EE10hipError_tT0_T1_T2_jT3_P12ihipStream_tbPNSt15iterator_traitsISN_E10value_typeEPNST_ISO_E10value_typeEPSP_NS1_7vsmem_tEENKUlT_SN_SO_SP_E_clIS8_S8_S9_S9_EESM_S12_SN_SO_SP_EUlS12_E1_NS1_11comp_targetILNS1_3genE8ELNS1_11target_archE1030ELNS1_3gpuE2ELNS1_3repE0EEENS1_36merge_oddeven_config_static_selectorELNS0_4arch9wavefront6targetE0EEEvSO_.num_agpr, 0
	.set _ZN7rocprim17ROCPRIM_400000_NS6detail17trampoline_kernelINS0_14default_configENS1_38merge_sort_block_merge_config_selectorIlNS0_10empty_typeEEEZZNS1_27merge_sort_block_merge_implIS3_PlPS5_mZN2at6native12_GLOBAL__N_124unique_dim_cuda_templateIN3c104HalfEEESt5tupleIJNSA_6TensorESH_SH_EERKSH_lbbbEUlllE_EE10hipError_tT0_T1_T2_jT3_P12ihipStream_tbPNSt15iterator_traitsISN_E10value_typeEPNST_ISO_E10value_typeEPSP_NS1_7vsmem_tEENKUlT_SN_SO_SP_E_clIS8_S8_S9_S9_EESM_S12_SN_SO_SP_EUlS12_E1_NS1_11comp_targetILNS1_3genE8ELNS1_11target_archE1030ELNS1_3gpuE2ELNS1_3repE0EEENS1_36merge_oddeven_config_static_selectorELNS0_4arch9wavefront6targetE0EEEvSO_.numbered_sgpr, 0
	.set _ZN7rocprim17ROCPRIM_400000_NS6detail17trampoline_kernelINS0_14default_configENS1_38merge_sort_block_merge_config_selectorIlNS0_10empty_typeEEEZZNS1_27merge_sort_block_merge_implIS3_PlPS5_mZN2at6native12_GLOBAL__N_124unique_dim_cuda_templateIN3c104HalfEEESt5tupleIJNSA_6TensorESH_SH_EERKSH_lbbbEUlllE_EE10hipError_tT0_T1_T2_jT3_P12ihipStream_tbPNSt15iterator_traitsISN_E10value_typeEPNST_ISO_E10value_typeEPSP_NS1_7vsmem_tEENKUlT_SN_SO_SP_E_clIS8_S8_S9_S9_EESM_S12_SN_SO_SP_EUlS12_E1_NS1_11comp_targetILNS1_3genE8ELNS1_11target_archE1030ELNS1_3gpuE2ELNS1_3repE0EEENS1_36merge_oddeven_config_static_selectorELNS0_4arch9wavefront6targetE0EEEvSO_.num_named_barrier, 0
	.set _ZN7rocprim17ROCPRIM_400000_NS6detail17trampoline_kernelINS0_14default_configENS1_38merge_sort_block_merge_config_selectorIlNS0_10empty_typeEEEZZNS1_27merge_sort_block_merge_implIS3_PlPS5_mZN2at6native12_GLOBAL__N_124unique_dim_cuda_templateIN3c104HalfEEESt5tupleIJNSA_6TensorESH_SH_EERKSH_lbbbEUlllE_EE10hipError_tT0_T1_T2_jT3_P12ihipStream_tbPNSt15iterator_traitsISN_E10value_typeEPNST_ISO_E10value_typeEPSP_NS1_7vsmem_tEENKUlT_SN_SO_SP_E_clIS8_S8_S9_S9_EESM_S12_SN_SO_SP_EUlS12_E1_NS1_11comp_targetILNS1_3genE8ELNS1_11target_archE1030ELNS1_3gpuE2ELNS1_3repE0EEENS1_36merge_oddeven_config_static_selectorELNS0_4arch9wavefront6targetE0EEEvSO_.private_seg_size, 0
	.set _ZN7rocprim17ROCPRIM_400000_NS6detail17trampoline_kernelINS0_14default_configENS1_38merge_sort_block_merge_config_selectorIlNS0_10empty_typeEEEZZNS1_27merge_sort_block_merge_implIS3_PlPS5_mZN2at6native12_GLOBAL__N_124unique_dim_cuda_templateIN3c104HalfEEESt5tupleIJNSA_6TensorESH_SH_EERKSH_lbbbEUlllE_EE10hipError_tT0_T1_T2_jT3_P12ihipStream_tbPNSt15iterator_traitsISN_E10value_typeEPNST_ISO_E10value_typeEPSP_NS1_7vsmem_tEENKUlT_SN_SO_SP_E_clIS8_S8_S9_S9_EESM_S12_SN_SO_SP_EUlS12_E1_NS1_11comp_targetILNS1_3genE8ELNS1_11target_archE1030ELNS1_3gpuE2ELNS1_3repE0EEENS1_36merge_oddeven_config_static_selectorELNS0_4arch9wavefront6targetE0EEEvSO_.uses_vcc, 0
	.set _ZN7rocprim17ROCPRIM_400000_NS6detail17trampoline_kernelINS0_14default_configENS1_38merge_sort_block_merge_config_selectorIlNS0_10empty_typeEEEZZNS1_27merge_sort_block_merge_implIS3_PlPS5_mZN2at6native12_GLOBAL__N_124unique_dim_cuda_templateIN3c104HalfEEESt5tupleIJNSA_6TensorESH_SH_EERKSH_lbbbEUlllE_EE10hipError_tT0_T1_T2_jT3_P12ihipStream_tbPNSt15iterator_traitsISN_E10value_typeEPNST_ISO_E10value_typeEPSP_NS1_7vsmem_tEENKUlT_SN_SO_SP_E_clIS8_S8_S9_S9_EESM_S12_SN_SO_SP_EUlS12_E1_NS1_11comp_targetILNS1_3genE8ELNS1_11target_archE1030ELNS1_3gpuE2ELNS1_3repE0EEENS1_36merge_oddeven_config_static_selectorELNS0_4arch9wavefront6targetE0EEEvSO_.uses_flat_scratch, 0
	.set _ZN7rocprim17ROCPRIM_400000_NS6detail17trampoline_kernelINS0_14default_configENS1_38merge_sort_block_merge_config_selectorIlNS0_10empty_typeEEEZZNS1_27merge_sort_block_merge_implIS3_PlPS5_mZN2at6native12_GLOBAL__N_124unique_dim_cuda_templateIN3c104HalfEEESt5tupleIJNSA_6TensorESH_SH_EERKSH_lbbbEUlllE_EE10hipError_tT0_T1_T2_jT3_P12ihipStream_tbPNSt15iterator_traitsISN_E10value_typeEPNST_ISO_E10value_typeEPSP_NS1_7vsmem_tEENKUlT_SN_SO_SP_E_clIS8_S8_S9_S9_EESM_S12_SN_SO_SP_EUlS12_E1_NS1_11comp_targetILNS1_3genE8ELNS1_11target_archE1030ELNS1_3gpuE2ELNS1_3repE0EEENS1_36merge_oddeven_config_static_selectorELNS0_4arch9wavefront6targetE0EEEvSO_.has_dyn_sized_stack, 0
	.set _ZN7rocprim17ROCPRIM_400000_NS6detail17trampoline_kernelINS0_14default_configENS1_38merge_sort_block_merge_config_selectorIlNS0_10empty_typeEEEZZNS1_27merge_sort_block_merge_implIS3_PlPS5_mZN2at6native12_GLOBAL__N_124unique_dim_cuda_templateIN3c104HalfEEESt5tupleIJNSA_6TensorESH_SH_EERKSH_lbbbEUlllE_EE10hipError_tT0_T1_T2_jT3_P12ihipStream_tbPNSt15iterator_traitsISN_E10value_typeEPNST_ISO_E10value_typeEPSP_NS1_7vsmem_tEENKUlT_SN_SO_SP_E_clIS8_S8_S9_S9_EESM_S12_SN_SO_SP_EUlS12_E1_NS1_11comp_targetILNS1_3genE8ELNS1_11target_archE1030ELNS1_3gpuE2ELNS1_3repE0EEENS1_36merge_oddeven_config_static_selectorELNS0_4arch9wavefront6targetE0EEEvSO_.has_recursion, 0
	.set _ZN7rocprim17ROCPRIM_400000_NS6detail17trampoline_kernelINS0_14default_configENS1_38merge_sort_block_merge_config_selectorIlNS0_10empty_typeEEEZZNS1_27merge_sort_block_merge_implIS3_PlPS5_mZN2at6native12_GLOBAL__N_124unique_dim_cuda_templateIN3c104HalfEEESt5tupleIJNSA_6TensorESH_SH_EERKSH_lbbbEUlllE_EE10hipError_tT0_T1_T2_jT3_P12ihipStream_tbPNSt15iterator_traitsISN_E10value_typeEPNST_ISO_E10value_typeEPSP_NS1_7vsmem_tEENKUlT_SN_SO_SP_E_clIS8_S8_S9_S9_EESM_S12_SN_SO_SP_EUlS12_E1_NS1_11comp_targetILNS1_3genE8ELNS1_11target_archE1030ELNS1_3gpuE2ELNS1_3repE0EEENS1_36merge_oddeven_config_static_selectorELNS0_4arch9wavefront6targetE0EEEvSO_.has_indirect_call, 0
	.section	.AMDGPU.csdata,"",@progbits
; Kernel info:
; codeLenInByte = 0
; TotalNumSgprs: 0
; NumVgprs: 0
; ScratchSize: 0
; MemoryBound: 0
; FloatMode: 240
; IeeeMode: 1
; LDSByteSize: 0 bytes/workgroup (compile time only)
; SGPRBlocks: 0
; VGPRBlocks: 0
; NumSGPRsForWavesPerEU: 1
; NumVGPRsForWavesPerEU: 1
; NamedBarCnt: 0
; Occupancy: 16
; WaveLimiterHint : 0
; COMPUTE_PGM_RSRC2:SCRATCH_EN: 0
; COMPUTE_PGM_RSRC2:USER_SGPR: 2
; COMPUTE_PGM_RSRC2:TRAP_HANDLER: 0
; COMPUTE_PGM_RSRC2:TGID_X_EN: 1
; COMPUTE_PGM_RSRC2:TGID_Y_EN: 0
; COMPUTE_PGM_RSRC2:TGID_Z_EN: 0
; COMPUTE_PGM_RSRC2:TIDIG_COMP_CNT: 0
	.section	.text._ZN7rocprim17ROCPRIM_400000_NS6detail17trampoline_kernelINS0_14default_configENS1_35adjacent_difference_config_selectorILb0ElEEZNS1_24adjacent_difference_implIS3_Lb0ELb0EPlS7_ZN2at6native12_GLOBAL__N_124unique_dim_cuda_templateIN3c104HalfEEESt5tupleIJNS8_6TensorESF_SF_EERKSF_lbbbEUlllE1_EE10hipError_tPvRmT2_T3_mT4_P12ihipStream_tbEUlT_E_NS1_11comp_targetILNS1_3genE0ELNS1_11target_archE4294967295ELNS1_3gpuE0ELNS1_3repE0EEENS1_30default_config_static_selectorELNS0_4arch9wavefront6targetE0EEEvT1_,"axG",@progbits,_ZN7rocprim17ROCPRIM_400000_NS6detail17trampoline_kernelINS0_14default_configENS1_35adjacent_difference_config_selectorILb0ElEEZNS1_24adjacent_difference_implIS3_Lb0ELb0EPlS7_ZN2at6native12_GLOBAL__N_124unique_dim_cuda_templateIN3c104HalfEEESt5tupleIJNS8_6TensorESF_SF_EERKSF_lbbbEUlllE1_EE10hipError_tPvRmT2_T3_mT4_P12ihipStream_tbEUlT_E_NS1_11comp_targetILNS1_3genE0ELNS1_11target_archE4294967295ELNS1_3gpuE0ELNS1_3repE0EEENS1_30default_config_static_selectorELNS0_4arch9wavefront6targetE0EEEvT1_,comdat
	.globl	_ZN7rocprim17ROCPRIM_400000_NS6detail17trampoline_kernelINS0_14default_configENS1_35adjacent_difference_config_selectorILb0ElEEZNS1_24adjacent_difference_implIS3_Lb0ELb0EPlS7_ZN2at6native12_GLOBAL__N_124unique_dim_cuda_templateIN3c104HalfEEESt5tupleIJNS8_6TensorESF_SF_EERKSF_lbbbEUlllE1_EE10hipError_tPvRmT2_T3_mT4_P12ihipStream_tbEUlT_E_NS1_11comp_targetILNS1_3genE0ELNS1_11target_archE4294967295ELNS1_3gpuE0ELNS1_3repE0EEENS1_30default_config_static_selectorELNS0_4arch9wavefront6targetE0EEEvT1_ ; -- Begin function _ZN7rocprim17ROCPRIM_400000_NS6detail17trampoline_kernelINS0_14default_configENS1_35adjacent_difference_config_selectorILb0ElEEZNS1_24adjacent_difference_implIS3_Lb0ELb0EPlS7_ZN2at6native12_GLOBAL__N_124unique_dim_cuda_templateIN3c104HalfEEESt5tupleIJNS8_6TensorESF_SF_EERKSF_lbbbEUlllE1_EE10hipError_tPvRmT2_T3_mT4_P12ihipStream_tbEUlT_E_NS1_11comp_targetILNS1_3genE0ELNS1_11target_archE4294967295ELNS1_3gpuE0ELNS1_3repE0EEENS1_30default_config_static_selectorELNS0_4arch9wavefront6targetE0EEEvT1_
	.p2align	8
	.type	_ZN7rocprim17ROCPRIM_400000_NS6detail17trampoline_kernelINS0_14default_configENS1_35adjacent_difference_config_selectorILb0ElEEZNS1_24adjacent_difference_implIS3_Lb0ELb0EPlS7_ZN2at6native12_GLOBAL__N_124unique_dim_cuda_templateIN3c104HalfEEESt5tupleIJNS8_6TensorESF_SF_EERKSF_lbbbEUlllE1_EE10hipError_tPvRmT2_T3_mT4_P12ihipStream_tbEUlT_E_NS1_11comp_targetILNS1_3genE0ELNS1_11target_archE4294967295ELNS1_3gpuE0ELNS1_3repE0EEENS1_30default_config_static_selectorELNS0_4arch9wavefront6targetE0EEEvT1_,@function
_ZN7rocprim17ROCPRIM_400000_NS6detail17trampoline_kernelINS0_14default_configENS1_35adjacent_difference_config_selectorILb0ElEEZNS1_24adjacent_difference_implIS3_Lb0ELb0EPlS7_ZN2at6native12_GLOBAL__N_124unique_dim_cuda_templateIN3c104HalfEEESt5tupleIJNS8_6TensorESF_SF_EERKSF_lbbbEUlllE1_EE10hipError_tPvRmT2_T3_mT4_P12ihipStream_tbEUlT_E_NS1_11comp_targetILNS1_3genE0ELNS1_11target_archE4294967295ELNS1_3gpuE0ELNS1_3repE0EEENS1_30default_config_static_selectorELNS0_4arch9wavefront6targetE0EEEvT1_: ; @_ZN7rocprim17ROCPRIM_400000_NS6detail17trampoline_kernelINS0_14default_configENS1_35adjacent_difference_config_selectorILb0ElEEZNS1_24adjacent_difference_implIS3_Lb0ELb0EPlS7_ZN2at6native12_GLOBAL__N_124unique_dim_cuda_templateIN3c104HalfEEESt5tupleIJNS8_6TensorESF_SF_EERKSF_lbbbEUlllE1_EE10hipError_tPvRmT2_T3_mT4_P12ihipStream_tbEUlT_E_NS1_11comp_targetILNS1_3genE0ELNS1_11target_archE4294967295ELNS1_3gpuE0ELNS1_3repE0EEENS1_30default_config_static_selectorELNS0_4arch9wavefront6targetE0EEEvT1_
; %bb.0:
	s_load_b256 s[4:11], s[0:1], 0x0
	s_bfe_u32 s2, ttmp6, 0x4000c
	s_and_b32 s3, ttmp6, 15
	s_add_co_i32 s2, s2, 1
	s_getreg_b32 s12, hwreg(HW_REG_IB_STS2, 6, 4)
	s_mul_i32 s2, ttmp9, s2
	s_load_b64 s[16:17], s[0:1], 0x38
	s_add_co_i32 s3, s3, s2
	s_mov_b32 s23, 0
	s_delay_alu instid0(SALU_CYCLE_1)
	s_mov_b32 s19, s23
	s_wait_kmcnt 0x0
	s_lshl_b64 s[6:7], s[6:7], 3
	s_cmp_eq_u32 s12, 0
	s_add_nc_u64 s[4:5], s[4:5], s[6:7]
	s_cselect_b32 s18, ttmp9, s3
	s_and_b64 s[12:13], s[10:11], 0x7f
	s_lshr_b64 s[20:21], s[10:11], 7
	s_lshl_b32 s2, s18, 7
	s_cmp_lg_u64 s[12:13], 0
	s_load_b128 s[12:15], s[0:1], 0x20
	s_cselect_b32 s3, -1, 0
	s_add_nc_u64 s[18:19], s[16:17], s[18:19]
	v_cndmask_b32_e64 v1, 0, 1, s3
	s_delay_alu instid0(VALU_DEP_1) | instskip(SKIP_2) | instid1(SALU_CYCLE_1)
	v_readfirstlane_b32 s22, v1
	s_wait_xcnt 0x0
	s_add_nc_u64 s[0:1], s[20:21], s[22:23]
	s_add_nc_u64 s[16:17], s[0:1], -1
	s_delay_alu instid0(SALU_CYCLE_1)
	v_cmp_ge_u64_e64 s11, s[18:19], s[16:17]
	s_and_b32 vcc_lo, exec_lo, s11
	s_cbranch_vccz .LBB1272_4
; %bb.1:
	s_lshl_b32 s3, s16, 7
	s_mov_b32 s20, exec_lo
	s_sub_co_i32 s3, s10, s3
                                        ; implicit-def: $vgpr2_vgpr3
	s_delay_alu instid0(SALU_CYCLE_1)
	v_cmpx_gt_u32_e64 s3, v0
	s_cbranch_execz .LBB1272_3
; %bb.2:
	s_mov_b32 s3, 0
	s_delay_alu instid0(SALU_CYCLE_1) | instskip(NEXT) | instid1(SALU_CYCLE_1)
	s_lshl_b64 s[22:23], s[2:3], 3
	s_add_nc_u64 s[22:23], s[4:5], s[22:23]
	global_load_b64 v[2:3], v0, s[22:23] scale_offset
.LBB1272_3:
	s_wait_xcnt 0x0
	s_or_b32 exec_lo, exec_lo, s20
	v_lshlrev_b32_e32 v1, 3, v0
	s_wait_loadcnt 0x0
	ds_store_b64 v1, v[2:3]
	s_wait_dscnt 0x0
	s_barrier_signal -1
	s_barrier_wait -1
	s_branch .LBB1272_6
.LBB1272_4:
                                        ; implicit-def: $vgpr1
	s_cbranch_execz .LBB1272_6
; %bb.5:
	s_mov_b32 s3, 0
	v_lshlrev_b32_e32 v1, 3, v0
	s_lshl_b64 s[20:21], s[2:3], 3
	s_delay_alu instid0(SALU_CYCLE_1)
	s_add_nc_u64 s[20:21], s[4:5], s[20:21]
	global_load_b64 v[2:3], v0, s[20:21] scale_offset
	s_wait_loadcnt 0x0
	ds_store_b64 v1, v[2:3]
	s_wait_dscnt 0x0
	s_barrier_signal -1
	s_barrier_wait -1
.LBB1272_6:
	ds_load_b64 v[2:3], v1
	s_cmp_eq_u64 s[18:19], 0
	s_wait_dscnt 0x0
	s_barrier_signal -1
	s_barrier_wait -1
	s_cbranch_scc1 .LBB1272_15
; %bb.7:
	s_mov_b32 s3, 0
	s_delay_alu instid0(SALU_CYCLE_1) | instskip(SKIP_2) | instid1(SALU_CYCLE_1)
	s_lshl_b64 s[20:21], s[2:3], 3
	s_cmp_eq_u64 s[18:19], s[16:17]
	s_add_nc_u64 s[4:5], s[4:5], s[20:21]
	s_add_nc_u64 s[4:5], s[4:5], -8
	s_load_b64 s[4:5], s[4:5], 0x0
	s_cbranch_scc1 .LBB1272_16
; %bb.8:
	s_wait_kmcnt 0x0
	v_mov_b64_e32 v[4:5], s[4:5]
	v_lshlrev_b32_e32 v1, 3, v0
	s_mov_b32 s3, exec_lo
	ds_store_b64 v1, v[2:3]
	s_wait_dscnt 0x0
	s_barrier_signal -1
	s_barrier_wait -1
	v_cmpx_ne_u32_e32 0, v0
; %bb.9:
	v_add_nc_u32_e32 v1, -8, v1
	ds_load_b64 v[4:5], v1
; %bb.10:
	s_or_b32 exec_lo, exec_lo, s3
	v_cmp_lt_i64_e64 s3, s[12:13], 1
	s_and_b32 vcc_lo, exec_lo, s3
	s_cbranch_vccnz .LBB1272_18
; %bb.11:
	v_mul_u64_e32 v[6:7], s[12:13], v[2:3]
	s_wait_dscnt 0x0
	v_mul_u64_e32 v[4:5], s[12:13], v[4:5]
	s_mov_b32 s3, 0
	s_mov_b64 s[20:21], s[12:13]
                                        ; implicit-def: $sgpr17
	s_delay_alu instid0(VALU_DEP_2) | instskip(NEXT) | instid1(VALU_DEP_2)
	v_lshl_add_u64 v[6:7], v[6:7], 1, s[14:15]
	v_lshl_add_u64 v[8:9], v[4:5], 1, s[14:15]
	s_branch .LBB1272_13
.LBB1272_12:                            ;   in Loop: Header=BB1272_13 Depth=1
	s_or_b32 exec_lo, exec_lo, s19
	s_delay_alu instid0(SALU_CYCLE_1) | instskip(NEXT) | instid1(SALU_CYCLE_1)
	s_and_b32 s19, exec_lo, s17
	s_or_b32 s3, s19, s3
	s_delay_alu instid0(SALU_CYCLE_1)
	s_and_not1_b32 exec_lo, exec_lo, s3
	s_cbranch_execz .LBB1272_17
.LBB1272_13:                            ; =>This Inner Loop Header: Depth=1
	global_load_u16 v1, v[6:7], off
	global_load_u16 v10, v[8:9], off
	v_mov_b64_e32 v[4:5], 1
	s_or_b32 s17, s17, exec_lo
	s_mov_b32 s19, exec_lo
	s_wait_loadcnt 0x0
	v_cmpx_eq_f16_e32 v1, v10
	s_cbranch_execz .LBB1272_12
; %bb.14:                               ;   in Loop: Header=BB1272_13 Depth=1
	s_add_nc_u64 s[20:21], s[20:21], -1
	v_add_nc_u64_e32 v[6:7], 2, v[6:7]
	s_cmp_eq_u64 s[20:21], 0
	v_add_nc_u64_e32 v[8:9], 2, v[8:9]
	v_mov_b64_e32 v[4:5], 0
	s_cselect_b32 s22, -1, 0
	s_and_not1_b32 s17, s17, exec_lo
	s_and_b32 s22, s22, exec_lo
	s_delay_alu instid0(SALU_CYCLE_1)
	s_or_b32 s17, s17, s22
	s_branch .LBB1272_12
.LBB1272_15:
                                        ; implicit-def: $vgpr4_vgpr5
	s_branch .LBB1272_31
.LBB1272_16:
                                        ; implicit-def: $vgpr4_vgpr5
	s_cbranch_execnz .LBB1272_19
	s_branch .LBB1272_30
.LBB1272_17:
	s_or_b32 exec_lo, exec_lo, s3
	s_branch .LBB1272_30
.LBB1272_18:
	s_wait_dscnt 0x0
	v_mov_b64_e32 v[4:5], 0
	s_branch .LBB1272_30
.LBB1272_19:
	s_wait_kmcnt 0x0
	v_mov_b64_e32 v[6:7], s[4:5]
	v_lshlrev_b32_e32 v1, 3, v0
	s_mov_b32 s3, exec_lo
	ds_store_b64 v1, v[2:3]
	s_wait_dscnt 0x0
	s_barrier_signal -1
	s_barrier_wait -1
	v_cmpx_ne_u32_e32 0, v0
; %bb.20:
	v_add_nc_u32_e32 v1, -8, v1
	ds_load_b64 v[6:7], v1
; %bb.21:
	s_or_b32 exec_lo, exec_lo, s3
	s_lshl_b32 s3, s18, 7
	v_mov_b64_e32 v[4:5], v[2:3]
	s_sub_co_i32 s3, s10, s3
	s_delay_alu instid0(SALU_CYCLE_1)
	v_cmp_gt_u32_e32 vcc_lo, s3, v0
	s_and_saveexec_b32 s3, vcc_lo
	s_cbranch_execz .LBB1272_29
; %bb.22:
	v_cmp_lt_i64_e64 s4, s[12:13], 1
	s_and_b32 vcc_lo, exec_lo, s4
	s_cbranch_vccnz .LBB1272_28
; %bb.23:
	v_mul_u64_e32 v[4:5], s[12:13], v[2:3]
	s_wait_dscnt 0x0
	v_mul_u64_e32 v[8:9], s[12:13], v[6:7]
	s_mov_b32 s17, 0
	s_mov_b64 s[4:5], s[12:13]
                                        ; implicit-def: $sgpr18
	s_delay_alu instid0(VALU_DEP_2) | instskip(NEXT) | instid1(VALU_DEP_2)
	v_lshl_add_u64 v[6:7], v[4:5], 1, s[14:15]
	v_lshl_add_u64 v[8:9], v[8:9], 1, s[14:15]
	s_branch .LBB1272_25
.LBB1272_24:                            ;   in Loop: Header=BB1272_25 Depth=1
	s_or_b32 exec_lo, exec_lo, s19
	s_delay_alu instid0(SALU_CYCLE_1) | instskip(NEXT) | instid1(SALU_CYCLE_1)
	s_and_b32 s19, exec_lo, s18
	s_or_b32 s17, s19, s17
	s_delay_alu instid0(SALU_CYCLE_1)
	s_and_not1_b32 exec_lo, exec_lo, s17
	s_cbranch_execz .LBB1272_27
.LBB1272_25:                            ; =>This Inner Loop Header: Depth=1
	global_load_u16 v1, v[6:7], off
	global_load_u16 v10, v[8:9], off
	v_mov_b64_e32 v[4:5], 1
	s_or_b32 s18, s18, exec_lo
	s_mov_b32 s19, exec_lo
	s_wait_loadcnt 0x0
	v_cmpx_eq_f16_e32 v1, v10
	s_cbranch_execz .LBB1272_24
; %bb.26:                               ;   in Loop: Header=BB1272_25 Depth=1
	s_add_nc_u64 s[4:5], s[4:5], -1
	v_add_nc_u64_e32 v[6:7], 2, v[6:7]
	s_cmp_eq_u64 s[4:5], 0
	v_add_nc_u64_e32 v[8:9], 2, v[8:9]
	v_mov_b64_e32 v[4:5], 0
	s_cselect_b32 s20, -1, 0
	s_and_not1_b32 s18, s18, exec_lo
	s_and_b32 s20, s20, exec_lo
	s_delay_alu instid0(SALU_CYCLE_1)
	s_or_b32 s18, s18, s20
	s_branch .LBB1272_24
.LBB1272_27:
	s_or_b32 exec_lo, exec_lo, s17
	s_branch .LBB1272_29
.LBB1272_28:
	v_mov_b64_e32 v[4:5], 0
.LBB1272_29:
	s_or_b32 exec_lo, exec_lo, s3
.LBB1272_30:
	s_cbranch_execnz .LBB1272_51
.LBB1272_31:
	s_cmp_eq_u64 s[0:1], 1
	v_cmp_ne_u32_e32 vcc_lo, 0, v0
	s_cbranch_scc1 .LBB1272_38
; %bb.32:
	v_mov_b64_e32 v[4:5], v[2:3]
	v_lshlrev_b32_e32 v1, 3, v0
	s_mov_b32 s3, 0
	ds_store_b64 v1, v[2:3]
	s_wait_dscnt 0x0
	s_barrier_signal -1
	s_barrier_wait -1
	s_wait_kmcnt 0x0
	s_and_saveexec_b32 s4, vcc_lo
	s_cbranch_execz .LBB1272_40
; %bb.33:
	v_cmp_lt_i64_e64 s0, s[12:13], 1
	s_and_b32 vcc_lo, exec_lo, s0
	s_cbranch_vccnz .LBB1272_48
; %bb.34:
	v_add_nc_u32_e32 v1, -8, v1
	v_mul_u64_e32 v[6:7], s[12:13], v[2:3]
	s_mov_b32 s5, 0
	s_mov_b64 s[0:1], s[12:13]
                                        ; implicit-def: $sgpr17
	ds_load_b64 v[4:5], v1
	s_wait_dscnt 0x0
	v_mul_u64_e32 v[4:5], s[12:13], v[4:5]
	v_lshl_add_u64 v[6:7], v[6:7], 1, s[14:15]
	s_delay_alu instid0(VALU_DEP_2)
	v_lshl_add_u64 v[8:9], v[4:5], 1, s[14:15]
	s_branch .LBB1272_36
.LBB1272_35:                            ;   in Loop: Header=BB1272_36 Depth=1
	s_or_b32 exec_lo, exec_lo, s18
	s_delay_alu instid0(SALU_CYCLE_1) | instskip(NEXT) | instid1(SALU_CYCLE_1)
	s_and_b32 s18, exec_lo, s17
	s_or_b32 s5, s18, s5
	s_delay_alu instid0(SALU_CYCLE_1)
	s_and_not1_b32 exec_lo, exec_lo, s5
	s_cbranch_execz .LBB1272_39
.LBB1272_36:                            ; =>This Inner Loop Header: Depth=1
	global_load_u16 v1, v[6:7], off
	global_load_u16 v10, v[8:9], off
	v_mov_b64_e32 v[4:5], 1
	s_or_b32 s17, s17, exec_lo
	s_mov_b32 s18, exec_lo
	s_wait_loadcnt 0x0
	v_cmpx_eq_f16_e32 v1, v10
	s_cbranch_execz .LBB1272_35
; %bb.37:                               ;   in Loop: Header=BB1272_36 Depth=1
	s_add_nc_u64 s[0:1], s[0:1], -1
	v_add_nc_u64_e32 v[6:7], 2, v[6:7]
	s_cmp_eq_u64 s[0:1], 0
	v_add_nc_u64_e32 v[8:9], 2, v[8:9]
	v_mov_b64_e32 v[4:5], 0
	s_cselect_b32 s19, -1, 0
	s_and_not1_b32 s17, s17, exec_lo
	s_and_b32 s19, s19, exec_lo
	s_delay_alu instid0(SALU_CYCLE_1)
	s_or_b32 s17, s17, s19
	s_branch .LBB1272_35
.LBB1272_38:
                                        ; implicit-def: $vgpr4_vgpr5
	s_branch .LBB1272_41
.LBB1272_39:
	s_or_b32 exec_lo, exec_lo, s5
.LBB1272_40:
	s_delay_alu instid0(SALU_CYCLE_1) | instskip(NEXT) | instid1(SALU_CYCLE_1)
	s_or_b32 exec_lo, exec_lo, s4
	s_and_not1_b32 vcc_lo, exec_lo, s3
	s_cbranch_vccnz .LBB1272_51
.LBB1272_41:
	v_cmp_ne_u32_e32 vcc_lo, 0, v0
	v_cmp_gt_u32_e64 s0, s10, v0
	v_lshlrev_b32_e32 v1, 3, v0
	s_and_b32 s1, vcc_lo, s0
	ds_store_b64 v1, v[2:3]
	s_wait_dscnt 0x0
	s_barrier_signal -1
	s_barrier_wait -1
	s_and_saveexec_b32 s0, s1
	s_cbranch_execz .LBB1272_50
; %bb.42:
	s_wait_kmcnt 0x0
	v_cmp_lt_i64_e64 s1, s[12:13], 1
	s_and_b32 vcc_lo, exec_lo, s1
	s_cbranch_vccnz .LBB1272_49
; %bb.43:
	v_add_nc_u32_e32 v1, -8, v1
	v_mul_u64_e32 v[2:3], s[12:13], v[2:3]
	s_mov_b32 s1, 0
                                        ; implicit-def: $sgpr3
	ds_load_b64 v[4:5], v1
	s_wait_dscnt 0x0
	v_mul_u64_e32 v[6:7], s[12:13], v[4:5]
	v_lshl_add_u64 v[4:5], v[2:3], 1, s[14:15]
	s_delay_alu instid0(VALU_DEP_2)
	v_lshl_add_u64 v[6:7], v[6:7], 1, s[14:15]
	s_branch .LBB1272_45
.LBB1272_44:                            ;   in Loop: Header=BB1272_45 Depth=1
	s_or_b32 exec_lo, exec_lo, s4
	s_delay_alu instid0(SALU_CYCLE_1) | instskip(NEXT) | instid1(SALU_CYCLE_1)
	s_and_b32 s4, exec_lo, s3
	s_or_b32 s1, s4, s1
	s_delay_alu instid0(SALU_CYCLE_1)
	s_and_not1_b32 exec_lo, exec_lo, s1
	s_cbranch_execz .LBB1272_47
.LBB1272_45:                            ; =>This Inner Loop Header: Depth=1
	global_load_u16 v1, v[4:5], off
	global_load_u16 v8, v[6:7], off
	v_mov_b64_e32 v[2:3], 1
	s_or_b32 s3, s3, exec_lo
	s_mov_b32 s4, exec_lo
	s_wait_loadcnt 0x0
	v_cmpx_eq_f16_e32 v1, v8
	s_cbranch_execz .LBB1272_44
; %bb.46:                               ;   in Loop: Header=BB1272_45 Depth=1
	s_add_nc_u64 s[12:13], s[12:13], -1
	v_add_nc_u64_e32 v[4:5], 2, v[4:5]
	s_cmp_eq_u64 s[12:13], 0
	v_add_nc_u64_e32 v[6:7], 2, v[6:7]
	v_mov_b64_e32 v[2:3], 0
	s_cselect_b32 s5, -1, 0
	s_and_not1_b32 s3, s3, exec_lo
	s_and_b32 s5, s5, exec_lo
	s_delay_alu instid0(SALU_CYCLE_1)
	s_or_b32 s3, s3, s5
	s_branch .LBB1272_44
.LBB1272_47:
	s_or_b32 exec_lo, exec_lo, s1
	s_branch .LBB1272_50
.LBB1272_48:
	v_mov_b64_e32 v[4:5], 0
	s_or_b32 exec_lo, exec_lo, s4
	s_delay_alu instid0(SALU_CYCLE_1)
	s_and_not1_b32 vcc_lo, exec_lo, s3
	s_cbranch_vccz .LBB1272_41
	s_branch .LBB1272_51
.LBB1272_49:
	v_mov_b64_e32 v[2:3], 0
.LBB1272_50:
	s_or_b32 exec_lo, exec_lo, s0
	s_delay_alu instid0(VALU_DEP_1)
	v_mov_b64_e32 v[4:5], v[2:3]
.LBB1272_51:
	s_add_nc_u64 s[0:1], s[8:9], s[6:7]
	s_and_b32 vcc_lo, exec_lo, s11
	s_mov_b32 s3, -1
	s_wait_dscnt 0x0
	s_barrier_signal -1
	s_barrier_wait -1
	s_cbranch_vccnz .LBB1272_54
; %bb.52:
	s_and_not1_b32 vcc_lo, exec_lo, s3
	s_cbranch_vccz .LBB1272_57
.LBB1272_53:
	s_endpgm
.LBB1272_54:
	v_lshlrev_b32_e32 v1, 3, v0
	s_lshl_b32 s3, s16, 7
	s_wait_kmcnt 0x0
	s_mov_b32 s4, exec_lo
	s_sub_co_i32 s3, s10, s3
	ds_store_b64 v1, v[4:5]
	s_wait_dscnt 0x0
	s_barrier_signal -1
	s_barrier_wait -1
	v_cmpx_gt_u32_e64 s3, v0
	s_cbranch_execz .LBB1272_56
; %bb.55:
	ds_load_b64 v[2:3], v1
	s_mov_b32 s3, 0
	s_delay_alu instid0(SALU_CYCLE_1) | instskip(NEXT) | instid1(SALU_CYCLE_1)
	s_lshl_b64 s[6:7], s[2:3], 3
	s_add_nc_u64 s[6:7], s[0:1], s[6:7]
	s_wait_dscnt 0x0
	global_store_b64 v0, v[2:3], s[6:7] scale_offset
.LBB1272_56:
	s_wait_xcnt 0x0
	s_or_b32 exec_lo, exec_lo, s4
	s_cbranch_execnz .LBB1272_53
.LBB1272_57:
	v_lshlrev_b32_e32 v1, 3, v0
	s_mov_b32 s3, 0
	s_delay_alu instid0(SALU_CYCLE_1) | instskip(NEXT) | instid1(SALU_CYCLE_1)
	s_lshl_b64 s[2:3], s[2:3], 3
	s_add_nc_u64 s[0:1], s[0:1], s[2:3]
	ds_store_b64 v1, v[4:5]
	s_wait_storecnt_dscnt 0x0
	s_barrier_signal -1
	s_barrier_wait -1
	ds_load_b64 v[2:3], v1
	s_wait_dscnt 0x0
	global_store_b64 v0, v[2:3], s[0:1] scale_offset
	s_endpgm
	.section	.rodata,"a",@progbits
	.p2align	6, 0x0
	.amdhsa_kernel _ZN7rocprim17ROCPRIM_400000_NS6detail17trampoline_kernelINS0_14default_configENS1_35adjacent_difference_config_selectorILb0ElEEZNS1_24adjacent_difference_implIS3_Lb0ELb0EPlS7_ZN2at6native12_GLOBAL__N_124unique_dim_cuda_templateIN3c104HalfEEESt5tupleIJNS8_6TensorESF_SF_EERKSF_lbbbEUlllE1_EE10hipError_tPvRmT2_T3_mT4_P12ihipStream_tbEUlT_E_NS1_11comp_targetILNS1_3genE0ELNS1_11target_archE4294967295ELNS1_3gpuE0ELNS1_3repE0EEENS1_30default_config_static_selectorELNS0_4arch9wavefront6targetE0EEEvT1_
		.amdhsa_group_segment_fixed_size 2048
		.amdhsa_private_segment_fixed_size 0
		.amdhsa_kernarg_size 64
		.amdhsa_user_sgpr_count 2
		.amdhsa_user_sgpr_dispatch_ptr 0
		.amdhsa_user_sgpr_queue_ptr 0
		.amdhsa_user_sgpr_kernarg_segment_ptr 1
		.amdhsa_user_sgpr_dispatch_id 0
		.amdhsa_user_sgpr_kernarg_preload_length 0
		.amdhsa_user_sgpr_kernarg_preload_offset 0
		.amdhsa_user_sgpr_private_segment_size 0
		.amdhsa_wavefront_size32 1
		.amdhsa_uses_dynamic_stack 0
		.amdhsa_enable_private_segment 0
		.amdhsa_system_sgpr_workgroup_id_x 1
		.amdhsa_system_sgpr_workgroup_id_y 0
		.amdhsa_system_sgpr_workgroup_id_z 0
		.amdhsa_system_sgpr_workgroup_info 0
		.amdhsa_system_vgpr_workitem_id 0
		.amdhsa_next_free_vgpr 11
		.amdhsa_next_free_sgpr 24
		.amdhsa_named_barrier_count 0
		.amdhsa_reserve_vcc 1
		.amdhsa_float_round_mode_32 0
		.amdhsa_float_round_mode_16_64 0
		.amdhsa_float_denorm_mode_32 3
		.amdhsa_float_denorm_mode_16_64 3
		.amdhsa_fp16_overflow 0
		.amdhsa_memory_ordered 1
		.amdhsa_forward_progress 1
		.amdhsa_inst_pref_size 14
		.amdhsa_round_robin_scheduling 0
		.amdhsa_exception_fp_ieee_invalid_op 0
		.amdhsa_exception_fp_denorm_src 0
		.amdhsa_exception_fp_ieee_div_zero 0
		.amdhsa_exception_fp_ieee_overflow 0
		.amdhsa_exception_fp_ieee_underflow 0
		.amdhsa_exception_fp_ieee_inexact 0
		.amdhsa_exception_int_div_zero 0
	.end_amdhsa_kernel
	.section	.text._ZN7rocprim17ROCPRIM_400000_NS6detail17trampoline_kernelINS0_14default_configENS1_35adjacent_difference_config_selectorILb0ElEEZNS1_24adjacent_difference_implIS3_Lb0ELb0EPlS7_ZN2at6native12_GLOBAL__N_124unique_dim_cuda_templateIN3c104HalfEEESt5tupleIJNS8_6TensorESF_SF_EERKSF_lbbbEUlllE1_EE10hipError_tPvRmT2_T3_mT4_P12ihipStream_tbEUlT_E_NS1_11comp_targetILNS1_3genE0ELNS1_11target_archE4294967295ELNS1_3gpuE0ELNS1_3repE0EEENS1_30default_config_static_selectorELNS0_4arch9wavefront6targetE0EEEvT1_,"axG",@progbits,_ZN7rocprim17ROCPRIM_400000_NS6detail17trampoline_kernelINS0_14default_configENS1_35adjacent_difference_config_selectorILb0ElEEZNS1_24adjacent_difference_implIS3_Lb0ELb0EPlS7_ZN2at6native12_GLOBAL__N_124unique_dim_cuda_templateIN3c104HalfEEESt5tupleIJNS8_6TensorESF_SF_EERKSF_lbbbEUlllE1_EE10hipError_tPvRmT2_T3_mT4_P12ihipStream_tbEUlT_E_NS1_11comp_targetILNS1_3genE0ELNS1_11target_archE4294967295ELNS1_3gpuE0ELNS1_3repE0EEENS1_30default_config_static_selectorELNS0_4arch9wavefront6targetE0EEEvT1_,comdat
.Lfunc_end1272:
	.size	_ZN7rocprim17ROCPRIM_400000_NS6detail17trampoline_kernelINS0_14default_configENS1_35adjacent_difference_config_selectorILb0ElEEZNS1_24adjacent_difference_implIS3_Lb0ELb0EPlS7_ZN2at6native12_GLOBAL__N_124unique_dim_cuda_templateIN3c104HalfEEESt5tupleIJNS8_6TensorESF_SF_EERKSF_lbbbEUlllE1_EE10hipError_tPvRmT2_T3_mT4_P12ihipStream_tbEUlT_E_NS1_11comp_targetILNS1_3genE0ELNS1_11target_archE4294967295ELNS1_3gpuE0ELNS1_3repE0EEENS1_30default_config_static_selectorELNS0_4arch9wavefront6targetE0EEEvT1_, .Lfunc_end1272-_ZN7rocprim17ROCPRIM_400000_NS6detail17trampoline_kernelINS0_14default_configENS1_35adjacent_difference_config_selectorILb0ElEEZNS1_24adjacent_difference_implIS3_Lb0ELb0EPlS7_ZN2at6native12_GLOBAL__N_124unique_dim_cuda_templateIN3c104HalfEEESt5tupleIJNS8_6TensorESF_SF_EERKSF_lbbbEUlllE1_EE10hipError_tPvRmT2_T3_mT4_P12ihipStream_tbEUlT_E_NS1_11comp_targetILNS1_3genE0ELNS1_11target_archE4294967295ELNS1_3gpuE0ELNS1_3repE0EEENS1_30default_config_static_selectorELNS0_4arch9wavefront6targetE0EEEvT1_
                                        ; -- End function
	.set _ZN7rocprim17ROCPRIM_400000_NS6detail17trampoline_kernelINS0_14default_configENS1_35adjacent_difference_config_selectorILb0ElEEZNS1_24adjacent_difference_implIS3_Lb0ELb0EPlS7_ZN2at6native12_GLOBAL__N_124unique_dim_cuda_templateIN3c104HalfEEESt5tupleIJNS8_6TensorESF_SF_EERKSF_lbbbEUlllE1_EE10hipError_tPvRmT2_T3_mT4_P12ihipStream_tbEUlT_E_NS1_11comp_targetILNS1_3genE0ELNS1_11target_archE4294967295ELNS1_3gpuE0ELNS1_3repE0EEENS1_30default_config_static_selectorELNS0_4arch9wavefront6targetE0EEEvT1_.num_vgpr, 11
	.set _ZN7rocprim17ROCPRIM_400000_NS6detail17trampoline_kernelINS0_14default_configENS1_35adjacent_difference_config_selectorILb0ElEEZNS1_24adjacent_difference_implIS3_Lb0ELb0EPlS7_ZN2at6native12_GLOBAL__N_124unique_dim_cuda_templateIN3c104HalfEEESt5tupleIJNS8_6TensorESF_SF_EERKSF_lbbbEUlllE1_EE10hipError_tPvRmT2_T3_mT4_P12ihipStream_tbEUlT_E_NS1_11comp_targetILNS1_3genE0ELNS1_11target_archE4294967295ELNS1_3gpuE0ELNS1_3repE0EEENS1_30default_config_static_selectorELNS0_4arch9wavefront6targetE0EEEvT1_.num_agpr, 0
	.set _ZN7rocprim17ROCPRIM_400000_NS6detail17trampoline_kernelINS0_14default_configENS1_35adjacent_difference_config_selectorILb0ElEEZNS1_24adjacent_difference_implIS3_Lb0ELb0EPlS7_ZN2at6native12_GLOBAL__N_124unique_dim_cuda_templateIN3c104HalfEEESt5tupleIJNS8_6TensorESF_SF_EERKSF_lbbbEUlllE1_EE10hipError_tPvRmT2_T3_mT4_P12ihipStream_tbEUlT_E_NS1_11comp_targetILNS1_3genE0ELNS1_11target_archE4294967295ELNS1_3gpuE0ELNS1_3repE0EEENS1_30default_config_static_selectorELNS0_4arch9wavefront6targetE0EEEvT1_.numbered_sgpr, 24
	.set _ZN7rocprim17ROCPRIM_400000_NS6detail17trampoline_kernelINS0_14default_configENS1_35adjacent_difference_config_selectorILb0ElEEZNS1_24adjacent_difference_implIS3_Lb0ELb0EPlS7_ZN2at6native12_GLOBAL__N_124unique_dim_cuda_templateIN3c104HalfEEESt5tupleIJNS8_6TensorESF_SF_EERKSF_lbbbEUlllE1_EE10hipError_tPvRmT2_T3_mT4_P12ihipStream_tbEUlT_E_NS1_11comp_targetILNS1_3genE0ELNS1_11target_archE4294967295ELNS1_3gpuE0ELNS1_3repE0EEENS1_30default_config_static_selectorELNS0_4arch9wavefront6targetE0EEEvT1_.num_named_barrier, 0
	.set _ZN7rocprim17ROCPRIM_400000_NS6detail17trampoline_kernelINS0_14default_configENS1_35adjacent_difference_config_selectorILb0ElEEZNS1_24adjacent_difference_implIS3_Lb0ELb0EPlS7_ZN2at6native12_GLOBAL__N_124unique_dim_cuda_templateIN3c104HalfEEESt5tupleIJNS8_6TensorESF_SF_EERKSF_lbbbEUlllE1_EE10hipError_tPvRmT2_T3_mT4_P12ihipStream_tbEUlT_E_NS1_11comp_targetILNS1_3genE0ELNS1_11target_archE4294967295ELNS1_3gpuE0ELNS1_3repE0EEENS1_30default_config_static_selectorELNS0_4arch9wavefront6targetE0EEEvT1_.private_seg_size, 0
	.set _ZN7rocprim17ROCPRIM_400000_NS6detail17trampoline_kernelINS0_14default_configENS1_35adjacent_difference_config_selectorILb0ElEEZNS1_24adjacent_difference_implIS3_Lb0ELb0EPlS7_ZN2at6native12_GLOBAL__N_124unique_dim_cuda_templateIN3c104HalfEEESt5tupleIJNS8_6TensorESF_SF_EERKSF_lbbbEUlllE1_EE10hipError_tPvRmT2_T3_mT4_P12ihipStream_tbEUlT_E_NS1_11comp_targetILNS1_3genE0ELNS1_11target_archE4294967295ELNS1_3gpuE0ELNS1_3repE0EEENS1_30default_config_static_selectorELNS0_4arch9wavefront6targetE0EEEvT1_.uses_vcc, 1
	.set _ZN7rocprim17ROCPRIM_400000_NS6detail17trampoline_kernelINS0_14default_configENS1_35adjacent_difference_config_selectorILb0ElEEZNS1_24adjacent_difference_implIS3_Lb0ELb0EPlS7_ZN2at6native12_GLOBAL__N_124unique_dim_cuda_templateIN3c104HalfEEESt5tupleIJNS8_6TensorESF_SF_EERKSF_lbbbEUlllE1_EE10hipError_tPvRmT2_T3_mT4_P12ihipStream_tbEUlT_E_NS1_11comp_targetILNS1_3genE0ELNS1_11target_archE4294967295ELNS1_3gpuE0ELNS1_3repE0EEENS1_30default_config_static_selectorELNS0_4arch9wavefront6targetE0EEEvT1_.uses_flat_scratch, 0
	.set _ZN7rocprim17ROCPRIM_400000_NS6detail17trampoline_kernelINS0_14default_configENS1_35adjacent_difference_config_selectorILb0ElEEZNS1_24adjacent_difference_implIS3_Lb0ELb0EPlS7_ZN2at6native12_GLOBAL__N_124unique_dim_cuda_templateIN3c104HalfEEESt5tupleIJNS8_6TensorESF_SF_EERKSF_lbbbEUlllE1_EE10hipError_tPvRmT2_T3_mT4_P12ihipStream_tbEUlT_E_NS1_11comp_targetILNS1_3genE0ELNS1_11target_archE4294967295ELNS1_3gpuE0ELNS1_3repE0EEENS1_30default_config_static_selectorELNS0_4arch9wavefront6targetE0EEEvT1_.has_dyn_sized_stack, 0
	.set _ZN7rocprim17ROCPRIM_400000_NS6detail17trampoline_kernelINS0_14default_configENS1_35adjacent_difference_config_selectorILb0ElEEZNS1_24adjacent_difference_implIS3_Lb0ELb0EPlS7_ZN2at6native12_GLOBAL__N_124unique_dim_cuda_templateIN3c104HalfEEESt5tupleIJNS8_6TensorESF_SF_EERKSF_lbbbEUlllE1_EE10hipError_tPvRmT2_T3_mT4_P12ihipStream_tbEUlT_E_NS1_11comp_targetILNS1_3genE0ELNS1_11target_archE4294967295ELNS1_3gpuE0ELNS1_3repE0EEENS1_30default_config_static_selectorELNS0_4arch9wavefront6targetE0EEEvT1_.has_recursion, 0
	.set _ZN7rocprim17ROCPRIM_400000_NS6detail17trampoline_kernelINS0_14default_configENS1_35adjacent_difference_config_selectorILb0ElEEZNS1_24adjacent_difference_implIS3_Lb0ELb0EPlS7_ZN2at6native12_GLOBAL__N_124unique_dim_cuda_templateIN3c104HalfEEESt5tupleIJNS8_6TensorESF_SF_EERKSF_lbbbEUlllE1_EE10hipError_tPvRmT2_T3_mT4_P12ihipStream_tbEUlT_E_NS1_11comp_targetILNS1_3genE0ELNS1_11target_archE4294967295ELNS1_3gpuE0ELNS1_3repE0EEENS1_30default_config_static_selectorELNS0_4arch9wavefront6targetE0EEEvT1_.has_indirect_call, 0
	.section	.AMDGPU.csdata,"",@progbits
; Kernel info:
; codeLenInByte = 1704
; TotalNumSgprs: 26
; NumVgprs: 11
; ScratchSize: 0
; MemoryBound: 0
; FloatMode: 240
; IeeeMode: 1
; LDSByteSize: 2048 bytes/workgroup (compile time only)
; SGPRBlocks: 0
; VGPRBlocks: 0
; NumSGPRsForWavesPerEU: 26
; NumVGPRsForWavesPerEU: 11
; NamedBarCnt: 0
; Occupancy: 16
; WaveLimiterHint : 0
; COMPUTE_PGM_RSRC2:SCRATCH_EN: 0
; COMPUTE_PGM_RSRC2:USER_SGPR: 2
; COMPUTE_PGM_RSRC2:TRAP_HANDLER: 0
; COMPUTE_PGM_RSRC2:TGID_X_EN: 1
; COMPUTE_PGM_RSRC2:TGID_Y_EN: 0
; COMPUTE_PGM_RSRC2:TGID_Z_EN: 0
; COMPUTE_PGM_RSRC2:TIDIG_COMP_CNT: 0
	.section	.text._ZN7rocprim17ROCPRIM_400000_NS6detail17trampoline_kernelINS0_14default_configENS1_35adjacent_difference_config_selectorILb0ElEEZNS1_24adjacent_difference_implIS3_Lb0ELb0EPlS7_ZN2at6native12_GLOBAL__N_124unique_dim_cuda_templateIN3c104HalfEEESt5tupleIJNS8_6TensorESF_SF_EERKSF_lbbbEUlllE1_EE10hipError_tPvRmT2_T3_mT4_P12ihipStream_tbEUlT_E_NS1_11comp_targetILNS1_3genE10ELNS1_11target_archE1201ELNS1_3gpuE5ELNS1_3repE0EEENS1_30default_config_static_selectorELNS0_4arch9wavefront6targetE0EEEvT1_,"axG",@progbits,_ZN7rocprim17ROCPRIM_400000_NS6detail17trampoline_kernelINS0_14default_configENS1_35adjacent_difference_config_selectorILb0ElEEZNS1_24adjacent_difference_implIS3_Lb0ELb0EPlS7_ZN2at6native12_GLOBAL__N_124unique_dim_cuda_templateIN3c104HalfEEESt5tupleIJNS8_6TensorESF_SF_EERKSF_lbbbEUlllE1_EE10hipError_tPvRmT2_T3_mT4_P12ihipStream_tbEUlT_E_NS1_11comp_targetILNS1_3genE10ELNS1_11target_archE1201ELNS1_3gpuE5ELNS1_3repE0EEENS1_30default_config_static_selectorELNS0_4arch9wavefront6targetE0EEEvT1_,comdat
	.globl	_ZN7rocprim17ROCPRIM_400000_NS6detail17trampoline_kernelINS0_14default_configENS1_35adjacent_difference_config_selectorILb0ElEEZNS1_24adjacent_difference_implIS3_Lb0ELb0EPlS7_ZN2at6native12_GLOBAL__N_124unique_dim_cuda_templateIN3c104HalfEEESt5tupleIJNS8_6TensorESF_SF_EERKSF_lbbbEUlllE1_EE10hipError_tPvRmT2_T3_mT4_P12ihipStream_tbEUlT_E_NS1_11comp_targetILNS1_3genE10ELNS1_11target_archE1201ELNS1_3gpuE5ELNS1_3repE0EEENS1_30default_config_static_selectorELNS0_4arch9wavefront6targetE0EEEvT1_ ; -- Begin function _ZN7rocprim17ROCPRIM_400000_NS6detail17trampoline_kernelINS0_14default_configENS1_35adjacent_difference_config_selectorILb0ElEEZNS1_24adjacent_difference_implIS3_Lb0ELb0EPlS7_ZN2at6native12_GLOBAL__N_124unique_dim_cuda_templateIN3c104HalfEEESt5tupleIJNS8_6TensorESF_SF_EERKSF_lbbbEUlllE1_EE10hipError_tPvRmT2_T3_mT4_P12ihipStream_tbEUlT_E_NS1_11comp_targetILNS1_3genE10ELNS1_11target_archE1201ELNS1_3gpuE5ELNS1_3repE0EEENS1_30default_config_static_selectorELNS0_4arch9wavefront6targetE0EEEvT1_
	.p2align	8
	.type	_ZN7rocprim17ROCPRIM_400000_NS6detail17trampoline_kernelINS0_14default_configENS1_35adjacent_difference_config_selectorILb0ElEEZNS1_24adjacent_difference_implIS3_Lb0ELb0EPlS7_ZN2at6native12_GLOBAL__N_124unique_dim_cuda_templateIN3c104HalfEEESt5tupleIJNS8_6TensorESF_SF_EERKSF_lbbbEUlllE1_EE10hipError_tPvRmT2_T3_mT4_P12ihipStream_tbEUlT_E_NS1_11comp_targetILNS1_3genE10ELNS1_11target_archE1201ELNS1_3gpuE5ELNS1_3repE0EEENS1_30default_config_static_selectorELNS0_4arch9wavefront6targetE0EEEvT1_,@function
_ZN7rocprim17ROCPRIM_400000_NS6detail17trampoline_kernelINS0_14default_configENS1_35adjacent_difference_config_selectorILb0ElEEZNS1_24adjacent_difference_implIS3_Lb0ELb0EPlS7_ZN2at6native12_GLOBAL__N_124unique_dim_cuda_templateIN3c104HalfEEESt5tupleIJNS8_6TensorESF_SF_EERKSF_lbbbEUlllE1_EE10hipError_tPvRmT2_T3_mT4_P12ihipStream_tbEUlT_E_NS1_11comp_targetILNS1_3genE10ELNS1_11target_archE1201ELNS1_3gpuE5ELNS1_3repE0EEENS1_30default_config_static_selectorELNS0_4arch9wavefront6targetE0EEEvT1_: ; @_ZN7rocprim17ROCPRIM_400000_NS6detail17trampoline_kernelINS0_14default_configENS1_35adjacent_difference_config_selectorILb0ElEEZNS1_24adjacent_difference_implIS3_Lb0ELb0EPlS7_ZN2at6native12_GLOBAL__N_124unique_dim_cuda_templateIN3c104HalfEEESt5tupleIJNS8_6TensorESF_SF_EERKSF_lbbbEUlllE1_EE10hipError_tPvRmT2_T3_mT4_P12ihipStream_tbEUlT_E_NS1_11comp_targetILNS1_3genE10ELNS1_11target_archE1201ELNS1_3gpuE5ELNS1_3repE0EEENS1_30default_config_static_selectorELNS0_4arch9wavefront6targetE0EEEvT1_
; %bb.0:
	.section	.rodata,"a",@progbits
	.p2align	6, 0x0
	.amdhsa_kernel _ZN7rocprim17ROCPRIM_400000_NS6detail17trampoline_kernelINS0_14default_configENS1_35adjacent_difference_config_selectorILb0ElEEZNS1_24adjacent_difference_implIS3_Lb0ELb0EPlS7_ZN2at6native12_GLOBAL__N_124unique_dim_cuda_templateIN3c104HalfEEESt5tupleIJNS8_6TensorESF_SF_EERKSF_lbbbEUlllE1_EE10hipError_tPvRmT2_T3_mT4_P12ihipStream_tbEUlT_E_NS1_11comp_targetILNS1_3genE10ELNS1_11target_archE1201ELNS1_3gpuE5ELNS1_3repE0EEENS1_30default_config_static_selectorELNS0_4arch9wavefront6targetE0EEEvT1_
		.amdhsa_group_segment_fixed_size 0
		.amdhsa_private_segment_fixed_size 0
		.amdhsa_kernarg_size 64
		.amdhsa_user_sgpr_count 2
		.amdhsa_user_sgpr_dispatch_ptr 0
		.amdhsa_user_sgpr_queue_ptr 0
		.amdhsa_user_sgpr_kernarg_segment_ptr 1
		.amdhsa_user_sgpr_dispatch_id 0
		.amdhsa_user_sgpr_kernarg_preload_length 0
		.amdhsa_user_sgpr_kernarg_preload_offset 0
		.amdhsa_user_sgpr_private_segment_size 0
		.amdhsa_wavefront_size32 1
		.amdhsa_uses_dynamic_stack 0
		.amdhsa_enable_private_segment 0
		.amdhsa_system_sgpr_workgroup_id_x 1
		.amdhsa_system_sgpr_workgroup_id_y 0
		.amdhsa_system_sgpr_workgroup_id_z 0
		.amdhsa_system_sgpr_workgroup_info 0
		.amdhsa_system_vgpr_workitem_id 0
		.amdhsa_next_free_vgpr 1
		.amdhsa_next_free_sgpr 1
		.amdhsa_named_barrier_count 0
		.amdhsa_reserve_vcc 0
		.amdhsa_float_round_mode_32 0
		.amdhsa_float_round_mode_16_64 0
		.amdhsa_float_denorm_mode_32 3
		.amdhsa_float_denorm_mode_16_64 3
		.amdhsa_fp16_overflow 0
		.amdhsa_memory_ordered 1
		.amdhsa_forward_progress 1
		.amdhsa_inst_pref_size 0
		.amdhsa_round_robin_scheduling 0
		.amdhsa_exception_fp_ieee_invalid_op 0
		.amdhsa_exception_fp_denorm_src 0
		.amdhsa_exception_fp_ieee_div_zero 0
		.amdhsa_exception_fp_ieee_overflow 0
		.amdhsa_exception_fp_ieee_underflow 0
		.amdhsa_exception_fp_ieee_inexact 0
		.amdhsa_exception_int_div_zero 0
	.end_amdhsa_kernel
	.section	.text._ZN7rocprim17ROCPRIM_400000_NS6detail17trampoline_kernelINS0_14default_configENS1_35adjacent_difference_config_selectorILb0ElEEZNS1_24adjacent_difference_implIS3_Lb0ELb0EPlS7_ZN2at6native12_GLOBAL__N_124unique_dim_cuda_templateIN3c104HalfEEESt5tupleIJNS8_6TensorESF_SF_EERKSF_lbbbEUlllE1_EE10hipError_tPvRmT2_T3_mT4_P12ihipStream_tbEUlT_E_NS1_11comp_targetILNS1_3genE10ELNS1_11target_archE1201ELNS1_3gpuE5ELNS1_3repE0EEENS1_30default_config_static_selectorELNS0_4arch9wavefront6targetE0EEEvT1_,"axG",@progbits,_ZN7rocprim17ROCPRIM_400000_NS6detail17trampoline_kernelINS0_14default_configENS1_35adjacent_difference_config_selectorILb0ElEEZNS1_24adjacent_difference_implIS3_Lb0ELb0EPlS7_ZN2at6native12_GLOBAL__N_124unique_dim_cuda_templateIN3c104HalfEEESt5tupleIJNS8_6TensorESF_SF_EERKSF_lbbbEUlllE1_EE10hipError_tPvRmT2_T3_mT4_P12ihipStream_tbEUlT_E_NS1_11comp_targetILNS1_3genE10ELNS1_11target_archE1201ELNS1_3gpuE5ELNS1_3repE0EEENS1_30default_config_static_selectorELNS0_4arch9wavefront6targetE0EEEvT1_,comdat
.Lfunc_end1273:
	.size	_ZN7rocprim17ROCPRIM_400000_NS6detail17trampoline_kernelINS0_14default_configENS1_35adjacent_difference_config_selectorILb0ElEEZNS1_24adjacent_difference_implIS3_Lb0ELb0EPlS7_ZN2at6native12_GLOBAL__N_124unique_dim_cuda_templateIN3c104HalfEEESt5tupleIJNS8_6TensorESF_SF_EERKSF_lbbbEUlllE1_EE10hipError_tPvRmT2_T3_mT4_P12ihipStream_tbEUlT_E_NS1_11comp_targetILNS1_3genE10ELNS1_11target_archE1201ELNS1_3gpuE5ELNS1_3repE0EEENS1_30default_config_static_selectorELNS0_4arch9wavefront6targetE0EEEvT1_, .Lfunc_end1273-_ZN7rocprim17ROCPRIM_400000_NS6detail17trampoline_kernelINS0_14default_configENS1_35adjacent_difference_config_selectorILb0ElEEZNS1_24adjacent_difference_implIS3_Lb0ELb0EPlS7_ZN2at6native12_GLOBAL__N_124unique_dim_cuda_templateIN3c104HalfEEESt5tupleIJNS8_6TensorESF_SF_EERKSF_lbbbEUlllE1_EE10hipError_tPvRmT2_T3_mT4_P12ihipStream_tbEUlT_E_NS1_11comp_targetILNS1_3genE10ELNS1_11target_archE1201ELNS1_3gpuE5ELNS1_3repE0EEENS1_30default_config_static_selectorELNS0_4arch9wavefront6targetE0EEEvT1_
                                        ; -- End function
	.set _ZN7rocprim17ROCPRIM_400000_NS6detail17trampoline_kernelINS0_14default_configENS1_35adjacent_difference_config_selectorILb0ElEEZNS1_24adjacent_difference_implIS3_Lb0ELb0EPlS7_ZN2at6native12_GLOBAL__N_124unique_dim_cuda_templateIN3c104HalfEEESt5tupleIJNS8_6TensorESF_SF_EERKSF_lbbbEUlllE1_EE10hipError_tPvRmT2_T3_mT4_P12ihipStream_tbEUlT_E_NS1_11comp_targetILNS1_3genE10ELNS1_11target_archE1201ELNS1_3gpuE5ELNS1_3repE0EEENS1_30default_config_static_selectorELNS0_4arch9wavefront6targetE0EEEvT1_.num_vgpr, 0
	.set _ZN7rocprim17ROCPRIM_400000_NS6detail17trampoline_kernelINS0_14default_configENS1_35adjacent_difference_config_selectorILb0ElEEZNS1_24adjacent_difference_implIS3_Lb0ELb0EPlS7_ZN2at6native12_GLOBAL__N_124unique_dim_cuda_templateIN3c104HalfEEESt5tupleIJNS8_6TensorESF_SF_EERKSF_lbbbEUlllE1_EE10hipError_tPvRmT2_T3_mT4_P12ihipStream_tbEUlT_E_NS1_11comp_targetILNS1_3genE10ELNS1_11target_archE1201ELNS1_3gpuE5ELNS1_3repE0EEENS1_30default_config_static_selectorELNS0_4arch9wavefront6targetE0EEEvT1_.num_agpr, 0
	.set _ZN7rocprim17ROCPRIM_400000_NS6detail17trampoline_kernelINS0_14default_configENS1_35adjacent_difference_config_selectorILb0ElEEZNS1_24adjacent_difference_implIS3_Lb0ELb0EPlS7_ZN2at6native12_GLOBAL__N_124unique_dim_cuda_templateIN3c104HalfEEESt5tupleIJNS8_6TensorESF_SF_EERKSF_lbbbEUlllE1_EE10hipError_tPvRmT2_T3_mT4_P12ihipStream_tbEUlT_E_NS1_11comp_targetILNS1_3genE10ELNS1_11target_archE1201ELNS1_3gpuE5ELNS1_3repE0EEENS1_30default_config_static_selectorELNS0_4arch9wavefront6targetE0EEEvT1_.numbered_sgpr, 0
	.set _ZN7rocprim17ROCPRIM_400000_NS6detail17trampoline_kernelINS0_14default_configENS1_35adjacent_difference_config_selectorILb0ElEEZNS1_24adjacent_difference_implIS3_Lb0ELb0EPlS7_ZN2at6native12_GLOBAL__N_124unique_dim_cuda_templateIN3c104HalfEEESt5tupleIJNS8_6TensorESF_SF_EERKSF_lbbbEUlllE1_EE10hipError_tPvRmT2_T3_mT4_P12ihipStream_tbEUlT_E_NS1_11comp_targetILNS1_3genE10ELNS1_11target_archE1201ELNS1_3gpuE5ELNS1_3repE0EEENS1_30default_config_static_selectorELNS0_4arch9wavefront6targetE0EEEvT1_.num_named_barrier, 0
	.set _ZN7rocprim17ROCPRIM_400000_NS6detail17trampoline_kernelINS0_14default_configENS1_35adjacent_difference_config_selectorILb0ElEEZNS1_24adjacent_difference_implIS3_Lb0ELb0EPlS7_ZN2at6native12_GLOBAL__N_124unique_dim_cuda_templateIN3c104HalfEEESt5tupleIJNS8_6TensorESF_SF_EERKSF_lbbbEUlllE1_EE10hipError_tPvRmT2_T3_mT4_P12ihipStream_tbEUlT_E_NS1_11comp_targetILNS1_3genE10ELNS1_11target_archE1201ELNS1_3gpuE5ELNS1_3repE0EEENS1_30default_config_static_selectorELNS0_4arch9wavefront6targetE0EEEvT1_.private_seg_size, 0
	.set _ZN7rocprim17ROCPRIM_400000_NS6detail17trampoline_kernelINS0_14default_configENS1_35adjacent_difference_config_selectorILb0ElEEZNS1_24adjacent_difference_implIS3_Lb0ELb0EPlS7_ZN2at6native12_GLOBAL__N_124unique_dim_cuda_templateIN3c104HalfEEESt5tupleIJNS8_6TensorESF_SF_EERKSF_lbbbEUlllE1_EE10hipError_tPvRmT2_T3_mT4_P12ihipStream_tbEUlT_E_NS1_11comp_targetILNS1_3genE10ELNS1_11target_archE1201ELNS1_3gpuE5ELNS1_3repE0EEENS1_30default_config_static_selectorELNS0_4arch9wavefront6targetE0EEEvT1_.uses_vcc, 0
	.set _ZN7rocprim17ROCPRIM_400000_NS6detail17trampoline_kernelINS0_14default_configENS1_35adjacent_difference_config_selectorILb0ElEEZNS1_24adjacent_difference_implIS3_Lb0ELb0EPlS7_ZN2at6native12_GLOBAL__N_124unique_dim_cuda_templateIN3c104HalfEEESt5tupleIJNS8_6TensorESF_SF_EERKSF_lbbbEUlllE1_EE10hipError_tPvRmT2_T3_mT4_P12ihipStream_tbEUlT_E_NS1_11comp_targetILNS1_3genE10ELNS1_11target_archE1201ELNS1_3gpuE5ELNS1_3repE0EEENS1_30default_config_static_selectorELNS0_4arch9wavefront6targetE0EEEvT1_.uses_flat_scratch, 0
	.set _ZN7rocprim17ROCPRIM_400000_NS6detail17trampoline_kernelINS0_14default_configENS1_35adjacent_difference_config_selectorILb0ElEEZNS1_24adjacent_difference_implIS3_Lb0ELb0EPlS7_ZN2at6native12_GLOBAL__N_124unique_dim_cuda_templateIN3c104HalfEEESt5tupleIJNS8_6TensorESF_SF_EERKSF_lbbbEUlllE1_EE10hipError_tPvRmT2_T3_mT4_P12ihipStream_tbEUlT_E_NS1_11comp_targetILNS1_3genE10ELNS1_11target_archE1201ELNS1_3gpuE5ELNS1_3repE0EEENS1_30default_config_static_selectorELNS0_4arch9wavefront6targetE0EEEvT1_.has_dyn_sized_stack, 0
	.set _ZN7rocprim17ROCPRIM_400000_NS6detail17trampoline_kernelINS0_14default_configENS1_35adjacent_difference_config_selectorILb0ElEEZNS1_24adjacent_difference_implIS3_Lb0ELb0EPlS7_ZN2at6native12_GLOBAL__N_124unique_dim_cuda_templateIN3c104HalfEEESt5tupleIJNS8_6TensorESF_SF_EERKSF_lbbbEUlllE1_EE10hipError_tPvRmT2_T3_mT4_P12ihipStream_tbEUlT_E_NS1_11comp_targetILNS1_3genE10ELNS1_11target_archE1201ELNS1_3gpuE5ELNS1_3repE0EEENS1_30default_config_static_selectorELNS0_4arch9wavefront6targetE0EEEvT1_.has_recursion, 0
	.set _ZN7rocprim17ROCPRIM_400000_NS6detail17trampoline_kernelINS0_14default_configENS1_35adjacent_difference_config_selectorILb0ElEEZNS1_24adjacent_difference_implIS3_Lb0ELb0EPlS7_ZN2at6native12_GLOBAL__N_124unique_dim_cuda_templateIN3c104HalfEEESt5tupleIJNS8_6TensorESF_SF_EERKSF_lbbbEUlllE1_EE10hipError_tPvRmT2_T3_mT4_P12ihipStream_tbEUlT_E_NS1_11comp_targetILNS1_3genE10ELNS1_11target_archE1201ELNS1_3gpuE5ELNS1_3repE0EEENS1_30default_config_static_selectorELNS0_4arch9wavefront6targetE0EEEvT1_.has_indirect_call, 0
	.section	.AMDGPU.csdata,"",@progbits
; Kernel info:
; codeLenInByte = 0
; TotalNumSgprs: 0
; NumVgprs: 0
; ScratchSize: 0
; MemoryBound: 0
; FloatMode: 240
; IeeeMode: 1
; LDSByteSize: 0 bytes/workgroup (compile time only)
; SGPRBlocks: 0
; VGPRBlocks: 0
; NumSGPRsForWavesPerEU: 1
; NumVGPRsForWavesPerEU: 1
; NamedBarCnt: 0
; Occupancy: 16
; WaveLimiterHint : 0
; COMPUTE_PGM_RSRC2:SCRATCH_EN: 0
; COMPUTE_PGM_RSRC2:USER_SGPR: 2
; COMPUTE_PGM_RSRC2:TRAP_HANDLER: 0
; COMPUTE_PGM_RSRC2:TGID_X_EN: 1
; COMPUTE_PGM_RSRC2:TGID_Y_EN: 0
; COMPUTE_PGM_RSRC2:TGID_Z_EN: 0
; COMPUTE_PGM_RSRC2:TIDIG_COMP_CNT: 0
	.section	.text._ZN7rocprim17ROCPRIM_400000_NS6detail17trampoline_kernelINS0_14default_configENS1_35adjacent_difference_config_selectorILb0ElEEZNS1_24adjacent_difference_implIS3_Lb0ELb0EPlS7_ZN2at6native12_GLOBAL__N_124unique_dim_cuda_templateIN3c104HalfEEESt5tupleIJNS8_6TensorESF_SF_EERKSF_lbbbEUlllE1_EE10hipError_tPvRmT2_T3_mT4_P12ihipStream_tbEUlT_E_NS1_11comp_targetILNS1_3genE5ELNS1_11target_archE942ELNS1_3gpuE9ELNS1_3repE0EEENS1_30default_config_static_selectorELNS0_4arch9wavefront6targetE0EEEvT1_,"axG",@progbits,_ZN7rocprim17ROCPRIM_400000_NS6detail17trampoline_kernelINS0_14default_configENS1_35adjacent_difference_config_selectorILb0ElEEZNS1_24adjacent_difference_implIS3_Lb0ELb0EPlS7_ZN2at6native12_GLOBAL__N_124unique_dim_cuda_templateIN3c104HalfEEESt5tupleIJNS8_6TensorESF_SF_EERKSF_lbbbEUlllE1_EE10hipError_tPvRmT2_T3_mT4_P12ihipStream_tbEUlT_E_NS1_11comp_targetILNS1_3genE5ELNS1_11target_archE942ELNS1_3gpuE9ELNS1_3repE0EEENS1_30default_config_static_selectorELNS0_4arch9wavefront6targetE0EEEvT1_,comdat
	.globl	_ZN7rocprim17ROCPRIM_400000_NS6detail17trampoline_kernelINS0_14default_configENS1_35adjacent_difference_config_selectorILb0ElEEZNS1_24adjacent_difference_implIS3_Lb0ELb0EPlS7_ZN2at6native12_GLOBAL__N_124unique_dim_cuda_templateIN3c104HalfEEESt5tupleIJNS8_6TensorESF_SF_EERKSF_lbbbEUlllE1_EE10hipError_tPvRmT2_T3_mT4_P12ihipStream_tbEUlT_E_NS1_11comp_targetILNS1_3genE5ELNS1_11target_archE942ELNS1_3gpuE9ELNS1_3repE0EEENS1_30default_config_static_selectorELNS0_4arch9wavefront6targetE0EEEvT1_ ; -- Begin function _ZN7rocprim17ROCPRIM_400000_NS6detail17trampoline_kernelINS0_14default_configENS1_35adjacent_difference_config_selectorILb0ElEEZNS1_24adjacent_difference_implIS3_Lb0ELb0EPlS7_ZN2at6native12_GLOBAL__N_124unique_dim_cuda_templateIN3c104HalfEEESt5tupleIJNS8_6TensorESF_SF_EERKSF_lbbbEUlllE1_EE10hipError_tPvRmT2_T3_mT4_P12ihipStream_tbEUlT_E_NS1_11comp_targetILNS1_3genE5ELNS1_11target_archE942ELNS1_3gpuE9ELNS1_3repE0EEENS1_30default_config_static_selectorELNS0_4arch9wavefront6targetE0EEEvT1_
	.p2align	8
	.type	_ZN7rocprim17ROCPRIM_400000_NS6detail17trampoline_kernelINS0_14default_configENS1_35adjacent_difference_config_selectorILb0ElEEZNS1_24adjacent_difference_implIS3_Lb0ELb0EPlS7_ZN2at6native12_GLOBAL__N_124unique_dim_cuda_templateIN3c104HalfEEESt5tupleIJNS8_6TensorESF_SF_EERKSF_lbbbEUlllE1_EE10hipError_tPvRmT2_T3_mT4_P12ihipStream_tbEUlT_E_NS1_11comp_targetILNS1_3genE5ELNS1_11target_archE942ELNS1_3gpuE9ELNS1_3repE0EEENS1_30default_config_static_selectorELNS0_4arch9wavefront6targetE0EEEvT1_,@function
_ZN7rocprim17ROCPRIM_400000_NS6detail17trampoline_kernelINS0_14default_configENS1_35adjacent_difference_config_selectorILb0ElEEZNS1_24adjacent_difference_implIS3_Lb0ELb0EPlS7_ZN2at6native12_GLOBAL__N_124unique_dim_cuda_templateIN3c104HalfEEESt5tupleIJNS8_6TensorESF_SF_EERKSF_lbbbEUlllE1_EE10hipError_tPvRmT2_T3_mT4_P12ihipStream_tbEUlT_E_NS1_11comp_targetILNS1_3genE5ELNS1_11target_archE942ELNS1_3gpuE9ELNS1_3repE0EEENS1_30default_config_static_selectorELNS0_4arch9wavefront6targetE0EEEvT1_: ; @_ZN7rocprim17ROCPRIM_400000_NS6detail17trampoline_kernelINS0_14default_configENS1_35adjacent_difference_config_selectorILb0ElEEZNS1_24adjacent_difference_implIS3_Lb0ELb0EPlS7_ZN2at6native12_GLOBAL__N_124unique_dim_cuda_templateIN3c104HalfEEESt5tupleIJNS8_6TensorESF_SF_EERKSF_lbbbEUlllE1_EE10hipError_tPvRmT2_T3_mT4_P12ihipStream_tbEUlT_E_NS1_11comp_targetILNS1_3genE5ELNS1_11target_archE942ELNS1_3gpuE9ELNS1_3repE0EEENS1_30default_config_static_selectorELNS0_4arch9wavefront6targetE0EEEvT1_
; %bb.0:
	.section	.rodata,"a",@progbits
	.p2align	6, 0x0
	.amdhsa_kernel _ZN7rocprim17ROCPRIM_400000_NS6detail17trampoline_kernelINS0_14default_configENS1_35adjacent_difference_config_selectorILb0ElEEZNS1_24adjacent_difference_implIS3_Lb0ELb0EPlS7_ZN2at6native12_GLOBAL__N_124unique_dim_cuda_templateIN3c104HalfEEESt5tupleIJNS8_6TensorESF_SF_EERKSF_lbbbEUlllE1_EE10hipError_tPvRmT2_T3_mT4_P12ihipStream_tbEUlT_E_NS1_11comp_targetILNS1_3genE5ELNS1_11target_archE942ELNS1_3gpuE9ELNS1_3repE0EEENS1_30default_config_static_selectorELNS0_4arch9wavefront6targetE0EEEvT1_
		.amdhsa_group_segment_fixed_size 0
		.amdhsa_private_segment_fixed_size 0
		.amdhsa_kernarg_size 64
		.amdhsa_user_sgpr_count 2
		.amdhsa_user_sgpr_dispatch_ptr 0
		.amdhsa_user_sgpr_queue_ptr 0
		.amdhsa_user_sgpr_kernarg_segment_ptr 1
		.amdhsa_user_sgpr_dispatch_id 0
		.amdhsa_user_sgpr_kernarg_preload_length 0
		.amdhsa_user_sgpr_kernarg_preload_offset 0
		.amdhsa_user_sgpr_private_segment_size 0
		.amdhsa_wavefront_size32 1
		.amdhsa_uses_dynamic_stack 0
		.amdhsa_enable_private_segment 0
		.amdhsa_system_sgpr_workgroup_id_x 1
		.amdhsa_system_sgpr_workgroup_id_y 0
		.amdhsa_system_sgpr_workgroup_id_z 0
		.amdhsa_system_sgpr_workgroup_info 0
		.amdhsa_system_vgpr_workitem_id 0
		.amdhsa_next_free_vgpr 1
		.amdhsa_next_free_sgpr 1
		.amdhsa_named_barrier_count 0
		.amdhsa_reserve_vcc 0
		.amdhsa_float_round_mode_32 0
		.amdhsa_float_round_mode_16_64 0
		.amdhsa_float_denorm_mode_32 3
		.amdhsa_float_denorm_mode_16_64 3
		.amdhsa_fp16_overflow 0
		.amdhsa_memory_ordered 1
		.amdhsa_forward_progress 1
		.amdhsa_inst_pref_size 0
		.amdhsa_round_robin_scheduling 0
		.amdhsa_exception_fp_ieee_invalid_op 0
		.amdhsa_exception_fp_denorm_src 0
		.amdhsa_exception_fp_ieee_div_zero 0
		.amdhsa_exception_fp_ieee_overflow 0
		.amdhsa_exception_fp_ieee_underflow 0
		.amdhsa_exception_fp_ieee_inexact 0
		.amdhsa_exception_int_div_zero 0
	.end_amdhsa_kernel
	.section	.text._ZN7rocprim17ROCPRIM_400000_NS6detail17trampoline_kernelINS0_14default_configENS1_35adjacent_difference_config_selectorILb0ElEEZNS1_24adjacent_difference_implIS3_Lb0ELb0EPlS7_ZN2at6native12_GLOBAL__N_124unique_dim_cuda_templateIN3c104HalfEEESt5tupleIJNS8_6TensorESF_SF_EERKSF_lbbbEUlllE1_EE10hipError_tPvRmT2_T3_mT4_P12ihipStream_tbEUlT_E_NS1_11comp_targetILNS1_3genE5ELNS1_11target_archE942ELNS1_3gpuE9ELNS1_3repE0EEENS1_30default_config_static_selectorELNS0_4arch9wavefront6targetE0EEEvT1_,"axG",@progbits,_ZN7rocprim17ROCPRIM_400000_NS6detail17trampoline_kernelINS0_14default_configENS1_35adjacent_difference_config_selectorILb0ElEEZNS1_24adjacent_difference_implIS3_Lb0ELb0EPlS7_ZN2at6native12_GLOBAL__N_124unique_dim_cuda_templateIN3c104HalfEEESt5tupleIJNS8_6TensorESF_SF_EERKSF_lbbbEUlllE1_EE10hipError_tPvRmT2_T3_mT4_P12ihipStream_tbEUlT_E_NS1_11comp_targetILNS1_3genE5ELNS1_11target_archE942ELNS1_3gpuE9ELNS1_3repE0EEENS1_30default_config_static_selectorELNS0_4arch9wavefront6targetE0EEEvT1_,comdat
.Lfunc_end1274:
	.size	_ZN7rocprim17ROCPRIM_400000_NS6detail17trampoline_kernelINS0_14default_configENS1_35adjacent_difference_config_selectorILb0ElEEZNS1_24adjacent_difference_implIS3_Lb0ELb0EPlS7_ZN2at6native12_GLOBAL__N_124unique_dim_cuda_templateIN3c104HalfEEESt5tupleIJNS8_6TensorESF_SF_EERKSF_lbbbEUlllE1_EE10hipError_tPvRmT2_T3_mT4_P12ihipStream_tbEUlT_E_NS1_11comp_targetILNS1_3genE5ELNS1_11target_archE942ELNS1_3gpuE9ELNS1_3repE0EEENS1_30default_config_static_selectorELNS0_4arch9wavefront6targetE0EEEvT1_, .Lfunc_end1274-_ZN7rocprim17ROCPRIM_400000_NS6detail17trampoline_kernelINS0_14default_configENS1_35adjacent_difference_config_selectorILb0ElEEZNS1_24adjacent_difference_implIS3_Lb0ELb0EPlS7_ZN2at6native12_GLOBAL__N_124unique_dim_cuda_templateIN3c104HalfEEESt5tupleIJNS8_6TensorESF_SF_EERKSF_lbbbEUlllE1_EE10hipError_tPvRmT2_T3_mT4_P12ihipStream_tbEUlT_E_NS1_11comp_targetILNS1_3genE5ELNS1_11target_archE942ELNS1_3gpuE9ELNS1_3repE0EEENS1_30default_config_static_selectorELNS0_4arch9wavefront6targetE0EEEvT1_
                                        ; -- End function
	.set _ZN7rocprim17ROCPRIM_400000_NS6detail17trampoline_kernelINS0_14default_configENS1_35adjacent_difference_config_selectorILb0ElEEZNS1_24adjacent_difference_implIS3_Lb0ELb0EPlS7_ZN2at6native12_GLOBAL__N_124unique_dim_cuda_templateIN3c104HalfEEESt5tupleIJNS8_6TensorESF_SF_EERKSF_lbbbEUlllE1_EE10hipError_tPvRmT2_T3_mT4_P12ihipStream_tbEUlT_E_NS1_11comp_targetILNS1_3genE5ELNS1_11target_archE942ELNS1_3gpuE9ELNS1_3repE0EEENS1_30default_config_static_selectorELNS0_4arch9wavefront6targetE0EEEvT1_.num_vgpr, 0
	.set _ZN7rocprim17ROCPRIM_400000_NS6detail17trampoline_kernelINS0_14default_configENS1_35adjacent_difference_config_selectorILb0ElEEZNS1_24adjacent_difference_implIS3_Lb0ELb0EPlS7_ZN2at6native12_GLOBAL__N_124unique_dim_cuda_templateIN3c104HalfEEESt5tupleIJNS8_6TensorESF_SF_EERKSF_lbbbEUlllE1_EE10hipError_tPvRmT2_T3_mT4_P12ihipStream_tbEUlT_E_NS1_11comp_targetILNS1_3genE5ELNS1_11target_archE942ELNS1_3gpuE9ELNS1_3repE0EEENS1_30default_config_static_selectorELNS0_4arch9wavefront6targetE0EEEvT1_.num_agpr, 0
	.set _ZN7rocprim17ROCPRIM_400000_NS6detail17trampoline_kernelINS0_14default_configENS1_35adjacent_difference_config_selectorILb0ElEEZNS1_24adjacent_difference_implIS3_Lb0ELb0EPlS7_ZN2at6native12_GLOBAL__N_124unique_dim_cuda_templateIN3c104HalfEEESt5tupleIJNS8_6TensorESF_SF_EERKSF_lbbbEUlllE1_EE10hipError_tPvRmT2_T3_mT4_P12ihipStream_tbEUlT_E_NS1_11comp_targetILNS1_3genE5ELNS1_11target_archE942ELNS1_3gpuE9ELNS1_3repE0EEENS1_30default_config_static_selectorELNS0_4arch9wavefront6targetE0EEEvT1_.numbered_sgpr, 0
	.set _ZN7rocprim17ROCPRIM_400000_NS6detail17trampoline_kernelINS0_14default_configENS1_35adjacent_difference_config_selectorILb0ElEEZNS1_24adjacent_difference_implIS3_Lb0ELb0EPlS7_ZN2at6native12_GLOBAL__N_124unique_dim_cuda_templateIN3c104HalfEEESt5tupleIJNS8_6TensorESF_SF_EERKSF_lbbbEUlllE1_EE10hipError_tPvRmT2_T3_mT4_P12ihipStream_tbEUlT_E_NS1_11comp_targetILNS1_3genE5ELNS1_11target_archE942ELNS1_3gpuE9ELNS1_3repE0EEENS1_30default_config_static_selectorELNS0_4arch9wavefront6targetE0EEEvT1_.num_named_barrier, 0
	.set _ZN7rocprim17ROCPRIM_400000_NS6detail17trampoline_kernelINS0_14default_configENS1_35adjacent_difference_config_selectorILb0ElEEZNS1_24adjacent_difference_implIS3_Lb0ELb0EPlS7_ZN2at6native12_GLOBAL__N_124unique_dim_cuda_templateIN3c104HalfEEESt5tupleIJNS8_6TensorESF_SF_EERKSF_lbbbEUlllE1_EE10hipError_tPvRmT2_T3_mT4_P12ihipStream_tbEUlT_E_NS1_11comp_targetILNS1_3genE5ELNS1_11target_archE942ELNS1_3gpuE9ELNS1_3repE0EEENS1_30default_config_static_selectorELNS0_4arch9wavefront6targetE0EEEvT1_.private_seg_size, 0
	.set _ZN7rocprim17ROCPRIM_400000_NS6detail17trampoline_kernelINS0_14default_configENS1_35adjacent_difference_config_selectorILb0ElEEZNS1_24adjacent_difference_implIS3_Lb0ELb0EPlS7_ZN2at6native12_GLOBAL__N_124unique_dim_cuda_templateIN3c104HalfEEESt5tupleIJNS8_6TensorESF_SF_EERKSF_lbbbEUlllE1_EE10hipError_tPvRmT2_T3_mT4_P12ihipStream_tbEUlT_E_NS1_11comp_targetILNS1_3genE5ELNS1_11target_archE942ELNS1_3gpuE9ELNS1_3repE0EEENS1_30default_config_static_selectorELNS0_4arch9wavefront6targetE0EEEvT1_.uses_vcc, 0
	.set _ZN7rocprim17ROCPRIM_400000_NS6detail17trampoline_kernelINS0_14default_configENS1_35adjacent_difference_config_selectorILb0ElEEZNS1_24adjacent_difference_implIS3_Lb0ELb0EPlS7_ZN2at6native12_GLOBAL__N_124unique_dim_cuda_templateIN3c104HalfEEESt5tupleIJNS8_6TensorESF_SF_EERKSF_lbbbEUlllE1_EE10hipError_tPvRmT2_T3_mT4_P12ihipStream_tbEUlT_E_NS1_11comp_targetILNS1_3genE5ELNS1_11target_archE942ELNS1_3gpuE9ELNS1_3repE0EEENS1_30default_config_static_selectorELNS0_4arch9wavefront6targetE0EEEvT1_.uses_flat_scratch, 0
	.set _ZN7rocprim17ROCPRIM_400000_NS6detail17trampoline_kernelINS0_14default_configENS1_35adjacent_difference_config_selectorILb0ElEEZNS1_24adjacent_difference_implIS3_Lb0ELb0EPlS7_ZN2at6native12_GLOBAL__N_124unique_dim_cuda_templateIN3c104HalfEEESt5tupleIJNS8_6TensorESF_SF_EERKSF_lbbbEUlllE1_EE10hipError_tPvRmT2_T3_mT4_P12ihipStream_tbEUlT_E_NS1_11comp_targetILNS1_3genE5ELNS1_11target_archE942ELNS1_3gpuE9ELNS1_3repE0EEENS1_30default_config_static_selectorELNS0_4arch9wavefront6targetE0EEEvT1_.has_dyn_sized_stack, 0
	.set _ZN7rocprim17ROCPRIM_400000_NS6detail17trampoline_kernelINS0_14default_configENS1_35adjacent_difference_config_selectorILb0ElEEZNS1_24adjacent_difference_implIS3_Lb0ELb0EPlS7_ZN2at6native12_GLOBAL__N_124unique_dim_cuda_templateIN3c104HalfEEESt5tupleIJNS8_6TensorESF_SF_EERKSF_lbbbEUlllE1_EE10hipError_tPvRmT2_T3_mT4_P12ihipStream_tbEUlT_E_NS1_11comp_targetILNS1_3genE5ELNS1_11target_archE942ELNS1_3gpuE9ELNS1_3repE0EEENS1_30default_config_static_selectorELNS0_4arch9wavefront6targetE0EEEvT1_.has_recursion, 0
	.set _ZN7rocprim17ROCPRIM_400000_NS6detail17trampoline_kernelINS0_14default_configENS1_35adjacent_difference_config_selectorILb0ElEEZNS1_24adjacent_difference_implIS3_Lb0ELb0EPlS7_ZN2at6native12_GLOBAL__N_124unique_dim_cuda_templateIN3c104HalfEEESt5tupleIJNS8_6TensorESF_SF_EERKSF_lbbbEUlllE1_EE10hipError_tPvRmT2_T3_mT4_P12ihipStream_tbEUlT_E_NS1_11comp_targetILNS1_3genE5ELNS1_11target_archE942ELNS1_3gpuE9ELNS1_3repE0EEENS1_30default_config_static_selectorELNS0_4arch9wavefront6targetE0EEEvT1_.has_indirect_call, 0
	.section	.AMDGPU.csdata,"",@progbits
; Kernel info:
; codeLenInByte = 0
; TotalNumSgprs: 0
; NumVgprs: 0
; ScratchSize: 0
; MemoryBound: 0
; FloatMode: 240
; IeeeMode: 1
; LDSByteSize: 0 bytes/workgroup (compile time only)
; SGPRBlocks: 0
; VGPRBlocks: 0
; NumSGPRsForWavesPerEU: 1
; NumVGPRsForWavesPerEU: 1
; NamedBarCnt: 0
; Occupancy: 16
; WaveLimiterHint : 0
; COMPUTE_PGM_RSRC2:SCRATCH_EN: 0
; COMPUTE_PGM_RSRC2:USER_SGPR: 2
; COMPUTE_PGM_RSRC2:TRAP_HANDLER: 0
; COMPUTE_PGM_RSRC2:TGID_X_EN: 1
; COMPUTE_PGM_RSRC2:TGID_Y_EN: 0
; COMPUTE_PGM_RSRC2:TGID_Z_EN: 0
; COMPUTE_PGM_RSRC2:TIDIG_COMP_CNT: 0
	.section	.text._ZN7rocprim17ROCPRIM_400000_NS6detail17trampoline_kernelINS0_14default_configENS1_35adjacent_difference_config_selectorILb0ElEEZNS1_24adjacent_difference_implIS3_Lb0ELb0EPlS7_ZN2at6native12_GLOBAL__N_124unique_dim_cuda_templateIN3c104HalfEEESt5tupleIJNS8_6TensorESF_SF_EERKSF_lbbbEUlllE1_EE10hipError_tPvRmT2_T3_mT4_P12ihipStream_tbEUlT_E_NS1_11comp_targetILNS1_3genE4ELNS1_11target_archE910ELNS1_3gpuE8ELNS1_3repE0EEENS1_30default_config_static_selectorELNS0_4arch9wavefront6targetE0EEEvT1_,"axG",@progbits,_ZN7rocprim17ROCPRIM_400000_NS6detail17trampoline_kernelINS0_14default_configENS1_35adjacent_difference_config_selectorILb0ElEEZNS1_24adjacent_difference_implIS3_Lb0ELb0EPlS7_ZN2at6native12_GLOBAL__N_124unique_dim_cuda_templateIN3c104HalfEEESt5tupleIJNS8_6TensorESF_SF_EERKSF_lbbbEUlllE1_EE10hipError_tPvRmT2_T3_mT4_P12ihipStream_tbEUlT_E_NS1_11comp_targetILNS1_3genE4ELNS1_11target_archE910ELNS1_3gpuE8ELNS1_3repE0EEENS1_30default_config_static_selectorELNS0_4arch9wavefront6targetE0EEEvT1_,comdat
	.globl	_ZN7rocprim17ROCPRIM_400000_NS6detail17trampoline_kernelINS0_14default_configENS1_35adjacent_difference_config_selectorILb0ElEEZNS1_24adjacent_difference_implIS3_Lb0ELb0EPlS7_ZN2at6native12_GLOBAL__N_124unique_dim_cuda_templateIN3c104HalfEEESt5tupleIJNS8_6TensorESF_SF_EERKSF_lbbbEUlllE1_EE10hipError_tPvRmT2_T3_mT4_P12ihipStream_tbEUlT_E_NS1_11comp_targetILNS1_3genE4ELNS1_11target_archE910ELNS1_3gpuE8ELNS1_3repE0EEENS1_30default_config_static_selectorELNS0_4arch9wavefront6targetE0EEEvT1_ ; -- Begin function _ZN7rocprim17ROCPRIM_400000_NS6detail17trampoline_kernelINS0_14default_configENS1_35adjacent_difference_config_selectorILb0ElEEZNS1_24adjacent_difference_implIS3_Lb0ELb0EPlS7_ZN2at6native12_GLOBAL__N_124unique_dim_cuda_templateIN3c104HalfEEESt5tupleIJNS8_6TensorESF_SF_EERKSF_lbbbEUlllE1_EE10hipError_tPvRmT2_T3_mT4_P12ihipStream_tbEUlT_E_NS1_11comp_targetILNS1_3genE4ELNS1_11target_archE910ELNS1_3gpuE8ELNS1_3repE0EEENS1_30default_config_static_selectorELNS0_4arch9wavefront6targetE0EEEvT1_
	.p2align	8
	.type	_ZN7rocprim17ROCPRIM_400000_NS6detail17trampoline_kernelINS0_14default_configENS1_35adjacent_difference_config_selectorILb0ElEEZNS1_24adjacent_difference_implIS3_Lb0ELb0EPlS7_ZN2at6native12_GLOBAL__N_124unique_dim_cuda_templateIN3c104HalfEEESt5tupleIJNS8_6TensorESF_SF_EERKSF_lbbbEUlllE1_EE10hipError_tPvRmT2_T3_mT4_P12ihipStream_tbEUlT_E_NS1_11comp_targetILNS1_3genE4ELNS1_11target_archE910ELNS1_3gpuE8ELNS1_3repE0EEENS1_30default_config_static_selectorELNS0_4arch9wavefront6targetE0EEEvT1_,@function
_ZN7rocprim17ROCPRIM_400000_NS6detail17trampoline_kernelINS0_14default_configENS1_35adjacent_difference_config_selectorILb0ElEEZNS1_24adjacent_difference_implIS3_Lb0ELb0EPlS7_ZN2at6native12_GLOBAL__N_124unique_dim_cuda_templateIN3c104HalfEEESt5tupleIJNS8_6TensorESF_SF_EERKSF_lbbbEUlllE1_EE10hipError_tPvRmT2_T3_mT4_P12ihipStream_tbEUlT_E_NS1_11comp_targetILNS1_3genE4ELNS1_11target_archE910ELNS1_3gpuE8ELNS1_3repE0EEENS1_30default_config_static_selectorELNS0_4arch9wavefront6targetE0EEEvT1_: ; @_ZN7rocprim17ROCPRIM_400000_NS6detail17trampoline_kernelINS0_14default_configENS1_35adjacent_difference_config_selectorILb0ElEEZNS1_24adjacent_difference_implIS3_Lb0ELb0EPlS7_ZN2at6native12_GLOBAL__N_124unique_dim_cuda_templateIN3c104HalfEEESt5tupleIJNS8_6TensorESF_SF_EERKSF_lbbbEUlllE1_EE10hipError_tPvRmT2_T3_mT4_P12ihipStream_tbEUlT_E_NS1_11comp_targetILNS1_3genE4ELNS1_11target_archE910ELNS1_3gpuE8ELNS1_3repE0EEENS1_30default_config_static_selectorELNS0_4arch9wavefront6targetE0EEEvT1_
; %bb.0:
	.section	.rodata,"a",@progbits
	.p2align	6, 0x0
	.amdhsa_kernel _ZN7rocprim17ROCPRIM_400000_NS6detail17trampoline_kernelINS0_14default_configENS1_35adjacent_difference_config_selectorILb0ElEEZNS1_24adjacent_difference_implIS3_Lb0ELb0EPlS7_ZN2at6native12_GLOBAL__N_124unique_dim_cuda_templateIN3c104HalfEEESt5tupleIJNS8_6TensorESF_SF_EERKSF_lbbbEUlllE1_EE10hipError_tPvRmT2_T3_mT4_P12ihipStream_tbEUlT_E_NS1_11comp_targetILNS1_3genE4ELNS1_11target_archE910ELNS1_3gpuE8ELNS1_3repE0EEENS1_30default_config_static_selectorELNS0_4arch9wavefront6targetE0EEEvT1_
		.amdhsa_group_segment_fixed_size 0
		.amdhsa_private_segment_fixed_size 0
		.amdhsa_kernarg_size 64
		.amdhsa_user_sgpr_count 2
		.amdhsa_user_sgpr_dispatch_ptr 0
		.amdhsa_user_sgpr_queue_ptr 0
		.amdhsa_user_sgpr_kernarg_segment_ptr 1
		.amdhsa_user_sgpr_dispatch_id 0
		.amdhsa_user_sgpr_kernarg_preload_length 0
		.amdhsa_user_sgpr_kernarg_preload_offset 0
		.amdhsa_user_sgpr_private_segment_size 0
		.amdhsa_wavefront_size32 1
		.amdhsa_uses_dynamic_stack 0
		.amdhsa_enable_private_segment 0
		.amdhsa_system_sgpr_workgroup_id_x 1
		.amdhsa_system_sgpr_workgroup_id_y 0
		.amdhsa_system_sgpr_workgroup_id_z 0
		.amdhsa_system_sgpr_workgroup_info 0
		.amdhsa_system_vgpr_workitem_id 0
		.amdhsa_next_free_vgpr 1
		.amdhsa_next_free_sgpr 1
		.amdhsa_named_barrier_count 0
		.amdhsa_reserve_vcc 0
		.amdhsa_float_round_mode_32 0
		.amdhsa_float_round_mode_16_64 0
		.amdhsa_float_denorm_mode_32 3
		.amdhsa_float_denorm_mode_16_64 3
		.amdhsa_fp16_overflow 0
		.amdhsa_memory_ordered 1
		.amdhsa_forward_progress 1
		.amdhsa_inst_pref_size 0
		.amdhsa_round_robin_scheduling 0
		.amdhsa_exception_fp_ieee_invalid_op 0
		.amdhsa_exception_fp_denorm_src 0
		.amdhsa_exception_fp_ieee_div_zero 0
		.amdhsa_exception_fp_ieee_overflow 0
		.amdhsa_exception_fp_ieee_underflow 0
		.amdhsa_exception_fp_ieee_inexact 0
		.amdhsa_exception_int_div_zero 0
	.end_amdhsa_kernel
	.section	.text._ZN7rocprim17ROCPRIM_400000_NS6detail17trampoline_kernelINS0_14default_configENS1_35adjacent_difference_config_selectorILb0ElEEZNS1_24adjacent_difference_implIS3_Lb0ELb0EPlS7_ZN2at6native12_GLOBAL__N_124unique_dim_cuda_templateIN3c104HalfEEESt5tupleIJNS8_6TensorESF_SF_EERKSF_lbbbEUlllE1_EE10hipError_tPvRmT2_T3_mT4_P12ihipStream_tbEUlT_E_NS1_11comp_targetILNS1_3genE4ELNS1_11target_archE910ELNS1_3gpuE8ELNS1_3repE0EEENS1_30default_config_static_selectorELNS0_4arch9wavefront6targetE0EEEvT1_,"axG",@progbits,_ZN7rocprim17ROCPRIM_400000_NS6detail17trampoline_kernelINS0_14default_configENS1_35adjacent_difference_config_selectorILb0ElEEZNS1_24adjacent_difference_implIS3_Lb0ELb0EPlS7_ZN2at6native12_GLOBAL__N_124unique_dim_cuda_templateIN3c104HalfEEESt5tupleIJNS8_6TensorESF_SF_EERKSF_lbbbEUlllE1_EE10hipError_tPvRmT2_T3_mT4_P12ihipStream_tbEUlT_E_NS1_11comp_targetILNS1_3genE4ELNS1_11target_archE910ELNS1_3gpuE8ELNS1_3repE0EEENS1_30default_config_static_selectorELNS0_4arch9wavefront6targetE0EEEvT1_,comdat
.Lfunc_end1275:
	.size	_ZN7rocprim17ROCPRIM_400000_NS6detail17trampoline_kernelINS0_14default_configENS1_35adjacent_difference_config_selectorILb0ElEEZNS1_24adjacent_difference_implIS3_Lb0ELb0EPlS7_ZN2at6native12_GLOBAL__N_124unique_dim_cuda_templateIN3c104HalfEEESt5tupleIJNS8_6TensorESF_SF_EERKSF_lbbbEUlllE1_EE10hipError_tPvRmT2_T3_mT4_P12ihipStream_tbEUlT_E_NS1_11comp_targetILNS1_3genE4ELNS1_11target_archE910ELNS1_3gpuE8ELNS1_3repE0EEENS1_30default_config_static_selectorELNS0_4arch9wavefront6targetE0EEEvT1_, .Lfunc_end1275-_ZN7rocprim17ROCPRIM_400000_NS6detail17trampoline_kernelINS0_14default_configENS1_35adjacent_difference_config_selectorILb0ElEEZNS1_24adjacent_difference_implIS3_Lb0ELb0EPlS7_ZN2at6native12_GLOBAL__N_124unique_dim_cuda_templateIN3c104HalfEEESt5tupleIJNS8_6TensorESF_SF_EERKSF_lbbbEUlllE1_EE10hipError_tPvRmT2_T3_mT4_P12ihipStream_tbEUlT_E_NS1_11comp_targetILNS1_3genE4ELNS1_11target_archE910ELNS1_3gpuE8ELNS1_3repE0EEENS1_30default_config_static_selectorELNS0_4arch9wavefront6targetE0EEEvT1_
                                        ; -- End function
	.set _ZN7rocprim17ROCPRIM_400000_NS6detail17trampoline_kernelINS0_14default_configENS1_35adjacent_difference_config_selectorILb0ElEEZNS1_24adjacent_difference_implIS3_Lb0ELb0EPlS7_ZN2at6native12_GLOBAL__N_124unique_dim_cuda_templateIN3c104HalfEEESt5tupleIJNS8_6TensorESF_SF_EERKSF_lbbbEUlllE1_EE10hipError_tPvRmT2_T3_mT4_P12ihipStream_tbEUlT_E_NS1_11comp_targetILNS1_3genE4ELNS1_11target_archE910ELNS1_3gpuE8ELNS1_3repE0EEENS1_30default_config_static_selectorELNS0_4arch9wavefront6targetE0EEEvT1_.num_vgpr, 0
	.set _ZN7rocprim17ROCPRIM_400000_NS6detail17trampoline_kernelINS0_14default_configENS1_35adjacent_difference_config_selectorILb0ElEEZNS1_24adjacent_difference_implIS3_Lb0ELb0EPlS7_ZN2at6native12_GLOBAL__N_124unique_dim_cuda_templateIN3c104HalfEEESt5tupleIJNS8_6TensorESF_SF_EERKSF_lbbbEUlllE1_EE10hipError_tPvRmT2_T3_mT4_P12ihipStream_tbEUlT_E_NS1_11comp_targetILNS1_3genE4ELNS1_11target_archE910ELNS1_3gpuE8ELNS1_3repE0EEENS1_30default_config_static_selectorELNS0_4arch9wavefront6targetE0EEEvT1_.num_agpr, 0
	.set _ZN7rocprim17ROCPRIM_400000_NS6detail17trampoline_kernelINS0_14default_configENS1_35adjacent_difference_config_selectorILb0ElEEZNS1_24adjacent_difference_implIS3_Lb0ELb0EPlS7_ZN2at6native12_GLOBAL__N_124unique_dim_cuda_templateIN3c104HalfEEESt5tupleIJNS8_6TensorESF_SF_EERKSF_lbbbEUlllE1_EE10hipError_tPvRmT2_T3_mT4_P12ihipStream_tbEUlT_E_NS1_11comp_targetILNS1_3genE4ELNS1_11target_archE910ELNS1_3gpuE8ELNS1_3repE0EEENS1_30default_config_static_selectorELNS0_4arch9wavefront6targetE0EEEvT1_.numbered_sgpr, 0
	.set _ZN7rocprim17ROCPRIM_400000_NS6detail17trampoline_kernelINS0_14default_configENS1_35adjacent_difference_config_selectorILb0ElEEZNS1_24adjacent_difference_implIS3_Lb0ELb0EPlS7_ZN2at6native12_GLOBAL__N_124unique_dim_cuda_templateIN3c104HalfEEESt5tupleIJNS8_6TensorESF_SF_EERKSF_lbbbEUlllE1_EE10hipError_tPvRmT2_T3_mT4_P12ihipStream_tbEUlT_E_NS1_11comp_targetILNS1_3genE4ELNS1_11target_archE910ELNS1_3gpuE8ELNS1_3repE0EEENS1_30default_config_static_selectorELNS0_4arch9wavefront6targetE0EEEvT1_.num_named_barrier, 0
	.set _ZN7rocprim17ROCPRIM_400000_NS6detail17trampoline_kernelINS0_14default_configENS1_35adjacent_difference_config_selectorILb0ElEEZNS1_24adjacent_difference_implIS3_Lb0ELb0EPlS7_ZN2at6native12_GLOBAL__N_124unique_dim_cuda_templateIN3c104HalfEEESt5tupleIJNS8_6TensorESF_SF_EERKSF_lbbbEUlllE1_EE10hipError_tPvRmT2_T3_mT4_P12ihipStream_tbEUlT_E_NS1_11comp_targetILNS1_3genE4ELNS1_11target_archE910ELNS1_3gpuE8ELNS1_3repE0EEENS1_30default_config_static_selectorELNS0_4arch9wavefront6targetE0EEEvT1_.private_seg_size, 0
	.set _ZN7rocprim17ROCPRIM_400000_NS6detail17trampoline_kernelINS0_14default_configENS1_35adjacent_difference_config_selectorILb0ElEEZNS1_24adjacent_difference_implIS3_Lb0ELb0EPlS7_ZN2at6native12_GLOBAL__N_124unique_dim_cuda_templateIN3c104HalfEEESt5tupleIJNS8_6TensorESF_SF_EERKSF_lbbbEUlllE1_EE10hipError_tPvRmT2_T3_mT4_P12ihipStream_tbEUlT_E_NS1_11comp_targetILNS1_3genE4ELNS1_11target_archE910ELNS1_3gpuE8ELNS1_3repE0EEENS1_30default_config_static_selectorELNS0_4arch9wavefront6targetE0EEEvT1_.uses_vcc, 0
	.set _ZN7rocprim17ROCPRIM_400000_NS6detail17trampoline_kernelINS0_14default_configENS1_35adjacent_difference_config_selectorILb0ElEEZNS1_24adjacent_difference_implIS3_Lb0ELb0EPlS7_ZN2at6native12_GLOBAL__N_124unique_dim_cuda_templateIN3c104HalfEEESt5tupleIJNS8_6TensorESF_SF_EERKSF_lbbbEUlllE1_EE10hipError_tPvRmT2_T3_mT4_P12ihipStream_tbEUlT_E_NS1_11comp_targetILNS1_3genE4ELNS1_11target_archE910ELNS1_3gpuE8ELNS1_3repE0EEENS1_30default_config_static_selectorELNS0_4arch9wavefront6targetE0EEEvT1_.uses_flat_scratch, 0
	.set _ZN7rocprim17ROCPRIM_400000_NS6detail17trampoline_kernelINS0_14default_configENS1_35adjacent_difference_config_selectorILb0ElEEZNS1_24adjacent_difference_implIS3_Lb0ELb0EPlS7_ZN2at6native12_GLOBAL__N_124unique_dim_cuda_templateIN3c104HalfEEESt5tupleIJNS8_6TensorESF_SF_EERKSF_lbbbEUlllE1_EE10hipError_tPvRmT2_T3_mT4_P12ihipStream_tbEUlT_E_NS1_11comp_targetILNS1_3genE4ELNS1_11target_archE910ELNS1_3gpuE8ELNS1_3repE0EEENS1_30default_config_static_selectorELNS0_4arch9wavefront6targetE0EEEvT1_.has_dyn_sized_stack, 0
	.set _ZN7rocprim17ROCPRIM_400000_NS6detail17trampoline_kernelINS0_14default_configENS1_35adjacent_difference_config_selectorILb0ElEEZNS1_24adjacent_difference_implIS3_Lb0ELb0EPlS7_ZN2at6native12_GLOBAL__N_124unique_dim_cuda_templateIN3c104HalfEEESt5tupleIJNS8_6TensorESF_SF_EERKSF_lbbbEUlllE1_EE10hipError_tPvRmT2_T3_mT4_P12ihipStream_tbEUlT_E_NS1_11comp_targetILNS1_3genE4ELNS1_11target_archE910ELNS1_3gpuE8ELNS1_3repE0EEENS1_30default_config_static_selectorELNS0_4arch9wavefront6targetE0EEEvT1_.has_recursion, 0
	.set _ZN7rocprim17ROCPRIM_400000_NS6detail17trampoline_kernelINS0_14default_configENS1_35adjacent_difference_config_selectorILb0ElEEZNS1_24adjacent_difference_implIS3_Lb0ELb0EPlS7_ZN2at6native12_GLOBAL__N_124unique_dim_cuda_templateIN3c104HalfEEESt5tupleIJNS8_6TensorESF_SF_EERKSF_lbbbEUlllE1_EE10hipError_tPvRmT2_T3_mT4_P12ihipStream_tbEUlT_E_NS1_11comp_targetILNS1_3genE4ELNS1_11target_archE910ELNS1_3gpuE8ELNS1_3repE0EEENS1_30default_config_static_selectorELNS0_4arch9wavefront6targetE0EEEvT1_.has_indirect_call, 0
	.section	.AMDGPU.csdata,"",@progbits
; Kernel info:
; codeLenInByte = 0
; TotalNumSgprs: 0
; NumVgprs: 0
; ScratchSize: 0
; MemoryBound: 0
; FloatMode: 240
; IeeeMode: 1
; LDSByteSize: 0 bytes/workgroup (compile time only)
; SGPRBlocks: 0
; VGPRBlocks: 0
; NumSGPRsForWavesPerEU: 1
; NumVGPRsForWavesPerEU: 1
; NamedBarCnt: 0
; Occupancy: 16
; WaveLimiterHint : 0
; COMPUTE_PGM_RSRC2:SCRATCH_EN: 0
; COMPUTE_PGM_RSRC2:USER_SGPR: 2
; COMPUTE_PGM_RSRC2:TRAP_HANDLER: 0
; COMPUTE_PGM_RSRC2:TGID_X_EN: 1
; COMPUTE_PGM_RSRC2:TGID_Y_EN: 0
; COMPUTE_PGM_RSRC2:TGID_Z_EN: 0
; COMPUTE_PGM_RSRC2:TIDIG_COMP_CNT: 0
	.section	.text._ZN7rocprim17ROCPRIM_400000_NS6detail17trampoline_kernelINS0_14default_configENS1_35adjacent_difference_config_selectorILb0ElEEZNS1_24adjacent_difference_implIS3_Lb0ELb0EPlS7_ZN2at6native12_GLOBAL__N_124unique_dim_cuda_templateIN3c104HalfEEESt5tupleIJNS8_6TensorESF_SF_EERKSF_lbbbEUlllE1_EE10hipError_tPvRmT2_T3_mT4_P12ihipStream_tbEUlT_E_NS1_11comp_targetILNS1_3genE3ELNS1_11target_archE908ELNS1_3gpuE7ELNS1_3repE0EEENS1_30default_config_static_selectorELNS0_4arch9wavefront6targetE0EEEvT1_,"axG",@progbits,_ZN7rocprim17ROCPRIM_400000_NS6detail17trampoline_kernelINS0_14default_configENS1_35adjacent_difference_config_selectorILb0ElEEZNS1_24adjacent_difference_implIS3_Lb0ELb0EPlS7_ZN2at6native12_GLOBAL__N_124unique_dim_cuda_templateIN3c104HalfEEESt5tupleIJNS8_6TensorESF_SF_EERKSF_lbbbEUlllE1_EE10hipError_tPvRmT2_T3_mT4_P12ihipStream_tbEUlT_E_NS1_11comp_targetILNS1_3genE3ELNS1_11target_archE908ELNS1_3gpuE7ELNS1_3repE0EEENS1_30default_config_static_selectorELNS0_4arch9wavefront6targetE0EEEvT1_,comdat
	.globl	_ZN7rocprim17ROCPRIM_400000_NS6detail17trampoline_kernelINS0_14default_configENS1_35adjacent_difference_config_selectorILb0ElEEZNS1_24adjacent_difference_implIS3_Lb0ELb0EPlS7_ZN2at6native12_GLOBAL__N_124unique_dim_cuda_templateIN3c104HalfEEESt5tupleIJNS8_6TensorESF_SF_EERKSF_lbbbEUlllE1_EE10hipError_tPvRmT2_T3_mT4_P12ihipStream_tbEUlT_E_NS1_11comp_targetILNS1_3genE3ELNS1_11target_archE908ELNS1_3gpuE7ELNS1_3repE0EEENS1_30default_config_static_selectorELNS0_4arch9wavefront6targetE0EEEvT1_ ; -- Begin function _ZN7rocprim17ROCPRIM_400000_NS6detail17trampoline_kernelINS0_14default_configENS1_35adjacent_difference_config_selectorILb0ElEEZNS1_24adjacent_difference_implIS3_Lb0ELb0EPlS7_ZN2at6native12_GLOBAL__N_124unique_dim_cuda_templateIN3c104HalfEEESt5tupleIJNS8_6TensorESF_SF_EERKSF_lbbbEUlllE1_EE10hipError_tPvRmT2_T3_mT4_P12ihipStream_tbEUlT_E_NS1_11comp_targetILNS1_3genE3ELNS1_11target_archE908ELNS1_3gpuE7ELNS1_3repE0EEENS1_30default_config_static_selectorELNS0_4arch9wavefront6targetE0EEEvT1_
	.p2align	8
	.type	_ZN7rocprim17ROCPRIM_400000_NS6detail17trampoline_kernelINS0_14default_configENS1_35adjacent_difference_config_selectorILb0ElEEZNS1_24adjacent_difference_implIS3_Lb0ELb0EPlS7_ZN2at6native12_GLOBAL__N_124unique_dim_cuda_templateIN3c104HalfEEESt5tupleIJNS8_6TensorESF_SF_EERKSF_lbbbEUlllE1_EE10hipError_tPvRmT2_T3_mT4_P12ihipStream_tbEUlT_E_NS1_11comp_targetILNS1_3genE3ELNS1_11target_archE908ELNS1_3gpuE7ELNS1_3repE0EEENS1_30default_config_static_selectorELNS0_4arch9wavefront6targetE0EEEvT1_,@function
_ZN7rocprim17ROCPRIM_400000_NS6detail17trampoline_kernelINS0_14default_configENS1_35adjacent_difference_config_selectorILb0ElEEZNS1_24adjacent_difference_implIS3_Lb0ELb0EPlS7_ZN2at6native12_GLOBAL__N_124unique_dim_cuda_templateIN3c104HalfEEESt5tupleIJNS8_6TensorESF_SF_EERKSF_lbbbEUlllE1_EE10hipError_tPvRmT2_T3_mT4_P12ihipStream_tbEUlT_E_NS1_11comp_targetILNS1_3genE3ELNS1_11target_archE908ELNS1_3gpuE7ELNS1_3repE0EEENS1_30default_config_static_selectorELNS0_4arch9wavefront6targetE0EEEvT1_: ; @_ZN7rocprim17ROCPRIM_400000_NS6detail17trampoline_kernelINS0_14default_configENS1_35adjacent_difference_config_selectorILb0ElEEZNS1_24adjacent_difference_implIS3_Lb0ELb0EPlS7_ZN2at6native12_GLOBAL__N_124unique_dim_cuda_templateIN3c104HalfEEESt5tupleIJNS8_6TensorESF_SF_EERKSF_lbbbEUlllE1_EE10hipError_tPvRmT2_T3_mT4_P12ihipStream_tbEUlT_E_NS1_11comp_targetILNS1_3genE3ELNS1_11target_archE908ELNS1_3gpuE7ELNS1_3repE0EEENS1_30default_config_static_selectorELNS0_4arch9wavefront6targetE0EEEvT1_
; %bb.0:
	.section	.rodata,"a",@progbits
	.p2align	6, 0x0
	.amdhsa_kernel _ZN7rocprim17ROCPRIM_400000_NS6detail17trampoline_kernelINS0_14default_configENS1_35adjacent_difference_config_selectorILb0ElEEZNS1_24adjacent_difference_implIS3_Lb0ELb0EPlS7_ZN2at6native12_GLOBAL__N_124unique_dim_cuda_templateIN3c104HalfEEESt5tupleIJNS8_6TensorESF_SF_EERKSF_lbbbEUlllE1_EE10hipError_tPvRmT2_T3_mT4_P12ihipStream_tbEUlT_E_NS1_11comp_targetILNS1_3genE3ELNS1_11target_archE908ELNS1_3gpuE7ELNS1_3repE0EEENS1_30default_config_static_selectorELNS0_4arch9wavefront6targetE0EEEvT1_
		.amdhsa_group_segment_fixed_size 0
		.amdhsa_private_segment_fixed_size 0
		.amdhsa_kernarg_size 64
		.amdhsa_user_sgpr_count 2
		.amdhsa_user_sgpr_dispatch_ptr 0
		.amdhsa_user_sgpr_queue_ptr 0
		.amdhsa_user_sgpr_kernarg_segment_ptr 1
		.amdhsa_user_sgpr_dispatch_id 0
		.amdhsa_user_sgpr_kernarg_preload_length 0
		.amdhsa_user_sgpr_kernarg_preload_offset 0
		.amdhsa_user_sgpr_private_segment_size 0
		.amdhsa_wavefront_size32 1
		.amdhsa_uses_dynamic_stack 0
		.amdhsa_enable_private_segment 0
		.amdhsa_system_sgpr_workgroup_id_x 1
		.amdhsa_system_sgpr_workgroup_id_y 0
		.amdhsa_system_sgpr_workgroup_id_z 0
		.amdhsa_system_sgpr_workgroup_info 0
		.amdhsa_system_vgpr_workitem_id 0
		.amdhsa_next_free_vgpr 1
		.amdhsa_next_free_sgpr 1
		.amdhsa_named_barrier_count 0
		.amdhsa_reserve_vcc 0
		.amdhsa_float_round_mode_32 0
		.amdhsa_float_round_mode_16_64 0
		.amdhsa_float_denorm_mode_32 3
		.amdhsa_float_denorm_mode_16_64 3
		.amdhsa_fp16_overflow 0
		.amdhsa_memory_ordered 1
		.amdhsa_forward_progress 1
		.amdhsa_inst_pref_size 0
		.amdhsa_round_robin_scheduling 0
		.amdhsa_exception_fp_ieee_invalid_op 0
		.amdhsa_exception_fp_denorm_src 0
		.amdhsa_exception_fp_ieee_div_zero 0
		.amdhsa_exception_fp_ieee_overflow 0
		.amdhsa_exception_fp_ieee_underflow 0
		.amdhsa_exception_fp_ieee_inexact 0
		.amdhsa_exception_int_div_zero 0
	.end_amdhsa_kernel
	.section	.text._ZN7rocprim17ROCPRIM_400000_NS6detail17trampoline_kernelINS0_14default_configENS1_35adjacent_difference_config_selectorILb0ElEEZNS1_24adjacent_difference_implIS3_Lb0ELb0EPlS7_ZN2at6native12_GLOBAL__N_124unique_dim_cuda_templateIN3c104HalfEEESt5tupleIJNS8_6TensorESF_SF_EERKSF_lbbbEUlllE1_EE10hipError_tPvRmT2_T3_mT4_P12ihipStream_tbEUlT_E_NS1_11comp_targetILNS1_3genE3ELNS1_11target_archE908ELNS1_3gpuE7ELNS1_3repE0EEENS1_30default_config_static_selectorELNS0_4arch9wavefront6targetE0EEEvT1_,"axG",@progbits,_ZN7rocprim17ROCPRIM_400000_NS6detail17trampoline_kernelINS0_14default_configENS1_35adjacent_difference_config_selectorILb0ElEEZNS1_24adjacent_difference_implIS3_Lb0ELb0EPlS7_ZN2at6native12_GLOBAL__N_124unique_dim_cuda_templateIN3c104HalfEEESt5tupleIJNS8_6TensorESF_SF_EERKSF_lbbbEUlllE1_EE10hipError_tPvRmT2_T3_mT4_P12ihipStream_tbEUlT_E_NS1_11comp_targetILNS1_3genE3ELNS1_11target_archE908ELNS1_3gpuE7ELNS1_3repE0EEENS1_30default_config_static_selectorELNS0_4arch9wavefront6targetE0EEEvT1_,comdat
.Lfunc_end1276:
	.size	_ZN7rocprim17ROCPRIM_400000_NS6detail17trampoline_kernelINS0_14default_configENS1_35adjacent_difference_config_selectorILb0ElEEZNS1_24adjacent_difference_implIS3_Lb0ELb0EPlS7_ZN2at6native12_GLOBAL__N_124unique_dim_cuda_templateIN3c104HalfEEESt5tupleIJNS8_6TensorESF_SF_EERKSF_lbbbEUlllE1_EE10hipError_tPvRmT2_T3_mT4_P12ihipStream_tbEUlT_E_NS1_11comp_targetILNS1_3genE3ELNS1_11target_archE908ELNS1_3gpuE7ELNS1_3repE0EEENS1_30default_config_static_selectorELNS0_4arch9wavefront6targetE0EEEvT1_, .Lfunc_end1276-_ZN7rocprim17ROCPRIM_400000_NS6detail17trampoline_kernelINS0_14default_configENS1_35adjacent_difference_config_selectorILb0ElEEZNS1_24adjacent_difference_implIS3_Lb0ELb0EPlS7_ZN2at6native12_GLOBAL__N_124unique_dim_cuda_templateIN3c104HalfEEESt5tupleIJNS8_6TensorESF_SF_EERKSF_lbbbEUlllE1_EE10hipError_tPvRmT2_T3_mT4_P12ihipStream_tbEUlT_E_NS1_11comp_targetILNS1_3genE3ELNS1_11target_archE908ELNS1_3gpuE7ELNS1_3repE0EEENS1_30default_config_static_selectorELNS0_4arch9wavefront6targetE0EEEvT1_
                                        ; -- End function
	.set _ZN7rocprim17ROCPRIM_400000_NS6detail17trampoline_kernelINS0_14default_configENS1_35adjacent_difference_config_selectorILb0ElEEZNS1_24adjacent_difference_implIS3_Lb0ELb0EPlS7_ZN2at6native12_GLOBAL__N_124unique_dim_cuda_templateIN3c104HalfEEESt5tupleIJNS8_6TensorESF_SF_EERKSF_lbbbEUlllE1_EE10hipError_tPvRmT2_T3_mT4_P12ihipStream_tbEUlT_E_NS1_11comp_targetILNS1_3genE3ELNS1_11target_archE908ELNS1_3gpuE7ELNS1_3repE0EEENS1_30default_config_static_selectorELNS0_4arch9wavefront6targetE0EEEvT1_.num_vgpr, 0
	.set _ZN7rocprim17ROCPRIM_400000_NS6detail17trampoline_kernelINS0_14default_configENS1_35adjacent_difference_config_selectorILb0ElEEZNS1_24adjacent_difference_implIS3_Lb0ELb0EPlS7_ZN2at6native12_GLOBAL__N_124unique_dim_cuda_templateIN3c104HalfEEESt5tupleIJNS8_6TensorESF_SF_EERKSF_lbbbEUlllE1_EE10hipError_tPvRmT2_T3_mT4_P12ihipStream_tbEUlT_E_NS1_11comp_targetILNS1_3genE3ELNS1_11target_archE908ELNS1_3gpuE7ELNS1_3repE0EEENS1_30default_config_static_selectorELNS0_4arch9wavefront6targetE0EEEvT1_.num_agpr, 0
	.set _ZN7rocprim17ROCPRIM_400000_NS6detail17trampoline_kernelINS0_14default_configENS1_35adjacent_difference_config_selectorILb0ElEEZNS1_24adjacent_difference_implIS3_Lb0ELb0EPlS7_ZN2at6native12_GLOBAL__N_124unique_dim_cuda_templateIN3c104HalfEEESt5tupleIJNS8_6TensorESF_SF_EERKSF_lbbbEUlllE1_EE10hipError_tPvRmT2_T3_mT4_P12ihipStream_tbEUlT_E_NS1_11comp_targetILNS1_3genE3ELNS1_11target_archE908ELNS1_3gpuE7ELNS1_3repE0EEENS1_30default_config_static_selectorELNS0_4arch9wavefront6targetE0EEEvT1_.numbered_sgpr, 0
	.set _ZN7rocprim17ROCPRIM_400000_NS6detail17trampoline_kernelINS0_14default_configENS1_35adjacent_difference_config_selectorILb0ElEEZNS1_24adjacent_difference_implIS3_Lb0ELb0EPlS7_ZN2at6native12_GLOBAL__N_124unique_dim_cuda_templateIN3c104HalfEEESt5tupleIJNS8_6TensorESF_SF_EERKSF_lbbbEUlllE1_EE10hipError_tPvRmT2_T3_mT4_P12ihipStream_tbEUlT_E_NS1_11comp_targetILNS1_3genE3ELNS1_11target_archE908ELNS1_3gpuE7ELNS1_3repE0EEENS1_30default_config_static_selectorELNS0_4arch9wavefront6targetE0EEEvT1_.num_named_barrier, 0
	.set _ZN7rocprim17ROCPRIM_400000_NS6detail17trampoline_kernelINS0_14default_configENS1_35adjacent_difference_config_selectorILb0ElEEZNS1_24adjacent_difference_implIS3_Lb0ELb0EPlS7_ZN2at6native12_GLOBAL__N_124unique_dim_cuda_templateIN3c104HalfEEESt5tupleIJNS8_6TensorESF_SF_EERKSF_lbbbEUlllE1_EE10hipError_tPvRmT2_T3_mT4_P12ihipStream_tbEUlT_E_NS1_11comp_targetILNS1_3genE3ELNS1_11target_archE908ELNS1_3gpuE7ELNS1_3repE0EEENS1_30default_config_static_selectorELNS0_4arch9wavefront6targetE0EEEvT1_.private_seg_size, 0
	.set _ZN7rocprim17ROCPRIM_400000_NS6detail17trampoline_kernelINS0_14default_configENS1_35adjacent_difference_config_selectorILb0ElEEZNS1_24adjacent_difference_implIS3_Lb0ELb0EPlS7_ZN2at6native12_GLOBAL__N_124unique_dim_cuda_templateIN3c104HalfEEESt5tupleIJNS8_6TensorESF_SF_EERKSF_lbbbEUlllE1_EE10hipError_tPvRmT2_T3_mT4_P12ihipStream_tbEUlT_E_NS1_11comp_targetILNS1_3genE3ELNS1_11target_archE908ELNS1_3gpuE7ELNS1_3repE0EEENS1_30default_config_static_selectorELNS0_4arch9wavefront6targetE0EEEvT1_.uses_vcc, 0
	.set _ZN7rocprim17ROCPRIM_400000_NS6detail17trampoline_kernelINS0_14default_configENS1_35adjacent_difference_config_selectorILb0ElEEZNS1_24adjacent_difference_implIS3_Lb0ELb0EPlS7_ZN2at6native12_GLOBAL__N_124unique_dim_cuda_templateIN3c104HalfEEESt5tupleIJNS8_6TensorESF_SF_EERKSF_lbbbEUlllE1_EE10hipError_tPvRmT2_T3_mT4_P12ihipStream_tbEUlT_E_NS1_11comp_targetILNS1_3genE3ELNS1_11target_archE908ELNS1_3gpuE7ELNS1_3repE0EEENS1_30default_config_static_selectorELNS0_4arch9wavefront6targetE0EEEvT1_.uses_flat_scratch, 0
	.set _ZN7rocprim17ROCPRIM_400000_NS6detail17trampoline_kernelINS0_14default_configENS1_35adjacent_difference_config_selectorILb0ElEEZNS1_24adjacent_difference_implIS3_Lb0ELb0EPlS7_ZN2at6native12_GLOBAL__N_124unique_dim_cuda_templateIN3c104HalfEEESt5tupleIJNS8_6TensorESF_SF_EERKSF_lbbbEUlllE1_EE10hipError_tPvRmT2_T3_mT4_P12ihipStream_tbEUlT_E_NS1_11comp_targetILNS1_3genE3ELNS1_11target_archE908ELNS1_3gpuE7ELNS1_3repE0EEENS1_30default_config_static_selectorELNS0_4arch9wavefront6targetE0EEEvT1_.has_dyn_sized_stack, 0
	.set _ZN7rocprim17ROCPRIM_400000_NS6detail17trampoline_kernelINS0_14default_configENS1_35adjacent_difference_config_selectorILb0ElEEZNS1_24adjacent_difference_implIS3_Lb0ELb0EPlS7_ZN2at6native12_GLOBAL__N_124unique_dim_cuda_templateIN3c104HalfEEESt5tupleIJNS8_6TensorESF_SF_EERKSF_lbbbEUlllE1_EE10hipError_tPvRmT2_T3_mT4_P12ihipStream_tbEUlT_E_NS1_11comp_targetILNS1_3genE3ELNS1_11target_archE908ELNS1_3gpuE7ELNS1_3repE0EEENS1_30default_config_static_selectorELNS0_4arch9wavefront6targetE0EEEvT1_.has_recursion, 0
	.set _ZN7rocprim17ROCPRIM_400000_NS6detail17trampoline_kernelINS0_14default_configENS1_35adjacent_difference_config_selectorILb0ElEEZNS1_24adjacent_difference_implIS3_Lb0ELb0EPlS7_ZN2at6native12_GLOBAL__N_124unique_dim_cuda_templateIN3c104HalfEEESt5tupleIJNS8_6TensorESF_SF_EERKSF_lbbbEUlllE1_EE10hipError_tPvRmT2_T3_mT4_P12ihipStream_tbEUlT_E_NS1_11comp_targetILNS1_3genE3ELNS1_11target_archE908ELNS1_3gpuE7ELNS1_3repE0EEENS1_30default_config_static_selectorELNS0_4arch9wavefront6targetE0EEEvT1_.has_indirect_call, 0
	.section	.AMDGPU.csdata,"",@progbits
; Kernel info:
; codeLenInByte = 0
; TotalNumSgprs: 0
; NumVgprs: 0
; ScratchSize: 0
; MemoryBound: 0
; FloatMode: 240
; IeeeMode: 1
; LDSByteSize: 0 bytes/workgroup (compile time only)
; SGPRBlocks: 0
; VGPRBlocks: 0
; NumSGPRsForWavesPerEU: 1
; NumVGPRsForWavesPerEU: 1
; NamedBarCnt: 0
; Occupancy: 16
; WaveLimiterHint : 0
; COMPUTE_PGM_RSRC2:SCRATCH_EN: 0
; COMPUTE_PGM_RSRC2:USER_SGPR: 2
; COMPUTE_PGM_RSRC2:TRAP_HANDLER: 0
; COMPUTE_PGM_RSRC2:TGID_X_EN: 1
; COMPUTE_PGM_RSRC2:TGID_Y_EN: 0
; COMPUTE_PGM_RSRC2:TGID_Z_EN: 0
; COMPUTE_PGM_RSRC2:TIDIG_COMP_CNT: 0
	.section	.text._ZN7rocprim17ROCPRIM_400000_NS6detail17trampoline_kernelINS0_14default_configENS1_35adjacent_difference_config_selectorILb0ElEEZNS1_24adjacent_difference_implIS3_Lb0ELb0EPlS7_ZN2at6native12_GLOBAL__N_124unique_dim_cuda_templateIN3c104HalfEEESt5tupleIJNS8_6TensorESF_SF_EERKSF_lbbbEUlllE1_EE10hipError_tPvRmT2_T3_mT4_P12ihipStream_tbEUlT_E_NS1_11comp_targetILNS1_3genE2ELNS1_11target_archE906ELNS1_3gpuE6ELNS1_3repE0EEENS1_30default_config_static_selectorELNS0_4arch9wavefront6targetE0EEEvT1_,"axG",@progbits,_ZN7rocprim17ROCPRIM_400000_NS6detail17trampoline_kernelINS0_14default_configENS1_35adjacent_difference_config_selectorILb0ElEEZNS1_24adjacent_difference_implIS3_Lb0ELb0EPlS7_ZN2at6native12_GLOBAL__N_124unique_dim_cuda_templateIN3c104HalfEEESt5tupleIJNS8_6TensorESF_SF_EERKSF_lbbbEUlllE1_EE10hipError_tPvRmT2_T3_mT4_P12ihipStream_tbEUlT_E_NS1_11comp_targetILNS1_3genE2ELNS1_11target_archE906ELNS1_3gpuE6ELNS1_3repE0EEENS1_30default_config_static_selectorELNS0_4arch9wavefront6targetE0EEEvT1_,comdat
	.globl	_ZN7rocprim17ROCPRIM_400000_NS6detail17trampoline_kernelINS0_14default_configENS1_35adjacent_difference_config_selectorILb0ElEEZNS1_24adjacent_difference_implIS3_Lb0ELb0EPlS7_ZN2at6native12_GLOBAL__N_124unique_dim_cuda_templateIN3c104HalfEEESt5tupleIJNS8_6TensorESF_SF_EERKSF_lbbbEUlllE1_EE10hipError_tPvRmT2_T3_mT4_P12ihipStream_tbEUlT_E_NS1_11comp_targetILNS1_3genE2ELNS1_11target_archE906ELNS1_3gpuE6ELNS1_3repE0EEENS1_30default_config_static_selectorELNS0_4arch9wavefront6targetE0EEEvT1_ ; -- Begin function _ZN7rocprim17ROCPRIM_400000_NS6detail17trampoline_kernelINS0_14default_configENS1_35adjacent_difference_config_selectorILb0ElEEZNS1_24adjacent_difference_implIS3_Lb0ELb0EPlS7_ZN2at6native12_GLOBAL__N_124unique_dim_cuda_templateIN3c104HalfEEESt5tupleIJNS8_6TensorESF_SF_EERKSF_lbbbEUlllE1_EE10hipError_tPvRmT2_T3_mT4_P12ihipStream_tbEUlT_E_NS1_11comp_targetILNS1_3genE2ELNS1_11target_archE906ELNS1_3gpuE6ELNS1_3repE0EEENS1_30default_config_static_selectorELNS0_4arch9wavefront6targetE0EEEvT1_
	.p2align	8
	.type	_ZN7rocprim17ROCPRIM_400000_NS6detail17trampoline_kernelINS0_14default_configENS1_35adjacent_difference_config_selectorILb0ElEEZNS1_24adjacent_difference_implIS3_Lb0ELb0EPlS7_ZN2at6native12_GLOBAL__N_124unique_dim_cuda_templateIN3c104HalfEEESt5tupleIJNS8_6TensorESF_SF_EERKSF_lbbbEUlllE1_EE10hipError_tPvRmT2_T3_mT4_P12ihipStream_tbEUlT_E_NS1_11comp_targetILNS1_3genE2ELNS1_11target_archE906ELNS1_3gpuE6ELNS1_3repE0EEENS1_30default_config_static_selectorELNS0_4arch9wavefront6targetE0EEEvT1_,@function
_ZN7rocprim17ROCPRIM_400000_NS6detail17trampoline_kernelINS0_14default_configENS1_35adjacent_difference_config_selectorILb0ElEEZNS1_24adjacent_difference_implIS3_Lb0ELb0EPlS7_ZN2at6native12_GLOBAL__N_124unique_dim_cuda_templateIN3c104HalfEEESt5tupleIJNS8_6TensorESF_SF_EERKSF_lbbbEUlllE1_EE10hipError_tPvRmT2_T3_mT4_P12ihipStream_tbEUlT_E_NS1_11comp_targetILNS1_3genE2ELNS1_11target_archE906ELNS1_3gpuE6ELNS1_3repE0EEENS1_30default_config_static_selectorELNS0_4arch9wavefront6targetE0EEEvT1_: ; @_ZN7rocprim17ROCPRIM_400000_NS6detail17trampoline_kernelINS0_14default_configENS1_35adjacent_difference_config_selectorILb0ElEEZNS1_24adjacent_difference_implIS3_Lb0ELb0EPlS7_ZN2at6native12_GLOBAL__N_124unique_dim_cuda_templateIN3c104HalfEEESt5tupleIJNS8_6TensorESF_SF_EERKSF_lbbbEUlllE1_EE10hipError_tPvRmT2_T3_mT4_P12ihipStream_tbEUlT_E_NS1_11comp_targetILNS1_3genE2ELNS1_11target_archE906ELNS1_3gpuE6ELNS1_3repE0EEENS1_30default_config_static_selectorELNS0_4arch9wavefront6targetE0EEEvT1_
; %bb.0:
	.section	.rodata,"a",@progbits
	.p2align	6, 0x0
	.amdhsa_kernel _ZN7rocprim17ROCPRIM_400000_NS6detail17trampoline_kernelINS0_14default_configENS1_35adjacent_difference_config_selectorILb0ElEEZNS1_24adjacent_difference_implIS3_Lb0ELb0EPlS7_ZN2at6native12_GLOBAL__N_124unique_dim_cuda_templateIN3c104HalfEEESt5tupleIJNS8_6TensorESF_SF_EERKSF_lbbbEUlllE1_EE10hipError_tPvRmT2_T3_mT4_P12ihipStream_tbEUlT_E_NS1_11comp_targetILNS1_3genE2ELNS1_11target_archE906ELNS1_3gpuE6ELNS1_3repE0EEENS1_30default_config_static_selectorELNS0_4arch9wavefront6targetE0EEEvT1_
		.amdhsa_group_segment_fixed_size 0
		.amdhsa_private_segment_fixed_size 0
		.amdhsa_kernarg_size 64
		.amdhsa_user_sgpr_count 2
		.amdhsa_user_sgpr_dispatch_ptr 0
		.amdhsa_user_sgpr_queue_ptr 0
		.amdhsa_user_sgpr_kernarg_segment_ptr 1
		.amdhsa_user_sgpr_dispatch_id 0
		.amdhsa_user_sgpr_kernarg_preload_length 0
		.amdhsa_user_sgpr_kernarg_preload_offset 0
		.amdhsa_user_sgpr_private_segment_size 0
		.amdhsa_wavefront_size32 1
		.amdhsa_uses_dynamic_stack 0
		.amdhsa_enable_private_segment 0
		.amdhsa_system_sgpr_workgroup_id_x 1
		.amdhsa_system_sgpr_workgroup_id_y 0
		.amdhsa_system_sgpr_workgroup_id_z 0
		.amdhsa_system_sgpr_workgroup_info 0
		.amdhsa_system_vgpr_workitem_id 0
		.amdhsa_next_free_vgpr 1
		.amdhsa_next_free_sgpr 1
		.amdhsa_named_barrier_count 0
		.amdhsa_reserve_vcc 0
		.amdhsa_float_round_mode_32 0
		.amdhsa_float_round_mode_16_64 0
		.amdhsa_float_denorm_mode_32 3
		.amdhsa_float_denorm_mode_16_64 3
		.amdhsa_fp16_overflow 0
		.amdhsa_memory_ordered 1
		.amdhsa_forward_progress 1
		.amdhsa_inst_pref_size 0
		.amdhsa_round_robin_scheduling 0
		.amdhsa_exception_fp_ieee_invalid_op 0
		.amdhsa_exception_fp_denorm_src 0
		.amdhsa_exception_fp_ieee_div_zero 0
		.amdhsa_exception_fp_ieee_overflow 0
		.amdhsa_exception_fp_ieee_underflow 0
		.amdhsa_exception_fp_ieee_inexact 0
		.amdhsa_exception_int_div_zero 0
	.end_amdhsa_kernel
	.section	.text._ZN7rocprim17ROCPRIM_400000_NS6detail17trampoline_kernelINS0_14default_configENS1_35adjacent_difference_config_selectorILb0ElEEZNS1_24adjacent_difference_implIS3_Lb0ELb0EPlS7_ZN2at6native12_GLOBAL__N_124unique_dim_cuda_templateIN3c104HalfEEESt5tupleIJNS8_6TensorESF_SF_EERKSF_lbbbEUlllE1_EE10hipError_tPvRmT2_T3_mT4_P12ihipStream_tbEUlT_E_NS1_11comp_targetILNS1_3genE2ELNS1_11target_archE906ELNS1_3gpuE6ELNS1_3repE0EEENS1_30default_config_static_selectorELNS0_4arch9wavefront6targetE0EEEvT1_,"axG",@progbits,_ZN7rocprim17ROCPRIM_400000_NS6detail17trampoline_kernelINS0_14default_configENS1_35adjacent_difference_config_selectorILb0ElEEZNS1_24adjacent_difference_implIS3_Lb0ELb0EPlS7_ZN2at6native12_GLOBAL__N_124unique_dim_cuda_templateIN3c104HalfEEESt5tupleIJNS8_6TensorESF_SF_EERKSF_lbbbEUlllE1_EE10hipError_tPvRmT2_T3_mT4_P12ihipStream_tbEUlT_E_NS1_11comp_targetILNS1_3genE2ELNS1_11target_archE906ELNS1_3gpuE6ELNS1_3repE0EEENS1_30default_config_static_selectorELNS0_4arch9wavefront6targetE0EEEvT1_,comdat
.Lfunc_end1277:
	.size	_ZN7rocprim17ROCPRIM_400000_NS6detail17trampoline_kernelINS0_14default_configENS1_35adjacent_difference_config_selectorILb0ElEEZNS1_24adjacent_difference_implIS3_Lb0ELb0EPlS7_ZN2at6native12_GLOBAL__N_124unique_dim_cuda_templateIN3c104HalfEEESt5tupleIJNS8_6TensorESF_SF_EERKSF_lbbbEUlllE1_EE10hipError_tPvRmT2_T3_mT4_P12ihipStream_tbEUlT_E_NS1_11comp_targetILNS1_3genE2ELNS1_11target_archE906ELNS1_3gpuE6ELNS1_3repE0EEENS1_30default_config_static_selectorELNS0_4arch9wavefront6targetE0EEEvT1_, .Lfunc_end1277-_ZN7rocprim17ROCPRIM_400000_NS6detail17trampoline_kernelINS0_14default_configENS1_35adjacent_difference_config_selectorILb0ElEEZNS1_24adjacent_difference_implIS3_Lb0ELb0EPlS7_ZN2at6native12_GLOBAL__N_124unique_dim_cuda_templateIN3c104HalfEEESt5tupleIJNS8_6TensorESF_SF_EERKSF_lbbbEUlllE1_EE10hipError_tPvRmT2_T3_mT4_P12ihipStream_tbEUlT_E_NS1_11comp_targetILNS1_3genE2ELNS1_11target_archE906ELNS1_3gpuE6ELNS1_3repE0EEENS1_30default_config_static_selectorELNS0_4arch9wavefront6targetE0EEEvT1_
                                        ; -- End function
	.set _ZN7rocprim17ROCPRIM_400000_NS6detail17trampoline_kernelINS0_14default_configENS1_35adjacent_difference_config_selectorILb0ElEEZNS1_24adjacent_difference_implIS3_Lb0ELb0EPlS7_ZN2at6native12_GLOBAL__N_124unique_dim_cuda_templateIN3c104HalfEEESt5tupleIJNS8_6TensorESF_SF_EERKSF_lbbbEUlllE1_EE10hipError_tPvRmT2_T3_mT4_P12ihipStream_tbEUlT_E_NS1_11comp_targetILNS1_3genE2ELNS1_11target_archE906ELNS1_3gpuE6ELNS1_3repE0EEENS1_30default_config_static_selectorELNS0_4arch9wavefront6targetE0EEEvT1_.num_vgpr, 0
	.set _ZN7rocprim17ROCPRIM_400000_NS6detail17trampoline_kernelINS0_14default_configENS1_35adjacent_difference_config_selectorILb0ElEEZNS1_24adjacent_difference_implIS3_Lb0ELb0EPlS7_ZN2at6native12_GLOBAL__N_124unique_dim_cuda_templateIN3c104HalfEEESt5tupleIJNS8_6TensorESF_SF_EERKSF_lbbbEUlllE1_EE10hipError_tPvRmT2_T3_mT4_P12ihipStream_tbEUlT_E_NS1_11comp_targetILNS1_3genE2ELNS1_11target_archE906ELNS1_3gpuE6ELNS1_3repE0EEENS1_30default_config_static_selectorELNS0_4arch9wavefront6targetE0EEEvT1_.num_agpr, 0
	.set _ZN7rocprim17ROCPRIM_400000_NS6detail17trampoline_kernelINS0_14default_configENS1_35adjacent_difference_config_selectorILb0ElEEZNS1_24adjacent_difference_implIS3_Lb0ELb0EPlS7_ZN2at6native12_GLOBAL__N_124unique_dim_cuda_templateIN3c104HalfEEESt5tupleIJNS8_6TensorESF_SF_EERKSF_lbbbEUlllE1_EE10hipError_tPvRmT2_T3_mT4_P12ihipStream_tbEUlT_E_NS1_11comp_targetILNS1_3genE2ELNS1_11target_archE906ELNS1_3gpuE6ELNS1_3repE0EEENS1_30default_config_static_selectorELNS0_4arch9wavefront6targetE0EEEvT1_.numbered_sgpr, 0
	.set _ZN7rocprim17ROCPRIM_400000_NS6detail17trampoline_kernelINS0_14default_configENS1_35adjacent_difference_config_selectorILb0ElEEZNS1_24adjacent_difference_implIS3_Lb0ELb0EPlS7_ZN2at6native12_GLOBAL__N_124unique_dim_cuda_templateIN3c104HalfEEESt5tupleIJNS8_6TensorESF_SF_EERKSF_lbbbEUlllE1_EE10hipError_tPvRmT2_T3_mT4_P12ihipStream_tbEUlT_E_NS1_11comp_targetILNS1_3genE2ELNS1_11target_archE906ELNS1_3gpuE6ELNS1_3repE0EEENS1_30default_config_static_selectorELNS0_4arch9wavefront6targetE0EEEvT1_.num_named_barrier, 0
	.set _ZN7rocprim17ROCPRIM_400000_NS6detail17trampoline_kernelINS0_14default_configENS1_35adjacent_difference_config_selectorILb0ElEEZNS1_24adjacent_difference_implIS3_Lb0ELb0EPlS7_ZN2at6native12_GLOBAL__N_124unique_dim_cuda_templateIN3c104HalfEEESt5tupleIJNS8_6TensorESF_SF_EERKSF_lbbbEUlllE1_EE10hipError_tPvRmT2_T3_mT4_P12ihipStream_tbEUlT_E_NS1_11comp_targetILNS1_3genE2ELNS1_11target_archE906ELNS1_3gpuE6ELNS1_3repE0EEENS1_30default_config_static_selectorELNS0_4arch9wavefront6targetE0EEEvT1_.private_seg_size, 0
	.set _ZN7rocprim17ROCPRIM_400000_NS6detail17trampoline_kernelINS0_14default_configENS1_35adjacent_difference_config_selectorILb0ElEEZNS1_24adjacent_difference_implIS3_Lb0ELb0EPlS7_ZN2at6native12_GLOBAL__N_124unique_dim_cuda_templateIN3c104HalfEEESt5tupleIJNS8_6TensorESF_SF_EERKSF_lbbbEUlllE1_EE10hipError_tPvRmT2_T3_mT4_P12ihipStream_tbEUlT_E_NS1_11comp_targetILNS1_3genE2ELNS1_11target_archE906ELNS1_3gpuE6ELNS1_3repE0EEENS1_30default_config_static_selectorELNS0_4arch9wavefront6targetE0EEEvT1_.uses_vcc, 0
	.set _ZN7rocprim17ROCPRIM_400000_NS6detail17trampoline_kernelINS0_14default_configENS1_35adjacent_difference_config_selectorILb0ElEEZNS1_24adjacent_difference_implIS3_Lb0ELb0EPlS7_ZN2at6native12_GLOBAL__N_124unique_dim_cuda_templateIN3c104HalfEEESt5tupleIJNS8_6TensorESF_SF_EERKSF_lbbbEUlllE1_EE10hipError_tPvRmT2_T3_mT4_P12ihipStream_tbEUlT_E_NS1_11comp_targetILNS1_3genE2ELNS1_11target_archE906ELNS1_3gpuE6ELNS1_3repE0EEENS1_30default_config_static_selectorELNS0_4arch9wavefront6targetE0EEEvT1_.uses_flat_scratch, 0
	.set _ZN7rocprim17ROCPRIM_400000_NS6detail17trampoline_kernelINS0_14default_configENS1_35adjacent_difference_config_selectorILb0ElEEZNS1_24adjacent_difference_implIS3_Lb0ELb0EPlS7_ZN2at6native12_GLOBAL__N_124unique_dim_cuda_templateIN3c104HalfEEESt5tupleIJNS8_6TensorESF_SF_EERKSF_lbbbEUlllE1_EE10hipError_tPvRmT2_T3_mT4_P12ihipStream_tbEUlT_E_NS1_11comp_targetILNS1_3genE2ELNS1_11target_archE906ELNS1_3gpuE6ELNS1_3repE0EEENS1_30default_config_static_selectorELNS0_4arch9wavefront6targetE0EEEvT1_.has_dyn_sized_stack, 0
	.set _ZN7rocprim17ROCPRIM_400000_NS6detail17trampoline_kernelINS0_14default_configENS1_35adjacent_difference_config_selectorILb0ElEEZNS1_24adjacent_difference_implIS3_Lb0ELb0EPlS7_ZN2at6native12_GLOBAL__N_124unique_dim_cuda_templateIN3c104HalfEEESt5tupleIJNS8_6TensorESF_SF_EERKSF_lbbbEUlllE1_EE10hipError_tPvRmT2_T3_mT4_P12ihipStream_tbEUlT_E_NS1_11comp_targetILNS1_3genE2ELNS1_11target_archE906ELNS1_3gpuE6ELNS1_3repE0EEENS1_30default_config_static_selectorELNS0_4arch9wavefront6targetE0EEEvT1_.has_recursion, 0
	.set _ZN7rocprim17ROCPRIM_400000_NS6detail17trampoline_kernelINS0_14default_configENS1_35adjacent_difference_config_selectorILb0ElEEZNS1_24adjacent_difference_implIS3_Lb0ELb0EPlS7_ZN2at6native12_GLOBAL__N_124unique_dim_cuda_templateIN3c104HalfEEESt5tupleIJNS8_6TensorESF_SF_EERKSF_lbbbEUlllE1_EE10hipError_tPvRmT2_T3_mT4_P12ihipStream_tbEUlT_E_NS1_11comp_targetILNS1_3genE2ELNS1_11target_archE906ELNS1_3gpuE6ELNS1_3repE0EEENS1_30default_config_static_selectorELNS0_4arch9wavefront6targetE0EEEvT1_.has_indirect_call, 0
	.section	.AMDGPU.csdata,"",@progbits
; Kernel info:
; codeLenInByte = 0
; TotalNumSgprs: 0
; NumVgprs: 0
; ScratchSize: 0
; MemoryBound: 0
; FloatMode: 240
; IeeeMode: 1
; LDSByteSize: 0 bytes/workgroup (compile time only)
; SGPRBlocks: 0
; VGPRBlocks: 0
; NumSGPRsForWavesPerEU: 1
; NumVGPRsForWavesPerEU: 1
; NamedBarCnt: 0
; Occupancy: 16
; WaveLimiterHint : 0
; COMPUTE_PGM_RSRC2:SCRATCH_EN: 0
; COMPUTE_PGM_RSRC2:USER_SGPR: 2
; COMPUTE_PGM_RSRC2:TRAP_HANDLER: 0
; COMPUTE_PGM_RSRC2:TGID_X_EN: 1
; COMPUTE_PGM_RSRC2:TGID_Y_EN: 0
; COMPUTE_PGM_RSRC2:TGID_Z_EN: 0
; COMPUTE_PGM_RSRC2:TIDIG_COMP_CNT: 0
	.section	.text._ZN7rocprim17ROCPRIM_400000_NS6detail17trampoline_kernelINS0_14default_configENS1_35adjacent_difference_config_selectorILb0ElEEZNS1_24adjacent_difference_implIS3_Lb0ELb0EPlS7_ZN2at6native12_GLOBAL__N_124unique_dim_cuda_templateIN3c104HalfEEESt5tupleIJNS8_6TensorESF_SF_EERKSF_lbbbEUlllE1_EE10hipError_tPvRmT2_T3_mT4_P12ihipStream_tbEUlT_E_NS1_11comp_targetILNS1_3genE9ELNS1_11target_archE1100ELNS1_3gpuE3ELNS1_3repE0EEENS1_30default_config_static_selectorELNS0_4arch9wavefront6targetE0EEEvT1_,"axG",@progbits,_ZN7rocprim17ROCPRIM_400000_NS6detail17trampoline_kernelINS0_14default_configENS1_35adjacent_difference_config_selectorILb0ElEEZNS1_24adjacent_difference_implIS3_Lb0ELb0EPlS7_ZN2at6native12_GLOBAL__N_124unique_dim_cuda_templateIN3c104HalfEEESt5tupleIJNS8_6TensorESF_SF_EERKSF_lbbbEUlllE1_EE10hipError_tPvRmT2_T3_mT4_P12ihipStream_tbEUlT_E_NS1_11comp_targetILNS1_3genE9ELNS1_11target_archE1100ELNS1_3gpuE3ELNS1_3repE0EEENS1_30default_config_static_selectorELNS0_4arch9wavefront6targetE0EEEvT1_,comdat
	.globl	_ZN7rocprim17ROCPRIM_400000_NS6detail17trampoline_kernelINS0_14default_configENS1_35adjacent_difference_config_selectorILb0ElEEZNS1_24adjacent_difference_implIS3_Lb0ELb0EPlS7_ZN2at6native12_GLOBAL__N_124unique_dim_cuda_templateIN3c104HalfEEESt5tupleIJNS8_6TensorESF_SF_EERKSF_lbbbEUlllE1_EE10hipError_tPvRmT2_T3_mT4_P12ihipStream_tbEUlT_E_NS1_11comp_targetILNS1_3genE9ELNS1_11target_archE1100ELNS1_3gpuE3ELNS1_3repE0EEENS1_30default_config_static_selectorELNS0_4arch9wavefront6targetE0EEEvT1_ ; -- Begin function _ZN7rocprim17ROCPRIM_400000_NS6detail17trampoline_kernelINS0_14default_configENS1_35adjacent_difference_config_selectorILb0ElEEZNS1_24adjacent_difference_implIS3_Lb0ELb0EPlS7_ZN2at6native12_GLOBAL__N_124unique_dim_cuda_templateIN3c104HalfEEESt5tupleIJNS8_6TensorESF_SF_EERKSF_lbbbEUlllE1_EE10hipError_tPvRmT2_T3_mT4_P12ihipStream_tbEUlT_E_NS1_11comp_targetILNS1_3genE9ELNS1_11target_archE1100ELNS1_3gpuE3ELNS1_3repE0EEENS1_30default_config_static_selectorELNS0_4arch9wavefront6targetE0EEEvT1_
	.p2align	8
	.type	_ZN7rocprim17ROCPRIM_400000_NS6detail17trampoline_kernelINS0_14default_configENS1_35adjacent_difference_config_selectorILb0ElEEZNS1_24adjacent_difference_implIS3_Lb0ELb0EPlS7_ZN2at6native12_GLOBAL__N_124unique_dim_cuda_templateIN3c104HalfEEESt5tupleIJNS8_6TensorESF_SF_EERKSF_lbbbEUlllE1_EE10hipError_tPvRmT2_T3_mT4_P12ihipStream_tbEUlT_E_NS1_11comp_targetILNS1_3genE9ELNS1_11target_archE1100ELNS1_3gpuE3ELNS1_3repE0EEENS1_30default_config_static_selectorELNS0_4arch9wavefront6targetE0EEEvT1_,@function
_ZN7rocprim17ROCPRIM_400000_NS6detail17trampoline_kernelINS0_14default_configENS1_35adjacent_difference_config_selectorILb0ElEEZNS1_24adjacent_difference_implIS3_Lb0ELb0EPlS7_ZN2at6native12_GLOBAL__N_124unique_dim_cuda_templateIN3c104HalfEEESt5tupleIJNS8_6TensorESF_SF_EERKSF_lbbbEUlllE1_EE10hipError_tPvRmT2_T3_mT4_P12ihipStream_tbEUlT_E_NS1_11comp_targetILNS1_3genE9ELNS1_11target_archE1100ELNS1_3gpuE3ELNS1_3repE0EEENS1_30default_config_static_selectorELNS0_4arch9wavefront6targetE0EEEvT1_: ; @_ZN7rocprim17ROCPRIM_400000_NS6detail17trampoline_kernelINS0_14default_configENS1_35adjacent_difference_config_selectorILb0ElEEZNS1_24adjacent_difference_implIS3_Lb0ELb0EPlS7_ZN2at6native12_GLOBAL__N_124unique_dim_cuda_templateIN3c104HalfEEESt5tupleIJNS8_6TensorESF_SF_EERKSF_lbbbEUlllE1_EE10hipError_tPvRmT2_T3_mT4_P12ihipStream_tbEUlT_E_NS1_11comp_targetILNS1_3genE9ELNS1_11target_archE1100ELNS1_3gpuE3ELNS1_3repE0EEENS1_30default_config_static_selectorELNS0_4arch9wavefront6targetE0EEEvT1_
; %bb.0:
	.section	.rodata,"a",@progbits
	.p2align	6, 0x0
	.amdhsa_kernel _ZN7rocprim17ROCPRIM_400000_NS6detail17trampoline_kernelINS0_14default_configENS1_35adjacent_difference_config_selectorILb0ElEEZNS1_24adjacent_difference_implIS3_Lb0ELb0EPlS7_ZN2at6native12_GLOBAL__N_124unique_dim_cuda_templateIN3c104HalfEEESt5tupleIJNS8_6TensorESF_SF_EERKSF_lbbbEUlllE1_EE10hipError_tPvRmT2_T3_mT4_P12ihipStream_tbEUlT_E_NS1_11comp_targetILNS1_3genE9ELNS1_11target_archE1100ELNS1_3gpuE3ELNS1_3repE0EEENS1_30default_config_static_selectorELNS0_4arch9wavefront6targetE0EEEvT1_
		.amdhsa_group_segment_fixed_size 0
		.amdhsa_private_segment_fixed_size 0
		.amdhsa_kernarg_size 64
		.amdhsa_user_sgpr_count 2
		.amdhsa_user_sgpr_dispatch_ptr 0
		.amdhsa_user_sgpr_queue_ptr 0
		.amdhsa_user_sgpr_kernarg_segment_ptr 1
		.amdhsa_user_sgpr_dispatch_id 0
		.amdhsa_user_sgpr_kernarg_preload_length 0
		.amdhsa_user_sgpr_kernarg_preload_offset 0
		.amdhsa_user_sgpr_private_segment_size 0
		.amdhsa_wavefront_size32 1
		.amdhsa_uses_dynamic_stack 0
		.amdhsa_enable_private_segment 0
		.amdhsa_system_sgpr_workgroup_id_x 1
		.amdhsa_system_sgpr_workgroup_id_y 0
		.amdhsa_system_sgpr_workgroup_id_z 0
		.amdhsa_system_sgpr_workgroup_info 0
		.amdhsa_system_vgpr_workitem_id 0
		.amdhsa_next_free_vgpr 1
		.amdhsa_next_free_sgpr 1
		.amdhsa_named_barrier_count 0
		.amdhsa_reserve_vcc 0
		.amdhsa_float_round_mode_32 0
		.amdhsa_float_round_mode_16_64 0
		.amdhsa_float_denorm_mode_32 3
		.amdhsa_float_denorm_mode_16_64 3
		.amdhsa_fp16_overflow 0
		.amdhsa_memory_ordered 1
		.amdhsa_forward_progress 1
		.amdhsa_inst_pref_size 0
		.amdhsa_round_robin_scheduling 0
		.amdhsa_exception_fp_ieee_invalid_op 0
		.amdhsa_exception_fp_denorm_src 0
		.amdhsa_exception_fp_ieee_div_zero 0
		.amdhsa_exception_fp_ieee_overflow 0
		.amdhsa_exception_fp_ieee_underflow 0
		.amdhsa_exception_fp_ieee_inexact 0
		.amdhsa_exception_int_div_zero 0
	.end_amdhsa_kernel
	.section	.text._ZN7rocprim17ROCPRIM_400000_NS6detail17trampoline_kernelINS0_14default_configENS1_35adjacent_difference_config_selectorILb0ElEEZNS1_24adjacent_difference_implIS3_Lb0ELb0EPlS7_ZN2at6native12_GLOBAL__N_124unique_dim_cuda_templateIN3c104HalfEEESt5tupleIJNS8_6TensorESF_SF_EERKSF_lbbbEUlllE1_EE10hipError_tPvRmT2_T3_mT4_P12ihipStream_tbEUlT_E_NS1_11comp_targetILNS1_3genE9ELNS1_11target_archE1100ELNS1_3gpuE3ELNS1_3repE0EEENS1_30default_config_static_selectorELNS0_4arch9wavefront6targetE0EEEvT1_,"axG",@progbits,_ZN7rocprim17ROCPRIM_400000_NS6detail17trampoline_kernelINS0_14default_configENS1_35adjacent_difference_config_selectorILb0ElEEZNS1_24adjacent_difference_implIS3_Lb0ELb0EPlS7_ZN2at6native12_GLOBAL__N_124unique_dim_cuda_templateIN3c104HalfEEESt5tupleIJNS8_6TensorESF_SF_EERKSF_lbbbEUlllE1_EE10hipError_tPvRmT2_T3_mT4_P12ihipStream_tbEUlT_E_NS1_11comp_targetILNS1_3genE9ELNS1_11target_archE1100ELNS1_3gpuE3ELNS1_3repE0EEENS1_30default_config_static_selectorELNS0_4arch9wavefront6targetE0EEEvT1_,comdat
.Lfunc_end1278:
	.size	_ZN7rocprim17ROCPRIM_400000_NS6detail17trampoline_kernelINS0_14default_configENS1_35adjacent_difference_config_selectorILb0ElEEZNS1_24adjacent_difference_implIS3_Lb0ELb0EPlS7_ZN2at6native12_GLOBAL__N_124unique_dim_cuda_templateIN3c104HalfEEESt5tupleIJNS8_6TensorESF_SF_EERKSF_lbbbEUlllE1_EE10hipError_tPvRmT2_T3_mT4_P12ihipStream_tbEUlT_E_NS1_11comp_targetILNS1_3genE9ELNS1_11target_archE1100ELNS1_3gpuE3ELNS1_3repE0EEENS1_30default_config_static_selectorELNS0_4arch9wavefront6targetE0EEEvT1_, .Lfunc_end1278-_ZN7rocprim17ROCPRIM_400000_NS6detail17trampoline_kernelINS0_14default_configENS1_35adjacent_difference_config_selectorILb0ElEEZNS1_24adjacent_difference_implIS3_Lb0ELb0EPlS7_ZN2at6native12_GLOBAL__N_124unique_dim_cuda_templateIN3c104HalfEEESt5tupleIJNS8_6TensorESF_SF_EERKSF_lbbbEUlllE1_EE10hipError_tPvRmT2_T3_mT4_P12ihipStream_tbEUlT_E_NS1_11comp_targetILNS1_3genE9ELNS1_11target_archE1100ELNS1_3gpuE3ELNS1_3repE0EEENS1_30default_config_static_selectorELNS0_4arch9wavefront6targetE0EEEvT1_
                                        ; -- End function
	.set _ZN7rocprim17ROCPRIM_400000_NS6detail17trampoline_kernelINS0_14default_configENS1_35adjacent_difference_config_selectorILb0ElEEZNS1_24adjacent_difference_implIS3_Lb0ELb0EPlS7_ZN2at6native12_GLOBAL__N_124unique_dim_cuda_templateIN3c104HalfEEESt5tupleIJNS8_6TensorESF_SF_EERKSF_lbbbEUlllE1_EE10hipError_tPvRmT2_T3_mT4_P12ihipStream_tbEUlT_E_NS1_11comp_targetILNS1_3genE9ELNS1_11target_archE1100ELNS1_3gpuE3ELNS1_3repE0EEENS1_30default_config_static_selectorELNS0_4arch9wavefront6targetE0EEEvT1_.num_vgpr, 0
	.set _ZN7rocprim17ROCPRIM_400000_NS6detail17trampoline_kernelINS0_14default_configENS1_35adjacent_difference_config_selectorILb0ElEEZNS1_24adjacent_difference_implIS3_Lb0ELb0EPlS7_ZN2at6native12_GLOBAL__N_124unique_dim_cuda_templateIN3c104HalfEEESt5tupleIJNS8_6TensorESF_SF_EERKSF_lbbbEUlllE1_EE10hipError_tPvRmT2_T3_mT4_P12ihipStream_tbEUlT_E_NS1_11comp_targetILNS1_3genE9ELNS1_11target_archE1100ELNS1_3gpuE3ELNS1_3repE0EEENS1_30default_config_static_selectorELNS0_4arch9wavefront6targetE0EEEvT1_.num_agpr, 0
	.set _ZN7rocprim17ROCPRIM_400000_NS6detail17trampoline_kernelINS0_14default_configENS1_35adjacent_difference_config_selectorILb0ElEEZNS1_24adjacent_difference_implIS3_Lb0ELb0EPlS7_ZN2at6native12_GLOBAL__N_124unique_dim_cuda_templateIN3c104HalfEEESt5tupleIJNS8_6TensorESF_SF_EERKSF_lbbbEUlllE1_EE10hipError_tPvRmT2_T3_mT4_P12ihipStream_tbEUlT_E_NS1_11comp_targetILNS1_3genE9ELNS1_11target_archE1100ELNS1_3gpuE3ELNS1_3repE0EEENS1_30default_config_static_selectorELNS0_4arch9wavefront6targetE0EEEvT1_.numbered_sgpr, 0
	.set _ZN7rocprim17ROCPRIM_400000_NS6detail17trampoline_kernelINS0_14default_configENS1_35adjacent_difference_config_selectorILb0ElEEZNS1_24adjacent_difference_implIS3_Lb0ELb0EPlS7_ZN2at6native12_GLOBAL__N_124unique_dim_cuda_templateIN3c104HalfEEESt5tupleIJNS8_6TensorESF_SF_EERKSF_lbbbEUlllE1_EE10hipError_tPvRmT2_T3_mT4_P12ihipStream_tbEUlT_E_NS1_11comp_targetILNS1_3genE9ELNS1_11target_archE1100ELNS1_3gpuE3ELNS1_3repE0EEENS1_30default_config_static_selectorELNS0_4arch9wavefront6targetE0EEEvT1_.num_named_barrier, 0
	.set _ZN7rocprim17ROCPRIM_400000_NS6detail17trampoline_kernelINS0_14default_configENS1_35adjacent_difference_config_selectorILb0ElEEZNS1_24adjacent_difference_implIS3_Lb0ELb0EPlS7_ZN2at6native12_GLOBAL__N_124unique_dim_cuda_templateIN3c104HalfEEESt5tupleIJNS8_6TensorESF_SF_EERKSF_lbbbEUlllE1_EE10hipError_tPvRmT2_T3_mT4_P12ihipStream_tbEUlT_E_NS1_11comp_targetILNS1_3genE9ELNS1_11target_archE1100ELNS1_3gpuE3ELNS1_3repE0EEENS1_30default_config_static_selectorELNS0_4arch9wavefront6targetE0EEEvT1_.private_seg_size, 0
	.set _ZN7rocprim17ROCPRIM_400000_NS6detail17trampoline_kernelINS0_14default_configENS1_35adjacent_difference_config_selectorILb0ElEEZNS1_24adjacent_difference_implIS3_Lb0ELb0EPlS7_ZN2at6native12_GLOBAL__N_124unique_dim_cuda_templateIN3c104HalfEEESt5tupleIJNS8_6TensorESF_SF_EERKSF_lbbbEUlllE1_EE10hipError_tPvRmT2_T3_mT4_P12ihipStream_tbEUlT_E_NS1_11comp_targetILNS1_3genE9ELNS1_11target_archE1100ELNS1_3gpuE3ELNS1_3repE0EEENS1_30default_config_static_selectorELNS0_4arch9wavefront6targetE0EEEvT1_.uses_vcc, 0
	.set _ZN7rocprim17ROCPRIM_400000_NS6detail17trampoline_kernelINS0_14default_configENS1_35adjacent_difference_config_selectorILb0ElEEZNS1_24adjacent_difference_implIS3_Lb0ELb0EPlS7_ZN2at6native12_GLOBAL__N_124unique_dim_cuda_templateIN3c104HalfEEESt5tupleIJNS8_6TensorESF_SF_EERKSF_lbbbEUlllE1_EE10hipError_tPvRmT2_T3_mT4_P12ihipStream_tbEUlT_E_NS1_11comp_targetILNS1_3genE9ELNS1_11target_archE1100ELNS1_3gpuE3ELNS1_3repE0EEENS1_30default_config_static_selectorELNS0_4arch9wavefront6targetE0EEEvT1_.uses_flat_scratch, 0
	.set _ZN7rocprim17ROCPRIM_400000_NS6detail17trampoline_kernelINS0_14default_configENS1_35adjacent_difference_config_selectorILb0ElEEZNS1_24adjacent_difference_implIS3_Lb0ELb0EPlS7_ZN2at6native12_GLOBAL__N_124unique_dim_cuda_templateIN3c104HalfEEESt5tupleIJNS8_6TensorESF_SF_EERKSF_lbbbEUlllE1_EE10hipError_tPvRmT2_T3_mT4_P12ihipStream_tbEUlT_E_NS1_11comp_targetILNS1_3genE9ELNS1_11target_archE1100ELNS1_3gpuE3ELNS1_3repE0EEENS1_30default_config_static_selectorELNS0_4arch9wavefront6targetE0EEEvT1_.has_dyn_sized_stack, 0
	.set _ZN7rocprim17ROCPRIM_400000_NS6detail17trampoline_kernelINS0_14default_configENS1_35adjacent_difference_config_selectorILb0ElEEZNS1_24adjacent_difference_implIS3_Lb0ELb0EPlS7_ZN2at6native12_GLOBAL__N_124unique_dim_cuda_templateIN3c104HalfEEESt5tupleIJNS8_6TensorESF_SF_EERKSF_lbbbEUlllE1_EE10hipError_tPvRmT2_T3_mT4_P12ihipStream_tbEUlT_E_NS1_11comp_targetILNS1_3genE9ELNS1_11target_archE1100ELNS1_3gpuE3ELNS1_3repE0EEENS1_30default_config_static_selectorELNS0_4arch9wavefront6targetE0EEEvT1_.has_recursion, 0
	.set _ZN7rocprim17ROCPRIM_400000_NS6detail17trampoline_kernelINS0_14default_configENS1_35adjacent_difference_config_selectorILb0ElEEZNS1_24adjacent_difference_implIS3_Lb0ELb0EPlS7_ZN2at6native12_GLOBAL__N_124unique_dim_cuda_templateIN3c104HalfEEESt5tupleIJNS8_6TensorESF_SF_EERKSF_lbbbEUlllE1_EE10hipError_tPvRmT2_T3_mT4_P12ihipStream_tbEUlT_E_NS1_11comp_targetILNS1_3genE9ELNS1_11target_archE1100ELNS1_3gpuE3ELNS1_3repE0EEENS1_30default_config_static_selectorELNS0_4arch9wavefront6targetE0EEEvT1_.has_indirect_call, 0
	.section	.AMDGPU.csdata,"",@progbits
; Kernel info:
; codeLenInByte = 0
; TotalNumSgprs: 0
; NumVgprs: 0
; ScratchSize: 0
; MemoryBound: 0
; FloatMode: 240
; IeeeMode: 1
; LDSByteSize: 0 bytes/workgroup (compile time only)
; SGPRBlocks: 0
; VGPRBlocks: 0
; NumSGPRsForWavesPerEU: 1
; NumVGPRsForWavesPerEU: 1
; NamedBarCnt: 0
; Occupancy: 16
; WaveLimiterHint : 0
; COMPUTE_PGM_RSRC2:SCRATCH_EN: 0
; COMPUTE_PGM_RSRC2:USER_SGPR: 2
; COMPUTE_PGM_RSRC2:TRAP_HANDLER: 0
; COMPUTE_PGM_RSRC2:TGID_X_EN: 1
; COMPUTE_PGM_RSRC2:TGID_Y_EN: 0
; COMPUTE_PGM_RSRC2:TGID_Z_EN: 0
; COMPUTE_PGM_RSRC2:TIDIG_COMP_CNT: 0
	.section	.text._ZN7rocprim17ROCPRIM_400000_NS6detail17trampoline_kernelINS0_14default_configENS1_35adjacent_difference_config_selectorILb0ElEEZNS1_24adjacent_difference_implIS3_Lb0ELb0EPlS7_ZN2at6native12_GLOBAL__N_124unique_dim_cuda_templateIN3c104HalfEEESt5tupleIJNS8_6TensorESF_SF_EERKSF_lbbbEUlllE1_EE10hipError_tPvRmT2_T3_mT4_P12ihipStream_tbEUlT_E_NS1_11comp_targetILNS1_3genE8ELNS1_11target_archE1030ELNS1_3gpuE2ELNS1_3repE0EEENS1_30default_config_static_selectorELNS0_4arch9wavefront6targetE0EEEvT1_,"axG",@progbits,_ZN7rocprim17ROCPRIM_400000_NS6detail17trampoline_kernelINS0_14default_configENS1_35adjacent_difference_config_selectorILb0ElEEZNS1_24adjacent_difference_implIS3_Lb0ELb0EPlS7_ZN2at6native12_GLOBAL__N_124unique_dim_cuda_templateIN3c104HalfEEESt5tupleIJNS8_6TensorESF_SF_EERKSF_lbbbEUlllE1_EE10hipError_tPvRmT2_T3_mT4_P12ihipStream_tbEUlT_E_NS1_11comp_targetILNS1_3genE8ELNS1_11target_archE1030ELNS1_3gpuE2ELNS1_3repE0EEENS1_30default_config_static_selectorELNS0_4arch9wavefront6targetE0EEEvT1_,comdat
	.globl	_ZN7rocprim17ROCPRIM_400000_NS6detail17trampoline_kernelINS0_14default_configENS1_35adjacent_difference_config_selectorILb0ElEEZNS1_24adjacent_difference_implIS3_Lb0ELb0EPlS7_ZN2at6native12_GLOBAL__N_124unique_dim_cuda_templateIN3c104HalfEEESt5tupleIJNS8_6TensorESF_SF_EERKSF_lbbbEUlllE1_EE10hipError_tPvRmT2_T3_mT4_P12ihipStream_tbEUlT_E_NS1_11comp_targetILNS1_3genE8ELNS1_11target_archE1030ELNS1_3gpuE2ELNS1_3repE0EEENS1_30default_config_static_selectorELNS0_4arch9wavefront6targetE0EEEvT1_ ; -- Begin function _ZN7rocprim17ROCPRIM_400000_NS6detail17trampoline_kernelINS0_14default_configENS1_35adjacent_difference_config_selectorILb0ElEEZNS1_24adjacent_difference_implIS3_Lb0ELb0EPlS7_ZN2at6native12_GLOBAL__N_124unique_dim_cuda_templateIN3c104HalfEEESt5tupleIJNS8_6TensorESF_SF_EERKSF_lbbbEUlllE1_EE10hipError_tPvRmT2_T3_mT4_P12ihipStream_tbEUlT_E_NS1_11comp_targetILNS1_3genE8ELNS1_11target_archE1030ELNS1_3gpuE2ELNS1_3repE0EEENS1_30default_config_static_selectorELNS0_4arch9wavefront6targetE0EEEvT1_
	.p2align	8
	.type	_ZN7rocprim17ROCPRIM_400000_NS6detail17trampoline_kernelINS0_14default_configENS1_35adjacent_difference_config_selectorILb0ElEEZNS1_24adjacent_difference_implIS3_Lb0ELb0EPlS7_ZN2at6native12_GLOBAL__N_124unique_dim_cuda_templateIN3c104HalfEEESt5tupleIJNS8_6TensorESF_SF_EERKSF_lbbbEUlllE1_EE10hipError_tPvRmT2_T3_mT4_P12ihipStream_tbEUlT_E_NS1_11comp_targetILNS1_3genE8ELNS1_11target_archE1030ELNS1_3gpuE2ELNS1_3repE0EEENS1_30default_config_static_selectorELNS0_4arch9wavefront6targetE0EEEvT1_,@function
_ZN7rocprim17ROCPRIM_400000_NS6detail17trampoline_kernelINS0_14default_configENS1_35adjacent_difference_config_selectorILb0ElEEZNS1_24adjacent_difference_implIS3_Lb0ELb0EPlS7_ZN2at6native12_GLOBAL__N_124unique_dim_cuda_templateIN3c104HalfEEESt5tupleIJNS8_6TensorESF_SF_EERKSF_lbbbEUlllE1_EE10hipError_tPvRmT2_T3_mT4_P12ihipStream_tbEUlT_E_NS1_11comp_targetILNS1_3genE8ELNS1_11target_archE1030ELNS1_3gpuE2ELNS1_3repE0EEENS1_30default_config_static_selectorELNS0_4arch9wavefront6targetE0EEEvT1_: ; @_ZN7rocprim17ROCPRIM_400000_NS6detail17trampoline_kernelINS0_14default_configENS1_35adjacent_difference_config_selectorILb0ElEEZNS1_24adjacent_difference_implIS3_Lb0ELb0EPlS7_ZN2at6native12_GLOBAL__N_124unique_dim_cuda_templateIN3c104HalfEEESt5tupleIJNS8_6TensorESF_SF_EERKSF_lbbbEUlllE1_EE10hipError_tPvRmT2_T3_mT4_P12ihipStream_tbEUlT_E_NS1_11comp_targetILNS1_3genE8ELNS1_11target_archE1030ELNS1_3gpuE2ELNS1_3repE0EEENS1_30default_config_static_selectorELNS0_4arch9wavefront6targetE0EEEvT1_
; %bb.0:
	.section	.rodata,"a",@progbits
	.p2align	6, 0x0
	.amdhsa_kernel _ZN7rocprim17ROCPRIM_400000_NS6detail17trampoline_kernelINS0_14default_configENS1_35adjacent_difference_config_selectorILb0ElEEZNS1_24adjacent_difference_implIS3_Lb0ELb0EPlS7_ZN2at6native12_GLOBAL__N_124unique_dim_cuda_templateIN3c104HalfEEESt5tupleIJNS8_6TensorESF_SF_EERKSF_lbbbEUlllE1_EE10hipError_tPvRmT2_T3_mT4_P12ihipStream_tbEUlT_E_NS1_11comp_targetILNS1_3genE8ELNS1_11target_archE1030ELNS1_3gpuE2ELNS1_3repE0EEENS1_30default_config_static_selectorELNS0_4arch9wavefront6targetE0EEEvT1_
		.amdhsa_group_segment_fixed_size 0
		.amdhsa_private_segment_fixed_size 0
		.amdhsa_kernarg_size 64
		.amdhsa_user_sgpr_count 2
		.amdhsa_user_sgpr_dispatch_ptr 0
		.amdhsa_user_sgpr_queue_ptr 0
		.amdhsa_user_sgpr_kernarg_segment_ptr 1
		.amdhsa_user_sgpr_dispatch_id 0
		.amdhsa_user_sgpr_kernarg_preload_length 0
		.amdhsa_user_sgpr_kernarg_preload_offset 0
		.amdhsa_user_sgpr_private_segment_size 0
		.amdhsa_wavefront_size32 1
		.amdhsa_uses_dynamic_stack 0
		.amdhsa_enable_private_segment 0
		.amdhsa_system_sgpr_workgroup_id_x 1
		.amdhsa_system_sgpr_workgroup_id_y 0
		.amdhsa_system_sgpr_workgroup_id_z 0
		.amdhsa_system_sgpr_workgroup_info 0
		.amdhsa_system_vgpr_workitem_id 0
		.amdhsa_next_free_vgpr 1
		.amdhsa_next_free_sgpr 1
		.amdhsa_named_barrier_count 0
		.amdhsa_reserve_vcc 0
		.amdhsa_float_round_mode_32 0
		.amdhsa_float_round_mode_16_64 0
		.amdhsa_float_denorm_mode_32 3
		.amdhsa_float_denorm_mode_16_64 3
		.amdhsa_fp16_overflow 0
		.amdhsa_memory_ordered 1
		.amdhsa_forward_progress 1
		.amdhsa_inst_pref_size 0
		.amdhsa_round_robin_scheduling 0
		.amdhsa_exception_fp_ieee_invalid_op 0
		.amdhsa_exception_fp_denorm_src 0
		.amdhsa_exception_fp_ieee_div_zero 0
		.amdhsa_exception_fp_ieee_overflow 0
		.amdhsa_exception_fp_ieee_underflow 0
		.amdhsa_exception_fp_ieee_inexact 0
		.amdhsa_exception_int_div_zero 0
	.end_amdhsa_kernel
	.section	.text._ZN7rocprim17ROCPRIM_400000_NS6detail17trampoline_kernelINS0_14default_configENS1_35adjacent_difference_config_selectorILb0ElEEZNS1_24adjacent_difference_implIS3_Lb0ELb0EPlS7_ZN2at6native12_GLOBAL__N_124unique_dim_cuda_templateIN3c104HalfEEESt5tupleIJNS8_6TensorESF_SF_EERKSF_lbbbEUlllE1_EE10hipError_tPvRmT2_T3_mT4_P12ihipStream_tbEUlT_E_NS1_11comp_targetILNS1_3genE8ELNS1_11target_archE1030ELNS1_3gpuE2ELNS1_3repE0EEENS1_30default_config_static_selectorELNS0_4arch9wavefront6targetE0EEEvT1_,"axG",@progbits,_ZN7rocprim17ROCPRIM_400000_NS6detail17trampoline_kernelINS0_14default_configENS1_35adjacent_difference_config_selectorILb0ElEEZNS1_24adjacent_difference_implIS3_Lb0ELb0EPlS7_ZN2at6native12_GLOBAL__N_124unique_dim_cuda_templateIN3c104HalfEEESt5tupleIJNS8_6TensorESF_SF_EERKSF_lbbbEUlllE1_EE10hipError_tPvRmT2_T3_mT4_P12ihipStream_tbEUlT_E_NS1_11comp_targetILNS1_3genE8ELNS1_11target_archE1030ELNS1_3gpuE2ELNS1_3repE0EEENS1_30default_config_static_selectorELNS0_4arch9wavefront6targetE0EEEvT1_,comdat
.Lfunc_end1279:
	.size	_ZN7rocprim17ROCPRIM_400000_NS6detail17trampoline_kernelINS0_14default_configENS1_35adjacent_difference_config_selectorILb0ElEEZNS1_24adjacent_difference_implIS3_Lb0ELb0EPlS7_ZN2at6native12_GLOBAL__N_124unique_dim_cuda_templateIN3c104HalfEEESt5tupleIJNS8_6TensorESF_SF_EERKSF_lbbbEUlllE1_EE10hipError_tPvRmT2_T3_mT4_P12ihipStream_tbEUlT_E_NS1_11comp_targetILNS1_3genE8ELNS1_11target_archE1030ELNS1_3gpuE2ELNS1_3repE0EEENS1_30default_config_static_selectorELNS0_4arch9wavefront6targetE0EEEvT1_, .Lfunc_end1279-_ZN7rocprim17ROCPRIM_400000_NS6detail17trampoline_kernelINS0_14default_configENS1_35adjacent_difference_config_selectorILb0ElEEZNS1_24adjacent_difference_implIS3_Lb0ELb0EPlS7_ZN2at6native12_GLOBAL__N_124unique_dim_cuda_templateIN3c104HalfEEESt5tupleIJNS8_6TensorESF_SF_EERKSF_lbbbEUlllE1_EE10hipError_tPvRmT2_T3_mT4_P12ihipStream_tbEUlT_E_NS1_11comp_targetILNS1_3genE8ELNS1_11target_archE1030ELNS1_3gpuE2ELNS1_3repE0EEENS1_30default_config_static_selectorELNS0_4arch9wavefront6targetE0EEEvT1_
                                        ; -- End function
	.set _ZN7rocprim17ROCPRIM_400000_NS6detail17trampoline_kernelINS0_14default_configENS1_35adjacent_difference_config_selectorILb0ElEEZNS1_24adjacent_difference_implIS3_Lb0ELb0EPlS7_ZN2at6native12_GLOBAL__N_124unique_dim_cuda_templateIN3c104HalfEEESt5tupleIJNS8_6TensorESF_SF_EERKSF_lbbbEUlllE1_EE10hipError_tPvRmT2_T3_mT4_P12ihipStream_tbEUlT_E_NS1_11comp_targetILNS1_3genE8ELNS1_11target_archE1030ELNS1_3gpuE2ELNS1_3repE0EEENS1_30default_config_static_selectorELNS0_4arch9wavefront6targetE0EEEvT1_.num_vgpr, 0
	.set _ZN7rocprim17ROCPRIM_400000_NS6detail17trampoline_kernelINS0_14default_configENS1_35adjacent_difference_config_selectorILb0ElEEZNS1_24adjacent_difference_implIS3_Lb0ELb0EPlS7_ZN2at6native12_GLOBAL__N_124unique_dim_cuda_templateIN3c104HalfEEESt5tupleIJNS8_6TensorESF_SF_EERKSF_lbbbEUlllE1_EE10hipError_tPvRmT2_T3_mT4_P12ihipStream_tbEUlT_E_NS1_11comp_targetILNS1_3genE8ELNS1_11target_archE1030ELNS1_3gpuE2ELNS1_3repE0EEENS1_30default_config_static_selectorELNS0_4arch9wavefront6targetE0EEEvT1_.num_agpr, 0
	.set _ZN7rocprim17ROCPRIM_400000_NS6detail17trampoline_kernelINS0_14default_configENS1_35adjacent_difference_config_selectorILb0ElEEZNS1_24adjacent_difference_implIS3_Lb0ELb0EPlS7_ZN2at6native12_GLOBAL__N_124unique_dim_cuda_templateIN3c104HalfEEESt5tupleIJNS8_6TensorESF_SF_EERKSF_lbbbEUlllE1_EE10hipError_tPvRmT2_T3_mT4_P12ihipStream_tbEUlT_E_NS1_11comp_targetILNS1_3genE8ELNS1_11target_archE1030ELNS1_3gpuE2ELNS1_3repE0EEENS1_30default_config_static_selectorELNS0_4arch9wavefront6targetE0EEEvT1_.numbered_sgpr, 0
	.set _ZN7rocprim17ROCPRIM_400000_NS6detail17trampoline_kernelINS0_14default_configENS1_35adjacent_difference_config_selectorILb0ElEEZNS1_24adjacent_difference_implIS3_Lb0ELb0EPlS7_ZN2at6native12_GLOBAL__N_124unique_dim_cuda_templateIN3c104HalfEEESt5tupleIJNS8_6TensorESF_SF_EERKSF_lbbbEUlllE1_EE10hipError_tPvRmT2_T3_mT4_P12ihipStream_tbEUlT_E_NS1_11comp_targetILNS1_3genE8ELNS1_11target_archE1030ELNS1_3gpuE2ELNS1_3repE0EEENS1_30default_config_static_selectorELNS0_4arch9wavefront6targetE0EEEvT1_.num_named_barrier, 0
	.set _ZN7rocprim17ROCPRIM_400000_NS6detail17trampoline_kernelINS0_14default_configENS1_35adjacent_difference_config_selectorILb0ElEEZNS1_24adjacent_difference_implIS3_Lb0ELb0EPlS7_ZN2at6native12_GLOBAL__N_124unique_dim_cuda_templateIN3c104HalfEEESt5tupleIJNS8_6TensorESF_SF_EERKSF_lbbbEUlllE1_EE10hipError_tPvRmT2_T3_mT4_P12ihipStream_tbEUlT_E_NS1_11comp_targetILNS1_3genE8ELNS1_11target_archE1030ELNS1_3gpuE2ELNS1_3repE0EEENS1_30default_config_static_selectorELNS0_4arch9wavefront6targetE0EEEvT1_.private_seg_size, 0
	.set _ZN7rocprim17ROCPRIM_400000_NS6detail17trampoline_kernelINS0_14default_configENS1_35adjacent_difference_config_selectorILb0ElEEZNS1_24adjacent_difference_implIS3_Lb0ELb0EPlS7_ZN2at6native12_GLOBAL__N_124unique_dim_cuda_templateIN3c104HalfEEESt5tupleIJNS8_6TensorESF_SF_EERKSF_lbbbEUlllE1_EE10hipError_tPvRmT2_T3_mT4_P12ihipStream_tbEUlT_E_NS1_11comp_targetILNS1_3genE8ELNS1_11target_archE1030ELNS1_3gpuE2ELNS1_3repE0EEENS1_30default_config_static_selectorELNS0_4arch9wavefront6targetE0EEEvT1_.uses_vcc, 0
	.set _ZN7rocprim17ROCPRIM_400000_NS6detail17trampoline_kernelINS0_14default_configENS1_35adjacent_difference_config_selectorILb0ElEEZNS1_24adjacent_difference_implIS3_Lb0ELb0EPlS7_ZN2at6native12_GLOBAL__N_124unique_dim_cuda_templateIN3c104HalfEEESt5tupleIJNS8_6TensorESF_SF_EERKSF_lbbbEUlllE1_EE10hipError_tPvRmT2_T3_mT4_P12ihipStream_tbEUlT_E_NS1_11comp_targetILNS1_3genE8ELNS1_11target_archE1030ELNS1_3gpuE2ELNS1_3repE0EEENS1_30default_config_static_selectorELNS0_4arch9wavefront6targetE0EEEvT1_.uses_flat_scratch, 0
	.set _ZN7rocprim17ROCPRIM_400000_NS6detail17trampoline_kernelINS0_14default_configENS1_35adjacent_difference_config_selectorILb0ElEEZNS1_24adjacent_difference_implIS3_Lb0ELb0EPlS7_ZN2at6native12_GLOBAL__N_124unique_dim_cuda_templateIN3c104HalfEEESt5tupleIJNS8_6TensorESF_SF_EERKSF_lbbbEUlllE1_EE10hipError_tPvRmT2_T3_mT4_P12ihipStream_tbEUlT_E_NS1_11comp_targetILNS1_3genE8ELNS1_11target_archE1030ELNS1_3gpuE2ELNS1_3repE0EEENS1_30default_config_static_selectorELNS0_4arch9wavefront6targetE0EEEvT1_.has_dyn_sized_stack, 0
	.set _ZN7rocprim17ROCPRIM_400000_NS6detail17trampoline_kernelINS0_14default_configENS1_35adjacent_difference_config_selectorILb0ElEEZNS1_24adjacent_difference_implIS3_Lb0ELb0EPlS7_ZN2at6native12_GLOBAL__N_124unique_dim_cuda_templateIN3c104HalfEEESt5tupleIJNS8_6TensorESF_SF_EERKSF_lbbbEUlllE1_EE10hipError_tPvRmT2_T3_mT4_P12ihipStream_tbEUlT_E_NS1_11comp_targetILNS1_3genE8ELNS1_11target_archE1030ELNS1_3gpuE2ELNS1_3repE0EEENS1_30default_config_static_selectorELNS0_4arch9wavefront6targetE0EEEvT1_.has_recursion, 0
	.set _ZN7rocprim17ROCPRIM_400000_NS6detail17trampoline_kernelINS0_14default_configENS1_35adjacent_difference_config_selectorILb0ElEEZNS1_24adjacent_difference_implIS3_Lb0ELb0EPlS7_ZN2at6native12_GLOBAL__N_124unique_dim_cuda_templateIN3c104HalfEEESt5tupleIJNS8_6TensorESF_SF_EERKSF_lbbbEUlllE1_EE10hipError_tPvRmT2_T3_mT4_P12ihipStream_tbEUlT_E_NS1_11comp_targetILNS1_3genE8ELNS1_11target_archE1030ELNS1_3gpuE2ELNS1_3repE0EEENS1_30default_config_static_selectorELNS0_4arch9wavefront6targetE0EEEvT1_.has_indirect_call, 0
	.section	.AMDGPU.csdata,"",@progbits
; Kernel info:
; codeLenInByte = 0
; TotalNumSgprs: 0
; NumVgprs: 0
; ScratchSize: 0
; MemoryBound: 0
; FloatMode: 240
; IeeeMode: 1
; LDSByteSize: 0 bytes/workgroup (compile time only)
; SGPRBlocks: 0
; VGPRBlocks: 0
; NumSGPRsForWavesPerEU: 1
; NumVGPRsForWavesPerEU: 1
; NamedBarCnt: 0
; Occupancy: 16
; WaveLimiterHint : 0
; COMPUTE_PGM_RSRC2:SCRATCH_EN: 0
; COMPUTE_PGM_RSRC2:USER_SGPR: 2
; COMPUTE_PGM_RSRC2:TRAP_HANDLER: 0
; COMPUTE_PGM_RSRC2:TGID_X_EN: 1
; COMPUTE_PGM_RSRC2:TGID_Y_EN: 0
; COMPUTE_PGM_RSRC2:TGID_Z_EN: 0
; COMPUTE_PGM_RSRC2:TIDIG_COMP_CNT: 0
	.section	.text._ZN7rocprim17ROCPRIM_400000_NS6detail17trampoline_kernelINS0_14default_configENS1_25transform_config_selectorIlLb0EEEZNS1_14transform_implILb0ES3_S5_NS0_18transform_iteratorINS0_17counting_iteratorImlEEZNS1_24adjacent_difference_implIS3_Lb1ELb0EPlSB_ZN2at6native12_GLOBAL__N_124unique_dim_cuda_templateIN3c104HalfEEESt5tupleIJNSC_6TensorESJ_SJ_EERKSJ_lbbbEUlllE1_EE10hipError_tPvRmT2_T3_mT4_P12ihipStream_tbEUlmE_lEESB_NS0_8identityIvEEEESO_SR_SS_mST_SV_bEUlT_E_NS1_11comp_targetILNS1_3genE0ELNS1_11target_archE4294967295ELNS1_3gpuE0ELNS1_3repE0EEENS1_30default_config_static_selectorELNS0_4arch9wavefront6targetE0EEEvT1_,"axG",@progbits,_ZN7rocprim17ROCPRIM_400000_NS6detail17trampoline_kernelINS0_14default_configENS1_25transform_config_selectorIlLb0EEEZNS1_14transform_implILb0ES3_S5_NS0_18transform_iteratorINS0_17counting_iteratorImlEEZNS1_24adjacent_difference_implIS3_Lb1ELb0EPlSB_ZN2at6native12_GLOBAL__N_124unique_dim_cuda_templateIN3c104HalfEEESt5tupleIJNSC_6TensorESJ_SJ_EERKSJ_lbbbEUlllE1_EE10hipError_tPvRmT2_T3_mT4_P12ihipStream_tbEUlmE_lEESB_NS0_8identityIvEEEESO_SR_SS_mST_SV_bEUlT_E_NS1_11comp_targetILNS1_3genE0ELNS1_11target_archE4294967295ELNS1_3gpuE0ELNS1_3repE0EEENS1_30default_config_static_selectorELNS0_4arch9wavefront6targetE0EEEvT1_,comdat
	.globl	_ZN7rocprim17ROCPRIM_400000_NS6detail17trampoline_kernelINS0_14default_configENS1_25transform_config_selectorIlLb0EEEZNS1_14transform_implILb0ES3_S5_NS0_18transform_iteratorINS0_17counting_iteratorImlEEZNS1_24adjacent_difference_implIS3_Lb1ELb0EPlSB_ZN2at6native12_GLOBAL__N_124unique_dim_cuda_templateIN3c104HalfEEESt5tupleIJNSC_6TensorESJ_SJ_EERKSJ_lbbbEUlllE1_EE10hipError_tPvRmT2_T3_mT4_P12ihipStream_tbEUlmE_lEESB_NS0_8identityIvEEEESO_SR_SS_mST_SV_bEUlT_E_NS1_11comp_targetILNS1_3genE0ELNS1_11target_archE4294967295ELNS1_3gpuE0ELNS1_3repE0EEENS1_30default_config_static_selectorELNS0_4arch9wavefront6targetE0EEEvT1_ ; -- Begin function _ZN7rocprim17ROCPRIM_400000_NS6detail17trampoline_kernelINS0_14default_configENS1_25transform_config_selectorIlLb0EEEZNS1_14transform_implILb0ES3_S5_NS0_18transform_iteratorINS0_17counting_iteratorImlEEZNS1_24adjacent_difference_implIS3_Lb1ELb0EPlSB_ZN2at6native12_GLOBAL__N_124unique_dim_cuda_templateIN3c104HalfEEESt5tupleIJNSC_6TensorESJ_SJ_EERKSJ_lbbbEUlllE1_EE10hipError_tPvRmT2_T3_mT4_P12ihipStream_tbEUlmE_lEESB_NS0_8identityIvEEEESO_SR_SS_mST_SV_bEUlT_E_NS1_11comp_targetILNS1_3genE0ELNS1_11target_archE4294967295ELNS1_3gpuE0ELNS1_3repE0EEENS1_30default_config_static_selectorELNS0_4arch9wavefront6targetE0EEEvT1_
	.p2align	8
	.type	_ZN7rocprim17ROCPRIM_400000_NS6detail17trampoline_kernelINS0_14default_configENS1_25transform_config_selectorIlLb0EEEZNS1_14transform_implILb0ES3_S5_NS0_18transform_iteratorINS0_17counting_iteratorImlEEZNS1_24adjacent_difference_implIS3_Lb1ELb0EPlSB_ZN2at6native12_GLOBAL__N_124unique_dim_cuda_templateIN3c104HalfEEESt5tupleIJNSC_6TensorESJ_SJ_EERKSJ_lbbbEUlllE1_EE10hipError_tPvRmT2_T3_mT4_P12ihipStream_tbEUlmE_lEESB_NS0_8identityIvEEEESO_SR_SS_mST_SV_bEUlT_E_NS1_11comp_targetILNS1_3genE0ELNS1_11target_archE4294967295ELNS1_3gpuE0ELNS1_3repE0EEENS1_30default_config_static_selectorELNS0_4arch9wavefront6targetE0EEEvT1_,@function
_ZN7rocprim17ROCPRIM_400000_NS6detail17trampoline_kernelINS0_14default_configENS1_25transform_config_selectorIlLb0EEEZNS1_14transform_implILb0ES3_S5_NS0_18transform_iteratorINS0_17counting_iteratorImlEEZNS1_24adjacent_difference_implIS3_Lb1ELb0EPlSB_ZN2at6native12_GLOBAL__N_124unique_dim_cuda_templateIN3c104HalfEEESt5tupleIJNSC_6TensorESJ_SJ_EERKSJ_lbbbEUlllE1_EE10hipError_tPvRmT2_T3_mT4_P12ihipStream_tbEUlmE_lEESB_NS0_8identityIvEEEESO_SR_SS_mST_SV_bEUlT_E_NS1_11comp_targetILNS1_3genE0ELNS1_11target_archE4294967295ELNS1_3gpuE0ELNS1_3repE0EEENS1_30default_config_static_selectorELNS0_4arch9wavefront6targetE0EEEvT1_: ; @_ZN7rocprim17ROCPRIM_400000_NS6detail17trampoline_kernelINS0_14default_configENS1_25transform_config_selectorIlLb0EEEZNS1_14transform_implILb0ES3_S5_NS0_18transform_iteratorINS0_17counting_iteratorImlEEZNS1_24adjacent_difference_implIS3_Lb1ELb0EPlSB_ZN2at6native12_GLOBAL__N_124unique_dim_cuda_templateIN3c104HalfEEESt5tupleIJNSC_6TensorESJ_SJ_EERKSJ_lbbbEUlllE1_EE10hipError_tPvRmT2_T3_mT4_P12ihipStream_tbEUlmE_lEESB_NS0_8identityIvEEEESO_SR_SS_mST_SV_bEUlT_E_NS1_11comp_targetILNS1_3genE0ELNS1_11target_archE4294967295ELNS1_3gpuE0ELNS1_3repE0EEENS1_30default_config_static_selectorELNS0_4arch9wavefront6targetE0EEEvT1_
; %bb.0:
	s_clause 0x1
	s_load_b32 s2, s[0:1], 0x38
	s_load_b32 s3, s[0:1], 0x20
	s_bfe_u32 s4, ttmp6, 0x4000c
	s_and_b32 s5, ttmp6, 15
	s_add_co_i32 s4, s4, 1
	s_getreg_b32 s6, hwreg(HW_REG_IB_STS2, 6, 4)
	s_mul_i32 s4, ttmp9, s4
	s_delay_alu instid0(SALU_CYCLE_1)
	s_add_co_i32 s5, s5, s4
	s_cmp_eq_u32 s6, 0
	s_cselect_b32 s4, ttmp9, s5
	s_wait_kmcnt 0x0
	s_add_co_i32 s5, s2, -1
	s_lshl_b32 s2, s4, 7
	s_cmp_lg_u32 s4, s5
	s_cselect_b32 s4, -1, 0
	s_sub_co_i32 s3, s3, s2
	s_delay_alu instid0(SALU_CYCLE_1) | instskip(SKIP_2) | instid1(SALU_CYCLE_1)
	v_cmp_gt_u32_e32 vcc_lo, s3, v0
	s_mov_b32 s3, 0
	s_or_b32 s4, s4, vcc_lo
	s_and_saveexec_b32 s5, s4
	s_cbranch_execz .LBB1280_2
; %bb.1:
	s_clause 0x3
	s_load_b64 s[8:9], s[0:1], 0x18
	s_load_b128 s[4:7], s[0:1], 0x0
	s_load_b32 s10, s[0:1], 0x10
	s_load_b64 s[12:13], s[0:1], 0x28
	v_mov_b32_e32 v1, 0
	s_mov_b32 s11, s3
	s_wait_kmcnt 0x0
	s_add_nc_u64 s[0:1], s[4:5], s[8:9]
	s_delay_alu instid0(SALU_CYCLE_1) | instskip(SKIP_3) | instid1(SALU_CYCLE_1)
	s_add_nc_u64 s[0:1], s[0:1], s[2:3]
	s_lshl_b64 s[2:3], s[2:3], 3
	v_add_nc_u64_e32 v[2:3], s[0:1], v[0:1]
	s_lshl_b64 s[0:1], s[8:9], 3
	s_add_nc_u64 s[0:1], s[12:13], s[0:1]
	s_delay_alu instid0(SALU_CYCLE_1) | instskip(NEXT) | instid1(VALU_DEP_1)
	s_add_nc_u64 s[0:1], s[0:1], s[2:3]
	v_mul_u64_e32 v[2:3], s[10:11], v[2:3]
	s_delay_alu instid0(VALU_DEP_1)
	v_lshl_add_u64 v[2:3], v[2:3], 3, s[6:7]
	global_load_b64 v[2:3], v[2:3], off
	s_wait_loadcnt 0x0
	global_store_b64 v0, v[2:3], s[0:1] scale_offset
.LBB1280_2:
	s_endpgm
	.section	.rodata,"a",@progbits
	.p2align	6, 0x0
	.amdhsa_kernel _ZN7rocprim17ROCPRIM_400000_NS6detail17trampoline_kernelINS0_14default_configENS1_25transform_config_selectorIlLb0EEEZNS1_14transform_implILb0ES3_S5_NS0_18transform_iteratorINS0_17counting_iteratorImlEEZNS1_24adjacent_difference_implIS3_Lb1ELb0EPlSB_ZN2at6native12_GLOBAL__N_124unique_dim_cuda_templateIN3c104HalfEEESt5tupleIJNSC_6TensorESJ_SJ_EERKSJ_lbbbEUlllE1_EE10hipError_tPvRmT2_T3_mT4_P12ihipStream_tbEUlmE_lEESB_NS0_8identityIvEEEESO_SR_SS_mST_SV_bEUlT_E_NS1_11comp_targetILNS1_3genE0ELNS1_11target_archE4294967295ELNS1_3gpuE0ELNS1_3repE0EEENS1_30default_config_static_selectorELNS0_4arch9wavefront6targetE0EEEvT1_
		.amdhsa_group_segment_fixed_size 0
		.amdhsa_private_segment_fixed_size 0
		.amdhsa_kernarg_size 312
		.amdhsa_user_sgpr_count 2
		.amdhsa_user_sgpr_dispatch_ptr 0
		.amdhsa_user_sgpr_queue_ptr 0
		.amdhsa_user_sgpr_kernarg_segment_ptr 1
		.amdhsa_user_sgpr_dispatch_id 0
		.amdhsa_user_sgpr_kernarg_preload_length 0
		.amdhsa_user_sgpr_kernarg_preload_offset 0
		.amdhsa_user_sgpr_private_segment_size 0
		.amdhsa_wavefront_size32 1
		.amdhsa_uses_dynamic_stack 0
		.amdhsa_enable_private_segment 0
		.amdhsa_system_sgpr_workgroup_id_x 1
		.amdhsa_system_sgpr_workgroup_id_y 0
		.amdhsa_system_sgpr_workgroup_id_z 0
		.amdhsa_system_sgpr_workgroup_info 0
		.amdhsa_system_vgpr_workitem_id 0
		.amdhsa_next_free_vgpr 4
		.amdhsa_next_free_sgpr 14
		.amdhsa_named_barrier_count 0
		.amdhsa_reserve_vcc 1
		.amdhsa_float_round_mode_32 0
		.amdhsa_float_round_mode_16_64 0
		.amdhsa_float_denorm_mode_32 3
		.amdhsa_float_denorm_mode_16_64 3
		.amdhsa_fp16_overflow 0
		.amdhsa_memory_ordered 1
		.amdhsa_forward_progress 1
		.amdhsa_inst_pref_size 2
		.amdhsa_round_robin_scheduling 0
		.amdhsa_exception_fp_ieee_invalid_op 0
		.amdhsa_exception_fp_denorm_src 0
		.amdhsa_exception_fp_ieee_div_zero 0
		.amdhsa_exception_fp_ieee_overflow 0
		.amdhsa_exception_fp_ieee_underflow 0
		.amdhsa_exception_fp_ieee_inexact 0
		.amdhsa_exception_int_div_zero 0
	.end_amdhsa_kernel
	.section	.text._ZN7rocprim17ROCPRIM_400000_NS6detail17trampoline_kernelINS0_14default_configENS1_25transform_config_selectorIlLb0EEEZNS1_14transform_implILb0ES3_S5_NS0_18transform_iteratorINS0_17counting_iteratorImlEEZNS1_24adjacent_difference_implIS3_Lb1ELb0EPlSB_ZN2at6native12_GLOBAL__N_124unique_dim_cuda_templateIN3c104HalfEEESt5tupleIJNSC_6TensorESJ_SJ_EERKSJ_lbbbEUlllE1_EE10hipError_tPvRmT2_T3_mT4_P12ihipStream_tbEUlmE_lEESB_NS0_8identityIvEEEESO_SR_SS_mST_SV_bEUlT_E_NS1_11comp_targetILNS1_3genE0ELNS1_11target_archE4294967295ELNS1_3gpuE0ELNS1_3repE0EEENS1_30default_config_static_selectorELNS0_4arch9wavefront6targetE0EEEvT1_,"axG",@progbits,_ZN7rocprim17ROCPRIM_400000_NS6detail17trampoline_kernelINS0_14default_configENS1_25transform_config_selectorIlLb0EEEZNS1_14transform_implILb0ES3_S5_NS0_18transform_iteratorINS0_17counting_iteratorImlEEZNS1_24adjacent_difference_implIS3_Lb1ELb0EPlSB_ZN2at6native12_GLOBAL__N_124unique_dim_cuda_templateIN3c104HalfEEESt5tupleIJNSC_6TensorESJ_SJ_EERKSJ_lbbbEUlllE1_EE10hipError_tPvRmT2_T3_mT4_P12ihipStream_tbEUlmE_lEESB_NS0_8identityIvEEEESO_SR_SS_mST_SV_bEUlT_E_NS1_11comp_targetILNS1_3genE0ELNS1_11target_archE4294967295ELNS1_3gpuE0ELNS1_3repE0EEENS1_30default_config_static_selectorELNS0_4arch9wavefront6targetE0EEEvT1_,comdat
.Lfunc_end1280:
	.size	_ZN7rocprim17ROCPRIM_400000_NS6detail17trampoline_kernelINS0_14default_configENS1_25transform_config_selectorIlLb0EEEZNS1_14transform_implILb0ES3_S5_NS0_18transform_iteratorINS0_17counting_iteratorImlEEZNS1_24adjacent_difference_implIS3_Lb1ELb0EPlSB_ZN2at6native12_GLOBAL__N_124unique_dim_cuda_templateIN3c104HalfEEESt5tupleIJNSC_6TensorESJ_SJ_EERKSJ_lbbbEUlllE1_EE10hipError_tPvRmT2_T3_mT4_P12ihipStream_tbEUlmE_lEESB_NS0_8identityIvEEEESO_SR_SS_mST_SV_bEUlT_E_NS1_11comp_targetILNS1_3genE0ELNS1_11target_archE4294967295ELNS1_3gpuE0ELNS1_3repE0EEENS1_30default_config_static_selectorELNS0_4arch9wavefront6targetE0EEEvT1_, .Lfunc_end1280-_ZN7rocprim17ROCPRIM_400000_NS6detail17trampoline_kernelINS0_14default_configENS1_25transform_config_selectorIlLb0EEEZNS1_14transform_implILb0ES3_S5_NS0_18transform_iteratorINS0_17counting_iteratorImlEEZNS1_24adjacent_difference_implIS3_Lb1ELb0EPlSB_ZN2at6native12_GLOBAL__N_124unique_dim_cuda_templateIN3c104HalfEEESt5tupleIJNSC_6TensorESJ_SJ_EERKSJ_lbbbEUlllE1_EE10hipError_tPvRmT2_T3_mT4_P12ihipStream_tbEUlmE_lEESB_NS0_8identityIvEEEESO_SR_SS_mST_SV_bEUlT_E_NS1_11comp_targetILNS1_3genE0ELNS1_11target_archE4294967295ELNS1_3gpuE0ELNS1_3repE0EEENS1_30default_config_static_selectorELNS0_4arch9wavefront6targetE0EEEvT1_
                                        ; -- End function
	.set _ZN7rocprim17ROCPRIM_400000_NS6detail17trampoline_kernelINS0_14default_configENS1_25transform_config_selectorIlLb0EEEZNS1_14transform_implILb0ES3_S5_NS0_18transform_iteratorINS0_17counting_iteratorImlEEZNS1_24adjacent_difference_implIS3_Lb1ELb0EPlSB_ZN2at6native12_GLOBAL__N_124unique_dim_cuda_templateIN3c104HalfEEESt5tupleIJNSC_6TensorESJ_SJ_EERKSJ_lbbbEUlllE1_EE10hipError_tPvRmT2_T3_mT4_P12ihipStream_tbEUlmE_lEESB_NS0_8identityIvEEEESO_SR_SS_mST_SV_bEUlT_E_NS1_11comp_targetILNS1_3genE0ELNS1_11target_archE4294967295ELNS1_3gpuE0ELNS1_3repE0EEENS1_30default_config_static_selectorELNS0_4arch9wavefront6targetE0EEEvT1_.num_vgpr, 4
	.set _ZN7rocprim17ROCPRIM_400000_NS6detail17trampoline_kernelINS0_14default_configENS1_25transform_config_selectorIlLb0EEEZNS1_14transform_implILb0ES3_S5_NS0_18transform_iteratorINS0_17counting_iteratorImlEEZNS1_24adjacent_difference_implIS3_Lb1ELb0EPlSB_ZN2at6native12_GLOBAL__N_124unique_dim_cuda_templateIN3c104HalfEEESt5tupleIJNSC_6TensorESJ_SJ_EERKSJ_lbbbEUlllE1_EE10hipError_tPvRmT2_T3_mT4_P12ihipStream_tbEUlmE_lEESB_NS0_8identityIvEEEESO_SR_SS_mST_SV_bEUlT_E_NS1_11comp_targetILNS1_3genE0ELNS1_11target_archE4294967295ELNS1_3gpuE0ELNS1_3repE0EEENS1_30default_config_static_selectorELNS0_4arch9wavefront6targetE0EEEvT1_.num_agpr, 0
	.set _ZN7rocprim17ROCPRIM_400000_NS6detail17trampoline_kernelINS0_14default_configENS1_25transform_config_selectorIlLb0EEEZNS1_14transform_implILb0ES3_S5_NS0_18transform_iteratorINS0_17counting_iteratorImlEEZNS1_24adjacent_difference_implIS3_Lb1ELb0EPlSB_ZN2at6native12_GLOBAL__N_124unique_dim_cuda_templateIN3c104HalfEEESt5tupleIJNSC_6TensorESJ_SJ_EERKSJ_lbbbEUlllE1_EE10hipError_tPvRmT2_T3_mT4_P12ihipStream_tbEUlmE_lEESB_NS0_8identityIvEEEESO_SR_SS_mST_SV_bEUlT_E_NS1_11comp_targetILNS1_3genE0ELNS1_11target_archE4294967295ELNS1_3gpuE0ELNS1_3repE0EEENS1_30default_config_static_selectorELNS0_4arch9wavefront6targetE0EEEvT1_.numbered_sgpr, 14
	.set _ZN7rocprim17ROCPRIM_400000_NS6detail17trampoline_kernelINS0_14default_configENS1_25transform_config_selectorIlLb0EEEZNS1_14transform_implILb0ES3_S5_NS0_18transform_iteratorINS0_17counting_iteratorImlEEZNS1_24adjacent_difference_implIS3_Lb1ELb0EPlSB_ZN2at6native12_GLOBAL__N_124unique_dim_cuda_templateIN3c104HalfEEESt5tupleIJNSC_6TensorESJ_SJ_EERKSJ_lbbbEUlllE1_EE10hipError_tPvRmT2_T3_mT4_P12ihipStream_tbEUlmE_lEESB_NS0_8identityIvEEEESO_SR_SS_mST_SV_bEUlT_E_NS1_11comp_targetILNS1_3genE0ELNS1_11target_archE4294967295ELNS1_3gpuE0ELNS1_3repE0EEENS1_30default_config_static_selectorELNS0_4arch9wavefront6targetE0EEEvT1_.num_named_barrier, 0
	.set _ZN7rocprim17ROCPRIM_400000_NS6detail17trampoline_kernelINS0_14default_configENS1_25transform_config_selectorIlLb0EEEZNS1_14transform_implILb0ES3_S5_NS0_18transform_iteratorINS0_17counting_iteratorImlEEZNS1_24adjacent_difference_implIS3_Lb1ELb0EPlSB_ZN2at6native12_GLOBAL__N_124unique_dim_cuda_templateIN3c104HalfEEESt5tupleIJNSC_6TensorESJ_SJ_EERKSJ_lbbbEUlllE1_EE10hipError_tPvRmT2_T3_mT4_P12ihipStream_tbEUlmE_lEESB_NS0_8identityIvEEEESO_SR_SS_mST_SV_bEUlT_E_NS1_11comp_targetILNS1_3genE0ELNS1_11target_archE4294967295ELNS1_3gpuE0ELNS1_3repE0EEENS1_30default_config_static_selectorELNS0_4arch9wavefront6targetE0EEEvT1_.private_seg_size, 0
	.set _ZN7rocprim17ROCPRIM_400000_NS6detail17trampoline_kernelINS0_14default_configENS1_25transform_config_selectorIlLb0EEEZNS1_14transform_implILb0ES3_S5_NS0_18transform_iteratorINS0_17counting_iteratorImlEEZNS1_24adjacent_difference_implIS3_Lb1ELb0EPlSB_ZN2at6native12_GLOBAL__N_124unique_dim_cuda_templateIN3c104HalfEEESt5tupleIJNSC_6TensorESJ_SJ_EERKSJ_lbbbEUlllE1_EE10hipError_tPvRmT2_T3_mT4_P12ihipStream_tbEUlmE_lEESB_NS0_8identityIvEEEESO_SR_SS_mST_SV_bEUlT_E_NS1_11comp_targetILNS1_3genE0ELNS1_11target_archE4294967295ELNS1_3gpuE0ELNS1_3repE0EEENS1_30default_config_static_selectorELNS0_4arch9wavefront6targetE0EEEvT1_.uses_vcc, 1
	.set _ZN7rocprim17ROCPRIM_400000_NS6detail17trampoline_kernelINS0_14default_configENS1_25transform_config_selectorIlLb0EEEZNS1_14transform_implILb0ES3_S5_NS0_18transform_iteratorINS0_17counting_iteratorImlEEZNS1_24adjacent_difference_implIS3_Lb1ELb0EPlSB_ZN2at6native12_GLOBAL__N_124unique_dim_cuda_templateIN3c104HalfEEESt5tupleIJNSC_6TensorESJ_SJ_EERKSJ_lbbbEUlllE1_EE10hipError_tPvRmT2_T3_mT4_P12ihipStream_tbEUlmE_lEESB_NS0_8identityIvEEEESO_SR_SS_mST_SV_bEUlT_E_NS1_11comp_targetILNS1_3genE0ELNS1_11target_archE4294967295ELNS1_3gpuE0ELNS1_3repE0EEENS1_30default_config_static_selectorELNS0_4arch9wavefront6targetE0EEEvT1_.uses_flat_scratch, 0
	.set _ZN7rocprim17ROCPRIM_400000_NS6detail17trampoline_kernelINS0_14default_configENS1_25transform_config_selectorIlLb0EEEZNS1_14transform_implILb0ES3_S5_NS0_18transform_iteratorINS0_17counting_iteratorImlEEZNS1_24adjacent_difference_implIS3_Lb1ELb0EPlSB_ZN2at6native12_GLOBAL__N_124unique_dim_cuda_templateIN3c104HalfEEESt5tupleIJNSC_6TensorESJ_SJ_EERKSJ_lbbbEUlllE1_EE10hipError_tPvRmT2_T3_mT4_P12ihipStream_tbEUlmE_lEESB_NS0_8identityIvEEEESO_SR_SS_mST_SV_bEUlT_E_NS1_11comp_targetILNS1_3genE0ELNS1_11target_archE4294967295ELNS1_3gpuE0ELNS1_3repE0EEENS1_30default_config_static_selectorELNS0_4arch9wavefront6targetE0EEEvT1_.has_dyn_sized_stack, 0
	.set _ZN7rocprim17ROCPRIM_400000_NS6detail17trampoline_kernelINS0_14default_configENS1_25transform_config_selectorIlLb0EEEZNS1_14transform_implILb0ES3_S5_NS0_18transform_iteratorINS0_17counting_iteratorImlEEZNS1_24adjacent_difference_implIS3_Lb1ELb0EPlSB_ZN2at6native12_GLOBAL__N_124unique_dim_cuda_templateIN3c104HalfEEESt5tupleIJNSC_6TensorESJ_SJ_EERKSJ_lbbbEUlllE1_EE10hipError_tPvRmT2_T3_mT4_P12ihipStream_tbEUlmE_lEESB_NS0_8identityIvEEEESO_SR_SS_mST_SV_bEUlT_E_NS1_11comp_targetILNS1_3genE0ELNS1_11target_archE4294967295ELNS1_3gpuE0ELNS1_3repE0EEENS1_30default_config_static_selectorELNS0_4arch9wavefront6targetE0EEEvT1_.has_recursion, 0
	.set _ZN7rocprim17ROCPRIM_400000_NS6detail17trampoline_kernelINS0_14default_configENS1_25transform_config_selectorIlLb0EEEZNS1_14transform_implILb0ES3_S5_NS0_18transform_iteratorINS0_17counting_iteratorImlEEZNS1_24adjacent_difference_implIS3_Lb1ELb0EPlSB_ZN2at6native12_GLOBAL__N_124unique_dim_cuda_templateIN3c104HalfEEESt5tupleIJNSC_6TensorESJ_SJ_EERKSJ_lbbbEUlllE1_EE10hipError_tPvRmT2_T3_mT4_P12ihipStream_tbEUlmE_lEESB_NS0_8identityIvEEEESO_SR_SS_mST_SV_bEUlT_E_NS1_11comp_targetILNS1_3genE0ELNS1_11target_archE4294967295ELNS1_3gpuE0ELNS1_3repE0EEENS1_30default_config_static_selectorELNS0_4arch9wavefront6targetE0EEEvT1_.has_indirect_call, 0
	.section	.AMDGPU.csdata,"",@progbits
; Kernel info:
; codeLenInByte = 240
; TotalNumSgprs: 16
; NumVgprs: 4
; ScratchSize: 0
; MemoryBound: 0
; FloatMode: 240
; IeeeMode: 1
; LDSByteSize: 0 bytes/workgroup (compile time only)
; SGPRBlocks: 0
; VGPRBlocks: 0
; NumSGPRsForWavesPerEU: 16
; NumVGPRsForWavesPerEU: 4
; NamedBarCnt: 0
; Occupancy: 16
; WaveLimiterHint : 0
; COMPUTE_PGM_RSRC2:SCRATCH_EN: 0
; COMPUTE_PGM_RSRC2:USER_SGPR: 2
; COMPUTE_PGM_RSRC2:TRAP_HANDLER: 0
; COMPUTE_PGM_RSRC2:TGID_X_EN: 1
; COMPUTE_PGM_RSRC2:TGID_Y_EN: 0
; COMPUTE_PGM_RSRC2:TGID_Z_EN: 0
; COMPUTE_PGM_RSRC2:TIDIG_COMP_CNT: 0
	.section	.text._ZN7rocprim17ROCPRIM_400000_NS6detail17trampoline_kernelINS0_14default_configENS1_25transform_config_selectorIlLb0EEEZNS1_14transform_implILb0ES3_S5_NS0_18transform_iteratorINS0_17counting_iteratorImlEEZNS1_24adjacent_difference_implIS3_Lb1ELb0EPlSB_ZN2at6native12_GLOBAL__N_124unique_dim_cuda_templateIN3c104HalfEEESt5tupleIJNSC_6TensorESJ_SJ_EERKSJ_lbbbEUlllE1_EE10hipError_tPvRmT2_T3_mT4_P12ihipStream_tbEUlmE_lEESB_NS0_8identityIvEEEESO_SR_SS_mST_SV_bEUlT_E_NS1_11comp_targetILNS1_3genE5ELNS1_11target_archE942ELNS1_3gpuE9ELNS1_3repE0EEENS1_30default_config_static_selectorELNS0_4arch9wavefront6targetE0EEEvT1_,"axG",@progbits,_ZN7rocprim17ROCPRIM_400000_NS6detail17trampoline_kernelINS0_14default_configENS1_25transform_config_selectorIlLb0EEEZNS1_14transform_implILb0ES3_S5_NS0_18transform_iteratorINS0_17counting_iteratorImlEEZNS1_24adjacent_difference_implIS3_Lb1ELb0EPlSB_ZN2at6native12_GLOBAL__N_124unique_dim_cuda_templateIN3c104HalfEEESt5tupleIJNSC_6TensorESJ_SJ_EERKSJ_lbbbEUlllE1_EE10hipError_tPvRmT2_T3_mT4_P12ihipStream_tbEUlmE_lEESB_NS0_8identityIvEEEESO_SR_SS_mST_SV_bEUlT_E_NS1_11comp_targetILNS1_3genE5ELNS1_11target_archE942ELNS1_3gpuE9ELNS1_3repE0EEENS1_30default_config_static_selectorELNS0_4arch9wavefront6targetE0EEEvT1_,comdat
	.globl	_ZN7rocprim17ROCPRIM_400000_NS6detail17trampoline_kernelINS0_14default_configENS1_25transform_config_selectorIlLb0EEEZNS1_14transform_implILb0ES3_S5_NS0_18transform_iteratorINS0_17counting_iteratorImlEEZNS1_24adjacent_difference_implIS3_Lb1ELb0EPlSB_ZN2at6native12_GLOBAL__N_124unique_dim_cuda_templateIN3c104HalfEEESt5tupleIJNSC_6TensorESJ_SJ_EERKSJ_lbbbEUlllE1_EE10hipError_tPvRmT2_T3_mT4_P12ihipStream_tbEUlmE_lEESB_NS0_8identityIvEEEESO_SR_SS_mST_SV_bEUlT_E_NS1_11comp_targetILNS1_3genE5ELNS1_11target_archE942ELNS1_3gpuE9ELNS1_3repE0EEENS1_30default_config_static_selectorELNS0_4arch9wavefront6targetE0EEEvT1_ ; -- Begin function _ZN7rocprim17ROCPRIM_400000_NS6detail17trampoline_kernelINS0_14default_configENS1_25transform_config_selectorIlLb0EEEZNS1_14transform_implILb0ES3_S5_NS0_18transform_iteratorINS0_17counting_iteratorImlEEZNS1_24adjacent_difference_implIS3_Lb1ELb0EPlSB_ZN2at6native12_GLOBAL__N_124unique_dim_cuda_templateIN3c104HalfEEESt5tupleIJNSC_6TensorESJ_SJ_EERKSJ_lbbbEUlllE1_EE10hipError_tPvRmT2_T3_mT4_P12ihipStream_tbEUlmE_lEESB_NS0_8identityIvEEEESO_SR_SS_mST_SV_bEUlT_E_NS1_11comp_targetILNS1_3genE5ELNS1_11target_archE942ELNS1_3gpuE9ELNS1_3repE0EEENS1_30default_config_static_selectorELNS0_4arch9wavefront6targetE0EEEvT1_
	.p2align	8
	.type	_ZN7rocprim17ROCPRIM_400000_NS6detail17trampoline_kernelINS0_14default_configENS1_25transform_config_selectorIlLb0EEEZNS1_14transform_implILb0ES3_S5_NS0_18transform_iteratorINS0_17counting_iteratorImlEEZNS1_24adjacent_difference_implIS3_Lb1ELb0EPlSB_ZN2at6native12_GLOBAL__N_124unique_dim_cuda_templateIN3c104HalfEEESt5tupleIJNSC_6TensorESJ_SJ_EERKSJ_lbbbEUlllE1_EE10hipError_tPvRmT2_T3_mT4_P12ihipStream_tbEUlmE_lEESB_NS0_8identityIvEEEESO_SR_SS_mST_SV_bEUlT_E_NS1_11comp_targetILNS1_3genE5ELNS1_11target_archE942ELNS1_3gpuE9ELNS1_3repE0EEENS1_30default_config_static_selectorELNS0_4arch9wavefront6targetE0EEEvT1_,@function
_ZN7rocprim17ROCPRIM_400000_NS6detail17trampoline_kernelINS0_14default_configENS1_25transform_config_selectorIlLb0EEEZNS1_14transform_implILb0ES3_S5_NS0_18transform_iteratorINS0_17counting_iteratorImlEEZNS1_24adjacent_difference_implIS3_Lb1ELb0EPlSB_ZN2at6native12_GLOBAL__N_124unique_dim_cuda_templateIN3c104HalfEEESt5tupleIJNSC_6TensorESJ_SJ_EERKSJ_lbbbEUlllE1_EE10hipError_tPvRmT2_T3_mT4_P12ihipStream_tbEUlmE_lEESB_NS0_8identityIvEEEESO_SR_SS_mST_SV_bEUlT_E_NS1_11comp_targetILNS1_3genE5ELNS1_11target_archE942ELNS1_3gpuE9ELNS1_3repE0EEENS1_30default_config_static_selectorELNS0_4arch9wavefront6targetE0EEEvT1_: ; @_ZN7rocprim17ROCPRIM_400000_NS6detail17trampoline_kernelINS0_14default_configENS1_25transform_config_selectorIlLb0EEEZNS1_14transform_implILb0ES3_S5_NS0_18transform_iteratorINS0_17counting_iteratorImlEEZNS1_24adjacent_difference_implIS3_Lb1ELb0EPlSB_ZN2at6native12_GLOBAL__N_124unique_dim_cuda_templateIN3c104HalfEEESt5tupleIJNSC_6TensorESJ_SJ_EERKSJ_lbbbEUlllE1_EE10hipError_tPvRmT2_T3_mT4_P12ihipStream_tbEUlmE_lEESB_NS0_8identityIvEEEESO_SR_SS_mST_SV_bEUlT_E_NS1_11comp_targetILNS1_3genE5ELNS1_11target_archE942ELNS1_3gpuE9ELNS1_3repE0EEENS1_30default_config_static_selectorELNS0_4arch9wavefront6targetE0EEEvT1_
; %bb.0:
	.section	.rodata,"a",@progbits
	.p2align	6, 0x0
	.amdhsa_kernel _ZN7rocprim17ROCPRIM_400000_NS6detail17trampoline_kernelINS0_14default_configENS1_25transform_config_selectorIlLb0EEEZNS1_14transform_implILb0ES3_S5_NS0_18transform_iteratorINS0_17counting_iteratorImlEEZNS1_24adjacent_difference_implIS3_Lb1ELb0EPlSB_ZN2at6native12_GLOBAL__N_124unique_dim_cuda_templateIN3c104HalfEEESt5tupleIJNSC_6TensorESJ_SJ_EERKSJ_lbbbEUlllE1_EE10hipError_tPvRmT2_T3_mT4_P12ihipStream_tbEUlmE_lEESB_NS0_8identityIvEEEESO_SR_SS_mST_SV_bEUlT_E_NS1_11comp_targetILNS1_3genE5ELNS1_11target_archE942ELNS1_3gpuE9ELNS1_3repE0EEENS1_30default_config_static_selectorELNS0_4arch9wavefront6targetE0EEEvT1_
		.amdhsa_group_segment_fixed_size 0
		.amdhsa_private_segment_fixed_size 0
		.amdhsa_kernarg_size 56
		.amdhsa_user_sgpr_count 2
		.amdhsa_user_sgpr_dispatch_ptr 0
		.amdhsa_user_sgpr_queue_ptr 0
		.amdhsa_user_sgpr_kernarg_segment_ptr 1
		.amdhsa_user_sgpr_dispatch_id 0
		.amdhsa_user_sgpr_kernarg_preload_length 0
		.amdhsa_user_sgpr_kernarg_preload_offset 0
		.amdhsa_user_sgpr_private_segment_size 0
		.amdhsa_wavefront_size32 1
		.amdhsa_uses_dynamic_stack 0
		.amdhsa_enable_private_segment 0
		.amdhsa_system_sgpr_workgroup_id_x 1
		.amdhsa_system_sgpr_workgroup_id_y 0
		.amdhsa_system_sgpr_workgroup_id_z 0
		.amdhsa_system_sgpr_workgroup_info 0
		.amdhsa_system_vgpr_workitem_id 0
		.amdhsa_next_free_vgpr 1
		.amdhsa_next_free_sgpr 1
		.amdhsa_named_barrier_count 0
		.amdhsa_reserve_vcc 0
		.amdhsa_float_round_mode_32 0
		.amdhsa_float_round_mode_16_64 0
		.amdhsa_float_denorm_mode_32 3
		.amdhsa_float_denorm_mode_16_64 3
		.amdhsa_fp16_overflow 0
		.amdhsa_memory_ordered 1
		.amdhsa_forward_progress 1
		.amdhsa_inst_pref_size 0
		.amdhsa_round_robin_scheduling 0
		.amdhsa_exception_fp_ieee_invalid_op 0
		.amdhsa_exception_fp_denorm_src 0
		.amdhsa_exception_fp_ieee_div_zero 0
		.amdhsa_exception_fp_ieee_overflow 0
		.amdhsa_exception_fp_ieee_underflow 0
		.amdhsa_exception_fp_ieee_inexact 0
		.amdhsa_exception_int_div_zero 0
	.end_amdhsa_kernel
	.section	.text._ZN7rocprim17ROCPRIM_400000_NS6detail17trampoline_kernelINS0_14default_configENS1_25transform_config_selectorIlLb0EEEZNS1_14transform_implILb0ES3_S5_NS0_18transform_iteratorINS0_17counting_iteratorImlEEZNS1_24adjacent_difference_implIS3_Lb1ELb0EPlSB_ZN2at6native12_GLOBAL__N_124unique_dim_cuda_templateIN3c104HalfEEESt5tupleIJNSC_6TensorESJ_SJ_EERKSJ_lbbbEUlllE1_EE10hipError_tPvRmT2_T3_mT4_P12ihipStream_tbEUlmE_lEESB_NS0_8identityIvEEEESO_SR_SS_mST_SV_bEUlT_E_NS1_11comp_targetILNS1_3genE5ELNS1_11target_archE942ELNS1_3gpuE9ELNS1_3repE0EEENS1_30default_config_static_selectorELNS0_4arch9wavefront6targetE0EEEvT1_,"axG",@progbits,_ZN7rocprim17ROCPRIM_400000_NS6detail17trampoline_kernelINS0_14default_configENS1_25transform_config_selectorIlLb0EEEZNS1_14transform_implILb0ES3_S5_NS0_18transform_iteratorINS0_17counting_iteratorImlEEZNS1_24adjacent_difference_implIS3_Lb1ELb0EPlSB_ZN2at6native12_GLOBAL__N_124unique_dim_cuda_templateIN3c104HalfEEESt5tupleIJNSC_6TensorESJ_SJ_EERKSJ_lbbbEUlllE1_EE10hipError_tPvRmT2_T3_mT4_P12ihipStream_tbEUlmE_lEESB_NS0_8identityIvEEEESO_SR_SS_mST_SV_bEUlT_E_NS1_11comp_targetILNS1_3genE5ELNS1_11target_archE942ELNS1_3gpuE9ELNS1_3repE0EEENS1_30default_config_static_selectorELNS0_4arch9wavefront6targetE0EEEvT1_,comdat
.Lfunc_end1281:
	.size	_ZN7rocprim17ROCPRIM_400000_NS6detail17trampoline_kernelINS0_14default_configENS1_25transform_config_selectorIlLb0EEEZNS1_14transform_implILb0ES3_S5_NS0_18transform_iteratorINS0_17counting_iteratorImlEEZNS1_24adjacent_difference_implIS3_Lb1ELb0EPlSB_ZN2at6native12_GLOBAL__N_124unique_dim_cuda_templateIN3c104HalfEEESt5tupleIJNSC_6TensorESJ_SJ_EERKSJ_lbbbEUlllE1_EE10hipError_tPvRmT2_T3_mT4_P12ihipStream_tbEUlmE_lEESB_NS0_8identityIvEEEESO_SR_SS_mST_SV_bEUlT_E_NS1_11comp_targetILNS1_3genE5ELNS1_11target_archE942ELNS1_3gpuE9ELNS1_3repE0EEENS1_30default_config_static_selectorELNS0_4arch9wavefront6targetE0EEEvT1_, .Lfunc_end1281-_ZN7rocprim17ROCPRIM_400000_NS6detail17trampoline_kernelINS0_14default_configENS1_25transform_config_selectorIlLb0EEEZNS1_14transform_implILb0ES3_S5_NS0_18transform_iteratorINS0_17counting_iteratorImlEEZNS1_24adjacent_difference_implIS3_Lb1ELb0EPlSB_ZN2at6native12_GLOBAL__N_124unique_dim_cuda_templateIN3c104HalfEEESt5tupleIJNSC_6TensorESJ_SJ_EERKSJ_lbbbEUlllE1_EE10hipError_tPvRmT2_T3_mT4_P12ihipStream_tbEUlmE_lEESB_NS0_8identityIvEEEESO_SR_SS_mST_SV_bEUlT_E_NS1_11comp_targetILNS1_3genE5ELNS1_11target_archE942ELNS1_3gpuE9ELNS1_3repE0EEENS1_30default_config_static_selectorELNS0_4arch9wavefront6targetE0EEEvT1_
                                        ; -- End function
	.set _ZN7rocprim17ROCPRIM_400000_NS6detail17trampoline_kernelINS0_14default_configENS1_25transform_config_selectorIlLb0EEEZNS1_14transform_implILb0ES3_S5_NS0_18transform_iteratorINS0_17counting_iteratorImlEEZNS1_24adjacent_difference_implIS3_Lb1ELb0EPlSB_ZN2at6native12_GLOBAL__N_124unique_dim_cuda_templateIN3c104HalfEEESt5tupleIJNSC_6TensorESJ_SJ_EERKSJ_lbbbEUlllE1_EE10hipError_tPvRmT2_T3_mT4_P12ihipStream_tbEUlmE_lEESB_NS0_8identityIvEEEESO_SR_SS_mST_SV_bEUlT_E_NS1_11comp_targetILNS1_3genE5ELNS1_11target_archE942ELNS1_3gpuE9ELNS1_3repE0EEENS1_30default_config_static_selectorELNS0_4arch9wavefront6targetE0EEEvT1_.num_vgpr, 0
	.set _ZN7rocprim17ROCPRIM_400000_NS6detail17trampoline_kernelINS0_14default_configENS1_25transform_config_selectorIlLb0EEEZNS1_14transform_implILb0ES3_S5_NS0_18transform_iteratorINS0_17counting_iteratorImlEEZNS1_24adjacent_difference_implIS3_Lb1ELb0EPlSB_ZN2at6native12_GLOBAL__N_124unique_dim_cuda_templateIN3c104HalfEEESt5tupleIJNSC_6TensorESJ_SJ_EERKSJ_lbbbEUlllE1_EE10hipError_tPvRmT2_T3_mT4_P12ihipStream_tbEUlmE_lEESB_NS0_8identityIvEEEESO_SR_SS_mST_SV_bEUlT_E_NS1_11comp_targetILNS1_3genE5ELNS1_11target_archE942ELNS1_3gpuE9ELNS1_3repE0EEENS1_30default_config_static_selectorELNS0_4arch9wavefront6targetE0EEEvT1_.num_agpr, 0
	.set _ZN7rocprim17ROCPRIM_400000_NS6detail17trampoline_kernelINS0_14default_configENS1_25transform_config_selectorIlLb0EEEZNS1_14transform_implILb0ES3_S5_NS0_18transform_iteratorINS0_17counting_iteratorImlEEZNS1_24adjacent_difference_implIS3_Lb1ELb0EPlSB_ZN2at6native12_GLOBAL__N_124unique_dim_cuda_templateIN3c104HalfEEESt5tupleIJNSC_6TensorESJ_SJ_EERKSJ_lbbbEUlllE1_EE10hipError_tPvRmT2_T3_mT4_P12ihipStream_tbEUlmE_lEESB_NS0_8identityIvEEEESO_SR_SS_mST_SV_bEUlT_E_NS1_11comp_targetILNS1_3genE5ELNS1_11target_archE942ELNS1_3gpuE9ELNS1_3repE0EEENS1_30default_config_static_selectorELNS0_4arch9wavefront6targetE0EEEvT1_.numbered_sgpr, 0
	.set _ZN7rocprim17ROCPRIM_400000_NS6detail17trampoline_kernelINS0_14default_configENS1_25transform_config_selectorIlLb0EEEZNS1_14transform_implILb0ES3_S5_NS0_18transform_iteratorINS0_17counting_iteratorImlEEZNS1_24adjacent_difference_implIS3_Lb1ELb0EPlSB_ZN2at6native12_GLOBAL__N_124unique_dim_cuda_templateIN3c104HalfEEESt5tupleIJNSC_6TensorESJ_SJ_EERKSJ_lbbbEUlllE1_EE10hipError_tPvRmT2_T3_mT4_P12ihipStream_tbEUlmE_lEESB_NS0_8identityIvEEEESO_SR_SS_mST_SV_bEUlT_E_NS1_11comp_targetILNS1_3genE5ELNS1_11target_archE942ELNS1_3gpuE9ELNS1_3repE0EEENS1_30default_config_static_selectorELNS0_4arch9wavefront6targetE0EEEvT1_.num_named_barrier, 0
	.set _ZN7rocprim17ROCPRIM_400000_NS6detail17trampoline_kernelINS0_14default_configENS1_25transform_config_selectorIlLb0EEEZNS1_14transform_implILb0ES3_S5_NS0_18transform_iteratorINS0_17counting_iteratorImlEEZNS1_24adjacent_difference_implIS3_Lb1ELb0EPlSB_ZN2at6native12_GLOBAL__N_124unique_dim_cuda_templateIN3c104HalfEEESt5tupleIJNSC_6TensorESJ_SJ_EERKSJ_lbbbEUlllE1_EE10hipError_tPvRmT2_T3_mT4_P12ihipStream_tbEUlmE_lEESB_NS0_8identityIvEEEESO_SR_SS_mST_SV_bEUlT_E_NS1_11comp_targetILNS1_3genE5ELNS1_11target_archE942ELNS1_3gpuE9ELNS1_3repE0EEENS1_30default_config_static_selectorELNS0_4arch9wavefront6targetE0EEEvT1_.private_seg_size, 0
	.set _ZN7rocprim17ROCPRIM_400000_NS6detail17trampoline_kernelINS0_14default_configENS1_25transform_config_selectorIlLb0EEEZNS1_14transform_implILb0ES3_S5_NS0_18transform_iteratorINS0_17counting_iteratorImlEEZNS1_24adjacent_difference_implIS3_Lb1ELb0EPlSB_ZN2at6native12_GLOBAL__N_124unique_dim_cuda_templateIN3c104HalfEEESt5tupleIJNSC_6TensorESJ_SJ_EERKSJ_lbbbEUlllE1_EE10hipError_tPvRmT2_T3_mT4_P12ihipStream_tbEUlmE_lEESB_NS0_8identityIvEEEESO_SR_SS_mST_SV_bEUlT_E_NS1_11comp_targetILNS1_3genE5ELNS1_11target_archE942ELNS1_3gpuE9ELNS1_3repE0EEENS1_30default_config_static_selectorELNS0_4arch9wavefront6targetE0EEEvT1_.uses_vcc, 0
	.set _ZN7rocprim17ROCPRIM_400000_NS6detail17trampoline_kernelINS0_14default_configENS1_25transform_config_selectorIlLb0EEEZNS1_14transform_implILb0ES3_S5_NS0_18transform_iteratorINS0_17counting_iteratorImlEEZNS1_24adjacent_difference_implIS3_Lb1ELb0EPlSB_ZN2at6native12_GLOBAL__N_124unique_dim_cuda_templateIN3c104HalfEEESt5tupleIJNSC_6TensorESJ_SJ_EERKSJ_lbbbEUlllE1_EE10hipError_tPvRmT2_T3_mT4_P12ihipStream_tbEUlmE_lEESB_NS0_8identityIvEEEESO_SR_SS_mST_SV_bEUlT_E_NS1_11comp_targetILNS1_3genE5ELNS1_11target_archE942ELNS1_3gpuE9ELNS1_3repE0EEENS1_30default_config_static_selectorELNS0_4arch9wavefront6targetE0EEEvT1_.uses_flat_scratch, 0
	.set _ZN7rocprim17ROCPRIM_400000_NS6detail17trampoline_kernelINS0_14default_configENS1_25transform_config_selectorIlLb0EEEZNS1_14transform_implILb0ES3_S5_NS0_18transform_iteratorINS0_17counting_iteratorImlEEZNS1_24adjacent_difference_implIS3_Lb1ELb0EPlSB_ZN2at6native12_GLOBAL__N_124unique_dim_cuda_templateIN3c104HalfEEESt5tupleIJNSC_6TensorESJ_SJ_EERKSJ_lbbbEUlllE1_EE10hipError_tPvRmT2_T3_mT4_P12ihipStream_tbEUlmE_lEESB_NS0_8identityIvEEEESO_SR_SS_mST_SV_bEUlT_E_NS1_11comp_targetILNS1_3genE5ELNS1_11target_archE942ELNS1_3gpuE9ELNS1_3repE0EEENS1_30default_config_static_selectorELNS0_4arch9wavefront6targetE0EEEvT1_.has_dyn_sized_stack, 0
	.set _ZN7rocprim17ROCPRIM_400000_NS6detail17trampoline_kernelINS0_14default_configENS1_25transform_config_selectorIlLb0EEEZNS1_14transform_implILb0ES3_S5_NS0_18transform_iteratorINS0_17counting_iteratorImlEEZNS1_24adjacent_difference_implIS3_Lb1ELb0EPlSB_ZN2at6native12_GLOBAL__N_124unique_dim_cuda_templateIN3c104HalfEEESt5tupleIJNSC_6TensorESJ_SJ_EERKSJ_lbbbEUlllE1_EE10hipError_tPvRmT2_T3_mT4_P12ihipStream_tbEUlmE_lEESB_NS0_8identityIvEEEESO_SR_SS_mST_SV_bEUlT_E_NS1_11comp_targetILNS1_3genE5ELNS1_11target_archE942ELNS1_3gpuE9ELNS1_3repE0EEENS1_30default_config_static_selectorELNS0_4arch9wavefront6targetE0EEEvT1_.has_recursion, 0
	.set _ZN7rocprim17ROCPRIM_400000_NS6detail17trampoline_kernelINS0_14default_configENS1_25transform_config_selectorIlLb0EEEZNS1_14transform_implILb0ES3_S5_NS0_18transform_iteratorINS0_17counting_iteratorImlEEZNS1_24adjacent_difference_implIS3_Lb1ELb0EPlSB_ZN2at6native12_GLOBAL__N_124unique_dim_cuda_templateIN3c104HalfEEESt5tupleIJNSC_6TensorESJ_SJ_EERKSJ_lbbbEUlllE1_EE10hipError_tPvRmT2_T3_mT4_P12ihipStream_tbEUlmE_lEESB_NS0_8identityIvEEEESO_SR_SS_mST_SV_bEUlT_E_NS1_11comp_targetILNS1_3genE5ELNS1_11target_archE942ELNS1_3gpuE9ELNS1_3repE0EEENS1_30default_config_static_selectorELNS0_4arch9wavefront6targetE0EEEvT1_.has_indirect_call, 0
	.section	.AMDGPU.csdata,"",@progbits
; Kernel info:
; codeLenInByte = 0
; TotalNumSgprs: 0
; NumVgprs: 0
; ScratchSize: 0
; MemoryBound: 0
; FloatMode: 240
; IeeeMode: 1
; LDSByteSize: 0 bytes/workgroup (compile time only)
; SGPRBlocks: 0
; VGPRBlocks: 0
; NumSGPRsForWavesPerEU: 1
; NumVGPRsForWavesPerEU: 1
; NamedBarCnt: 0
; Occupancy: 16
; WaveLimiterHint : 0
; COMPUTE_PGM_RSRC2:SCRATCH_EN: 0
; COMPUTE_PGM_RSRC2:USER_SGPR: 2
; COMPUTE_PGM_RSRC2:TRAP_HANDLER: 0
; COMPUTE_PGM_RSRC2:TGID_X_EN: 1
; COMPUTE_PGM_RSRC2:TGID_Y_EN: 0
; COMPUTE_PGM_RSRC2:TGID_Z_EN: 0
; COMPUTE_PGM_RSRC2:TIDIG_COMP_CNT: 0
	.section	.text._ZN7rocprim17ROCPRIM_400000_NS6detail17trampoline_kernelINS0_14default_configENS1_25transform_config_selectorIlLb0EEEZNS1_14transform_implILb0ES3_S5_NS0_18transform_iteratorINS0_17counting_iteratorImlEEZNS1_24adjacent_difference_implIS3_Lb1ELb0EPlSB_ZN2at6native12_GLOBAL__N_124unique_dim_cuda_templateIN3c104HalfEEESt5tupleIJNSC_6TensorESJ_SJ_EERKSJ_lbbbEUlllE1_EE10hipError_tPvRmT2_T3_mT4_P12ihipStream_tbEUlmE_lEESB_NS0_8identityIvEEEESO_SR_SS_mST_SV_bEUlT_E_NS1_11comp_targetILNS1_3genE4ELNS1_11target_archE910ELNS1_3gpuE8ELNS1_3repE0EEENS1_30default_config_static_selectorELNS0_4arch9wavefront6targetE0EEEvT1_,"axG",@progbits,_ZN7rocprim17ROCPRIM_400000_NS6detail17trampoline_kernelINS0_14default_configENS1_25transform_config_selectorIlLb0EEEZNS1_14transform_implILb0ES3_S5_NS0_18transform_iteratorINS0_17counting_iteratorImlEEZNS1_24adjacent_difference_implIS3_Lb1ELb0EPlSB_ZN2at6native12_GLOBAL__N_124unique_dim_cuda_templateIN3c104HalfEEESt5tupleIJNSC_6TensorESJ_SJ_EERKSJ_lbbbEUlllE1_EE10hipError_tPvRmT2_T3_mT4_P12ihipStream_tbEUlmE_lEESB_NS0_8identityIvEEEESO_SR_SS_mST_SV_bEUlT_E_NS1_11comp_targetILNS1_3genE4ELNS1_11target_archE910ELNS1_3gpuE8ELNS1_3repE0EEENS1_30default_config_static_selectorELNS0_4arch9wavefront6targetE0EEEvT1_,comdat
	.globl	_ZN7rocprim17ROCPRIM_400000_NS6detail17trampoline_kernelINS0_14default_configENS1_25transform_config_selectorIlLb0EEEZNS1_14transform_implILb0ES3_S5_NS0_18transform_iteratorINS0_17counting_iteratorImlEEZNS1_24adjacent_difference_implIS3_Lb1ELb0EPlSB_ZN2at6native12_GLOBAL__N_124unique_dim_cuda_templateIN3c104HalfEEESt5tupleIJNSC_6TensorESJ_SJ_EERKSJ_lbbbEUlllE1_EE10hipError_tPvRmT2_T3_mT4_P12ihipStream_tbEUlmE_lEESB_NS0_8identityIvEEEESO_SR_SS_mST_SV_bEUlT_E_NS1_11comp_targetILNS1_3genE4ELNS1_11target_archE910ELNS1_3gpuE8ELNS1_3repE0EEENS1_30default_config_static_selectorELNS0_4arch9wavefront6targetE0EEEvT1_ ; -- Begin function _ZN7rocprim17ROCPRIM_400000_NS6detail17trampoline_kernelINS0_14default_configENS1_25transform_config_selectorIlLb0EEEZNS1_14transform_implILb0ES3_S5_NS0_18transform_iteratorINS0_17counting_iteratorImlEEZNS1_24adjacent_difference_implIS3_Lb1ELb0EPlSB_ZN2at6native12_GLOBAL__N_124unique_dim_cuda_templateIN3c104HalfEEESt5tupleIJNSC_6TensorESJ_SJ_EERKSJ_lbbbEUlllE1_EE10hipError_tPvRmT2_T3_mT4_P12ihipStream_tbEUlmE_lEESB_NS0_8identityIvEEEESO_SR_SS_mST_SV_bEUlT_E_NS1_11comp_targetILNS1_3genE4ELNS1_11target_archE910ELNS1_3gpuE8ELNS1_3repE0EEENS1_30default_config_static_selectorELNS0_4arch9wavefront6targetE0EEEvT1_
	.p2align	8
	.type	_ZN7rocprim17ROCPRIM_400000_NS6detail17trampoline_kernelINS0_14default_configENS1_25transform_config_selectorIlLb0EEEZNS1_14transform_implILb0ES3_S5_NS0_18transform_iteratorINS0_17counting_iteratorImlEEZNS1_24adjacent_difference_implIS3_Lb1ELb0EPlSB_ZN2at6native12_GLOBAL__N_124unique_dim_cuda_templateIN3c104HalfEEESt5tupleIJNSC_6TensorESJ_SJ_EERKSJ_lbbbEUlllE1_EE10hipError_tPvRmT2_T3_mT4_P12ihipStream_tbEUlmE_lEESB_NS0_8identityIvEEEESO_SR_SS_mST_SV_bEUlT_E_NS1_11comp_targetILNS1_3genE4ELNS1_11target_archE910ELNS1_3gpuE8ELNS1_3repE0EEENS1_30default_config_static_selectorELNS0_4arch9wavefront6targetE0EEEvT1_,@function
_ZN7rocprim17ROCPRIM_400000_NS6detail17trampoline_kernelINS0_14default_configENS1_25transform_config_selectorIlLb0EEEZNS1_14transform_implILb0ES3_S5_NS0_18transform_iteratorINS0_17counting_iteratorImlEEZNS1_24adjacent_difference_implIS3_Lb1ELb0EPlSB_ZN2at6native12_GLOBAL__N_124unique_dim_cuda_templateIN3c104HalfEEESt5tupleIJNSC_6TensorESJ_SJ_EERKSJ_lbbbEUlllE1_EE10hipError_tPvRmT2_T3_mT4_P12ihipStream_tbEUlmE_lEESB_NS0_8identityIvEEEESO_SR_SS_mST_SV_bEUlT_E_NS1_11comp_targetILNS1_3genE4ELNS1_11target_archE910ELNS1_3gpuE8ELNS1_3repE0EEENS1_30default_config_static_selectorELNS0_4arch9wavefront6targetE0EEEvT1_: ; @_ZN7rocprim17ROCPRIM_400000_NS6detail17trampoline_kernelINS0_14default_configENS1_25transform_config_selectorIlLb0EEEZNS1_14transform_implILb0ES3_S5_NS0_18transform_iteratorINS0_17counting_iteratorImlEEZNS1_24adjacent_difference_implIS3_Lb1ELb0EPlSB_ZN2at6native12_GLOBAL__N_124unique_dim_cuda_templateIN3c104HalfEEESt5tupleIJNSC_6TensorESJ_SJ_EERKSJ_lbbbEUlllE1_EE10hipError_tPvRmT2_T3_mT4_P12ihipStream_tbEUlmE_lEESB_NS0_8identityIvEEEESO_SR_SS_mST_SV_bEUlT_E_NS1_11comp_targetILNS1_3genE4ELNS1_11target_archE910ELNS1_3gpuE8ELNS1_3repE0EEENS1_30default_config_static_selectorELNS0_4arch9wavefront6targetE0EEEvT1_
; %bb.0:
	.section	.rodata,"a",@progbits
	.p2align	6, 0x0
	.amdhsa_kernel _ZN7rocprim17ROCPRIM_400000_NS6detail17trampoline_kernelINS0_14default_configENS1_25transform_config_selectorIlLb0EEEZNS1_14transform_implILb0ES3_S5_NS0_18transform_iteratorINS0_17counting_iteratorImlEEZNS1_24adjacent_difference_implIS3_Lb1ELb0EPlSB_ZN2at6native12_GLOBAL__N_124unique_dim_cuda_templateIN3c104HalfEEESt5tupleIJNSC_6TensorESJ_SJ_EERKSJ_lbbbEUlllE1_EE10hipError_tPvRmT2_T3_mT4_P12ihipStream_tbEUlmE_lEESB_NS0_8identityIvEEEESO_SR_SS_mST_SV_bEUlT_E_NS1_11comp_targetILNS1_3genE4ELNS1_11target_archE910ELNS1_3gpuE8ELNS1_3repE0EEENS1_30default_config_static_selectorELNS0_4arch9wavefront6targetE0EEEvT1_
		.amdhsa_group_segment_fixed_size 0
		.amdhsa_private_segment_fixed_size 0
		.amdhsa_kernarg_size 56
		.amdhsa_user_sgpr_count 2
		.amdhsa_user_sgpr_dispatch_ptr 0
		.amdhsa_user_sgpr_queue_ptr 0
		.amdhsa_user_sgpr_kernarg_segment_ptr 1
		.amdhsa_user_sgpr_dispatch_id 0
		.amdhsa_user_sgpr_kernarg_preload_length 0
		.amdhsa_user_sgpr_kernarg_preload_offset 0
		.amdhsa_user_sgpr_private_segment_size 0
		.amdhsa_wavefront_size32 1
		.amdhsa_uses_dynamic_stack 0
		.amdhsa_enable_private_segment 0
		.amdhsa_system_sgpr_workgroup_id_x 1
		.amdhsa_system_sgpr_workgroup_id_y 0
		.amdhsa_system_sgpr_workgroup_id_z 0
		.amdhsa_system_sgpr_workgroup_info 0
		.amdhsa_system_vgpr_workitem_id 0
		.amdhsa_next_free_vgpr 1
		.amdhsa_next_free_sgpr 1
		.amdhsa_named_barrier_count 0
		.amdhsa_reserve_vcc 0
		.amdhsa_float_round_mode_32 0
		.amdhsa_float_round_mode_16_64 0
		.amdhsa_float_denorm_mode_32 3
		.amdhsa_float_denorm_mode_16_64 3
		.amdhsa_fp16_overflow 0
		.amdhsa_memory_ordered 1
		.amdhsa_forward_progress 1
		.amdhsa_inst_pref_size 0
		.amdhsa_round_robin_scheduling 0
		.amdhsa_exception_fp_ieee_invalid_op 0
		.amdhsa_exception_fp_denorm_src 0
		.amdhsa_exception_fp_ieee_div_zero 0
		.amdhsa_exception_fp_ieee_overflow 0
		.amdhsa_exception_fp_ieee_underflow 0
		.amdhsa_exception_fp_ieee_inexact 0
		.amdhsa_exception_int_div_zero 0
	.end_amdhsa_kernel
	.section	.text._ZN7rocprim17ROCPRIM_400000_NS6detail17trampoline_kernelINS0_14default_configENS1_25transform_config_selectorIlLb0EEEZNS1_14transform_implILb0ES3_S5_NS0_18transform_iteratorINS0_17counting_iteratorImlEEZNS1_24adjacent_difference_implIS3_Lb1ELb0EPlSB_ZN2at6native12_GLOBAL__N_124unique_dim_cuda_templateIN3c104HalfEEESt5tupleIJNSC_6TensorESJ_SJ_EERKSJ_lbbbEUlllE1_EE10hipError_tPvRmT2_T3_mT4_P12ihipStream_tbEUlmE_lEESB_NS0_8identityIvEEEESO_SR_SS_mST_SV_bEUlT_E_NS1_11comp_targetILNS1_3genE4ELNS1_11target_archE910ELNS1_3gpuE8ELNS1_3repE0EEENS1_30default_config_static_selectorELNS0_4arch9wavefront6targetE0EEEvT1_,"axG",@progbits,_ZN7rocprim17ROCPRIM_400000_NS6detail17trampoline_kernelINS0_14default_configENS1_25transform_config_selectorIlLb0EEEZNS1_14transform_implILb0ES3_S5_NS0_18transform_iteratorINS0_17counting_iteratorImlEEZNS1_24adjacent_difference_implIS3_Lb1ELb0EPlSB_ZN2at6native12_GLOBAL__N_124unique_dim_cuda_templateIN3c104HalfEEESt5tupleIJNSC_6TensorESJ_SJ_EERKSJ_lbbbEUlllE1_EE10hipError_tPvRmT2_T3_mT4_P12ihipStream_tbEUlmE_lEESB_NS0_8identityIvEEEESO_SR_SS_mST_SV_bEUlT_E_NS1_11comp_targetILNS1_3genE4ELNS1_11target_archE910ELNS1_3gpuE8ELNS1_3repE0EEENS1_30default_config_static_selectorELNS0_4arch9wavefront6targetE0EEEvT1_,comdat
.Lfunc_end1282:
	.size	_ZN7rocprim17ROCPRIM_400000_NS6detail17trampoline_kernelINS0_14default_configENS1_25transform_config_selectorIlLb0EEEZNS1_14transform_implILb0ES3_S5_NS0_18transform_iteratorINS0_17counting_iteratorImlEEZNS1_24adjacent_difference_implIS3_Lb1ELb0EPlSB_ZN2at6native12_GLOBAL__N_124unique_dim_cuda_templateIN3c104HalfEEESt5tupleIJNSC_6TensorESJ_SJ_EERKSJ_lbbbEUlllE1_EE10hipError_tPvRmT2_T3_mT4_P12ihipStream_tbEUlmE_lEESB_NS0_8identityIvEEEESO_SR_SS_mST_SV_bEUlT_E_NS1_11comp_targetILNS1_3genE4ELNS1_11target_archE910ELNS1_3gpuE8ELNS1_3repE0EEENS1_30default_config_static_selectorELNS0_4arch9wavefront6targetE0EEEvT1_, .Lfunc_end1282-_ZN7rocprim17ROCPRIM_400000_NS6detail17trampoline_kernelINS0_14default_configENS1_25transform_config_selectorIlLb0EEEZNS1_14transform_implILb0ES3_S5_NS0_18transform_iteratorINS0_17counting_iteratorImlEEZNS1_24adjacent_difference_implIS3_Lb1ELb0EPlSB_ZN2at6native12_GLOBAL__N_124unique_dim_cuda_templateIN3c104HalfEEESt5tupleIJNSC_6TensorESJ_SJ_EERKSJ_lbbbEUlllE1_EE10hipError_tPvRmT2_T3_mT4_P12ihipStream_tbEUlmE_lEESB_NS0_8identityIvEEEESO_SR_SS_mST_SV_bEUlT_E_NS1_11comp_targetILNS1_3genE4ELNS1_11target_archE910ELNS1_3gpuE8ELNS1_3repE0EEENS1_30default_config_static_selectorELNS0_4arch9wavefront6targetE0EEEvT1_
                                        ; -- End function
	.set _ZN7rocprim17ROCPRIM_400000_NS6detail17trampoline_kernelINS0_14default_configENS1_25transform_config_selectorIlLb0EEEZNS1_14transform_implILb0ES3_S5_NS0_18transform_iteratorINS0_17counting_iteratorImlEEZNS1_24adjacent_difference_implIS3_Lb1ELb0EPlSB_ZN2at6native12_GLOBAL__N_124unique_dim_cuda_templateIN3c104HalfEEESt5tupleIJNSC_6TensorESJ_SJ_EERKSJ_lbbbEUlllE1_EE10hipError_tPvRmT2_T3_mT4_P12ihipStream_tbEUlmE_lEESB_NS0_8identityIvEEEESO_SR_SS_mST_SV_bEUlT_E_NS1_11comp_targetILNS1_3genE4ELNS1_11target_archE910ELNS1_3gpuE8ELNS1_3repE0EEENS1_30default_config_static_selectorELNS0_4arch9wavefront6targetE0EEEvT1_.num_vgpr, 0
	.set _ZN7rocprim17ROCPRIM_400000_NS6detail17trampoline_kernelINS0_14default_configENS1_25transform_config_selectorIlLb0EEEZNS1_14transform_implILb0ES3_S5_NS0_18transform_iteratorINS0_17counting_iteratorImlEEZNS1_24adjacent_difference_implIS3_Lb1ELb0EPlSB_ZN2at6native12_GLOBAL__N_124unique_dim_cuda_templateIN3c104HalfEEESt5tupleIJNSC_6TensorESJ_SJ_EERKSJ_lbbbEUlllE1_EE10hipError_tPvRmT2_T3_mT4_P12ihipStream_tbEUlmE_lEESB_NS0_8identityIvEEEESO_SR_SS_mST_SV_bEUlT_E_NS1_11comp_targetILNS1_3genE4ELNS1_11target_archE910ELNS1_3gpuE8ELNS1_3repE0EEENS1_30default_config_static_selectorELNS0_4arch9wavefront6targetE0EEEvT1_.num_agpr, 0
	.set _ZN7rocprim17ROCPRIM_400000_NS6detail17trampoline_kernelINS0_14default_configENS1_25transform_config_selectorIlLb0EEEZNS1_14transform_implILb0ES3_S5_NS0_18transform_iteratorINS0_17counting_iteratorImlEEZNS1_24adjacent_difference_implIS3_Lb1ELb0EPlSB_ZN2at6native12_GLOBAL__N_124unique_dim_cuda_templateIN3c104HalfEEESt5tupleIJNSC_6TensorESJ_SJ_EERKSJ_lbbbEUlllE1_EE10hipError_tPvRmT2_T3_mT4_P12ihipStream_tbEUlmE_lEESB_NS0_8identityIvEEEESO_SR_SS_mST_SV_bEUlT_E_NS1_11comp_targetILNS1_3genE4ELNS1_11target_archE910ELNS1_3gpuE8ELNS1_3repE0EEENS1_30default_config_static_selectorELNS0_4arch9wavefront6targetE0EEEvT1_.numbered_sgpr, 0
	.set _ZN7rocprim17ROCPRIM_400000_NS6detail17trampoline_kernelINS0_14default_configENS1_25transform_config_selectorIlLb0EEEZNS1_14transform_implILb0ES3_S5_NS0_18transform_iteratorINS0_17counting_iteratorImlEEZNS1_24adjacent_difference_implIS3_Lb1ELb0EPlSB_ZN2at6native12_GLOBAL__N_124unique_dim_cuda_templateIN3c104HalfEEESt5tupleIJNSC_6TensorESJ_SJ_EERKSJ_lbbbEUlllE1_EE10hipError_tPvRmT2_T3_mT4_P12ihipStream_tbEUlmE_lEESB_NS0_8identityIvEEEESO_SR_SS_mST_SV_bEUlT_E_NS1_11comp_targetILNS1_3genE4ELNS1_11target_archE910ELNS1_3gpuE8ELNS1_3repE0EEENS1_30default_config_static_selectorELNS0_4arch9wavefront6targetE0EEEvT1_.num_named_barrier, 0
	.set _ZN7rocprim17ROCPRIM_400000_NS6detail17trampoline_kernelINS0_14default_configENS1_25transform_config_selectorIlLb0EEEZNS1_14transform_implILb0ES3_S5_NS0_18transform_iteratorINS0_17counting_iteratorImlEEZNS1_24adjacent_difference_implIS3_Lb1ELb0EPlSB_ZN2at6native12_GLOBAL__N_124unique_dim_cuda_templateIN3c104HalfEEESt5tupleIJNSC_6TensorESJ_SJ_EERKSJ_lbbbEUlllE1_EE10hipError_tPvRmT2_T3_mT4_P12ihipStream_tbEUlmE_lEESB_NS0_8identityIvEEEESO_SR_SS_mST_SV_bEUlT_E_NS1_11comp_targetILNS1_3genE4ELNS1_11target_archE910ELNS1_3gpuE8ELNS1_3repE0EEENS1_30default_config_static_selectorELNS0_4arch9wavefront6targetE0EEEvT1_.private_seg_size, 0
	.set _ZN7rocprim17ROCPRIM_400000_NS6detail17trampoline_kernelINS0_14default_configENS1_25transform_config_selectorIlLb0EEEZNS1_14transform_implILb0ES3_S5_NS0_18transform_iteratorINS0_17counting_iteratorImlEEZNS1_24adjacent_difference_implIS3_Lb1ELb0EPlSB_ZN2at6native12_GLOBAL__N_124unique_dim_cuda_templateIN3c104HalfEEESt5tupleIJNSC_6TensorESJ_SJ_EERKSJ_lbbbEUlllE1_EE10hipError_tPvRmT2_T3_mT4_P12ihipStream_tbEUlmE_lEESB_NS0_8identityIvEEEESO_SR_SS_mST_SV_bEUlT_E_NS1_11comp_targetILNS1_3genE4ELNS1_11target_archE910ELNS1_3gpuE8ELNS1_3repE0EEENS1_30default_config_static_selectorELNS0_4arch9wavefront6targetE0EEEvT1_.uses_vcc, 0
	.set _ZN7rocprim17ROCPRIM_400000_NS6detail17trampoline_kernelINS0_14default_configENS1_25transform_config_selectorIlLb0EEEZNS1_14transform_implILb0ES3_S5_NS0_18transform_iteratorINS0_17counting_iteratorImlEEZNS1_24adjacent_difference_implIS3_Lb1ELb0EPlSB_ZN2at6native12_GLOBAL__N_124unique_dim_cuda_templateIN3c104HalfEEESt5tupleIJNSC_6TensorESJ_SJ_EERKSJ_lbbbEUlllE1_EE10hipError_tPvRmT2_T3_mT4_P12ihipStream_tbEUlmE_lEESB_NS0_8identityIvEEEESO_SR_SS_mST_SV_bEUlT_E_NS1_11comp_targetILNS1_3genE4ELNS1_11target_archE910ELNS1_3gpuE8ELNS1_3repE0EEENS1_30default_config_static_selectorELNS0_4arch9wavefront6targetE0EEEvT1_.uses_flat_scratch, 0
	.set _ZN7rocprim17ROCPRIM_400000_NS6detail17trampoline_kernelINS0_14default_configENS1_25transform_config_selectorIlLb0EEEZNS1_14transform_implILb0ES3_S5_NS0_18transform_iteratorINS0_17counting_iteratorImlEEZNS1_24adjacent_difference_implIS3_Lb1ELb0EPlSB_ZN2at6native12_GLOBAL__N_124unique_dim_cuda_templateIN3c104HalfEEESt5tupleIJNSC_6TensorESJ_SJ_EERKSJ_lbbbEUlllE1_EE10hipError_tPvRmT2_T3_mT4_P12ihipStream_tbEUlmE_lEESB_NS0_8identityIvEEEESO_SR_SS_mST_SV_bEUlT_E_NS1_11comp_targetILNS1_3genE4ELNS1_11target_archE910ELNS1_3gpuE8ELNS1_3repE0EEENS1_30default_config_static_selectorELNS0_4arch9wavefront6targetE0EEEvT1_.has_dyn_sized_stack, 0
	.set _ZN7rocprim17ROCPRIM_400000_NS6detail17trampoline_kernelINS0_14default_configENS1_25transform_config_selectorIlLb0EEEZNS1_14transform_implILb0ES3_S5_NS0_18transform_iteratorINS0_17counting_iteratorImlEEZNS1_24adjacent_difference_implIS3_Lb1ELb0EPlSB_ZN2at6native12_GLOBAL__N_124unique_dim_cuda_templateIN3c104HalfEEESt5tupleIJNSC_6TensorESJ_SJ_EERKSJ_lbbbEUlllE1_EE10hipError_tPvRmT2_T3_mT4_P12ihipStream_tbEUlmE_lEESB_NS0_8identityIvEEEESO_SR_SS_mST_SV_bEUlT_E_NS1_11comp_targetILNS1_3genE4ELNS1_11target_archE910ELNS1_3gpuE8ELNS1_3repE0EEENS1_30default_config_static_selectorELNS0_4arch9wavefront6targetE0EEEvT1_.has_recursion, 0
	.set _ZN7rocprim17ROCPRIM_400000_NS6detail17trampoline_kernelINS0_14default_configENS1_25transform_config_selectorIlLb0EEEZNS1_14transform_implILb0ES3_S5_NS0_18transform_iteratorINS0_17counting_iteratorImlEEZNS1_24adjacent_difference_implIS3_Lb1ELb0EPlSB_ZN2at6native12_GLOBAL__N_124unique_dim_cuda_templateIN3c104HalfEEESt5tupleIJNSC_6TensorESJ_SJ_EERKSJ_lbbbEUlllE1_EE10hipError_tPvRmT2_T3_mT4_P12ihipStream_tbEUlmE_lEESB_NS0_8identityIvEEEESO_SR_SS_mST_SV_bEUlT_E_NS1_11comp_targetILNS1_3genE4ELNS1_11target_archE910ELNS1_3gpuE8ELNS1_3repE0EEENS1_30default_config_static_selectorELNS0_4arch9wavefront6targetE0EEEvT1_.has_indirect_call, 0
	.section	.AMDGPU.csdata,"",@progbits
; Kernel info:
; codeLenInByte = 0
; TotalNumSgprs: 0
; NumVgprs: 0
; ScratchSize: 0
; MemoryBound: 0
; FloatMode: 240
; IeeeMode: 1
; LDSByteSize: 0 bytes/workgroup (compile time only)
; SGPRBlocks: 0
; VGPRBlocks: 0
; NumSGPRsForWavesPerEU: 1
; NumVGPRsForWavesPerEU: 1
; NamedBarCnt: 0
; Occupancy: 16
; WaveLimiterHint : 0
; COMPUTE_PGM_RSRC2:SCRATCH_EN: 0
; COMPUTE_PGM_RSRC2:USER_SGPR: 2
; COMPUTE_PGM_RSRC2:TRAP_HANDLER: 0
; COMPUTE_PGM_RSRC2:TGID_X_EN: 1
; COMPUTE_PGM_RSRC2:TGID_Y_EN: 0
; COMPUTE_PGM_RSRC2:TGID_Z_EN: 0
; COMPUTE_PGM_RSRC2:TIDIG_COMP_CNT: 0
	.section	.text._ZN7rocprim17ROCPRIM_400000_NS6detail17trampoline_kernelINS0_14default_configENS1_25transform_config_selectorIlLb0EEEZNS1_14transform_implILb0ES3_S5_NS0_18transform_iteratorINS0_17counting_iteratorImlEEZNS1_24adjacent_difference_implIS3_Lb1ELb0EPlSB_ZN2at6native12_GLOBAL__N_124unique_dim_cuda_templateIN3c104HalfEEESt5tupleIJNSC_6TensorESJ_SJ_EERKSJ_lbbbEUlllE1_EE10hipError_tPvRmT2_T3_mT4_P12ihipStream_tbEUlmE_lEESB_NS0_8identityIvEEEESO_SR_SS_mST_SV_bEUlT_E_NS1_11comp_targetILNS1_3genE3ELNS1_11target_archE908ELNS1_3gpuE7ELNS1_3repE0EEENS1_30default_config_static_selectorELNS0_4arch9wavefront6targetE0EEEvT1_,"axG",@progbits,_ZN7rocprim17ROCPRIM_400000_NS6detail17trampoline_kernelINS0_14default_configENS1_25transform_config_selectorIlLb0EEEZNS1_14transform_implILb0ES3_S5_NS0_18transform_iteratorINS0_17counting_iteratorImlEEZNS1_24adjacent_difference_implIS3_Lb1ELb0EPlSB_ZN2at6native12_GLOBAL__N_124unique_dim_cuda_templateIN3c104HalfEEESt5tupleIJNSC_6TensorESJ_SJ_EERKSJ_lbbbEUlllE1_EE10hipError_tPvRmT2_T3_mT4_P12ihipStream_tbEUlmE_lEESB_NS0_8identityIvEEEESO_SR_SS_mST_SV_bEUlT_E_NS1_11comp_targetILNS1_3genE3ELNS1_11target_archE908ELNS1_3gpuE7ELNS1_3repE0EEENS1_30default_config_static_selectorELNS0_4arch9wavefront6targetE0EEEvT1_,comdat
	.globl	_ZN7rocprim17ROCPRIM_400000_NS6detail17trampoline_kernelINS0_14default_configENS1_25transform_config_selectorIlLb0EEEZNS1_14transform_implILb0ES3_S5_NS0_18transform_iteratorINS0_17counting_iteratorImlEEZNS1_24adjacent_difference_implIS3_Lb1ELb0EPlSB_ZN2at6native12_GLOBAL__N_124unique_dim_cuda_templateIN3c104HalfEEESt5tupleIJNSC_6TensorESJ_SJ_EERKSJ_lbbbEUlllE1_EE10hipError_tPvRmT2_T3_mT4_P12ihipStream_tbEUlmE_lEESB_NS0_8identityIvEEEESO_SR_SS_mST_SV_bEUlT_E_NS1_11comp_targetILNS1_3genE3ELNS1_11target_archE908ELNS1_3gpuE7ELNS1_3repE0EEENS1_30default_config_static_selectorELNS0_4arch9wavefront6targetE0EEEvT1_ ; -- Begin function _ZN7rocprim17ROCPRIM_400000_NS6detail17trampoline_kernelINS0_14default_configENS1_25transform_config_selectorIlLb0EEEZNS1_14transform_implILb0ES3_S5_NS0_18transform_iteratorINS0_17counting_iteratorImlEEZNS1_24adjacent_difference_implIS3_Lb1ELb0EPlSB_ZN2at6native12_GLOBAL__N_124unique_dim_cuda_templateIN3c104HalfEEESt5tupleIJNSC_6TensorESJ_SJ_EERKSJ_lbbbEUlllE1_EE10hipError_tPvRmT2_T3_mT4_P12ihipStream_tbEUlmE_lEESB_NS0_8identityIvEEEESO_SR_SS_mST_SV_bEUlT_E_NS1_11comp_targetILNS1_3genE3ELNS1_11target_archE908ELNS1_3gpuE7ELNS1_3repE0EEENS1_30default_config_static_selectorELNS0_4arch9wavefront6targetE0EEEvT1_
	.p2align	8
	.type	_ZN7rocprim17ROCPRIM_400000_NS6detail17trampoline_kernelINS0_14default_configENS1_25transform_config_selectorIlLb0EEEZNS1_14transform_implILb0ES3_S5_NS0_18transform_iteratorINS0_17counting_iteratorImlEEZNS1_24adjacent_difference_implIS3_Lb1ELb0EPlSB_ZN2at6native12_GLOBAL__N_124unique_dim_cuda_templateIN3c104HalfEEESt5tupleIJNSC_6TensorESJ_SJ_EERKSJ_lbbbEUlllE1_EE10hipError_tPvRmT2_T3_mT4_P12ihipStream_tbEUlmE_lEESB_NS0_8identityIvEEEESO_SR_SS_mST_SV_bEUlT_E_NS1_11comp_targetILNS1_3genE3ELNS1_11target_archE908ELNS1_3gpuE7ELNS1_3repE0EEENS1_30default_config_static_selectorELNS0_4arch9wavefront6targetE0EEEvT1_,@function
_ZN7rocprim17ROCPRIM_400000_NS6detail17trampoline_kernelINS0_14default_configENS1_25transform_config_selectorIlLb0EEEZNS1_14transform_implILb0ES3_S5_NS0_18transform_iteratorINS0_17counting_iteratorImlEEZNS1_24adjacent_difference_implIS3_Lb1ELb0EPlSB_ZN2at6native12_GLOBAL__N_124unique_dim_cuda_templateIN3c104HalfEEESt5tupleIJNSC_6TensorESJ_SJ_EERKSJ_lbbbEUlllE1_EE10hipError_tPvRmT2_T3_mT4_P12ihipStream_tbEUlmE_lEESB_NS0_8identityIvEEEESO_SR_SS_mST_SV_bEUlT_E_NS1_11comp_targetILNS1_3genE3ELNS1_11target_archE908ELNS1_3gpuE7ELNS1_3repE0EEENS1_30default_config_static_selectorELNS0_4arch9wavefront6targetE0EEEvT1_: ; @_ZN7rocprim17ROCPRIM_400000_NS6detail17trampoline_kernelINS0_14default_configENS1_25transform_config_selectorIlLb0EEEZNS1_14transform_implILb0ES3_S5_NS0_18transform_iteratorINS0_17counting_iteratorImlEEZNS1_24adjacent_difference_implIS3_Lb1ELb0EPlSB_ZN2at6native12_GLOBAL__N_124unique_dim_cuda_templateIN3c104HalfEEESt5tupleIJNSC_6TensorESJ_SJ_EERKSJ_lbbbEUlllE1_EE10hipError_tPvRmT2_T3_mT4_P12ihipStream_tbEUlmE_lEESB_NS0_8identityIvEEEESO_SR_SS_mST_SV_bEUlT_E_NS1_11comp_targetILNS1_3genE3ELNS1_11target_archE908ELNS1_3gpuE7ELNS1_3repE0EEENS1_30default_config_static_selectorELNS0_4arch9wavefront6targetE0EEEvT1_
; %bb.0:
	.section	.rodata,"a",@progbits
	.p2align	6, 0x0
	.amdhsa_kernel _ZN7rocprim17ROCPRIM_400000_NS6detail17trampoline_kernelINS0_14default_configENS1_25transform_config_selectorIlLb0EEEZNS1_14transform_implILb0ES3_S5_NS0_18transform_iteratorINS0_17counting_iteratorImlEEZNS1_24adjacent_difference_implIS3_Lb1ELb0EPlSB_ZN2at6native12_GLOBAL__N_124unique_dim_cuda_templateIN3c104HalfEEESt5tupleIJNSC_6TensorESJ_SJ_EERKSJ_lbbbEUlllE1_EE10hipError_tPvRmT2_T3_mT4_P12ihipStream_tbEUlmE_lEESB_NS0_8identityIvEEEESO_SR_SS_mST_SV_bEUlT_E_NS1_11comp_targetILNS1_3genE3ELNS1_11target_archE908ELNS1_3gpuE7ELNS1_3repE0EEENS1_30default_config_static_selectorELNS0_4arch9wavefront6targetE0EEEvT1_
		.amdhsa_group_segment_fixed_size 0
		.amdhsa_private_segment_fixed_size 0
		.amdhsa_kernarg_size 56
		.amdhsa_user_sgpr_count 2
		.amdhsa_user_sgpr_dispatch_ptr 0
		.amdhsa_user_sgpr_queue_ptr 0
		.amdhsa_user_sgpr_kernarg_segment_ptr 1
		.amdhsa_user_sgpr_dispatch_id 0
		.amdhsa_user_sgpr_kernarg_preload_length 0
		.amdhsa_user_sgpr_kernarg_preload_offset 0
		.amdhsa_user_sgpr_private_segment_size 0
		.amdhsa_wavefront_size32 1
		.amdhsa_uses_dynamic_stack 0
		.amdhsa_enable_private_segment 0
		.amdhsa_system_sgpr_workgroup_id_x 1
		.amdhsa_system_sgpr_workgroup_id_y 0
		.amdhsa_system_sgpr_workgroup_id_z 0
		.amdhsa_system_sgpr_workgroup_info 0
		.amdhsa_system_vgpr_workitem_id 0
		.amdhsa_next_free_vgpr 1
		.amdhsa_next_free_sgpr 1
		.amdhsa_named_barrier_count 0
		.amdhsa_reserve_vcc 0
		.amdhsa_float_round_mode_32 0
		.amdhsa_float_round_mode_16_64 0
		.amdhsa_float_denorm_mode_32 3
		.amdhsa_float_denorm_mode_16_64 3
		.amdhsa_fp16_overflow 0
		.amdhsa_memory_ordered 1
		.amdhsa_forward_progress 1
		.amdhsa_inst_pref_size 0
		.amdhsa_round_robin_scheduling 0
		.amdhsa_exception_fp_ieee_invalid_op 0
		.amdhsa_exception_fp_denorm_src 0
		.amdhsa_exception_fp_ieee_div_zero 0
		.amdhsa_exception_fp_ieee_overflow 0
		.amdhsa_exception_fp_ieee_underflow 0
		.amdhsa_exception_fp_ieee_inexact 0
		.amdhsa_exception_int_div_zero 0
	.end_amdhsa_kernel
	.section	.text._ZN7rocprim17ROCPRIM_400000_NS6detail17trampoline_kernelINS0_14default_configENS1_25transform_config_selectorIlLb0EEEZNS1_14transform_implILb0ES3_S5_NS0_18transform_iteratorINS0_17counting_iteratorImlEEZNS1_24adjacent_difference_implIS3_Lb1ELb0EPlSB_ZN2at6native12_GLOBAL__N_124unique_dim_cuda_templateIN3c104HalfEEESt5tupleIJNSC_6TensorESJ_SJ_EERKSJ_lbbbEUlllE1_EE10hipError_tPvRmT2_T3_mT4_P12ihipStream_tbEUlmE_lEESB_NS0_8identityIvEEEESO_SR_SS_mST_SV_bEUlT_E_NS1_11comp_targetILNS1_3genE3ELNS1_11target_archE908ELNS1_3gpuE7ELNS1_3repE0EEENS1_30default_config_static_selectorELNS0_4arch9wavefront6targetE0EEEvT1_,"axG",@progbits,_ZN7rocprim17ROCPRIM_400000_NS6detail17trampoline_kernelINS0_14default_configENS1_25transform_config_selectorIlLb0EEEZNS1_14transform_implILb0ES3_S5_NS0_18transform_iteratorINS0_17counting_iteratorImlEEZNS1_24adjacent_difference_implIS3_Lb1ELb0EPlSB_ZN2at6native12_GLOBAL__N_124unique_dim_cuda_templateIN3c104HalfEEESt5tupleIJNSC_6TensorESJ_SJ_EERKSJ_lbbbEUlllE1_EE10hipError_tPvRmT2_T3_mT4_P12ihipStream_tbEUlmE_lEESB_NS0_8identityIvEEEESO_SR_SS_mST_SV_bEUlT_E_NS1_11comp_targetILNS1_3genE3ELNS1_11target_archE908ELNS1_3gpuE7ELNS1_3repE0EEENS1_30default_config_static_selectorELNS0_4arch9wavefront6targetE0EEEvT1_,comdat
.Lfunc_end1283:
	.size	_ZN7rocprim17ROCPRIM_400000_NS6detail17trampoline_kernelINS0_14default_configENS1_25transform_config_selectorIlLb0EEEZNS1_14transform_implILb0ES3_S5_NS0_18transform_iteratorINS0_17counting_iteratorImlEEZNS1_24adjacent_difference_implIS3_Lb1ELb0EPlSB_ZN2at6native12_GLOBAL__N_124unique_dim_cuda_templateIN3c104HalfEEESt5tupleIJNSC_6TensorESJ_SJ_EERKSJ_lbbbEUlllE1_EE10hipError_tPvRmT2_T3_mT4_P12ihipStream_tbEUlmE_lEESB_NS0_8identityIvEEEESO_SR_SS_mST_SV_bEUlT_E_NS1_11comp_targetILNS1_3genE3ELNS1_11target_archE908ELNS1_3gpuE7ELNS1_3repE0EEENS1_30default_config_static_selectorELNS0_4arch9wavefront6targetE0EEEvT1_, .Lfunc_end1283-_ZN7rocprim17ROCPRIM_400000_NS6detail17trampoline_kernelINS0_14default_configENS1_25transform_config_selectorIlLb0EEEZNS1_14transform_implILb0ES3_S5_NS0_18transform_iteratorINS0_17counting_iteratorImlEEZNS1_24adjacent_difference_implIS3_Lb1ELb0EPlSB_ZN2at6native12_GLOBAL__N_124unique_dim_cuda_templateIN3c104HalfEEESt5tupleIJNSC_6TensorESJ_SJ_EERKSJ_lbbbEUlllE1_EE10hipError_tPvRmT2_T3_mT4_P12ihipStream_tbEUlmE_lEESB_NS0_8identityIvEEEESO_SR_SS_mST_SV_bEUlT_E_NS1_11comp_targetILNS1_3genE3ELNS1_11target_archE908ELNS1_3gpuE7ELNS1_3repE0EEENS1_30default_config_static_selectorELNS0_4arch9wavefront6targetE0EEEvT1_
                                        ; -- End function
	.set _ZN7rocprim17ROCPRIM_400000_NS6detail17trampoline_kernelINS0_14default_configENS1_25transform_config_selectorIlLb0EEEZNS1_14transform_implILb0ES3_S5_NS0_18transform_iteratorINS0_17counting_iteratorImlEEZNS1_24adjacent_difference_implIS3_Lb1ELb0EPlSB_ZN2at6native12_GLOBAL__N_124unique_dim_cuda_templateIN3c104HalfEEESt5tupleIJNSC_6TensorESJ_SJ_EERKSJ_lbbbEUlllE1_EE10hipError_tPvRmT2_T3_mT4_P12ihipStream_tbEUlmE_lEESB_NS0_8identityIvEEEESO_SR_SS_mST_SV_bEUlT_E_NS1_11comp_targetILNS1_3genE3ELNS1_11target_archE908ELNS1_3gpuE7ELNS1_3repE0EEENS1_30default_config_static_selectorELNS0_4arch9wavefront6targetE0EEEvT1_.num_vgpr, 0
	.set _ZN7rocprim17ROCPRIM_400000_NS6detail17trampoline_kernelINS0_14default_configENS1_25transform_config_selectorIlLb0EEEZNS1_14transform_implILb0ES3_S5_NS0_18transform_iteratorINS0_17counting_iteratorImlEEZNS1_24adjacent_difference_implIS3_Lb1ELb0EPlSB_ZN2at6native12_GLOBAL__N_124unique_dim_cuda_templateIN3c104HalfEEESt5tupleIJNSC_6TensorESJ_SJ_EERKSJ_lbbbEUlllE1_EE10hipError_tPvRmT2_T3_mT4_P12ihipStream_tbEUlmE_lEESB_NS0_8identityIvEEEESO_SR_SS_mST_SV_bEUlT_E_NS1_11comp_targetILNS1_3genE3ELNS1_11target_archE908ELNS1_3gpuE7ELNS1_3repE0EEENS1_30default_config_static_selectorELNS0_4arch9wavefront6targetE0EEEvT1_.num_agpr, 0
	.set _ZN7rocprim17ROCPRIM_400000_NS6detail17trampoline_kernelINS0_14default_configENS1_25transform_config_selectorIlLb0EEEZNS1_14transform_implILb0ES3_S5_NS0_18transform_iteratorINS0_17counting_iteratorImlEEZNS1_24adjacent_difference_implIS3_Lb1ELb0EPlSB_ZN2at6native12_GLOBAL__N_124unique_dim_cuda_templateIN3c104HalfEEESt5tupleIJNSC_6TensorESJ_SJ_EERKSJ_lbbbEUlllE1_EE10hipError_tPvRmT2_T3_mT4_P12ihipStream_tbEUlmE_lEESB_NS0_8identityIvEEEESO_SR_SS_mST_SV_bEUlT_E_NS1_11comp_targetILNS1_3genE3ELNS1_11target_archE908ELNS1_3gpuE7ELNS1_3repE0EEENS1_30default_config_static_selectorELNS0_4arch9wavefront6targetE0EEEvT1_.numbered_sgpr, 0
	.set _ZN7rocprim17ROCPRIM_400000_NS6detail17trampoline_kernelINS0_14default_configENS1_25transform_config_selectorIlLb0EEEZNS1_14transform_implILb0ES3_S5_NS0_18transform_iteratorINS0_17counting_iteratorImlEEZNS1_24adjacent_difference_implIS3_Lb1ELb0EPlSB_ZN2at6native12_GLOBAL__N_124unique_dim_cuda_templateIN3c104HalfEEESt5tupleIJNSC_6TensorESJ_SJ_EERKSJ_lbbbEUlllE1_EE10hipError_tPvRmT2_T3_mT4_P12ihipStream_tbEUlmE_lEESB_NS0_8identityIvEEEESO_SR_SS_mST_SV_bEUlT_E_NS1_11comp_targetILNS1_3genE3ELNS1_11target_archE908ELNS1_3gpuE7ELNS1_3repE0EEENS1_30default_config_static_selectorELNS0_4arch9wavefront6targetE0EEEvT1_.num_named_barrier, 0
	.set _ZN7rocprim17ROCPRIM_400000_NS6detail17trampoline_kernelINS0_14default_configENS1_25transform_config_selectorIlLb0EEEZNS1_14transform_implILb0ES3_S5_NS0_18transform_iteratorINS0_17counting_iteratorImlEEZNS1_24adjacent_difference_implIS3_Lb1ELb0EPlSB_ZN2at6native12_GLOBAL__N_124unique_dim_cuda_templateIN3c104HalfEEESt5tupleIJNSC_6TensorESJ_SJ_EERKSJ_lbbbEUlllE1_EE10hipError_tPvRmT2_T3_mT4_P12ihipStream_tbEUlmE_lEESB_NS0_8identityIvEEEESO_SR_SS_mST_SV_bEUlT_E_NS1_11comp_targetILNS1_3genE3ELNS1_11target_archE908ELNS1_3gpuE7ELNS1_3repE0EEENS1_30default_config_static_selectorELNS0_4arch9wavefront6targetE0EEEvT1_.private_seg_size, 0
	.set _ZN7rocprim17ROCPRIM_400000_NS6detail17trampoline_kernelINS0_14default_configENS1_25transform_config_selectorIlLb0EEEZNS1_14transform_implILb0ES3_S5_NS0_18transform_iteratorINS0_17counting_iteratorImlEEZNS1_24adjacent_difference_implIS3_Lb1ELb0EPlSB_ZN2at6native12_GLOBAL__N_124unique_dim_cuda_templateIN3c104HalfEEESt5tupleIJNSC_6TensorESJ_SJ_EERKSJ_lbbbEUlllE1_EE10hipError_tPvRmT2_T3_mT4_P12ihipStream_tbEUlmE_lEESB_NS0_8identityIvEEEESO_SR_SS_mST_SV_bEUlT_E_NS1_11comp_targetILNS1_3genE3ELNS1_11target_archE908ELNS1_3gpuE7ELNS1_3repE0EEENS1_30default_config_static_selectorELNS0_4arch9wavefront6targetE0EEEvT1_.uses_vcc, 0
	.set _ZN7rocprim17ROCPRIM_400000_NS6detail17trampoline_kernelINS0_14default_configENS1_25transform_config_selectorIlLb0EEEZNS1_14transform_implILb0ES3_S5_NS0_18transform_iteratorINS0_17counting_iteratorImlEEZNS1_24adjacent_difference_implIS3_Lb1ELb0EPlSB_ZN2at6native12_GLOBAL__N_124unique_dim_cuda_templateIN3c104HalfEEESt5tupleIJNSC_6TensorESJ_SJ_EERKSJ_lbbbEUlllE1_EE10hipError_tPvRmT2_T3_mT4_P12ihipStream_tbEUlmE_lEESB_NS0_8identityIvEEEESO_SR_SS_mST_SV_bEUlT_E_NS1_11comp_targetILNS1_3genE3ELNS1_11target_archE908ELNS1_3gpuE7ELNS1_3repE0EEENS1_30default_config_static_selectorELNS0_4arch9wavefront6targetE0EEEvT1_.uses_flat_scratch, 0
	.set _ZN7rocprim17ROCPRIM_400000_NS6detail17trampoline_kernelINS0_14default_configENS1_25transform_config_selectorIlLb0EEEZNS1_14transform_implILb0ES3_S5_NS0_18transform_iteratorINS0_17counting_iteratorImlEEZNS1_24adjacent_difference_implIS3_Lb1ELb0EPlSB_ZN2at6native12_GLOBAL__N_124unique_dim_cuda_templateIN3c104HalfEEESt5tupleIJNSC_6TensorESJ_SJ_EERKSJ_lbbbEUlllE1_EE10hipError_tPvRmT2_T3_mT4_P12ihipStream_tbEUlmE_lEESB_NS0_8identityIvEEEESO_SR_SS_mST_SV_bEUlT_E_NS1_11comp_targetILNS1_3genE3ELNS1_11target_archE908ELNS1_3gpuE7ELNS1_3repE0EEENS1_30default_config_static_selectorELNS0_4arch9wavefront6targetE0EEEvT1_.has_dyn_sized_stack, 0
	.set _ZN7rocprim17ROCPRIM_400000_NS6detail17trampoline_kernelINS0_14default_configENS1_25transform_config_selectorIlLb0EEEZNS1_14transform_implILb0ES3_S5_NS0_18transform_iteratorINS0_17counting_iteratorImlEEZNS1_24adjacent_difference_implIS3_Lb1ELb0EPlSB_ZN2at6native12_GLOBAL__N_124unique_dim_cuda_templateIN3c104HalfEEESt5tupleIJNSC_6TensorESJ_SJ_EERKSJ_lbbbEUlllE1_EE10hipError_tPvRmT2_T3_mT4_P12ihipStream_tbEUlmE_lEESB_NS0_8identityIvEEEESO_SR_SS_mST_SV_bEUlT_E_NS1_11comp_targetILNS1_3genE3ELNS1_11target_archE908ELNS1_3gpuE7ELNS1_3repE0EEENS1_30default_config_static_selectorELNS0_4arch9wavefront6targetE0EEEvT1_.has_recursion, 0
	.set _ZN7rocprim17ROCPRIM_400000_NS6detail17trampoline_kernelINS0_14default_configENS1_25transform_config_selectorIlLb0EEEZNS1_14transform_implILb0ES3_S5_NS0_18transform_iteratorINS0_17counting_iteratorImlEEZNS1_24adjacent_difference_implIS3_Lb1ELb0EPlSB_ZN2at6native12_GLOBAL__N_124unique_dim_cuda_templateIN3c104HalfEEESt5tupleIJNSC_6TensorESJ_SJ_EERKSJ_lbbbEUlllE1_EE10hipError_tPvRmT2_T3_mT4_P12ihipStream_tbEUlmE_lEESB_NS0_8identityIvEEEESO_SR_SS_mST_SV_bEUlT_E_NS1_11comp_targetILNS1_3genE3ELNS1_11target_archE908ELNS1_3gpuE7ELNS1_3repE0EEENS1_30default_config_static_selectorELNS0_4arch9wavefront6targetE0EEEvT1_.has_indirect_call, 0
	.section	.AMDGPU.csdata,"",@progbits
; Kernel info:
; codeLenInByte = 0
; TotalNumSgprs: 0
; NumVgprs: 0
; ScratchSize: 0
; MemoryBound: 0
; FloatMode: 240
; IeeeMode: 1
; LDSByteSize: 0 bytes/workgroup (compile time only)
; SGPRBlocks: 0
; VGPRBlocks: 0
; NumSGPRsForWavesPerEU: 1
; NumVGPRsForWavesPerEU: 1
; NamedBarCnt: 0
; Occupancy: 16
; WaveLimiterHint : 0
; COMPUTE_PGM_RSRC2:SCRATCH_EN: 0
; COMPUTE_PGM_RSRC2:USER_SGPR: 2
; COMPUTE_PGM_RSRC2:TRAP_HANDLER: 0
; COMPUTE_PGM_RSRC2:TGID_X_EN: 1
; COMPUTE_PGM_RSRC2:TGID_Y_EN: 0
; COMPUTE_PGM_RSRC2:TGID_Z_EN: 0
; COMPUTE_PGM_RSRC2:TIDIG_COMP_CNT: 0
	.section	.text._ZN7rocprim17ROCPRIM_400000_NS6detail17trampoline_kernelINS0_14default_configENS1_25transform_config_selectorIlLb0EEEZNS1_14transform_implILb0ES3_S5_NS0_18transform_iteratorINS0_17counting_iteratorImlEEZNS1_24adjacent_difference_implIS3_Lb1ELb0EPlSB_ZN2at6native12_GLOBAL__N_124unique_dim_cuda_templateIN3c104HalfEEESt5tupleIJNSC_6TensorESJ_SJ_EERKSJ_lbbbEUlllE1_EE10hipError_tPvRmT2_T3_mT4_P12ihipStream_tbEUlmE_lEESB_NS0_8identityIvEEEESO_SR_SS_mST_SV_bEUlT_E_NS1_11comp_targetILNS1_3genE2ELNS1_11target_archE906ELNS1_3gpuE6ELNS1_3repE0EEENS1_30default_config_static_selectorELNS0_4arch9wavefront6targetE0EEEvT1_,"axG",@progbits,_ZN7rocprim17ROCPRIM_400000_NS6detail17trampoline_kernelINS0_14default_configENS1_25transform_config_selectorIlLb0EEEZNS1_14transform_implILb0ES3_S5_NS0_18transform_iteratorINS0_17counting_iteratorImlEEZNS1_24adjacent_difference_implIS3_Lb1ELb0EPlSB_ZN2at6native12_GLOBAL__N_124unique_dim_cuda_templateIN3c104HalfEEESt5tupleIJNSC_6TensorESJ_SJ_EERKSJ_lbbbEUlllE1_EE10hipError_tPvRmT2_T3_mT4_P12ihipStream_tbEUlmE_lEESB_NS0_8identityIvEEEESO_SR_SS_mST_SV_bEUlT_E_NS1_11comp_targetILNS1_3genE2ELNS1_11target_archE906ELNS1_3gpuE6ELNS1_3repE0EEENS1_30default_config_static_selectorELNS0_4arch9wavefront6targetE0EEEvT1_,comdat
	.globl	_ZN7rocprim17ROCPRIM_400000_NS6detail17trampoline_kernelINS0_14default_configENS1_25transform_config_selectorIlLb0EEEZNS1_14transform_implILb0ES3_S5_NS0_18transform_iteratorINS0_17counting_iteratorImlEEZNS1_24adjacent_difference_implIS3_Lb1ELb0EPlSB_ZN2at6native12_GLOBAL__N_124unique_dim_cuda_templateIN3c104HalfEEESt5tupleIJNSC_6TensorESJ_SJ_EERKSJ_lbbbEUlllE1_EE10hipError_tPvRmT2_T3_mT4_P12ihipStream_tbEUlmE_lEESB_NS0_8identityIvEEEESO_SR_SS_mST_SV_bEUlT_E_NS1_11comp_targetILNS1_3genE2ELNS1_11target_archE906ELNS1_3gpuE6ELNS1_3repE0EEENS1_30default_config_static_selectorELNS0_4arch9wavefront6targetE0EEEvT1_ ; -- Begin function _ZN7rocprim17ROCPRIM_400000_NS6detail17trampoline_kernelINS0_14default_configENS1_25transform_config_selectorIlLb0EEEZNS1_14transform_implILb0ES3_S5_NS0_18transform_iteratorINS0_17counting_iteratorImlEEZNS1_24adjacent_difference_implIS3_Lb1ELb0EPlSB_ZN2at6native12_GLOBAL__N_124unique_dim_cuda_templateIN3c104HalfEEESt5tupleIJNSC_6TensorESJ_SJ_EERKSJ_lbbbEUlllE1_EE10hipError_tPvRmT2_T3_mT4_P12ihipStream_tbEUlmE_lEESB_NS0_8identityIvEEEESO_SR_SS_mST_SV_bEUlT_E_NS1_11comp_targetILNS1_3genE2ELNS1_11target_archE906ELNS1_3gpuE6ELNS1_3repE0EEENS1_30default_config_static_selectorELNS0_4arch9wavefront6targetE0EEEvT1_
	.p2align	8
	.type	_ZN7rocprim17ROCPRIM_400000_NS6detail17trampoline_kernelINS0_14default_configENS1_25transform_config_selectorIlLb0EEEZNS1_14transform_implILb0ES3_S5_NS0_18transform_iteratorINS0_17counting_iteratorImlEEZNS1_24adjacent_difference_implIS3_Lb1ELb0EPlSB_ZN2at6native12_GLOBAL__N_124unique_dim_cuda_templateIN3c104HalfEEESt5tupleIJNSC_6TensorESJ_SJ_EERKSJ_lbbbEUlllE1_EE10hipError_tPvRmT2_T3_mT4_P12ihipStream_tbEUlmE_lEESB_NS0_8identityIvEEEESO_SR_SS_mST_SV_bEUlT_E_NS1_11comp_targetILNS1_3genE2ELNS1_11target_archE906ELNS1_3gpuE6ELNS1_3repE0EEENS1_30default_config_static_selectorELNS0_4arch9wavefront6targetE0EEEvT1_,@function
_ZN7rocprim17ROCPRIM_400000_NS6detail17trampoline_kernelINS0_14default_configENS1_25transform_config_selectorIlLb0EEEZNS1_14transform_implILb0ES3_S5_NS0_18transform_iteratorINS0_17counting_iteratorImlEEZNS1_24adjacent_difference_implIS3_Lb1ELb0EPlSB_ZN2at6native12_GLOBAL__N_124unique_dim_cuda_templateIN3c104HalfEEESt5tupleIJNSC_6TensorESJ_SJ_EERKSJ_lbbbEUlllE1_EE10hipError_tPvRmT2_T3_mT4_P12ihipStream_tbEUlmE_lEESB_NS0_8identityIvEEEESO_SR_SS_mST_SV_bEUlT_E_NS1_11comp_targetILNS1_3genE2ELNS1_11target_archE906ELNS1_3gpuE6ELNS1_3repE0EEENS1_30default_config_static_selectorELNS0_4arch9wavefront6targetE0EEEvT1_: ; @_ZN7rocprim17ROCPRIM_400000_NS6detail17trampoline_kernelINS0_14default_configENS1_25transform_config_selectorIlLb0EEEZNS1_14transform_implILb0ES3_S5_NS0_18transform_iteratorINS0_17counting_iteratorImlEEZNS1_24adjacent_difference_implIS3_Lb1ELb0EPlSB_ZN2at6native12_GLOBAL__N_124unique_dim_cuda_templateIN3c104HalfEEESt5tupleIJNSC_6TensorESJ_SJ_EERKSJ_lbbbEUlllE1_EE10hipError_tPvRmT2_T3_mT4_P12ihipStream_tbEUlmE_lEESB_NS0_8identityIvEEEESO_SR_SS_mST_SV_bEUlT_E_NS1_11comp_targetILNS1_3genE2ELNS1_11target_archE906ELNS1_3gpuE6ELNS1_3repE0EEENS1_30default_config_static_selectorELNS0_4arch9wavefront6targetE0EEEvT1_
; %bb.0:
	.section	.rodata,"a",@progbits
	.p2align	6, 0x0
	.amdhsa_kernel _ZN7rocprim17ROCPRIM_400000_NS6detail17trampoline_kernelINS0_14default_configENS1_25transform_config_selectorIlLb0EEEZNS1_14transform_implILb0ES3_S5_NS0_18transform_iteratorINS0_17counting_iteratorImlEEZNS1_24adjacent_difference_implIS3_Lb1ELb0EPlSB_ZN2at6native12_GLOBAL__N_124unique_dim_cuda_templateIN3c104HalfEEESt5tupleIJNSC_6TensorESJ_SJ_EERKSJ_lbbbEUlllE1_EE10hipError_tPvRmT2_T3_mT4_P12ihipStream_tbEUlmE_lEESB_NS0_8identityIvEEEESO_SR_SS_mST_SV_bEUlT_E_NS1_11comp_targetILNS1_3genE2ELNS1_11target_archE906ELNS1_3gpuE6ELNS1_3repE0EEENS1_30default_config_static_selectorELNS0_4arch9wavefront6targetE0EEEvT1_
		.amdhsa_group_segment_fixed_size 0
		.amdhsa_private_segment_fixed_size 0
		.amdhsa_kernarg_size 56
		.amdhsa_user_sgpr_count 2
		.amdhsa_user_sgpr_dispatch_ptr 0
		.amdhsa_user_sgpr_queue_ptr 0
		.amdhsa_user_sgpr_kernarg_segment_ptr 1
		.amdhsa_user_sgpr_dispatch_id 0
		.amdhsa_user_sgpr_kernarg_preload_length 0
		.amdhsa_user_sgpr_kernarg_preload_offset 0
		.amdhsa_user_sgpr_private_segment_size 0
		.amdhsa_wavefront_size32 1
		.amdhsa_uses_dynamic_stack 0
		.amdhsa_enable_private_segment 0
		.amdhsa_system_sgpr_workgroup_id_x 1
		.amdhsa_system_sgpr_workgroup_id_y 0
		.amdhsa_system_sgpr_workgroup_id_z 0
		.amdhsa_system_sgpr_workgroup_info 0
		.amdhsa_system_vgpr_workitem_id 0
		.amdhsa_next_free_vgpr 1
		.amdhsa_next_free_sgpr 1
		.amdhsa_named_barrier_count 0
		.amdhsa_reserve_vcc 0
		.amdhsa_float_round_mode_32 0
		.amdhsa_float_round_mode_16_64 0
		.amdhsa_float_denorm_mode_32 3
		.amdhsa_float_denorm_mode_16_64 3
		.amdhsa_fp16_overflow 0
		.amdhsa_memory_ordered 1
		.amdhsa_forward_progress 1
		.amdhsa_inst_pref_size 0
		.amdhsa_round_robin_scheduling 0
		.amdhsa_exception_fp_ieee_invalid_op 0
		.amdhsa_exception_fp_denorm_src 0
		.amdhsa_exception_fp_ieee_div_zero 0
		.amdhsa_exception_fp_ieee_overflow 0
		.amdhsa_exception_fp_ieee_underflow 0
		.amdhsa_exception_fp_ieee_inexact 0
		.amdhsa_exception_int_div_zero 0
	.end_amdhsa_kernel
	.section	.text._ZN7rocprim17ROCPRIM_400000_NS6detail17trampoline_kernelINS0_14default_configENS1_25transform_config_selectorIlLb0EEEZNS1_14transform_implILb0ES3_S5_NS0_18transform_iteratorINS0_17counting_iteratorImlEEZNS1_24adjacent_difference_implIS3_Lb1ELb0EPlSB_ZN2at6native12_GLOBAL__N_124unique_dim_cuda_templateIN3c104HalfEEESt5tupleIJNSC_6TensorESJ_SJ_EERKSJ_lbbbEUlllE1_EE10hipError_tPvRmT2_T3_mT4_P12ihipStream_tbEUlmE_lEESB_NS0_8identityIvEEEESO_SR_SS_mST_SV_bEUlT_E_NS1_11comp_targetILNS1_3genE2ELNS1_11target_archE906ELNS1_3gpuE6ELNS1_3repE0EEENS1_30default_config_static_selectorELNS0_4arch9wavefront6targetE0EEEvT1_,"axG",@progbits,_ZN7rocprim17ROCPRIM_400000_NS6detail17trampoline_kernelINS0_14default_configENS1_25transform_config_selectorIlLb0EEEZNS1_14transform_implILb0ES3_S5_NS0_18transform_iteratorINS0_17counting_iteratorImlEEZNS1_24adjacent_difference_implIS3_Lb1ELb0EPlSB_ZN2at6native12_GLOBAL__N_124unique_dim_cuda_templateIN3c104HalfEEESt5tupleIJNSC_6TensorESJ_SJ_EERKSJ_lbbbEUlllE1_EE10hipError_tPvRmT2_T3_mT4_P12ihipStream_tbEUlmE_lEESB_NS0_8identityIvEEEESO_SR_SS_mST_SV_bEUlT_E_NS1_11comp_targetILNS1_3genE2ELNS1_11target_archE906ELNS1_3gpuE6ELNS1_3repE0EEENS1_30default_config_static_selectorELNS0_4arch9wavefront6targetE0EEEvT1_,comdat
.Lfunc_end1284:
	.size	_ZN7rocprim17ROCPRIM_400000_NS6detail17trampoline_kernelINS0_14default_configENS1_25transform_config_selectorIlLb0EEEZNS1_14transform_implILb0ES3_S5_NS0_18transform_iteratorINS0_17counting_iteratorImlEEZNS1_24adjacent_difference_implIS3_Lb1ELb0EPlSB_ZN2at6native12_GLOBAL__N_124unique_dim_cuda_templateIN3c104HalfEEESt5tupleIJNSC_6TensorESJ_SJ_EERKSJ_lbbbEUlllE1_EE10hipError_tPvRmT2_T3_mT4_P12ihipStream_tbEUlmE_lEESB_NS0_8identityIvEEEESO_SR_SS_mST_SV_bEUlT_E_NS1_11comp_targetILNS1_3genE2ELNS1_11target_archE906ELNS1_3gpuE6ELNS1_3repE0EEENS1_30default_config_static_selectorELNS0_4arch9wavefront6targetE0EEEvT1_, .Lfunc_end1284-_ZN7rocprim17ROCPRIM_400000_NS6detail17trampoline_kernelINS0_14default_configENS1_25transform_config_selectorIlLb0EEEZNS1_14transform_implILb0ES3_S5_NS0_18transform_iteratorINS0_17counting_iteratorImlEEZNS1_24adjacent_difference_implIS3_Lb1ELb0EPlSB_ZN2at6native12_GLOBAL__N_124unique_dim_cuda_templateIN3c104HalfEEESt5tupleIJNSC_6TensorESJ_SJ_EERKSJ_lbbbEUlllE1_EE10hipError_tPvRmT2_T3_mT4_P12ihipStream_tbEUlmE_lEESB_NS0_8identityIvEEEESO_SR_SS_mST_SV_bEUlT_E_NS1_11comp_targetILNS1_3genE2ELNS1_11target_archE906ELNS1_3gpuE6ELNS1_3repE0EEENS1_30default_config_static_selectorELNS0_4arch9wavefront6targetE0EEEvT1_
                                        ; -- End function
	.set _ZN7rocprim17ROCPRIM_400000_NS6detail17trampoline_kernelINS0_14default_configENS1_25transform_config_selectorIlLb0EEEZNS1_14transform_implILb0ES3_S5_NS0_18transform_iteratorINS0_17counting_iteratorImlEEZNS1_24adjacent_difference_implIS3_Lb1ELb0EPlSB_ZN2at6native12_GLOBAL__N_124unique_dim_cuda_templateIN3c104HalfEEESt5tupleIJNSC_6TensorESJ_SJ_EERKSJ_lbbbEUlllE1_EE10hipError_tPvRmT2_T3_mT4_P12ihipStream_tbEUlmE_lEESB_NS0_8identityIvEEEESO_SR_SS_mST_SV_bEUlT_E_NS1_11comp_targetILNS1_3genE2ELNS1_11target_archE906ELNS1_3gpuE6ELNS1_3repE0EEENS1_30default_config_static_selectorELNS0_4arch9wavefront6targetE0EEEvT1_.num_vgpr, 0
	.set _ZN7rocprim17ROCPRIM_400000_NS6detail17trampoline_kernelINS0_14default_configENS1_25transform_config_selectorIlLb0EEEZNS1_14transform_implILb0ES3_S5_NS0_18transform_iteratorINS0_17counting_iteratorImlEEZNS1_24adjacent_difference_implIS3_Lb1ELb0EPlSB_ZN2at6native12_GLOBAL__N_124unique_dim_cuda_templateIN3c104HalfEEESt5tupleIJNSC_6TensorESJ_SJ_EERKSJ_lbbbEUlllE1_EE10hipError_tPvRmT2_T3_mT4_P12ihipStream_tbEUlmE_lEESB_NS0_8identityIvEEEESO_SR_SS_mST_SV_bEUlT_E_NS1_11comp_targetILNS1_3genE2ELNS1_11target_archE906ELNS1_3gpuE6ELNS1_3repE0EEENS1_30default_config_static_selectorELNS0_4arch9wavefront6targetE0EEEvT1_.num_agpr, 0
	.set _ZN7rocprim17ROCPRIM_400000_NS6detail17trampoline_kernelINS0_14default_configENS1_25transform_config_selectorIlLb0EEEZNS1_14transform_implILb0ES3_S5_NS0_18transform_iteratorINS0_17counting_iteratorImlEEZNS1_24adjacent_difference_implIS3_Lb1ELb0EPlSB_ZN2at6native12_GLOBAL__N_124unique_dim_cuda_templateIN3c104HalfEEESt5tupleIJNSC_6TensorESJ_SJ_EERKSJ_lbbbEUlllE1_EE10hipError_tPvRmT2_T3_mT4_P12ihipStream_tbEUlmE_lEESB_NS0_8identityIvEEEESO_SR_SS_mST_SV_bEUlT_E_NS1_11comp_targetILNS1_3genE2ELNS1_11target_archE906ELNS1_3gpuE6ELNS1_3repE0EEENS1_30default_config_static_selectorELNS0_4arch9wavefront6targetE0EEEvT1_.numbered_sgpr, 0
	.set _ZN7rocprim17ROCPRIM_400000_NS6detail17trampoline_kernelINS0_14default_configENS1_25transform_config_selectorIlLb0EEEZNS1_14transform_implILb0ES3_S5_NS0_18transform_iteratorINS0_17counting_iteratorImlEEZNS1_24adjacent_difference_implIS3_Lb1ELb0EPlSB_ZN2at6native12_GLOBAL__N_124unique_dim_cuda_templateIN3c104HalfEEESt5tupleIJNSC_6TensorESJ_SJ_EERKSJ_lbbbEUlllE1_EE10hipError_tPvRmT2_T3_mT4_P12ihipStream_tbEUlmE_lEESB_NS0_8identityIvEEEESO_SR_SS_mST_SV_bEUlT_E_NS1_11comp_targetILNS1_3genE2ELNS1_11target_archE906ELNS1_3gpuE6ELNS1_3repE0EEENS1_30default_config_static_selectorELNS0_4arch9wavefront6targetE0EEEvT1_.num_named_barrier, 0
	.set _ZN7rocprim17ROCPRIM_400000_NS6detail17trampoline_kernelINS0_14default_configENS1_25transform_config_selectorIlLb0EEEZNS1_14transform_implILb0ES3_S5_NS0_18transform_iteratorINS0_17counting_iteratorImlEEZNS1_24adjacent_difference_implIS3_Lb1ELb0EPlSB_ZN2at6native12_GLOBAL__N_124unique_dim_cuda_templateIN3c104HalfEEESt5tupleIJNSC_6TensorESJ_SJ_EERKSJ_lbbbEUlllE1_EE10hipError_tPvRmT2_T3_mT4_P12ihipStream_tbEUlmE_lEESB_NS0_8identityIvEEEESO_SR_SS_mST_SV_bEUlT_E_NS1_11comp_targetILNS1_3genE2ELNS1_11target_archE906ELNS1_3gpuE6ELNS1_3repE0EEENS1_30default_config_static_selectorELNS0_4arch9wavefront6targetE0EEEvT1_.private_seg_size, 0
	.set _ZN7rocprim17ROCPRIM_400000_NS6detail17trampoline_kernelINS0_14default_configENS1_25transform_config_selectorIlLb0EEEZNS1_14transform_implILb0ES3_S5_NS0_18transform_iteratorINS0_17counting_iteratorImlEEZNS1_24adjacent_difference_implIS3_Lb1ELb0EPlSB_ZN2at6native12_GLOBAL__N_124unique_dim_cuda_templateIN3c104HalfEEESt5tupleIJNSC_6TensorESJ_SJ_EERKSJ_lbbbEUlllE1_EE10hipError_tPvRmT2_T3_mT4_P12ihipStream_tbEUlmE_lEESB_NS0_8identityIvEEEESO_SR_SS_mST_SV_bEUlT_E_NS1_11comp_targetILNS1_3genE2ELNS1_11target_archE906ELNS1_3gpuE6ELNS1_3repE0EEENS1_30default_config_static_selectorELNS0_4arch9wavefront6targetE0EEEvT1_.uses_vcc, 0
	.set _ZN7rocprim17ROCPRIM_400000_NS6detail17trampoline_kernelINS0_14default_configENS1_25transform_config_selectorIlLb0EEEZNS1_14transform_implILb0ES3_S5_NS0_18transform_iteratorINS0_17counting_iteratorImlEEZNS1_24adjacent_difference_implIS3_Lb1ELb0EPlSB_ZN2at6native12_GLOBAL__N_124unique_dim_cuda_templateIN3c104HalfEEESt5tupleIJNSC_6TensorESJ_SJ_EERKSJ_lbbbEUlllE1_EE10hipError_tPvRmT2_T3_mT4_P12ihipStream_tbEUlmE_lEESB_NS0_8identityIvEEEESO_SR_SS_mST_SV_bEUlT_E_NS1_11comp_targetILNS1_3genE2ELNS1_11target_archE906ELNS1_3gpuE6ELNS1_3repE0EEENS1_30default_config_static_selectorELNS0_4arch9wavefront6targetE0EEEvT1_.uses_flat_scratch, 0
	.set _ZN7rocprim17ROCPRIM_400000_NS6detail17trampoline_kernelINS0_14default_configENS1_25transform_config_selectorIlLb0EEEZNS1_14transform_implILb0ES3_S5_NS0_18transform_iteratorINS0_17counting_iteratorImlEEZNS1_24adjacent_difference_implIS3_Lb1ELb0EPlSB_ZN2at6native12_GLOBAL__N_124unique_dim_cuda_templateIN3c104HalfEEESt5tupleIJNSC_6TensorESJ_SJ_EERKSJ_lbbbEUlllE1_EE10hipError_tPvRmT2_T3_mT4_P12ihipStream_tbEUlmE_lEESB_NS0_8identityIvEEEESO_SR_SS_mST_SV_bEUlT_E_NS1_11comp_targetILNS1_3genE2ELNS1_11target_archE906ELNS1_3gpuE6ELNS1_3repE0EEENS1_30default_config_static_selectorELNS0_4arch9wavefront6targetE0EEEvT1_.has_dyn_sized_stack, 0
	.set _ZN7rocprim17ROCPRIM_400000_NS6detail17trampoline_kernelINS0_14default_configENS1_25transform_config_selectorIlLb0EEEZNS1_14transform_implILb0ES3_S5_NS0_18transform_iteratorINS0_17counting_iteratorImlEEZNS1_24adjacent_difference_implIS3_Lb1ELb0EPlSB_ZN2at6native12_GLOBAL__N_124unique_dim_cuda_templateIN3c104HalfEEESt5tupleIJNSC_6TensorESJ_SJ_EERKSJ_lbbbEUlllE1_EE10hipError_tPvRmT2_T3_mT4_P12ihipStream_tbEUlmE_lEESB_NS0_8identityIvEEEESO_SR_SS_mST_SV_bEUlT_E_NS1_11comp_targetILNS1_3genE2ELNS1_11target_archE906ELNS1_3gpuE6ELNS1_3repE0EEENS1_30default_config_static_selectorELNS0_4arch9wavefront6targetE0EEEvT1_.has_recursion, 0
	.set _ZN7rocprim17ROCPRIM_400000_NS6detail17trampoline_kernelINS0_14default_configENS1_25transform_config_selectorIlLb0EEEZNS1_14transform_implILb0ES3_S5_NS0_18transform_iteratorINS0_17counting_iteratorImlEEZNS1_24adjacent_difference_implIS3_Lb1ELb0EPlSB_ZN2at6native12_GLOBAL__N_124unique_dim_cuda_templateIN3c104HalfEEESt5tupleIJNSC_6TensorESJ_SJ_EERKSJ_lbbbEUlllE1_EE10hipError_tPvRmT2_T3_mT4_P12ihipStream_tbEUlmE_lEESB_NS0_8identityIvEEEESO_SR_SS_mST_SV_bEUlT_E_NS1_11comp_targetILNS1_3genE2ELNS1_11target_archE906ELNS1_3gpuE6ELNS1_3repE0EEENS1_30default_config_static_selectorELNS0_4arch9wavefront6targetE0EEEvT1_.has_indirect_call, 0
	.section	.AMDGPU.csdata,"",@progbits
; Kernel info:
; codeLenInByte = 0
; TotalNumSgprs: 0
; NumVgprs: 0
; ScratchSize: 0
; MemoryBound: 0
; FloatMode: 240
; IeeeMode: 1
; LDSByteSize: 0 bytes/workgroup (compile time only)
; SGPRBlocks: 0
; VGPRBlocks: 0
; NumSGPRsForWavesPerEU: 1
; NumVGPRsForWavesPerEU: 1
; NamedBarCnt: 0
; Occupancy: 16
; WaveLimiterHint : 0
; COMPUTE_PGM_RSRC2:SCRATCH_EN: 0
; COMPUTE_PGM_RSRC2:USER_SGPR: 2
; COMPUTE_PGM_RSRC2:TRAP_HANDLER: 0
; COMPUTE_PGM_RSRC2:TGID_X_EN: 1
; COMPUTE_PGM_RSRC2:TGID_Y_EN: 0
; COMPUTE_PGM_RSRC2:TGID_Z_EN: 0
; COMPUTE_PGM_RSRC2:TIDIG_COMP_CNT: 0
	.section	.text._ZN7rocprim17ROCPRIM_400000_NS6detail17trampoline_kernelINS0_14default_configENS1_25transform_config_selectorIlLb0EEEZNS1_14transform_implILb0ES3_S5_NS0_18transform_iteratorINS0_17counting_iteratorImlEEZNS1_24adjacent_difference_implIS3_Lb1ELb0EPlSB_ZN2at6native12_GLOBAL__N_124unique_dim_cuda_templateIN3c104HalfEEESt5tupleIJNSC_6TensorESJ_SJ_EERKSJ_lbbbEUlllE1_EE10hipError_tPvRmT2_T3_mT4_P12ihipStream_tbEUlmE_lEESB_NS0_8identityIvEEEESO_SR_SS_mST_SV_bEUlT_E_NS1_11comp_targetILNS1_3genE10ELNS1_11target_archE1201ELNS1_3gpuE5ELNS1_3repE0EEENS1_30default_config_static_selectorELNS0_4arch9wavefront6targetE0EEEvT1_,"axG",@progbits,_ZN7rocprim17ROCPRIM_400000_NS6detail17trampoline_kernelINS0_14default_configENS1_25transform_config_selectorIlLb0EEEZNS1_14transform_implILb0ES3_S5_NS0_18transform_iteratorINS0_17counting_iteratorImlEEZNS1_24adjacent_difference_implIS3_Lb1ELb0EPlSB_ZN2at6native12_GLOBAL__N_124unique_dim_cuda_templateIN3c104HalfEEESt5tupleIJNSC_6TensorESJ_SJ_EERKSJ_lbbbEUlllE1_EE10hipError_tPvRmT2_T3_mT4_P12ihipStream_tbEUlmE_lEESB_NS0_8identityIvEEEESO_SR_SS_mST_SV_bEUlT_E_NS1_11comp_targetILNS1_3genE10ELNS1_11target_archE1201ELNS1_3gpuE5ELNS1_3repE0EEENS1_30default_config_static_selectorELNS0_4arch9wavefront6targetE0EEEvT1_,comdat
	.globl	_ZN7rocprim17ROCPRIM_400000_NS6detail17trampoline_kernelINS0_14default_configENS1_25transform_config_selectorIlLb0EEEZNS1_14transform_implILb0ES3_S5_NS0_18transform_iteratorINS0_17counting_iteratorImlEEZNS1_24adjacent_difference_implIS3_Lb1ELb0EPlSB_ZN2at6native12_GLOBAL__N_124unique_dim_cuda_templateIN3c104HalfEEESt5tupleIJNSC_6TensorESJ_SJ_EERKSJ_lbbbEUlllE1_EE10hipError_tPvRmT2_T3_mT4_P12ihipStream_tbEUlmE_lEESB_NS0_8identityIvEEEESO_SR_SS_mST_SV_bEUlT_E_NS1_11comp_targetILNS1_3genE10ELNS1_11target_archE1201ELNS1_3gpuE5ELNS1_3repE0EEENS1_30default_config_static_selectorELNS0_4arch9wavefront6targetE0EEEvT1_ ; -- Begin function _ZN7rocprim17ROCPRIM_400000_NS6detail17trampoline_kernelINS0_14default_configENS1_25transform_config_selectorIlLb0EEEZNS1_14transform_implILb0ES3_S5_NS0_18transform_iteratorINS0_17counting_iteratorImlEEZNS1_24adjacent_difference_implIS3_Lb1ELb0EPlSB_ZN2at6native12_GLOBAL__N_124unique_dim_cuda_templateIN3c104HalfEEESt5tupleIJNSC_6TensorESJ_SJ_EERKSJ_lbbbEUlllE1_EE10hipError_tPvRmT2_T3_mT4_P12ihipStream_tbEUlmE_lEESB_NS0_8identityIvEEEESO_SR_SS_mST_SV_bEUlT_E_NS1_11comp_targetILNS1_3genE10ELNS1_11target_archE1201ELNS1_3gpuE5ELNS1_3repE0EEENS1_30default_config_static_selectorELNS0_4arch9wavefront6targetE0EEEvT1_
	.p2align	8
	.type	_ZN7rocprim17ROCPRIM_400000_NS6detail17trampoline_kernelINS0_14default_configENS1_25transform_config_selectorIlLb0EEEZNS1_14transform_implILb0ES3_S5_NS0_18transform_iteratorINS0_17counting_iteratorImlEEZNS1_24adjacent_difference_implIS3_Lb1ELb0EPlSB_ZN2at6native12_GLOBAL__N_124unique_dim_cuda_templateIN3c104HalfEEESt5tupleIJNSC_6TensorESJ_SJ_EERKSJ_lbbbEUlllE1_EE10hipError_tPvRmT2_T3_mT4_P12ihipStream_tbEUlmE_lEESB_NS0_8identityIvEEEESO_SR_SS_mST_SV_bEUlT_E_NS1_11comp_targetILNS1_3genE10ELNS1_11target_archE1201ELNS1_3gpuE5ELNS1_3repE0EEENS1_30default_config_static_selectorELNS0_4arch9wavefront6targetE0EEEvT1_,@function
_ZN7rocprim17ROCPRIM_400000_NS6detail17trampoline_kernelINS0_14default_configENS1_25transform_config_selectorIlLb0EEEZNS1_14transform_implILb0ES3_S5_NS0_18transform_iteratorINS0_17counting_iteratorImlEEZNS1_24adjacent_difference_implIS3_Lb1ELb0EPlSB_ZN2at6native12_GLOBAL__N_124unique_dim_cuda_templateIN3c104HalfEEESt5tupleIJNSC_6TensorESJ_SJ_EERKSJ_lbbbEUlllE1_EE10hipError_tPvRmT2_T3_mT4_P12ihipStream_tbEUlmE_lEESB_NS0_8identityIvEEEESO_SR_SS_mST_SV_bEUlT_E_NS1_11comp_targetILNS1_3genE10ELNS1_11target_archE1201ELNS1_3gpuE5ELNS1_3repE0EEENS1_30default_config_static_selectorELNS0_4arch9wavefront6targetE0EEEvT1_: ; @_ZN7rocprim17ROCPRIM_400000_NS6detail17trampoline_kernelINS0_14default_configENS1_25transform_config_selectorIlLb0EEEZNS1_14transform_implILb0ES3_S5_NS0_18transform_iteratorINS0_17counting_iteratorImlEEZNS1_24adjacent_difference_implIS3_Lb1ELb0EPlSB_ZN2at6native12_GLOBAL__N_124unique_dim_cuda_templateIN3c104HalfEEESt5tupleIJNSC_6TensorESJ_SJ_EERKSJ_lbbbEUlllE1_EE10hipError_tPvRmT2_T3_mT4_P12ihipStream_tbEUlmE_lEESB_NS0_8identityIvEEEESO_SR_SS_mST_SV_bEUlT_E_NS1_11comp_targetILNS1_3genE10ELNS1_11target_archE1201ELNS1_3gpuE5ELNS1_3repE0EEENS1_30default_config_static_selectorELNS0_4arch9wavefront6targetE0EEEvT1_
; %bb.0:
	.section	.rodata,"a",@progbits
	.p2align	6, 0x0
	.amdhsa_kernel _ZN7rocprim17ROCPRIM_400000_NS6detail17trampoline_kernelINS0_14default_configENS1_25transform_config_selectorIlLb0EEEZNS1_14transform_implILb0ES3_S5_NS0_18transform_iteratorINS0_17counting_iteratorImlEEZNS1_24adjacent_difference_implIS3_Lb1ELb0EPlSB_ZN2at6native12_GLOBAL__N_124unique_dim_cuda_templateIN3c104HalfEEESt5tupleIJNSC_6TensorESJ_SJ_EERKSJ_lbbbEUlllE1_EE10hipError_tPvRmT2_T3_mT4_P12ihipStream_tbEUlmE_lEESB_NS0_8identityIvEEEESO_SR_SS_mST_SV_bEUlT_E_NS1_11comp_targetILNS1_3genE10ELNS1_11target_archE1201ELNS1_3gpuE5ELNS1_3repE0EEENS1_30default_config_static_selectorELNS0_4arch9wavefront6targetE0EEEvT1_
		.amdhsa_group_segment_fixed_size 0
		.amdhsa_private_segment_fixed_size 0
		.amdhsa_kernarg_size 56
		.amdhsa_user_sgpr_count 2
		.amdhsa_user_sgpr_dispatch_ptr 0
		.amdhsa_user_sgpr_queue_ptr 0
		.amdhsa_user_sgpr_kernarg_segment_ptr 1
		.amdhsa_user_sgpr_dispatch_id 0
		.amdhsa_user_sgpr_kernarg_preload_length 0
		.amdhsa_user_sgpr_kernarg_preload_offset 0
		.amdhsa_user_sgpr_private_segment_size 0
		.amdhsa_wavefront_size32 1
		.amdhsa_uses_dynamic_stack 0
		.amdhsa_enable_private_segment 0
		.amdhsa_system_sgpr_workgroup_id_x 1
		.amdhsa_system_sgpr_workgroup_id_y 0
		.amdhsa_system_sgpr_workgroup_id_z 0
		.amdhsa_system_sgpr_workgroup_info 0
		.amdhsa_system_vgpr_workitem_id 0
		.amdhsa_next_free_vgpr 1
		.amdhsa_next_free_sgpr 1
		.amdhsa_named_barrier_count 0
		.amdhsa_reserve_vcc 0
		.amdhsa_float_round_mode_32 0
		.amdhsa_float_round_mode_16_64 0
		.amdhsa_float_denorm_mode_32 3
		.amdhsa_float_denorm_mode_16_64 3
		.amdhsa_fp16_overflow 0
		.amdhsa_memory_ordered 1
		.amdhsa_forward_progress 1
		.amdhsa_inst_pref_size 0
		.amdhsa_round_robin_scheduling 0
		.amdhsa_exception_fp_ieee_invalid_op 0
		.amdhsa_exception_fp_denorm_src 0
		.amdhsa_exception_fp_ieee_div_zero 0
		.amdhsa_exception_fp_ieee_overflow 0
		.amdhsa_exception_fp_ieee_underflow 0
		.amdhsa_exception_fp_ieee_inexact 0
		.amdhsa_exception_int_div_zero 0
	.end_amdhsa_kernel
	.section	.text._ZN7rocprim17ROCPRIM_400000_NS6detail17trampoline_kernelINS0_14default_configENS1_25transform_config_selectorIlLb0EEEZNS1_14transform_implILb0ES3_S5_NS0_18transform_iteratorINS0_17counting_iteratorImlEEZNS1_24adjacent_difference_implIS3_Lb1ELb0EPlSB_ZN2at6native12_GLOBAL__N_124unique_dim_cuda_templateIN3c104HalfEEESt5tupleIJNSC_6TensorESJ_SJ_EERKSJ_lbbbEUlllE1_EE10hipError_tPvRmT2_T3_mT4_P12ihipStream_tbEUlmE_lEESB_NS0_8identityIvEEEESO_SR_SS_mST_SV_bEUlT_E_NS1_11comp_targetILNS1_3genE10ELNS1_11target_archE1201ELNS1_3gpuE5ELNS1_3repE0EEENS1_30default_config_static_selectorELNS0_4arch9wavefront6targetE0EEEvT1_,"axG",@progbits,_ZN7rocprim17ROCPRIM_400000_NS6detail17trampoline_kernelINS0_14default_configENS1_25transform_config_selectorIlLb0EEEZNS1_14transform_implILb0ES3_S5_NS0_18transform_iteratorINS0_17counting_iteratorImlEEZNS1_24adjacent_difference_implIS3_Lb1ELb0EPlSB_ZN2at6native12_GLOBAL__N_124unique_dim_cuda_templateIN3c104HalfEEESt5tupleIJNSC_6TensorESJ_SJ_EERKSJ_lbbbEUlllE1_EE10hipError_tPvRmT2_T3_mT4_P12ihipStream_tbEUlmE_lEESB_NS0_8identityIvEEEESO_SR_SS_mST_SV_bEUlT_E_NS1_11comp_targetILNS1_3genE10ELNS1_11target_archE1201ELNS1_3gpuE5ELNS1_3repE0EEENS1_30default_config_static_selectorELNS0_4arch9wavefront6targetE0EEEvT1_,comdat
.Lfunc_end1285:
	.size	_ZN7rocprim17ROCPRIM_400000_NS6detail17trampoline_kernelINS0_14default_configENS1_25transform_config_selectorIlLb0EEEZNS1_14transform_implILb0ES3_S5_NS0_18transform_iteratorINS0_17counting_iteratorImlEEZNS1_24adjacent_difference_implIS3_Lb1ELb0EPlSB_ZN2at6native12_GLOBAL__N_124unique_dim_cuda_templateIN3c104HalfEEESt5tupleIJNSC_6TensorESJ_SJ_EERKSJ_lbbbEUlllE1_EE10hipError_tPvRmT2_T3_mT4_P12ihipStream_tbEUlmE_lEESB_NS0_8identityIvEEEESO_SR_SS_mST_SV_bEUlT_E_NS1_11comp_targetILNS1_3genE10ELNS1_11target_archE1201ELNS1_3gpuE5ELNS1_3repE0EEENS1_30default_config_static_selectorELNS0_4arch9wavefront6targetE0EEEvT1_, .Lfunc_end1285-_ZN7rocprim17ROCPRIM_400000_NS6detail17trampoline_kernelINS0_14default_configENS1_25transform_config_selectorIlLb0EEEZNS1_14transform_implILb0ES3_S5_NS0_18transform_iteratorINS0_17counting_iteratorImlEEZNS1_24adjacent_difference_implIS3_Lb1ELb0EPlSB_ZN2at6native12_GLOBAL__N_124unique_dim_cuda_templateIN3c104HalfEEESt5tupleIJNSC_6TensorESJ_SJ_EERKSJ_lbbbEUlllE1_EE10hipError_tPvRmT2_T3_mT4_P12ihipStream_tbEUlmE_lEESB_NS0_8identityIvEEEESO_SR_SS_mST_SV_bEUlT_E_NS1_11comp_targetILNS1_3genE10ELNS1_11target_archE1201ELNS1_3gpuE5ELNS1_3repE0EEENS1_30default_config_static_selectorELNS0_4arch9wavefront6targetE0EEEvT1_
                                        ; -- End function
	.set _ZN7rocprim17ROCPRIM_400000_NS6detail17trampoline_kernelINS0_14default_configENS1_25transform_config_selectorIlLb0EEEZNS1_14transform_implILb0ES3_S5_NS0_18transform_iteratorINS0_17counting_iteratorImlEEZNS1_24adjacent_difference_implIS3_Lb1ELb0EPlSB_ZN2at6native12_GLOBAL__N_124unique_dim_cuda_templateIN3c104HalfEEESt5tupleIJNSC_6TensorESJ_SJ_EERKSJ_lbbbEUlllE1_EE10hipError_tPvRmT2_T3_mT4_P12ihipStream_tbEUlmE_lEESB_NS0_8identityIvEEEESO_SR_SS_mST_SV_bEUlT_E_NS1_11comp_targetILNS1_3genE10ELNS1_11target_archE1201ELNS1_3gpuE5ELNS1_3repE0EEENS1_30default_config_static_selectorELNS0_4arch9wavefront6targetE0EEEvT1_.num_vgpr, 0
	.set _ZN7rocprim17ROCPRIM_400000_NS6detail17trampoline_kernelINS0_14default_configENS1_25transform_config_selectorIlLb0EEEZNS1_14transform_implILb0ES3_S5_NS0_18transform_iteratorINS0_17counting_iteratorImlEEZNS1_24adjacent_difference_implIS3_Lb1ELb0EPlSB_ZN2at6native12_GLOBAL__N_124unique_dim_cuda_templateIN3c104HalfEEESt5tupleIJNSC_6TensorESJ_SJ_EERKSJ_lbbbEUlllE1_EE10hipError_tPvRmT2_T3_mT4_P12ihipStream_tbEUlmE_lEESB_NS0_8identityIvEEEESO_SR_SS_mST_SV_bEUlT_E_NS1_11comp_targetILNS1_3genE10ELNS1_11target_archE1201ELNS1_3gpuE5ELNS1_3repE0EEENS1_30default_config_static_selectorELNS0_4arch9wavefront6targetE0EEEvT1_.num_agpr, 0
	.set _ZN7rocprim17ROCPRIM_400000_NS6detail17trampoline_kernelINS0_14default_configENS1_25transform_config_selectorIlLb0EEEZNS1_14transform_implILb0ES3_S5_NS0_18transform_iteratorINS0_17counting_iteratorImlEEZNS1_24adjacent_difference_implIS3_Lb1ELb0EPlSB_ZN2at6native12_GLOBAL__N_124unique_dim_cuda_templateIN3c104HalfEEESt5tupleIJNSC_6TensorESJ_SJ_EERKSJ_lbbbEUlllE1_EE10hipError_tPvRmT2_T3_mT4_P12ihipStream_tbEUlmE_lEESB_NS0_8identityIvEEEESO_SR_SS_mST_SV_bEUlT_E_NS1_11comp_targetILNS1_3genE10ELNS1_11target_archE1201ELNS1_3gpuE5ELNS1_3repE0EEENS1_30default_config_static_selectorELNS0_4arch9wavefront6targetE0EEEvT1_.numbered_sgpr, 0
	.set _ZN7rocprim17ROCPRIM_400000_NS6detail17trampoline_kernelINS0_14default_configENS1_25transform_config_selectorIlLb0EEEZNS1_14transform_implILb0ES3_S5_NS0_18transform_iteratorINS0_17counting_iteratorImlEEZNS1_24adjacent_difference_implIS3_Lb1ELb0EPlSB_ZN2at6native12_GLOBAL__N_124unique_dim_cuda_templateIN3c104HalfEEESt5tupleIJNSC_6TensorESJ_SJ_EERKSJ_lbbbEUlllE1_EE10hipError_tPvRmT2_T3_mT4_P12ihipStream_tbEUlmE_lEESB_NS0_8identityIvEEEESO_SR_SS_mST_SV_bEUlT_E_NS1_11comp_targetILNS1_3genE10ELNS1_11target_archE1201ELNS1_3gpuE5ELNS1_3repE0EEENS1_30default_config_static_selectorELNS0_4arch9wavefront6targetE0EEEvT1_.num_named_barrier, 0
	.set _ZN7rocprim17ROCPRIM_400000_NS6detail17trampoline_kernelINS0_14default_configENS1_25transform_config_selectorIlLb0EEEZNS1_14transform_implILb0ES3_S5_NS0_18transform_iteratorINS0_17counting_iteratorImlEEZNS1_24adjacent_difference_implIS3_Lb1ELb0EPlSB_ZN2at6native12_GLOBAL__N_124unique_dim_cuda_templateIN3c104HalfEEESt5tupleIJNSC_6TensorESJ_SJ_EERKSJ_lbbbEUlllE1_EE10hipError_tPvRmT2_T3_mT4_P12ihipStream_tbEUlmE_lEESB_NS0_8identityIvEEEESO_SR_SS_mST_SV_bEUlT_E_NS1_11comp_targetILNS1_3genE10ELNS1_11target_archE1201ELNS1_3gpuE5ELNS1_3repE0EEENS1_30default_config_static_selectorELNS0_4arch9wavefront6targetE0EEEvT1_.private_seg_size, 0
	.set _ZN7rocprim17ROCPRIM_400000_NS6detail17trampoline_kernelINS0_14default_configENS1_25transform_config_selectorIlLb0EEEZNS1_14transform_implILb0ES3_S5_NS0_18transform_iteratorINS0_17counting_iteratorImlEEZNS1_24adjacent_difference_implIS3_Lb1ELb0EPlSB_ZN2at6native12_GLOBAL__N_124unique_dim_cuda_templateIN3c104HalfEEESt5tupleIJNSC_6TensorESJ_SJ_EERKSJ_lbbbEUlllE1_EE10hipError_tPvRmT2_T3_mT4_P12ihipStream_tbEUlmE_lEESB_NS0_8identityIvEEEESO_SR_SS_mST_SV_bEUlT_E_NS1_11comp_targetILNS1_3genE10ELNS1_11target_archE1201ELNS1_3gpuE5ELNS1_3repE0EEENS1_30default_config_static_selectorELNS0_4arch9wavefront6targetE0EEEvT1_.uses_vcc, 0
	.set _ZN7rocprim17ROCPRIM_400000_NS6detail17trampoline_kernelINS0_14default_configENS1_25transform_config_selectorIlLb0EEEZNS1_14transform_implILb0ES3_S5_NS0_18transform_iteratorINS0_17counting_iteratorImlEEZNS1_24adjacent_difference_implIS3_Lb1ELb0EPlSB_ZN2at6native12_GLOBAL__N_124unique_dim_cuda_templateIN3c104HalfEEESt5tupleIJNSC_6TensorESJ_SJ_EERKSJ_lbbbEUlllE1_EE10hipError_tPvRmT2_T3_mT4_P12ihipStream_tbEUlmE_lEESB_NS0_8identityIvEEEESO_SR_SS_mST_SV_bEUlT_E_NS1_11comp_targetILNS1_3genE10ELNS1_11target_archE1201ELNS1_3gpuE5ELNS1_3repE0EEENS1_30default_config_static_selectorELNS0_4arch9wavefront6targetE0EEEvT1_.uses_flat_scratch, 0
	.set _ZN7rocprim17ROCPRIM_400000_NS6detail17trampoline_kernelINS0_14default_configENS1_25transform_config_selectorIlLb0EEEZNS1_14transform_implILb0ES3_S5_NS0_18transform_iteratorINS0_17counting_iteratorImlEEZNS1_24adjacent_difference_implIS3_Lb1ELb0EPlSB_ZN2at6native12_GLOBAL__N_124unique_dim_cuda_templateIN3c104HalfEEESt5tupleIJNSC_6TensorESJ_SJ_EERKSJ_lbbbEUlllE1_EE10hipError_tPvRmT2_T3_mT4_P12ihipStream_tbEUlmE_lEESB_NS0_8identityIvEEEESO_SR_SS_mST_SV_bEUlT_E_NS1_11comp_targetILNS1_3genE10ELNS1_11target_archE1201ELNS1_3gpuE5ELNS1_3repE0EEENS1_30default_config_static_selectorELNS0_4arch9wavefront6targetE0EEEvT1_.has_dyn_sized_stack, 0
	.set _ZN7rocprim17ROCPRIM_400000_NS6detail17trampoline_kernelINS0_14default_configENS1_25transform_config_selectorIlLb0EEEZNS1_14transform_implILb0ES3_S5_NS0_18transform_iteratorINS0_17counting_iteratorImlEEZNS1_24adjacent_difference_implIS3_Lb1ELb0EPlSB_ZN2at6native12_GLOBAL__N_124unique_dim_cuda_templateIN3c104HalfEEESt5tupleIJNSC_6TensorESJ_SJ_EERKSJ_lbbbEUlllE1_EE10hipError_tPvRmT2_T3_mT4_P12ihipStream_tbEUlmE_lEESB_NS0_8identityIvEEEESO_SR_SS_mST_SV_bEUlT_E_NS1_11comp_targetILNS1_3genE10ELNS1_11target_archE1201ELNS1_3gpuE5ELNS1_3repE0EEENS1_30default_config_static_selectorELNS0_4arch9wavefront6targetE0EEEvT1_.has_recursion, 0
	.set _ZN7rocprim17ROCPRIM_400000_NS6detail17trampoline_kernelINS0_14default_configENS1_25transform_config_selectorIlLb0EEEZNS1_14transform_implILb0ES3_S5_NS0_18transform_iteratorINS0_17counting_iteratorImlEEZNS1_24adjacent_difference_implIS3_Lb1ELb0EPlSB_ZN2at6native12_GLOBAL__N_124unique_dim_cuda_templateIN3c104HalfEEESt5tupleIJNSC_6TensorESJ_SJ_EERKSJ_lbbbEUlllE1_EE10hipError_tPvRmT2_T3_mT4_P12ihipStream_tbEUlmE_lEESB_NS0_8identityIvEEEESO_SR_SS_mST_SV_bEUlT_E_NS1_11comp_targetILNS1_3genE10ELNS1_11target_archE1201ELNS1_3gpuE5ELNS1_3repE0EEENS1_30default_config_static_selectorELNS0_4arch9wavefront6targetE0EEEvT1_.has_indirect_call, 0
	.section	.AMDGPU.csdata,"",@progbits
; Kernel info:
; codeLenInByte = 0
; TotalNumSgprs: 0
; NumVgprs: 0
; ScratchSize: 0
; MemoryBound: 0
; FloatMode: 240
; IeeeMode: 1
; LDSByteSize: 0 bytes/workgroup (compile time only)
; SGPRBlocks: 0
; VGPRBlocks: 0
; NumSGPRsForWavesPerEU: 1
; NumVGPRsForWavesPerEU: 1
; NamedBarCnt: 0
; Occupancy: 16
; WaveLimiterHint : 0
; COMPUTE_PGM_RSRC2:SCRATCH_EN: 0
; COMPUTE_PGM_RSRC2:USER_SGPR: 2
; COMPUTE_PGM_RSRC2:TRAP_HANDLER: 0
; COMPUTE_PGM_RSRC2:TGID_X_EN: 1
; COMPUTE_PGM_RSRC2:TGID_Y_EN: 0
; COMPUTE_PGM_RSRC2:TGID_Z_EN: 0
; COMPUTE_PGM_RSRC2:TIDIG_COMP_CNT: 0
	.section	.text._ZN7rocprim17ROCPRIM_400000_NS6detail17trampoline_kernelINS0_14default_configENS1_25transform_config_selectorIlLb0EEEZNS1_14transform_implILb0ES3_S5_NS0_18transform_iteratorINS0_17counting_iteratorImlEEZNS1_24adjacent_difference_implIS3_Lb1ELb0EPlSB_ZN2at6native12_GLOBAL__N_124unique_dim_cuda_templateIN3c104HalfEEESt5tupleIJNSC_6TensorESJ_SJ_EERKSJ_lbbbEUlllE1_EE10hipError_tPvRmT2_T3_mT4_P12ihipStream_tbEUlmE_lEESB_NS0_8identityIvEEEESO_SR_SS_mST_SV_bEUlT_E_NS1_11comp_targetILNS1_3genE10ELNS1_11target_archE1200ELNS1_3gpuE4ELNS1_3repE0EEENS1_30default_config_static_selectorELNS0_4arch9wavefront6targetE0EEEvT1_,"axG",@progbits,_ZN7rocprim17ROCPRIM_400000_NS6detail17trampoline_kernelINS0_14default_configENS1_25transform_config_selectorIlLb0EEEZNS1_14transform_implILb0ES3_S5_NS0_18transform_iteratorINS0_17counting_iteratorImlEEZNS1_24adjacent_difference_implIS3_Lb1ELb0EPlSB_ZN2at6native12_GLOBAL__N_124unique_dim_cuda_templateIN3c104HalfEEESt5tupleIJNSC_6TensorESJ_SJ_EERKSJ_lbbbEUlllE1_EE10hipError_tPvRmT2_T3_mT4_P12ihipStream_tbEUlmE_lEESB_NS0_8identityIvEEEESO_SR_SS_mST_SV_bEUlT_E_NS1_11comp_targetILNS1_3genE10ELNS1_11target_archE1200ELNS1_3gpuE4ELNS1_3repE0EEENS1_30default_config_static_selectorELNS0_4arch9wavefront6targetE0EEEvT1_,comdat
	.globl	_ZN7rocprim17ROCPRIM_400000_NS6detail17trampoline_kernelINS0_14default_configENS1_25transform_config_selectorIlLb0EEEZNS1_14transform_implILb0ES3_S5_NS0_18transform_iteratorINS0_17counting_iteratorImlEEZNS1_24adjacent_difference_implIS3_Lb1ELb0EPlSB_ZN2at6native12_GLOBAL__N_124unique_dim_cuda_templateIN3c104HalfEEESt5tupleIJNSC_6TensorESJ_SJ_EERKSJ_lbbbEUlllE1_EE10hipError_tPvRmT2_T3_mT4_P12ihipStream_tbEUlmE_lEESB_NS0_8identityIvEEEESO_SR_SS_mST_SV_bEUlT_E_NS1_11comp_targetILNS1_3genE10ELNS1_11target_archE1200ELNS1_3gpuE4ELNS1_3repE0EEENS1_30default_config_static_selectorELNS0_4arch9wavefront6targetE0EEEvT1_ ; -- Begin function _ZN7rocprim17ROCPRIM_400000_NS6detail17trampoline_kernelINS0_14default_configENS1_25transform_config_selectorIlLb0EEEZNS1_14transform_implILb0ES3_S5_NS0_18transform_iteratorINS0_17counting_iteratorImlEEZNS1_24adjacent_difference_implIS3_Lb1ELb0EPlSB_ZN2at6native12_GLOBAL__N_124unique_dim_cuda_templateIN3c104HalfEEESt5tupleIJNSC_6TensorESJ_SJ_EERKSJ_lbbbEUlllE1_EE10hipError_tPvRmT2_T3_mT4_P12ihipStream_tbEUlmE_lEESB_NS0_8identityIvEEEESO_SR_SS_mST_SV_bEUlT_E_NS1_11comp_targetILNS1_3genE10ELNS1_11target_archE1200ELNS1_3gpuE4ELNS1_3repE0EEENS1_30default_config_static_selectorELNS0_4arch9wavefront6targetE0EEEvT1_
	.p2align	8
	.type	_ZN7rocprim17ROCPRIM_400000_NS6detail17trampoline_kernelINS0_14default_configENS1_25transform_config_selectorIlLb0EEEZNS1_14transform_implILb0ES3_S5_NS0_18transform_iteratorINS0_17counting_iteratorImlEEZNS1_24adjacent_difference_implIS3_Lb1ELb0EPlSB_ZN2at6native12_GLOBAL__N_124unique_dim_cuda_templateIN3c104HalfEEESt5tupleIJNSC_6TensorESJ_SJ_EERKSJ_lbbbEUlllE1_EE10hipError_tPvRmT2_T3_mT4_P12ihipStream_tbEUlmE_lEESB_NS0_8identityIvEEEESO_SR_SS_mST_SV_bEUlT_E_NS1_11comp_targetILNS1_3genE10ELNS1_11target_archE1200ELNS1_3gpuE4ELNS1_3repE0EEENS1_30default_config_static_selectorELNS0_4arch9wavefront6targetE0EEEvT1_,@function
_ZN7rocprim17ROCPRIM_400000_NS6detail17trampoline_kernelINS0_14default_configENS1_25transform_config_selectorIlLb0EEEZNS1_14transform_implILb0ES3_S5_NS0_18transform_iteratorINS0_17counting_iteratorImlEEZNS1_24adjacent_difference_implIS3_Lb1ELb0EPlSB_ZN2at6native12_GLOBAL__N_124unique_dim_cuda_templateIN3c104HalfEEESt5tupleIJNSC_6TensorESJ_SJ_EERKSJ_lbbbEUlllE1_EE10hipError_tPvRmT2_T3_mT4_P12ihipStream_tbEUlmE_lEESB_NS0_8identityIvEEEESO_SR_SS_mST_SV_bEUlT_E_NS1_11comp_targetILNS1_3genE10ELNS1_11target_archE1200ELNS1_3gpuE4ELNS1_3repE0EEENS1_30default_config_static_selectorELNS0_4arch9wavefront6targetE0EEEvT1_: ; @_ZN7rocprim17ROCPRIM_400000_NS6detail17trampoline_kernelINS0_14default_configENS1_25transform_config_selectorIlLb0EEEZNS1_14transform_implILb0ES3_S5_NS0_18transform_iteratorINS0_17counting_iteratorImlEEZNS1_24adjacent_difference_implIS3_Lb1ELb0EPlSB_ZN2at6native12_GLOBAL__N_124unique_dim_cuda_templateIN3c104HalfEEESt5tupleIJNSC_6TensorESJ_SJ_EERKSJ_lbbbEUlllE1_EE10hipError_tPvRmT2_T3_mT4_P12ihipStream_tbEUlmE_lEESB_NS0_8identityIvEEEESO_SR_SS_mST_SV_bEUlT_E_NS1_11comp_targetILNS1_3genE10ELNS1_11target_archE1200ELNS1_3gpuE4ELNS1_3repE0EEENS1_30default_config_static_selectorELNS0_4arch9wavefront6targetE0EEEvT1_
; %bb.0:
	.section	.rodata,"a",@progbits
	.p2align	6, 0x0
	.amdhsa_kernel _ZN7rocprim17ROCPRIM_400000_NS6detail17trampoline_kernelINS0_14default_configENS1_25transform_config_selectorIlLb0EEEZNS1_14transform_implILb0ES3_S5_NS0_18transform_iteratorINS0_17counting_iteratorImlEEZNS1_24adjacent_difference_implIS3_Lb1ELb0EPlSB_ZN2at6native12_GLOBAL__N_124unique_dim_cuda_templateIN3c104HalfEEESt5tupleIJNSC_6TensorESJ_SJ_EERKSJ_lbbbEUlllE1_EE10hipError_tPvRmT2_T3_mT4_P12ihipStream_tbEUlmE_lEESB_NS0_8identityIvEEEESO_SR_SS_mST_SV_bEUlT_E_NS1_11comp_targetILNS1_3genE10ELNS1_11target_archE1200ELNS1_3gpuE4ELNS1_3repE0EEENS1_30default_config_static_selectorELNS0_4arch9wavefront6targetE0EEEvT1_
		.amdhsa_group_segment_fixed_size 0
		.amdhsa_private_segment_fixed_size 0
		.amdhsa_kernarg_size 56
		.amdhsa_user_sgpr_count 2
		.amdhsa_user_sgpr_dispatch_ptr 0
		.amdhsa_user_sgpr_queue_ptr 0
		.amdhsa_user_sgpr_kernarg_segment_ptr 1
		.amdhsa_user_sgpr_dispatch_id 0
		.amdhsa_user_sgpr_kernarg_preload_length 0
		.amdhsa_user_sgpr_kernarg_preload_offset 0
		.amdhsa_user_sgpr_private_segment_size 0
		.amdhsa_wavefront_size32 1
		.amdhsa_uses_dynamic_stack 0
		.amdhsa_enable_private_segment 0
		.amdhsa_system_sgpr_workgroup_id_x 1
		.amdhsa_system_sgpr_workgroup_id_y 0
		.amdhsa_system_sgpr_workgroup_id_z 0
		.amdhsa_system_sgpr_workgroup_info 0
		.amdhsa_system_vgpr_workitem_id 0
		.amdhsa_next_free_vgpr 1
		.amdhsa_next_free_sgpr 1
		.amdhsa_named_barrier_count 0
		.amdhsa_reserve_vcc 0
		.amdhsa_float_round_mode_32 0
		.amdhsa_float_round_mode_16_64 0
		.amdhsa_float_denorm_mode_32 3
		.amdhsa_float_denorm_mode_16_64 3
		.amdhsa_fp16_overflow 0
		.amdhsa_memory_ordered 1
		.amdhsa_forward_progress 1
		.amdhsa_inst_pref_size 0
		.amdhsa_round_robin_scheduling 0
		.amdhsa_exception_fp_ieee_invalid_op 0
		.amdhsa_exception_fp_denorm_src 0
		.amdhsa_exception_fp_ieee_div_zero 0
		.amdhsa_exception_fp_ieee_overflow 0
		.amdhsa_exception_fp_ieee_underflow 0
		.amdhsa_exception_fp_ieee_inexact 0
		.amdhsa_exception_int_div_zero 0
	.end_amdhsa_kernel
	.section	.text._ZN7rocprim17ROCPRIM_400000_NS6detail17trampoline_kernelINS0_14default_configENS1_25transform_config_selectorIlLb0EEEZNS1_14transform_implILb0ES3_S5_NS0_18transform_iteratorINS0_17counting_iteratorImlEEZNS1_24adjacent_difference_implIS3_Lb1ELb0EPlSB_ZN2at6native12_GLOBAL__N_124unique_dim_cuda_templateIN3c104HalfEEESt5tupleIJNSC_6TensorESJ_SJ_EERKSJ_lbbbEUlllE1_EE10hipError_tPvRmT2_T3_mT4_P12ihipStream_tbEUlmE_lEESB_NS0_8identityIvEEEESO_SR_SS_mST_SV_bEUlT_E_NS1_11comp_targetILNS1_3genE10ELNS1_11target_archE1200ELNS1_3gpuE4ELNS1_3repE0EEENS1_30default_config_static_selectorELNS0_4arch9wavefront6targetE0EEEvT1_,"axG",@progbits,_ZN7rocprim17ROCPRIM_400000_NS6detail17trampoline_kernelINS0_14default_configENS1_25transform_config_selectorIlLb0EEEZNS1_14transform_implILb0ES3_S5_NS0_18transform_iteratorINS0_17counting_iteratorImlEEZNS1_24adjacent_difference_implIS3_Lb1ELb0EPlSB_ZN2at6native12_GLOBAL__N_124unique_dim_cuda_templateIN3c104HalfEEESt5tupleIJNSC_6TensorESJ_SJ_EERKSJ_lbbbEUlllE1_EE10hipError_tPvRmT2_T3_mT4_P12ihipStream_tbEUlmE_lEESB_NS0_8identityIvEEEESO_SR_SS_mST_SV_bEUlT_E_NS1_11comp_targetILNS1_3genE10ELNS1_11target_archE1200ELNS1_3gpuE4ELNS1_3repE0EEENS1_30default_config_static_selectorELNS0_4arch9wavefront6targetE0EEEvT1_,comdat
.Lfunc_end1286:
	.size	_ZN7rocprim17ROCPRIM_400000_NS6detail17trampoline_kernelINS0_14default_configENS1_25transform_config_selectorIlLb0EEEZNS1_14transform_implILb0ES3_S5_NS0_18transform_iteratorINS0_17counting_iteratorImlEEZNS1_24adjacent_difference_implIS3_Lb1ELb0EPlSB_ZN2at6native12_GLOBAL__N_124unique_dim_cuda_templateIN3c104HalfEEESt5tupleIJNSC_6TensorESJ_SJ_EERKSJ_lbbbEUlllE1_EE10hipError_tPvRmT2_T3_mT4_P12ihipStream_tbEUlmE_lEESB_NS0_8identityIvEEEESO_SR_SS_mST_SV_bEUlT_E_NS1_11comp_targetILNS1_3genE10ELNS1_11target_archE1200ELNS1_3gpuE4ELNS1_3repE0EEENS1_30default_config_static_selectorELNS0_4arch9wavefront6targetE0EEEvT1_, .Lfunc_end1286-_ZN7rocprim17ROCPRIM_400000_NS6detail17trampoline_kernelINS0_14default_configENS1_25transform_config_selectorIlLb0EEEZNS1_14transform_implILb0ES3_S5_NS0_18transform_iteratorINS0_17counting_iteratorImlEEZNS1_24adjacent_difference_implIS3_Lb1ELb0EPlSB_ZN2at6native12_GLOBAL__N_124unique_dim_cuda_templateIN3c104HalfEEESt5tupleIJNSC_6TensorESJ_SJ_EERKSJ_lbbbEUlllE1_EE10hipError_tPvRmT2_T3_mT4_P12ihipStream_tbEUlmE_lEESB_NS0_8identityIvEEEESO_SR_SS_mST_SV_bEUlT_E_NS1_11comp_targetILNS1_3genE10ELNS1_11target_archE1200ELNS1_3gpuE4ELNS1_3repE0EEENS1_30default_config_static_selectorELNS0_4arch9wavefront6targetE0EEEvT1_
                                        ; -- End function
	.set _ZN7rocprim17ROCPRIM_400000_NS6detail17trampoline_kernelINS0_14default_configENS1_25transform_config_selectorIlLb0EEEZNS1_14transform_implILb0ES3_S5_NS0_18transform_iteratorINS0_17counting_iteratorImlEEZNS1_24adjacent_difference_implIS3_Lb1ELb0EPlSB_ZN2at6native12_GLOBAL__N_124unique_dim_cuda_templateIN3c104HalfEEESt5tupleIJNSC_6TensorESJ_SJ_EERKSJ_lbbbEUlllE1_EE10hipError_tPvRmT2_T3_mT4_P12ihipStream_tbEUlmE_lEESB_NS0_8identityIvEEEESO_SR_SS_mST_SV_bEUlT_E_NS1_11comp_targetILNS1_3genE10ELNS1_11target_archE1200ELNS1_3gpuE4ELNS1_3repE0EEENS1_30default_config_static_selectorELNS0_4arch9wavefront6targetE0EEEvT1_.num_vgpr, 0
	.set _ZN7rocprim17ROCPRIM_400000_NS6detail17trampoline_kernelINS0_14default_configENS1_25transform_config_selectorIlLb0EEEZNS1_14transform_implILb0ES3_S5_NS0_18transform_iteratorINS0_17counting_iteratorImlEEZNS1_24adjacent_difference_implIS3_Lb1ELb0EPlSB_ZN2at6native12_GLOBAL__N_124unique_dim_cuda_templateIN3c104HalfEEESt5tupleIJNSC_6TensorESJ_SJ_EERKSJ_lbbbEUlllE1_EE10hipError_tPvRmT2_T3_mT4_P12ihipStream_tbEUlmE_lEESB_NS0_8identityIvEEEESO_SR_SS_mST_SV_bEUlT_E_NS1_11comp_targetILNS1_3genE10ELNS1_11target_archE1200ELNS1_3gpuE4ELNS1_3repE0EEENS1_30default_config_static_selectorELNS0_4arch9wavefront6targetE0EEEvT1_.num_agpr, 0
	.set _ZN7rocprim17ROCPRIM_400000_NS6detail17trampoline_kernelINS0_14default_configENS1_25transform_config_selectorIlLb0EEEZNS1_14transform_implILb0ES3_S5_NS0_18transform_iteratorINS0_17counting_iteratorImlEEZNS1_24adjacent_difference_implIS3_Lb1ELb0EPlSB_ZN2at6native12_GLOBAL__N_124unique_dim_cuda_templateIN3c104HalfEEESt5tupleIJNSC_6TensorESJ_SJ_EERKSJ_lbbbEUlllE1_EE10hipError_tPvRmT2_T3_mT4_P12ihipStream_tbEUlmE_lEESB_NS0_8identityIvEEEESO_SR_SS_mST_SV_bEUlT_E_NS1_11comp_targetILNS1_3genE10ELNS1_11target_archE1200ELNS1_3gpuE4ELNS1_3repE0EEENS1_30default_config_static_selectorELNS0_4arch9wavefront6targetE0EEEvT1_.numbered_sgpr, 0
	.set _ZN7rocprim17ROCPRIM_400000_NS6detail17trampoline_kernelINS0_14default_configENS1_25transform_config_selectorIlLb0EEEZNS1_14transform_implILb0ES3_S5_NS0_18transform_iteratorINS0_17counting_iteratorImlEEZNS1_24adjacent_difference_implIS3_Lb1ELb0EPlSB_ZN2at6native12_GLOBAL__N_124unique_dim_cuda_templateIN3c104HalfEEESt5tupleIJNSC_6TensorESJ_SJ_EERKSJ_lbbbEUlllE1_EE10hipError_tPvRmT2_T3_mT4_P12ihipStream_tbEUlmE_lEESB_NS0_8identityIvEEEESO_SR_SS_mST_SV_bEUlT_E_NS1_11comp_targetILNS1_3genE10ELNS1_11target_archE1200ELNS1_3gpuE4ELNS1_3repE0EEENS1_30default_config_static_selectorELNS0_4arch9wavefront6targetE0EEEvT1_.num_named_barrier, 0
	.set _ZN7rocprim17ROCPRIM_400000_NS6detail17trampoline_kernelINS0_14default_configENS1_25transform_config_selectorIlLb0EEEZNS1_14transform_implILb0ES3_S5_NS0_18transform_iteratorINS0_17counting_iteratorImlEEZNS1_24adjacent_difference_implIS3_Lb1ELb0EPlSB_ZN2at6native12_GLOBAL__N_124unique_dim_cuda_templateIN3c104HalfEEESt5tupleIJNSC_6TensorESJ_SJ_EERKSJ_lbbbEUlllE1_EE10hipError_tPvRmT2_T3_mT4_P12ihipStream_tbEUlmE_lEESB_NS0_8identityIvEEEESO_SR_SS_mST_SV_bEUlT_E_NS1_11comp_targetILNS1_3genE10ELNS1_11target_archE1200ELNS1_3gpuE4ELNS1_3repE0EEENS1_30default_config_static_selectorELNS0_4arch9wavefront6targetE0EEEvT1_.private_seg_size, 0
	.set _ZN7rocprim17ROCPRIM_400000_NS6detail17trampoline_kernelINS0_14default_configENS1_25transform_config_selectorIlLb0EEEZNS1_14transform_implILb0ES3_S5_NS0_18transform_iteratorINS0_17counting_iteratorImlEEZNS1_24adjacent_difference_implIS3_Lb1ELb0EPlSB_ZN2at6native12_GLOBAL__N_124unique_dim_cuda_templateIN3c104HalfEEESt5tupleIJNSC_6TensorESJ_SJ_EERKSJ_lbbbEUlllE1_EE10hipError_tPvRmT2_T3_mT4_P12ihipStream_tbEUlmE_lEESB_NS0_8identityIvEEEESO_SR_SS_mST_SV_bEUlT_E_NS1_11comp_targetILNS1_3genE10ELNS1_11target_archE1200ELNS1_3gpuE4ELNS1_3repE0EEENS1_30default_config_static_selectorELNS0_4arch9wavefront6targetE0EEEvT1_.uses_vcc, 0
	.set _ZN7rocprim17ROCPRIM_400000_NS6detail17trampoline_kernelINS0_14default_configENS1_25transform_config_selectorIlLb0EEEZNS1_14transform_implILb0ES3_S5_NS0_18transform_iteratorINS0_17counting_iteratorImlEEZNS1_24adjacent_difference_implIS3_Lb1ELb0EPlSB_ZN2at6native12_GLOBAL__N_124unique_dim_cuda_templateIN3c104HalfEEESt5tupleIJNSC_6TensorESJ_SJ_EERKSJ_lbbbEUlllE1_EE10hipError_tPvRmT2_T3_mT4_P12ihipStream_tbEUlmE_lEESB_NS0_8identityIvEEEESO_SR_SS_mST_SV_bEUlT_E_NS1_11comp_targetILNS1_3genE10ELNS1_11target_archE1200ELNS1_3gpuE4ELNS1_3repE0EEENS1_30default_config_static_selectorELNS0_4arch9wavefront6targetE0EEEvT1_.uses_flat_scratch, 0
	.set _ZN7rocprim17ROCPRIM_400000_NS6detail17trampoline_kernelINS0_14default_configENS1_25transform_config_selectorIlLb0EEEZNS1_14transform_implILb0ES3_S5_NS0_18transform_iteratorINS0_17counting_iteratorImlEEZNS1_24adjacent_difference_implIS3_Lb1ELb0EPlSB_ZN2at6native12_GLOBAL__N_124unique_dim_cuda_templateIN3c104HalfEEESt5tupleIJNSC_6TensorESJ_SJ_EERKSJ_lbbbEUlllE1_EE10hipError_tPvRmT2_T3_mT4_P12ihipStream_tbEUlmE_lEESB_NS0_8identityIvEEEESO_SR_SS_mST_SV_bEUlT_E_NS1_11comp_targetILNS1_3genE10ELNS1_11target_archE1200ELNS1_3gpuE4ELNS1_3repE0EEENS1_30default_config_static_selectorELNS0_4arch9wavefront6targetE0EEEvT1_.has_dyn_sized_stack, 0
	.set _ZN7rocprim17ROCPRIM_400000_NS6detail17trampoline_kernelINS0_14default_configENS1_25transform_config_selectorIlLb0EEEZNS1_14transform_implILb0ES3_S5_NS0_18transform_iteratorINS0_17counting_iteratorImlEEZNS1_24adjacent_difference_implIS3_Lb1ELb0EPlSB_ZN2at6native12_GLOBAL__N_124unique_dim_cuda_templateIN3c104HalfEEESt5tupleIJNSC_6TensorESJ_SJ_EERKSJ_lbbbEUlllE1_EE10hipError_tPvRmT2_T3_mT4_P12ihipStream_tbEUlmE_lEESB_NS0_8identityIvEEEESO_SR_SS_mST_SV_bEUlT_E_NS1_11comp_targetILNS1_3genE10ELNS1_11target_archE1200ELNS1_3gpuE4ELNS1_3repE0EEENS1_30default_config_static_selectorELNS0_4arch9wavefront6targetE0EEEvT1_.has_recursion, 0
	.set _ZN7rocprim17ROCPRIM_400000_NS6detail17trampoline_kernelINS0_14default_configENS1_25transform_config_selectorIlLb0EEEZNS1_14transform_implILb0ES3_S5_NS0_18transform_iteratorINS0_17counting_iteratorImlEEZNS1_24adjacent_difference_implIS3_Lb1ELb0EPlSB_ZN2at6native12_GLOBAL__N_124unique_dim_cuda_templateIN3c104HalfEEESt5tupleIJNSC_6TensorESJ_SJ_EERKSJ_lbbbEUlllE1_EE10hipError_tPvRmT2_T3_mT4_P12ihipStream_tbEUlmE_lEESB_NS0_8identityIvEEEESO_SR_SS_mST_SV_bEUlT_E_NS1_11comp_targetILNS1_3genE10ELNS1_11target_archE1200ELNS1_3gpuE4ELNS1_3repE0EEENS1_30default_config_static_selectorELNS0_4arch9wavefront6targetE0EEEvT1_.has_indirect_call, 0
	.section	.AMDGPU.csdata,"",@progbits
; Kernel info:
; codeLenInByte = 0
; TotalNumSgprs: 0
; NumVgprs: 0
; ScratchSize: 0
; MemoryBound: 0
; FloatMode: 240
; IeeeMode: 1
; LDSByteSize: 0 bytes/workgroup (compile time only)
; SGPRBlocks: 0
; VGPRBlocks: 0
; NumSGPRsForWavesPerEU: 1
; NumVGPRsForWavesPerEU: 1
; NamedBarCnt: 0
; Occupancy: 16
; WaveLimiterHint : 0
; COMPUTE_PGM_RSRC2:SCRATCH_EN: 0
; COMPUTE_PGM_RSRC2:USER_SGPR: 2
; COMPUTE_PGM_RSRC2:TRAP_HANDLER: 0
; COMPUTE_PGM_RSRC2:TGID_X_EN: 1
; COMPUTE_PGM_RSRC2:TGID_Y_EN: 0
; COMPUTE_PGM_RSRC2:TGID_Z_EN: 0
; COMPUTE_PGM_RSRC2:TIDIG_COMP_CNT: 0
	.section	.text._ZN7rocprim17ROCPRIM_400000_NS6detail17trampoline_kernelINS0_14default_configENS1_25transform_config_selectorIlLb0EEEZNS1_14transform_implILb0ES3_S5_NS0_18transform_iteratorINS0_17counting_iteratorImlEEZNS1_24adjacent_difference_implIS3_Lb1ELb0EPlSB_ZN2at6native12_GLOBAL__N_124unique_dim_cuda_templateIN3c104HalfEEESt5tupleIJNSC_6TensorESJ_SJ_EERKSJ_lbbbEUlllE1_EE10hipError_tPvRmT2_T3_mT4_P12ihipStream_tbEUlmE_lEESB_NS0_8identityIvEEEESO_SR_SS_mST_SV_bEUlT_E_NS1_11comp_targetILNS1_3genE9ELNS1_11target_archE1100ELNS1_3gpuE3ELNS1_3repE0EEENS1_30default_config_static_selectorELNS0_4arch9wavefront6targetE0EEEvT1_,"axG",@progbits,_ZN7rocprim17ROCPRIM_400000_NS6detail17trampoline_kernelINS0_14default_configENS1_25transform_config_selectorIlLb0EEEZNS1_14transform_implILb0ES3_S5_NS0_18transform_iteratorINS0_17counting_iteratorImlEEZNS1_24adjacent_difference_implIS3_Lb1ELb0EPlSB_ZN2at6native12_GLOBAL__N_124unique_dim_cuda_templateIN3c104HalfEEESt5tupleIJNSC_6TensorESJ_SJ_EERKSJ_lbbbEUlllE1_EE10hipError_tPvRmT2_T3_mT4_P12ihipStream_tbEUlmE_lEESB_NS0_8identityIvEEEESO_SR_SS_mST_SV_bEUlT_E_NS1_11comp_targetILNS1_3genE9ELNS1_11target_archE1100ELNS1_3gpuE3ELNS1_3repE0EEENS1_30default_config_static_selectorELNS0_4arch9wavefront6targetE0EEEvT1_,comdat
	.globl	_ZN7rocprim17ROCPRIM_400000_NS6detail17trampoline_kernelINS0_14default_configENS1_25transform_config_selectorIlLb0EEEZNS1_14transform_implILb0ES3_S5_NS0_18transform_iteratorINS0_17counting_iteratorImlEEZNS1_24adjacent_difference_implIS3_Lb1ELb0EPlSB_ZN2at6native12_GLOBAL__N_124unique_dim_cuda_templateIN3c104HalfEEESt5tupleIJNSC_6TensorESJ_SJ_EERKSJ_lbbbEUlllE1_EE10hipError_tPvRmT2_T3_mT4_P12ihipStream_tbEUlmE_lEESB_NS0_8identityIvEEEESO_SR_SS_mST_SV_bEUlT_E_NS1_11comp_targetILNS1_3genE9ELNS1_11target_archE1100ELNS1_3gpuE3ELNS1_3repE0EEENS1_30default_config_static_selectorELNS0_4arch9wavefront6targetE0EEEvT1_ ; -- Begin function _ZN7rocprim17ROCPRIM_400000_NS6detail17trampoline_kernelINS0_14default_configENS1_25transform_config_selectorIlLb0EEEZNS1_14transform_implILb0ES3_S5_NS0_18transform_iteratorINS0_17counting_iteratorImlEEZNS1_24adjacent_difference_implIS3_Lb1ELb0EPlSB_ZN2at6native12_GLOBAL__N_124unique_dim_cuda_templateIN3c104HalfEEESt5tupleIJNSC_6TensorESJ_SJ_EERKSJ_lbbbEUlllE1_EE10hipError_tPvRmT2_T3_mT4_P12ihipStream_tbEUlmE_lEESB_NS0_8identityIvEEEESO_SR_SS_mST_SV_bEUlT_E_NS1_11comp_targetILNS1_3genE9ELNS1_11target_archE1100ELNS1_3gpuE3ELNS1_3repE0EEENS1_30default_config_static_selectorELNS0_4arch9wavefront6targetE0EEEvT1_
	.p2align	8
	.type	_ZN7rocprim17ROCPRIM_400000_NS6detail17trampoline_kernelINS0_14default_configENS1_25transform_config_selectorIlLb0EEEZNS1_14transform_implILb0ES3_S5_NS0_18transform_iteratorINS0_17counting_iteratorImlEEZNS1_24adjacent_difference_implIS3_Lb1ELb0EPlSB_ZN2at6native12_GLOBAL__N_124unique_dim_cuda_templateIN3c104HalfEEESt5tupleIJNSC_6TensorESJ_SJ_EERKSJ_lbbbEUlllE1_EE10hipError_tPvRmT2_T3_mT4_P12ihipStream_tbEUlmE_lEESB_NS0_8identityIvEEEESO_SR_SS_mST_SV_bEUlT_E_NS1_11comp_targetILNS1_3genE9ELNS1_11target_archE1100ELNS1_3gpuE3ELNS1_3repE0EEENS1_30default_config_static_selectorELNS0_4arch9wavefront6targetE0EEEvT1_,@function
_ZN7rocprim17ROCPRIM_400000_NS6detail17trampoline_kernelINS0_14default_configENS1_25transform_config_selectorIlLb0EEEZNS1_14transform_implILb0ES3_S5_NS0_18transform_iteratorINS0_17counting_iteratorImlEEZNS1_24adjacent_difference_implIS3_Lb1ELb0EPlSB_ZN2at6native12_GLOBAL__N_124unique_dim_cuda_templateIN3c104HalfEEESt5tupleIJNSC_6TensorESJ_SJ_EERKSJ_lbbbEUlllE1_EE10hipError_tPvRmT2_T3_mT4_P12ihipStream_tbEUlmE_lEESB_NS0_8identityIvEEEESO_SR_SS_mST_SV_bEUlT_E_NS1_11comp_targetILNS1_3genE9ELNS1_11target_archE1100ELNS1_3gpuE3ELNS1_3repE0EEENS1_30default_config_static_selectorELNS0_4arch9wavefront6targetE0EEEvT1_: ; @_ZN7rocprim17ROCPRIM_400000_NS6detail17trampoline_kernelINS0_14default_configENS1_25transform_config_selectorIlLb0EEEZNS1_14transform_implILb0ES3_S5_NS0_18transform_iteratorINS0_17counting_iteratorImlEEZNS1_24adjacent_difference_implIS3_Lb1ELb0EPlSB_ZN2at6native12_GLOBAL__N_124unique_dim_cuda_templateIN3c104HalfEEESt5tupleIJNSC_6TensorESJ_SJ_EERKSJ_lbbbEUlllE1_EE10hipError_tPvRmT2_T3_mT4_P12ihipStream_tbEUlmE_lEESB_NS0_8identityIvEEEESO_SR_SS_mST_SV_bEUlT_E_NS1_11comp_targetILNS1_3genE9ELNS1_11target_archE1100ELNS1_3gpuE3ELNS1_3repE0EEENS1_30default_config_static_selectorELNS0_4arch9wavefront6targetE0EEEvT1_
; %bb.0:
	.section	.rodata,"a",@progbits
	.p2align	6, 0x0
	.amdhsa_kernel _ZN7rocprim17ROCPRIM_400000_NS6detail17trampoline_kernelINS0_14default_configENS1_25transform_config_selectorIlLb0EEEZNS1_14transform_implILb0ES3_S5_NS0_18transform_iteratorINS0_17counting_iteratorImlEEZNS1_24adjacent_difference_implIS3_Lb1ELb0EPlSB_ZN2at6native12_GLOBAL__N_124unique_dim_cuda_templateIN3c104HalfEEESt5tupleIJNSC_6TensorESJ_SJ_EERKSJ_lbbbEUlllE1_EE10hipError_tPvRmT2_T3_mT4_P12ihipStream_tbEUlmE_lEESB_NS0_8identityIvEEEESO_SR_SS_mST_SV_bEUlT_E_NS1_11comp_targetILNS1_3genE9ELNS1_11target_archE1100ELNS1_3gpuE3ELNS1_3repE0EEENS1_30default_config_static_selectorELNS0_4arch9wavefront6targetE0EEEvT1_
		.amdhsa_group_segment_fixed_size 0
		.amdhsa_private_segment_fixed_size 0
		.amdhsa_kernarg_size 56
		.amdhsa_user_sgpr_count 2
		.amdhsa_user_sgpr_dispatch_ptr 0
		.amdhsa_user_sgpr_queue_ptr 0
		.amdhsa_user_sgpr_kernarg_segment_ptr 1
		.amdhsa_user_sgpr_dispatch_id 0
		.amdhsa_user_sgpr_kernarg_preload_length 0
		.amdhsa_user_sgpr_kernarg_preload_offset 0
		.amdhsa_user_sgpr_private_segment_size 0
		.amdhsa_wavefront_size32 1
		.amdhsa_uses_dynamic_stack 0
		.amdhsa_enable_private_segment 0
		.amdhsa_system_sgpr_workgroup_id_x 1
		.amdhsa_system_sgpr_workgroup_id_y 0
		.amdhsa_system_sgpr_workgroup_id_z 0
		.amdhsa_system_sgpr_workgroup_info 0
		.amdhsa_system_vgpr_workitem_id 0
		.amdhsa_next_free_vgpr 1
		.amdhsa_next_free_sgpr 1
		.amdhsa_named_barrier_count 0
		.amdhsa_reserve_vcc 0
		.amdhsa_float_round_mode_32 0
		.amdhsa_float_round_mode_16_64 0
		.amdhsa_float_denorm_mode_32 3
		.amdhsa_float_denorm_mode_16_64 3
		.amdhsa_fp16_overflow 0
		.amdhsa_memory_ordered 1
		.amdhsa_forward_progress 1
		.amdhsa_inst_pref_size 0
		.amdhsa_round_robin_scheduling 0
		.amdhsa_exception_fp_ieee_invalid_op 0
		.amdhsa_exception_fp_denorm_src 0
		.amdhsa_exception_fp_ieee_div_zero 0
		.amdhsa_exception_fp_ieee_overflow 0
		.amdhsa_exception_fp_ieee_underflow 0
		.amdhsa_exception_fp_ieee_inexact 0
		.amdhsa_exception_int_div_zero 0
	.end_amdhsa_kernel
	.section	.text._ZN7rocprim17ROCPRIM_400000_NS6detail17trampoline_kernelINS0_14default_configENS1_25transform_config_selectorIlLb0EEEZNS1_14transform_implILb0ES3_S5_NS0_18transform_iteratorINS0_17counting_iteratorImlEEZNS1_24adjacent_difference_implIS3_Lb1ELb0EPlSB_ZN2at6native12_GLOBAL__N_124unique_dim_cuda_templateIN3c104HalfEEESt5tupleIJNSC_6TensorESJ_SJ_EERKSJ_lbbbEUlllE1_EE10hipError_tPvRmT2_T3_mT4_P12ihipStream_tbEUlmE_lEESB_NS0_8identityIvEEEESO_SR_SS_mST_SV_bEUlT_E_NS1_11comp_targetILNS1_3genE9ELNS1_11target_archE1100ELNS1_3gpuE3ELNS1_3repE0EEENS1_30default_config_static_selectorELNS0_4arch9wavefront6targetE0EEEvT1_,"axG",@progbits,_ZN7rocprim17ROCPRIM_400000_NS6detail17trampoline_kernelINS0_14default_configENS1_25transform_config_selectorIlLb0EEEZNS1_14transform_implILb0ES3_S5_NS0_18transform_iteratorINS0_17counting_iteratorImlEEZNS1_24adjacent_difference_implIS3_Lb1ELb0EPlSB_ZN2at6native12_GLOBAL__N_124unique_dim_cuda_templateIN3c104HalfEEESt5tupleIJNSC_6TensorESJ_SJ_EERKSJ_lbbbEUlllE1_EE10hipError_tPvRmT2_T3_mT4_P12ihipStream_tbEUlmE_lEESB_NS0_8identityIvEEEESO_SR_SS_mST_SV_bEUlT_E_NS1_11comp_targetILNS1_3genE9ELNS1_11target_archE1100ELNS1_3gpuE3ELNS1_3repE0EEENS1_30default_config_static_selectorELNS0_4arch9wavefront6targetE0EEEvT1_,comdat
.Lfunc_end1287:
	.size	_ZN7rocprim17ROCPRIM_400000_NS6detail17trampoline_kernelINS0_14default_configENS1_25transform_config_selectorIlLb0EEEZNS1_14transform_implILb0ES3_S5_NS0_18transform_iteratorINS0_17counting_iteratorImlEEZNS1_24adjacent_difference_implIS3_Lb1ELb0EPlSB_ZN2at6native12_GLOBAL__N_124unique_dim_cuda_templateIN3c104HalfEEESt5tupleIJNSC_6TensorESJ_SJ_EERKSJ_lbbbEUlllE1_EE10hipError_tPvRmT2_T3_mT4_P12ihipStream_tbEUlmE_lEESB_NS0_8identityIvEEEESO_SR_SS_mST_SV_bEUlT_E_NS1_11comp_targetILNS1_3genE9ELNS1_11target_archE1100ELNS1_3gpuE3ELNS1_3repE0EEENS1_30default_config_static_selectorELNS0_4arch9wavefront6targetE0EEEvT1_, .Lfunc_end1287-_ZN7rocprim17ROCPRIM_400000_NS6detail17trampoline_kernelINS0_14default_configENS1_25transform_config_selectorIlLb0EEEZNS1_14transform_implILb0ES3_S5_NS0_18transform_iteratorINS0_17counting_iteratorImlEEZNS1_24adjacent_difference_implIS3_Lb1ELb0EPlSB_ZN2at6native12_GLOBAL__N_124unique_dim_cuda_templateIN3c104HalfEEESt5tupleIJNSC_6TensorESJ_SJ_EERKSJ_lbbbEUlllE1_EE10hipError_tPvRmT2_T3_mT4_P12ihipStream_tbEUlmE_lEESB_NS0_8identityIvEEEESO_SR_SS_mST_SV_bEUlT_E_NS1_11comp_targetILNS1_3genE9ELNS1_11target_archE1100ELNS1_3gpuE3ELNS1_3repE0EEENS1_30default_config_static_selectorELNS0_4arch9wavefront6targetE0EEEvT1_
                                        ; -- End function
	.set _ZN7rocprim17ROCPRIM_400000_NS6detail17trampoline_kernelINS0_14default_configENS1_25transform_config_selectorIlLb0EEEZNS1_14transform_implILb0ES3_S5_NS0_18transform_iteratorINS0_17counting_iteratorImlEEZNS1_24adjacent_difference_implIS3_Lb1ELb0EPlSB_ZN2at6native12_GLOBAL__N_124unique_dim_cuda_templateIN3c104HalfEEESt5tupleIJNSC_6TensorESJ_SJ_EERKSJ_lbbbEUlllE1_EE10hipError_tPvRmT2_T3_mT4_P12ihipStream_tbEUlmE_lEESB_NS0_8identityIvEEEESO_SR_SS_mST_SV_bEUlT_E_NS1_11comp_targetILNS1_3genE9ELNS1_11target_archE1100ELNS1_3gpuE3ELNS1_3repE0EEENS1_30default_config_static_selectorELNS0_4arch9wavefront6targetE0EEEvT1_.num_vgpr, 0
	.set _ZN7rocprim17ROCPRIM_400000_NS6detail17trampoline_kernelINS0_14default_configENS1_25transform_config_selectorIlLb0EEEZNS1_14transform_implILb0ES3_S5_NS0_18transform_iteratorINS0_17counting_iteratorImlEEZNS1_24adjacent_difference_implIS3_Lb1ELb0EPlSB_ZN2at6native12_GLOBAL__N_124unique_dim_cuda_templateIN3c104HalfEEESt5tupleIJNSC_6TensorESJ_SJ_EERKSJ_lbbbEUlllE1_EE10hipError_tPvRmT2_T3_mT4_P12ihipStream_tbEUlmE_lEESB_NS0_8identityIvEEEESO_SR_SS_mST_SV_bEUlT_E_NS1_11comp_targetILNS1_3genE9ELNS1_11target_archE1100ELNS1_3gpuE3ELNS1_3repE0EEENS1_30default_config_static_selectorELNS0_4arch9wavefront6targetE0EEEvT1_.num_agpr, 0
	.set _ZN7rocprim17ROCPRIM_400000_NS6detail17trampoline_kernelINS0_14default_configENS1_25transform_config_selectorIlLb0EEEZNS1_14transform_implILb0ES3_S5_NS0_18transform_iteratorINS0_17counting_iteratorImlEEZNS1_24adjacent_difference_implIS3_Lb1ELb0EPlSB_ZN2at6native12_GLOBAL__N_124unique_dim_cuda_templateIN3c104HalfEEESt5tupleIJNSC_6TensorESJ_SJ_EERKSJ_lbbbEUlllE1_EE10hipError_tPvRmT2_T3_mT4_P12ihipStream_tbEUlmE_lEESB_NS0_8identityIvEEEESO_SR_SS_mST_SV_bEUlT_E_NS1_11comp_targetILNS1_3genE9ELNS1_11target_archE1100ELNS1_3gpuE3ELNS1_3repE0EEENS1_30default_config_static_selectorELNS0_4arch9wavefront6targetE0EEEvT1_.numbered_sgpr, 0
	.set _ZN7rocprim17ROCPRIM_400000_NS6detail17trampoline_kernelINS0_14default_configENS1_25transform_config_selectorIlLb0EEEZNS1_14transform_implILb0ES3_S5_NS0_18transform_iteratorINS0_17counting_iteratorImlEEZNS1_24adjacent_difference_implIS3_Lb1ELb0EPlSB_ZN2at6native12_GLOBAL__N_124unique_dim_cuda_templateIN3c104HalfEEESt5tupleIJNSC_6TensorESJ_SJ_EERKSJ_lbbbEUlllE1_EE10hipError_tPvRmT2_T3_mT4_P12ihipStream_tbEUlmE_lEESB_NS0_8identityIvEEEESO_SR_SS_mST_SV_bEUlT_E_NS1_11comp_targetILNS1_3genE9ELNS1_11target_archE1100ELNS1_3gpuE3ELNS1_3repE0EEENS1_30default_config_static_selectorELNS0_4arch9wavefront6targetE0EEEvT1_.num_named_barrier, 0
	.set _ZN7rocprim17ROCPRIM_400000_NS6detail17trampoline_kernelINS0_14default_configENS1_25transform_config_selectorIlLb0EEEZNS1_14transform_implILb0ES3_S5_NS0_18transform_iteratorINS0_17counting_iteratorImlEEZNS1_24adjacent_difference_implIS3_Lb1ELb0EPlSB_ZN2at6native12_GLOBAL__N_124unique_dim_cuda_templateIN3c104HalfEEESt5tupleIJNSC_6TensorESJ_SJ_EERKSJ_lbbbEUlllE1_EE10hipError_tPvRmT2_T3_mT4_P12ihipStream_tbEUlmE_lEESB_NS0_8identityIvEEEESO_SR_SS_mST_SV_bEUlT_E_NS1_11comp_targetILNS1_3genE9ELNS1_11target_archE1100ELNS1_3gpuE3ELNS1_3repE0EEENS1_30default_config_static_selectorELNS0_4arch9wavefront6targetE0EEEvT1_.private_seg_size, 0
	.set _ZN7rocprim17ROCPRIM_400000_NS6detail17trampoline_kernelINS0_14default_configENS1_25transform_config_selectorIlLb0EEEZNS1_14transform_implILb0ES3_S5_NS0_18transform_iteratorINS0_17counting_iteratorImlEEZNS1_24adjacent_difference_implIS3_Lb1ELb0EPlSB_ZN2at6native12_GLOBAL__N_124unique_dim_cuda_templateIN3c104HalfEEESt5tupleIJNSC_6TensorESJ_SJ_EERKSJ_lbbbEUlllE1_EE10hipError_tPvRmT2_T3_mT4_P12ihipStream_tbEUlmE_lEESB_NS0_8identityIvEEEESO_SR_SS_mST_SV_bEUlT_E_NS1_11comp_targetILNS1_3genE9ELNS1_11target_archE1100ELNS1_3gpuE3ELNS1_3repE0EEENS1_30default_config_static_selectorELNS0_4arch9wavefront6targetE0EEEvT1_.uses_vcc, 0
	.set _ZN7rocprim17ROCPRIM_400000_NS6detail17trampoline_kernelINS0_14default_configENS1_25transform_config_selectorIlLb0EEEZNS1_14transform_implILb0ES3_S5_NS0_18transform_iteratorINS0_17counting_iteratorImlEEZNS1_24adjacent_difference_implIS3_Lb1ELb0EPlSB_ZN2at6native12_GLOBAL__N_124unique_dim_cuda_templateIN3c104HalfEEESt5tupleIJNSC_6TensorESJ_SJ_EERKSJ_lbbbEUlllE1_EE10hipError_tPvRmT2_T3_mT4_P12ihipStream_tbEUlmE_lEESB_NS0_8identityIvEEEESO_SR_SS_mST_SV_bEUlT_E_NS1_11comp_targetILNS1_3genE9ELNS1_11target_archE1100ELNS1_3gpuE3ELNS1_3repE0EEENS1_30default_config_static_selectorELNS0_4arch9wavefront6targetE0EEEvT1_.uses_flat_scratch, 0
	.set _ZN7rocprim17ROCPRIM_400000_NS6detail17trampoline_kernelINS0_14default_configENS1_25transform_config_selectorIlLb0EEEZNS1_14transform_implILb0ES3_S5_NS0_18transform_iteratorINS0_17counting_iteratorImlEEZNS1_24adjacent_difference_implIS3_Lb1ELb0EPlSB_ZN2at6native12_GLOBAL__N_124unique_dim_cuda_templateIN3c104HalfEEESt5tupleIJNSC_6TensorESJ_SJ_EERKSJ_lbbbEUlllE1_EE10hipError_tPvRmT2_T3_mT4_P12ihipStream_tbEUlmE_lEESB_NS0_8identityIvEEEESO_SR_SS_mST_SV_bEUlT_E_NS1_11comp_targetILNS1_3genE9ELNS1_11target_archE1100ELNS1_3gpuE3ELNS1_3repE0EEENS1_30default_config_static_selectorELNS0_4arch9wavefront6targetE0EEEvT1_.has_dyn_sized_stack, 0
	.set _ZN7rocprim17ROCPRIM_400000_NS6detail17trampoline_kernelINS0_14default_configENS1_25transform_config_selectorIlLb0EEEZNS1_14transform_implILb0ES3_S5_NS0_18transform_iteratorINS0_17counting_iteratorImlEEZNS1_24adjacent_difference_implIS3_Lb1ELb0EPlSB_ZN2at6native12_GLOBAL__N_124unique_dim_cuda_templateIN3c104HalfEEESt5tupleIJNSC_6TensorESJ_SJ_EERKSJ_lbbbEUlllE1_EE10hipError_tPvRmT2_T3_mT4_P12ihipStream_tbEUlmE_lEESB_NS0_8identityIvEEEESO_SR_SS_mST_SV_bEUlT_E_NS1_11comp_targetILNS1_3genE9ELNS1_11target_archE1100ELNS1_3gpuE3ELNS1_3repE0EEENS1_30default_config_static_selectorELNS0_4arch9wavefront6targetE0EEEvT1_.has_recursion, 0
	.set _ZN7rocprim17ROCPRIM_400000_NS6detail17trampoline_kernelINS0_14default_configENS1_25transform_config_selectorIlLb0EEEZNS1_14transform_implILb0ES3_S5_NS0_18transform_iteratorINS0_17counting_iteratorImlEEZNS1_24adjacent_difference_implIS3_Lb1ELb0EPlSB_ZN2at6native12_GLOBAL__N_124unique_dim_cuda_templateIN3c104HalfEEESt5tupleIJNSC_6TensorESJ_SJ_EERKSJ_lbbbEUlllE1_EE10hipError_tPvRmT2_T3_mT4_P12ihipStream_tbEUlmE_lEESB_NS0_8identityIvEEEESO_SR_SS_mST_SV_bEUlT_E_NS1_11comp_targetILNS1_3genE9ELNS1_11target_archE1100ELNS1_3gpuE3ELNS1_3repE0EEENS1_30default_config_static_selectorELNS0_4arch9wavefront6targetE0EEEvT1_.has_indirect_call, 0
	.section	.AMDGPU.csdata,"",@progbits
; Kernel info:
; codeLenInByte = 0
; TotalNumSgprs: 0
; NumVgprs: 0
; ScratchSize: 0
; MemoryBound: 0
; FloatMode: 240
; IeeeMode: 1
; LDSByteSize: 0 bytes/workgroup (compile time only)
; SGPRBlocks: 0
; VGPRBlocks: 0
; NumSGPRsForWavesPerEU: 1
; NumVGPRsForWavesPerEU: 1
; NamedBarCnt: 0
; Occupancy: 16
; WaveLimiterHint : 0
; COMPUTE_PGM_RSRC2:SCRATCH_EN: 0
; COMPUTE_PGM_RSRC2:USER_SGPR: 2
; COMPUTE_PGM_RSRC2:TRAP_HANDLER: 0
; COMPUTE_PGM_RSRC2:TGID_X_EN: 1
; COMPUTE_PGM_RSRC2:TGID_Y_EN: 0
; COMPUTE_PGM_RSRC2:TGID_Z_EN: 0
; COMPUTE_PGM_RSRC2:TIDIG_COMP_CNT: 0
	.section	.text._ZN7rocprim17ROCPRIM_400000_NS6detail17trampoline_kernelINS0_14default_configENS1_25transform_config_selectorIlLb0EEEZNS1_14transform_implILb0ES3_S5_NS0_18transform_iteratorINS0_17counting_iteratorImlEEZNS1_24adjacent_difference_implIS3_Lb1ELb0EPlSB_ZN2at6native12_GLOBAL__N_124unique_dim_cuda_templateIN3c104HalfEEESt5tupleIJNSC_6TensorESJ_SJ_EERKSJ_lbbbEUlllE1_EE10hipError_tPvRmT2_T3_mT4_P12ihipStream_tbEUlmE_lEESB_NS0_8identityIvEEEESO_SR_SS_mST_SV_bEUlT_E_NS1_11comp_targetILNS1_3genE8ELNS1_11target_archE1030ELNS1_3gpuE2ELNS1_3repE0EEENS1_30default_config_static_selectorELNS0_4arch9wavefront6targetE0EEEvT1_,"axG",@progbits,_ZN7rocprim17ROCPRIM_400000_NS6detail17trampoline_kernelINS0_14default_configENS1_25transform_config_selectorIlLb0EEEZNS1_14transform_implILb0ES3_S5_NS0_18transform_iteratorINS0_17counting_iteratorImlEEZNS1_24adjacent_difference_implIS3_Lb1ELb0EPlSB_ZN2at6native12_GLOBAL__N_124unique_dim_cuda_templateIN3c104HalfEEESt5tupleIJNSC_6TensorESJ_SJ_EERKSJ_lbbbEUlllE1_EE10hipError_tPvRmT2_T3_mT4_P12ihipStream_tbEUlmE_lEESB_NS0_8identityIvEEEESO_SR_SS_mST_SV_bEUlT_E_NS1_11comp_targetILNS1_3genE8ELNS1_11target_archE1030ELNS1_3gpuE2ELNS1_3repE0EEENS1_30default_config_static_selectorELNS0_4arch9wavefront6targetE0EEEvT1_,comdat
	.globl	_ZN7rocprim17ROCPRIM_400000_NS6detail17trampoline_kernelINS0_14default_configENS1_25transform_config_selectorIlLb0EEEZNS1_14transform_implILb0ES3_S5_NS0_18transform_iteratorINS0_17counting_iteratorImlEEZNS1_24adjacent_difference_implIS3_Lb1ELb0EPlSB_ZN2at6native12_GLOBAL__N_124unique_dim_cuda_templateIN3c104HalfEEESt5tupleIJNSC_6TensorESJ_SJ_EERKSJ_lbbbEUlllE1_EE10hipError_tPvRmT2_T3_mT4_P12ihipStream_tbEUlmE_lEESB_NS0_8identityIvEEEESO_SR_SS_mST_SV_bEUlT_E_NS1_11comp_targetILNS1_3genE8ELNS1_11target_archE1030ELNS1_3gpuE2ELNS1_3repE0EEENS1_30default_config_static_selectorELNS0_4arch9wavefront6targetE0EEEvT1_ ; -- Begin function _ZN7rocprim17ROCPRIM_400000_NS6detail17trampoline_kernelINS0_14default_configENS1_25transform_config_selectorIlLb0EEEZNS1_14transform_implILb0ES3_S5_NS0_18transform_iteratorINS0_17counting_iteratorImlEEZNS1_24adjacent_difference_implIS3_Lb1ELb0EPlSB_ZN2at6native12_GLOBAL__N_124unique_dim_cuda_templateIN3c104HalfEEESt5tupleIJNSC_6TensorESJ_SJ_EERKSJ_lbbbEUlllE1_EE10hipError_tPvRmT2_T3_mT4_P12ihipStream_tbEUlmE_lEESB_NS0_8identityIvEEEESO_SR_SS_mST_SV_bEUlT_E_NS1_11comp_targetILNS1_3genE8ELNS1_11target_archE1030ELNS1_3gpuE2ELNS1_3repE0EEENS1_30default_config_static_selectorELNS0_4arch9wavefront6targetE0EEEvT1_
	.p2align	8
	.type	_ZN7rocprim17ROCPRIM_400000_NS6detail17trampoline_kernelINS0_14default_configENS1_25transform_config_selectorIlLb0EEEZNS1_14transform_implILb0ES3_S5_NS0_18transform_iteratorINS0_17counting_iteratorImlEEZNS1_24adjacent_difference_implIS3_Lb1ELb0EPlSB_ZN2at6native12_GLOBAL__N_124unique_dim_cuda_templateIN3c104HalfEEESt5tupleIJNSC_6TensorESJ_SJ_EERKSJ_lbbbEUlllE1_EE10hipError_tPvRmT2_T3_mT4_P12ihipStream_tbEUlmE_lEESB_NS0_8identityIvEEEESO_SR_SS_mST_SV_bEUlT_E_NS1_11comp_targetILNS1_3genE8ELNS1_11target_archE1030ELNS1_3gpuE2ELNS1_3repE0EEENS1_30default_config_static_selectorELNS0_4arch9wavefront6targetE0EEEvT1_,@function
_ZN7rocprim17ROCPRIM_400000_NS6detail17trampoline_kernelINS0_14default_configENS1_25transform_config_selectorIlLb0EEEZNS1_14transform_implILb0ES3_S5_NS0_18transform_iteratorINS0_17counting_iteratorImlEEZNS1_24adjacent_difference_implIS3_Lb1ELb0EPlSB_ZN2at6native12_GLOBAL__N_124unique_dim_cuda_templateIN3c104HalfEEESt5tupleIJNSC_6TensorESJ_SJ_EERKSJ_lbbbEUlllE1_EE10hipError_tPvRmT2_T3_mT4_P12ihipStream_tbEUlmE_lEESB_NS0_8identityIvEEEESO_SR_SS_mST_SV_bEUlT_E_NS1_11comp_targetILNS1_3genE8ELNS1_11target_archE1030ELNS1_3gpuE2ELNS1_3repE0EEENS1_30default_config_static_selectorELNS0_4arch9wavefront6targetE0EEEvT1_: ; @_ZN7rocprim17ROCPRIM_400000_NS6detail17trampoline_kernelINS0_14default_configENS1_25transform_config_selectorIlLb0EEEZNS1_14transform_implILb0ES3_S5_NS0_18transform_iteratorINS0_17counting_iteratorImlEEZNS1_24adjacent_difference_implIS3_Lb1ELb0EPlSB_ZN2at6native12_GLOBAL__N_124unique_dim_cuda_templateIN3c104HalfEEESt5tupleIJNSC_6TensorESJ_SJ_EERKSJ_lbbbEUlllE1_EE10hipError_tPvRmT2_T3_mT4_P12ihipStream_tbEUlmE_lEESB_NS0_8identityIvEEEESO_SR_SS_mST_SV_bEUlT_E_NS1_11comp_targetILNS1_3genE8ELNS1_11target_archE1030ELNS1_3gpuE2ELNS1_3repE0EEENS1_30default_config_static_selectorELNS0_4arch9wavefront6targetE0EEEvT1_
; %bb.0:
	.section	.rodata,"a",@progbits
	.p2align	6, 0x0
	.amdhsa_kernel _ZN7rocprim17ROCPRIM_400000_NS6detail17trampoline_kernelINS0_14default_configENS1_25transform_config_selectorIlLb0EEEZNS1_14transform_implILb0ES3_S5_NS0_18transform_iteratorINS0_17counting_iteratorImlEEZNS1_24adjacent_difference_implIS3_Lb1ELb0EPlSB_ZN2at6native12_GLOBAL__N_124unique_dim_cuda_templateIN3c104HalfEEESt5tupleIJNSC_6TensorESJ_SJ_EERKSJ_lbbbEUlllE1_EE10hipError_tPvRmT2_T3_mT4_P12ihipStream_tbEUlmE_lEESB_NS0_8identityIvEEEESO_SR_SS_mST_SV_bEUlT_E_NS1_11comp_targetILNS1_3genE8ELNS1_11target_archE1030ELNS1_3gpuE2ELNS1_3repE0EEENS1_30default_config_static_selectorELNS0_4arch9wavefront6targetE0EEEvT1_
		.amdhsa_group_segment_fixed_size 0
		.amdhsa_private_segment_fixed_size 0
		.amdhsa_kernarg_size 56
		.amdhsa_user_sgpr_count 2
		.amdhsa_user_sgpr_dispatch_ptr 0
		.amdhsa_user_sgpr_queue_ptr 0
		.amdhsa_user_sgpr_kernarg_segment_ptr 1
		.amdhsa_user_sgpr_dispatch_id 0
		.amdhsa_user_sgpr_kernarg_preload_length 0
		.amdhsa_user_sgpr_kernarg_preload_offset 0
		.amdhsa_user_sgpr_private_segment_size 0
		.amdhsa_wavefront_size32 1
		.amdhsa_uses_dynamic_stack 0
		.amdhsa_enable_private_segment 0
		.amdhsa_system_sgpr_workgroup_id_x 1
		.amdhsa_system_sgpr_workgroup_id_y 0
		.amdhsa_system_sgpr_workgroup_id_z 0
		.amdhsa_system_sgpr_workgroup_info 0
		.amdhsa_system_vgpr_workitem_id 0
		.amdhsa_next_free_vgpr 1
		.amdhsa_next_free_sgpr 1
		.amdhsa_named_barrier_count 0
		.amdhsa_reserve_vcc 0
		.amdhsa_float_round_mode_32 0
		.amdhsa_float_round_mode_16_64 0
		.amdhsa_float_denorm_mode_32 3
		.amdhsa_float_denorm_mode_16_64 3
		.amdhsa_fp16_overflow 0
		.amdhsa_memory_ordered 1
		.amdhsa_forward_progress 1
		.amdhsa_inst_pref_size 0
		.amdhsa_round_robin_scheduling 0
		.amdhsa_exception_fp_ieee_invalid_op 0
		.amdhsa_exception_fp_denorm_src 0
		.amdhsa_exception_fp_ieee_div_zero 0
		.amdhsa_exception_fp_ieee_overflow 0
		.amdhsa_exception_fp_ieee_underflow 0
		.amdhsa_exception_fp_ieee_inexact 0
		.amdhsa_exception_int_div_zero 0
	.end_amdhsa_kernel
	.section	.text._ZN7rocprim17ROCPRIM_400000_NS6detail17trampoline_kernelINS0_14default_configENS1_25transform_config_selectorIlLb0EEEZNS1_14transform_implILb0ES3_S5_NS0_18transform_iteratorINS0_17counting_iteratorImlEEZNS1_24adjacent_difference_implIS3_Lb1ELb0EPlSB_ZN2at6native12_GLOBAL__N_124unique_dim_cuda_templateIN3c104HalfEEESt5tupleIJNSC_6TensorESJ_SJ_EERKSJ_lbbbEUlllE1_EE10hipError_tPvRmT2_T3_mT4_P12ihipStream_tbEUlmE_lEESB_NS0_8identityIvEEEESO_SR_SS_mST_SV_bEUlT_E_NS1_11comp_targetILNS1_3genE8ELNS1_11target_archE1030ELNS1_3gpuE2ELNS1_3repE0EEENS1_30default_config_static_selectorELNS0_4arch9wavefront6targetE0EEEvT1_,"axG",@progbits,_ZN7rocprim17ROCPRIM_400000_NS6detail17trampoline_kernelINS0_14default_configENS1_25transform_config_selectorIlLb0EEEZNS1_14transform_implILb0ES3_S5_NS0_18transform_iteratorINS0_17counting_iteratorImlEEZNS1_24adjacent_difference_implIS3_Lb1ELb0EPlSB_ZN2at6native12_GLOBAL__N_124unique_dim_cuda_templateIN3c104HalfEEESt5tupleIJNSC_6TensorESJ_SJ_EERKSJ_lbbbEUlllE1_EE10hipError_tPvRmT2_T3_mT4_P12ihipStream_tbEUlmE_lEESB_NS0_8identityIvEEEESO_SR_SS_mST_SV_bEUlT_E_NS1_11comp_targetILNS1_3genE8ELNS1_11target_archE1030ELNS1_3gpuE2ELNS1_3repE0EEENS1_30default_config_static_selectorELNS0_4arch9wavefront6targetE0EEEvT1_,comdat
.Lfunc_end1288:
	.size	_ZN7rocprim17ROCPRIM_400000_NS6detail17trampoline_kernelINS0_14default_configENS1_25transform_config_selectorIlLb0EEEZNS1_14transform_implILb0ES3_S5_NS0_18transform_iteratorINS0_17counting_iteratorImlEEZNS1_24adjacent_difference_implIS3_Lb1ELb0EPlSB_ZN2at6native12_GLOBAL__N_124unique_dim_cuda_templateIN3c104HalfEEESt5tupleIJNSC_6TensorESJ_SJ_EERKSJ_lbbbEUlllE1_EE10hipError_tPvRmT2_T3_mT4_P12ihipStream_tbEUlmE_lEESB_NS0_8identityIvEEEESO_SR_SS_mST_SV_bEUlT_E_NS1_11comp_targetILNS1_3genE8ELNS1_11target_archE1030ELNS1_3gpuE2ELNS1_3repE0EEENS1_30default_config_static_selectorELNS0_4arch9wavefront6targetE0EEEvT1_, .Lfunc_end1288-_ZN7rocprim17ROCPRIM_400000_NS6detail17trampoline_kernelINS0_14default_configENS1_25transform_config_selectorIlLb0EEEZNS1_14transform_implILb0ES3_S5_NS0_18transform_iteratorINS0_17counting_iteratorImlEEZNS1_24adjacent_difference_implIS3_Lb1ELb0EPlSB_ZN2at6native12_GLOBAL__N_124unique_dim_cuda_templateIN3c104HalfEEESt5tupleIJNSC_6TensorESJ_SJ_EERKSJ_lbbbEUlllE1_EE10hipError_tPvRmT2_T3_mT4_P12ihipStream_tbEUlmE_lEESB_NS0_8identityIvEEEESO_SR_SS_mST_SV_bEUlT_E_NS1_11comp_targetILNS1_3genE8ELNS1_11target_archE1030ELNS1_3gpuE2ELNS1_3repE0EEENS1_30default_config_static_selectorELNS0_4arch9wavefront6targetE0EEEvT1_
                                        ; -- End function
	.set _ZN7rocprim17ROCPRIM_400000_NS6detail17trampoline_kernelINS0_14default_configENS1_25transform_config_selectorIlLb0EEEZNS1_14transform_implILb0ES3_S5_NS0_18transform_iteratorINS0_17counting_iteratorImlEEZNS1_24adjacent_difference_implIS3_Lb1ELb0EPlSB_ZN2at6native12_GLOBAL__N_124unique_dim_cuda_templateIN3c104HalfEEESt5tupleIJNSC_6TensorESJ_SJ_EERKSJ_lbbbEUlllE1_EE10hipError_tPvRmT2_T3_mT4_P12ihipStream_tbEUlmE_lEESB_NS0_8identityIvEEEESO_SR_SS_mST_SV_bEUlT_E_NS1_11comp_targetILNS1_3genE8ELNS1_11target_archE1030ELNS1_3gpuE2ELNS1_3repE0EEENS1_30default_config_static_selectorELNS0_4arch9wavefront6targetE0EEEvT1_.num_vgpr, 0
	.set _ZN7rocprim17ROCPRIM_400000_NS6detail17trampoline_kernelINS0_14default_configENS1_25transform_config_selectorIlLb0EEEZNS1_14transform_implILb0ES3_S5_NS0_18transform_iteratorINS0_17counting_iteratorImlEEZNS1_24adjacent_difference_implIS3_Lb1ELb0EPlSB_ZN2at6native12_GLOBAL__N_124unique_dim_cuda_templateIN3c104HalfEEESt5tupleIJNSC_6TensorESJ_SJ_EERKSJ_lbbbEUlllE1_EE10hipError_tPvRmT2_T3_mT4_P12ihipStream_tbEUlmE_lEESB_NS0_8identityIvEEEESO_SR_SS_mST_SV_bEUlT_E_NS1_11comp_targetILNS1_3genE8ELNS1_11target_archE1030ELNS1_3gpuE2ELNS1_3repE0EEENS1_30default_config_static_selectorELNS0_4arch9wavefront6targetE0EEEvT1_.num_agpr, 0
	.set _ZN7rocprim17ROCPRIM_400000_NS6detail17trampoline_kernelINS0_14default_configENS1_25transform_config_selectorIlLb0EEEZNS1_14transform_implILb0ES3_S5_NS0_18transform_iteratorINS0_17counting_iteratorImlEEZNS1_24adjacent_difference_implIS3_Lb1ELb0EPlSB_ZN2at6native12_GLOBAL__N_124unique_dim_cuda_templateIN3c104HalfEEESt5tupleIJNSC_6TensorESJ_SJ_EERKSJ_lbbbEUlllE1_EE10hipError_tPvRmT2_T3_mT4_P12ihipStream_tbEUlmE_lEESB_NS0_8identityIvEEEESO_SR_SS_mST_SV_bEUlT_E_NS1_11comp_targetILNS1_3genE8ELNS1_11target_archE1030ELNS1_3gpuE2ELNS1_3repE0EEENS1_30default_config_static_selectorELNS0_4arch9wavefront6targetE0EEEvT1_.numbered_sgpr, 0
	.set _ZN7rocprim17ROCPRIM_400000_NS6detail17trampoline_kernelINS0_14default_configENS1_25transform_config_selectorIlLb0EEEZNS1_14transform_implILb0ES3_S5_NS0_18transform_iteratorINS0_17counting_iteratorImlEEZNS1_24adjacent_difference_implIS3_Lb1ELb0EPlSB_ZN2at6native12_GLOBAL__N_124unique_dim_cuda_templateIN3c104HalfEEESt5tupleIJNSC_6TensorESJ_SJ_EERKSJ_lbbbEUlllE1_EE10hipError_tPvRmT2_T3_mT4_P12ihipStream_tbEUlmE_lEESB_NS0_8identityIvEEEESO_SR_SS_mST_SV_bEUlT_E_NS1_11comp_targetILNS1_3genE8ELNS1_11target_archE1030ELNS1_3gpuE2ELNS1_3repE0EEENS1_30default_config_static_selectorELNS0_4arch9wavefront6targetE0EEEvT1_.num_named_barrier, 0
	.set _ZN7rocprim17ROCPRIM_400000_NS6detail17trampoline_kernelINS0_14default_configENS1_25transform_config_selectorIlLb0EEEZNS1_14transform_implILb0ES3_S5_NS0_18transform_iteratorINS0_17counting_iteratorImlEEZNS1_24adjacent_difference_implIS3_Lb1ELb0EPlSB_ZN2at6native12_GLOBAL__N_124unique_dim_cuda_templateIN3c104HalfEEESt5tupleIJNSC_6TensorESJ_SJ_EERKSJ_lbbbEUlllE1_EE10hipError_tPvRmT2_T3_mT4_P12ihipStream_tbEUlmE_lEESB_NS0_8identityIvEEEESO_SR_SS_mST_SV_bEUlT_E_NS1_11comp_targetILNS1_3genE8ELNS1_11target_archE1030ELNS1_3gpuE2ELNS1_3repE0EEENS1_30default_config_static_selectorELNS0_4arch9wavefront6targetE0EEEvT1_.private_seg_size, 0
	.set _ZN7rocprim17ROCPRIM_400000_NS6detail17trampoline_kernelINS0_14default_configENS1_25transform_config_selectorIlLb0EEEZNS1_14transform_implILb0ES3_S5_NS0_18transform_iteratorINS0_17counting_iteratorImlEEZNS1_24adjacent_difference_implIS3_Lb1ELb0EPlSB_ZN2at6native12_GLOBAL__N_124unique_dim_cuda_templateIN3c104HalfEEESt5tupleIJNSC_6TensorESJ_SJ_EERKSJ_lbbbEUlllE1_EE10hipError_tPvRmT2_T3_mT4_P12ihipStream_tbEUlmE_lEESB_NS0_8identityIvEEEESO_SR_SS_mST_SV_bEUlT_E_NS1_11comp_targetILNS1_3genE8ELNS1_11target_archE1030ELNS1_3gpuE2ELNS1_3repE0EEENS1_30default_config_static_selectorELNS0_4arch9wavefront6targetE0EEEvT1_.uses_vcc, 0
	.set _ZN7rocprim17ROCPRIM_400000_NS6detail17trampoline_kernelINS0_14default_configENS1_25transform_config_selectorIlLb0EEEZNS1_14transform_implILb0ES3_S5_NS0_18transform_iteratorINS0_17counting_iteratorImlEEZNS1_24adjacent_difference_implIS3_Lb1ELb0EPlSB_ZN2at6native12_GLOBAL__N_124unique_dim_cuda_templateIN3c104HalfEEESt5tupleIJNSC_6TensorESJ_SJ_EERKSJ_lbbbEUlllE1_EE10hipError_tPvRmT2_T3_mT4_P12ihipStream_tbEUlmE_lEESB_NS0_8identityIvEEEESO_SR_SS_mST_SV_bEUlT_E_NS1_11comp_targetILNS1_3genE8ELNS1_11target_archE1030ELNS1_3gpuE2ELNS1_3repE0EEENS1_30default_config_static_selectorELNS0_4arch9wavefront6targetE0EEEvT1_.uses_flat_scratch, 0
	.set _ZN7rocprim17ROCPRIM_400000_NS6detail17trampoline_kernelINS0_14default_configENS1_25transform_config_selectorIlLb0EEEZNS1_14transform_implILb0ES3_S5_NS0_18transform_iteratorINS0_17counting_iteratorImlEEZNS1_24adjacent_difference_implIS3_Lb1ELb0EPlSB_ZN2at6native12_GLOBAL__N_124unique_dim_cuda_templateIN3c104HalfEEESt5tupleIJNSC_6TensorESJ_SJ_EERKSJ_lbbbEUlllE1_EE10hipError_tPvRmT2_T3_mT4_P12ihipStream_tbEUlmE_lEESB_NS0_8identityIvEEEESO_SR_SS_mST_SV_bEUlT_E_NS1_11comp_targetILNS1_3genE8ELNS1_11target_archE1030ELNS1_3gpuE2ELNS1_3repE0EEENS1_30default_config_static_selectorELNS0_4arch9wavefront6targetE0EEEvT1_.has_dyn_sized_stack, 0
	.set _ZN7rocprim17ROCPRIM_400000_NS6detail17trampoline_kernelINS0_14default_configENS1_25transform_config_selectorIlLb0EEEZNS1_14transform_implILb0ES3_S5_NS0_18transform_iteratorINS0_17counting_iteratorImlEEZNS1_24adjacent_difference_implIS3_Lb1ELb0EPlSB_ZN2at6native12_GLOBAL__N_124unique_dim_cuda_templateIN3c104HalfEEESt5tupleIJNSC_6TensorESJ_SJ_EERKSJ_lbbbEUlllE1_EE10hipError_tPvRmT2_T3_mT4_P12ihipStream_tbEUlmE_lEESB_NS0_8identityIvEEEESO_SR_SS_mST_SV_bEUlT_E_NS1_11comp_targetILNS1_3genE8ELNS1_11target_archE1030ELNS1_3gpuE2ELNS1_3repE0EEENS1_30default_config_static_selectorELNS0_4arch9wavefront6targetE0EEEvT1_.has_recursion, 0
	.set _ZN7rocprim17ROCPRIM_400000_NS6detail17trampoline_kernelINS0_14default_configENS1_25transform_config_selectorIlLb0EEEZNS1_14transform_implILb0ES3_S5_NS0_18transform_iteratorINS0_17counting_iteratorImlEEZNS1_24adjacent_difference_implIS3_Lb1ELb0EPlSB_ZN2at6native12_GLOBAL__N_124unique_dim_cuda_templateIN3c104HalfEEESt5tupleIJNSC_6TensorESJ_SJ_EERKSJ_lbbbEUlllE1_EE10hipError_tPvRmT2_T3_mT4_P12ihipStream_tbEUlmE_lEESB_NS0_8identityIvEEEESO_SR_SS_mST_SV_bEUlT_E_NS1_11comp_targetILNS1_3genE8ELNS1_11target_archE1030ELNS1_3gpuE2ELNS1_3repE0EEENS1_30default_config_static_selectorELNS0_4arch9wavefront6targetE0EEEvT1_.has_indirect_call, 0
	.section	.AMDGPU.csdata,"",@progbits
; Kernel info:
; codeLenInByte = 0
; TotalNumSgprs: 0
; NumVgprs: 0
; ScratchSize: 0
; MemoryBound: 0
; FloatMode: 240
; IeeeMode: 1
; LDSByteSize: 0 bytes/workgroup (compile time only)
; SGPRBlocks: 0
; VGPRBlocks: 0
; NumSGPRsForWavesPerEU: 1
; NumVGPRsForWavesPerEU: 1
; NamedBarCnt: 0
; Occupancy: 16
; WaveLimiterHint : 0
; COMPUTE_PGM_RSRC2:SCRATCH_EN: 0
; COMPUTE_PGM_RSRC2:USER_SGPR: 2
; COMPUTE_PGM_RSRC2:TRAP_HANDLER: 0
; COMPUTE_PGM_RSRC2:TGID_X_EN: 1
; COMPUTE_PGM_RSRC2:TGID_Y_EN: 0
; COMPUTE_PGM_RSRC2:TGID_Z_EN: 0
; COMPUTE_PGM_RSRC2:TIDIG_COMP_CNT: 0
	.section	.text._ZN7rocprim17ROCPRIM_400000_NS6detail17trampoline_kernelINS0_14default_configENS1_35adjacent_difference_config_selectorILb1ElEEZNS1_24adjacent_difference_implIS3_Lb1ELb0EPlS7_ZN2at6native12_GLOBAL__N_124unique_dim_cuda_templateIN3c104HalfEEESt5tupleIJNS8_6TensorESF_SF_EERKSF_lbbbEUlllE1_EE10hipError_tPvRmT2_T3_mT4_P12ihipStream_tbEUlT_E_NS1_11comp_targetILNS1_3genE0ELNS1_11target_archE4294967295ELNS1_3gpuE0ELNS1_3repE0EEENS1_30default_config_static_selectorELNS0_4arch9wavefront6targetE0EEEvT1_,"axG",@progbits,_ZN7rocprim17ROCPRIM_400000_NS6detail17trampoline_kernelINS0_14default_configENS1_35adjacent_difference_config_selectorILb1ElEEZNS1_24adjacent_difference_implIS3_Lb1ELb0EPlS7_ZN2at6native12_GLOBAL__N_124unique_dim_cuda_templateIN3c104HalfEEESt5tupleIJNS8_6TensorESF_SF_EERKSF_lbbbEUlllE1_EE10hipError_tPvRmT2_T3_mT4_P12ihipStream_tbEUlT_E_NS1_11comp_targetILNS1_3genE0ELNS1_11target_archE4294967295ELNS1_3gpuE0ELNS1_3repE0EEENS1_30default_config_static_selectorELNS0_4arch9wavefront6targetE0EEEvT1_,comdat
	.globl	_ZN7rocprim17ROCPRIM_400000_NS6detail17trampoline_kernelINS0_14default_configENS1_35adjacent_difference_config_selectorILb1ElEEZNS1_24adjacent_difference_implIS3_Lb1ELb0EPlS7_ZN2at6native12_GLOBAL__N_124unique_dim_cuda_templateIN3c104HalfEEESt5tupleIJNS8_6TensorESF_SF_EERKSF_lbbbEUlllE1_EE10hipError_tPvRmT2_T3_mT4_P12ihipStream_tbEUlT_E_NS1_11comp_targetILNS1_3genE0ELNS1_11target_archE4294967295ELNS1_3gpuE0ELNS1_3repE0EEENS1_30default_config_static_selectorELNS0_4arch9wavefront6targetE0EEEvT1_ ; -- Begin function _ZN7rocprim17ROCPRIM_400000_NS6detail17trampoline_kernelINS0_14default_configENS1_35adjacent_difference_config_selectorILb1ElEEZNS1_24adjacent_difference_implIS3_Lb1ELb0EPlS7_ZN2at6native12_GLOBAL__N_124unique_dim_cuda_templateIN3c104HalfEEESt5tupleIJNS8_6TensorESF_SF_EERKSF_lbbbEUlllE1_EE10hipError_tPvRmT2_T3_mT4_P12ihipStream_tbEUlT_E_NS1_11comp_targetILNS1_3genE0ELNS1_11target_archE4294967295ELNS1_3gpuE0ELNS1_3repE0EEENS1_30default_config_static_selectorELNS0_4arch9wavefront6targetE0EEEvT1_
	.p2align	8
	.type	_ZN7rocprim17ROCPRIM_400000_NS6detail17trampoline_kernelINS0_14default_configENS1_35adjacent_difference_config_selectorILb1ElEEZNS1_24adjacent_difference_implIS3_Lb1ELb0EPlS7_ZN2at6native12_GLOBAL__N_124unique_dim_cuda_templateIN3c104HalfEEESt5tupleIJNS8_6TensorESF_SF_EERKSF_lbbbEUlllE1_EE10hipError_tPvRmT2_T3_mT4_P12ihipStream_tbEUlT_E_NS1_11comp_targetILNS1_3genE0ELNS1_11target_archE4294967295ELNS1_3gpuE0ELNS1_3repE0EEENS1_30default_config_static_selectorELNS0_4arch9wavefront6targetE0EEEvT1_,@function
_ZN7rocprim17ROCPRIM_400000_NS6detail17trampoline_kernelINS0_14default_configENS1_35adjacent_difference_config_selectorILb1ElEEZNS1_24adjacent_difference_implIS3_Lb1ELb0EPlS7_ZN2at6native12_GLOBAL__N_124unique_dim_cuda_templateIN3c104HalfEEESt5tupleIJNS8_6TensorESF_SF_EERKSF_lbbbEUlllE1_EE10hipError_tPvRmT2_T3_mT4_P12ihipStream_tbEUlT_E_NS1_11comp_targetILNS1_3genE0ELNS1_11target_archE4294967295ELNS1_3gpuE0ELNS1_3repE0EEENS1_30default_config_static_selectorELNS0_4arch9wavefront6targetE0EEEvT1_: ; @_ZN7rocprim17ROCPRIM_400000_NS6detail17trampoline_kernelINS0_14default_configENS1_35adjacent_difference_config_selectorILb1ElEEZNS1_24adjacent_difference_implIS3_Lb1ELb0EPlS7_ZN2at6native12_GLOBAL__N_124unique_dim_cuda_templateIN3c104HalfEEESt5tupleIJNS8_6TensorESF_SF_EERKSF_lbbbEUlllE1_EE10hipError_tPvRmT2_T3_mT4_P12ihipStream_tbEUlT_E_NS1_11comp_targetILNS1_3genE0ELNS1_11target_archE4294967295ELNS1_3gpuE0ELNS1_3repE0EEENS1_30default_config_static_selectorELNS0_4arch9wavefront6targetE0EEEvT1_
; %bb.0:
	s_load_b512 s[4:19], s[0:1], 0x0
	s_wait_xcnt 0x0
	s_bfe_u32 s0, ttmp6, 0x4000c
	s_and_b32 s1, ttmp6, 15
	s_add_co_i32 s0, s0, 1
	s_getreg_b32 s2, hwreg(HW_REG_IB_STS2, 6, 4)
	s_mul_i32 s0, ttmp9, s0
	s_mov_b32 s25, 0
	s_add_co_i32 s1, s1, s0
	s_wait_kmcnt 0x0
	s_lshl_b64 s[20:21], s[6:7], 3
	s_cmp_eq_u32 s2, 0
	s_add_nc_u64 s[4:5], s[4:5], s[20:21]
	s_cselect_b32 s3, ttmp9, s1
	s_and_b64 s[6:7], s[10:11], 0x3ff
	s_lshr_b64 s[0:1], s[10:11], 10
	s_lshl_b32 s2, s3, 10
	s_cmp_lg_u64 s[6:7], 0
	s_cselect_b32 s6, -1, 0
	s_delay_alu instid0(SALU_CYCLE_1) | instskip(NEXT) | instid1(VALU_DEP_1)
	v_cndmask_b32_e64 v1, 0, 1, s6
	v_readfirstlane_b32 s24, v1
	s_add_nc_u64 s[0:1], s[0:1], s[24:25]
	s_mov_b32 s24, s3
	s_add_nc_u64 s[6:7], s[0:1], -1
	s_add_nc_u64 s[22:23], s[18:19], s[24:25]
	s_mov_b32 s3, -1
	v_cmp_ge_u64_e64 s11, s[22:23], s[6:7]
	s_and_b32 vcc_lo, exec_lo, s11
	s_cbranch_vccz .LBB1289_6
; %bb.1:
	v_mov_b32_e32 v2, 0
	s_lshl_b32 s3, s6, 10
	s_delay_alu instid0(SALU_CYCLE_1) | instskip(SKIP_1) | instid1(VALU_DEP_1)
	s_sub_co_i32 s28, s10, s3
	s_mov_b32 s3, s25
	v_dual_mov_b32 v3, v2 :: v_dual_mov_b32 v4, v2
	v_mov_b32_e32 v5, v2
	s_lshl_b64 s[26:27], s[2:3], 3
	s_mov_b32 s3, exec_lo
	s_add_nc_u64 s[26:27], s[4:5], s[26:27]
	v_cmpx_gt_u32_e64 s28, v0
	s_cbranch_execz .LBB1289_3
; %bb.2:
	global_load_b64 v[4:5], v0, s[26:27] scale_offset
	v_dual_mov_b32 v6, v2 :: v_dual_mov_b32 v7, v2
	s_wait_loadcnt 0x0
	v_mov_b64_e32 v[2:3], v[4:5]
	s_delay_alu instid0(VALU_DEP_2)
	v_mov_b64_e32 v[4:5], v[6:7]
.LBB1289_3:
	s_or_b32 exec_lo, exec_lo, s3
	v_or_b32_e32 v1, 0x200, v0
	s_mov_b32 s3, exec_lo
	s_delay_alu instid0(VALU_DEP_1)
	v_cmpx_gt_u32_e64 s28, v1
	s_cbranch_execz .LBB1289_5
; %bb.4:
	global_load_b64 v[4:5], v0, s[26:27] offset:4096 scale_offset
.LBB1289_5:
	s_wait_xcnt 0x0
	s_or_b32 exec_lo, exec_lo, s3
	v_dual_lshrrev_b32 v6, 2, v0 :: v_dual_lshrrev_b32 v1, 2, v1
	v_lshlrev_b32_e32 v7, 3, v0
	s_mov_b32 s3, 0
	s_delay_alu instid0(VALU_DEP_2) | instskip(NEXT) | instid1(VALU_DEP_3)
	v_and_b32_e32 v6, 0x78, v6
	v_and_b32_e32 v1, 0xf8, v1
	s_delay_alu instid0(VALU_DEP_1)
	v_dual_add_nc_u32 v6, v6, v7 :: v_dual_add_nc_u32 v1, v1, v7
	ds_store_b64 v6, v[2:3]
	s_wait_loadcnt 0x0
	ds_store_b64 v1, v[4:5] offset:4096
	s_wait_dscnt 0x0
	s_barrier_signal -1
	s_barrier_wait -1
.LBB1289_6:
	s_and_b32 vcc_lo, exec_lo, s3
	s_cbranch_vccz .LBB1289_8
; %bb.7:
	s_mov_b32 s3, 0
	v_or_b32_e32 v1, 0x200, v0
	s_lshl_b64 s[26:27], s[2:3], 3
	v_lshrrev_b32_e32 v6, 2, v0
	s_add_nc_u64 s[4:5], s[4:5], s[26:27]
	v_lshlrev_b32_e32 v7, 3, v0
	s_clause 0x1
	global_load_b64 v[2:3], v0, s[4:5] scale_offset
	global_load_b64 v[4:5], v0, s[4:5] offset:4096 scale_offset
	v_lshrrev_b32_e32 v1, 2, v1
	v_and_b32_e32 v6, 0x78, v6
	s_delay_alu instid0(VALU_DEP_2) | instskip(NEXT) | instid1(VALU_DEP_1)
	v_and_b32_e32 v1, 0xf8, v1
	v_dual_add_nc_u32 v6, v6, v7 :: v_dual_add_nc_u32 v1, v1, v7
	s_wait_loadcnt 0x1
	ds_store_b64 v6, v[2:3]
	s_wait_loadcnt 0x0
	ds_store_b64 v1, v[4:5] offset:4096
	s_wait_dscnt 0x0
	s_barrier_signal -1
	s_barrier_wait -1
.LBB1289_8:
	v_lshrrev_b32_e32 v1, 1, v0
	s_cmp_eq_u64 s[22:23], 0
	s_delay_alu instid0(VALU_DEP_1) | instskip(NEXT) | instid1(VALU_DEP_1)
	v_and_b32_e32 v1, 0xf8, v1
	v_lshl_add_u32 v1, v0, 4, v1
	ds_load_2addr_b64 v[2:5], v1 offset1:1
	s_wait_dscnt 0x0
	s_barrier_signal -1
	s_barrier_wait -1
	s_cbranch_scc1 .LBB1289_15
; %bb.9:
	s_lshl_b64 s[4:5], s[18:19], 3
	s_delay_alu instid0(SALU_CYCLE_1) | instskip(SKIP_3) | instid1(SALU_CYCLE_1)
	s_add_nc_u64 s[4:5], s[16:17], s[4:5]
	s_lshl_b64 s[16:17], s[24:25], 3
	s_cmp_eq_u64 s[22:23], s[6:7]
	s_add_nc_u64 s[4:5], s[4:5], s[16:17]
	s_add_nc_u64 s[4:5], s[4:5], -8
	s_load_b64 s[4:5], s[4:5], 0x0
	s_cbranch_scc1 .LBB1289_16
; %bb.10:
	v_cmp_lt_i64_e64 s7, s[12:13], 1
	v_mov_b64_e32 v[8:9], 0
	v_cmp_gt_i64_e64 s3, s[12:13], 0
	v_lshlrev_b32_e32 v12, 3, v0
	s_and_b32 vcc_lo, exec_lo, s7
	ds_store_b64 v12, v[4:5]
	s_cbranch_vccnz .LBB1289_18
; %bb.11:
	v_mul_u64_e32 v[6:7], s[12:13], v[4:5]
	v_mul_u64_e32 v[8:9], s[12:13], v[2:3]
	s_mov_b32 s7, 0
	s_mov_b64 s[16:17], s[12:13]
                                        ; implicit-def: $sgpr18
	s_delay_alu instid0(VALU_DEP_2) | instskip(NEXT) | instid1(VALU_DEP_2)
	v_lshl_add_u64 v[6:7], v[6:7], 1, s[14:15]
	v_lshl_add_u64 v[10:11], v[8:9], 1, s[14:15]
	s_branch .LBB1289_13
.LBB1289_12:                            ;   in Loop: Header=BB1289_13 Depth=1
	s_or_b32 exec_lo, exec_lo, s19
	s_delay_alu instid0(SALU_CYCLE_1) | instskip(NEXT) | instid1(SALU_CYCLE_1)
	s_and_b32 s19, exec_lo, s18
	s_or_b32 s7, s19, s7
	s_delay_alu instid0(SALU_CYCLE_1)
	s_and_not1_b32 exec_lo, exec_lo, s7
	s_cbranch_execz .LBB1289_17
.LBB1289_13:                            ; =>This Inner Loop Header: Depth=1
	global_load_u16 v13, v[6:7], off
	global_load_u16 v14, v[10:11], off
	v_mov_b64_e32 v[8:9], 1
	s_or_b32 s18, s18, exec_lo
	s_mov_b32 s19, exec_lo
	s_wait_loadcnt 0x0
	v_cmpx_eq_f16_e32 v13, v14
	s_cbranch_execz .LBB1289_12
; %bb.14:                               ;   in Loop: Header=BB1289_13 Depth=1
	s_add_nc_u64 s[16:17], s[16:17], -1
	v_add_nc_u64_e32 v[6:7], 2, v[6:7]
	s_cmp_eq_u64 s[16:17], 0
	v_add_nc_u64_e32 v[10:11], 2, v[10:11]
	v_mov_b64_e32 v[8:9], 0
	s_cselect_b32 s23, -1, 0
	s_and_not1_b32 s18, s18, exec_lo
	s_and_b32 s23, s23, exec_lo
	s_delay_alu instid0(SALU_CYCLE_1)
	s_or_b32 s18, s18, s23
	s_branch .LBB1289_12
.LBB1289_15:
                                        ; implicit-def: $vgpr8_vgpr9
                                        ; implicit-def: $vgpr6_vgpr7
	s_branch .LBB1289_47
.LBB1289_16:
                                        ; implicit-def: $vgpr8_vgpr9
                                        ; implicit-def: $vgpr6_vgpr7
	s_cbranch_execnz .LBB1289_27
	s_branch .LBB1289_46
.LBB1289_17:
	s_or_b32 exec_lo, exec_lo, s7
.LBB1289_18:
	s_wait_kmcnt 0x0
	v_mov_b64_e32 v[6:7], s[4:5]
	s_mov_b32 s7, exec_lo
	s_wait_dscnt 0x0
	s_barrier_signal -1
	s_barrier_wait -1
	v_cmpx_ne_u32_e32 0, v0
; %bb.19:
	v_add_nc_u32_e32 v6, -8, v12
	ds_load_b64 v[6:7], v6
; %bb.20:
	s_or_b32 exec_lo, exec_lo, s7
	s_delay_alu instid0(SALU_CYCLE_1)
	s_and_not1_b32 vcc_lo, exec_lo, s3
	s_cbranch_vccnz .LBB1289_26
; %bb.21:
	v_mul_u64_e32 v[10:11], s[12:13], v[2:3]
	s_wait_dscnt 0x0
	v_mul_u64_e32 v[6:7], s[12:13], v[6:7]
	s_mov_b32 s3, 0
	s_mov_b64 s[16:17], s[12:13]
                                        ; implicit-def: $sgpr7
	s_delay_alu instid0(VALU_DEP_2) | instskip(NEXT) | instid1(VALU_DEP_2)
	v_lshl_add_u64 v[10:11], v[10:11], 1, s[14:15]
	v_lshl_add_u64 v[12:13], v[6:7], 1, s[14:15]
	s_branch .LBB1289_23
.LBB1289_22:                            ;   in Loop: Header=BB1289_23 Depth=1
	s_or_b32 exec_lo, exec_lo, s18
	s_delay_alu instid0(SALU_CYCLE_1) | instskip(NEXT) | instid1(SALU_CYCLE_1)
	s_and_b32 s18, exec_lo, s7
	s_or_b32 s3, s18, s3
	s_delay_alu instid0(SALU_CYCLE_1)
	s_and_not1_b32 exec_lo, exec_lo, s3
	s_cbranch_execz .LBB1289_25
.LBB1289_23:                            ; =>This Inner Loop Header: Depth=1
	global_load_u16 v14, v[10:11], off
	global_load_u16 v15, v[12:13], off
	v_mov_b64_e32 v[6:7], 1
	s_or_b32 s7, s7, exec_lo
	s_mov_b32 s18, exec_lo
	s_wait_loadcnt 0x0
	v_cmpx_eq_f16_e32 v14, v15
	s_cbranch_execz .LBB1289_22
; %bb.24:                               ;   in Loop: Header=BB1289_23 Depth=1
	s_add_nc_u64 s[16:17], s[16:17], -1
	v_add_nc_u64_e32 v[10:11], 2, v[10:11]
	s_cmp_eq_u64 s[16:17], 0
	v_add_nc_u64_e32 v[12:13], 2, v[12:13]
	v_mov_b64_e32 v[6:7], 0
	s_cselect_b32 s19, -1, 0
	s_and_not1_b32 s7, s7, exec_lo
	s_and_b32 s19, s19, exec_lo
	s_delay_alu instid0(SALU_CYCLE_1)
	s_or_b32 s7, s7, s19
	s_branch .LBB1289_22
.LBB1289_25:
	s_or_b32 exec_lo, exec_lo, s3
	s_branch .LBB1289_46
.LBB1289_26:
	s_wait_dscnt 0x0
	v_mov_b64_e32 v[6:7], 0
	s_branch .LBB1289_46
.LBB1289_27:
	v_dual_lshlrev_b32 v12, 1, v0 :: v_dual_lshlrev_b32 v13, 3, v0
	v_mov_b64_e32 v[8:9], v[4:5]
	s_lshl_b32 s3, s22, 10
	s_mov_b32 s7, exec_lo
	s_delay_alu instid0(VALU_DEP_2)
	v_or_b32_e32 v10, 1, v12
	s_sub_co_i32 s3, s10, s3
	v_mov_b64_e32 v[6:7], v[2:3]
	ds_store_b64 v13, v[4:5]
	v_cmpx_gt_u32_e64 s3, v10
	s_cbranch_execz .LBB1289_35
; %bb.28:
	v_cmp_lt_i64_e64 s16, s[12:13], 1
	s_and_b32 vcc_lo, exec_lo, s16
	s_cbranch_vccnz .LBB1289_34
; %bb.29:
	v_mul_u64_e32 v[6:7], s[12:13], v[4:5]
	v_mul_u64_e32 v[8:9], s[12:13], v[2:3]
	s_mov_b32 s18, 0
	s_mov_b64 s[16:17], s[12:13]
                                        ; implicit-def: $sgpr19
	s_delay_alu instid0(VALU_DEP_2) | instskip(NEXT) | instid1(VALU_DEP_2)
	v_lshl_add_u64 v[6:7], v[6:7], 1, s[14:15]
	v_lshl_add_u64 v[10:11], v[8:9], 1, s[14:15]
	s_branch .LBB1289_31
.LBB1289_30:                            ;   in Loop: Header=BB1289_31 Depth=1
	s_or_b32 exec_lo, exec_lo, s22
	s_delay_alu instid0(SALU_CYCLE_1) | instskip(NEXT) | instid1(SALU_CYCLE_1)
	s_and_b32 s22, exec_lo, s19
	s_or_b32 s18, s22, s18
	s_delay_alu instid0(SALU_CYCLE_1)
	s_and_not1_b32 exec_lo, exec_lo, s18
	s_cbranch_execz .LBB1289_33
.LBB1289_31:                            ; =>This Inner Loop Header: Depth=1
	global_load_u16 v14, v[6:7], off
	global_load_u16 v15, v[10:11], off
	v_mov_b64_e32 v[8:9], 1
	s_or_b32 s19, s19, exec_lo
	s_mov_b32 s22, exec_lo
	s_wait_loadcnt 0x0
	v_cmpx_eq_f16_e32 v14, v15
	s_cbranch_execz .LBB1289_30
; %bb.32:                               ;   in Loop: Header=BB1289_31 Depth=1
	s_add_nc_u64 s[16:17], s[16:17], -1
	v_add_nc_u64_e32 v[6:7], 2, v[6:7]
	s_cmp_eq_u64 s[16:17], 0
	v_add_nc_u64_e32 v[10:11], 2, v[10:11]
	s_cselect_b32 s23, -1, 0
	s_and_not1_b32 s19, s19, exec_lo
	s_and_b32 s23, s23, exec_lo
	v_mov_b64_e32 v[8:9], 0
	s_or_b32 s19, s19, s23
	s_branch .LBB1289_30
.LBB1289_33:
	s_or_b32 exec_lo, exec_lo, s18
	s_branch .LBB1289_35
.LBB1289_34:
	v_mov_b64_e32 v[8:9], 0
.LBB1289_35:
	s_or_b32 exec_lo, exec_lo, s7
	s_wait_kmcnt 0x0
	v_mov_b64_e32 v[10:11], s[4:5]
	s_mov_b32 s4, exec_lo
	s_wait_dscnt 0x0
	s_barrier_signal -1
	s_barrier_wait -1
	v_cmpx_ne_u32_e32 0, v0
; %bb.36:
	v_add_nc_u32_e32 v6, -8, v13
	ds_load_b64 v[10:11], v6
; %bb.37:
	s_or_b32 exec_lo, exec_lo, s4
	v_mov_b64_e32 v[6:7], v[2:3]
	v_cmp_gt_u32_e32 vcc_lo, s3, v12
	s_and_saveexec_b32 s3, vcc_lo
	s_cbranch_execz .LBB1289_45
; %bb.38:
	v_cmp_lt_i64_e64 s4, s[12:13], 1
	s_and_b32 vcc_lo, exec_lo, s4
	s_cbranch_vccnz .LBB1289_44
; %bb.39:
	v_mul_u64_e32 v[6:7], s[12:13], v[2:3]
	s_wait_dscnt 0x0
	v_mul_u64_e32 v[12:13], s[12:13], v[10:11]
	s_mov_b32 s7, 0
	s_mov_b64 s[4:5], s[12:13]
                                        ; implicit-def: $sgpr16
	s_delay_alu instid0(VALU_DEP_2) | instskip(NEXT) | instid1(VALU_DEP_2)
	v_lshl_add_u64 v[10:11], v[6:7], 1, s[14:15]
	v_lshl_add_u64 v[12:13], v[12:13], 1, s[14:15]
	s_branch .LBB1289_41
.LBB1289_40:                            ;   in Loop: Header=BB1289_41 Depth=1
	s_or_b32 exec_lo, exec_lo, s17
	s_delay_alu instid0(SALU_CYCLE_1) | instskip(NEXT) | instid1(SALU_CYCLE_1)
	s_and_b32 s17, exec_lo, s16
	s_or_b32 s7, s17, s7
	s_delay_alu instid0(SALU_CYCLE_1)
	s_and_not1_b32 exec_lo, exec_lo, s7
	s_cbranch_execz .LBB1289_43
.LBB1289_41:                            ; =>This Inner Loop Header: Depth=1
	global_load_u16 v14, v[10:11], off
	global_load_u16 v15, v[12:13], off
	v_mov_b64_e32 v[6:7], 1
	s_or_b32 s16, s16, exec_lo
	s_mov_b32 s17, exec_lo
	s_wait_loadcnt 0x0
	v_cmpx_eq_f16_e32 v14, v15
	s_cbranch_execz .LBB1289_40
; %bb.42:                               ;   in Loop: Header=BB1289_41 Depth=1
	s_add_nc_u64 s[4:5], s[4:5], -1
	v_add_nc_u64_e32 v[10:11], 2, v[10:11]
	s_cmp_eq_u64 s[4:5], 0
	v_add_nc_u64_e32 v[12:13], 2, v[12:13]
	v_mov_b64_e32 v[6:7], 0
	s_cselect_b32 s18, -1, 0
	s_and_not1_b32 s16, s16, exec_lo
	s_and_b32 s18, s18, exec_lo
	s_delay_alu instid0(SALU_CYCLE_1)
	s_or_b32 s16, s16, s18
	s_branch .LBB1289_40
.LBB1289_43:
	s_or_b32 exec_lo, exec_lo, s7
	s_branch .LBB1289_45
.LBB1289_44:
	v_mov_b64_e32 v[6:7], 0
.LBB1289_45:
	s_or_b32 exec_lo, exec_lo, s3
.LBB1289_46:
	s_cbranch_execnz .LBB1289_81
.LBB1289_47:
	s_cmp_eq_u64 s[0:1], 1
	s_cbranch_scc1 .LBB1289_53
; %bb.48:
	v_cmp_lt_i64_e64 s0, s[12:13], 1
	v_mov_b64_e32 v[8:9], 0
	s_wait_kmcnt 0x0
	v_cmp_gt_i64_e64 s4, s[12:13], 0
	v_lshlrev_b32_e32 v12, 3, v0
	s_and_b32 vcc_lo, exec_lo, s0
	ds_store_b64 v12, v[4:5]
	s_cbranch_vccnz .LBB1289_55
; %bb.49:
	v_mul_u64_e32 v[6:7], s[12:13], v[4:5]
	v_mul_u64_e32 v[8:9], s[12:13], v[2:3]
	s_mov_b32 s3, 0
	s_mov_b64 s[0:1], s[12:13]
                                        ; implicit-def: $sgpr5
	s_delay_alu instid0(VALU_DEP_2) | instskip(SKIP_1) | instid1(VALU_DEP_2)
	v_lshl_add_u64 v[6:7], v[6:7], 1, s[14:15]
	s_wait_dscnt 0x1
	v_lshl_add_u64 v[10:11], v[8:9], 1, s[14:15]
	s_branch .LBB1289_51
.LBB1289_50:                            ;   in Loop: Header=BB1289_51 Depth=1
	s_or_b32 exec_lo, exec_lo, s7
	s_delay_alu instid0(SALU_CYCLE_1) | instskip(NEXT) | instid1(SALU_CYCLE_1)
	s_and_b32 s7, exec_lo, s5
	s_or_b32 s3, s7, s3
	s_delay_alu instid0(SALU_CYCLE_1)
	s_and_not1_b32 exec_lo, exec_lo, s3
	s_cbranch_execz .LBB1289_54
.LBB1289_51:                            ; =>This Inner Loop Header: Depth=1
	global_load_u16 v13, v[6:7], off
	global_load_u16 v14, v[10:11], off
	v_mov_b64_e32 v[8:9], 1
	s_or_b32 s5, s5, exec_lo
	s_mov_b32 s7, exec_lo
	s_wait_loadcnt 0x0
	v_cmpx_eq_f16_e32 v13, v14
	s_cbranch_execz .LBB1289_50
; %bb.52:                               ;   in Loop: Header=BB1289_51 Depth=1
	s_add_nc_u64 s[0:1], s[0:1], -1
	v_add_nc_u64_e32 v[6:7], 2, v[6:7]
	s_cmp_eq_u64 s[0:1], 0
	v_add_nc_u64_e32 v[10:11], 2, v[10:11]
	v_mov_b64_e32 v[8:9], 0
	s_cselect_b32 s16, -1, 0
	s_and_not1_b32 s5, s5, exec_lo
	s_and_b32 s16, s16, exec_lo
	s_delay_alu instid0(SALU_CYCLE_1)
	s_or_b32 s5, s5, s16
	s_branch .LBB1289_50
.LBB1289_53:
                                        ; implicit-def: $vgpr8_vgpr9
                                        ; implicit-def: $vgpr6_vgpr7
	s_cbranch_execnz .LBB1289_63
	s_branch .LBB1289_81
.LBB1289_54:
	s_or_b32 exec_lo, exec_lo, s3
.LBB1289_55:
	v_mov_b64_e32 v[6:7], v[2:3]
	s_mov_b32 s3, 0
	s_mov_b32 s5, exec_lo
	s_wait_dscnt 0x0
	s_barrier_signal -1
	s_barrier_wait -1
	v_cmpx_ne_u32_e32 0, v0
	s_cbranch_execz .LBB1289_62
; %bb.56:
	s_and_not1_b32 vcc_lo, exec_lo, s4
	s_cbranch_vccnz .LBB1289_70
; %bb.57:
	v_add_nc_u32_e32 v6, -8, v12
	v_mul_u64_e32 v[10:11], s[12:13], v[2:3]
	s_mov_b32 s4, 0
	s_mov_b64 s[0:1], s[12:13]
                                        ; implicit-def: $sgpr7
	ds_load_b64 v[6:7], v6
	s_wait_dscnt 0x0
	v_mul_u64_e32 v[6:7], s[12:13], v[6:7]
	v_lshl_add_u64 v[10:11], v[10:11], 1, s[14:15]
	s_delay_alu instid0(VALU_DEP_2)
	v_lshl_add_u64 v[12:13], v[6:7], 1, s[14:15]
	s_branch .LBB1289_59
.LBB1289_58:                            ;   in Loop: Header=BB1289_59 Depth=1
	s_or_b32 exec_lo, exec_lo, s16
	s_delay_alu instid0(SALU_CYCLE_1) | instskip(NEXT) | instid1(SALU_CYCLE_1)
	s_and_b32 s16, exec_lo, s7
	s_or_b32 s4, s16, s4
	s_delay_alu instid0(SALU_CYCLE_1)
	s_and_not1_b32 exec_lo, exec_lo, s4
	s_cbranch_execz .LBB1289_61
.LBB1289_59:                            ; =>This Inner Loop Header: Depth=1
	global_load_u16 v14, v[10:11], off
	global_load_u16 v15, v[12:13], off
	v_mov_b64_e32 v[6:7], 1
	s_or_b32 s7, s7, exec_lo
	s_mov_b32 s16, exec_lo
	s_wait_loadcnt 0x0
	v_cmpx_eq_f16_e32 v14, v15
	s_cbranch_execz .LBB1289_58
; %bb.60:                               ;   in Loop: Header=BB1289_59 Depth=1
	s_add_nc_u64 s[0:1], s[0:1], -1
	v_add_nc_u64_e32 v[10:11], 2, v[10:11]
	s_cmp_eq_u64 s[0:1], 0
	v_add_nc_u64_e32 v[12:13], 2, v[12:13]
	v_mov_b64_e32 v[6:7], 0
	s_cselect_b32 s17, -1, 0
	s_and_not1_b32 s7, s7, exec_lo
	s_and_b32 s17, s17, exec_lo
	s_delay_alu instid0(SALU_CYCLE_1)
	s_or_b32 s7, s7, s17
	s_branch .LBB1289_58
.LBB1289_61:
	s_or_b32 exec_lo, exec_lo, s4
.LBB1289_62:
	s_delay_alu instid0(SALU_CYCLE_1) | instskip(NEXT) | instid1(SALU_CYCLE_1)
	s_or_b32 exec_lo, exec_lo, s5
	s_and_b32 vcc_lo, exec_lo, s3
	s_cbranch_vccz .LBB1289_81
.LBB1289_63:
	s_wait_dscnt 0x0
	v_dual_lshlrev_b32 v11, 1, v0 :: v_dual_lshlrev_b32 v10, 3, v0
	v_mov_b64_e32 v[8:9], v[4:5]
	s_mov_b32 s3, exec_lo
	v_mov_b64_e32 v[6:7], v[2:3]
	s_delay_alu instid0(VALU_DEP_3)
	v_or_b32_e32 v12, 1, v11
	ds_store_b64 v10, v[4:5]
	v_cmpx_gt_u32_e64 s10, v12
	s_cbranch_execz .LBB1289_72
; %bb.64:
	v_cmp_lt_i64_e64 s0, s[12:13], 1
	s_and_b32 vcc_lo, exec_lo, s0
	s_cbranch_vccnz .LBB1289_71
; %bb.65:
	v_mul_u64_e32 v[4:5], s[12:13], v[4:5]
	v_mul_u64_e32 v[6:7], s[12:13], v[2:3]
	s_wait_kmcnt 0x0
	s_mov_b32 s4, 0
	s_mov_b64 s[0:1], s[12:13]
                                        ; implicit-def: $sgpr5
	s_delay_alu instid0(VALU_DEP_2) | instskip(NEXT) | instid1(VALU_DEP_2)
	v_lshl_add_u64 v[4:5], v[4:5], 1, s[14:15]
	v_lshl_add_u64 v[6:7], v[6:7], 1, s[14:15]
	s_branch .LBB1289_67
.LBB1289_66:                            ;   in Loop: Header=BB1289_67 Depth=1
	s_or_b32 exec_lo, exec_lo, s7
	s_delay_alu instid0(SALU_CYCLE_1) | instskip(NEXT) | instid1(SALU_CYCLE_1)
	s_and_b32 s7, exec_lo, s5
	s_or_b32 s4, s7, s4
	s_delay_alu instid0(SALU_CYCLE_1)
	s_and_not1_b32 exec_lo, exec_lo, s4
	s_cbranch_execz .LBB1289_69
.LBB1289_67:                            ; =>This Inner Loop Header: Depth=1
	global_load_u16 v12, v[4:5], off
	global_load_u16 v13, v[6:7], off
	v_mov_b64_e32 v[8:9], 1
	s_or_b32 s5, s5, exec_lo
	s_mov_b32 s7, exec_lo
	s_wait_loadcnt 0x0
	v_cmpx_eq_f16_e32 v12, v13
	s_cbranch_execz .LBB1289_66
; %bb.68:                               ;   in Loop: Header=BB1289_67 Depth=1
	s_add_nc_u64 s[0:1], s[0:1], -1
	v_add_nc_u64_e32 v[4:5], 2, v[4:5]
	s_cmp_eq_u64 s[0:1], 0
	v_add_nc_u64_e32 v[6:7], 2, v[6:7]
	s_cselect_b32 s16, -1, 0
	s_and_not1_b32 s5, s5, exec_lo
	s_and_b32 s16, s16, exec_lo
	v_mov_b64_e32 v[8:9], 0
	s_or_b32 s5, s5, s16
	s_branch .LBB1289_66
.LBB1289_69:
	s_or_b32 exec_lo, exec_lo, s4
	s_branch .LBB1289_72
.LBB1289_70:
	v_mov_b64_e32 v[6:7], 0
	s_or_b32 exec_lo, exec_lo, s5
	s_delay_alu instid0(SALU_CYCLE_1)
	s_and_b32 vcc_lo, exec_lo, s3
	s_cbranch_vccnz .LBB1289_63
	s_branch .LBB1289_81
.LBB1289_71:
	v_mov_b64_e32 v[8:9], 0
.LBB1289_72:
	s_or_b32 exec_lo, exec_lo, s3
	v_cmp_ne_u32_e32 vcc_lo, 0, v0
	v_cmp_gt_u32_e64 s0, s10, v11
	s_wait_dscnt 0x0
	s_barrier_signal -1
	s_barrier_wait -1
	s_and_b32 s1, vcc_lo, s0
	s_delay_alu instid0(SALU_CYCLE_1)
	s_and_saveexec_b32 s0, s1
	s_cbranch_execz .LBB1289_80
; %bb.73:
	v_cmp_lt_i64_e64 s1, s[12:13], 1
	s_and_b32 vcc_lo, exec_lo, s1
	s_cbranch_vccnz .LBB1289_79
; %bb.74:
	v_add_nc_u32_e32 v4, -8, v10
	v_mul_u64_e32 v[2:3], s[12:13], v[2:3]
	s_mov_b32 s1, 0
                                        ; implicit-def: $sgpr3
	ds_load_b64 v[4:5], v4
	s_wait_dscnt 0x0
	v_mul_u64_e32 v[6:7], s[12:13], v[4:5]
	v_lshl_add_u64 v[4:5], v[2:3], 1, s[14:15]
	s_delay_alu instid0(VALU_DEP_2)
	v_lshl_add_u64 v[6:7], v[6:7], 1, s[14:15]
	s_branch .LBB1289_76
.LBB1289_75:                            ;   in Loop: Header=BB1289_76 Depth=1
	s_or_b32 exec_lo, exec_lo, s4
	s_delay_alu instid0(SALU_CYCLE_1) | instskip(NEXT) | instid1(SALU_CYCLE_1)
	s_and_b32 s4, exec_lo, s3
	s_or_b32 s1, s4, s1
	s_delay_alu instid0(SALU_CYCLE_1)
	s_and_not1_b32 exec_lo, exec_lo, s1
	s_cbranch_execz .LBB1289_78
.LBB1289_76:                            ; =>This Inner Loop Header: Depth=1
	global_load_u16 v10, v[4:5], off
	global_load_u16 v11, v[6:7], off
	v_mov_b64_e32 v[2:3], 1
	s_or_b32 s3, s3, exec_lo
	s_wait_kmcnt 0x0
	s_mov_b32 s4, exec_lo
	s_wait_loadcnt 0x0
	v_cmpx_eq_f16_e32 v10, v11
	s_cbranch_execz .LBB1289_75
; %bb.77:                               ;   in Loop: Header=BB1289_76 Depth=1
	s_add_nc_u64 s[12:13], s[12:13], -1
	v_add_nc_u64_e32 v[4:5], 2, v[4:5]
	s_cmp_eq_u64 s[12:13], 0
	v_add_nc_u64_e32 v[6:7], 2, v[6:7]
	v_mov_b64_e32 v[2:3], 0
	s_cselect_b32 s5, -1, 0
	s_and_not1_b32 s3, s3, exec_lo
	s_and_b32 s5, s5, exec_lo
	s_delay_alu instid0(SALU_CYCLE_1)
	s_or_b32 s3, s3, s5
	s_branch .LBB1289_75
.LBB1289_78:
	s_or_b32 exec_lo, exec_lo, s1
	s_branch .LBB1289_80
.LBB1289_79:
	v_mov_b64_e32 v[2:3], 0
.LBB1289_80:
	s_or_b32 exec_lo, exec_lo, s0
	s_delay_alu instid0(VALU_DEP_1)
	v_mov_b64_e32 v[6:7], v[2:3]
.LBB1289_81:
	s_add_nc_u64 s[0:1], s[8:9], s[20:21]
	s_and_b32 vcc_lo, exec_lo, s11
	s_wait_dscnt 0x0
	s_barrier_signal -1
	s_barrier_wait -1
	s_cbranch_vccz .LBB1289_85
; %bb.82:
	v_or_b32_e32 v10, 0x200, v0
	ds_store_2addr_b64 v1, v[6:7], v[8:9] offset1:1
	s_wait_dscnt 0x0
	s_barrier_signal -1
	s_barrier_wait -1
	v_dual_lshrrev_b32 v2, 2, v10 :: v_dual_lshlrev_b32 v4, 3, v0
	s_mov_b32 s3, 0
	s_lshl_b32 s8, s6, 10
	s_delay_alu instid0(VALU_DEP_1)
	v_and_b32_e32 v2, 0xf8, v2
	s_wait_kmcnt 0x0
	s_lshl_b64 s[4:5], s[2:3], 3
	v_mov_b32_e32 v5, 0
	s_add_nc_u64 s[6:7], s[0:1], s[4:5]
	s_sub_co_i32 s4, s10, s8
	v_add_nc_u32_e32 v2, v2, v4
	s_mov_b32 s5, exec_lo
	v_add_nc_u64_e32 v[4:5], s[6:7], v[4:5]
	ds_load_b64 v[2:3], v2 offset:4096
	v_cmpx_gt_u32_e64 s4, v0
	s_cbranch_execz .LBB1289_84
; %bb.83:
	v_lshrrev_b32_e32 v11, 2, v0
	s_delay_alu instid0(VALU_DEP_1) | instskip(NEXT) | instid1(VALU_DEP_1)
	v_and_b32_e32 v11, 0x78, v11
	v_lshl_add_u32 v11, v0, 3, v11
	ds_load_b64 v[12:13], v11
	s_wait_dscnt 0x0
	global_store_b64 v[4:5], v[12:13], off
.LBB1289_84:
	s_wait_xcnt 0x0
	s_or_b32 exec_lo, exec_lo, s5
	v_cmp_gt_u32_e64 s4, s4, v10
	s_and_b32 vcc_lo, exec_lo, s3
	s_cbranch_vccnz .LBB1289_86
	s_branch .LBB1289_87
.LBB1289_85:
	s_wait_kmcnt 0x0
	s_mov_b32 s4, 0
                                        ; implicit-def: $vgpr2_vgpr3
                                        ; implicit-def: $vgpr4_vgpr5
	s_cbranch_execz .LBB1289_87
.LBB1289_86:
	s_wait_dscnt 0x0
	v_or_b32_e32 v2, 0x200, v0
	v_dual_lshrrev_b32 v3, 2, v0 :: v_dual_lshlrev_b32 v4, 3, v0
	v_mov_b32_e32 v5, 0
	ds_store_2addr_b64 v1, v[6:7], v[8:9] offset1:1
	v_lshrrev_b32_e32 v2, 2, v2
	v_and_b32_e32 v3, 0x78, v3
	s_wait_storecnt_dscnt 0x0
	s_barrier_signal -1
	s_barrier_wait -1
	v_and_b32_e32 v2, 0xf8, v2
	v_add_nc_u32_e32 v1, v3, v4
	s_mov_b32 s3, 0
	s_or_b32 s4, s4, exec_lo
	s_delay_alu instid0(VALU_DEP_2) | instskip(SKIP_4) | instid1(SALU_CYCLE_1)
	v_add_nc_u32_e32 v2, v2, v4
	s_lshl_b64 s[2:3], s[2:3], 3
	ds_load_b64 v[6:7], v1
	ds_load_b64 v[2:3], v2 offset:4096
	s_add_nc_u64 s[0:1], s[0:1], s[2:3]
	v_add_nc_u64_e32 v[4:5], s[0:1], v[4:5]
	s_wait_dscnt 0x1
	global_store_b64 v0, v[6:7], s[0:1] scale_offset
.LBB1289_87:
	s_wait_xcnt 0x0
	s_and_saveexec_b32 s0, s4
	s_cbranch_execnz .LBB1289_89
; %bb.88:
	s_endpgm
.LBB1289_89:
	s_wait_dscnt 0x0
	global_store_b64 v[4:5], v[2:3], off offset:4096
	s_endpgm
	.section	.rodata,"a",@progbits
	.p2align	6, 0x0
	.amdhsa_kernel _ZN7rocprim17ROCPRIM_400000_NS6detail17trampoline_kernelINS0_14default_configENS1_35adjacent_difference_config_selectorILb1ElEEZNS1_24adjacent_difference_implIS3_Lb1ELb0EPlS7_ZN2at6native12_GLOBAL__N_124unique_dim_cuda_templateIN3c104HalfEEESt5tupleIJNS8_6TensorESF_SF_EERKSF_lbbbEUlllE1_EE10hipError_tPvRmT2_T3_mT4_P12ihipStream_tbEUlT_E_NS1_11comp_targetILNS1_3genE0ELNS1_11target_archE4294967295ELNS1_3gpuE0ELNS1_3repE0EEENS1_30default_config_static_selectorELNS0_4arch9wavefront6targetE0EEEvT1_
		.amdhsa_group_segment_fixed_size 8448
		.amdhsa_private_segment_fixed_size 0
		.amdhsa_kernarg_size 64
		.amdhsa_user_sgpr_count 2
		.amdhsa_user_sgpr_dispatch_ptr 0
		.amdhsa_user_sgpr_queue_ptr 0
		.amdhsa_user_sgpr_kernarg_segment_ptr 1
		.amdhsa_user_sgpr_dispatch_id 0
		.amdhsa_user_sgpr_kernarg_preload_length 0
		.amdhsa_user_sgpr_kernarg_preload_offset 0
		.amdhsa_user_sgpr_private_segment_size 0
		.amdhsa_wavefront_size32 1
		.amdhsa_uses_dynamic_stack 0
		.amdhsa_enable_private_segment 0
		.amdhsa_system_sgpr_workgroup_id_x 1
		.amdhsa_system_sgpr_workgroup_id_y 0
		.amdhsa_system_sgpr_workgroup_id_z 0
		.amdhsa_system_sgpr_workgroup_info 0
		.amdhsa_system_vgpr_workitem_id 0
		.amdhsa_next_free_vgpr 16
		.amdhsa_next_free_sgpr 29
		.amdhsa_named_barrier_count 0
		.amdhsa_reserve_vcc 1
		.amdhsa_float_round_mode_32 0
		.amdhsa_float_round_mode_16_64 0
		.amdhsa_float_denorm_mode_32 3
		.amdhsa_float_denorm_mode_16_64 3
		.amdhsa_fp16_overflow 0
		.amdhsa_memory_ordered 1
		.amdhsa_forward_progress 1
		.amdhsa_inst_pref_size 24
		.amdhsa_round_robin_scheduling 0
		.amdhsa_exception_fp_ieee_invalid_op 0
		.amdhsa_exception_fp_denorm_src 0
		.amdhsa_exception_fp_ieee_div_zero 0
		.amdhsa_exception_fp_ieee_overflow 0
		.amdhsa_exception_fp_ieee_underflow 0
		.amdhsa_exception_fp_ieee_inexact 0
		.amdhsa_exception_int_div_zero 0
	.end_amdhsa_kernel
	.section	.text._ZN7rocprim17ROCPRIM_400000_NS6detail17trampoline_kernelINS0_14default_configENS1_35adjacent_difference_config_selectorILb1ElEEZNS1_24adjacent_difference_implIS3_Lb1ELb0EPlS7_ZN2at6native12_GLOBAL__N_124unique_dim_cuda_templateIN3c104HalfEEESt5tupleIJNS8_6TensorESF_SF_EERKSF_lbbbEUlllE1_EE10hipError_tPvRmT2_T3_mT4_P12ihipStream_tbEUlT_E_NS1_11comp_targetILNS1_3genE0ELNS1_11target_archE4294967295ELNS1_3gpuE0ELNS1_3repE0EEENS1_30default_config_static_selectorELNS0_4arch9wavefront6targetE0EEEvT1_,"axG",@progbits,_ZN7rocprim17ROCPRIM_400000_NS6detail17trampoline_kernelINS0_14default_configENS1_35adjacent_difference_config_selectorILb1ElEEZNS1_24adjacent_difference_implIS3_Lb1ELb0EPlS7_ZN2at6native12_GLOBAL__N_124unique_dim_cuda_templateIN3c104HalfEEESt5tupleIJNS8_6TensorESF_SF_EERKSF_lbbbEUlllE1_EE10hipError_tPvRmT2_T3_mT4_P12ihipStream_tbEUlT_E_NS1_11comp_targetILNS1_3genE0ELNS1_11target_archE4294967295ELNS1_3gpuE0ELNS1_3repE0EEENS1_30default_config_static_selectorELNS0_4arch9wavefront6targetE0EEEvT1_,comdat
.Lfunc_end1289:
	.size	_ZN7rocprim17ROCPRIM_400000_NS6detail17trampoline_kernelINS0_14default_configENS1_35adjacent_difference_config_selectorILb1ElEEZNS1_24adjacent_difference_implIS3_Lb1ELb0EPlS7_ZN2at6native12_GLOBAL__N_124unique_dim_cuda_templateIN3c104HalfEEESt5tupleIJNS8_6TensorESF_SF_EERKSF_lbbbEUlllE1_EE10hipError_tPvRmT2_T3_mT4_P12ihipStream_tbEUlT_E_NS1_11comp_targetILNS1_3genE0ELNS1_11target_archE4294967295ELNS1_3gpuE0ELNS1_3repE0EEENS1_30default_config_static_selectorELNS0_4arch9wavefront6targetE0EEEvT1_, .Lfunc_end1289-_ZN7rocprim17ROCPRIM_400000_NS6detail17trampoline_kernelINS0_14default_configENS1_35adjacent_difference_config_selectorILb1ElEEZNS1_24adjacent_difference_implIS3_Lb1ELb0EPlS7_ZN2at6native12_GLOBAL__N_124unique_dim_cuda_templateIN3c104HalfEEESt5tupleIJNS8_6TensorESF_SF_EERKSF_lbbbEUlllE1_EE10hipError_tPvRmT2_T3_mT4_P12ihipStream_tbEUlT_E_NS1_11comp_targetILNS1_3genE0ELNS1_11target_archE4294967295ELNS1_3gpuE0ELNS1_3repE0EEENS1_30default_config_static_selectorELNS0_4arch9wavefront6targetE0EEEvT1_
                                        ; -- End function
	.set _ZN7rocprim17ROCPRIM_400000_NS6detail17trampoline_kernelINS0_14default_configENS1_35adjacent_difference_config_selectorILb1ElEEZNS1_24adjacent_difference_implIS3_Lb1ELb0EPlS7_ZN2at6native12_GLOBAL__N_124unique_dim_cuda_templateIN3c104HalfEEESt5tupleIJNS8_6TensorESF_SF_EERKSF_lbbbEUlllE1_EE10hipError_tPvRmT2_T3_mT4_P12ihipStream_tbEUlT_E_NS1_11comp_targetILNS1_3genE0ELNS1_11target_archE4294967295ELNS1_3gpuE0ELNS1_3repE0EEENS1_30default_config_static_selectorELNS0_4arch9wavefront6targetE0EEEvT1_.num_vgpr, 16
	.set _ZN7rocprim17ROCPRIM_400000_NS6detail17trampoline_kernelINS0_14default_configENS1_35adjacent_difference_config_selectorILb1ElEEZNS1_24adjacent_difference_implIS3_Lb1ELb0EPlS7_ZN2at6native12_GLOBAL__N_124unique_dim_cuda_templateIN3c104HalfEEESt5tupleIJNS8_6TensorESF_SF_EERKSF_lbbbEUlllE1_EE10hipError_tPvRmT2_T3_mT4_P12ihipStream_tbEUlT_E_NS1_11comp_targetILNS1_3genE0ELNS1_11target_archE4294967295ELNS1_3gpuE0ELNS1_3repE0EEENS1_30default_config_static_selectorELNS0_4arch9wavefront6targetE0EEEvT1_.num_agpr, 0
	.set _ZN7rocprim17ROCPRIM_400000_NS6detail17trampoline_kernelINS0_14default_configENS1_35adjacent_difference_config_selectorILb1ElEEZNS1_24adjacent_difference_implIS3_Lb1ELb0EPlS7_ZN2at6native12_GLOBAL__N_124unique_dim_cuda_templateIN3c104HalfEEESt5tupleIJNS8_6TensorESF_SF_EERKSF_lbbbEUlllE1_EE10hipError_tPvRmT2_T3_mT4_P12ihipStream_tbEUlT_E_NS1_11comp_targetILNS1_3genE0ELNS1_11target_archE4294967295ELNS1_3gpuE0ELNS1_3repE0EEENS1_30default_config_static_selectorELNS0_4arch9wavefront6targetE0EEEvT1_.numbered_sgpr, 29
	.set _ZN7rocprim17ROCPRIM_400000_NS6detail17trampoline_kernelINS0_14default_configENS1_35adjacent_difference_config_selectorILb1ElEEZNS1_24adjacent_difference_implIS3_Lb1ELb0EPlS7_ZN2at6native12_GLOBAL__N_124unique_dim_cuda_templateIN3c104HalfEEESt5tupleIJNS8_6TensorESF_SF_EERKSF_lbbbEUlllE1_EE10hipError_tPvRmT2_T3_mT4_P12ihipStream_tbEUlT_E_NS1_11comp_targetILNS1_3genE0ELNS1_11target_archE4294967295ELNS1_3gpuE0ELNS1_3repE0EEENS1_30default_config_static_selectorELNS0_4arch9wavefront6targetE0EEEvT1_.num_named_barrier, 0
	.set _ZN7rocprim17ROCPRIM_400000_NS6detail17trampoline_kernelINS0_14default_configENS1_35adjacent_difference_config_selectorILb1ElEEZNS1_24adjacent_difference_implIS3_Lb1ELb0EPlS7_ZN2at6native12_GLOBAL__N_124unique_dim_cuda_templateIN3c104HalfEEESt5tupleIJNS8_6TensorESF_SF_EERKSF_lbbbEUlllE1_EE10hipError_tPvRmT2_T3_mT4_P12ihipStream_tbEUlT_E_NS1_11comp_targetILNS1_3genE0ELNS1_11target_archE4294967295ELNS1_3gpuE0ELNS1_3repE0EEENS1_30default_config_static_selectorELNS0_4arch9wavefront6targetE0EEEvT1_.private_seg_size, 0
	.set _ZN7rocprim17ROCPRIM_400000_NS6detail17trampoline_kernelINS0_14default_configENS1_35adjacent_difference_config_selectorILb1ElEEZNS1_24adjacent_difference_implIS3_Lb1ELb0EPlS7_ZN2at6native12_GLOBAL__N_124unique_dim_cuda_templateIN3c104HalfEEESt5tupleIJNS8_6TensorESF_SF_EERKSF_lbbbEUlllE1_EE10hipError_tPvRmT2_T3_mT4_P12ihipStream_tbEUlT_E_NS1_11comp_targetILNS1_3genE0ELNS1_11target_archE4294967295ELNS1_3gpuE0ELNS1_3repE0EEENS1_30default_config_static_selectorELNS0_4arch9wavefront6targetE0EEEvT1_.uses_vcc, 1
	.set _ZN7rocprim17ROCPRIM_400000_NS6detail17trampoline_kernelINS0_14default_configENS1_35adjacent_difference_config_selectorILb1ElEEZNS1_24adjacent_difference_implIS3_Lb1ELb0EPlS7_ZN2at6native12_GLOBAL__N_124unique_dim_cuda_templateIN3c104HalfEEESt5tupleIJNS8_6TensorESF_SF_EERKSF_lbbbEUlllE1_EE10hipError_tPvRmT2_T3_mT4_P12ihipStream_tbEUlT_E_NS1_11comp_targetILNS1_3genE0ELNS1_11target_archE4294967295ELNS1_3gpuE0ELNS1_3repE0EEENS1_30default_config_static_selectorELNS0_4arch9wavefront6targetE0EEEvT1_.uses_flat_scratch, 0
	.set _ZN7rocprim17ROCPRIM_400000_NS6detail17trampoline_kernelINS0_14default_configENS1_35adjacent_difference_config_selectorILb1ElEEZNS1_24adjacent_difference_implIS3_Lb1ELb0EPlS7_ZN2at6native12_GLOBAL__N_124unique_dim_cuda_templateIN3c104HalfEEESt5tupleIJNS8_6TensorESF_SF_EERKSF_lbbbEUlllE1_EE10hipError_tPvRmT2_T3_mT4_P12ihipStream_tbEUlT_E_NS1_11comp_targetILNS1_3genE0ELNS1_11target_archE4294967295ELNS1_3gpuE0ELNS1_3repE0EEENS1_30default_config_static_selectorELNS0_4arch9wavefront6targetE0EEEvT1_.has_dyn_sized_stack, 0
	.set _ZN7rocprim17ROCPRIM_400000_NS6detail17trampoline_kernelINS0_14default_configENS1_35adjacent_difference_config_selectorILb1ElEEZNS1_24adjacent_difference_implIS3_Lb1ELb0EPlS7_ZN2at6native12_GLOBAL__N_124unique_dim_cuda_templateIN3c104HalfEEESt5tupleIJNS8_6TensorESF_SF_EERKSF_lbbbEUlllE1_EE10hipError_tPvRmT2_T3_mT4_P12ihipStream_tbEUlT_E_NS1_11comp_targetILNS1_3genE0ELNS1_11target_archE4294967295ELNS1_3gpuE0ELNS1_3repE0EEENS1_30default_config_static_selectorELNS0_4arch9wavefront6targetE0EEEvT1_.has_recursion, 0
	.set _ZN7rocprim17ROCPRIM_400000_NS6detail17trampoline_kernelINS0_14default_configENS1_35adjacent_difference_config_selectorILb1ElEEZNS1_24adjacent_difference_implIS3_Lb1ELb0EPlS7_ZN2at6native12_GLOBAL__N_124unique_dim_cuda_templateIN3c104HalfEEESt5tupleIJNS8_6TensorESF_SF_EERKSF_lbbbEUlllE1_EE10hipError_tPvRmT2_T3_mT4_P12ihipStream_tbEUlT_E_NS1_11comp_targetILNS1_3genE0ELNS1_11target_archE4294967295ELNS1_3gpuE0ELNS1_3repE0EEENS1_30default_config_static_selectorELNS0_4arch9wavefront6targetE0EEEvT1_.has_indirect_call, 0
	.section	.AMDGPU.csdata,"",@progbits
; Kernel info:
; codeLenInByte = 2948
; TotalNumSgprs: 31
; NumVgprs: 16
; ScratchSize: 0
; MemoryBound: 0
; FloatMode: 240
; IeeeMode: 1
; LDSByteSize: 8448 bytes/workgroup (compile time only)
; SGPRBlocks: 0
; VGPRBlocks: 0
; NumSGPRsForWavesPerEU: 31
; NumVGPRsForWavesPerEU: 16
; NamedBarCnt: 0
; Occupancy: 16
; WaveLimiterHint : 1
; COMPUTE_PGM_RSRC2:SCRATCH_EN: 0
; COMPUTE_PGM_RSRC2:USER_SGPR: 2
; COMPUTE_PGM_RSRC2:TRAP_HANDLER: 0
; COMPUTE_PGM_RSRC2:TGID_X_EN: 1
; COMPUTE_PGM_RSRC2:TGID_Y_EN: 0
; COMPUTE_PGM_RSRC2:TGID_Z_EN: 0
; COMPUTE_PGM_RSRC2:TIDIG_COMP_CNT: 0
	.section	.text._ZN7rocprim17ROCPRIM_400000_NS6detail17trampoline_kernelINS0_14default_configENS1_35adjacent_difference_config_selectorILb1ElEEZNS1_24adjacent_difference_implIS3_Lb1ELb0EPlS7_ZN2at6native12_GLOBAL__N_124unique_dim_cuda_templateIN3c104HalfEEESt5tupleIJNS8_6TensorESF_SF_EERKSF_lbbbEUlllE1_EE10hipError_tPvRmT2_T3_mT4_P12ihipStream_tbEUlT_E_NS1_11comp_targetILNS1_3genE10ELNS1_11target_archE1201ELNS1_3gpuE5ELNS1_3repE0EEENS1_30default_config_static_selectorELNS0_4arch9wavefront6targetE0EEEvT1_,"axG",@progbits,_ZN7rocprim17ROCPRIM_400000_NS6detail17trampoline_kernelINS0_14default_configENS1_35adjacent_difference_config_selectorILb1ElEEZNS1_24adjacent_difference_implIS3_Lb1ELb0EPlS7_ZN2at6native12_GLOBAL__N_124unique_dim_cuda_templateIN3c104HalfEEESt5tupleIJNS8_6TensorESF_SF_EERKSF_lbbbEUlllE1_EE10hipError_tPvRmT2_T3_mT4_P12ihipStream_tbEUlT_E_NS1_11comp_targetILNS1_3genE10ELNS1_11target_archE1201ELNS1_3gpuE5ELNS1_3repE0EEENS1_30default_config_static_selectorELNS0_4arch9wavefront6targetE0EEEvT1_,comdat
	.globl	_ZN7rocprim17ROCPRIM_400000_NS6detail17trampoline_kernelINS0_14default_configENS1_35adjacent_difference_config_selectorILb1ElEEZNS1_24adjacent_difference_implIS3_Lb1ELb0EPlS7_ZN2at6native12_GLOBAL__N_124unique_dim_cuda_templateIN3c104HalfEEESt5tupleIJNS8_6TensorESF_SF_EERKSF_lbbbEUlllE1_EE10hipError_tPvRmT2_T3_mT4_P12ihipStream_tbEUlT_E_NS1_11comp_targetILNS1_3genE10ELNS1_11target_archE1201ELNS1_3gpuE5ELNS1_3repE0EEENS1_30default_config_static_selectorELNS0_4arch9wavefront6targetE0EEEvT1_ ; -- Begin function _ZN7rocprim17ROCPRIM_400000_NS6detail17trampoline_kernelINS0_14default_configENS1_35adjacent_difference_config_selectorILb1ElEEZNS1_24adjacent_difference_implIS3_Lb1ELb0EPlS7_ZN2at6native12_GLOBAL__N_124unique_dim_cuda_templateIN3c104HalfEEESt5tupleIJNS8_6TensorESF_SF_EERKSF_lbbbEUlllE1_EE10hipError_tPvRmT2_T3_mT4_P12ihipStream_tbEUlT_E_NS1_11comp_targetILNS1_3genE10ELNS1_11target_archE1201ELNS1_3gpuE5ELNS1_3repE0EEENS1_30default_config_static_selectorELNS0_4arch9wavefront6targetE0EEEvT1_
	.p2align	8
	.type	_ZN7rocprim17ROCPRIM_400000_NS6detail17trampoline_kernelINS0_14default_configENS1_35adjacent_difference_config_selectorILb1ElEEZNS1_24adjacent_difference_implIS3_Lb1ELb0EPlS7_ZN2at6native12_GLOBAL__N_124unique_dim_cuda_templateIN3c104HalfEEESt5tupleIJNS8_6TensorESF_SF_EERKSF_lbbbEUlllE1_EE10hipError_tPvRmT2_T3_mT4_P12ihipStream_tbEUlT_E_NS1_11comp_targetILNS1_3genE10ELNS1_11target_archE1201ELNS1_3gpuE5ELNS1_3repE0EEENS1_30default_config_static_selectorELNS0_4arch9wavefront6targetE0EEEvT1_,@function
_ZN7rocprim17ROCPRIM_400000_NS6detail17trampoline_kernelINS0_14default_configENS1_35adjacent_difference_config_selectorILb1ElEEZNS1_24adjacent_difference_implIS3_Lb1ELb0EPlS7_ZN2at6native12_GLOBAL__N_124unique_dim_cuda_templateIN3c104HalfEEESt5tupleIJNS8_6TensorESF_SF_EERKSF_lbbbEUlllE1_EE10hipError_tPvRmT2_T3_mT4_P12ihipStream_tbEUlT_E_NS1_11comp_targetILNS1_3genE10ELNS1_11target_archE1201ELNS1_3gpuE5ELNS1_3repE0EEENS1_30default_config_static_selectorELNS0_4arch9wavefront6targetE0EEEvT1_: ; @_ZN7rocprim17ROCPRIM_400000_NS6detail17trampoline_kernelINS0_14default_configENS1_35adjacent_difference_config_selectorILb1ElEEZNS1_24adjacent_difference_implIS3_Lb1ELb0EPlS7_ZN2at6native12_GLOBAL__N_124unique_dim_cuda_templateIN3c104HalfEEESt5tupleIJNS8_6TensorESF_SF_EERKSF_lbbbEUlllE1_EE10hipError_tPvRmT2_T3_mT4_P12ihipStream_tbEUlT_E_NS1_11comp_targetILNS1_3genE10ELNS1_11target_archE1201ELNS1_3gpuE5ELNS1_3repE0EEENS1_30default_config_static_selectorELNS0_4arch9wavefront6targetE0EEEvT1_
; %bb.0:
	.section	.rodata,"a",@progbits
	.p2align	6, 0x0
	.amdhsa_kernel _ZN7rocprim17ROCPRIM_400000_NS6detail17trampoline_kernelINS0_14default_configENS1_35adjacent_difference_config_selectorILb1ElEEZNS1_24adjacent_difference_implIS3_Lb1ELb0EPlS7_ZN2at6native12_GLOBAL__N_124unique_dim_cuda_templateIN3c104HalfEEESt5tupleIJNS8_6TensorESF_SF_EERKSF_lbbbEUlllE1_EE10hipError_tPvRmT2_T3_mT4_P12ihipStream_tbEUlT_E_NS1_11comp_targetILNS1_3genE10ELNS1_11target_archE1201ELNS1_3gpuE5ELNS1_3repE0EEENS1_30default_config_static_selectorELNS0_4arch9wavefront6targetE0EEEvT1_
		.amdhsa_group_segment_fixed_size 0
		.amdhsa_private_segment_fixed_size 0
		.amdhsa_kernarg_size 64
		.amdhsa_user_sgpr_count 2
		.amdhsa_user_sgpr_dispatch_ptr 0
		.amdhsa_user_sgpr_queue_ptr 0
		.amdhsa_user_sgpr_kernarg_segment_ptr 1
		.amdhsa_user_sgpr_dispatch_id 0
		.amdhsa_user_sgpr_kernarg_preload_length 0
		.amdhsa_user_sgpr_kernarg_preload_offset 0
		.amdhsa_user_sgpr_private_segment_size 0
		.amdhsa_wavefront_size32 1
		.amdhsa_uses_dynamic_stack 0
		.amdhsa_enable_private_segment 0
		.amdhsa_system_sgpr_workgroup_id_x 1
		.amdhsa_system_sgpr_workgroup_id_y 0
		.amdhsa_system_sgpr_workgroup_id_z 0
		.amdhsa_system_sgpr_workgroup_info 0
		.amdhsa_system_vgpr_workitem_id 0
		.amdhsa_next_free_vgpr 1
		.amdhsa_next_free_sgpr 1
		.amdhsa_named_barrier_count 0
		.amdhsa_reserve_vcc 0
		.amdhsa_float_round_mode_32 0
		.amdhsa_float_round_mode_16_64 0
		.amdhsa_float_denorm_mode_32 3
		.amdhsa_float_denorm_mode_16_64 3
		.amdhsa_fp16_overflow 0
		.amdhsa_memory_ordered 1
		.amdhsa_forward_progress 1
		.amdhsa_inst_pref_size 0
		.amdhsa_round_robin_scheduling 0
		.amdhsa_exception_fp_ieee_invalid_op 0
		.amdhsa_exception_fp_denorm_src 0
		.amdhsa_exception_fp_ieee_div_zero 0
		.amdhsa_exception_fp_ieee_overflow 0
		.amdhsa_exception_fp_ieee_underflow 0
		.amdhsa_exception_fp_ieee_inexact 0
		.amdhsa_exception_int_div_zero 0
	.end_amdhsa_kernel
	.section	.text._ZN7rocprim17ROCPRIM_400000_NS6detail17trampoline_kernelINS0_14default_configENS1_35adjacent_difference_config_selectorILb1ElEEZNS1_24adjacent_difference_implIS3_Lb1ELb0EPlS7_ZN2at6native12_GLOBAL__N_124unique_dim_cuda_templateIN3c104HalfEEESt5tupleIJNS8_6TensorESF_SF_EERKSF_lbbbEUlllE1_EE10hipError_tPvRmT2_T3_mT4_P12ihipStream_tbEUlT_E_NS1_11comp_targetILNS1_3genE10ELNS1_11target_archE1201ELNS1_3gpuE5ELNS1_3repE0EEENS1_30default_config_static_selectorELNS0_4arch9wavefront6targetE0EEEvT1_,"axG",@progbits,_ZN7rocprim17ROCPRIM_400000_NS6detail17trampoline_kernelINS0_14default_configENS1_35adjacent_difference_config_selectorILb1ElEEZNS1_24adjacent_difference_implIS3_Lb1ELb0EPlS7_ZN2at6native12_GLOBAL__N_124unique_dim_cuda_templateIN3c104HalfEEESt5tupleIJNS8_6TensorESF_SF_EERKSF_lbbbEUlllE1_EE10hipError_tPvRmT2_T3_mT4_P12ihipStream_tbEUlT_E_NS1_11comp_targetILNS1_3genE10ELNS1_11target_archE1201ELNS1_3gpuE5ELNS1_3repE0EEENS1_30default_config_static_selectorELNS0_4arch9wavefront6targetE0EEEvT1_,comdat
.Lfunc_end1290:
	.size	_ZN7rocprim17ROCPRIM_400000_NS6detail17trampoline_kernelINS0_14default_configENS1_35adjacent_difference_config_selectorILb1ElEEZNS1_24adjacent_difference_implIS3_Lb1ELb0EPlS7_ZN2at6native12_GLOBAL__N_124unique_dim_cuda_templateIN3c104HalfEEESt5tupleIJNS8_6TensorESF_SF_EERKSF_lbbbEUlllE1_EE10hipError_tPvRmT2_T3_mT4_P12ihipStream_tbEUlT_E_NS1_11comp_targetILNS1_3genE10ELNS1_11target_archE1201ELNS1_3gpuE5ELNS1_3repE0EEENS1_30default_config_static_selectorELNS0_4arch9wavefront6targetE0EEEvT1_, .Lfunc_end1290-_ZN7rocprim17ROCPRIM_400000_NS6detail17trampoline_kernelINS0_14default_configENS1_35adjacent_difference_config_selectorILb1ElEEZNS1_24adjacent_difference_implIS3_Lb1ELb0EPlS7_ZN2at6native12_GLOBAL__N_124unique_dim_cuda_templateIN3c104HalfEEESt5tupleIJNS8_6TensorESF_SF_EERKSF_lbbbEUlllE1_EE10hipError_tPvRmT2_T3_mT4_P12ihipStream_tbEUlT_E_NS1_11comp_targetILNS1_3genE10ELNS1_11target_archE1201ELNS1_3gpuE5ELNS1_3repE0EEENS1_30default_config_static_selectorELNS0_4arch9wavefront6targetE0EEEvT1_
                                        ; -- End function
	.set _ZN7rocprim17ROCPRIM_400000_NS6detail17trampoline_kernelINS0_14default_configENS1_35adjacent_difference_config_selectorILb1ElEEZNS1_24adjacent_difference_implIS3_Lb1ELb0EPlS7_ZN2at6native12_GLOBAL__N_124unique_dim_cuda_templateIN3c104HalfEEESt5tupleIJNS8_6TensorESF_SF_EERKSF_lbbbEUlllE1_EE10hipError_tPvRmT2_T3_mT4_P12ihipStream_tbEUlT_E_NS1_11comp_targetILNS1_3genE10ELNS1_11target_archE1201ELNS1_3gpuE5ELNS1_3repE0EEENS1_30default_config_static_selectorELNS0_4arch9wavefront6targetE0EEEvT1_.num_vgpr, 0
	.set _ZN7rocprim17ROCPRIM_400000_NS6detail17trampoline_kernelINS0_14default_configENS1_35adjacent_difference_config_selectorILb1ElEEZNS1_24adjacent_difference_implIS3_Lb1ELb0EPlS7_ZN2at6native12_GLOBAL__N_124unique_dim_cuda_templateIN3c104HalfEEESt5tupleIJNS8_6TensorESF_SF_EERKSF_lbbbEUlllE1_EE10hipError_tPvRmT2_T3_mT4_P12ihipStream_tbEUlT_E_NS1_11comp_targetILNS1_3genE10ELNS1_11target_archE1201ELNS1_3gpuE5ELNS1_3repE0EEENS1_30default_config_static_selectorELNS0_4arch9wavefront6targetE0EEEvT1_.num_agpr, 0
	.set _ZN7rocprim17ROCPRIM_400000_NS6detail17trampoline_kernelINS0_14default_configENS1_35adjacent_difference_config_selectorILb1ElEEZNS1_24adjacent_difference_implIS3_Lb1ELb0EPlS7_ZN2at6native12_GLOBAL__N_124unique_dim_cuda_templateIN3c104HalfEEESt5tupleIJNS8_6TensorESF_SF_EERKSF_lbbbEUlllE1_EE10hipError_tPvRmT2_T3_mT4_P12ihipStream_tbEUlT_E_NS1_11comp_targetILNS1_3genE10ELNS1_11target_archE1201ELNS1_3gpuE5ELNS1_3repE0EEENS1_30default_config_static_selectorELNS0_4arch9wavefront6targetE0EEEvT1_.numbered_sgpr, 0
	.set _ZN7rocprim17ROCPRIM_400000_NS6detail17trampoline_kernelINS0_14default_configENS1_35adjacent_difference_config_selectorILb1ElEEZNS1_24adjacent_difference_implIS3_Lb1ELb0EPlS7_ZN2at6native12_GLOBAL__N_124unique_dim_cuda_templateIN3c104HalfEEESt5tupleIJNS8_6TensorESF_SF_EERKSF_lbbbEUlllE1_EE10hipError_tPvRmT2_T3_mT4_P12ihipStream_tbEUlT_E_NS1_11comp_targetILNS1_3genE10ELNS1_11target_archE1201ELNS1_3gpuE5ELNS1_3repE0EEENS1_30default_config_static_selectorELNS0_4arch9wavefront6targetE0EEEvT1_.num_named_barrier, 0
	.set _ZN7rocprim17ROCPRIM_400000_NS6detail17trampoline_kernelINS0_14default_configENS1_35adjacent_difference_config_selectorILb1ElEEZNS1_24adjacent_difference_implIS3_Lb1ELb0EPlS7_ZN2at6native12_GLOBAL__N_124unique_dim_cuda_templateIN3c104HalfEEESt5tupleIJNS8_6TensorESF_SF_EERKSF_lbbbEUlllE1_EE10hipError_tPvRmT2_T3_mT4_P12ihipStream_tbEUlT_E_NS1_11comp_targetILNS1_3genE10ELNS1_11target_archE1201ELNS1_3gpuE5ELNS1_3repE0EEENS1_30default_config_static_selectorELNS0_4arch9wavefront6targetE0EEEvT1_.private_seg_size, 0
	.set _ZN7rocprim17ROCPRIM_400000_NS6detail17trampoline_kernelINS0_14default_configENS1_35adjacent_difference_config_selectorILb1ElEEZNS1_24adjacent_difference_implIS3_Lb1ELb0EPlS7_ZN2at6native12_GLOBAL__N_124unique_dim_cuda_templateIN3c104HalfEEESt5tupleIJNS8_6TensorESF_SF_EERKSF_lbbbEUlllE1_EE10hipError_tPvRmT2_T3_mT4_P12ihipStream_tbEUlT_E_NS1_11comp_targetILNS1_3genE10ELNS1_11target_archE1201ELNS1_3gpuE5ELNS1_3repE0EEENS1_30default_config_static_selectorELNS0_4arch9wavefront6targetE0EEEvT1_.uses_vcc, 0
	.set _ZN7rocprim17ROCPRIM_400000_NS6detail17trampoline_kernelINS0_14default_configENS1_35adjacent_difference_config_selectorILb1ElEEZNS1_24adjacent_difference_implIS3_Lb1ELb0EPlS7_ZN2at6native12_GLOBAL__N_124unique_dim_cuda_templateIN3c104HalfEEESt5tupleIJNS8_6TensorESF_SF_EERKSF_lbbbEUlllE1_EE10hipError_tPvRmT2_T3_mT4_P12ihipStream_tbEUlT_E_NS1_11comp_targetILNS1_3genE10ELNS1_11target_archE1201ELNS1_3gpuE5ELNS1_3repE0EEENS1_30default_config_static_selectorELNS0_4arch9wavefront6targetE0EEEvT1_.uses_flat_scratch, 0
	.set _ZN7rocprim17ROCPRIM_400000_NS6detail17trampoline_kernelINS0_14default_configENS1_35adjacent_difference_config_selectorILb1ElEEZNS1_24adjacent_difference_implIS3_Lb1ELb0EPlS7_ZN2at6native12_GLOBAL__N_124unique_dim_cuda_templateIN3c104HalfEEESt5tupleIJNS8_6TensorESF_SF_EERKSF_lbbbEUlllE1_EE10hipError_tPvRmT2_T3_mT4_P12ihipStream_tbEUlT_E_NS1_11comp_targetILNS1_3genE10ELNS1_11target_archE1201ELNS1_3gpuE5ELNS1_3repE0EEENS1_30default_config_static_selectorELNS0_4arch9wavefront6targetE0EEEvT1_.has_dyn_sized_stack, 0
	.set _ZN7rocprim17ROCPRIM_400000_NS6detail17trampoline_kernelINS0_14default_configENS1_35adjacent_difference_config_selectorILb1ElEEZNS1_24adjacent_difference_implIS3_Lb1ELb0EPlS7_ZN2at6native12_GLOBAL__N_124unique_dim_cuda_templateIN3c104HalfEEESt5tupleIJNS8_6TensorESF_SF_EERKSF_lbbbEUlllE1_EE10hipError_tPvRmT2_T3_mT4_P12ihipStream_tbEUlT_E_NS1_11comp_targetILNS1_3genE10ELNS1_11target_archE1201ELNS1_3gpuE5ELNS1_3repE0EEENS1_30default_config_static_selectorELNS0_4arch9wavefront6targetE0EEEvT1_.has_recursion, 0
	.set _ZN7rocprim17ROCPRIM_400000_NS6detail17trampoline_kernelINS0_14default_configENS1_35adjacent_difference_config_selectorILb1ElEEZNS1_24adjacent_difference_implIS3_Lb1ELb0EPlS7_ZN2at6native12_GLOBAL__N_124unique_dim_cuda_templateIN3c104HalfEEESt5tupleIJNS8_6TensorESF_SF_EERKSF_lbbbEUlllE1_EE10hipError_tPvRmT2_T3_mT4_P12ihipStream_tbEUlT_E_NS1_11comp_targetILNS1_3genE10ELNS1_11target_archE1201ELNS1_3gpuE5ELNS1_3repE0EEENS1_30default_config_static_selectorELNS0_4arch9wavefront6targetE0EEEvT1_.has_indirect_call, 0
	.section	.AMDGPU.csdata,"",@progbits
; Kernel info:
; codeLenInByte = 0
; TotalNumSgprs: 0
; NumVgprs: 0
; ScratchSize: 0
; MemoryBound: 0
; FloatMode: 240
; IeeeMode: 1
; LDSByteSize: 0 bytes/workgroup (compile time only)
; SGPRBlocks: 0
; VGPRBlocks: 0
; NumSGPRsForWavesPerEU: 1
; NumVGPRsForWavesPerEU: 1
; NamedBarCnt: 0
; Occupancy: 16
; WaveLimiterHint : 0
; COMPUTE_PGM_RSRC2:SCRATCH_EN: 0
; COMPUTE_PGM_RSRC2:USER_SGPR: 2
; COMPUTE_PGM_RSRC2:TRAP_HANDLER: 0
; COMPUTE_PGM_RSRC2:TGID_X_EN: 1
; COMPUTE_PGM_RSRC2:TGID_Y_EN: 0
; COMPUTE_PGM_RSRC2:TGID_Z_EN: 0
; COMPUTE_PGM_RSRC2:TIDIG_COMP_CNT: 0
	.section	.text._ZN7rocprim17ROCPRIM_400000_NS6detail17trampoline_kernelINS0_14default_configENS1_35adjacent_difference_config_selectorILb1ElEEZNS1_24adjacent_difference_implIS3_Lb1ELb0EPlS7_ZN2at6native12_GLOBAL__N_124unique_dim_cuda_templateIN3c104HalfEEESt5tupleIJNS8_6TensorESF_SF_EERKSF_lbbbEUlllE1_EE10hipError_tPvRmT2_T3_mT4_P12ihipStream_tbEUlT_E_NS1_11comp_targetILNS1_3genE5ELNS1_11target_archE942ELNS1_3gpuE9ELNS1_3repE0EEENS1_30default_config_static_selectorELNS0_4arch9wavefront6targetE0EEEvT1_,"axG",@progbits,_ZN7rocprim17ROCPRIM_400000_NS6detail17trampoline_kernelINS0_14default_configENS1_35adjacent_difference_config_selectorILb1ElEEZNS1_24adjacent_difference_implIS3_Lb1ELb0EPlS7_ZN2at6native12_GLOBAL__N_124unique_dim_cuda_templateIN3c104HalfEEESt5tupleIJNS8_6TensorESF_SF_EERKSF_lbbbEUlllE1_EE10hipError_tPvRmT2_T3_mT4_P12ihipStream_tbEUlT_E_NS1_11comp_targetILNS1_3genE5ELNS1_11target_archE942ELNS1_3gpuE9ELNS1_3repE0EEENS1_30default_config_static_selectorELNS0_4arch9wavefront6targetE0EEEvT1_,comdat
	.globl	_ZN7rocprim17ROCPRIM_400000_NS6detail17trampoline_kernelINS0_14default_configENS1_35adjacent_difference_config_selectorILb1ElEEZNS1_24adjacent_difference_implIS3_Lb1ELb0EPlS7_ZN2at6native12_GLOBAL__N_124unique_dim_cuda_templateIN3c104HalfEEESt5tupleIJNS8_6TensorESF_SF_EERKSF_lbbbEUlllE1_EE10hipError_tPvRmT2_T3_mT4_P12ihipStream_tbEUlT_E_NS1_11comp_targetILNS1_3genE5ELNS1_11target_archE942ELNS1_3gpuE9ELNS1_3repE0EEENS1_30default_config_static_selectorELNS0_4arch9wavefront6targetE0EEEvT1_ ; -- Begin function _ZN7rocprim17ROCPRIM_400000_NS6detail17trampoline_kernelINS0_14default_configENS1_35adjacent_difference_config_selectorILb1ElEEZNS1_24adjacent_difference_implIS3_Lb1ELb0EPlS7_ZN2at6native12_GLOBAL__N_124unique_dim_cuda_templateIN3c104HalfEEESt5tupleIJNS8_6TensorESF_SF_EERKSF_lbbbEUlllE1_EE10hipError_tPvRmT2_T3_mT4_P12ihipStream_tbEUlT_E_NS1_11comp_targetILNS1_3genE5ELNS1_11target_archE942ELNS1_3gpuE9ELNS1_3repE0EEENS1_30default_config_static_selectorELNS0_4arch9wavefront6targetE0EEEvT1_
	.p2align	8
	.type	_ZN7rocprim17ROCPRIM_400000_NS6detail17trampoline_kernelINS0_14default_configENS1_35adjacent_difference_config_selectorILb1ElEEZNS1_24adjacent_difference_implIS3_Lb1ELb0EPlS7_ZN2at6native12_GLOBAL__N_124unique_dim_cuda_templateIN3c104HalfEEESt5tupleIJNS8_6TensorESF_SF_EERKSF_lbbbEUlllE1_EE10hipError_tPvRmT2_T3_mT4_P12ihipStream_tbEUlT_E_NS1_11comp_targetILNS1_3genE5ELNS1_11target_archE942ELNS1_3gpuE9ELNS1_3repE0EEENS1_30default_config_static_selectorELNS0_4arch9wavefront6targetE0EEEvT1_,@function
_ZN7rocprim17ROCPRIM_400000_NS6detail17trampoline_kernelINS0_14default_configENS1_35adjacent_difference_config_selectorILb1ElEEZNS1_24adjacent_difference_implIS3_Lb1ELb0EPlS7_ZN2at6native12_GLOBAL__N_124unique_dim_cuda_templateIN3c104HalfEEESt5tupleIJNS8_6TensorESF_SF_EERKSF_lbbbEUlllE1_EE10hipError_tPvRmT2_T3_mT4_P12ihipStream_tbEUlT_E_NS1_11comp_targetILNS1_3genE5ELNS1_11target_archE942ELNS1_3gpuE9ELNS1_3repE0EEENS1_30default_config_static_selectorELNS0_4arch9wavefront6targetE0EEEvT1_: ; @_ZN7rocprim17ROCPRIM_400000_NS6detail17trampoline_kernelINS0_14default_configENS1_35adjacent_difference_config_selectorILb1ElEEZNS1_24adjacent_difference_implIS3_Lb1ELb0EPlS7_ZN2at6native12_GLOBAL__N_124unique_dim_cuda_templateIN3c104HalfEEESt5tupleIJNS8_6TensorESF_SF_EERKSF_lbbbEUlllE1_EE10hipError_tPvRmT2_T3_mT4_P12ihipStream_tbEUlT_E_NS1_11comp_targetILNS1_3genE5ELNS1_11target_archE942ELNS1_3gpuE9ELNS1_3repE0EEENS1_30default_config_static_selectorELNS0_4arch9wavefront6targetE0EEEvT1_
; %bb.0:
	.section	.rodata,"a",@progbits
	.p2align	6, 0x0
	.amdhsa_kernel _ZN7rocprim17ROCPRIM_400000_NS6detail17trampoline_kernelINS0_14default_configENS1_35adjacent_difference_config_selectorILb1ElEEZNS1_24adjacent_difference_implIS3_Lb1ELb0EPlS7_ZN2at6native12_GLOBAL__N_124unique_dim_cuda_templateIN3c104HalfEEESt5tupleIJNS8_6TensorESF_SF_EERKSF_lbbbEUlllE1_EE10hipError_tPvRmT2_T3_mT4_P12ihipStream_tbEUlT_E_NS1_11comp_targetILNS1_3genE5ELNS1_11target_archE942ELNS1_3gpuE9ELNS1_3repE0EEENS1_30default_config_static_selectorELNS0_4arch9wavefront6targetE0EEEvT1_
		.amdhsa_group_segment_fixed_size 0
		.amdhsa_private_segment_fixed_size 0
		.amdhsa_kernarg_size 64
		.amdhsa_user_sgpr_count 2
		.amdhsa_user_sgpr_dispatch_ptr 0
		.amdhsa_user_sgpr_queue_ptr 0
		.amdhsa_user_sgpr_kernarg_segment_ptr 1
		.amdhsa_user_sgpr_dispatch_id 0
		.amdhsa_user_sgpr_kernarg_preload_length 0
		.amdhsa_user_sgpr_kernarg_preload_offset 0
		.amdhsa_user_sgpr_private_segment_size 0
		.amdhsa_wavefront_size32 1
		.amdhsa_uses_dynamic_stack 0
		.amdhsa_enable_private_segment 0
		.amdhsa_system_sgpr_workgroup_id_x 1
		.amdhsa_system_sgpr_workgroup_id_y 0
		.amdhsa_system_sgpr_workgroup_id_z 0
		.amdhsa_system_sgpr_workgroup_info 0
		.amdhsa_system_vgpr_workitem_id 0
		.amdhsa_next_free_vgpr 1
		.amdhsa_next_free_sgpr 1
		.amdhsa_named_barrier_count 0
		.amdhsa_reserve_vcc 0
		.amdhsa_float_round_mode_32 0
		.amdhsa_float_round_mode_16_64 0
		.amdhsa_float_denorm_mode_32 3
		.amdhsa_float_denorm_mode_16_64 3
		.amdhsa_fp16_overflow 0
		.amdhsa_memory_ordered 1
		.amdhsa_forward_progress 1
		.amdhsa_inst_pref_size 0
		.amdhsa_round_robin_scheduling 0
		.amdhsa_exception_fp_ieee_invalid_op 0
		.amdhsa_exception_fp_denorm_src 0
		.amdhsa_exception_fp_ieee_div_zero 0
		.amdhsa_exception_fp_ieee_overflow 0
		.amdhsa_exception_fp_ieee_underflow 0
		.amdhsa_exception_fp_ieee_inexact 0
		.amdhsa_exception_int_div_zero 0
	.end_amdhsa_kernel
	.section	.text._ZN7rocprim17ROCPRIM_400000_NS6detail17trampoline_kernelINS0_14default_configENS1_35adjacent_difference_config_selectorILb1ElEEZNS1_24adjacent_difference_implIS3_Lb1ELb0EPlS7_ZN2at6native12_GLOBAL__N_124unique_dim_cuda_templateIN3c104HalfEEESt5tupleIJNS8_6TensorESF_SF_EERKSF_lbbbEUlllE1_EE10hipError_tPvRmT2_T3_mT4_P12ihipStream_tbEUlT_E_NS1_11comp_targetILNS1_3genE5ELNS1_11target_archE942ELNS1_3gpuE9ELNS1_3repE0EEENS1_30default_config_static_selectorELNS0_4arch9wavefront6targetE0EEEvT1_,"axG",@progbits,_ZN7rocprim17ROCPRIM_400000_NS6detail17trampoline_kernelINS0_14default_configENS1_35adjacent_difference_config_selectorILb1ElEEZNS1_24adjacent_difference_implIS3_Lb1ELb0EPlS7_ZN2at6native12_GLOBAL__N_124unique_dim_cuda_templateIN3c104HalfEEESt5tupleIJNS8_6TensorESF_SF_EERKSF_lbbbEUlllE1_EE10hipError_tPvRmT2_T3_mT4_P12ihipStream_tbEUlT_E_NS1_11comp_targetILNS1_3genE5ELNS1_11target_archE942ELNS1_3gpuE9ELNS1_3repE0EEENS1_30default_config_static_selectorELNS0_4arch9wavefront6targetE0EEEvT1_,comdat
.Lfunc_end1291:
	.size	_ZN7rocprim17ROCPRIM_400000_NS6detail17trampoline_kernelINS0_14default_configENS1_35adjacent_difference_config_selectorILb1ElEEZNS1_24adjacent_difference_implIS3_Lb1ELb0EPlS7_ZN2at6native12_GLOBAL__N_124unique_dim_cuda_templateIN3c104HalfEEESt5tupleIJNS8_6TensorESF_SF_EERKSF_lbbbEUlllE1_EE10hipError_tPvRmT2_T3_mT4_P12ihipStream_tbEUlT_E_NS1_11comp_targetILNS1_3genE5ELNS1_11target_archE942ELNS1_3gpuE9ELNS1_3repE0EEENS1_30default_config_static_selectorELNS0_4arch9wavefront6targetE0EEEvT1_, .Lfunc_end1291-_ZN7rocprim17ROCPRIM_400000_NS6detail17trampoline_kernelINS0_14default_configENS1_35adjacent_difference_config_selectorILb1ElEEZNS1_24adjacent_difference_implIS3_Lb1ELb0EPlS7_ZN2at6native12_GLOBAL__N_124unique_dim_cuda_templateIN3c104HalfEEESt5tupleIJNS8_6TensorESF_SF_EERKSF_lbbbEUlllE1_EE10hipError_tPvRmT2_T3_mT4_P12ihipStream_tbEUlT_E_NS1_11comp_targetILNS1_3genE5ELNS1_11target_archE942ELNS1_3gpuE9ELNS1_3repE0EEENS1_30default_config_static_selectorELNS0_4arch9wavefront6targetE0EEEvT1_
                                        ; -- End function
	.set _ZN7rocprim17ROCPRIM_400000_NS6detail17trampoline_kernelINS0_14default_configENS1_35adjacent_difference_config_selectorILb1ElEEZNS1_24adjacent_difference_implIS3_Lb1ELb0EPlS7_ZN2at6native12_GLOBAL__N_124unique_dim_cuda_templateIN3c104HalfEEESt5tupleIJNS8_6TensorESF_SF_EERKSF_lbbbEUlllE1_EE10hipError_tPvRmT2_T3_mT4_P12ihipStream_tbEUlT_E_NS1_11comp_targetILNS1_3genE5ELNS1_11target_archE942ELNS1_3gpuE9ELNS1_3repE0EEENS1_30default_config_static_selectorELNS0_4arch9wavefront6targetE0EEEvT1_.num_vgpr, 0
	.set _ZN7rocprim17ROCPRIM_400000_NS6detail17trampoline_kernelINS0_14default_configENS1_35adjacent_difference_config_selectorILb1ElEEZNS1_24adjacent_difference_implIS3_Lb1ELb0EPlS7_ZN2at6native12_GLOBAL__N_124unique_dim_cuda_templateIN3c104HalfEEESt5tupleIJNS8_6TensorESF_SF_EERKSF_lbbbEUlllE1_EE10hipError_tPvRmT2_T3_mT4_P12ihipStream_tbEUlT_E_NS1_11comp_targetILNS1_3genE5ELNS1_11target_archE942ELNS1_3gpuE9ELNS1_3repE0EEENS1_30default_config_static_selectorELNS0_4arch9wavefront6targetE0EEEvT1_.num_agpr, 0
	.set _ZN7rocprim17ROCPRIM_400000_NS6detail17trampoline_kernelINS0_14default_configENS1_35adjacent_difference_config_selectorILb1ElEEZNS1_24adjacent_difference_implIS3_Lb1ELb0EPlS7_ZN2at6native12_GLOBAL__N_124unique_dim_cuda_templateIN3c104HalfEEESt5tupleIJNS8_6TensorESF_SF_EERKSF_lbbbEUlllE1_EE10hipError_tPvRmT2_T3_mT4_P12ihipStream_tbEUlT_E_NS1_11comp_targetILNS1_3genE5ELNS1_11target_archE942ELNS1_3gpuE9ELNS1_3repE0EEENS1_30default_config_static_selectorELNS0_4arch9wavefront6targetE0EEEvT1_.numbered_sgpr, 0
	.set _ZN7rocprim17ROCPRIM_400000_NS6detail17trampoline_kernelINS0_14default_configENS1_35adjacent_difference_config_selectorILb1ElEEZNS1_24adjacent_difference_implIS3_Lb1ELb0EPlS7_ZN2at6native12_GLOBAL__N_124unique_dim_cuda_templateIN3c104HalfEEESt5tupleIJNS8_6TensorESF_SF_EERKSF_lbbbEUlllE1_EE10hipError_tPvRmT2_T3_mT4_P12ihipStream_tbEUlT_E_NS1_11comp_targetILNS1_3genE5ELNS1_11target_archE942ELNS1_3gpuE9ELNS1_3repE0EEENS1_30default_config_static_selectorELNS0_4arch9wavefront6targetE0EEEvT1_.num_named_barrier, 0
	.set _ZN7rocprim17ROCPRIM_400000_NS6detail17trampoline_kernelINS0_14default_configENS1_35adjacent_difference_config_selectorILb1ElEEZNS1_24adjacent_difference_implIS3_Lb1ELb0EPlS7_ZN2at6native12_GLOBAL__N_124unique_dim_cuda_templateIN3c104HalfEEESt5tupleIJNS8_6TensorESF_SF_EERKSF_lbbbEUlllE1_EE10hipError_tPvRmT2_T3_mT4_P12ihipStream_tbEUlT_E_NS1_11comp_targetILNS1_3genE5ELNS1_11target_archE942ELNS1_3gpuE9ELNS1_3repE0EEENS1_30default_config_static_selectorELNS0_4arch9wavefront6targetE0EEEvT1_.private_seg_size, 0
	.set _ZN7rocprim17ROCPRIM_400000_NS6detail17trampoline_kernelINS0_14default_configENS1_35adjacent_difference_config_selectorILb1ElEEZNS1_24adjacent_difference_implIS3_Lb1ELb0EPlS7_ZN2at6native12_GLOBAL__N_124unique_dim_cuda_templateIN3c104HalfEEESt5tupleIJNS8_6TensorESF_SF_EERKSF_lbbbEUlllE1_EE10hipError_tPvRmT2_T3_mT4_P12ihipStream_tbEUlT_E_NS1_11comp_targetILNS1_3genE5ELNS1_11target_archE942ELNS1_3gpuE9ELNS1_3repE0EEENS1_30default_config_static_selectorELNS0_4arch9wavefront6targetE0EEEvT1_.uses_vcc, 0
	.set _ZN7rocprim17ROCPRIM_400000_NS6detail17trampoline_kernelINS0_14default_configENS1_35adjacent_difference_config_selectorILb1ElEEZNS1_24adjacent_difference_implIS3_Lb1ELb0EPlS7_ZN2at6native12_GLOBAL__N_124unique_dim_cuda_templateIN3c104HalfEEESt5tupleIJNS8_6TensorESF_SF_EERKSF_lbbbEUlllE1_EE10hipError_tPvRmT2_T3_mT4_P12ihipStream_tbEUlT_E_NS1_11comp_targetILNS1_3genE5ELNS1_11target_archE942ELNS1_3gpuE9ELNS1_3repE0EEENS1_30default_config_static_selectorELNS0_4arch9wavefront6targetE0EEEvT1_.uses_flat_scratch, 0
	.set _ZN7rocprim17ROCPRIM_400000_NS6detail17trampoline_kernelINS0_14default_configENS1_35adjacent_difference_config_selectorILb1ElEEZNS1_24adjacent_difference_implIS3_Lb1ELb0EPlS7_ZN2at6native12_GLOBAL__N_124unique_dim_cuda_templateIN3c104HalfEEESt5tupleIJNS8_6TensorESF_SF_EERKSF_lbbbEUlllE1_EE10hipError_tPvRmT2_T3_mT4_P12ihipStream_tbEUlT_E_NS1_11comp_targetILNS1_3genE5ELNS1_11target_archE942ELNS1_3gpuE9ELNS1_3repE0EEENS1_30default_config_static_selectorELNS0_4arch9wavefront6targetE0EEEvT1_.has_dyn_sized_stack, 0
	.set _ZN7rocprim17ROCPRIM_400000_NS6detail17trampoline_kernelINS0_14default_configENS1_35adjacent_difference_config_selectorILb1ElEEZNS1_24adjacent_difference_implIS3_Lb1ELb0EPlS7_ZN2at6native12_GLOBAL__N_124unique_dim_cuda_templateIN3c104HalfEEESt5tupleIJNS8_6TensorESF_SF_EERKSF_lbbbEUlllE1_EE10hipError_tPvRmT2_T3_mT4_P12ihipStream_tbEUlT_E_NS1_11comp_targetILNS1_3genE5ELNS1_11target_archE942ELNS1_3gpuE9ELNS1_3repE0EEENS1_30default_config_static_selectorELNS0_4arch9wavefront6targetE0EEEvT1_.has_recursion, 0
	.set _ZN7rocprim17ROCPRIM_400000_NS6detail17trampoline_kernelINS0_14default_configENS1_35adjacent_difference_config_selectorILb1ElEEZNS1_24adjacent_difference_implIS3_Lb1ELb0EPlS7_ZN2at6native12_GLOBAL__N_124unique_dim_cuda_templateIN3c104HalfEEESt5tupleIJNS8_6TensorESF_SF_EERKSF_lbbbEUlllE1_EE10hipError_tPvRmT2_T3_mT4_P12ihipStream_tbEUlT_E_NS1_11comp_targetILNS1_3genE5ELNS1_11target_archE942ELNS1_3gpuE9ELNS1_3repE0EEENS1_30default_config_static_selectorELNS0_4arch9wavefront6targetE0EEEvT1_.has_indirect_call, 0
	.section	.AMDGPU.csdata,"",@progbits
; Kernel info:
; codeLenInByte = 0
; TotalNumSgprs: 0
; NumVgprs: 0
; ScratchSize: 0
; MemoryBound: 0
; FloatMode: 240
; IeeeMode: 1
; LDSByteSize: 0 bytes/workgroup (compile time only)
; SGPRBlocks: 0
; VGPRBlocks: 0
; NumSGPRsForWavesPerEU: 1
; NumVGPRsForWavesPerEU: 1
; NamedBarCnt: 0
; Occupancy: 16
; WaveLimiterHint : 0
; COMPUTE_PGM_RSRC2:SCRATCH_EN: 0
; COMPUTE_PGM_RSRC2:USER_SGPR: 2
; COMPUTE_PGM_RSRC2:TRAP_HANDLER: 0
; COMPUTE_PGM_RSRC2:TGID_X_EN: 1
; COMPUTE_PGM_RSRC2:TGID_Y_EN: 0
; COMPUTE_PGM_RSRC2:TGID_Z_EN: 0
; COMPUTE_PGM_RSRC2:TIDIG_COMP_CNT: 0
	.section	.text._ZN7rocprim17ROCPRIM_400000_NS6detail17trampoline_kernelINS0_14default_configENS1_35adjacent_difference_config_selectorILb1ElEEZNS1_24adjacent_difference_implIS3_Lb1ELb0EPlS7_ZN2at6native12_GLOBAL__N_124unique_dim_cuda_templateIN3c104HalfEEESt5tupleIJNS8_6TensorESF_SF_EERKSF_lbbbEUlllE1_EE10hipError_tPvRmT2_T3_mT4_P12ihipStream_tbEUlT_E_NS1_11comp_targetILNS1_3genE4ELNS1_11target_archE910ELNS1_3gpuE8ELNS1_3repE0EEENS1_30default_config_static_selectorELNS0_4arch9wavefront6targetE0EEEvT1_,"axG",@progbits,_ZN7rocprim17ROCPRIM_400000_NS6detail17trampoline_kernelINS0_14default_configENS1_35adjacent_difference_config_selectorILb1ElEEZNS1_24adjacent_difference_implIS3_Lb1ELb0EPlS7_ZN2at6native12_GLOBAL__N_124unique_dim_cuda_templateIN3c104HalfEEESt5tupleIJNS8_6TensorESF_SF_EERKSF_lbbbEUlllE1_EE10hipError_tPvRmT2_T3_mT4_P12ihipStream_tbEUlT_E_NS1_11comp_targetILNS1_3genE4ELNS1_11target_archE910ELNS1_3gpuE8ELNS1_3repE0EEENS1_30default_config_static_selectorELNS0_4arch9wavefront6targetE0EEEvT1_,comdat
	.globl	_ZN7rocprim17ROCPRIM_400000_NS6detail17trampoline_kernelINS0_14default_configENS1_35adjacent_difference_config_selectorILb1ElEEZNS1_24adjacent_difference_implIS3_Lb1ELb0EPlS7_ZN2at6native12_GLOBAL__N_124unique_dim_cuda_templateIN3c104HalfEEESt5tupleIJNS8_6TensorESF_SF_EERKSF_lbbbEUlllE1_EE10hipError_tPvRmT2_T3_mT4_P12ihipStream_tbEUlT_E_NS1_11comp_targetILNS1_3genE4ELNS1_11target_archE910ELNS1_3gpuE8ELNS1_3repE0EEENS1_30default_config_static_selectorELNS0_4arch9wavefront6targetE0EEEvT1_ ; -- Begin function _ZN7rocprim17ROCPRIM_400000_NS6detail17trampoline_kernelINS0_14default_configENS1_35adjacent_difference_config_selectorILb1ElEEZNS1_24adjacent_difference_implIS3_Lb1ELb0EPlS7_ZN2at6native12_GLOBAL__N_124unique_dim_cuda_templateIN3c104HalfEEESt5tupleIJNS8_6TensorESF_SF_EERKSF_lbbbEUlllE1_EE10hipError_tPvRmT2_T3_mT4_P12ihipStream_tbEUlT_E_NS1_11comp_targetILNS1_3genE4ELNS1_11target_archE910ELNS1_3gpuE8ELNS1_3repE0EEENS1_30default_config_static_selectorELNS0_4arch9wavefront6targetE0EEEvT1_
	.p2align	8
	.type	_ZN7rocprim17ROCPRIM_400000_NS6detail17trampoline_kernelINS0_14default_configENS1_35adjacent_difference_config_selectorILb1ElEEZNS1_24adjacent_difference_implIS3_Lb1ELb0EPlS7_ZN2at6native12_GLOBAL__N_124unique_dim_cuda_templateIN3c104HalfEEESt5tupleIJNS8_6TensorESF_SF_EERKSF_lbbbEUlllE1_EE10hipError_tPvRmT2_T3_mT4_P12ihipStream_tbEUlT_E_NS1_11comp_targetILNS1_3genE4ELNS1_11target_archE910ELNS1_3gpuE8ELNS1_3repE0EEENS1_30default_config_static_selectorELNS0_4arch9wavefront6targetE0EEEvT1_,@function
_ZN7rocprim17ROCPRIM_400000_NS6detail17trampoline_kernelINS0_14default_configENS1_35adjacent_difference_config_selectorILb1ElEEZNS1_24adjacent_difference_implIS3_Lb1ELb0EPlS7_ZN2at6native12_GLOBAL__N_124unique_dim_cuda_templateIN3c104HalfEEESt5tupleIJNS8_6TensorESF_SF_EERKSF_lbbbEUlllE1_EE10hipError_tPvRmT2_T3_mT4_P12ihipStream_tbEUlT_E_NS1_11comp_targetILNS1_3genE4ELNS1_11target_archE910ELNS1_3gpuE8ELNS1_3repE0EEENS1_30default_config_static_selectorELNS0_4arch9wavefront6targetE0EEEvT1_: ; @_ZN7rocprim17ROCPRIM_400000_NS6detail17trampoline_kernelINS0_14default_configENS1_35adjacent_difference_config_selectorILb1ElEEZNS1_24adjacent_difference_implIS3_Lb1ELb0EPlS7_ZN2at6native12_GLOBAL__N_124unique_dim_cuda_templateIN3c104HalfEEESt5tupleIJNS8_6TensorESF_SF_EERKSF_lbbbEUlllE1_EE10hipError_tPvRmT2_T3_mT4_P12ihipStream_tbEUlT_E_NS1_11comp_targetILNS1_3genE4ELNS1_11target_archE910ELNS1_3gpuE8ELNS1_3repE0EEENS1_30default_config_static_selectorELNS0_4arch9wavefront6targetE0EEEvT1_
; %bb.0:
	.section	.rodata,"a",@progbits
	.p2align	6, 0x0
	.amdhsa_kernel _ZN7rocprim17ROCPRIM_400000_NS6detail17trampoline_kernelINS0_14default_configENS1_35adjacent_difference_config_selectorILb1ElEEZNS1_24adjacent_difference_implIS3_Lb1ELb0EPlS7_ZN2at6native12_GLOBAL__N_124unique_dim_cuda_templateIN3c104HalfEEESt5tupleIJNS8_6TensorESF_SF_EERKSF_lbbbEUlllE1_EE10hipError_tPvRmT2_T3_mT4_P12ihipStream_tbEUlT_E_NS1_11comp_targetILNS1_3genE4ELNS1_11target_archE910ELNS1_3gpuE8ELNS1_3repE0EEENS1_30default_config_static_selectorELNS0_4arch9wavefront6targetE0EEEvT1_
		.amdhsa_group_segment_fixed_size 0
		.amdhsa_private_segment_fixed_size 0
		.amdhsa_kernarg_size 64
		.amdhsa_user_sgpr_count 2
		.amdhsa_user_sgpr_dispatch_ptr 0
		.amdhsa_user_sgpr_queue_ptr 0
		.amdhsa_user_sgpr_kernarg_segment_ptr 1
		.amdhsa_user_sgpr_dispatch_id 0
		.amdhsa_user_sgpr_kernarg_preload_length 0
		.amdhsa_user_sgpr_kernarg_preload_offset 0
		.amdhsa_user_sgpr_private_segment_size 0
		.amdhsa_wavefront_size32 1
		.amdhsa_uses_dynamic_stack 0
		.amdhsa_enable_private_segment 0
		.amdhsa_system_sgpr_workgroup_id_x 1
		.amdhsa_system_sgpr_workgroup_id_y 0
		.amdhsa_system_sgpr_workgroup_id_z 0
		.amdhsa_system_sgpr_workgroup_info 0
		.amdhsa_system_vgpr_workitem_id 0
		.amdhsa_next_free_vgpr 1
		.amdhsa_next_free_sgpr 1
		.amdhsa_named_barrier_count 0
		.amdhsa_reserve_vcc 0
		.amdhsa_float_round_mode_32 0
		.amdhsa_float_round_mode_16_64 0
		.amdhsa_float_denorm_mode_32 3
		.amdhsa_float_denorm_mode_16_64 3
		.amdhsa_fp16_overflow 0
		.amdhsa_memory_ordered 1
		.amdhsa_forward_progress 1
		.amdhsa_inst_pref_size 0
		.amdhsa_round_robin_scheduling 0
		.amdhsa_exception_fp_ieee_invalid_op 0
		.amdhsa_exception_fp_denorm_src 0
		.amdhsa_exception_fp_ieee_div_zero 0
		.amdhsa_exception_fp_ieee_overflow 0
		.amdhsa_exception_fp_ieee_underflow 0
		.amdhsa_exception_fp_ieee_inexact 0
		.amdhsa_exception_int_div_zero 0
	.end_amdhsa_kernel
	.section	.text._ZN7rocprim17ROCPRIM_400000_NS6detail17trampoline_kernelINS0_14default_configENS1_35adjacent_difference_config_selectorILb1ElEEZNS1_24adjacent_difference_implIS3_Lb1ELb0EPlS7_ZN2at6native12_GLOBAL__N_124unique_dim_cuda_templateIN3c104HalfEEESt5tupleIJNS8_6TensorESF_SF_EERKSF_lbbbEUlllE1_EE10hipError_tPvRmT2_T3_mT4_P12ihipStream_tbEUlT_E_NS1_11comp_targetILNS1_3genE4ELNS1_11target_archE910ELNS1_3gpuE8ELNS1_3repE0EEENS1_30default_config_static_selectorELNS0_4arch9wavefront6targetE0EEEvT1_,"axG",@progbits,_ZN7rocprim17ROCPRIM_400000_NS6detail17trampoline_kernelINS0_14default_configENS1_35adjacent_difference_config_selectorILb1ElEEZNS1_24adjacent_difference_implIS3_Lb1ELb0EPlS7_ZN2at6native12_GLOBAL__N_124unique_dim_cuda_templateIN3c104HalfEEESt5tupleIJNS8_6TensorESF_SF_EERKSF_lbbbEUlllE1_EE10hipError_tPvRmT2_T3_mT4_P12ihipStream_tbEUlT_E_NS1_11comp_targetILNS1_3genE4ELNS1_11target_archE910ELNS1_3gpuE8ELNS1_3repE0EEENS1_30default_config_static_selectorELNS0_4arch9wavefront6targetE0EEEvT1_,comdat
.Lfunc_end1292:
	.size	_ZN7rocprim17ROCPRIM_400000_NS6detail17trampoline_kernelINS0_14default_configENS1_35adjacent_difference_config_selectorILb1ElEEZNS1_24adjacent_difference_implIS3_Lb1ELb0EPlS7_ZN2at6native12_GLOBAL__N_124unique_dim_cuda_templateIN3c104HalfEEESt5tupleIJNS8_6TensorESF_SF_EERKSF_lbbbEUlllE1_EE10hipError_tPvRmT2_T3_mT4_P12ihipStream_tbEUlT_E_NS1_11comp_targetILNS1_3genE4ELNS1_11target_archE910ELNS1_3gpuE8ELNS1_3repE0EEENS1_30default_config_static_selectorELNS0_4arch9wavefront6targetE0EEEvT1_, .Lfunc_end1292-_ZN7rocprim17ROCPRIM_400000_NS6detail17trampoline_kernelINS0_14default_configENS1_35adjacent_difference_config_selectorILb1ElEEZNS1_24adjacent_difference_implIS3_Lb1ELb0EPlS7_ZN2at6native12_GLOBAL__N_124unique_dim_cuda_templateIN3c104HalfEEESt5tupleIJNS8_6TensorESF_SF_EERKSF_lbbbEUlllE1_EE10hipError_tPvRmT2_T3_mT4_P12ihipStream_tbEUlT_E_NS1_11comp_targetILNS1_3genE4ELNS1_11target_archE910ELNS1_3gpuE8ELNS1_3repE0EEENS1_30default_config_static_selectorELNS0_4arch9wavefront6targetE0EEEvT1_
                                        ; -- End function
	.set _ZN7rocprim17ROCPRIM_400000_NS6detail17trampoline_kernelINS0_14default_configENS1_35adjacent_difference_config_selectorILb1ElEEZNS1_24adjacent_difference_implIS3_Lb1ELb0EPlS7_ZN2at6native12_GLOBAL__N_124unique_dim_cuda_templateIN3c104HalfEEESt5tupleIJNS8_6TensorESF_SF_EERKSF_lbbbEUlllE1_EE10hipError_tPvRmT2_T3_mT4_P12ihipStream_tbEUlT_E_NS1_11comp_targetILNS1_3genE4ELNS1_11target_archE910ELNS1_3gpuE8ELNS1_3repE0EEENS1_30default_config_static_selectorELNS0_4arch9wavefront6targetE0EEEvT1_.num_vgpr, 0
	.set _ZN7rocprim17ROCPRIM_400000_NS6detail17trampoline_kernelINS0_14default_configENS1_35adjacent_difference_config_selectorILb1ElEEZNS1_24adjacent_difference_implIS3_Lb1ELb0EPlS7_ZN2at6native12_GLOBAL__N_124unique_dim_cuda_templateIN3c104HalfEEESt5tupleIJNS8_6TensorESF_SF_EERKSF_lbbbEUlllE1_EE10hipError_tPvRmT2_T3_mT4_P12ihipStream_tbEUlT_E_NS1_11comp_targetILNS1_3genE4ELNS1_11target_archE910ELNS1_3gpuE8ELNS1_3repE0EEENS1_30default_config_static_selectorELNS0_4arch9wavefront6targetE0EEEvT1_.num_agpr, 0
	.set _ZN7rocprim17ROCPRIM_400000_NS6detail17trampoline_kernelINS0_14default_configENS1_35adjacent_difference_config_selectorILb1ElEEZNS1_24adjacent_difference_implIS3_Lb1ELb0EPlS7_ZN2at6native12_GLOBAL__N_124unique_dim_cuda_templateIN3c104HalfEEESt5tupleIJNS8_6TensorESF_SF_EERKSF_lbbbEUlllE1_EE10hipError_tPvRmT2_T3_mT4_P12ihipStream_tbEUlT_E_NS1_11comp_targetILNS1_3genE4ELNS1_11target_archE910ELNS1_3gpuE8ELNS1_3repE0EEENS1_30default_config_static_selectorELNS0_4arch9wavefront6targetE0EEEvT1_.numbered_sgpr, 0
	.set _ZN7rocprim17ROCPRIM_400000_NS6detail17trampoline_kernelINS0_14default_configENS1_35adjacent_difference_config_selectorILb1ElEEZNS1_24adjacent_difference_implIS3_Lb1ELb0EPlS7_ZN2at6native12_GLOBAL__N_124unique_dim_cuda_templateIN3c104HalfEEESt5tupleIJNS8_6TensorESF_SF_EERKSF_lbbbEUlllE1_EE10hipError_tPvRmT2_T3_mT4_P12ihipStream_tbEUlT_E_NS1_11comp_targetILNS1_3genE4ELNS1_11target_archE910ELNS1_3gpuE8ELNS1_3repE0EEENS1_30default_config_static_selectorELNS0_4arch9wavefront6targetE0EEEvT1_.num_named_barrier, 0
	.set _ZN7rocprim17ROCPRIM_400000_NS6detail17trampoline_kernelINS0_14default_configENS1_35adjacent_difference_config_selectorILb1ElEEZNS1_24adjacent_difference_implIS3_Lb1ELb0EPlS7_ZN2at6native12_GLOBAL__N_124unique_dim_cuda_templateIN3c104HalfEEESt5tupleIJNS8_6TensorESF_SF_EERKSF_lbbbEUlllE1_EE10hipError_tPvRmT2_T3_mT4_P12ihipStream_tbEUlT_E_NS1_11comp_targetILNS1_3genE4ELNS1_11target_archE910ELNS1_3gpuE8ELNS1_3repE0EEENS1_30default_config_static_selectorELNS0_4arch9wavefront6targetE0EEEvT1_.private_seg_size, 0
	.set _ZN7rocprim17ROCPRIM_400000_NS6detail17trampoline_kernelINS0_14default_configENS1_35adjacent_difference_config_selectorILb1ElEEZNS1_24adjacent_difference_implIS3_Lb1ELb0EPlS7_ZN2at6native12_GLOBAL__N_124unique_dim_cuda_templateIN3c104HalfEEESt5tupleIJNS8_6TensorESF_SF_EERKSF_lbbbEUlllE1_EE10hipError_tPvRmT2_T3_mT4_P12ihipStream_tbEUlT_E_NS1_11comp_targetILNS1_3genE4ELNS1_11target_archE910ELNS1_3gpuE8ELNS1_3repE0EEENS1_30default_config_static_selectorELNS0_4arch9wavefront6targetE0EEEvT1_.uses_vcc, 0
	.set _ZN7rocprim17ROCPRIM_400000_NS6detail17trampoline_kernelINS0_14default_configENS1_35adjacent_difference_config_selectorILb1ElEEZNS1_24adjacent_difference_implIS3_Lb1ELb0EPlS7_ZN2at6native12_GLOBAL__N_124unique_dim_cuda_templateIN3c104HalfEEESt5tupleIJNS8_6TensorESF_SF_EERKSF_lbbbEUlllE1_EE10hipError_tPvRmT2_T3_mT4_P12ihipStream_tbEUlT_E_NS1_11comp_targetILNS1_3genE4ELNS1_11target_archE910ELNS1_3gpuE8ELNS1_3repE0EEENS1_30default_config_static_selectorELNS0_4arch9wavefront6targetE0EEEvT1_.uses_flat_scratch, 0
	.set _ZN7rocprim17ROCPRIM_400000_NS6detail17trampoline_kernelINS0_14default_configENS1_35adjacent_difference_config_selectorILb1ElEEZNS1_24adjacent_difference_implIS3_Lb1ELb0EPlS7_ZN2at6native12_GLOBAL__N_124unique_dim_cuda_templateIN3c104HalfEEESt5tupleIJNS8_6TensorESF_SF_EERKSF_lbbbEUlllE1_EE10hipError_tPvRmT2_T3_mT4_P12ihipStream_tbEUlT_E_NS1_11comp_targetILNS1_3genE4ELNS1_11target_archE910ELNS1_3gpuE8ELNS1_3repE0EEENS1_30default_config_static_selectorELNS0_4arch9wavefront6targetE0EEEvT1_.has_dyn_sized_stack, 0
	.set _ZN7rocprim17ROCPRIM_400000_NS6detail17trampoline_kernelINS0_14default_configENS1_35adjacent_difference_config_selectorILb1ElEEZNS1_24adjacent_difference_implIS3_Lb1ELb0EPlS7_ZN2at6native12_GLOBAL__N_124unique_dim_cuda_templateIN3c104HalfEEESt5tupleIJNS8_6TensorESF_SF_EERKSF_lbbbEUlllE1_EE10hipError_tPvRmT2_T3_mT4_P12ihipStream_tbEUlT_E_NS1_11comp_targetILNS1_3genE4ELNS1_11target_archE910ELNS1_3gpuE8ELNS1_3repE0EEENS1_30default_config_static_selectorELNS0_4arch9wavefront6targetE0EEEvT1_.has_recursion, 0
	.set _ZN7rocprim17ROCPRIM_400000_NS6detail17trampoline_kernelINS0_14default_configENS1_35adjacent_difference_config_selectorILb1ElEEZNS1_24adjacent_difference_implIS3_Lb1ELb0EPlS7_ZN2at6native12_GLOBAL__N_124unique_dim_cuda_templateIN3c104HalfEEESt5tupleIJNS8_6TensorESF_SF_EERKSF_lbbbEUlllE1_EE10hipError_tPvRmT2_T3_mT4_P12ihipStream_tbEUlT_E_NS1_11comp_targetILNS1_3genE4ELNS1_11target_archE910ELNS1_3gpuE8ELNS1_3repE0EEENS1_30default_config_static_selectorELNS0_4arch9wavefront6targetE0EEEvT1_.has_indirect_call, 0
	.section	.AMDGPU.csdata,"",@progbits
; Kernel info:
; codeLenInByte = 0
; TotalNumSgprs: 0
; NumVgprs: 0
; ScratchSize: 0
; MemoryBound: 0
; FloatMode: 240
; IeeeMode: 1
; LDSByteSize: 0 bytes/workgroup (compile time only)
; SGPRBlocks: 0
; VGPRBlocks: 0
; NumSGPRsForWavesPerEU: 1
; NumVGPRsForWavesPerEU: 1
; NamedBarCnt: 0
; Occupancy: 16
; WaveLimiterHint : 0
; COMPUTE_PGM_RSRC2:SCRATCH_EN: 0
; COMPUTE_PGM_RSRC2:USER_SGPR: 2
; COMPUTE_PGM_RSRC2:TRAP_HANDLER: 0
; COMPUTE_PGM_RSRC2:TGID_X_EN: 1
; COMPUTE_PGM_RSRC2:TGID_Y_EN: 0
; COMPUTE_PGM_RSRC2:TGID_Z_EN: 0
; COMPUTE_PGM_RSRC2:TIDIG_COMP_CNT: 0
	.section	.text._ZN7rocprim17ROCPRIM_400000_NS6detail17trampoline_kernelINS0_14default_configENS1_35adjacent_difference_config_selectorILb1ElEEZNS1_24adjacent_difference_implIS3_Lb1ELb0EPlS7_ZN2at6native12_GLOBAL__N_124unique_dim_cuda_templateIN3c104HalfEEESt5tupleIJNS8_6TensorESF_SF_EERKSF_lbbbEUlllE1_EE10hipError_tPvRmT2_T3_mT4_P12ihipStream_tbEUlT_E_NS1_11comp_targetILNS1_3genE3ELNS1_11target_archE908ELNS1_3gpuE7ELNS1_3repE0EEENS1_30default_config_static_selectorELNS0_4arch9wavefront6targetE0EEEvT1_,"axG",@progbits,_ZN7rocprim17ROCPRIM_400000_NS6detail17trampoline_kernelINS0_14default_configENS1_35adjacent_difference_config_selectorILb1ElEEZNS1_24adjacent_difference_implIS3_Lb1ELb0EPlS7_ZN2at6native12_GLOBAL__N_124unique_dim_cuda_templateIN3c104HalfEEESt5tupleIJNS8_6TensorESF_SF_EERKSF_lbbbEUlllE1_EE10hipError_tPvRmT2_T3_mT4_P12ihipStream_tbEUlT_E_NS1_11comp_targetILNS1_3genE3ELNS1_11target_archE908ELNS1_3gpuE7ELNS1_3repE0EEENS1_30default_config_static_selectorELNS0_4arch9wavefront6targetE0EEEvT1_,comdat
	.globl	_ZN7rocprim17ROCPRIM_400000_NS6detail17trampoline_kernelINS0_14default_configENS1_35adjacent_difference_config_selectorILb1ElEEZNS1_24adjacent_difference_implIS3_Lb1ELb0EPlS7_ZN2at6native12_GLOBAL__N_124unique_dim_cuda_templateIN3c104HalfEEESt5tupleIJNS8_6TensorESF_SF_EERKSF_lbbbEUlllE1_EE10hipError_tPvRmT2_T3_mT4_P12ihipStream_tbEUlT_E_NS1_11comp_targetILNS1_3genE3ELNS1_11target_archE908ELNS1_3gpuE7ELNS1_3repE0EEENS1_30default_config_static_selectorELNS0_4arch9wavefront6targetE0EEEvT1_ ; -- Begin function _ZN7rocprim17ROCPRIM_400000_NS6detail17trampoline_kernelINS0_14default_configENS1_35adjacent_difference_config_selectorILb1ElEEZNS1_24adjacent_difference_implIS3_Lb1ELb0EPlS7_ZN2at6native12_GLOBAL__N_124unique_dim_cuda_templateIN3c104HalfEEESt5tupleIJNS8_6TensorESF_SF_EERKSF_lbbbEUlllE1_EE10hipError_tPvRmT2_T3_mT4_P12ihipStream_tbEUlT_E_NS1_11comp_targetILNS1_3genE3ELNS1_11target_archE908ELNS1_3gpuE7ELNS1_3repE0EEENS1_30default_config_static_selectorELNS0_4arch9wavefront6targetE0EEEvT1_
	.p2align	8
	.type	_ZN7rocprim17ROCPRIM_400000_NS6detail17trampoline_kernelINS0_14default_configENS1_35adjacent_difference_config_selectorILb1ElEEZNS1_24adjacent_difference_implIS3_Lb1ELb0EPlS7_ZN2at6native12_GLOBAL__N_124unique_dim_cuda_templateIN3c104HalfEEESt5tupleIJNS8_6TensorESF_SF_EERKSF_lbbbEUlllE1_EE10hipError_tPvRmT2_T3_mT4_P12ihipStream_tbEUlT_E_NS1_11comp_targetILNS1_3genE3ELNS1_11target_archE908ELNS1_3gpuE7ELNS1_3repE0EEENS1_30default_config_static_selectorELNS0_4arch9wavefront6targetE0EEEvT1_,@function
_ZN7rocprim17ROCPRIM_400000_NS6detail17trampoline_kernelINS0_14default_configENS1_35adjacent_difference_config_selectorILb1ElEEZNS1_24adjacent_difference_implIS3_Lb1ELb0EPlS7_ZN2at6native12_GLOBAL__N_124unique_dim_cuda_templateIN3c104HalfEEESt5tupleIJNS8_6TensorESF_SF_EERKSF_lbbbEUlllE1_EE10hipError_tPvRmT2_T3_mT4_P12ihipStream_tbEUlT_E_NS1_11comp_targetILNS1_3genE3ELNS1_11target_archE908ELNS1_3gpuE7ELNS1_3repE0EEENS1_30default_config_static_selectorELNS0_4arch9wavefront6targetE0EEEvT1_: ; @_ZN7rocprim17ROCPRIM_400000_NS6detail17trampoline_kernelINS0_14default_configENS1_35adjacent_difference_config_selectorILb1ElEEZNS1_24adjacent_difference_implIS3_Lb1ELb0EPlS7_ZN2at6native12_GLOBAL__N_124unique_dim_cuda_templateIN3c104HalfEEESt5tupleIJNS8_6TensorESF_SF_EERKSF_lbbbEUlllE1_EE10hipError_tPvRmT2_T3_mT4_P12ihipStream_tbEUlT_E_NS1_11comp_targetILNS1_3genE3ELNS1_11target_archE908ELNS1_3gpuE7ELNS1_3repE0EEENS1_30default_config_static_selectorELNS0_4arch9wavefront6targetE0EEEvT1_
; %bb.0:
	.section	.rodata,"a",@progbits
	.p2align	6, 0x0
	.amdhsa_kernel _ZN7rocprim17ROCPRIM_400000_NS6detail17trampoline_kernelINS0_14default_configENS1_35adjacent_difference_config_selectorILb1ElEEZNS1_24adjacent_difference_implIS3_Lb1ELb0EPlS7_ZN2at6native12_GLOBAL__N_124unique_dim_cuda_templateIN3c104HalfEEESt5tupleIJNS8_6TensorESF_SF_EERKSF_lbbbEUlllE1_EE10hipError_tPvRmT2_T3_mT4_P12ihipStream_tbEUlT_E_NS1_11comp_targetILNS1_3genE3ELNS1_11target_archE908ELNS1_3gpuE7ELNS1_3repE0EEENS1_30default_config_static_selectorELNS0_4arch9wavefront6targetE0EEEvT1_
		.amdhsa_group_segment_fixed_size 0
		.amdhsa_private_segment_fixed_size 0
		.amdhsa_kernarg_size 64
		.amdhsa_user_sgpr_count 2
		.amdhsa_user_sgpr_dispatch_ptr 0
		.amdhsa_user_sgpr_queue_ptr 0
		.amdhsa_user_sgpr_kernarg_segment_ptr 1
		.amdhsa_user_sgpr_dispatch_id 0
		.amdhsa_user_sgpr_kernarg_preload_length 0
		.amdhsa_user_sgpr_kernarg_preload_offset 0
		.amdhsa_user_sgpr_private_segment_size 0
		.amdhsa_wavefront_size32 1
		.amdhsa_uses_dynamic_stack 0
		.amdhsa_enable_private_segment 0
		.amdhsa_system_sgpr_workgroup_id_x 1
		.amdhsa_system_sgpr_workgroup_id_y 0
		.amdhsa_system_sgpr_workgroup_id_z 0
		.amdhsa_system_sgpr_workgroup_info 0
		.amdhsa_system_vgpr_workitem_id 0
		.amdhsa_next_free_vgpr 1
		.amdhsa_next_free_sgpr 1
		.amdhsa_named_barrier_count 0
		.amdhsa_reserve_vcc 0
		.amdhsa_float_round_mode_32 0
		.amdhsa_float_round_mode_16_64 0
		.amdhsa_float_denorm_mode_32 3
		.amdhsa_float_denorm_mode_16_64 3
		.amdhsa_fp16_overflow 0
		.amdhsa_memory_ordered 1
		.amdhsa_forward_progress 1
		.amdhsa_inst_pref_size 0
		.amdhsa_round_robin_scheduling 0
		.amdhsa_exception_fp_ieee_invalid_op 0
		.amdhsa_exception_fp_denorm_src 0
		.amdhsa_exception_fp_ieee_div_zero 0
		.amdhsa_exception_fp_ieee_overflow 0
		.amdhsa_exception_fp_ieee_underflow 0
		.amdhsa_exception_fp_ieee_inexact 0
		.amdhsa_exception_int_div_zero 0
	.end_amdhsa_kernel
	.section	.text._ZN7rocprim17ROCPRIM_400000_NS6detail17trampoline_kernelINS0_14default_configENS1_35adjacent_difference_config_selectorILb1ElEEZNS1_24adjacent_difference_implIS3_Lb1ELb0EPlS7_ZN2at6native12_GLOBAL__N_124unique_dim_cuda_templateIN3c104HalfEEESt5tupleIJNS8_6TensorESF_SF_EERKSF_lbbbEUlllE1_EE10hipError_tPvRmT2_T3_mT4_P12ihipStream_tbEUlT_E_NS1_11comp_targetILNS1_3genE3ELNS1_11target_archE908ELNS1_3gpuE7ELNS1_3repE0EEENS1_30default_config_static_selectorELNS0_4arch9wavefront6targetE0EEEvT1_,"axG",@progbits,_ZN7rocprim17ROCPRIM_400000_NS6detail17trampoline_kernelINS0_14default_configENS1_35adjacent_difference_config_selectorILb1ElEEZNS1_24adjacent_difference_implIS3_Lb1ELb0EPlS7_ZN2at6native12_GLOBAL__N_124unique_dim_cuda_templateIN3c104HalfEEESt5tupleIJNS8_6TensorESF_SF_EERKSF_lbbbEUlllE1_EE10hipError_tPvRmT2_T3_mT4_P12ihipStream_tbEUlT_E_NS1_11comp_targetILNS1_3genE3ELNS1_11target_archE908ELNS1_3gpuE7ELNS1_3repE0EEENS1_30default_config_static_selectorELNS0_4arch9wavefront6targetE0EEEvT1_,comdat
.Lfunc_end1293:
	.size	_ZN7rocprim17ROCPRIM_400000_NS6detail17trampoline_kernelINS0_14default_configENS1_35adjacent_difference_config_selectorILb1ElEEZNS1_24adjacent_difference_implIS3_Lb1ELb0EPlS7_ZN2at6native12_GLOBAL__N_124unique_dim_cuda_templateIN3c104HalfEEESt5tupleIJNS8_6TensorESF_SF_EERKSF_lbbbEUlllE1_EE10hipError_tPvRmT2_T3_mT4_P12ihipStream_tbEUlT_E_NS1_11comp_targetILNS1_3genE3ELNS1_11target_archE908ELNS1_3gpuE7ELNS1_3repE0EEENS1_30default_config_static_selectorELNS0_4arch9wavefront6targetE0EEEvT1_, .Lfunc_end1293-_ZN7rocprim17ROCPRIM_400000_NS6detail17trampoline_kernelINS0_14default_configENS1_35adjacent_difference_config_selectorILb1ElEEZNS1_24adjacent_difference_implIS3_Lb1ELb0EPlS7_ZN2at6native12_GLOBAL__N_124unique_dim_cuda_templateIN3c104HalfEEESt5tupleIJNS8_6TensorESF_SF_EERKSF_lbbbEUlllE1_EE10hipError_tPvRmT2_T3_mT4_P12ihipStream_tbEUlT_E_NS1_11comp_targetILNS1_3genE3ELNS1_11target_archE908ELNS1_3gpuE7ELNS1_3repE0EEENS1_30default_config_static_selectorELNS0_4arch9wavefront6targetE0EEEvT1_
                                        ; -- End function
	.set _ZN7rocprim17ROCPRIM_400000_NS6detail17trampoline_kernelINS0_14default_configENS1_35adjacent_difference_config_selectorILb1ElEEZNS1_24adjacent_difference_implIS3_Lb1ELb0EPlS7_ZN2at6native12_GLOBAL__N_124unique_dim_cuda_templateIN3c104HalfEEESt5tupleIJNS8_6TensorESF_SF_EERKSF_lbbbEUlllE1_EE10hipError_tPvRmT2_T3_mT4_P12ihipStream_tbEUlT_E_NS1_11comp_targetILNS1_3genE3ELNS1_11target_archE908ELNS1_3gpuE7ELNS1_3repE0EEENS1_30default_config_static_selectorELNS0_4arch9wavefront6targetE0EEEvT1_.num_vgpr, 0
	.set _ZN7rocprim17ROCPRIM_400000_NS6detail17trampoline_kernelINS0_14default_configENS1_35adjacent_difference_config_selectorILb1ElEEZNS1_24adjacent_difference_implIS3_Lb1ELb0EPlS7_ZN2at6native12_GLOBAL__N_124unique_dim_cuda_templateIN3c104HalfEEESt5tupleIJNS8_6TensorESF_SF_EERKSF_lbbbEUlllE1_EE10hipError_tPvRmT2_T3_mT4_P12ihipStream_tbEUlT_E_NS1_11comp_targetILNS1_3genE3ELNS1_11target_archE908ELNS1_3gpuE7ELNS1_3repE0EEENS1_30default_config_static_selectorELNS0_4arch9wavefront6targetE0EEEvT1_.num_agpr, 0
	.set _ZN7rocprim17ROCPRIM_400000_NS6detail17trampoline_kernelINS0_14default_configENS1_35adjacent_difference_config_selectorILb1ElEEZNS1_24adjacent_difference_implIS3_Lb1ELb0EPlS7_ZN2at6native12_GLOBAL__N_124unique_dim_cuda_templateIN3c104HalfEEESt5tupleIJNS8_6TensorESF_SF_EERKSF_lbbbEUlllE1_EE10hipError_tPvRmT2_T3_mT4_P12ihipStream_tbEUlT_E_NS1_11comp_targetILNS1_3genE3ELNS1_11target_archE908ELNS1_3gpuE7ELNS1_3repE0EEENS1_30default_config_static_selectorELNS0_4arch9wavefront6targetE0EEEvT1_.numbered_sgpr, 0
	.set _ZN7rocprim17ROCPRIM_400000_NS6detail17trampoline_kernelINS0_14default_configENS1_35adjacent_difference_config_selectorILb1ElEEZNS1_24adjacent_difference_implIS3_Lb1ELb0EPlS7_ZN2at6native12_GLOBAL__N_124unique_dim_cuda_templateIN3c104HalfEEESt5tupleIJNS8_6TensorESF_SF_EERKSF_lbbbEUlllE1_EE10hipError_tPvRmT2_T3_mT4_P12ihipStream_tbEUlT_E_NS1_11comp_targetILNS1_3genE3ELNS1_11target_archE908ELNS1_3gpuE7ELNS1_3repE0EEENS1_30default_config_static_selectorELNS0_4arch9wavefront6targetE0EEEvT1_.num_named_barrier, 0
	.set _ZN7rocprim17ROCPRIM_400000_NS6detail17trampoline_kernelINS0_14default_configENS1_35adjacent_difference_config_selectorILb1ElEEZNS1_24adjacent_difference_implIS3_Lb1ELb0EPlS7_ZN2at6native12_GLOBAL__N_124unique_dim_cuda_templateIN3c104HalfEEESt5tupleIJNS8_6TensorESF_SF_EERKSF_lbbbEUlllE1_EE10hipError_tPvRmT2_T3_mT4_P12ihipStream_tbEUlT_E_NS1_11comp_targetILNS1_3genE3ELNS1_11target_archE908ELNS1_3gpuE7ELNS1_3repE0EEENS1_30default_config_static_selectorELNS0_4arch9wavefront6targetE0EEEvT1_.private_seg_size, 0
	.set _ZN7rocprim17ROCPRIM_400000_NS6detail17trampoline_kernelINS0_14default_configENS1_35adjacent_difference_config_selectorILb1ElEEZNS1_24adjacent_difference_implIS3_Lb1ELb0EPlS7_ZN2at6native12_GLOBAL__N_124unique_dim_cuda_templateIN3c104HalfEEESt5tupleIJNS8_6TensorESF_SF_EERKSF_lbbbEUlllE1_EE10hipError_tPvRmT2_T3_mT4_P12ihipStream_tbEUlT_E_NS1_11comp_targetILNS1_3genE3ELNS1_11target_archE908ELNS1_3gpuE7ELNS1_3repE0EEENS1_30default_config_static_selectorELNS0_4arch9wavefront6targetE0EEEvT1_.uses_vcc, 0
	.set _ZN7rocprim17ROCPRIM_400000_NS6detail17trampoline_kernelINS0_14default_configENS1_35adjacent_difference_config_selectorILb1ElEEZNS1_24adjacent_difference_implIS3_Lb1ELb0EPlS7_ZN2at6native12_GLOBAL__N_124unique_dim_cuda_templateIN3c104HalfEEESt5tupleIJNS8_6TensorESF_SF_EERKSF_lbbbEUlllE1_EE10hipError_tPvRmT2_T3_mT4_P12ihipStream_tbEUlT_E_NS1_11comp_targetILNS1_3genE3ELNS1_11target_archE908ELNS1_3gpuE7ELNS1_3repE0EEENS1_30default_config_static_selectorELNS0_4arch9wavefront6targetE0EEEvT1_.uses_flat_scratch, 0
	.set _ZN7rocprim17ROCPRIM_400000_NS6detail17trampoline_kernelINS0_14default_configENS1_35adjacent_difference_config_selectorILb1ElEEZNS1_24adjacent_difference_implIS3_Lb1ELb0EPlS7_ZN2at6native12_GLOBAL__N_124unique_dim_cuda_templateIN3c104HalfEEESt5tupleIJNS8_6TensorESF_SF_EERKSF_lbbbEUlllE1_EE10hipError_tPvRmT2_T3_mT4_P12ihipStream_tbEUlT_E_NS1_11comp_targetILNS1_3genE3ELNS1_11target_archE908ELNS1_3gpuE7ELNS1_3repE0EEENS1_30default_config_static_selectorELNS0_4arch9wavefront6targetE0EEEvT1_.has_dyn_sized_stack, 0
	.set _ZN7rocprim17ROCPRIM_400000_NS6detail17trampoline_kernelINS0_14default_configENS1_35adjacent_difference_config_selectorILb1ElEEZNS1_24adjacent_difference_implIS3_Lb1ELb0EPlS7_ZN2at6native12_GLOBAL__N_124unique_dim_cuda_templateIN3c104HalfEEESt5tupleIJNS8_6TensorESF_SF_EERKSF_lbbbEUlllE1_EE10hipError_tPvRmT2_T3_mT4_P12ihipStream_tbEUlT_E_NS1_11comp_targetILNS1_3genE3ELNS1_11target_archE908ELNS1_3gpuE7ELNS1_3repE0EEENS1_30default_config_static_selectorELNS0_4arch9wavefront6targetE0EEEvT1_.has_recursion, 0
	.set _ZN7rocprim17ROCPRIM_400000_NS6detail17trampoline_kernelINS0_14default_configENS1_35adjacent_difference_config_selectorILb1ElEEZNS1_24adjacent_difference_implIS3_Lb1ELb0EPlS7_ZN2at6native12_GLOBAL__N_124unique_dim_cuda_templateIN3c104HalfEEESt5tupleIJNS8_6TensorESF_SF_EERKSF_lbbbEUlllE1_EE10hipError_tPvRmT2_T3_mT4_P12ihipStream_tbEUlT_E_NS1_11comp_targetILNS1_3genE3ELNS1_11target_archE908ELNS1_3gpuE7ELNS1_3repE0EEENS1_30default_config_static_selectorELNS0_4arch9wavefront6targetE0EEEvT1_.has_indirect_call, 0
	.section	.AMDGPU.csdata,"",@progbits
; Kernel info:
; codeLenInByte = 0
; TotalNumSgprs: 0
; NumVgprs: 0
; ScratchSize: 0
; MemoryBound: 0
; FloatMode: 240
; IeeeMode: 1
; LDSByteSize: 0 bytes/workgroup (compile time only)
; SGPRBlocks: 0
; VGPRBlocks: 0
; NumSGPRsForWavesPerEU: 1
; NumVGPRsForWavesPerEU: 1
; NamedBarCnt: 0
; Occupancy: 16
; WaveLimiterHint : 0
; COMPUTE_PGM_RSRC2:SCRATCH_EN: 0
; COMPUTE_PGM_RSRC2:USER_SGPR: 2
; COMPUTE_PGM_RSRC2:TRAP_HANDLER: 0
; COMPUTE_PGM_RSRC2:TGID_X_EN: 1
; COMPUTE_PGM_RSRC2:TGID_Y_EN: 0
; COMPUTE_PGM_RSRC2:TGID_Z_EN: 0
; COMPUTE_PGM_RSRC2:TIDIG_COMP_CNT: 0
	.section	.text._ZN7rocprim17ROCPRIM_400000_NS6detail17trampoline_kernelINS0_14default_configENS1_35adjacent_difference_config_selectorILb1ElEEZNS1_24adjacent_difference_implIS3_Lb1ELb0EPlS7_ZN2at6native12_GLOBAL__N_124unique_dim_cuda_templateIN3c104HalfEEESt5tupleIJNS8_6TensorESF_SF_EERKSF_lbbbEUlllE1_EE10hipError_tPvRmT2_T3_mT4_P12ihipStream_tbEUlT_E_NS1_11comp_targetILNS1_3genE2ELNS1_11target_archE906ELNS1_3gpuE6ELNS1_3repE0EEENS1_30default_config_static_selectorELNS0_4arch9wavefront6targetE0EEEvT1_,"axG",@progbits,_ZN7rocprim17ROCPRIM_400000_NS6detail17trampoline_kernelINS0_14default_configENS1_35adjacent_difference_config_selectorILb1ElEEZNS1_24adjacent_difference_implIS3_Lb1ELb0EPlS7_ZN2at6native12_GLOBAL__N_124unique_dim_cuda_templateIN3c104HalfEEESt5tupleIJNS8_6TensorESF_SF_EERKSF_lbbbEUlllE1_EE10hipError_tPvRmT2_T3_mT4_P12ihipStream_tbEUlT_E_NS1_11comp_targetILNS1_3genE2ELNS1_11target_archE906ELNS1_3gpuE6ELNS1_3repE0EEENS1_30default_config_static_selectorELNS0_4arch9wavefront6targetE0EEEvT1_,comdat
	.globl	_ZN7rocprim17ROCPRIM_400000_NS6detail17trampoline_kernelINS0_14default_configENS1_35adjacent_difference_config_selectorILb1ElEEZNS1_24adjacent_difference_implIS3_Lb1ELb0EPlS7_ZN2at6native12_GLOBAL__N_124unique_dim_cuda_templateIN3c104HalfEEESt5tupleIJNS8_6TensorESF_SF_EERKSF_lbbbEUlllE1_EE10hipError_tPvRmT2_T3_mT4_P12ihipStream_tbEUlT_E_NS1_11comp_targetILNS1_3genE2ELNS1_11target_archE906ELNS1_3gpuE6ELNS1_3repE0EEENS1_30default_config_static_selectorELNS0_4arch9wavefront6targetE0EEEvT1_ ; -- Begin function _ZN7rocprim17ROCPRIM_400000_NS6detail17trampoline_kernelINS0_14default_configENS1_35adjacent_difference_config_selectorILb1ElEEZNS1_24adjacent_difference_implIS3_Lb1ELb0EPlS7_ZN2at6native12_GLOBAL__N_124unique_dim_cuda_templateIN3c104HalfEEESt5tupleIJNS8_6TensorESF_SF_EERKSF_lbbbEUlllE1_EE10hipError_tPvRmT2_T3_mT4_P12ihipStream_tbEUlT_E_NS1_11comp_targetILNS1_3genE2ELNS1_11target_archE906ELNS1_3gpuE6ELNS1_3repE0EEENS1_30default_config_static_selectorELNS0_4arch9wavefront6targetE0EEEvT1_
	.p2align	8
	.type	_ZN7rocprim17ROCPRIM_400000_NS6detail17trampoline_kernelINS0_14default_configENS1_35adjacent_difference_config_selectorILb1ElEEZNS1_24adjacent_difference_implIS3_Lb1ELb0EPlS7_ZN2at6native12_GLOBAL__N_124unique_dim_cuda_templateIN3c104HalfEEESt5tupleIJNS8_6TensorESF_SF_EERKSF_lbbbEUlllE1_EE10hipError_tPvRmT2_T3_mT4_P12ihipStream_tbEUlT_E_NS1_11comp_targetILNS1_3genE2ELNS1_11target_archE906ELNS1_3gpuE6ELNS1_3repE0EEENS1_30default_config_static_selectorELNS0_4arch9wavefront6targetE0EEEvT1_,@function
_ZN7rocprim17ROCPRIM_400000_NS6detail17trampoline_kernelINS0_14default_configENS1_35adjacent_difference_config_selectorILb1ElEEZNS1_24adjacent_difference_implIS3_Lb1ELb0EPlS7_ZN2at6native12_GLOBAL__N_124unique_dim_cuda_templateIN3c104HalfEEESt5tupleIJNS8_6TensorESF_SF_EERKSF_lbbbEUlllE1_EE10hipError_tPvRmT2_T3_mT4_P12ihipStream_tbEUlT_E_NS1_11comp_targetILNS1_3genE2ELNS1_11target_archE906ELNS1_3gpuE6ELNS1_3repE0EEENS1_30default_config_static_selectorELNS0_4arch9wavefront6targetE0EEEvT1_: ; @_ZN7rocprim17ROCPRIM_400000_NS6detail17trampoline_kernelINS0_14default_configENS1_35adjacent_difference_config_selectorILb1ElEEZNS1_24adjacent_difference_implIS3_Lb1ELb0EPlS7_ZN2at6native12_GLOBAL__N_124unique_dim_cuda_templateIN3c104HalfEEESt5tupleIJNS8_6TensorESF_SF_EERKSF_lbbbEUlllE1_EE10hipError_tPvRmT2_T3_mT4_P12ihipStream_tbEUlT_E_NS1_11comp_targetILNS1_3genE2ELNS1_11target_archE906ELNS1_3gpuE6ELNS1_3repE0EEENS1_30default_config_static_selectorELNS0_4arch9wavefront6targetE0EEEvT1_
; %bb.0:
	.section	.rodata,"a",@progbits
	.p2align	6, 0x0
	.amdhsa_kernel _ZN7rocprim17ROCPRIM_400000_NS6detail17trampoline_kernelINS0_14default_configENS1_35adjacent_difference_config_selectorILb1ElEEZNS1_24adjacent_difference_implIS3_Lb1ELb0EPlS7_ZN2at6native12_GLOBAL__N_124unique_dim_cuda_templateIN3c104HalfEEESt5tupleIJNS8_6TensorESF_SF_EERKSF_lbbbEUlllE1_EE10hipError_tPvRmT2_T3_mT4_P12ihipStream_tbEUlT_E_NS1_11comp_targetILNS1_3genE2ELNS1_11target_archE906ELNS1_3gpuE6ELNS1_3repE0EEENS1_30default_config_static_selectorELNS0_4arch9wavefront6targetE0EEEvT1_
		.amdhsa_group_segment_fixed_size 0
		.amdhsa_private_segment_fixed_size 0
		.amdhsa_kernarg_size 64
		.amdhsa_user_sgpr_count 2
		.amdhsa_user_sgpr_dispatch_ptr 0
		.amdhsa_user_sgpr_queue_ptr 0
		.amdhsa_user_sgpr_kernarg_segment_ptr 1
		.amdhsa_user_sgpr_dispatch_id 0
		.amdhsa_user_sgpr_kernarg_preload_length 0
		.amdhsa_user_sgpr_kernarg_preload_offset 0
		.amdhsa_user_sgpr_private_segment_size 0
		.amdhsa_wavefront_size32 1
		.amdhsa_uses_dynamic_stack 0
		.amdhsa_enable_private_segment 0
		.amdhsa_system_sgpr_workgroup_id_x 1
		.amdhsa_system_sgpr_workgroup_id_y 0
		.amdhsa_system_sgpr_workgroup_id_z 0
		.amdhsa_system_sgpr_workgroup_info 0
		.amdhsa_system_vgpr_workitem_id 0
		.amdhsa_next_free_vgpr 1
		.amdhsa_next_free_sgpr 1
		.amdhsa_named_barrier_count 0
		.amdhsa_reserve_vcc 0
		.amdhsa_float_round_mode_32 0
		.amdhsa_float_round_mode_16_64 0
		.amdhsa_float_denorm_mode_32 3
		.amdhsa_float_denorm_mode_16_64 3
		.amdhsa_fp16_overflow 0
		.amdhsa_memory_ordered 1
		.amdhsa_forward_progress 1
		.amdhsa_inst_pref_size 0
		.amdhsa_round_robin_scheduling 0
		.amdhsa_exception_fp_ieee_invalid_op 0
		.amdhsa_exception_fp_denorm_src 0
		.amdhsa_exception_fp_ieee_div_zero 0
		.amdhsa_exception_fp_ieee_overflow 0
		.amdhsa_exception_fp_ieee_underflow 0
		.amdhsa_exception_fp_ieee_inexact 0
		.amdhsa_exception_int_div_zero 0
	.end_amdhsa_kernel
	.section	.text._ZN7rocprim17ROCPRIM_400000_NS6detail17trampoline_kernelINS0_14default_configENS1_35adjacent_difference_config_selectorILb1ElEEZNS1_24adjacent_difference_implIS3_Lb1ELb0EPlS7_ZN2at6native12_GLOBAL__N_124unique_dim_cuda_templateIN3c104HalfEEESt5tupleIJNS8_6TensorESF_SF_EERKSF_lbbbEUlllE1_EE10hipError_tPvRmT2_T3_mT4_P12ihipStream_tbEUlT_E_NS1_11comp_targetILNS1_3genE2ELNS1_11target_archE906ELNS1_3gpuE6ELNS1_3repE0EEENS1_30default_config_static_selectorELNS0_4arch9wavefront6targetE0EEEvT1_,"axG",@progbits,_ZN7rocprim17ROCPRIM_400000_NS6detail17trampoline_kernelINS0_14default_configENS1_35adjacent_difference_config_selectorILb1ElEEZNS1_24adjacent_difference_implIS3_Lb1ELb0EPlS7_ZN2at6native12_GLOBAL__N_124unique_dim_cuda_templateIN3c104HalfEEESt5tupleIJNS8_6TensorESF_SF_EERKSF_lbbbEUlllE1_EE10hipError_tPvRmT2_T3_mT4_P12ihipStream_tbEUlT_E_NS1_11comp_targetILNS1_3genE2ELNS1_11target_archE906ELNS1_3gpuE6ELNS1_3repE0EEENS1_30default_config_static_selectorELNS0_4arch9wavefront6targetE0EEEvT1_,comdat
.Lfunc_end1294:
	.size	_ZN7rocprim17ROCPRIM_400000_NS6detail17trampoline_kernelINS0_14default_configENS1_35adjacent_difference_config_selectorILb1ElEEZNS1_24adjacent_difference_implIS3_Lb1ELb0EPlS7_ZN2at6native12_GLOBAL__N_124unique_dim_cuda_templateIN3c104HalfEEESt5tupleIJNS8_6TensorESF_SF_EERKSF_lbbbEUlllE1_EE10hipError_tPvRmT2_T3_mT4_P12ihipStream_tbEUlT_E_NS1_11comp_targetILNS1_3genE2ELNS1_11target_archE906ELNS1_3gpuE6ELNS1_3repE0EEENS1_30default_config_static_selectorELNS0_4arch9wavefront6targetE0EEEvT1_, .Lfunc_end1294-_ZN7rocprim17ROCPRIM_400000_NS6detail17trampoline_kernelINS0_14default_configENS1_35adjacent_difference_config_selectorILb1ElEEZNS1_24adjacent_difference_implIS3_Lb1ELb0EPlS7_ZN2at6native12_GLOBAL__N_124unique_dim_cuda_templateIN3c104HalfEEESt5tupleIJNS8_6TensorESF_SF_EERKSF_lbbbEUlllE1_EE10hipError_tPvRmT2_T3_mT4_P12ihipStream_tbEUlT_E_NS1_11comp_targetILNS1_3genE2ELNS1_11target_archE906ELNS1_3gpuE6ELNS1_3repE0EEENS1_30default_config_static_selectorELNS0_4arch9wavefront6targetE0EEEvT1_
                                        ; -- End function
	.set _ZN7rocprim17ROCPRIM_400000_NS6detail17trampoline_kernelINS0_14default_configENS1_35adjacent_difference_config_selectorILb1ElEEZNS1_24adjacent_difference_implIS3_Lb1ELb0EPlS7_ZN2at6native12_GLOBAL__N_124unique_dim_cuda_templateIN3c104HalfEEESt5tupleIJNS8_6TensorESF_SF_EERKSF_lbbbEUlllE1_EE10hipError_tPvRmT2_T3_mT4_P12ihipStream_tbEUlT_E_NS1_11comp_targetILNS1_3genE2ELNS1_11target_archE906ELNS1_3gpuE6ELNS1_3repE0EEENS1_30default_config_static_selectorELNS0_4arch9wavefront6targetE0EEEvT1_.num_vgpr, 0
	.set _ZN7rocprim17ROCPRIM_400000_NS6detail17trampoline_kernelINS0_14default_configENS1_35adjacent_difference_config_selectorILb1ElEEZNS1_24adjacent_difference_implIS3_Lb1ELb0EPlS7_ZN2at6native12_GLOBAL__N_124unique_dim_cuda_templateIN3c104HalfEEESt5tupleIJNS8_6TensorESF_SF_EERKSF_lbbbEUlllE1_EE10hipError_tPvRmT2_T3_mT4_P12ihipStream_tbEUlT_E_NS1_11comp_targetILNS1_3genE2ELNS1_11target_archE906ELNS1_3gpuE6ELNS1_3repE0EEENS1_30default_config_static_selectorELNS0_4arch9wavefront6targetE0EEEvT1_.num_agpr, 0
	.set _ZN7rocprim17ROCPRIM_400000_NS6detail17trampoline_kernelINS0_14default_configENS1_35adjacent_difference_config_selectorILb1ElEEZNS1_24adjacent_difference_implIS3_Lb1ELb0EPlS7_ZN2at6native12_GLOBAL__N_124unique_dim_cuda_templateIN3c104HalfEEESt5tupleIJNS8_6TensorESF_SF_EERKSF_lbbbEUlllE1_EE10hipError_tPvRmT2_T3_mT4_P12ihipStream_tbEUlT_E_NS1_11comp_targetILNS1_3genE2ELNS1_11target_archE906ELNS1_3gpuE6ELNS1_3repE0EEENS1_30default_config_static_selectorELNS0_4arch9wavefront6targetE0EEEvT1_.numbered_sgpr, 0
	.set _ZN7rocprim17ROCPRIM_400000_NS6detail17trampoline_kernelINS0_14default_configENS1_35adjacent_difference_config_selectorILb1ElEEZNS1_24adjacent_difference_implIS3_Lb1ELb0EPlS7_ZN2at6native12_GLOBAL__N_124unique_dim_cuda_templateIN3c104HalfEEESt5tupleIJNS8_6TensorESF_SF_EERKSF_lbbbEUlllE1_EE10hipError_tPvRmT2_T3_mT4_P12ihipStream_tbEUlT_E_NS1_11comp_targetILNS1_3genE2ELNS1_11target_archE906ELNS1_3gpuE6ELNS1_3repE0EEENS1_30default_config_static_selectorELNS0_4arch9wavefront6targetE0EEEvT1_.num_named_barrier, 0
	.set _ZN7rocprim17ROCPRIM_400000_NS6detail17trampoline_kernelINS0_14default_configENS1_35adjacent_difference_config_selectorILb1ElEEZNS1_24adjacent_difference_implIS3_Lb1ELb0EPlS7_ZN2at6native12_GLOBAL__N_124unique_dim_cuda_templateIN3c104HalfEEESt5tupleIJNS8_6TensorESF_SF_EERKSF_lbbbEUlllE1_EE10hipError_tPvRmT2_T3_mT4_P12ihipStream_tbEUlT_E_NS1_11comp_targetILNS1_3genE2ELNS1_11target_archE906ELNS1_3gpuE6ELNS1_3repE0EEENS1_30default_config_static_selectorELNS0_4arch9wavefront6targetE0EEEvT1_.private_seg_size, 0
	.set _ZN7rocprim17ROCPRIM_400000_NS6detail17trampoline_kernelINS0_14default_configENS1_35adjacent_difference_config_selectorILb1ElEEZNS1_24adjacent_difference_implIS3_Lb1ELb0EPlS7_ZN2at6native12_GLOBAL__N_124unique_dim_cuda_templateIN3c104HalfEEESt5tupleIJNS8_6TensorESF_SF_EERKSF_lbbbEUlllE1_EE10hipError_tPvRmT2_T3_mT4_P12ihipStream_tbEUlT_E_NS1_11comp_targetILNS1_3genE2ELNS1_11target_archE906ELNS1_3gpuE6ELNS1_3repE0EEENS1_30default_config_static_selectorELNS0_4arch9wavefront6targetE0EEEvT1_.uses_vcc, 0
	.set _ZN7rocprim17ROCPRIM_400000_NS6detail17trampoline_kernelINS0_14default_configENS1_35adjacent_difference_config_selectorILb1ElEEZNS1_24adjacent_difference_implIS3_Lb1ELb0EPlS7_ZN2at6native12_GLOBAL__N_124unique_dim_cuda_templateIN3c104HalfEEESt5tupleIJNS8_6TensorESF_SF_EERKSF_lbbbEUlllE1_EE10hipError_tPvRmT2_T3_mT4_P12ihipStream_tbEUlT_E_NS1_11comp_targetILNS1_3genE2ELNS1_11target_archE906ELNS1_3gpuE6ELNS1_3repE0EEENS1_30default_config_static_selectorELNS0_4arch9wavefront6targetE0EEEvT1_.uses_flat_scratch, 0
	.set _ZN7rocprim17ROCPRIM_400000_NS6detail17trampoline_kernelINS0_14default_configENS1_35adjacent_difference_config_selectorILb1ElEEZNS1_24adjacent_difference_implIS3_Lb1ELb0EPlS7_ZN2at6native12_GLOBAL__N_124unique_dim_cuda_templateIN3c104HalfEEESt5tupleIJNS8_6TensorESF_SF_EERKSF_lbbbEUlllE1_EE10hipError_tPvRmT2_T3_mT4_P12ihipStream_tbEUlT_E_NS1_11comp_targetILNS1_3genE2ELNS1_11target_archE906ELNS1_3gpuE6ELNS1_3repE0EEENS1_30default_config_static_selectorELNS0_4arch9wavefront6targetE0EEEvT1_.has_dyn_sized_stack, 0
	.set _ZN7rocprim17ROCPRIM_400000_NS6detail17trampoline_kernelINS0_14default_configENS1_35adjacent_difference_config_selectorILb1ElEEZNS1_24adjacent_difference_implIS3_Lb1ELb0EPlS7_ZN2at6native12_GLOBAL__N_124unique_dim_cuda_templateIN3c104HalfEEESt5tupleIJNS8_6TensorESF_SF_EERKSF_lbbbEUlllE1_EE10hipError_tPvRmT2_T3_mT4_P12ihipStream_tbEUlT_E_NS1_11comp_targetILNS1_3genE2ELNS1_11target_archE906ELNS1_3gpuE6ELNS1_3repE0EEENS1_30default_config_static_selectorELNS0_4arch9wavefront6targetE0EEEvT1_.has_recursion, 0
	.set _ZN7rocprim17ROCPRIM_400000_NS6detail17trampoline_kernelINS0_14default_configENS1_35adjacent_difference_config_selectorILb1ElEEZNS1_24adjacent_difference_implIS3_Lb1ELb0EPlS7_ZN2at6native12_GLOBAL__N_124unique_dim_cuda_templateIN3c104HalfEEESt5tupleIJNS8_6TensorESF_SF_EERKSF_lbbbEUlllE1_EE10hipError_tPvRmT2_T3_mT4_P12ihipStream_tbEUlT_E_NS1_11comp_targetILNS1_3genE2ELNS1_11target_archE906ELNS1_3gpuE6ELNS1_3repE0EEENS1_30default_config_static_selectorELNS0_4arch9wavefront6targetE0EEEvT1_.has_indirect_call, 0
	.section	.AMDGPU.csdata,"",@progbits
; Kernel info:
; codeLenInByte = 0
; TotalNumSgprs: 0
; NumVgprs: 0
; ScratchSize: 0
; MemoryBound: 0
; FloatMode: 240
; IeeeMode: 1
; LDSByteSize: 0 bytes/workgroup (compile time only)
; SGPRBlocks: 0
; VGPRBlocks: 0
; NumSGPRsForWavesPerEU: 1
; NumVGPRsForWavesPerEU: 1
; NamedBarCnt: 0
; Occupancy: 16
; WaveLimiterHint : 0
; COMPUTE_PGM_RSRC2:SCRATCH_EN: 0
; COMPUTE_PGM_RSRC2:USER_SGPR: 2
; COMPUTE_PGM_RSRC2:TRAP_HANDLER: 0
; COMPUTE_PGM_RSRC2:TGID_X_EN: 1
; COMPUTE_PGM_RSRC2:TGID_Y_EN: 0
; COMPUTE_PGM_RSRC2:TGID_Z_EN: 0
; COMPUTE_PGM_RSRC2:TIDIG_COMP_CNT: 0
	.section	.text._ZN7rocprim17ROCPRIM_400000_NS6detail17trampoline_kernelINS0_14default_configENS1_35adjacent_difference_config_selectorILb1ElEEZNS1_24adjacent_difference_implIS3_Lb1ELb0EPlS7_ZN2at6native12_GLOBAL__N_124unique_dim_cuda_templateIN3c104HalfEEESt5tupleIJNS8_6TensorESF_SF_EERKSF_lbbbEUlllE1_EE10hipError_tPvRmT2_T3_mT4_P12ihipStream_tbEUlT_E_NS1_11comp_targetILNS1_3genE9ELNS1_11target_archE1100ELNS1_3gpuE3ELNS1_3repE0EEENS1_30default_config_static_selectorELNS0_4arch9wavefront6targetE0EEEvT1_,"axG",@progbits,_ZN7rocprim17ROCPRIM_400000_NS6detail17trampoline_kernelINS0_14default_configENS1_35adjacent_difference_config_selectorILb1ElEEZNS1_24adjacent_difference_implIS3_Lb1ELb0EPlS7_ZN2at6native12_GLOBAL__N_124unique_dim_cuda_templateIN3c104HalfEEESt5tupleIJNS8_6TensorESF_SF_EERKSF_lbbbEUlllE1_EE10hipError_tPvRmT2_T3_mT4_P12ihipStream_tbEUlT_E_NS1_11comp_targetILNS1_3genE9ELNS1_11target_archE1100ELNS1_3gpuE3ELNS1_3repE0EEENS1_30default_config_static_selectorELNS0_4arch9wavefront6targetE0EEEvT1_,comdat
	.globl	_ZN7rocprim17ROCPRIM_400000_NS6detail17trampoline_kernelINS0_14default_configENS1_35adjacent_difference_config_selectorILb1ElEEZNS1_24adjacent_difference_implIS3_Lb1ELb0EPlS7_ZN2at6native12_GLOBAL__N_124unique_dim_cuda_templateIN3c104HalfEEESt5tupleIJNS8_6TensorESF_SF_EERKSF_lbbbEUlllE1_EE10hipError_tPvRmT2_T3_mT4_P12ihipStream_tbEUlT_E_NS1_11comp_targetILNS1_3genE9ELNS1_11target_archE1100ELNS1_3gpuE3ELNS1_3repE0EEENS1_30default_config_static_selectorELNS0_4arch9wavefront6targetE0EEEvT1_ ; -- Begin function _ZN7rocprim17ROCPRIM_400000_NS6detail17trampoline_kernelINS0_14default_configENS1_35adjacent_difference_config_selectorILb1ElEEZNS1_24adjacent_difference_implIS3_Lb1ELb0EPlS7_ZN2at6native12_GLOBAL__N_124unique_dim_cuda_templateIN3c104HalfEEESt5tupleIJNS8_6TensorESF_SF_EERKSF_lbbbEUlllE1_EE10hipError_tPvRmT2_T3_mT4_P12ihipStream_tbEUlT_E_NS1_11comp_targetILNS1_3genE9ELNS1_11target_archE1100ELNS1_3gpuE3ELNS1_3repE0EEENS1_30default_config_static_selectorELNS0_4arch9wavefront6targetE0EEEvT1_
	.p2align	8
	.type	_ZN7rocprim17ROCPRIM_400000_NS6detail17trampoline_kernelINS0_14default_configENS1_35adjacent_difference_config_selectorILb1ElEEZNS1_24adjacent_difference_implIS3_Lb1ELb0EPlS7_ZN2at6native12_GLOBAL__N_124unique_dim_cuda_templateIN3c104HalfEEESt5tupleIJNS8_6TensorESF_SF_EERKSF_lbbbEUlllE1_EE10hipError_tPvRmT2_T3_mT4_P12ihipStream_tbEUlT_E_NS1_11comp_targetILNS1_3genE9ELNS1_11target_archE1100ELNS1_3gpuE3ELNS1_3repE0EEENS1_30default_config_static_selectorELNS0_4arch9wavefront6targetE0EEEvT1_,@function
_ZN7rocprim17ROCPRIM_400000_NS6detail17trampoline_kernelINS0_14default_configENS1_35adjacent_difference_config_selectorILb1ElEEZNS1_24adjacent_difference_implIS3_Lb1ELb0EPlS7_ZN2at6native12_GLOBAL__N_124unique_dim_cuda_templateIN3c104HalfEEESt5tupleIJNS8_6TensorESF_SF_EERKSF_lbbbEUlllE1_EE10hipError_tPvRmT2_T3_mT4_P12ihipStream_tbEUlT_E_NS1_11comp_targetILNS1_3genE9ELNS1_11target_archE1100ELNS1_3gpuE3ELNS1_3repE0EEENS1_30default_config_static_selectorELNS0_4arch9wavefront6targetE0EEEvT1_: ; @_ZN7rocprim17ROCPRIM_400000_NS6detail17trampoline_kernelINS0_14default_configENS1_35adjacent_difference_config_selectorILb1ElEEZNS1_24adjacent_difference_implIS3_Lb1ELb0EPlS7_ZN2at6native12_GLOBAL__N_124unique_dim_cuda_templateIN3c104HalfEEESt5tupleIJNS8_6TensorESF_SF_EERKSF_lbbbEUlllE1_EE10hipError_tPvRmT2_T3_mT4_P12ihipStream_tbEUlT_E_NS1_11comp_targetILNS1_3genE9ELNS1_11target_archE1100ELNS1_3gpuE3ELNS1_3repE0EEENS1_30default_config_static_selectorELNS0_4arch9wavefront6targetE0EEEvT1_
; %bb.0:
	.section	.rodata,"a",@progbits
	.p2align	6, 0x0
	.amdhsa_kernel _ZN7rocprim17ROCPRIM_400000_NS6detail17trampoline_kernelINS0_14default_configENS1_35adjacent_difference_config_selectorILb1ElEEZNS1_24adjacent_difference_implIS3_Lb1ELb0EPlS7_ZN2at6native12_GLOBAL__N_124unique_dim_cuda_templateIN3c104HalfEEESt5tupleIJNS8_6TensorESF_SF_EERKSF_lbbbEUlllE1_EE10hipError_tPvRmT2_T3_mT4_P12ihipStream_tbEUlT_E_NS1_11comp_targetILNS1_3genE9ELNS1_11target_archE1100ELNS1_3gpuE3ELNS1_3repE0EEENS1_30default_config_static_selectorELNS0_4arch9wavefront6targetE0EEEvT1_
		.amdhsa_group_segment_fixed_size 0
		.amdhsa_private_segment_fixed_size 0
		.amdhsa_kernarg_size 64
		.amdhsa_user_sgpr_count 2
		.amdhsa_user_sgpr_dispatch_ptr 0
		.amdhsa_user_sgpr_queue_ptr 0
		.amdhsa_user_sgpr_kernarg_segment_ptr 1
		.amdhsa_user_sgpr_dispatch_id 0
		.amdhsa_user_sgpr_kernarg_preload_length 0
		.amdhsa_user_sgpr_kernarg_preload_offset 0
		.amdhsa_user_sgpr_private_segment_size 0
		.amdhsa_wavefront_size32 1
		.amdhsa_uses_dynamic_stack 0
		.amdhsa_enable_private_segment 0
		.amdhsa_system_sgpr_workgroup_id_x 1
		.amdhsa_system_sgpr_workgroup_id_y 0
		.amdhsa_system_sgpr_workgroup_id_z 0
		.amdhsa_system_sgpr_workgroup_info 0
		.amdhsa_system_vgpr_workitem_id 0
		.amdhsa_next_free_vgpr 1
		.amdhsa_next_free_sgpr 1
		.amdhsa_named_barrier_count 0
		.amdhsa_reserve_vcc 0
		.amdhsa_float_round_mode_32 0
		.amdhsa_float_round_mode_16_64 0
		.amdhsa_float_denorm_mode_32 3
		.amdhsa_float_denorm_mode_16_64 3
		.amdhsa_fp16_overflow 0
		.amdhsa_memory_ordered 1
		.amdhsa_forward_progress 1
		.amdhsa_inst_pref_size 0
		.amdhsa_round_robin_scheduling 0
		.amdhsa_exception_fp_ieee_invalid_op 0
		.amdhsa_exception_fp_denorm_src 0
		.amdhsa_exception_fp_ieee_div_zero 0
		.amdhsa_exception_fp_ieee_overflow 0
		.amdhsa_exception_fp_ieee_underflow 0
		.amdhsa_exception_fp_ieee_inexact 0
		.amdhsa_exception_int_div_zero 0
	.end_amdhsa_kernel
	.section	.text._ZN7rocprim17ROCPRIM_400000_NS6detail17trampoline_kernelINS0_14default_configENS1_35adjacent_difference_config_selectorILb1ElEEZNS1_24adjacent_difference_implIS3_Lb1ELb0EPlS7_ZN2at6native12_GLOBAL__N_124unique_dim_cuda_templateIN3c104HalfEEESt5tupleIJNS8_6TensorESF_SF_EERKSF_lbbbEUlllE1_EE10hipError_tPvRmT2_T3_mT4_P12ihipStream_tbEUlT_E_NS1_11comp_targetILNS1_3genE9ELNS1_11target_archE1100ELNS1_3gpuE3ELNS1_3repE0EEENS1_30default_config_static_selectorELNS0_4arch9wavefront6targetE0EEEvT1_,"axG",@progbits,_ZN7rocprim17ROCPRIM_400000_NS6detail17trampoline_kernelINS0_14default_configENS1_35adjacent_difference_config_selectorILb1ElEEZNS1_24adjacent_difference_implIS3_Lb1ELb0EPlS7_ZN2at6native12_GLOBAL__N_124unique_dim_cuda_templateIN3c104HalfEEESt5tupleIJNS8_6TensorESF_SF_EERKSF_lbbbEUlllE1_EE10hipError_tPvRmT2_T3_mT4_P12ihipStream_tbEUlT_E_NS1_11comp_targetILNS1_3genE9ELNS1_11target_archE1100ELNS1_3gpuE3ELNS1_3repE0EEENS1_30default_config_static_selectorELNS0_4arch9wavefront6targetE0EEEvT1_,comdat
.Lfunc_end1295:
	.size	_ZN7rocprim17ROCPRIM_400000_NS6detail17trampoline_kernelINS0_14default_configENS1_35adjacent_difference_config_selectorILb1ElEEZNS1_24adjacent_difference_implIS3_Lb1ELb0EPlS7_ZN2at6native12_GLOBAL__N_124unique_dim_cuda_templateIN3c104HalfEEESt5tupleIJNS8_6TensorESF_SF_EERKSF_lbbbEUlllE1_EE10hipError_tPvRmT2_T3_mT4_P12ihipStream_tbEUlT_E_NS1_11comp_targetILNS1_3genE9ELNS1_11target_archE1100ELNS1_3gpuE3ELNS1_3repE0EEENS1_30default_config_static_selectorELNS0_4arch9wavefront6targetE0EEEvT1_, .Lfunc_end1295-_ZN7rocprim17ROCPRIM_400000_NS6detail17trampoline_kernelINS0_14default_configENS1_35adjacent_difference_config_selectorILb1ElEEZNS1_24adjacent_difference_implIS3_Lb1ELb0EPlS7_ZN2at6native12_GLOBAL__N_124unique_dim_cuda_templateIN3c104HalfEEESt5tupleIJNS8_6TensorESF_SF_EERKSF_lbbbEUlllE1_EE10hipError_tPvRmT2_T3_mT4_P12ihipStream_tbEUlT_E_NS1_11comp_targetILNS1_3genE9ELNS1_11target_archE1100ELNS1_3gpuE3ELNS1_3repE0EEENS1_30default_config_static_selectorELNS0_4arch9wavefront6targetE0EEEvT1_
                                        ; -- End function
	.set _ZN7rocprim17ROCPRIM_400000_NS6detail17trampoline_kernelINS0_14default_configENS1_35adjacent_difference_config_selectorILb1ElEEZNS1_24adjacent_difference_implIS3_Lb1ELb0EPlS7_ZN2at6native12_GLOBAL__N_124unique_dim_cuda_templateIN3c104HalfEEESt5tupleIJNS8_6TensorESF_SF_EERKSF_lbbbEUlllE1_EE10hipError_tPvRmT2_T3_mT4_P12ihipStream_tbEUlT_E_NS1_11comp_targetILNS1_3genE9ELNS1_11target_archE1100ELNS1_3gpuE3ELNS1_3repE0EEENS1_30default_config_static_selectorELNS0_4arch9wavefront6targetE0EEEvT1_.num_vgpr, 0
	.set _ZN7rocprim17ROCPRIM_400000_NS6detail17trampoline_kernelINS0_14default_configENS1_35adjacent_difference_config_selectorILb1ElEEZNS1_24adjacent_difference_implIS3_Lb1ELb0EPlS7_ZN2at6native12_GLOBAL__N_124unique_dim_cuda_templateIN3c104HalfEEESt5tupleIJNS8_6TensorESF_SF_EERKSF_lbbbEUlllE1_EE10hipError_tPvRmT2_T3_mT4_P12ihipStream_tbEUlT_E_NS1_11comp_targetILNS1_3genE9ELNS1_11target_archE1100ELNS1_3gpuE3ELNS1_3repE0EEENS1_30default_config_static_selectorELNS0_4arch9wavefront6targetE0EEEvT1_.num_agpr, 0
	.set _ZN7rocprim17ROCPRIM_400000_NS6detail17trampoline_kernelINS0_14default_configENS1_35adjacent_difference_config_selectorILb1ElEEZNS1_24adjacent_difference_implIS3_Lb1ELb0EPlS7_ZN2at6native12_GLOBAL__N_124unique_dim_cuda_templateIN3c104HalfEEESt5tupleIJNS8_6TensorESF_SF_EERKSF_lbbbEUlllE1_EE10hipError_tPvRmT2_T3_mT4_P12ihipStream_tbEUlT_E_NS1_11comp_targetILNS1_3genE9ELNS1_11target_archE1100ELNS1_3gpuE3ELNS1_3repE0EEENS1_30default_config_static_selectorELNS0_4arch9wavefront6targetE0EEEvT1_.numbered_sgpr, 0
	.set _ZN7rocprim17ROCPRIM_400000_NS6detail17trampoline_kernelINS0_14default_configENS1_35adjacent_difference_config_selectorILb1ElEEZNS1_24adjacent_difference_implIS3_Lb1ELb0EPlS7_ZN2at6native12_GLOBAL__N_124unique_dim_cuda_templateIN3c104HalfEEESt5tupleIJNS8_6TensorESF_SF_EERKSF_lbbbEUlllE1_EE10hipError_tPvRmT2_T3_mT4_P12ihipStream_tbEUlT_E_NS1_11comp_targetILNS1_3genE9ELNS1_11target_archE1100ELNS1_3gpuE3ELNS1_3repE0EEENS1_30default_config_static_selectorELNS0_4arch9wavefront6targetE0EEEvT1_.num_named_barrier, 0
	.set _ZN7rocprim17ROCPRIM_400000_NS6detail17trampoline_kernelINS0_14default_configENS1_35adjacent_difference_config_selectorILb1ElEEZNS1_24adjacent_difference_implIS3_Lb1ELb0EPlS7_ZN2at6native12_GLOBAL__N_124unique_dim_cuda_templateIN3c104HalfEEESt5tupleIJNS8_6TensorESF_SF_EERKSF_lbbbEUlllE1_EE10hipError_tPvRmT2_T3_mT4_P12ihipStream_tbEUlT_E_NS1_11comp_targetILNS1_3genE9ELNS1_11target_archE1100ELNS1_3gpuE3ELNS1_3repE0EEENS1_30default_config_static_selectorELNS0_4arch9wavefront6targetE0EEEvT1_.private_seg_size, 0
	.set _ZN7rocprim17ROCPRIM_400000_NS6detail17trampoline_kernelINS0_14default_configENS1_35adjacent_difference_config_selectorILb1ElEEZNS1_24adjacent_difference_implIS3_Lb1ELb0EPlS7_ZN2at6native12_GLOBAL__N_124unique_dim_cuda_templateIN3c104HalfEEESt5tupleIJNS8_6TensorESF_SF_EERKSF_lbbbEUlllE1_EE10hipError_tPvRmT2_T3_mT4_P12ihipStream_tbEUlT_E_NS1_11comp_targetILNS1_3genE9ELNS1_11target_archE1100ELNS1_3gpuE3ELNS1_3repE0EEENS1_30default_config_static_selectorELNS0_4arch9wavefront6targetE0EEEvT1_.uses_vcc, 0
	.set _ZN7rocprim17ROCPRIM_400000_NS6detail17trampoline_kernelINS0_14default_configENS1_35adjacent_difference_config_selectorILb1ElEEZNS1_24adjacent_difference_implIS3_Lb1ELb0EPlS7_ZN2at6native12_GLOBAL__N_124unique_dim_cuda_templateIN3c104HalfEEESt5tupleIJNS8_6TensorESF_SF_EERKSF_lbbbEUlllE1_EE10hipError_tPvRmT2_T3_mT4_P12ihipStream_tbEUlT_E_NS1_11comp_targetILNS1_3genE9ELNS1_11target_archE1100ELNS1_3gpuE3ELNS1_3repE0EEENS1_30default_config_static_selectorELNS0_4arch9wavefront6targetE0EEEvT1_.uses_flat_scratch, 0
	.set _ZN7rocprim17ROCPRIM_400000_NS6detail17trampoline_kernelINS0_14default_configENS1_35adjacent_difference_config_selectorILb1ElEEZNS1_24adjacent_difference_implIS3_Lb1ELb0EPlS7_ZN2at6native12_GLOBAL__N_124unique_dim_cuda_templateIN3c104HalfEEESt5tupleIJNS8_6TensorESF_SF_EERKSF_lbbbEUlllE1_EE10hipError_tPvRmT2_T3_mT4_P12ihipStream_tbEUlT_E_NS1_11comp_targetILNS1_3genE9ELNS1_11target_archE1100ELNS1_3gpuE3ELNS1_3repE0EEENS1_30default_config_static_selectorELNS0_4arch9wavefront6targetE0EEEvT1_.has_dyn_sized_stack, 0
	.set _ZN7rocprim17ROCPRIM_400000_NS6detail17trampoline_kernelINS0_14default_configENS1_35adjacent_difference_config_selectorILb1ElEEZNS1_24adjacent_difference_implIS3_Lb1ELb0EPlS7_ZN2at6native12_GLOBAL__N_124unique_dim_cuda_templateIN3c104HalfEEESt5tupleIJNS8_6TensorESF_SF_EERKSF_lbbbEUlllE1_EE10hipError_tPvRmT2_T3_mT4_P12ihipStream_tbEUlT_E_NS1_11comp_targetILNS1_3genE9ELNS1_11target_archE1100ELNS1_3gpuE3ELNS1_3repE0EEENS1_30default_config_static_selectorELNS0_4arch9wavefront6targetE0EEEvT1_.has_recursion, 0
	.set _ZN7rocprim17ROCPRIM_400000_NS6detail17trampoline_kernelINS0_14default_configENS1_35adjacent_difference_config_selectorILb1ElEEZNS1_24adjacent_difference_implIS3_Lb1ELb0EPlS7_ZN2at6native12_GLOBAL__N_124unique_dim_cuda_templateIN3c104HalfEEESt5tupleIJNS8_6TensorESF_SF_EERKSF_lbbbEUlllE1_EE10hipError_tPvRmT2_T3_mT4_P12ihipStream_tbEUlT_E_NS1_11comp_targetILNS1_3genE9ELNS1_11target_archE1100ELNS1_3gpuE3ELNS1_3repE0EEENS1_30default_config_static_selectorELNS0_4arch9wavefront6targetE0EEEvT1_.has_indirect_call, 0
	.section	.AMDGPU.csdata,"",@progbits
; Kernel info:
; codeLenInByte = 0
; TotalNumSgprs: 0
; NumVgprs: 0
; ScratchSize: 0
; MemoryBound: 0
; FloatMode: 240
; IeeeMode: 1
; LDSByteSize: 0 bytes/workgroup (compile time only)
; SGPRBlocks: 0
; VGPRBlocks: 0
; NumSGPRsForWavesPerEU: 1
; NumVGPRsForWavesPerEU: 1
; NamedBarCnt: 0
; Occupancy: 16
; WaveLimiterHint : 0
; COMPUTE_PGM_RSRC2:SCRATCH_EN: 0
; COMPUTE_PGM_RSRC2:USER_SGPR: 2
; COMPUTE_PGM_RSRC2:TRAP_HANDLER: 0
; COMPUTE_PGM_RSRC2:TGID_X_EN: 1
; COMPUTE_PGM_RSRC2:TGID_Y_EN: 0
; COMPUTE_PGM_RSRC2:TGID_Z_EN: 0
; COMPUTE_PGM_RSRC2:TIDIG_COMP_CNT: 0
	.section	.text._ZN7rocprim17ROCPRIM_400000_NS6detail17trampoline_kernelINS0_14default_configENS1_35adjacent_difference_config_selectorILb1ElEEZNS1_24adjacent_difference_implIS3_Lb1ELb0EPlS7_ZN2at6native12_GLOBAL__N_124unique_dim_cuda_templateIN3c104HalfEEESt5tupleIJNS8_6TensorESF_SF_EERKSF_lbbbEUlllE1_EE10hipError_tPvRmT2_T3_mT4_P12ihipStream_tbEUlT_E_NS1_11comp_targetILNS1_3genE8ELNS1_11target_archE1030ELNS1_3gpuE2ELNS1_3repE0EEENS1_30default_config_static_selectorELNS0_4arch9wavefront6targetE0EEEvT1_,"axG",@progbits,_ZN7rocprim17ROCPRIM_400000_NS6detail17trampoline_kernelINS0_14default_configENS1_35adjacent_difference_config_selectorILb1ElEEZNS1_24adjacent_difference_implIS3_Lb1ELb0EPlS7_ZN2at6native12_GLOBAL__N_124unique_dim_cuda_templateIN3c104HalfEEESt5tupleIJNS8_6TensorESF_SF_EERKSF_lbbbEUlllE1_EE10hipError_tPvRmT2_T3_mT4_P12ihipStream_tbEUlT_E_NS1_11comp_targetILNS1_3genE8ELNS1_11target_archE1030ELNS1_3gpuE2ELNS1_3repE0EEENS1_30default_config_static_selectorELNS0_4arch9wavefront6targetE0EEEvT1_,comdat
	.globl	_ZN7rocprim17ROCPRIM_400000_NS6detail17trampoline_kernelINS0_14default_configENS1_35adjacent_difference_config_selectorILb1ElEEZNS1_24adjacent_difference_implIS3_Lb1ELb0EPlS7_ZN2at6native12_GLOBAL__N_124unique_dim_cuda_templateIN3c104HalfEEESt5tupleIJNS8_6TensorESF_SF_EERKSF_lbbbEUlllE1_EE10hipError_tPvRmT2_T3_mT4_P12ihipStream_tbEUlT_E_NS1_11comp_targetILNS1_3genE8ELNS1_11target_archE1030ELNS1_3gpuE2ELNS1_3repE0EEENS1_30default_config_static_selectorELNS0_4arch9wavefront6targetE0EEEvT1_ ; -- Begin function _ZN7rocprim17ROCPRIM_400000_NS6detail17trampoline_kernelINS0_14default_configENS1_35adjacent_difference_config_selectorILb1ElEEZNS1_24adjacent_difference_implIS3_Lb1ELb0EPlS7_ZN2at6native12_GLOBAL__N_124unique_dim_cuda_templateIN3c104HalfEEESt5tupleIJNS8_6TensorESF_SF_EERKSF_lbbbEUlllE1_EE10hipError_tPvRmT2_T3_mT4_P12ihipStream_tbEUlT_E_NS1_11comp_targetILNS1_3genE8ELNS1_11target_archE1030ELNS1_3gpuE2ELNS1_3repE0EEENS1_30default_config_static_selectorELNS0_4arch9wavefront6targetE0EEEvT1_
	.p2align	8
	.type	_ZN7rocprim17ROCPRIM_400000_NS6detail17trampoline_kernelINS0_14default_configENS1_35adjacent_difference_config_selectorILb1ElEEZNS1_24adjacent_difference_implIS3_Lb1ELb0EPlS7_ZN2at6native12_GLOBAL__N_124unique_dim_cuda_templateIN3c104HalfEEESt5tupleIJNS8_6TensorESF_SF_EERKSF_lbbbEUlllE1_EE10hipError_tPvRmT2_T3_mT4_P12ihipStream_tbEUlT_E_NS1_11comp_targetILNS1_3genE8ELNS1_11target_archE1030ELNS1_3gpuE2ELNS1_3repE0EEENS1_30default_config_static_selectorELNS0_4arch9wavefront6targetE0EEEvT1_,@function
_ZN7rocprim17ROCPRIM_400000_NS6detail17trampoline_kernelINS0_14default_configENS1_35adjacent_difference_config_selectorILb1ElEEZNS1_24adjacent_difference_implIS3_Lb1ELb0EPlS7_ZN2at6native12_GLOBAL__N_124unique_dim_cuda_templateIN3c104HalfEEESt5tupleIJNS8_6TensorESF_SF_EERKSF_lbbbEUlllE1_EE10hipError_tPvRmT2_T3_mT4_P12ihipStream_tbEUlT_E_NS1_11comp_targetILNS1_3genE8ELNS1_11target_archE1030ELNS1_3gpuE2ELNS1_3repE0EEENS1_30default_config_static_selectorELNS0_4arch9wavefront6targetE0EEEvT1_: ; @_ZN7rocprim17ROCPRIM_400000_NS6detail17trampoline_kernelINS0_14default_configENS1_35adjacent_difference_config_selectorILb1ElEEZNS1_24adjacent_difference_implIS3_Lb1ELb0EPlS7_ZN2at6native12_GLOBAL__N_124unique_dim_cuda_templateIN3c104HalfEEESt5tupleIJNS8_6TensorESF_SF_EERKSF_lbbbEUlllE1_EE10hipError_tPvRmT2_T3_mT4_P12ihipStream_tbEUlT_E_NS1_11comp_targetILNS1_3genE8ELNS1_11target_archE1030ELNS1_3gpuE2ELNS1_3repE0EEENS1_30default_config_static_selectorELNS0_4arch9wavefront6targetE0EEEvT1_
; %bb.0:
	.section	.rodata,"a",@progbits
	.p2align	6, 0x0
	.amdhsa_kernel _ZN7rocprim17ROCPRIM_400000_NS6detail17trampoline_kernelINS0_14default_configENS1_35adjacent_difference_config_selectorILb1ElEEZNS1_24adjacent_difference_implIS3_Lb1ELb0EPlS7_ZN2at6native12_GLOBAL__N_124unique_dim_cuda_templateIN3c104HalfEEESt5tupleIJNS8_6TensorESF_SF_EERKSF_lbbbEUlllE1_EE10hipError_tPvRmT2_T3_mT4_P12ihipStream_tbEUlT_E_NS1_11comp_targetILNS1_3genE8ELNS1_11target_archE1030ELNS1_3gpuE2ELNS1_3repE0EEENS1_30default_config_static_selectorELNS0_4arch9wavefront6targetE0EEEvT1_
		.amdhsa_group_segment_fixed_size 0
		.amdhsa_private_segment_fixed_size 0
		.amdhsa_kernarg_size 64
		.amdhsa_user_sgpr_count 2
		.amdhsa_user_sgpr_dispatch_ptr 0
		.amdhsa_user_sgpr_queue_ptr 0
		.amdhsa_user_sgpr_kernarg_segment_ptr 1
		.amdhsa_user_sgpr_dispatch_id 0
		.amdhsa_user_sgpr_kernarg_preload_length 0
		.amdhsa_user_sgpr_kernarg_preload_offset 0
		.amdhsa_user_sgpr_private_segment_size 0
		.amdhsa_wavefront_size32 1
		.amdhsa_uses_dynamic_stack 0
		.amdhsa_enable_private_segment 0
		.amdhsa_system_sgpr_workgroup_id_x 1
		.amdhsa_system_sgpr_workgroup_id_y 0
		.amdhsa_system_sgpr_workgroup_id_z 0
		.amdhsa_system_sgpr_workgroup_info 0
		.amdhsa_system_vgpr_workitem_id 0
		.amdhsa_next_free_vgpr 1
		.amdhsa_next_free_sgpr 1
		.amdhsa_named_barrier_count 0
		.amdhsa_reserve_vcc 0
		.amdhsa_float_round_mode_32 0
		.amdhsa_float_round_mode_16_64 0
		.amdhsa_float_denorm_mode_32 3
		.amdhsa_float_denorm_mode_16_64 3
		.amdhsa_fp16_overflow 0
		.amdhsa_memory_ordered 1
		.amdhsa_forward_progress 1
		.amdhsa_inst_pref_size 0
		.amdhsa_round_robin_scheduling 0
		.amdhsa_exception_fp_ieee_invalid_op 0
		.amdhsa_exception_fp_denorm_src 0
		.amdhsa_exception_fp_ieee_div_zero 0
		.amdhsa_exception_fp_ieee_overflow 0
		.amdhsa_exception_fp_ieee_underflow 0
		.amdhsa_exception_fp_ieee_inexact 0
		.amdhsa_exception_int_div_zero 0
	.end_amdhsa_kernel
	.section	.text._ZN7rocprim17ROCPRIM_400000_NS6detail17trampoline_kernelINS0_14default_configENS1_35adjacent_difference_config_selectorILb1ElEEZNS1_24adjacent_difference_implIS3_Lb1ELb0EPlS7_ZN2at6native12_GLOBAL__N_124unique_dim_cuda_templateIN3c104HalfEEESt5tupleIJNS8_6TensorESF_SF_EERKSF_lbbbEUlllE1_EE10hipError_tPvRmT2_T3_mT4_P12ihipStream_tbEUlT_E_NS1_11comp_targetILNS1_3genE8ELNS1_11target_archE1030ELNS1_3gpuE2ELNS1_3repE0EEENS1_30default_config_static_selectorELNS0_4arch9wavefront6targetE0EEEvT1_,"axG",@progbits,_ZN7rocprim17ROCPRIM_400000_NS6detail17trampoline_kernelINS0_14default_configENS1_35adjacent_difference_config_selectorILb1ElEEZNS1_24adjacent_difference_implIS3_Lb1ELb0EPlS7_ZN2at6native12_GLOBAL__N_124unique_dim_cuda_templateIN3c104HalfEEESt5tupleIJNS8_6TensorESF_SF_EERKSF_lbbbEUlllE1_EE10hipError_tPvRmT2_T3_mT4_P12ihipStream_tbEUlT_E_NS1_11comp_targetILNS1_3genE8ELNS1_11target_archE1030ELNS1_3gpuE2ELNS1_3repE0EEENS1_30default_config_static_selectorELNS0_4arch9wavefront6targetE0EEEvT1_,comdat
.Lfunc_end1296:
	.size	_ZN7rocprim17ROCPRIM_400000_NS6detail17trampoline_kernelINS0_14default_configENS1_35adjacent_difference_config_selectorILb1ElEEZNS1_24adjacent_difference_implIS3_Lb1ELb0EPlS7_ZN2at6native12_GLOBAL__N_124unique_dim_cuda_templateIN3c104HalfEEESt5tupleIJNS8_6TensorESF_SF_EERKSF_lbbbEUlllE1_EE10hipError_tPvRmT2_T3_mT4_P12ihipStream_tbEUlT_E_NS1_11comp_targetILNS1_3genE8ELNS1_11target_archE1030ELNS1_3gpuE2ELNS1_3repE0EEENS1_30default_config_static_selectorELNS0_4arch9wavefront6targetE0EEEvT1_, .Lfunc_end1296-_ZN7rocprim17ROCPRIM_400000_NS6detail17trampoline_kernelINS0_14default_configENS1_35adjacent_difference_config_selectorILb1ElEEZNS1_24adjacent_difference_implIS3_Lb1ELb0EPlS7_ZN2at6native12_GLOBAL__N_124unique_dim_cuda_templateIN3c104HalfEEESt5tupleIJNS8_6TensorESF_SF_EERKSF_lbbbEUlllE1_EE10hipError_tPvRmT2_T3_mT4_P12ihipStream_tbEUlT_E_NS1_11comp_targetILNS1_3genE8ELNS1_11target_archE1030ELNS1_3gpuE2ELNS1_3repE0EEENS1_30default_config_static_selectorELNS0_4arch9wavefront6targetE0EEEvT1_
                                        ; -- End function
	.set _ZN7rocprim17ROCPRIM_400000_NS6detail17trampoline_kernelINS0_14default_configENS1_35adjacent_difference_config_selectorILb1ElEEZNS1_24adjacent_difference_implIS3_Lb1ELb0EPlS7_ZN2at6native12_GLOBAL__N_124unique_dim_cuda_templateIN3c104HalfEEESt5tupleIJNS8_6TensorESF_SF_EERKSF_lbbbEUlllE1_EE10hipError_tPvRmT2_T3_mT4_P12ihipStream_tbEUlT_E_NS1_11comp_targetILNS1_3genE8ELNS1_11target_archE1030ELNS1_3gpuE2ELNS1_3repE0EEENS1_30default_config_static_selectorELNS0_4arch9wavefront6targetE0EEEvT1_.num_vgpr, 0
	.set _ZN7rocprim17ROCPRIM_400000_NS6detail17trampoline_kernelINS0_14default_configENS1_35adjacent_difference_config_selectorILb1ElEEZNS1_24adjacent_difference_implIS3_Lb1ELb0EPlS7_ZN2at6native12_GLOBAL__N_124unique_dim_cuda_templateIN3c104HalfEEESt5tupleIJNS8_6TensorESF_SF_EERKSF_lbbbEUlllE1_EE10hipError_tPvRmT2_T3_mT4_P12ihipStream_tbEUlT_E_NS1_11comp_targetILNS1_3genE8ELNS1_11target_archE1030ELNS1_3gpuE2ELNS1_3repE0EEENS1_30default_config_static_selectorELNS0_4arch9wavefront6targetE0EEEvT1_.num_agpr, 0
	.set _ZN7rocprim17ROCPRIM_400000_NS6detail17trampoline_kernelINS0_14default_configENS1_35adjacent_difference_config_selectorILb1ElEEZNS1_24adjacent_difference_implIS3_Lb1ELb0EPlS7_ZN2at6native12_GLOBAL__N_124unique_dim_cuda_templateIN3c104HalfEEESt5tupleIJNS8_6TensorESF_SF_EERKSF_lbbbEUlllE1_EE10hipError_tPvRmT2_T3_mT4_P12ihipStream_tbEUlT_E_NS1_11comp_targetILNS1_3genE8ELNS1_11target_archE1030ELNS1_3gpuE2ELNS1_3repE0EEENS1_30default_config_static_selectorELNS0_4arch9wavefront6targetE0EEEvT1_.numbered_sgpr, 0
	.set _ZN7rocprim17ROCPRIM_400000_NS6detail17trampoline_kernelINS0_14default_configENS1_35adjacent_difference_config_selectorILb1ElEEZNS1_24adjacent_difference_implIS3_Lb1ELb0EPlS7_ZN2at6native12_GLOBAL__N_124unique_dim_cuda_templateIN3c104HalfEEESt5tupleIJNS8_6TensorESF_SF_EERKSF_lbbbEUlllE1_EE10hipError_tPvRmT2_T3_mT4_P12ihipStream_tbEUlT_E_NS1_11comp_targetILNS1_3genE8ELNS1_11target_archE1030ELNS1_3gpuE2ELNS1_3repE0EEENS1_30default_config_static_selectorELNS0_4arch9wavefront6targetE0EEEvT1_.num_named_barrier, 0
	.set _ZN7rocprim17ROCPRIM_400000_NS6detail17trampoline_kernelINS0_14default_configENS1_35adjacent_difference_config_selectorILb1ElEEZNS1_24adjacent_difference_implIS3_Lb1ELb0EPlS7_ZN2at6native12_GLOBAL__N_124unique_dim_cuda_templateIN3c104HalfEEESt5tupleIJNS8_6TensorESF_SF_EERKSF_lbbbEUlllE1_EE10hipError_tPvRmT2_T3_mT4_P12ihipStream_tbEUlT_E_NS1_11comp_targetILNS1_3genE8ELNS1_11target_archE1030ELNS1_3gpuE2ELNS1_3repE0EEENS1_30default_config_static_selectorELNS0_4arch9wavefront6targetE0EEEvT1_.private_seg_size, 0
	.set _ZN7rocprim17ROCPRIM_400000_NS6detail17trampoline_kernelINS0_14default_configENS1_35adjacent_difference_config_selectorILb1ElEEZNS1_24adjacent_difference_implIS3_Lb1ELb0EPlS7_ZN2at6native12_GLOBAL__N_124unique_dim_cuda_templateIN3c104HalfEEESt5tupleIJNS8_6TensorESF_SF_EERKSF_lbbbEUlllE1_EE10hipError_tPvRmT2_T3_mT4_P12ihipStream_tbEUlT_E_NS1_11comp_targetILNS1_3genE8ELNS1_11target_archE1030ELNS1_3gpuE2ELNS1_3repE0EEENS1_30default_config_static_selectorELNS0_4arch9wavefront6targetE0EEEvT1_.uses_vcc, 0
	.set _ZN7rocprim17ROCPRIM_400000_NS6detail17trampoline_kernelINS0_14default_configENS1_35adjacent_difference_config_selectorILb1ElEEZNS1_24adjacent_difference_implIS3_Lb1ELb0EPlS7_ZN2at6native12_GLOBAL__N_124unique_dim_cuda_templateIN3c104HalfEEESt5tupleIJNS8_6TensorESF_SF_EERKSF_lbbbEUlllE1_EE10hipError_tPvRmT2_T3_mT4_P12ihipStream_tbEUlT_E_NS1_11comp_targetILNS1_3genE8ELNS1_11target_archE1030ELNS1_3gpuE2ELNS1_3repE0EEENS1_30default_config_static_selectorELNS0_4arch9wavefront6targetE0EEEvT1_.uses_flat_scratch, 0
	.set _ZN7rocprim17ROCPRIM_400000_NS6detail17trampoline_kernelINS0_14default_configENS1_35adjacent_difference_config_selectorILb1ElEEZNS1_24adjacent_difference_implIS3_Lb1ELb0EPlS7_ZN2at6native12_GLOBAL__N_124unique_dim_cuda_templateIN3c104HalfEEESt5tupleIJNS8_6TensorESF_SF_EERKSF_lbbbEUlllE1_EE10hipError_tPvRmT2_T3_mT4_P12ihipStream_tbEUlT_E_NS1_11comp_targetILNS1_3genE8ELNS1_11target_archE1030ELNS1_3gpuE2ELNS1_3repE0EEENS1_30default_config_static_selectorELNS0_4arch9wavefront6targetE0EEEvT1_.has_dyn_sized_stack, 0
	.set _ZN7rocprim17ROCPRIM_400000_NS6detail17trampoline_kernelINS0_14default_configENS1_35adjacent_difference_config_selectorILb1ElEEZNS1_24adjacent_difference_implIS3_Lb1ELb0EPlS7_ZN2at6native12_GLOBAL__N_124unique_dim_cuda_templateIN3c104HalfEEESt5tupleIJNS8_6TensorESF_SF_EERKSF_lbbbEUlllE1_EE10hipError_tPvRmT2_T3_mT4_P12ihipStream_tbEUlT_E_NS1_11comp_targetILNS1_3genE8ELNS1_11target_archE1030ELNS1_3gpuE2ELNS1_3repE0EEENS1_30default_config_static_selectorELNS0_4arch9wavefront6targetE0EEEvT1_.has_recursion, 0
	.set _ZN7rocprim17ROCPRIM_400000_NS6detail17trampoline_kernelINS0_14default_configENS1_35adjacent_difference_config_selectorILb1ElEEZNS1_24adjacent_difference_implIS3_Lb1ELb0EPlS7_ZN2at6native12_GLOBAL__N_124unique_dim_cuda_templateIN3c104HalfEEESt5tupleIJNS8_6TensorESF_SF_EERKSF_lbbbEUlllE1_EE10hipError_tPvRmT2_T3_mT4_P12ihipStream_tbEUlT_E_NS1_11comp_targetILNS1_3genE8ELNS1_11target_archE1030ELNS1_3gpuE2ELNS1_3repE0EEENS1_30default_config_static_selectorELNS0_4arch9wavefront6targetE0EEEvT1_.has_indirect_call, 0
	.section	.AMDGPU.csdata,"",@progbits
; Kernel info:
; codeLenInByte = 0
; TotalNumSgprs: 0
; NumVgprs: 0
; ScratchSize: 0
; MemoryBound: 0
; FloatMode: 240
; IeeeMode: 1
; LDSByteSize: 0 bytes/workgroup (compile time only)
; SGPRBlocks: 0
; VGPRBlocks: 0
; NumSGPRsForWavesPerEU: 1
; NumVGPRsForWavesPerEU: 1
; NamedBarCnt: 0
; Occupancy: 16
; WaveLimiterHint : 0
; COMPUTE_PGM_RSRC2:SCRATCH_EN: 0
; COMPUTE_PGM_RSRC2:USER_SGPR: 2
; COMPUTE_PGM_RSRC2:TRAP_HANDLER: 0
; COMPUTE_PGM_RSRC2:TGID_X_EN: 1
; COMPUTE_PGM_RSRC2:TGID_Y_EN: 0
; COMPUTE_PGM_RSRC2:TGID_Z_EN: 0
; COMPUTE_PGM_RSRC2:TIDIG_COMP_CNT: 0
	.section	.text._ZN7rocprim17ROCPRIM_400000_NS6detail17trampoline_kernelINS0_14default_configENS1_25partition_config_selectorILNS1_17partition_subalgoE8ElNS0_10empty_typeEbEEZZNS1_14partition_implILS5_8ELb0ES3_jPlPS6_PKS6_NS0_5tupleIJS9_S6_EEENSD_IJSA_SA_EEENS0_18inequality_wrapperIZN2at6native12_GLOBAL__N_124unique_dim_cuda_templateIN3c104HalfEEESt5tupleIJNSH_6TensorESO_SO_EERKSO_lbbbEUlllE0_EEPmJS6_EEE10hipError_tPvRmT3_T4_T5_T6_T7_T9_mT8_P12ihipStream_tbDpT10_ENKUlT_T0_E_clISt17integral_constantIbLb0EES1E_EEDaS19_S1A_EUlS19_E_NS1_11comp_targetILNS1_3genE0ELNS1_11target_archE4294967295ELNS1_3gpuE0ELNS1_3repE0EEENS1_30default_config_static_selectorELNS0_4arch9wavefront6targetE0EEEvT1_,"axG",@progbits,_ZN7rocprim17ROCPRIM_400000_NS6detail17trampoline_kernelINS0_14default_configENS1_25partition_config_selectorILNS1_17partition_subalgoE8ElNS0_10empty_typeEbEEZZNS1_14partition_implILS5_8ELb0ES3_jPlPS6_PKS6_NS0_5tupleIJS9_S6_EEENSD_IJSA_SA_EEENS0_18inequality_wrapperIZN2at6native12_GLOBAL__N_124unique_dim_cuda_templateIN3c104HalfEEESt5tupleIJNSH_6TensorESO_SO_EERKSO_lbbbEUlllE0_EEPmJS6_EEE10hipError_tPvRmT3_T4_T5_T6_T7_T9_mT8_P12ihipStream_tbDpT10_ENKUlT_T0_E_clISt17integral_constantIbLb0EES1E_EEDaS19_S1A_EUlS19_E_NS1_11comp_targetILNS1_3genE0ELNS1_11target_archE4294967295ELNS1_3gpuE0ELNS1_3repE0EEENS1_30default_config_static_selectorELNS0_4arch9wavefront6targetE0EEEvT1_,comdat
	.globl	_ZN7rocprim17ROCPRIM_400000_NS6detail17trampoline_kernelINS0_14default_configENS1_25partition_config_selectorILNS1_17partition_subalgoE8ElNS0_10empty_typeEbEEZZNS1_14partition_implILS5_8ELb0ES3_jPlPS6_PKS6_NS0_5tupleIJS9_S6_EEENSD_IJSA_SA_EEENS0_18inequality_wrapperIZN2at6native12_GLOBAL__N_124unique_dim_cuda_templateIN3c104HalfEEESt5tupleIJNSH_6TensorESO_SO_EERKSO_lbbbEUlllE0_EEPmJS6_EEE10hipError_tPvRmT3_T4_T5_T6_T7_T9_mT8_P12ihipStream_tbDpT10_ENKUlT_T0_E_clISt17integral_constantIbLb0EES1E_EEDaS19_S1A_EUlS19_E_NS1_11comp_targetILNS1_3genE0ELNS1_11target_archE4294967295ELNS1_3gpuE0ELNS1_3repE0EEENS1_30default_config_static_selectorELNS0_4arch9wavefront6targetE0EEEvT1_ ; -- Begin function _ZN7rocprim17ROCPRIM_400000_NS6detail17trampoline_kernelINS0_14default_configENS1_25partition_config_selectorILNS1_17partition_subalgoE8ElNS0_10empty_typeEbEEZZNS1_14partition_implILS5_8ELb0ES3_jPlPS6_PKS6_NS0_5tupleIJS9_S6_EEENSD_IJSA_SA_EEENS0_18inequality_wrapperIZN2at6native12_GLOBAL__N_124unique_dim_cuda_templateIN3c104HalfEEESt5tupleIJNSH_6TensorESO_SO_EERKSO_lbbbEUlllE0_EEPmJS6_EEE10hipError_tPvRmT3_T4_T5_T6_T7_T9_mT8_P12ihipStream_tbDpT10_ENKUlT_T0_E_clISt17integral_constantIbLb0EES1E_EEDaS19_S1A_EUlS19_E_NS1_11comp_targetILNS1_3genE0ELNS1_11target_archE4294967295ELNS1_3gpuE0ELNS1_3repE0EEENS1_30default_config_static_selectorELNS0_4arch9wavefront6targetE0EEEvT1_
	.p2align	8
	.type	_ZN7rocprim17ROCPRIM_400000_NS6detail17trampoline_kernelINS0_14default_configENS1_25partition_config_selectorILNS1_17partition_subalgoE8ElNS0_10empty_typeEbEEZZNS1_14partition_implILS5_8ELb0ES3_jPlPS6_PKS6_NS0_5tupleIJS9_S6_EEENSD_IJSA_SA_EEENS0_18inequality_wrapperIZN2at6native12_GLOBAL__N_124unique_dim_cuda_templateIN3c104HalfEEESt5tupleIJNSH_6TensorESO_SO_EERKSO_lbbbEUlllE0_EEPmJS6_EEE10hipError_tPvRmT3_T4_T5_T6_T7_T9_mT8_P12ihipStream_tbDpT10_ENKUlT_T0_E_clISt17integral_constantIbLb0EES1E_EEDaS19_S1A_EUlS19_E_NS1_11comp_targetILNS1_3genE0ELNS1_11target_archE4294967295ELNS1_3gpuE0ELNS1_3repE0EEENS1_30default_config_static_selectorELNS0_4arch9wavefront6targetE0EEEvT1_,@function
_ZN7rocprim17ROCPRIM_400000_NS6detail17trampoline_kernelINS0_14default_configENS1_25partition_config_selectorILNS1_17partition_subalgoE8ElNS0_10empty_typeEbEEZZNS1_14partition_implILS5_8ELb0ES3_jPlPS6_PKS6_NS0_5tupleIJS9_S6_EEENSD_IJSA_SA_EEENS0_18inequality_wrapperIZN2at6native12_GLOBAL__N_124unique_dim_cuda_templateIN3c104HalfEEESt5tupleIJNSH_6TensorESO_SO_EERKSO_lbbbEUlllE0_EEPmJS6_EEE10hipError_tPvRmT3_T4_T5_T6_T7_T9_mT8_P12ihipStream_tbDpT10_ENKUlT_T0_E_clISt17integral_constantIbLb0EES1E_EEDaS19_S1A_EUlS19_E_NS1_11comp_targetILNS1_3genE0ELNS1_11target_archE4294967295ELNS1_3gpuE0ELNS1_3repE0EEENS1_30default_config_static_selectorELNS0_4arch9wavefront6targetE0EEEvT1_: ; @_ZN7rocprim17ROCPRIM_400000_NS6detail17trampoline_kernelINS0_14default_configENS1_25partition_config_selectorILNS1_17partition_subalgoE8ElNS0_10empty_typeEbEEZZNS1_14partition_implILS5_8ELb0ES3_jPlPS6_PKS6_NS0_5tupleIJS9_S6_EEENSD_IJSA_SA_EEENS0_18inequality_wrapperIZN2at6native12_GLOBAL__N_124unique_dim_cuda_templateIN3c104HalfEEESt5tupleIJNSH_6TensorESO_SO_EERKSO_lbbbEUlllE0_EEPmJS6_EEE10hipError_tPvRmT3_T4_T5_T6_T7_T9_mT8_P12ihipStream_tbDpT10_ENKUlT_T0_E_clISt17integral_constantIbLb0EES1E_EEDaS19_S1A_EUlS19_E_NS1_11comp_targetILNS1_3genE0ELNS1_11target_archE4294967295ELNS1_3gpuE0ELNS1_3repE0EEENS1_30default_config_static_selectorELNS0_4arch9wavefront6targetE0EEEvT1_
; %bb.0:
	s_clause 0x3
	s_load_b128 s[4:7], s[0:1], 0x8
	s_load_b256 s[12:19], s[0:1], 0x40
	s_load_b32 s24, s[0:1], 0x70
	s_load_b128 s[8:11], s[0:1], 0x60
	s_bfe_u32 s20, ttmp6, 0x4000c
	s_and_b32 s2, ttmp6, 15
	s_add_co_i32 s20, s20, 1
	s_mov_b32 s3, 0
	s_mul_i32 s20, ttmp9, s20
	s_getreg_b32 s22, hwreg(HW_REG_IB_STS2, 6, 4)
	s_add_co_i32 s20, s2, s20
	s_mov_b32 s25, s3
	v_dual_mov_b32 v1, v0 :: v_dual_lshlrev_b32 v18, 3, v0
	s_mov_b32 s21, -1
	s_wait_kmcnt 0x0
	s_lshl_b64 s[26:27], s[6:7], 3
	s_load_b64 s[14:15], s[14:15], 0x0
	s_mul_i32 s2, s24, 0xe00
	s_cmp_eq_u32 s22, 0
	s_add_nc_u64 s[22:23], s[6:7], s[2:3]
	s_cselect_b32 s20, ttmp9, s20
	s_add_co_i32 s2, s2, s6
	v_cmp_le_u64_e64 s17, s[16:17], s[22:23]
	s_add_co_i32 s24, s24, -1
	s_sub_co_i32 s23, s16, s2
	s_cmp_eq_u32 s20, s24
	s_mul_i32 s24, s20, 0xe00
	s_cselect_b32 s16, -1, 0
	s_add_nc_u64 s[2:3], s[4:5], s[26:27]
	s_and_b32 s22, s16, s17
	s_lshl_b64 s[4:5], s[24:25], 3
	s_xor_b32 s17, s22, -1
	s_add_nc_u64 s[2:3], s[2:3], s[4:5]
	s_and_b32 vcc_lo, exec_lo, s17
	s_cbranch_vccz .LBB1297_2
; %bb.1:
	s_clause 0x6
	global_load_b64 v[2:3], v0, s[2:3] scale_offset
	global_load_b64 v[4:5], v0, s[2:3] offset:4096 scale_offset
	global_load_b64 v[6:7], v0, s[2:3] offset:8192 scale_offset
	;; [unrolled: 1-line block ×6, first 2 shown]
	v_lshlrev_b32_e32 v16, 3, v0
	s_mov_b32 s21, 0
	s_wait_loadcnt 0x5
	ds_store_2addr_stride64_b64 v16, v[2:3], v[4:5] offset1:8
	s_wait_loadcnt 0x3
	ds_store_2addr_stride64_b64 v16, v[6:7], v[8:9] offset0:16 offset1:24
	s_wait_loadcnt 0x1
	ds_store_2addr_stride64_b64 v16, v[10:11], v[12:13] offset0:32 offset1:40
	s_wait_loadcnt 0x0
	ds_store_b64 v16, v[14:15] offset:24576
	s_wait_dscnt 0x0
	s_barrier_signal -1
	s_barrier_wait -1
.LBB1297_2:
	s_and_not1_b32 vcc_lo, exec_lo, s21
	s_add_co_i32 s21, s23, 0xe00
	s_cbranch_vccnz .LBB1297_18
; %bb.3:
	v_mov_b32_e32 v2, 0
	s_mov_b32 s4, exec_lo
	s_delay_alu instid0(VALU_DEP_1)
	v_dual_mov_b32 v3, v2 :: v_dual_mov_b32 v4, v2
	v_dual_mov_b32 v5, v2 :: v_dual_mov_b32 v6, v2
	;; [unrolled: 1-line block ×6, first 2 shown]
	v_mov_b32_e32 v15, v2
	v_cmpx_gt_u32_e64 s21, v0
	s_cbranch_execz .LBB1297_5
; %bb.4:
	global_load_b64 v[4:5], v0, s[2:3] scale_offset
	v_dual_mov_b32 v6, v2 :: v_dual_mov_b32 v7, v2
	v_dual_mov_b32 v8, v2 :: v_dual_mov_b32 v9, v2
	;; [unrolled: 1-line block ×6, first 2 shown]
	s_wait_loadcnt 0x0
	v_mov_b64_e32 v[2:3], v[4:5]
	v_mov_b64_e32 v[4:5], v[6:7]
	;; [unrolled: 1-line block ×8, first 2 shown]
.LBB1297_5:
	s_or_b32 exec_lo, exec_lo, s4
	v_or_b32_e32 v16, 0x200, v0
	s_mov_b32 s4, exec_lo
	s_delay_alu instid0(VALU_DEP_1)
	v_cmpx_gt_u32_e64 s21, v16
	s_cbranch_execz .LBB1297_7
; %bb.6:
	global_load_b64 v[4:5], v0, s[2:3] offset:4096 scale_offset
.LBB1297_7:
	s_wait_xcnt 0x0
	s_or_b32 exec_lo, exec_lo, s4
	v_or_b32_e32 v16, 0x400, v0
	s_mov_b32 s4, exec_lo
	s_delay_alu instid0(VALU_DEP_1)
	v_cmpx_gt_u32_e64 s21, v16
	s_cbranch_execz .LBB1297_9
; %bb.8:
	global_load_b64 v[6:7], v0, s[2:3] offset:8192 scale_offset
.LBB1297_9:
	s_wait_xcnt 0x0
	;; [unrolled: 10-line block ×6, first 2 shown]
	s_or_b32 exec_lo, exec_lo, s4
	v_lshlrev_b32_e32 v16, 3, v0
	s_wait_loadcnt 0x0
	ds_store_2addr_stride64_b64 v16, v[2:3], v[4:5] offset1:8
	ds_store_2addr_stride64_b64 v16, v[6:7], v[8:9] offset0:16 offset1:24
	ds_store_2addr_stride64_b64 v16, v[10:11], v[12:13] offset0:32 offset1:40
	ds_store_b64 v16, v[14:15] offset:24576
	s_wait_dscnt 0x0
	s_barrier_signal -1
	s_barrier_wait -1
.LBB1297_18:
	v_mul_u32_u24_e32 v19, 7, v0
	s_cmp_lg_u32 s20, 0
	v_cmp_gt_i64_e64 s24, s[18:19], 0
	s_cselect_b32 s23, -1, 0
	v_lshlrev_b32_e32 v24, 3, v19
	s_cmp_lg_u64 s[6:7], 0
	s_mov_b32 s6, 0
	s_cselect_b32 s4, -1, 0
	ds_load_2addr_b64 v[10:13], v24 offset1:1
	ds_load_2addr_b64 v[6:9], v24 offset0:2 offset1:3
	ds_load_2addr_b64 v[2:5], v24 offset0:4 offset1:5
	ds_load_b64 v[14:15], v24 offset:48
	s_or_b32 s4, s23, s4
	s_wait_dscnt 0x0
	s_and_b32 vcc_lo, exec_lo, s4
	s_barrier_signal -1
	s_barrier_wait -1
	s_cbranch_vccz .LBB1297_34
; %bb.19:
	s_add_nc_u64 s[2:3], s[2:3], -8
	v_cndmask_b32_e64 v25, 0, 1, s24
	s_load_b64 s[4:5], s[2:3], 0x0
	v_lshlrev_b32_e32 v26, 3, v0
	s_and_b32 vcc_lo, exec_lo, s17
	s_wait_xcnt 0x0
	v_cmp_ne_u32_e64 s2, 1, v25
	ds_store_b64 v26, v[14:15]
	s_cbranch_vccz .LBB1297_36
; %bb.20:
	s_and_b32 vcc_lo, exec_lo, s2
	s_cbranch_vccnz .LBB1297_37
; %bb.21:
	v_mul_u64_e32 v[16:17], s[18:19], v[4:5]
	v_mul_u64_e32 v[20:21], s[18:19], v[14:15]
	s_add_nc_u64 s[6:7], s[18:19], -1
	s_mov_b32 s26, 0
	s_mov_b64 s[2:3], s[6:7]
                                        ; implicit-def: $sgpr25
	s_delay_alu instid0(VALU_DEP_2) | instskip(NEXT) | instid1(VALU_DEP_2)
	v_lshl_add_u64 v[16:17], v[16:17], 1, s[8:9]
	v_lshl_add_u64 v[20:21], v[20:21], 1, s[8:9]
	s_delay_alu instid0(VALU_DEP_2)
	v_mov_b64_e32 v[22:23], v[16:17]
.LBB1297_22:                            ; =>This Inner Loop Header: Depth=1
	global_load_u16 v27, v[22:23], off
	global_load_u16 v28, v[20:21], off
	s_cmp_eq_u64 s[2:3], 0
	s_add_nc_u64 s[28:29], s[2:3], -1
	s_cselect_b32 s3, -1, 0
	s_wait_xcnt 0x1
	v_add_nc_u64_e32 v[22:23], 2, v[22:23]
	s_wait_xcnt 0x0
	v_add_nc_u64_e32 v[20:21], 2, v[20:21]
	s_wait_loadcnt 0x0
	v_cmp_neq_f16_e32 vcc_lo, v27, v28
	v_cmp_eq_f16_e64 s2, v27, v28
	s_or_b32 s3, vcc_lo, s3
	s_delay_alu instid0(SALU_CYCLE_1) | instskip(NEXT) | instid1(SALU_CYCLE_1)
	s_and_b32 s3, exec_lo, s3
	s_or_b32 s26, s3, s26
	s_and_not1_b32 s25, s25, exec_lo
	s_and_b32 s27, s2, exec_lo
	s_mov_b64 s[2:3], s[28:29]
	s_or_b32 s25, s25, s27
	s_and_not1_b32 exec_lo, exec_lo, s26
	s_cbranch_execnz .LBB1297_22
; %bb.23:
	s_or_b32 exec_lo, exec_lo, s26
	v_mul_u64_e32 v[20:21], s[18:19], v[2:3]
	s_mov_b32 s27, 0
	s_mov_b64 s[2:3], s[6:7]
                                        ; implicit-def: $sgpr26
	s_delay_alu instid0(VALU_DEP_1) | instskip(NEXT) | instid1(VALU_DEP_1)
	v_lshl_add_u64 v[20:21], v[20:21], 1, s[8:9]
	v_mov_b64_e32 v[22:23], v[20:21]
.LBB1297_24:                            ; =>This Inner Loop Header: Depth=1
	global_load_u16 v27, v[22:23], off
	global_load_u16 v28, v[16:17], off
	s_cmp_eq_u64 s[2:3], 0
	s_add_nc_u64 s[28:29], s[2:3], -1
	s_cselect_b32 s3, -1, 0
	s_wait_xcnt 0x1
	v_add_nc_u64_e32 v[22:23], 2, v[22:23]
	s_wait_xcnt 0x0
	v_add_nc_u64_e32 v[16:17], 2, v[16:17]
	s_wait_loadcnt 0x0
	v_cmp_neq_f16_e32 vcc_lo, v27, v28
	v_cmp_eq_f16_e64 s2, v27, v28
	s_or_b32 s3, vcc_lo, s3
	s_delay_alu instid0(SALU_CYCLE_1) | instskip(NEXT) | instid1(SALU_CYCLE_1)
	s_and_b32 s3, exec_lo, s3
	s_or_b32 s27, s3, s27
	s_and_not1_b32 s26, s26, exec_lo
	s_and_b32 s30, s2, exec_lo
	s_mov_b64 s[2:3], s[28:29]
	s_or_b32 s26, s26, s30
	s_and_not1_b32 exec_lo, exec_lo, s27
	s_cbranch_execnz .LBB1297_24
; %bb.25:
	s_or_b32 exec_lo, exec_lo, s27
	v_mul_u64_e32 v[16:17], s[18:19], v[8:9]
	s_mov_b32 s28, 0
	s_mov_b64 s[2:3], s[6:7]
                                        ; implicit-def: $sgpr27
	s_delay_alu instid0(VALU_DEP_1) | instskip(NEXT) | instid1(VALU_DEP_1)
	v_lshl_add_u64 v[16:17], v[16:17], 1, s[8:9]
	v_mov_b64_e32 v[22:23], v[16:17]
.LBB1297_26:                            ; =>This Inner Loop Header: Depth=1
	global_load_u16 v27, v[22:23], off
	global_load_u16 v28, v[20:21], off
	s_cmp_eq_u64 s[2:3], 0
	s_add_nc_u64 s[30:31], s[2:3], -1
	s_cselect_b32 s3, -1, 0
	s_wait_xcnt 0x1
	v_add_nc_u64_e32 v[22:23], 2, v[22:23]
	s_wait_xcnt 0x0
	v_add_nc_u64_e32 v[20:21], 2, v[20:21]
	s_wait_loadcnt 0x0
	v_cmp_neq_f16_e32 vcc_lo, v27, v28
	v_cmp_eq_f16_e64 s2, v27, v28
	s_or_b32 s3, vcc_lo, s3
	s_delay_alu instid0(SALU_CYCLE_1) | instskip(NEXT) | instid1(SALU_CYCLE_1)
	s_and_b32 s3, exec_lo, s3
	s_or_b32 s28, s3, s28
	s_and_not1_b32 s27, s27, exec_lo
	s_and_b32 s29, s2, exec_lo
	s_mov_b64 s[2:3], s[30:31]
	s_or_b32 s27, s27, s29
	s_and_not1_b32 exec_lo, exec_lo, s28
	s_cbranch_execnz .LBB1297_26
; %bb.27:
	s_or_b32 exec_lo, exec_lo, s28
	v_mul_u64_e32 v[20:21], s[18:19], v[6:7]
	s_mov_b32 s29, 0
	s_mov_b64 s[2:3], s[6:7]
                                        ; implicit-def: $sgpr28
	s_delay_alu instid0(VALU_DEP_1) | instskip(NEXT) | instid1(VALU_DEP_1)
	v_lshl_add_u64 v[20:21], v[20:21], 1, s[8:9]
	v_mov_b64_e32 v[22:23], v[20:21]
.LBB1297_28:                            ; =>This Inner Loop Header: Depth=1
	global_load_u16 v27, v[22:23], off
	global_load_u16 v28, v[16:17], off
	s_cmp_eq_u64 s[2:3], 0
	s_add_nc_u64 s[30:31], s[2:3], -1
	s_cselect_b32 s3, -1, 0
	s_wait_xcnt 0x1
	v_add_nc_u64_e32 v[22:23], 2, v[22:23]
	s_wait_xcnt 0x0
	v_add_nc_u64_e32 v[16:17], 2, v[16:17]
	s_wait_loadcnt 0x0
	v_cmp_neq_f16_e32 vcc_lo, v27, v28
	v_cmp_eq_f16_e64 s2, v27, v28
	s_or_b32 s3, vcc_lo, s3
	s_delay_alu instid0(SALU_CYCLE_1) | instskip(NEXT) | instid1(SALU_CYCLE_1)
	s_and_b32 s3, exec_lo, s3
	s_or_b32 s29, s3, s29
	s_and_not1_b32 s28, s28, exec_lo
	s_and_b32 s33, s2, exec_lo
	s_mov_b64 s[2:3], s[30:31]
	s_or_b32 s28, s28, s33
	s_and_not1_b32 exec_lo, exec_lo, s29
	s_cbranch_execnz .LBB1297_28
; %bb.29:
	s_or_b32 exec_lo, exec_lo, s29
	v_mul_u64_e32 v[16:17], s[18:19], v[12:13]
	s_mov_b32 s30, 0
	s_mov_b64 s[2:3], s[6:7]
                                        ; implicit-def: $sgpr29
	s_delay_alu instid0(VALU_DEP_1) | instskip(NEXT) | instid1(VALU_DEP_1)
	v_lshl_add_u64 v[16:17], v[16:17], 1, s[8:9]
	v_mov_b64_e32 v[22:23], v[16:17]
.LBB1297_30:                            ; =>This Inner Loop Header: Depth=1
	global_load_u16 v27, v[22:23], off
	global_load_u16 v28, v[20:21], off
	s_cmp_eq_u64 s[2:3], 0
	s_add_nc_u64 s[34:35], s[2:3], -1
	s_cselect_b32 s3, -1, 0
	s_wait_xcnt 0x1
	v_add_nc_u64_e32 v[22:23], 2, v[22:23]
	s_wait_xcnt 0x0
	v_add_nc_u64_e32 v[20:21], 2, v[20:21]
	s_wait_loadcnt 0x0
	v_cmp_neq_f16_e32 vcc_lo, v27, v28
	v_cmp_eq_f16_e64 s2, v27, v28
	s_or_b32 s3, vcc_lo, s3
	s_delay_alu instid0(SALU_CYCLE_1) | instskip(NEXT) | instid1(SALU_CYCLE_1)
	s_and_b32 s3, exec_lo, s3
	s_or_b32 s30, s3, s30
	s_and_not1_b32 s29, s29, exec_lo
	s_and_b32 s31, s2, exec_lo
	s_mov_b64 s[2:3], s[34:35]
	s_or_b32 s29, s29, s31
	s_and_not1_b32 exec_lo, exec_lo, s30
	s_cbranch_execnz .LBB1297_30
; %bb.31:
	s_or_b32 exec_lo, exec_lo, s30
	v_mul_u64_e32 v[20:21], s[18:19], v[10:11]
	s_mov_b32 s30, 0
                                        ; implicit-def: $sgpr3
	s_delay_alu instid0(VALU_DEP_1)
	v_lshl_add_u64 v[20:21], v[20:21], 1, s[8:9]
.LBB1297_32:                            ; =>This Inner Loop Header: Depth=1
	global_load_u16 v22, v[20:21], off
	global_load_u16 v23, v[16:17], off
	s_cmp_eq_u64 s[6:7], 0
	s_add_nc_u64 s[34:35], s[6:7], -1
	s_cselect_b32 s6, -1, 0
	s_wait_xcnt 0x1
	v_add_nc_u64_e32 v[20:21], 2, v[20:21]
	s_wait_xcnt 0x0
	v_add_nc_u64_e32 v[16:17], 2, v[16:17]
	s_wait_loadcnt 0x0
	v_cmp_neq_f16_e32 vcc_lo, v22, v23
	v_cmp_eq_f16_e64 s2, v22, v23
	s_or_b32 s6, vcc_lo, s6
	s_delay_alu instid0(SALU_CYCLE_1) | instskip(NEXT) | instid1(SALU_CYCLE_1)
	s_and_b32 s6, exec_lo, s6
	s_or_b32 s30, s6, s30
	s_and_not1_b32 s3, s3, exec_lo
	s_and_b32 s2, s2, exec_lo
	s_mov_b64 s[6:7], s[34:35]
	s_or_b32 s3, s3, s2
	s_and_not1_b32 exec_lo, exec_lo, s30
	s_cbranch_execnz .LBB1297_32
; %bb.33:
	s_or_b32 exec_lo, exec_lo, s30
	s_xor_b32 s2, s28, -1
	s_xor_b32 s3, s3, -1
	v_cndmask_b32_e64 v16, 0, 1, s2
	s_xor_b32 s2, s29, -1
	s_delay_alu instid0(SALU_CYCLE_1) | instskip(SKIP_1) | instid1(VALU_DEP_2)
	v_cndmask_b32_e64 v17, 0, 1, s2
	s_xor_b32 s2, s26, -1
	v_lshlrev_b16 v16, 8, v16
	v_cndmask_b32_e64 v31, 0, 1, s2
	s_xor_b32 s2, s25, -1
	s_delay_alu instid0(SALU_CYCLE_1) | instskip(NEXT) | instid1(VALU_DEP_3)
	v_cndmask_b32_e64 v30, 0, 1, s2
	v_lshrrev_b32_e32 v16, 8, v16
	s_xor_b32 s2, s27, -1
	s_delay_alu instid0(VALU_DEP_1) | instskip(NEXT) | instid1(VALU_DEP_1)
	v_and_b32_e32 v16, 1, v16
	v_lshlrev_b16 v16, 8, v16
	s_delay_alu instid0(VALU_DEP_1) | instskip(SKIP_1) | instid1(VALU_DEP_2)
	v_or_b32_e32 v16, v17, v16
	v_cndmask_b32_e64 v17, 0, 1, s2
	v_lshlrev_b32_e32 v16, 16, v16
	s_branch .LBB1297_38
.LBB1297_34:
                                        ; implicit-def: $sgpr2
                                        ; implicit-def: $vgpr30
                                        ; implicit-def: $vgpr31
                                        ; implicit-def: $vgpr17
                                        ; implicit-def: $vgpr21
	s_branch .LBB1297_91
.LBB1297_35:
                                        ; implicit-def: $vgpr33
                                        ; implicit-def: $vgpr32
                                        ; implicit-def: $vgpr20
	s_branch .LBB1297_160
.LBB1297_36:
                                        ; implicit-def: $sgpr2
                                        ; implicit-def: $vgpr30
                                        ; implicit-def: $vgpr31
                                        ; implicit-def: $vgpr17
                                        ; implicit-def: $vgpr21
	s_cbranch_execnz .LBB1297_45
	s_branch .LBB1297_90
.LBB1297_37:
	v_dual_mov_b32 v16, 0 :: v_dual_mov_b32 v30, 0
	v_dual_mov_b32 v31, 0 :: v_dual_mov_b32 v17, 0
	s_mov_b32 s3, 0
.LBB1297_38:
	s_wait_kmcnt 0x0
	v_mov_b64_e32 v[20:21], s[4:5]
	s_mov_b32 s2, 0
	s_mov_b32 s6, exec_lo
	s_wait_dscnt 0x0
	s_barrier_signal -1
	s_barrier_wait -1
	v_cmpx_ne_u32_e32 0, v0
; %bb.39:
	v_add_nc_u32_e32 v20, -8, v26
	ds_load_b64 v[20:21], v20
; %bb.40:
	s_or_b32 exec_lo, exec_lo, s6
	v_cndmask_b32_e64 v22, 0, 1, s3
	v_lshrrev_b32_e32 v23, 16, v16
	s_and_not1_b32 vcc_lo, exec_lo, s24
	s_delay_alu instid0(VALU_DEP_2) | instskip(NEXT) | instid1(VALU_DEP_1)
	v_lshlrev_b16 v22, 8, v22
	v_bitop3_b16 v22, v16, v22, 0xff bitop3:0xec
	s_delay_alu instid0(VALU_DEP_3) | instskip(NEXT) | instid1(VALU_DEP_2)
	v_perm_b32 v16, v23, v16, 0xc0c0304
	v_and_b32_e32 v27, 0xffff, v22
	s_cbranch_vccnz .LBB1297_44
; %bb.41:
	s_wait_dscnt 0x0
	v_mul_u64_e32 v[20:21], s[18:19], v[20:21]
	v_mul_u64_e32 v[22:23], s[18:19], v[10:11]
	s_add_nc_u64 s[2:3], s[18:19], -1
	s_mov_b32 s6, 0
                                        ; implicit-def: $sgpr7
	s_delay_alu instid0(VALU_DEP_2) | instskip(NEXT) | instid1(VALU_DEP_2)
	v_lshl_add_u64 v[20:21], v[20:21], 1, s[8:9]
	v_lshl_add_u64 v[22:23], v[22:23], 1, s[8:9]
.LBB1297_42:                            ; =>This Inner Loop Header: Depth=1
	global_load_u16 v28, v[20:21], off
	global_load_u16 v29, v[22:23], off
	s_cmp_eq_u64 s[2:3], 0
	s_add_nc_u64 s[26:27], s[2:3], -1
	s_cselect_b32 s3, -1, 0
	s_wait_xcnt 0x1
	v_add_nc_u64_e32 v[20:21], 2, v[20:21]
	s_wait_xcnt 0x0
	v_add_nc_u64_e32 v[22:23], 2, v[22:23]
	s_wait_loadcnt 0x0
	v_cmp_neq_f16_e32 vcc_lo, v28, v29
	v_cmp_eq_f16_e64 s2, v28, v29
	s_or_b32 s3, vcc_lo, s3
	s_delay_alu instid0(SALU_CYCLE_1) | instskip(NEXT) | instid1(SALU_CYCLE_1)
	s_and_b32 s3, exec_lo, s3
	s_or_b32 s6, s3, s6
	s_and_not1_b32 s7, s7, exec_lo
	s_and_b32 s25, s2, exec_lo
	s_mov_b64 s[2:3], s[26:27]
	s_or_b32 s7, s7, s25
	s_and_not1_b32 exec_lo, exec_lo, s6
	s_cbranch_execnz .LBB1297_42
; %bb.43:
	s_or_b32 exec_lo, exec_lo, s6
	s_xor_b32 s2, s7, -1
.LBB1297_44:
	s_wait_dscnt 0x0
	s_delay_alu instid0(VALU_DEP_1)
	v_lshl_or_b32 v21, v16, 16, v27
	s_branch .LBB1297_90
.LBB1297_45:
	v_add_nc_u32_e32 v16, 6, v19
	s_mov_b32 s7, 0
	s_mov_b32 s6, 0
	s_mov_b32 s25, exec_lo
	s_delay_alu instid0(VALU_DEP_1)
	v_cmpx_gt_u32_e64 s21, v16
	s_cbranch_execz .LBB1297_51
; %bb.46:
	s_and_not1_b32 vcc_lo, exec_lo, s24
	s_mov_b32 s2, 0
	s_cbranch_vccnz .LBB1297_50
; %bb.47:
	v_mul_u64_e32 v[16:17], s[18:19], v[4:5]
	v_mul_u64_e32 v[20:21], s[18:19], v[14:15]
	s_add_nc_u64 s[2:3], s[18:19], -1
                                        ; implicit-def: $sgpr24
	s_delay_alu instid0(VALU_DEP_2) | instskip(NEXT) | instid1(VALU_DEP_2)
	v_lshl_add_u64 v[16:17], v[16:17], 1, s[8:9]
	v_lshl_add_u64 v[20:21], v[20:21], 1, s[8:9]
.LBB1297_48:                            ; =>This Inner Loop Header: Depth=1
	global_load_u16 v22, v[16:17], off
	global_load_u16 v23, v[20:21], off
	s_cmp_eq_u64 s[2:3], 0
	s_add_nc_u64 s[26:27], s[2:3], -1
	s_cselect_b32 s3, -1, 0
	s_wait_xcnt 0x1
	v_add_nc_u64_e32 v[16:17], 2, v[16:17]
	s_wait_xcnt 0x0
	v_add_nc_u64_e32 v[20:21], 2, v[20:21]
	s_wait_loadcnt 0x0
	v_cmp_neq_f16_e32 vcc_lo, v22, v23
	v_cmp_eq_f16_e64 s2, v22, v23
	s_or_b32 s3, vcc_lo, s3
	s_delay_alu instid0(SALU_CYCLE_1) | instskip(NEXT) | instid1(SALU_CYCLE_1)
	s_and_b32 s3, exec_lo, s3
	s_or_b32 s6, s3, s6
	s_and_not1_b32 s24, s24, exec_lo
	s_and_b32 s28, s2, exec_lo
	s_mov_b64 s[2:3], s[26:27]
	s_or_b32 s24, s24, s28
	s_and_not1_b32 exec_lo, exec_lo, s6
	s_cbranch_execnz .LBB1297_48
; %bb.49:
	s_or_b32 exec_lo, exec_lo, s6
	s_xor_b32 s2, s24, -1
.LBB1297_50:
	s_delay_alu instid0(SALU_CYCLE_1)
	s_and_b32 s6, s2, exec_lo
.LBB1297_51:
	s_or_b32 exec_lo, exec_lo, s25
	v_add_nc_u32_e32 v16, 5, v19
	s_mov_b32 s24, exec_lo
	s_delay_alu instid0(VALU_DEP_1)
	v_cmpx_gt_u32_e64 s21, v16
	s_cbranch_execz .LBB1297_57
; %bb.52:
	v_cmp_ne_u32_e32 vcc_lo, 1, v25
	s_mov_b32 s2, 0
	s_cbranch_vccnz .LBB1297_56
; %bb.53:
	v_mul_u64_e32 v[16:17], s[18:19], v[2:3]
	v_mul_u64_e32 v[20:21], s[18:19], v[4:5]
	s_add_nc_u64 s[2:3], s[18:19], -1
	s_mov_b32 s7, 0
                                        ; implicit-def: $sgpr25
	s_delay_alu instid0(VALU_DEP_2) | instskip(NEXT) | instid1(VALU_DEP_2)
	v_lshl_add_u64 v[16:17], v[16:17], 1, s[8:9]
	v_lshl_add_u64 v[20:21], v[20:21], 1, s[8:9]
.LBB1297_54:                            ; =>This Inner Loop Header: Depth=1
	global_load_u16 v22, v[16:17], off
	global_load_u16 v23, v[20:21], off
	s_cmp_eq_u64 s[2:3], 0
	s_add_nc_u64 s[26:27], s[2:3], -1
	s_cselect_b32 s3, -1, 0
	s_wait_xcnt 0x1
	v_add_nc_u64_e32 v[16:17], 2, v[16:17]
	s_wait_xcnt 0x0
	v_add_nc_u64_e32 v[20:21], 2, v[20:21]
	s_wait_loadcnt 0x0
	v_cmp_neq_f16_e32 vcc_lo, v22, v23
	v_cmp_eq_f16_e64 s2, v22, v23
	s_or_b32 s3, vcc_lo, s3
	s_delay_alu instid0(SALU_CYCLE_1) | instskip(NEXT) | instid1(SALU_CYCLE_1)
	s_and_b32 s3, exec_lo, s3
	s_or_b32 s7, s3, s7
	s_and_not1_b32 s25, s25, exec_lo
	s_and_b32 s28, s2, exec_lo
	s_mov_b64 s[2:3], s[26:27]
	s_or_b32 s25, s25, s28
	s_and_not1_b32 exec_lo, exec_lo, s7
	s_cbranch_execnz .LBB1297_54
; %bb.55:
	s_or_b32 exec_lo, exec_lo, s7
	s_xor_b32 s2, s25, -1
.LBB1297_56:
	s_delay_alu instid0(SALU_CYCLE_1)
	s_and_b32 s7, s2, exec_lo
.LBB1297_57:
	s_or_b32 exec_lo, exec_lo, s24
	v_add_nc_u32_e32 v16, 4, v19
	s_mov_b32 s25, 0
	s_mov_b32 s24, 0
	s_mov_b32 s26, exec_lo
	s_delay_alu instid0(VALU_DEP_1)
	v_cmpx_gt_u32_e64 s21, v16
	s_cbranch_execz .LBB1297_63
; %bb.58:
	v_cmp_ne_u32_e32 vcc_lo, 1, v25
	s_mov_b32 s2, 0
	s_cbranch_vccnz .LBB1297_62
; %bb.59:
	v_mul_u64_e32 v[16:17], s[18:19], v[8:9]
	v_mul_u64_e32 v[20:21], s[18:19], v[2:3]
	s_add_nc_u64 s[2:3], s[18:19], -1
                                        ; implicit-def: $sgpr27
	s_delay_alu instid0(VALU_DEP_2) | instskip(NEXT) | instid1(VALU_DEP_2)
	v_lshl_add_u64 v[16:17], v[16:17], 1, s[8:9]
	v_lshl_add_u64 v[20:21], v[20:21], 1, s[8:9]
.LBB1297_60:                            ; =>This Inner Loop Header: Depth=1
	global_load_u16 v22, v[16:17], off
	global_load_u16 v23, v[20:21], off
	s_cmp_eq_u64 s[2:3], 0
	s_add_nc_u64 s[28:29], s[2:3], -1
	s_cselect_b32 s3, -1, 0
	s_wait_xcnt 0x1
	v_add_nc_u64_e32 v[16:17], 2, v[16:17]
	s_wait_xcnt 0x0
	v_add_nc_u64_e32 v[20:21], 2, v[20:21]
	s_wait_loadcnt 0x0
	v_cmp_neq_f16_e32 vcc_lo, v22, v23
	v_cmp_eq_f16_e64 s2, v22, v23
	s_or_b32 s3, vcc_lo, s3
	s_delay_alu instid0(SALU_CYCLE_1) | instskip(NEXT) | instid1(SALU_CYCLE_1)
	s_and_b32 s3, exec_lo, s3
	s_or_b32 s24, s3, s24
	s_and_not1_b32 s27, s27, exec_lo
	s_and_b32 s30, s2, exec_lo
	s_mov_b64 s[2:3], s[28:29]
	s_or_b32 s27, s27, s30
	s_and_not1_b32 exec_lo, exec_lo, s24
	s_cbranch_execnz .LBB1297_60
; %bb.61:
	s_or_b32 exec_lo, exec_lo, s24
	s_xor_b32 s2, s27, -1
.LBB1297_62:
	s_delay_alu instid0(SALU_CYCLE_1)
	s_and_b32 s24, s2, exec_lo
.LBB1297_63:
	s_or_b32 exec_lo, exec_lo, s26
	v_add_nc_u32_e32 v16, 3, v19
	s_mov_b32 s26, exec_lo
	s_delay_alu instid0(VALU_DEP_1)
	v_cmpx_gt_u32_e64 s21, v16
	s_cbranch_execz .LBB1297_69
; %bb.64:
	v_cmp_ne_u32_e32 vcc_lo, 1, v25
	s_mov_b32 s2, 0
	s_cbranch_vccnz .LBB1297_68
; %bb.65:
	v_mul_u64_e32 v[16:17], s[18:19], v[6:7]
	v_mul_u64_e32 v[20:21], s[18:19], v[8:9]
	s_add_nc_u64 s[2:3], s[18:19], -1
	s_mov_b32 s25, 0
                                        ; implicit-def: $sgpr27
	s_delay_alu instid0(VALU_DEP_2) | instskip(NEXT) | instid1(VALU_DEP_2)
	v_lshl_add_u64 v[16:17], v[16:17], 1, s[8:9]
	v_lshl_add_u64 v[20:21], v[20:21], 1, s[8:9]
.LBB1297_66:                            ; =>This Inner Loop Header: Depth=1
	global_load_u16 v22, v[16:17], off
	global_load_u16 v23, v[20:21], off
	s_cmp_eq_u64 s[2:3], 0
	s_add_nc_u64 s[28:29], s[2:3], -1
	s_cselect_b32 s3, -1, 0
	s_wait_xcnt 0x1
	v_add_nc_u64_e32 v[16:17], 2, v[16:17]
	s_wait_xcnt 0x0
	v_add_nc_u64_e32 v[20:21], 2, v[20:21]
	s_wait_loadcnt 0x0
	v_cmp_neq_f16_e32 vcc_lo, v22, v23
	v_cmp_eq_f16_e64 s2, v22, v23
	s_or_b32 s3, vcc_lo, s3
	s_delay_alu instid0(SALU_CYCLE_1) | instskip(NEXT) | instid1(SALU_CYCLE_1)
	s_and_b32 s3, exec_lo, s3
	s_or_b32 s25, s3, s25
	s_and_not1_b32 s27, s27, exec_lo
	s_and_b32 s30, s2, exec_lo
	s_mov_b64 s[2:3], s[28:29]
	s_or_b32 s27, s27, s30
	s_and_not1_b32 exec_lo, exec_lo, s25
	s_cbranch_execnz .LBB1297_66
; %bb.67:
	s_or_b32 exec_lo, exec_lo, s25
	s_xor_b32 s2, s27, -1
.LBB1297_68:
	s_delay_alu instid0(SALU_CYCLE_1)
	s_and_b32 s25, s2, exec_lo
.LBB1297_69:
	s_or_b32 exec_lo, exec_lo, s26
	v_add_nc_u32_e32 v16, 2, v19
	s_mov_b32 s26, 0
	s_mov_b32 s27, 0
	s_mov_b32 s28, exec_lo
	s_delay_alu instid0(VALU_DEP_1)
	v_cmpx_gt_u32_e64 s21, v16
	s_cbranch_execz .LBB1297_75
; %bb.70:
	v_cmp_ne_u32_e32 vcc_lo, 1, v25
	s_mov_b32 s2, 0
	s_cbranch_vccnz .LBB1297_74
; %bb.71:
	v_mul_u64_e32 v[16:17], s[18:19], v[12:13]
	v_mul_u64_e32 v[20:21], s[18:19], v[6:7]
	s_add_nc_u64 s[2:3], s[18:19], -1
                                        ; implicit-def: $sgpr29
	s_delay_alu instid0(VALU_DEP_2) | instskip(NEXT) | instid1(VALU_DEP_2)
	v_lshl_add_u64 v[16:17], v[16:17], 1, s[8:9]
	v_lshl_add_u64 v[20:21], v[20:21], 1, s[8:9]
.LBB1297_72:                            ; =>This Inner Loop Header: Depth=1
	global_load_u16 v22, v[16:17], off
	global_load_u16 v23, v[20:21], off
	s_cmp_eq_u64 s[2:3], 0
	s_add_nc_u64 s[30:31], s[2:3], -1
	s_cselect_b32 s3, -1, 0
	s_wait_xcnt 0x1
	v_add_nc_u64_e32 v[16:17], 2, v[16:17]
	s_wait_xcnt 0x0
	v_add_nc_u64_e32 v[20:21], 2, v[20:21]
	s_wait_loadcnt 0x0
	v_cmp_neq_f16_e32 vcc_lo, v22, v23
	v_cmp_eq_f16_e64 s2, v22, v23
	s_or_b32 s3, vcc_lo, s3
	s_delay_alu instid0(SALU_CYCLE_1) | instskip(NEXT) | instid1(SALU_CYCLE_1)
	s_and_b32 s3, exec_lo, s3
	s_or_b32 s27, s3, s27
	s_and_not1_b32 s29, s29, exec_lo
	s_and_b32 s33, s2, exec_lo
	s_mov_b64 s[2:3], s[30:31]
	s_or_b32 s29, s29, s33
	s_and_not1_b32 exec_lo, exec_lo, s27
	s_cbranch_execnz .LBB1297_72
; %bb.73:
	s_or_b32 exec_lo, exec_lo, s27
	s_xor_b32 s2, s29, -1
.LBB1297_74:
	s_delay_alu instid0(SALU_CYCLE_1)
	s_and_b32 s27, s2, exec_lo
.LBB1297_75:
	s_or_b32 exec_lo, exec_lo, s28
	v_add_nc_u32_e32 v16, 1, v19
	s_mov_b32 s28, exec_lo
	s_delay_alu instid0(VALU_DEP_1)
	v_cmpx_gt_u32_e64 s21, v16
	s_cbranch_execz .LBB1297_81
; %bb.76:
	v_cmp_ne_u32_e32 vcc_lo, 1, v25
	s_mov_b32 s2, 0
	s_cbranch_vccnz .LBB1297_80
; %bb.77:
	v_mul_u64_e32 v[16:17], s[18:19], v[10:11]
	v_mul_u64_e32 v[20:21], s[18:19], v[12:13]
	s_add_nc_u64 s[2:3], s[18:19], -1
	s_mov_b32 s26, 0
                                        ; implicit-def: $sgpr29
	s_delay_alu instid0(VALU_DEP_2) | instskip(NEXT) | instid1(VALU_DEP_2)
	v_lshl_add_u64 v[16:17], v[16:17], 1, s[8:9]
	v_lshl_add_u64 v[20:21], v[20:21], 1, s[8:9]
.LBB1297_78:                            ; =>This Inner Loop Header: Depth=1
	global_load_u16 v22, v[16:17], off
	global_load_u16 v23, v[20:21], off
	s_cmp_eq_u64 s[2:3], 0
	s_add_nc_u64 s[30:31], s[2:3], -1
	s_cselect_b32 s3, -1, 0
	s_wait_xcnt 0x1
	v_add_nc_u64_e32 v[16:17], 2, v[16:17]
	s_wait_xcnt 0x0
	v_add_nc_u64_e32 v[20:21], 2, v[20:21]
	s_wait_loadcnt 0x0
	v_cmp_neq_f16_e32 vcc_lo, v22, v23
	v_cmp_eq_f16_e64 s2, v22, v23
	s_or_b32 s3, vcc_lo, s3
	s_delay_alu instid0(SALU_CYCLE_1) | instskip(NEXT) | instid1(SALU_CYCLE_1)
	s_and_b32 s3, exec_lo, s3
	s_or_b32 s26, s3, s26
	s_and_not1_b32 s29, s29, exec_lo
	s_and_b32 s33, s2, exec_lo
	s_mov_b64 s[2:3], s[30:31]
	s_or_b32 s29, s29, s33
	s_and_not1_b32 exec_lo, exec_lo, s26
	s_cbranch_execnz .LBB1297_78
; %bb.79:
	s_or_b32 exec_lo, exec_lo, s26
	s_xor_b32 s2, s29, -1
.LBB1297_80:
	s_delay_alu instid0(SALU_CYCLE_1)
	s_and_b32 s26, s2, exec_lo
.LBB1297_81:
	s_or_b32 exec_lo, exec_lo, s28
	s_wait_kmcnt 0x0
	v_mov_b64_e32 v[16:17], s[4:5]
	s_mov_b32 s2, 0
	s_mov_b32 s3, exec_lo
	s_wait_dscnt 0x0
	s_barrier_signal -1
	s_barrier_wait -1
	v_cmpx_ne_u32_e32 0, v0
; %bb.82:
	v_add_nc_u32_e32 v16, -8, v26
	ds_load_b64 v[16:17], v16
; %bb.83:
	s_or_b32 exec_lo, exec_lo, s3
	v_cndmask_b32_e64 v20, 0, 1, s25
	v_cndmask_b32_e64 v21, 0, 1, s27
	;; [unrolled: 1-line block ×3, first 2 shown]
	s_mov_b32 s4, exec_lo
	s_delay_alu instid0(VALU_DEP_3) | instskip(NEXT) | instid1(VALU_DEP_2)
	v_lshlrev_b16 v20, 8, v20
	v_lshlrev_b16 v22, 8, v22
	s_delay_alu instid0(VALU_DEP_2) | instskip(NEXT) | instid1(VALU_DEP_2)
	v_or_b32_e32 v20, v21, v20
	v_and_b32_e32 v22, 0xffff, v22
	s_delay_alu instid0(VALU_DEP_2)
	v_lshlrev_b32_e32 v23, 16, v20
	v_cmpx_gt_u32_e64 s21, v19
	s_cbranch_execz .LBB1297_89
; %bb.84:
	v_cmp_ne_u32_e32 vcc_lo, 1, v25
	s_cbranch_vccnz .LBB1297_88
; %bb.85:
	s_wait_dscnt 0x0
	v_mul_u64_e32 v[16:17], s[18:19], v[16:17]
	v_mul_u64_e32 v[20:21], s[18:19], v[10:11]
	s_add_nc_u64 s[2:3], s[18:19], -1
	s_mov_b32 s5, 0
                                        ; implicit-def: $sgpr25
	s_delay_alu instid0(VALU_DEP_2) | instskip(NEXT) | instid1(VALU_DEP_2)
	v_lshl_add_u64 v[16:17], v[16:17], 1, s[8:9]
	v_lshl_add_u64 v[20:21], v[20:21], 1, s[8:9]
.LBB1297_86:                            ; =>This Inner Loop Header: Depth=1
	global_load_u16 v25, v[16:17], off
	global_load_u16 v26, v[20:21], off
	s_cmp_eq_u64 s[2:3], 0
	s_add_nc_u64 s[26:27], s[2:3], -1
	s_cselect_b32 s3, -1, 0
	s_wait_xcnt 0x1
	v_add_nc_u64_e32 v[16:17], 2, v[16:17]
	s_wait_xcnt 0x0
	v_add_nc_u64_e32 v[20:21], 2, v[20:21]
	s_wait_loadcnt 0x0
	v_cmp_neq_f16_e32 vcc_lo, v25, v26
	v_cmp_eq_f16_e64 s2, v25, v26
	s_or_b32 s3, vcc_lo, s3
	s_delay_alu instid0(SALU_CYCLE_1) | instskip(NEXT) | instid1(SALU_CYCLE_1)
	s_and_b32 s3, exec_lo, s3
	s_or_b32 s5, s3, s5
	s_and_not1_b32 s25, s25, exec_lo
	s_and_b32 s28, s2, exec_lo
	s_mov_b64 s[2:3], s[26:27]
	s_or_b32 s25, s25, s28
	s_and_not1_b32 exec_lo, exec_lo, s5
	s_cbranch_execnz .LBB1297_86
; %bb.87:
	s_or_b32 exec_lo, exec_lo, s5
	s_xor_b32 s2, s25, -1
.LBB1297_88:
	s_delay_alu instid0(SALU_CYCLE_1)
	s_and_b32 s2, s2, exec_lo
.LBB1297_89:
	s_or_b32 exec_lo, exec_lo, s4
	s_wait_dscnt 0x0
	v_cndmask_b32_e64 v17, 0, 1, s24
	v_cndmask_b32_e64 v31, 0, 1, s7
	;; [unrolled: 1-line block ×3, first 2 shown]
	v_or_b32_e32 v21, v22, v23
.LBB1297_90:
	s_mov_b32 s6, -1
	s_cbranch_execnz .LBB1297_35
.LBB1297_91:
	v_cmp_gt_i64_e64 s7, s[18:19], 0
	v_mad_i32_i24 v26, 0xffffffd0, v0, v24
	s_and_b32 vcc_lo, exec_lo, s17
	ds_store_b64 v26, v[14:15]
	s_cbranch_vccz .LBB1297_106
; %bb.92:
	s_and_not1_b32 vcc_lo, exec_lo, s7
	s_cbranch_vccnz .LBB1297_107
; %bb.93:
	v_mul_u64_e32 v[16:17], s[18:19], v[4:5]
	v_mul_u64_e32 v[20:21], s[18:19], v[14:15]
	s_wait_kmcnt 0x0
	s_add_nc_u64 s[4:5], s[18:19], -1
	s_mov_b32 s25, 0
	s_mov_b64 s[2:3], s[4:5]
                                        ; implicit-def: $sgpr24
	s_delay_alu instid0(VALU_DEP_2) | instskip(NEXT) | instid1(VALU_DEP_2)
	v_lshl_add_u64 v[16:17], v[16:17], 1, s[8:9]
	v_lshl_add_u64 v[20:21], v[20:21], 1, s[8:9]
	s_delay_alu instid0(VALU_DEP_2)
	v_mov_b64_e32 v[22:23], v[16:17]
.LBB1297_94:                            ; =>This Inner Loop Header: Depth=1
	global_load_u16 v24, v[22:23], off
	global_load_u16 v25, v[20:21], off
	s_cmp_eq_u64 s[2:3], 0
	s_add_nc_u64 s[26:27], s[2:3], -1
	s_cselect_b32 s3, -1, 0
	s_wait_xcnt 0x1
	v_add_nc_u64_e32 v[22:23], 2, v[22:23]
	s_wait_xcnt 0x0
	v_add_nc_u64_e32 v[20:21], 2, v[20:21]
	s_wait_loadcnt 0x0
	v_cmp_neq_f16_e32 vcc_lo, v24, v25
	v_cmp_eq_f16_e64 s2, v24, v25
	s_or_b32 s3, vcc_lo, s3
	s_delay_alu instid0(SALU_CYCLE_1) | instskip(NEXT) | instid1(SALU_CYCLE_1)
	s_and_b32 s3, exec_lo, s3
	s_or_b32 s25, s3, s25
	s_and_not1_b32 s24, s24, exec_lo
	s_and_b32 s28, s2, exec_lo
	s_mov_b64 s[2:3], s[26:27]
	s_or_b32 s24, s24, s28
	s_and_not1_b32 exec_lo, exec_lo, s25
	s_cbranch_execnz .LBB1297_94
; %bb.95:
	s_or_b32 exec_lo, exec_lo, s25
	v_mul_u64_e32 v[20:21], s[18:19], v[2:3]
	s_mov_b32 s26, 0
	s_mov_b64 s[2:3], s[4:5]
                                        ; implicit-def: $sgpr25
	s_delay_alu instid0(VALU_DEP_1) | instskip(NEXT) | instid1(VALU_DEP_1)
	v_lshl_add_u64 v[20:21], v[20:21], 1, s[8:9]
	v_mov_b64_e32 v[22:23], v[20:21]
.LBB1297_96:                            ; =>This Inner Loop Header: Depth=1
	global_load_u16 v24, v[22:23], off
	global_load_u16 v25, v[16:17], off
	s_cmp_eq_u64 s[2:3], 0
	s_add_nc_u64 s[28:29], s[2:3], -1
	s_cselect_b32 s3, -1, 0
	s_wait_xcnt 0x1
	v_add_nc_u64_e32 v[22:23], 2, v[22:23]
	s_wait_xcnt 0x0
	v_add_nc_u64_e32 v[16:17], 2, v[16:17]
	s_wait_loadcnt 0x0
	v_cmp_neq_f16_e32 vcc_lo, v24, v25
	v_cmp_eq_f16_e64 s2, v24, v25
	s_or_b32 s3, vcc_lo, s3
	s_delay_alu instid0(SALU_CYCLE_1) | instskip(NEXT) | instid1(SALU_CYCLE_1)
	s_and_b32 s3, exec_lo, s3
	s_or_b32 s26, s3, s26
	s_and_not1_b32 s25, s25, exec_lo
	s_and_b32 s27, s2, exec_lo
	s_mov_b64 s[2:3], s[28:29]
	s_or_b32 s25, s25, s27
	s_and_not1_b32 exec_lo, exec_lo, s26
	s_cbranch_execnz .LBB1297_96
; %bb.97:
	s_or_b32 exec_lo, exec_lo, s26
	v_mul_u64_e32 v[16:17], s[18:19], v[8:9]
	s_mov_b32 s27, 0
	s_mov_b64 s[2:3], s[4:5]
                                        ; implicit-def: $sgpr26
	s_delay_alu instid0(VALU_DEP_1) | instskip(NEXT) | instid1(VALU_DEP_1)
	v_lshl_add_u64 v[16:17], v[16:17], 1, s[8:9]
	v_mov_b64_e32 v[22:23], v[16:17]
.LBB1297_98:                            ; =>This Inner Loop Header: Depth=1
	global_load_u16 v24, v[22:23], off
	global_load_u16 v25, v[20:21], off
	s_cmp_eq_u64 s[2:3], 0
	s_add_nc_u64 s[28:29], s[2:3], -1
	s_cselect_b32 s3, -1, 0
	s_wait_xcnt 0x1
	v_add_nc_u64_e32 v[22:23], 2, v[22:23]
	s_wait_xcnt 0x0
	v_add_nc_u64_e32 v[20:21], 2, v[20:21]
	s_wait_loadcnt 0x0
	v_cmp_neq_f16_e32 vcc_lo, v24, v25
	v_cmp_eq_f16_e64 s2, v24, v25
	s_or_b32 s3, vcc_lo, s3
	s_delay_alu instid0(SALU_CYCLE_1) | instskip(NEXT) | instid1(SALU_CYCLE_1)
	s_and_b32 s3, exec_lo, s3
	s_or_b32 s27, s3, s27
	s_and_not1_b32 s26, s26, exec_lo
	s_and_b32 s30, s2, exec_lo
	s_mov_b64 s[2:3], s[28:29]
	s_or_b32 s26, s26, s30
	s_and_not1_b32 exec_lo, exec_lo, s27
	s_cbranch_execnz .LBB1297_98
; %bb.99:
	s_or_b32 exec_lo, exec_lo, s27
	v_mul_u64_e32 v[20:21], s[18:19], v[6:7]
	s_mov_b32 s28, 0
	s_mov_b64 s[2:3], s[4:5]
                                        ; implicit-def: $sgpr27
	s_delay_alu instid0(VALU_DEP_1) | instskip(NEXT) | instid1(VALU_DEP_1)
	v_lshl_add_u64 v[20:21], v[20:21], 1, s[8:9]
	v_mov_b64_e32 v[22:23], v[20:21]
.LBB1297_100:                           ; =>This Inner Loop Header: Depth=1
	global_load_u16 v24, v[22:23], off
	global_load_u16 v25, v[16:17], off
	s_cmp_eq_u64 s[2:3], 0
	s_add_nc_u64 s[30:31], s[2:3], -1
	s_cselect_b32 s3, -1, 0
	s_wait_xcnt 0x1
	v_add_nc_u64_e32 v[22:23], 2, v[22:23]
	s_wait_xcnt 0x0
	v_add_nc_u64_e32 v[16:17], 2, v[16:17]
	s_wait_loadcnt 0x0
	v_cmp_neq_f16_e32 vcc_lo, v24, v25
	v_cmp_eq_f16_e64 s2, v24, v25
	s_or_b32 s3, vcc_lo, s3
	s_delay_alu instid0(SALU_CYCLE_1) | instskip(NEXT) | instid1(SALU_CYCLE_1)
	s_and_b32 s3, exec_lo, s3
	s_or_b32 s28, s3, s28
	s_and_not1_b32 s27, s27, exec_lo
	s_and_b32 s29, s2, exec_lo
	s_mov_b64 s[2:3], s[30:31]
	s_or_b32 s27, s27, s29
	s_and_not1_b32 exec_lo, exec_lo, s28
	s_cbranch_execnz .LBB1297_100
; %bb.101:
	s_or_b32 exec_lo, exec_lo, s28
	v_mul_u64_e32 v[16:17], s[18:19], v[12:13]
	s_mov_b32 s29, 0
	s_mov_b64 s[2:3], s[4:5]
                                        ; implicit-def: $sgpr28
	s_delay_alu instid0(VALU_DEP_1) | instskip(NEXT) | instid1(VALU_DEP_1)
	v_lshl_add_u64 v[16:17], v[16:17], 1, s[8:9]
	v_mov_b64_e32 v[22:23], v[16:17]
.LBB1297_102:                           ; =>This Inner Loop Header: Depth=1
	global_load_u16 v24, v[22:23], off
	global_load_u16 v25, v[20:21], off
	s_cmp_eq_u64 s[2:3], 0
	s_add_nc_u64 s[30:31], s[2:3], -1
	s_cselect_b32 s3, -1, 0
	s_wait_xcnt 0x1
	v_add_nc_u64_e32 v[22:23], 2, v[22:23]
	s_wait_xcnt 0x0
	v_add_nc_u64_e32 v[20:21], 2, v[20:21]
	s_wait_loadcnt 0x0
	v_cmp_neq_f16_e32 vcc_lo, v24, v25
	v_cmp_eq_f16_e64 s2, v24, v25
	s_or_b32 s3, vcc_lo, s3
	s_delay_alu instid0(SALU_CYCLE_1) | instskip(NEXT) | instid1(SALU_CYCLE_1)
	s_and_b32 s3, exec_lo, s3
	s_or_b32 s29, s3, s29
	s_and_not1_b32 s28, s28, exec_lo
	s_and_b32 s33, s2, exec_lo
	s_mov_b64 s[2:3], s[30:31]
	s_or_b32 s28, s28, s33
	s_and_not1_b32 exec_lo, exec_lo, s29
	s_cbranch_execnz .LBB1297_102
; %bb.103:
	s_or_b32 exec_lo, exec_lo, s29
	v_mul_u64_e32 v[20:21], s[18:19], v[10:11]
	s_mov_b32 s29, 0
                                        ; implicit-def: $sgpr3
	s_delay_alu instid0(VALU_DEP_1)
	v_lshl_add_u64 v[20:21], v[20:21], 1, s[8:9]
.LBB1297_104:                           ; =>This Inner Loop Header: Depth=1
	global_load_u16 v22, v[20:21], off
	global_load_u16 v23, v[16:17], off
	s_cmp_eq_u64 s[4:5], 0
	s_add_nc_u64 s[30:31], s[4:5], -1
	s_cselect_b32 s4, -1, 0
	s_wait_xcnt 0x1
	v_add_nc_u64_e32 v[20:21], 2, v[20:21]
	s_wait_xcnt 0x0
	v_add_nc_u64_e32 v[16:17], 2, v[16:17]
	s_wait_loadcnt 0x0
	v_cmp_neq_f16_e32 vcc_lo, v22, v23
	v_cmp_eq_f16_e64 s2, v22, v23
	s_or_b32 s4, vcc_lo, s4
	s_delay_alu instid0(SALU_CYCLE_1) | instskip(NEXT) | instid1(SALU_CYCLE_1)
	s_and_b32 s4, exec_lo, s4
	s_or_b32 s29, s4, s29
	s_and_not1_b32 s3, s3, exec_lo
	s_and_b32 s2, s2, exec_lo
	s_mov_b64 s[4:5], s[30:31]
	s_or_b32 s3, s3, s2
	s_and_not1_b32 exec_lo, exec_lo, s29
	s_cbranch_execnz .LBB1297_104
; %bb.105:
	s_or_b32 exec_lo, exec_lo, s29
	s_xor_b32 s2, s27, -1
	s_delay_alu instid0(SALU_CYCLE_1) | instskip(SKIP_1) | instid1(SALU_CYCLE_1)
	v_cndmask_b32_e64 v16, 0, 1, s2
	s_xor_b32 s2, s28, -1
	v_cndmask_b32_e64 v17, 0, 1, s2
	s_xor_b32 s2, s25, -1
	s_delay_alu instid0(VALU_DEP_2) | instskip(SKIP_2) | instid1(SALU_CYCLE_1)
	v_lshlrev_b16 v16, 8, v16
	v_cndmask_b32_e64 v31, 0, 1, s2
	s_xor_b32 s2, s24, -1
	v_cndmask_b32_e64 v30, 0, 1, s2
	s_delay_alu instid0(VALU_DEP_3) | instskip(SKIP_1) | instid1(VALU_DEP_1)
	v_lshrrev_b32_e32 v16, 8, v16
	s_xor_b32 s2, s26, -1
	v_and_b32_e32 v16, 1, v16
	s_delay_alu instid0(VALU_DEP_1) | instskip(NEXT) | instid1(VALU_DEP_1)
	v_lshlrev_b16 v16, 8, v16
	v_or_b32_e32 v16, v17, v16
	v_cndmask_b32_e64 v17, 0, 1, s2
	s_xor_b32 s2, s3, -1
	s_delay_alu instid0(VALU_DEP_2)
	v_lshlrev_b32_e32 v16, 16, v16
	s_branch .LBB1297_108
.LBB1297_106:
	s_wait_kmcnt 0x0
                                        ; implicit-def: $sgpr2
                                        ; implicit-def: $vgpr30
                                        ; implicit-def: $vgpr31
                                        ; implicit-def: $vgpr17
                                        ; implicit-def: $vgpr21
                                        ; implicit-def: $vgpr33
                                        ; implicit-def: $vgpr32
                                        ; implicit-def: $vgpr20
	s_cbranch_execnz .LBB1297_115
	s_branch .LBB1297_160
.LBB1297_107:
	v_dual_mov_b32 v16, 0 :: v_dual_mov_b32 v30, 0
	v_dual_mov_b32 v31, 0 :: v_dual_mov_b32 v17, 0
	s_mov_b32 s2, 0
.LBB1297_108:
	s_delay_alu instid0(VALU_DEP_1)
	v_dual_lshrrev_b32 v32, 16, v16 :: v_dual_lshrrev_b32 v20, 24, v16
	v_cndmask_b32_e64 v33, 0, 1, s2
	v_mov_b32_e32 v16, 1
	s_wait_kmcnt 0x0
	s_mov_b32 s4, 0
	s_wait_dscnt 0x0
	s_barrier_signal -1
	s_barrier_wait -1
                                        ; implicit-def: $sgpr2
                                        ; implicit-def: $vgpr21
	s_mov_b32 s3, exec_lo
	v_cmpx_ne_u32_e32 0, v0
	s_xor_b32 s5, exec_lo, s3
	s_cbranch_execz .LBB1297_114
; %bb.109:
	v_lshlrev_b16 v21, 8, v20
	v_lshlrev_b16 v22, 8, v33
	s_and_not1_b32 vcc_lo, exec_lo, s7
	s_mov_b32 s2, 0
	s_delay_alu instid0(VALU_DEP_2) | instskip(NEXT) | instid1(VALU_DEP_1)
	v_bitop3_b16 v21, v32, v21, 0xff bitop3:0xec
	v_dual_lshlrev_b32 v21, 16, v21 :: v_dual_bitop2_b32 v22, 1, v22 bitop3:0x54
	s_delay_alu instid0(VALU_DEP_1) | instskip(NEXT) | instid1(VALU_DEP_1)
	v_and_b32_e32 v22, 0xffff, v22
	v_or_b32_e32 v21, v22, v21
	s_cbranch_vccnz .LBB1297_113
; %bb.110:
	v_add_nc_u32_e32 v22, -8, v26
	v_mul_u64_e32 v[24:25], s[18:19], v[10:11]
	s_add_nc_u64 s[2:3], s[18:19], -1
	s_mov_b32 s24, 0
                                        ; implicit-def: $sgpr25
	ds_load_b64 v[22:23], v22
	s_wait_dscnt 0x0
	v_mul_u64_e32 v[22:23], s[18:19], v[22:23]
	v_lshl_add_u64 v[24:25], v[24:25], 1, s[8:9]
	s_delay_alu instid0(VALU_DEP_2)
	v_lshl_add_u64 v[22:23], v[22:23], 1, s[8:9]
.LBB1297_111:                           ; =>This Inner Loop Header: Depth=1
	global_load_u16 v27, v[22:23], off
	global_load_u16 v28, v[24:25], off
	s_cmp_eq_u64 s[2:3], 0
	s_add_nc_u64 s[26:27], s[2:3], -1
	s_cselect_b32 s3, -1, 0
	s_wait_xcnt 0x1
	v_add_nc_u64_e32 v[22:23], 2, v[22:23]
	s_wait_xcnt 0x0
	v_add_nc_u64_e32 v[24:25], 2, v[24:25]
	s_wait_loadcnt 0x0
	v_cmp_neq_f16_e32 vcc_lo, v27, v28
	v_cmp_eq_f16_e64 s2, v27, v28
	s_or_b32 s3, vcc_lo, s3
	s_delay_alu instid0(SALU_CYCLE_1) | instskip(NEXT) | instid1(SALU_CYCLE_1)
	s_and_b32 s3, exec_lo, s3
	s_or_b32 s24, s3, s24
	s_and_not1_b32 s25, s25, exec_lo
	s_and_b32 s28, s2, exec_lo
	s_mov_b64 s[2:3], s[26:27]
	s_or_b32 s25, s25, s28
	s_and_not1_b32 exec_lo, exec_lo, s24
	s_cbranch_execnz .LBB1297_111
; %bb.112:
	s_or_b32 exec_lo, exec_lo, s24
	s_xor_b32 s2, s25, -1
.LBB1297_113:
	s_delay_alu instid0(VALU_DEP_1)
	v_perm_b32 v21, v21, v21, 0x3020104
	s_or_b32 s6, s6, exec_lo
.LBB1297_114:
	s_or_b32 exec_lo, exec_lo, s5
	s_delay_alu instid0(SALU_CYCLE_1)
	s_and_b32 vcc_lo, exec_lo, s4
	s_cbranch_vccz .LBB1297_160
.LBB1297_115:
	v_add_nc_u32_e32 v16, 6, v19
	s_mov_b32 s5, 0
	s_mov_b32 s4, 0
	s_mov_b32 s24, exec_lo
	s_delay_alu instid0(VALU_DEP_1)
	v_cmpx_gt_u32_e64 s21, v16
	s_cbranch_execz .LBB1297_121
; %bb.116:
	s_and_not1_b32 vcc_lo, exec_lo, s7
	s_mov_b32 s2, 0
	s_cbranch_vccnz .LBB1297_120
; %bb.117:
	v_mul_u64_e32 v[16:17], s[18:19], v[4:5]
	v_mul_u64_e32 v[20:21], s[18:19], v[14:15]
	s_add_nc_u64 s[2:3], s[18:19], -1
                                        ; implicit-def: $sgpr25
	s_delay_alu instid0(VALU_DEP_2) | instskip(NEXT) | instid1(VALU_DEP_2)
	v_lshl_add_u64 v[16:17], v[16:17], 1, s[8:9]
	v_lshl_add_u64 v[20:21], v[20:21], 1, s[8:9]
.LBB1297_118:                           ; =>This Inner Loop Header: Depth=1
	global_load_u16 v22, v[16:17], off
	global_load_u16 v23, v[20:21], off
	s_cmp_eq_u64 s[2:3], 0
	s_add_nc_u64 s[26:27], s[2:3], -1
	s_cselect_b32 s3, -1, 0
	s_wait_xcnt 0x1
	v_add_nc_u64_e32 v[16:17], 2, v[16:17]
	s_wait_xcnt 0x0
	v_add_nc_u64_e32 v[20:21], 2, v[20:21]
	s_wait_loadcnt 0x0
	v_cmp_neq_f16_e32 vcc_lo, v22, v23
	v_cmp_eq_f16_e64 s2, v22, v23
	s_or_b32 s3, vcc_lo, s3
	s_delay_alu instid0(SALU_CYCLE_1) | instskip(NEXT) | instid1(SALU_CYCLE_1)
	s_and_b32 s3, exec_lo, s3
	s_or_b32 s4, s3, s4
	s_and_not1_b32 s25, s25, exec_lo
	s_and_b32 s28, s2, exec_lo
	s_mov_b64 s[2:3], s[26:27]
	s_or_b32 s25, s25, s28
	s_and_not1_b32 exec_lo, exec_lo, s4
	s_cbranch_execnz .LBB1297_118
; %bb.119:
	s_or_b32 exec_lo, exec_lo, s4
	s_xor_b32 s2, s25, -1
.LBB1297_120:
	s_delay_alu instid0(SALU_CYCLE_1)
	s_and_b32 s4, s2, exec_lo
.LBB1297_121:
	s_or_b32 exec_lo, exec_lo, s24
	v_add_nc_u32_e32 v16, 5, v19
	s_mov_b32 s24, exec_lo
	s_delay_alu instid0(VALU_DEP_1)
	v_cmpx_gt_u32_e64 s21, v16
	s_cbranch_execz .LBB1297_127
; %bb.122:
	s_and_not1_b32 vcc_lo, exec_lo, s7
	s_mov_b32 s2, 0
	s_cbranch_vccnz .LBB1297_126
; %bb.123:
	v_mul_u64_e32 v[16:17], s[18:19], v[2:3]
	v_mul_u64_e32 v[20:21], s[18:19], v[4:5]
	s_add_nc_u64 s[2:3], s[18:19], -1
	s_mov_b32 s5, 0
                                        ; implicit-def: $sgpr25
	s_delay_alu instid0(VALU_DEP_2) | instskip(NEXT) | instid1(VALU_DEP_2)
	v_lshl_add_u64 v[16:17], v[16:17], 1, s[8:9]
	v_lshl_add_u64 v[20:21], v[20:21], 1, s[8:9]
.LBB1297_124:                           ; =>This Inner Loop Header: Depth=1
	global_load_u16 v22, v[16:17], off
	global_load_u16 v23, v[20:21], off
	s_cmp_eq_u64 s[2:3], 0
	s_add_nc_u64 s[26:27], s[2:3], -1
	s_cselect_b32 s3, -1, 0
	s_wait_xcnt 0x1
	v_add_nc_u64_e32 v[16:17], 2, v[16:17]
	s_wait_xcnt 0x0
	v_add_nc_u64_e32 v[20:21], 2, v[20:21]
	s_wait_loadcnt 0x0
	v_cmp_neq_f16_e32 vcc_lo, v22, v23
	v_cmp_eq_f16_e64 s2, v22, v23
	s_or_b32 s3, vcc_lo, s3
	s_delay_alu instid0(SALU_CYCLE_1) | instskip(NEXT) | instid1(SALU_CYCLE_1)
	s_and_b32 s3, exec_lo, s3
	s_or_b32 s5, s3, s5
	s_and_not1_b32 s25, s25, exec_lo
	s_and_b32 s28, s2, exec_lo
	s_mov_b64 s[2:3], s[26:27]
	s_or_b32 s25, s25, s28
	s_and_not1_b32 exec_lo, exec_lo, s5
	s_cbranch_execnz .LBB1297_124
; %bb.125:
	s_or_b32 exec_lo, exec_lo, s5
	s_xor_b32 s2, s25, -1
.LBB1297_126:
	s_delay_alu instid0(SALU_CYCLE_1)
	s_and_b32 s5, s2, exec_lo
.LBB1297_127:
	s_or_b32 exec_lo, exec_lo, s24
	v_add_nc_u32_e32 v16, 4, v19
	s_mov_b32 s24, 0
	s_mov_b32 s25, 0
	s_mov_b32 s26, exec_lo
	s_delay_alu instid0(VALU_DEP_1)
	v_cmpx_gt_u32_e64 s21, v16
	s_cbranch_execz .LBB1297_133
; %bb.128:
	s_and_not1_b32 vcc_lo, exec_lo, s7
	s_mov_b32 s2, 0
	s_cbranch_vccnz .LBB1297_132
; %bb.129:
	v_mul_u64_e32 v[16:17], s[18:19], v[8:9]
	v_mul_u64_e32 v[20:21], s[18:19], v[2:3]
	s_add_nc_u64 s[2:3], s[18:19], -1
                                        ; implicit-def: $sgpr27
	s_delay_alu instid0(VALU_DEP_2) | instskip(NEXT) | instid1(VALU_DEP_2)
	v_lshl_add_u64 v[16:17], v[16:17], 1, s[8:9]
	v_lshl_add_u64 v[20:21], v[20:21], 1, s[8:9]
.LBB1297_130:                           ; =>This Inner Loop Header: Depth=1
	global_load_u16 v22, v[16:17], off
	global_load_u16 v23, v[20:21], off
	s_cmp_eq_u64 s[2:3], 0
	s_add_nc_u64 s[28:29], s[2:3], -1
	s_cselect_b32 s3, -1, 0
	s_wait_xcnt 0x1
	v_add_nc_u64_e32 v[16:17], 2, v[16:17]
	s_wait_xcnt 0x0
	v_add_nc_u64_e32 v[20:21], 2, v[20:21]
	s_wait_loadcnt 0x0
	v_cmp_neq_f16_e32 vcc_lo, v22, v23
	v_cmp_eq_f16_e64 s2, v22, v23
	s_or_b32 s3, vcc_lo, s3
	s_delay_alu instid0(SALU_CYCLE_1) | instskip(NEXT) | instid1(SALU_CYCLE_1)
	s_and_b32 s3, exec_lo, s3
	s_or_b32 s25, s3, s25
	s_and_not1_b32 s27, s27, exec_lo
	s_and_b32 s30, s2, exec_lo
	s_mov_b64 s[2:3], s[28:29]
	s_or_b32 s27, s27, s30
	s_and_not1_b32 exec_lo, exec_lo, s25
	s_cbranch_execnz .LBB1297_130
; %bb.131:
	s_or_b32 exec_lo, exec_lo, s25
	s_xor_b32 s2, s27, -1
.LBB1297_132:
	s_delay_alu instid0(SALU_CYCLE_1)
	s_and_b32 s25, s2, exec_lo
.LBB1297_133:
	s_or_b32 exec_lo, exec_lo, s26
	v_add_nc_u32_e32 v16, 3, v19
	s_mov_b32 s26, exec_lo
	s_delay_alu instid0(VALU_DEP_1)
	v_cmpx_gt_u32_e64 s21, v16
	s_cbranch_execz .LBB1297_139
; %bb.134:
	s_and_not1_b32 vcc_lo, exec_lo, s7
	s_mov_b32 s2, 0
	s_cbranch_vccnz .LBB1297_138
; %bb.135:
	v_mul_u64_e32 v[16:17], s[18:19], v[6:7]
	v_mul_u64_e32 v[20:21], s[18:19], v[8:9]
	s_add_nc_u64 s[2:3], s[18:19], -1
	s_mov_b32 s24, 0
                                        ; implicit-def: $sgpr27
	s_delay_alu instid0(VALU_DEP_2) | instskip(NEXT) | instid1(VALU_DEP_2)
	v_lshl_add_u64 v[16:17], v[16:17], 1, s[8:9]
	v_lshl_add_u64 v[20:21], v[20:21], 1, s[8:9]
.LBB1297_136:                           ; =>This Inner Loop Header: Depth=1
	global_load_u16 v22, v[16:17], off
	global_load_u16 v23, v[20:21], off
	s_cmp_eq_u64 s[2:3], 0
	s_add_nc_u64 s[28:29], s[2:3], -1
	s_cselect_b32 s3, -1, 0
	s_wait_xcnt 0x1
	v_add_nc_u64_e32 v[16:17], 2, v[16:17]
	s_wait_xcnt 0x0
	v_add_nc_u64_e32 v[20:21], 2, v[20:21]
	s_wait_loadcnt 0x0
	v_cmp_neq_f16_e32 vcc_lo, v22, v23
	v_cmp_eq_f16_e64 s2, v22, v23
	s_or_b32 s3, vcc_lo, s3
	s_delay_alu instid0(SALU_CYCLE_1) | instskip(NEXT) | instid1(SALU_CYCLE_1)
	s_and_b32 s3, exec_lo, s3
	s_or_b32 s24, s3, s24
	s_and_not1_b32 s27, s27, exec_lo
	s_and_b32 s30, s2, exec_lo
	s_mov_b64 s[2:3], s[28:29]
	s_or_b32 s27, s27, s30
	s_and_not1_b32 exec_lo, exec_lo, s24
	s_cbranch_execnz .LBB1297_136
; %bb.137:
	s_or_b32 exec_lo, exec_lo, s24
	s_xor_b32 s2, s27, -1
.LBB1297_138:
	s_delay_alu instid0(SALU_CYCLE_1)
	s_and_b32 s24, s2, exec_lo
.LBB1297_139:
	s_or_b32 exec_lo, exec_lo, s26
	v_add_nc_u32_e32 v16, 2, v19
	s_mov_b32 s26, 0
	s_mov_b32 s27, 0
	s_mov_b32 s28, exec_lo
	s_delay_alu instid0(VALU_DEP_1)
	v_cmpx_gt_u32_e64 s21, v16
	s_cbranch_execz .LBB1297_145
; %bb.140:
	s_and_not1_b32 vcc_lo, exec_lo, s7
	s_mov_b32 s2, 0
	s_cbranch_vccnz .LBB1297_144
; %bb.141:
	v_mul_u64_e32 v[16:17], s[18:19], v[12:13]
	v_mul_u64_e32 v[20:21], s[18:19], v[6:7]
	s_add_nc_u64 s[2:3], s[18:19], -1
                                        ; implicit-def: $sgpr29
	s_delay_alu instid0(VALU_DEP_2) | instskip(NEXT) | instid1(VALU_DEP_2)
	v_lshl_add_u64 v[16:17], v[16:17], 1, s[8:9]
	v_lshl_add_u64 v[20:21], v[20:21], 1, s[8:9]
.LBB1297_142:                           ; =>This Inner Loop Header: Depth=1
	global_load_u16 v22, v[16:17], off
	global_load_u16 v23, v[20:21], off
	s_cmp_eq_u64 s[2:3], 0
	s_add_nc_u64 s[30:31], s[2:3], -1
	s_cselect_b32 s3, -1, 0
	s_wait_xcnt 0x1
	v_add_nc_u64_e32 v[16:17], 2, v[16:17]
	s_wait_xcnt 0x0
	v_add_nc_u64_e32 v[20:21], 2, v[20:21]
	s_wait_loadcnt 0x0
	v_cmp_neq_f16_e32 vcc_lo, v22, v23
	v_cmp_eq_f16_e64 s2, v22, v23
	s_or_b32 s3, vcc_lo, s3
	s_delay_alu instid0(SALU_CYCLE_1) | instskip(NEXT) | instid1(SALU_CYCLE_1)
	s_and_b32 s3, exec_lo, s3
	s_or_b32 s27, s3, s27
	s_and_not1_b32 s29, s29, exec_lo
	s_and_b32 s33, s2, exec_lo
	s_mov_b64 s[2:3], s[30:31]
	s_or_b32 s29, s29, s33
	s_and_not1_b32 exec_lo, exec_lo, s27
	s_cbranch_execnz .LBB1297_142
; %bb.143:
	s_or_b32 exec_lo, exec_lo, s27
	s_xor_b32 s2, s29, -1
.LBB1297_144:
	s_delay_alu instid0(SALU_CYCLE_1)
	s_and_b32 s27, s2, exec_lo
.LBB1297_145:
	s_or_b32 exec_lo, exec_lo, s28
	v_add_nc_u32_e32 v16, 1, v19
	s_mov_b32 s28, exec_lo
	s_delay_alu instid0(VALU_DEP_1)
	v_cmpx_gt_u32_e64 s21, v16
	s_cbranch_execz .LBB1297_151
; %bb.146:
	s_and_not1_b32 vcc_lo, exec_lo, s7
	s_mov_b32 s2, 0
	s_cbranch_vccnz .LBB1297_150
; %bb.147:
	v_mul_u64_e32 v[16:17], s[18:19], v[10:11]
	v_mul_u64_e32 v[20:21], s[18:19], v[12:13]
	s_add_nc_u64 s[2:3], s[18:19], -1
	s_mov_b32 s26, 0
                                        ; implicit-def: $sgpr29
	s_delay_alu instid0(VALU_DEP_2) | instskip(NEXT) | instid1(VALU_DEP_2)
	v_lshl_add_u64 v[16:17], v[16:17], 1, s[8:9]
	v_lshl_add_u64 v[20:21], v[20:21], 1, s[8:9]
.LBB1297_148:                           ; =>This Inner Loop Header: Depth=1
	global_load_u16 v22, v[16:17], off
	global_load_u16 v23, v[20:21], off
	s_cmp_eq_u64 s[2:3], 0
	s_add_nc_u64 s[30:31], s[2:3], -1
	s_cselect_b32 s3, -1, 0
	s_wait_xcnt 0x1
	v_add_nc_u64_e32 v[16:17], 2, v[16:17]
	s_wait_xcnt 0x0
	v_add_nc_u64_e32 v[20:21], 2, v[20:21]
	s_wait_loadcnt 0x0
	v_cmp_neq_f16_e32 vcc_lo, v22, v23
	v_cmp_eq_f16_e64 s2, v22, v23
	s_or_b32 s3, vcc_lo, s3
	s_delay_alu instid0(SALU_CYCLE_1) | instskip(NEXT) | instid1(SALU_CYCLE_1)
	s_and_b32 s3, exec_lo, s3
	s_or_b32 s26, s3, s26
	s_and_not1_b32 s29, s29, exec_lo
	s_and_b32 s33, s2, exec_lo
	s_mov_b64 s[2:3], s[30:31]
	s_or_b32 s29, s29, s33
	s_and_not1_b32 exec_lo, exec_lo, s26
	s_cbranch_execnz .LBB1297_148
; %bb.149:
	s_or_b32 exec_lo, exec_lo, s26
	s_xor_b32 s2, s29, -1
.LBB1297_150:
	s_delay_alu instid0(SALU_CYCLE_1)
	s_and_b32 s26, s2, exec_lo
.LBB1297_151:
	s_or_b32 exec_lo, exec_lo, s28
	v_cndmask_b32_e64 v17, 0, 1, s25
	v_cndmask_b32_e64 v31, 0, 1, s5
	;; [unrolled: 1-line block ×6, first 2 shown]
	v_mov_b32_e32 v16, 1
	s_mov_b32 s2, 0
	s_mov_b32 s4, exec_lo
	s_wait_dscnt 0x0
	s_barrier_signal -1
	s_barrier_wait -1
                                        ; implicit-def: $vgpr21
	v_cmpx_ne_u32_e32 0, v0
	s_cbranch_execz .LBB1297_159
; %bb.152:
	v_lshlrev_b16 v21, 8, v33
	v_lshlrev_b16 v22, 8, v20
	s_mov_b32 s5, exec_lo
	s_delay_alu instid0(VALU_DEP_1) | instskip(NEXT) | instid1(VALU_DEP_1)
	v_or_b32_e32 v22, v32, v22
	v_dual_lshlrev_b32 v22, 16, v22 :: v_dual_bitop2_b32 v21, 1, v21 bitop3:0x54
	s_delay_alu instid0(VALU_DEP_1) | instskip(NEXT) | instid1(VALU_DEP_1)
	v_and_b32_e32 v21, 0xffff, v21
	v_or_b32_e32 v21, v21, v22
	v_cmpx_gt_u32_e64 s21, v19
	s_cbranch_execz .LBB1297_158
; %bb.153:
	s_and_not1_b32 vcc_lo, exec_lo, s7
	s_cbranch_vccnz .LBB1297_157
; %bb.154:
	v_add_nc_u32_e32 v22, -8, v26
	v_mul_u64_e32 v[24:25], s[18:19], v[10:11]
	s_add_nc_u64 s[2:3], s[18:19], -1
	s_mov_b32 s7, 0
	ds_load_b64 v[22:23], v22
	s_wait_dscnt 0x0
	v_mul_u64_e32 v[22:23], s[18:19], v[22:23]
	v_lshl_add_u64 v[24:25], v[24:25], 1, s[8:9]
	s_delay_alu instid0(VALU_DEP_2)
	v_lshl_add_u64 v[22:23], v[22:23], 1, s[8:9]
                                        ; implicit-def: $sgpr8
.LBB1297_155:                           ; =>This Inner Loop Header: Depth=1
	global_load_u16 v26, v[22:23], off
	global_load_u16 v27, v[24:25], off
	s_cmp_eq_u64 s[2:3], 0
	s_add_nc_u64 s[18:19], s[2:3], -1
	s_cselect_b32 s3, -1, 0
	s_wait_xcnt 0x1
	v_add_nc_u64_e32 v[22:23], 2, v[22:23]
	s_wait_xcnt 0x0
	v_add_nc_u64_e32 v[24:25], 2, v[24:25]
	s_wait_loadcnt 0x0
	v_cmp_neq_f16_e32 vcc_lo, v26, v27
	v_cmp_eq_f16_e64 s2, v26, v27
	s_or_b32 s3, vcc_lo, s3
	s_delay_alu instid0(SALU_CYCLE_1) | instskip(NEXT) | instid1(SALU_CYCLE_1)
	s_and_b32 s3, exec_lo, s3
	s_or_b32 s7, s3, s7
	s_and_not1_b32 s8, s8, exec_lo
	s_and_b32 s9, s2, exec_lo
	s_mov_b64 s[2:3], s[18:19]
	s_or_b32 s8, s8, s9
	s_and_not1_b32 exec_lo, exec_lo, s7
	s_cbranch_execnz .LBB1297_155
; %bb.156:
	s_or_b32 exec_lo, exec_lo, s7
	s_xor_b32 s2, s8, -1
.LBB1297_157:
	s_delay_alu instid0(SALU_CYCLE_1)
	s_and_b32 s2, s2, exec_lo
.LBB1297_158:
	s_or_b32 exec_lo, exec_lo, s5
	s_delay_alu instid0(VALU_DEP_2)
	v_perm_b32 v21, v21, v21, 0x3020104
	s_or_b32 s6, s6, exec_lo
.LBB1297_159:
	s_or_b32 exec_lo, exec_lo, s4
.LBB1297_160:
	s_and_saveexec_b32 s3, s6
; %bb.161:
	s_delay_alu instid0(VALU_DEP_1)
	v_dual_lshrrev_b32 v20, 24, v21 :: v_dual_lshrrev_b32 v32, 16, v21
	v_lshrrev_b32_e32 v33, 8, v21
	v_cndmask_b32_e64 v16, 0, 1, s2
; %bb.162:
	s_or_b32 exec_lo, exec_lo, s3
	s_delay_alu instid0(SALU_CYCLE_1)
	s_and_not1_b32 vcc_lo, exec_lo, s22
	s_cbranch_vccnz .LBB1297_166
; %bb.163:
	s_delay_alu instid0(VALU_DEP_1)
	v_perm_b32 v16, v16, v33, 0xc0c0004
	v_perm_b32 v20, v32, v20, 0xc0c0004
	v_cmp_gt_u32_e32 vcc_lo, s21, v19
	v_and_b32_e32 v22, 0xff, v30
	v_perm_b32 v17, v17, v31, 0xc0c0004
	v_add_nc_u32_e32 v21, 1, v19
	v_lshl_or_b32 v16, v20, 16, v16
	s_delay_alu instid0(VALU_DEP_1) | instskip(NEXT) | instid1(VALU_DEP_3)
	v_dual_cndmask_b32 v20, 0, v16 :: v_dual_add_nc_u32 v23, 4, v19
	v_cmp_gt_u32_e32 vcc_lo, s21, v21
	v_dual_lshlrev_b32 v21, 16, v22 :: v_dual_add_nc_u32 v22, 2, v19
	s_delay_alu instid0(VALU_DEP_3) | instskip(NEXT) | instid1(VALU_DEP_1)
	v_and_b32_e32 v20, 0xff, v20
	v_cndmask_b32_e32 v20, v20, v16, vcc_lo
	s_delay_alu instid0(VALU_DEP_3) | instskip(NEXT) | instid1(VALU_DEP_2)
	v_cmp_gt_u32_e32 vcc_lo, s21, v22
	v_and_b32_e32 v20, 0xffff, v20
	v_or_b32_e32 v24, v17, v21
	v_bitop3_b32 v17, v17, 0xffff00, v21 bitop3:0xc8
	s_delay_alu instid0(VALU_DEP_3) | instskip(SKIP_1) | instid1(VALU_DEP_2)
	v_dual_cndmask_b32 v20, v20, v16 :: v_dual_add_nc_u32 v21, 5, v19
	v_cmp_gt_u32_e32 vcc_lo, s21, v23
	v_cmp_gt_u32_e64 s2, s21, v21
	s_delay_alu instid0(VALU_DEP_3) | instskip(SKIP_3) | instid1(VALU_DEP_2)
	v_and_b32_e32 v20, 0xffffff, v20
	v_dual_cndmask_b32 v17, v17, v24 :: v_dual_add_nc_u32 v22, 3, v19
	s_or_b32 vcc_lo, s2, vcc_lo
	v_add_nc_u32_e32 v19, 6, v19
	v_cmp_gt_u32_e64 s3, s21, v22
	s_delay_alu instid0(VALU_DEP_3) | instskip(NEXT) | instid1(VALU_DEP_2)
	v_and_b32_e32 v17, 0xffff00ff, v17
	v_cndmask_b32_e64 v20, v20, v16, s3
	s_delay_alu instid0(VALU_DEP_2) | instskip(SKIP_1) | instid1(VALU_DEP_1)
	v_cndmask_b32_e64 v17, v17, v24, s2
	s_mov_b32 s2, exec_lo
	v_dual_cndmask_b32 v16, v20, v16, vcc_lo :: v_dual_lshrrev_b32 v30, 16, v17
	v_lshrrev_b32_e32 v31, 8, v17
	s_delay_alu instid0(VALU_DEP_2)
	v_lshrrev_b64 v[20:21], 24, v[16:17]
	v_dual_lshrrev_b32 v32, 16, v16 :: v_dual_lshrrev_b32 v33, 8, v16
	v_cmpx_le_u32_e64 s21, v19
; %bb.164:
	v_mov_b32_e32 v30, 0
; %bb.165:
	s_or_b32 exec_lo, exec_lo, s2
.LBB1297_166:
	s_delay_alu instid0(VALU_DEP_1)
	v_and_b32_e32 v19, 0xff, v16
	v_and_b32_e32 v21, 0xff, v33
	;; [unrolled: 1-line block ×5, first 2 shown]
	v_mbcnt_lo_u32_b32 v38, -1, 0
	v_and_b32_e32 v37, 0xff, v31
	v_add3_u32 v22, v21, v19, v34
	v_and_b32_e32 v23, 0xff, v30
	s_delay_alu instid0(VALU_DEP_4) | instskip(SKIP_1) | instid1(VALU_DEP_3)
	v_dual_lshrrev_b32 v39, 5, v0 :: v_dual_bitop2_b32 v24, 15, v38 bitop3:0x40
	s_and_b32 vcc_lo, exec_lo, s23
	v_add3_u32 v22, v22, v35, v36
	s_mov_b32 s8, -1
	s_wait_dscnt 0x0
	v_cmp_eq_u32_e64 s2, 0, v24
	s_wait_kmcnt 0x0
	v_cmp_lt_u32_e64 s4, 1, v24
	v_add3_u32 v40, v22, v37, v23
	v_and_b32_e32 v22, 16, v38
	v_or_b32_e32 v23, 31, v0
	v_cmp_lt_u32_e64 s5, 3, v24
	v_cmp_lt_u32_e64 s3, 7, v24
	s_barrier_signal -1
	v_cmp_eq_u32_e64 s7, 0, v22
	v_cmp_eq_u32_e64 s6, v0, v23
	s_barrier_wait -1
                                        ; implicit-def: $vgpr25
                                        ; implicit-def: $vgpr26
                                        ; implicit-def: $vgpr27
                                        ; implicit-def: $vgpr28
                                        ; implicit-def: $vgpr29
                                        ; implicit-def: $vgpr41
                                        ; implicit-def: $vgpr42
                                        ; implicit-def: $vgpr24
                                        ; implicit-def: $vgpr22
	s_cbranch_vccz .LBB1297_193
; %bb.167:
	v_mov_b32_dpp v22, v40 row_shr:1 row_mask:0xf bank_mask:0xf
	s_delay_alu instid0(VALU_DEP_1) | instskip(NEXT) | instid1(VALU_DEP_1)
	v_cndmask_b32_e64 v22, v22, 0, s2
	v_add_nc_u32_e32 v22, v22, v40
	s_delay_alu instid0(VALU_DEP_1) | instskip(NEXT) | instid1(VALU_DEP_1)
	v_mov_b32_dpp v23, v22 row_shr:2 row_mask:0xf bank_mask:0xf
	v_cndmask_b32_e64 v23, 0, v23, s4
	s_delay_alu instid0(VALU_DEP_1) | instskip(NEXT) | instid1(VALU_DEP_1)
	v_add_nc_u32_e32 v22, v22, v23
	v_mov_b32_dpp v23, v22 row_shr:4 row_mask:0xf bank_mask:0xf
	s_delay_alu instid0(VALU_DEP_1) | instskip(NEXT) | instid1(VALU_DEP_1)
	v_cndmask_b32_e64 v23, 0, v23, s5
	v_add_nc_u32_e32 v22, v22, v23
	s_delay_alu instid0(VALU_DEP_1) | instskip(NEXT) | instid1(VALU_DEP_1)
	v_mov_b32_dpp v23, v22 row_shr:8 row_mask:0xf bank_mask:0xf
	v_cndmask_b32_e64 v23, 0, v23, s3
	s_delay_alu instid0(VALU_DEP_1) | instskip(SKIP_3) | instid1(VALU_DEP_1)
	v_add_nc_u32_e32 v22, v22, v23
	ds_swizzle_b32 v23, v22 offset:swizzle(BROADCAST,32,15)
	s_wait_dscnt 0x0
	v_cndmask_b32_e64 v23, v23, 0, s7
	v_add_nc_u32_e32 v22, v22, v23
	s_and_saveexec_b32 s8, s6
; %bb.168:
	v_lshlrev_b32_e32 v23, 2, v39
	ds_store_b32 v23, v22
; %bb.169:
	s_or_b32 exec_lo, exec_lo, s8
	s_delay_alu instid0(SALU_CYCLE_1)
	s_mov_b32 s8, exec_lo
	s_wait_dscnt 0x0
	s_barrier_signal -1
	s_barrier_wait -1
	v_cmpx_gt_u32_e32 16, v0
	s_cbranch_execz .LBB1297_171
; %bb.170:
	v_lshlrev_b32_e32 v23, 2, v0
	ds_load_b32 v24, v23
	s_wait_dscnt 0x0
	v_mov_b32_dpp v25, v24 row_shr:1 row_mask:0xf bank_mask:0xf
	s_delay_alu instid0(VALU_DEP_1) | instskip(NEXT) | instid1(VALU_DEP_1)
	v_cndmask_b32_e64 v25, v25, 0, s2
	v_add_nc_u32_e32 v24, v25, v24
	s_delay_alu instid0(VALU_DEP_1) | instskip(NEXT) | instid1(VALU_DEP_1)
	v_mov_b32_dpp v25, v24 row_shr:2 row_mask:0xf bank_mask:0xf
	v_cndmask_b32_e64 v25, 0, v25, s4
	s_delay_alu instid0(VALU_DEP_1) | instskip(NEXT) | instid1(VALU_DEP_1)
	v_add_nc_u32_e32 v24, v24, v25
	v_mov_b32_dpp v25, v24 row_shr:4 row_mask:0xf bank_mask:0xf
	s_delay_alu instid0(VALU_DEP_1) | instskip(NEXT) | instid1(VALU_DEP_1)
	v_cndmask_b32_e64 v25, 0, v25, s5
	v_add_nc_u32_e32 v24, v24, v25
	s_delay_alu instid0(VALU_DEP_1) | instskip(NEXT) | instid1(VALU_DEP_1)
	v_mov_b32_dpp v25, v24 row_shr:8 row_mask:0xf bank_mask:0xf
	v_cndmask_b32_e64 v25, 0, v25, s3
	s_delay_alu instid0(VALU_DEP_1)
	v_add_nc_u32_e32 v24, v24, v25
	ds_store_b32 v23, v24
.LBB1297_171:
	s_or_b32 exec_lo, exec_lo, s8
	s_delay_alu instid0(SALU_CYCLE_1)
	s_mov_b32 s9, exec_lo
	v_cmp_gt_u32_e32 vcc_lo, 32, v0
	s_wait_dscnt 0x0
	s_barrier_signal -1
	s_barrier_wait -1
                                        ; implicit-def: $vgpr41
	v_cmpx_lt_u32_e32 31, v0
	s_cbranch_execz .LBB1297_173
; %bb.172:
	v_lshl_add_u32 v23, v39, 2, -4
	ds_load_b32 v41, v23
	s_wait_dscnt 0x0
	v_add_nc_u32_e32 v22, v41, v22
.LBB1297_173:
	s_or_b32 exec_lo, exec_lo, s9
	v_sub_co_u32 v23, s8, v38, 1
	s_delay_alu instid0(VALU_DEP_1) | instskip(NEXT) | instid1(VALU_DEP_1)
	v_cmp_gt_i32_e64 s9, 0, v23
	v_cndmask_b32_e64 v23, v23, v38, s9
	s_delay_alu instid0(VALU_DEP_1)
	v_lshlrev_b32_e32 v23, 2, v23
	ds_bpermute_b32 v42, v23, v22
	s_and_saveexec_b32 s9, vcc_lo
	s_cbranch_execz .LBB1297_192
; %bb.174:
	v_mov_b32_e32 v29, 0
	ds_load_b32 v22, v29 offset:60
	s_and_saveexec_b32 s18, s8
	s_cbranch_execz .LBB1297_176
; %bb.175:
	s_add_co_i32 s19, s20, 32
	s_delay_alu instid0(SALU_CYCLE_1)
	v_dual_mov_b32 v23, 1 :: v_dual_mov_b32 v24, s19
	s_wait_dscnt 0x0
	global_store_b64 v24, v[22:23], s[10:11] scale_offset scope:SCOPE_DEV
.LBB1297_176:
	s_wait_xcnt 0x0
	s_or_b32 exec_lo, exec_lo, s18
	v_xad_u32 v24, v38, -1, s20
	s_mov_b32 s19, 0
	s_mov_b32 s18, exec_lo
	s_delay_alu instid0(VALU_DEP_1) | instskip(SKIP_4) | instid1(VALU_DEP_1)
	v_add_nc_u32_e32 v28, 32, v24
	global_load_b64 v[26:27], v28, s[10:11] scale_offset scope:SCOPE_DEV
	s_wait_loadcnt 0x0
	v_and_b32_e32 v23, 0xff, v27
	s_wait_xcnt 0x0
	v_cmpx_eq_u16_e32 0, v23
	s_cbranch_execz .LBB1297_180
; %bb.177:
	v_lshl_add_u64 v[28:29], v[28:29], 3, s[10:11]
.LBB1297_178:                           ; =>This Inner Loop Header: Depth=1
	global_load_b64 v[26:27], v[28:29], off scope:SCOPE_DEV
	s_wait_loadcnt 0x0
	v_and_b32_e32 v23, 0xff, v27
	s_delay_alu instid0(VALU_DEP_1)
	v_cmp_ne_u16_e32 vcc_lo, 0, v23
	s_or_b32 s19, vcc_lo, s19
	s_wait_xcnt 0x0
	s_and_not1_b32 exec_lo, exec_lo, s19
	s_cbranch_execnz .LBB1297_178
; %bb.179:
	s_or_b32 exec_lo, exec_lo, s19
.LBB1297_180:
	s_delay_alu instid0(SALU_CYCLE_1)
	s_or_b32 exec_lo, exec_lo, s18
	v_cmp_ne_u32_e32 vcc_lo, 31, v38
	v_lshlrev_b32_e64 v44, v38, -1
	v_dual_add_nc_u32 v46, 2, v38 :: v_dual_add_nc_u32 v48, 4, v38
	v_dual_add_nc_u32 v50, 8, v38 :: v_dual_add_nc_u32 v52, 16, v38
	v_add_co_ci_u32_e64 v23, null, 0, v38, vcc_lo
	v_lshl_or_b32 v51, v38, 2, 64
	s_delay_alu instid0(VALU_DEP_2)
	v_lshlrev_b32_e32 v43, 2, v23
	v_and_b32_e32 v23, 0xff, v27
	ds_bpermute_b32 v25, v43, v26
	v_cmp_eq_u16_e32 vcc_lo, 2, v23
	v_and_or_b32 v23, vcc_lo, v44, 0x80000000
	v_cmp_gt_u32_e32 vcc_lo, 30, v38
	s_delay_alu instid0(VALU_DEP_2) | instskip(SKIP_1) | instid1(VALU_DEP_2)
	v_ctz_i32_b32_e32 v23, v23
	v_cndmask_b32_e64 v28, 0, 2, vcc_lo
	v_cmp_lt_u32_e32 vcc_lo, v38, v23
	s_delay_alu instid0(VALU_DEP_2)
	v_add_lshl_u32 v45, v28, v38, 2
	s_wait_dscnt 0x0
	v_cndmask_b32_e32 v25, 0, v25, vcc_lo
	v_cmp_gt_u32_e32 vcc_lo, 28, v38
	v_cndmask_b32_e64 v28, 0, 4, vcc_lo
	v_cmp_le_u32_e32 vcc_lo, v46, v23
	s_delay_alu instid0(VALU_DEP_4) | instskip(NEXT) | instid1(VALU_DEP_3)
	v_add_nc_u32_e32 v25, v25, v26
	v_add_lshl_u32 v47, v28, v38, 2
	ds_bpermute_b32 v26, v45, v25
	s_wait_dscnt 0x0
	v_cndmask_b32_e32 v26, 0, v26, vcc_lo
	v_cmp_gt_u32_e32 vcc_lo, 24, v38
	v_cndmask_b32_e64 v28, 0, 8, vcc_lo
	v_cmp_le_u32_e32 vcc_lo, v48, v23
	s_delay_alu instid0(VALU_DEP_4) | instskip(NEXT) | instid1(VALU_DEP_3)
	v_add_nc_u32_e32 v25, v25, v26
	v_add_lshl_u32 v49, v28, v38, 2
	ds_bpermute_b32 v26, v47, v25
	s_wait_dscnt 0x0
	v_cndmask_b32_e32 v26, 0, v26, vcc_lo
	v_cmp_le_u32_e32 vcc_lo, v50, v23
	s_delay_alu instid0(VALU_DEP_2) | instskip(SKIP_4) | instid1(VALU_DEP_2)
	v_add_nc_u32_e32 v25, v25, v26
	ds_bpermute_b32 v26, v49, v25
	s_wait_dscnt 0x0
	v_cndmask_b32_e32 v26, 0, v26, vcc_lo
	v_cmp_le_u32_e32 vcc_lo, v52, v23
	v_add_nc_u32_e32 v25, v25, v26
	ds_bpermute_b32 v26, v51, v25
	s_wait_dscnt 0x0
	v_cndmask_b32_e32 v23, 0, v26, vcc_lo
	s_delay_alu instid0(VALU_DEP_1)
	v_dual_mov_b32 v25, 0 :: v_dual_add_nc_u32 v26, v25, v23
	s_branch .LBB1297_183
.LBB1297_181:                           ;   in Loop: Header=BB1297_183 Depth=1
	s_or_b32 exec_lo, exec_lo, s18
	v_and_b32_e32 v28, 0xff, v27
	ds_bpermute_b32 v29, v43, v26
	v_subrev_nc_u32_e32 v24, 32, v24
	s_mov_b32 s18, 0
	v_cmp_eq_u16_e32 vcc_lo, 2, v28
	v_and_or_b32 v28, vcc_lo, v44, 0x80000000
	s_delay_alu instid0(VALU_DEP_1) | instskip(NEXT) | instid1(VALU_DEP_1)
	v_ctz_i32_b32_e32 v28, v28
	v_cmp_lt_u32_e32 vcc_lo, v38, v28
	s_wait_dscnt 0x0
	v_cndmask_b32_e32 v29, 0, v29, vcc_lo
	v_cmp_le_u32_e32 vcc_lo, v46, v28
	s_delay_alu instid0(VALU_DEP_2) | instskip(SKIP_4) | instid1(VALU_DEP_2)
	v_add_nc_u32_e32 v26, v29, v26
	ds_bpermute_b32 v29, v45, v26
	s_wait_dscnt 0x0
	v_cndmask_b32_e32 v29, 0, v29, vcc_lo
	v_cmp_le_u32_e32 vcc_lo, v48, v28
	v_add_nc_u32_e32 v26, v26, v29
	ds_bpermute_b32 v29, v47, v26
	s_wait_dscnt 0x0
	v_cndmask_b32_e32 v29, 0, v29, vcc_lo
	v_cmp_le_u32_e32 vcc_lo, v50, v28
	s_delay_alu instid0(VALU_DEP_2) | instskip(SKIP_4) | instid1(VALU_DEP_2)
	v_add_nc_u32_e32 v26, v26, v29
	ds_bpermute_b32 v29, v49, v26
	s_wait_dscnt 0x0
	v_cndmask_b32_e32 v29, 0, v29, vcc_lo
	v_cmp_le_u32_e32 vcc_lo, v52, v28
	v_add_nc_u32_e32 v26, v26, v29
	ds_bpermute_b32 v29, v51, v26
	s_wait_dscnt 0x0
	v_cndmask_b32_e32 v28, 0, v29, vcc_lo
	s_delay_alu instid0(VALU_DEP_1)
	v_add3_u32 v26, v28, v23, v26
.LBB1297_182:                           ;   in Loop: Header=BB1297_183 Depth=1
	s_and_b32 vcc_lo, exec_lo, s18
	s_cbranch_vccnz .LBB1297_188
.LBB1297_183:                           ; =>This Loop Header: Depth=1
                                        ;     Child Loop BB1297_186 Depth 2
	v_and_b32_e32 v23, 0xff, v27
	s_mov_b32 s18, -1
                                        ; implicit-def: $vgpr27
	s_delay_alu instid0(VALU_DEP_1)
	v_cmp_ne_u16_e32 vcc_lo, 2, v23
	v_mov_b32_e32 v23, v26
                                        ; implicit-def: $vgpr26
	s_cmp_lg_u32 vcc_lo, exec_lo
	s_cbranch_scc1 .LBB1297_182
; %bb.184:                              ;   in Loop: Header=BB1297_183 Depth=1
	global_load_b64 v[26:27], v24, s[10:11] scale_offset scope:SCOPE_DEV
	s_mov_b32 s18, exec_lo
	s_wait_loadcnt 0x0
	v_and_b32_e32 v28, 0xff, v27
	s_wait_xcnt 0x0
	s_delay_alu instid0(VALU_DEP_1)
	v_cmpx_eq_u16_e32 0, v28
	s_cbranch_execz .LBB1297_181
; %bb.185:                              ;   in Loop: Header=BB1297_183 Depth=1
	v_lshl_add_u64 v[28:29], v[24:25], 3, s[10:11]
	s_mov_b32 s19, 0
.LBB1297_186:                           ;   Parent Loop BB1297_183 Depth=1
                                        ; =>  This Inner Loop Header: Depth=2
	global_load_b64 v[26:27], v[28:29], off scope:SCOPE_DEV
	s_wait_loadcnt 0x0
	v_and_b32_e32 v53, 0xff, v27
	s_delay_alu instid0(VALU_DEP_1)
	v_cmp_ne_u16_e32 vcc_lo, 0, v53
	s_or_b32 s19, vcc_lo, s19
	s_wait_xcnt 0x0
	s_and_not1_b32 exec_lo, exec_lo, s19
	s_cbranch_execnz .LBB1297_186
; %bb.187:                              ;   in Loop: Header=BB1297_183 Depth=1
	s_or_b32 exec_lo, exec_lo, s19
	s_branch .LBB1297_181
.LBB1297_188:
	s_and_saveexec_b32 s18, s8
	s_cbranch_execz .LBB1297_190
; %bb.189:
	s_add_co_i32 s19, s20, 32
	v_dual_mov_b32 v25, 2 :: v_dual_add_nc_u32 v24, v23, v22
	v_dual_mov_b32 v26, s19 :: v_dual_mov_b32 v27, 0
	global_store_b64 v26, v[24:25], s[10:11] scale_offset scope:SCOPE_DEV
	ds_store_b64 v27, v[22:23] offset:28672
.LBB1297_190:
	s_wait_xcnt 0x0
	s_or_b32 exec_lo, exec_lo, s18
	v_cmp_eq_u32_e32 vcc_lo, 0, v0
	s_and_b32 exec_lo, exec_lo, vcc_lo
; %bb.191:
	v_mov_b32_e32 v22, 0
	ds_store_b32 v22, v23 offset:60
.LBB1297_192:
	s_or_b32 exec_lo, exec_lo, s9
	s_wait_dscnt 0x0
	v_dual_mov_b32 v22, 0 :: v_dual_cndmask_b32 v24, v42, v41, s8
	s_wait_storecnt 0x0
	s_barrier_signal -1
	s_barrier_wait -1
	ds_load_b32 v23, v22 offset:60
	v_cmp_ne_u32_e32 vcc_lo, 0, v0
	s_wait_dscnt 0x0
	s_barrier_signal -1
	s_barrier_wait -1
	v_cndmask_b32_e32 v24, 0, v24, vcc_lo
	s_mov_b32 s8, 0
	s_delay_alu instid0(VALU_DEP_1) | instskip(SKIP_2) | instid1(VALU_DEP_1)
	v_add_nc_u32_e32 v42, v23, v24
	ds_load_b64 v[22:23], v22 offset:28672
	v_add_nc_u32_e32 v41, v42, v19
	v_add_nc_u32_e32 v29, v41, v21
	s_delay_alu instid0(VALU_DEP_1) | instskip(SKIP_1) | instid1(VALU_DEP_1)
	v_add_nc_u32_e32 v28, v29, v34
	s_wait_dscnt 0x0
	v_dual_mov_b32 v24, v23 :: v_dual_add_nc_u32 v27, v28, v35
	s_delay_alu instid0(VALU_DEP_1) | instskip(NEXT) | instid1(VALU_DEP_1)
	v_add_nc_u32_e32 v26, v27, v36
	v_add_nc_u32_e32 v25, v26, v37
.LBB1297_193:
	s_and_b32 vcc_lo, exec_lo, s8
	s_cbranch_vccz .LBB1297_203
; %bb.194:
	v_mov_b32_dpp v22, v40 row_shr:1 row_mask:0xf bank_mask:0xf
	s_delay_alu instid0(VALU_DEP_1) | instskip(NEXT) | instid1(VALU_DEP_1)
	v_cndmask_b32_e64 v22, v22, 0, s2
	v_add_nc_u32_e32 v22, v22, v40
	s_delay_alu instid0(VALU_DEP_1) | instskip(NEXT) | instid1(VALU_DEP_1)
	v_mov_b32_dpp v23, v22 row_shr:2 row_mask:0xf bank_mask:0xf
	v_cndmask_b32_e64 v23, 0, v23, s4
	s_delay_alu instid0(VALU_DEP_1) | instskip(NEXT) | instid1(VALU_DEP_1)
	v_add_nc_u32_e32 v22, v22, v23
	v_mov_b32_dpp v23, v22 row_shr:4 row_mask:0xf bank_mask:0xf
	s_delay_alu instid0(VALU_DEP_1) | instskip(NEXT) | instid1(VALU_DEP_1)
	v_cndmask_b32_e64 v23, 0, v23, s5
	v_add_nc_u32_e32 v22, v22, v23
	s_delay_alu instid0(VALU_DEP_1) | instskip(NEXT) | instid1(VALU_DEP_1)
	v_mov_b32_dpp v23, v22 row_shr:8 row_mask:0xf bank_mask:0xf
	v_cndmask_b32_e64 v23, 0, v23, s3
	s_delay_alu instid0(VALU_DEP_1) | instskip(SKIP_3) | instid1(VALU_DEP_1)
	v_add_nc_u32_e32 v22, v22, v23
	ds_swizzle_b32 v23, v22 offset:swizzle(BROADCAST,32,15)
	s_wait_dscnt 0x0
	v_cndmask_b32_e64 v23, v23, 0, s7
	v_add_nc_u32_e32 v22, v22, v23
	s_and_saveexec_b32 s7, s6
; %bb.195:
	v_lshlrev_b32_e32 v23, 2, v39
	ds_store_b32 v23, v22
; %bb.196:
	s_or_b32 exec_lo, exec_lo, s7
	s_delay_alu instid0(SALU_CYCLE_1)
	s_mov_b32 s6, exec_lo
	s_wait_dscnt 0x0
	s_barrier_signal -1
	s_barrier_wait -1
	v_cmpx_gt_u32_e32 16, v0
	s_cbranch_execz .LBB1297_198
; %bb.197:
	v_lshlrev_b32_e32 v23, 2, v0
	ds_load_b32 v24, v23
	s_wait_dscnt 0x0
	v_mov_b32_dpp v25, v24 row_shr:1 row_mask:0xf bank_mask:0xf
	s_delay_alu instid0(VALU_DEP_1) | instskip(NEXT) | instid1(VALU_DEP_1)
	v_cndmask_b32_e64 v25, v25, 0, s2
	v_add_nc_u32_e32 v24, v25, v24
	s_delay_alu instid0(VALU_DEP_1) | instskip(NEXT) | instid1(VALU_DEP_1)
	v_mov_b32_dpp v25, v24 row_shr:2 row_mask:0xf bank_mask:0xf
	v_cndmask_b32_e64 v25, 0, v25, s4
	s_delay_alu instid0(VALU_DEP_1) | instskip(NEXT) | instid1(VALU_DEP_1)
	v_add_nc_u32_e32 v24, v24, v25
	v_mov_b32_dpp v25, v24 row_shr:4 row_mask:0xf bank_mask:0xf
	s_delay_alu instid0(VALU_DEP_1) | instskip(NEXT) | instid1(VALU_DEP_1)
	v_cndmask_b32_e64 v25, 0, v25, s5
	v_add_nc_u32_e32 v24, v24, v25
	s_delay_alu instid0(VALU_DEP_1) | instskip(NEXT) | instid1(VALU_DEP_1)
	v_mov_b32_dpp v25, v24 row_shr:8 row_mask:0xf bank_mask:0xf
	v_cndmask_b32_e64 v25, 0, v25, s3
	s_delay_alu instid0(VALU_DEP_1)
	v_add_nc_u32_e32 v24, v24, v25
	ds_store_b32 v23, v24
.LBB1297_198:
	s_or_b32 exec_lo, exec_lo, s6
	v_dual_mov_b32 v23, 0 :: v_dual_mov_b32 v24, 0
	s_mov_b32 s2, exec_lo
	s_wait_dscnt 0x0
	s_barrier_signal -1
	s_barrier_wait -1
	v_cmpx_lt_u32_e32 31, v0
; %bb.199:
	v_lshl_add_u32 v24, v39, 2, -4
	ds_load_b32 v24, v24
; %bb.200:
	s_or_b32 exec_lo, exec_lo, s2
	v_sub_co_u32 v25, vcc_lo, v38, 1
	s_delay_alu instid0(VALU_DEP_1) | instskip(NEXT) | instid1(VALU_DEP_1)
	v_cmp_gt_i32_e64 s2, 0, v25
	v_cndmask_b32_e64 v25, v25, v38, s2
	s_wait_dscnt 0x0
	v_add_nc_u32_e32 v22, v24, v22
	v_cmp_eq_u32_e64 s2, 0, v0
	s_delay_alu instid0(VALU_DEP_3)
	v_lshlrev_b32_e32 v25, 2, v25
	ds_bpermute_b32 v25, v25, v22
	ds_load_b32 v22, v23 offset:60
	s_and_saveexec_b32 s3, s2
	s_cbranch_execz .LBB1297_202
; %bb.201:
	v_dual_mov_b32 v26, 0 :: v_dual_mov_b32 v23, 2
	s_wait_dscnt 0x0
	global_store_b64 v26, v[22:23], s[10:11] offset:256 scope:SCOPE_DEV
.LBB1297_202:
	s_wait_xcnt 0x0
	s_or_b32 exec_lo, exec_lo, s3
	s_wait_dscnt 0x1
	v_cndmask_b32_e32 v23, v25, v24, vcc_lo
	s_wait_storecnt_dscnt 0x0
	s_barrier_signal -1
	s_barrier_wait -1
	s_delay_alu instid0(VALU_DEP_1) | instskip(NEXT) | instid1(VALU_DEP_1)
	v_cndmask_b32_e64 v42, v23, 0, s2
	v_dual_mov_b32 v24, 0 :: v_dual_add_nc_u32 v41, v42, v19
	s_delay_alu instid0(VALU_DEP_1) | instskip(NEXT) | instid1(VALU_DEP_1)
	v_add_nc_u32_e32 v29, v41, v21
	v_add_nc_u32_e32 v28, v29, v34
	s_delay_alu instid0(VALU_DEP_1) | instskip(NEXT) | instid1(VALU_DEP_1)
	v_add_nc_u32_e32 v27, v28, v35
	v_add_nc_u32_e32 v26, v27, v36
	s_delay_alu instid0(VALU_DEP_1)
	v_add_nc_u32_e32 v25, v26, v37
.LBB1297_203:
	s_load_b64 s[2:3], s[0:1], 0x28
	v_and_b32_e32 v16, 1, v16
	v_cmp_gt_u32_e32 vcc_lo, 0x201, v22
	s_wait_xcnt 0x0
	s_mov_b32 s1, -1
	s_delay_alu instid0(VALU_DEP_2)
	v_cmp_eq_u32_e64 s0, 1, v16
	s_cbranch_vccnz .LBB1297_207
; %bb.204:
	s_and_b32 vcc_lo, exec_lo, s1
	s_cbranch_vccnz .LBB1297_222
.LBB1297_205:
	v_cmp_eq_u32_e32 vcc_lo, 0, v0
	s_and_b32 s0, vcc_lo, s16
	s_delay_alu instid0(SALU_CYCLE_1)
	s_and_saveexec_b32 s1, s0
	s_cbranch_execnz .LBB1297_239
.LBB1297_206:
	s_endpgm
.LBB1297_207:
	v_add_nc_u32_e32 v19, v24, v22
	s_delay_alu instid0(VALU_DEP_1) | instskip(SKIP_1) | instid1(SALU_CYCLE_1)
	v_cmp_lt_u32_e32 vcc_lo, v42, v19
	s_or_b32 s1, s17, vcc_lo
	s_and_b32 s1, s1, s0
	s_delay_alu instid0(SALU_CYCLE_1)
	s_and_saveexec_b32 s0, s1
	s_cbranch_execz .LBB1297_209
; %bb.208:
	s_lshl_b64 s[4:5], s[14:15], 3
	s_wait_kmcnt 0x0
	s_add_nc_u64 s[4:5], s[2:3], s[4:5]
	global_store_b64 v42, v[10:11], s[4:5] scale_offset
.LBB1297_209:
	s_wait_xcnt 0x0
	s_or_b32 exec_lo, exec_lo, s0
	v_and_b32_e32 v21, 1, v33
	v_cmp_lt_u32_e32 vcc_lo, v41, v19
	s_delay_alu instid0(VALU_DEP_2) | instskip(SKIP_1) | instid1(SALU_CYCLE_1)
	v_cmp_eq_u32_e64 s0, 1, v21
	s_or_b32 s1, s17, vcc_lo
	s_and_b32 s1, s1, s0
	s_delay_alu instid0(SALU_CYCLE_1)
	s_and_saveexec_b32 s0, s1
	s_cbranch_execz .LBB1297_211
; %bb.210:
	s_lshl_b64 s[4:5], s[14:15], 3
	s_wait_kmcnt 0x0
	s_add_nc_u64 s[4:5], s[2:3], s[4:5]
	global_store_b64 v41, v[12:13], s[4:5] scale_offset
.LBB1297_211:
	s_wait_xcnt 0x0
	s_or_b32 exec_lo, exec_lo, s0
	v_and_b32_e32 v21, 1, v32
	v_cmp_lt_u32_e32 vcc_lo, v29, v19
	s_delay_alu instid0(VALU_DEP_2) | instskip(SKIP_1) | instid1(SALU_CYCLE_1)
	v_cmp_eq_u32_e64 s0, 1, v21
	;; [unrolled: 17-line block ×6, first 2 shown]
	s_or_b32 s1, s17, vcc_lo
	s_and_b32 s1, s1, s0
	s_delay_alu instid0(SALU_CYCLE_1)
	s_and_saveexec_b32 s0, s1
	s_cbranch_execz .LBB1297_221
; %bb.220:
	s_lshl_b64 s[4:5], s[14:15], 3
	s_wait_kmcnt 0x0
	s_add_nc_u64 s[4:5], s[2:3], s[4:5]
	global_store_b64 v25, v[14:15], s[4:5] scale_offset
.LBB1297_221:
	s_wait_xcnt 0x0
	s_or_b32 exec_lo, exec_lo, s0
	s_branch .LBB1297_205
.LBB1297_222:
	s_mov_b32 s0, exec_lo
	v_cmpx_eq_u32_e32 1, v16
; %bb.223:
	v_sub_nc_u32_e32 v16, v42, v24
	s_delay_alu instid0(VALU_DEP_1)
	v_lshlrev_b32_e32 v16, 3, v16
	ds_store_b64 v16, v[10:11]
; %bb.224:
	s_or_b32 exec_lo, exec_lo, s0
	v_and_b32_e32 v10, 1, v33
	s_mov_b32 s0, exec_lo
	s_delay_alu instid0(VALU_DEP_1)
	v_cmpx_eq_u32_e32 1, v10
; %bb.225:
	v_sub_nc_u32_e32 v10, v41, v24
	s_delay_alu instid0(VALU_DEP_1)
	v_lshlrev_b32_e32 v10, 3, v10
	ds_store_b64 v10, v[12:13]
; %bb.226:
	s_or_b32 exec_lo, exec_lo, s0
	v_and_b32_e32 v10, 1, v32
	s_mov_b32 s0, exec_lo
	s_delay_alu instid0(VALU_DEP_1)
	;; [unrolled: 11-line block ×6, first 2 shown]
	v_cmpx_eq_u32_e32 1, v2
; %bb.235:
	v_sub_nc_u32_e32 v2, v25, v24
	s_delay_alu instid0(VALU_DEP_1)
	v_lshlrev_b32_e32 v2, 3, v2
	ds_store_b64 v2, v[14:15]
; %bb.236:
	s_or_b32 exec_lo, exec_lo, s0
	v_mov_b32_e32 v25, 0
	s_lshl_b64 s[0:1], s[14:15], 3
	s_wait_storecnt_dscnt 0x0
	s_barrier_signal -1
	s_barrier_wait -1
	v_lshlrev_b64_e32 v[2:3], 3, v[24:25]
	v_mov_b32_e32 v19, v25
	s_delay_alu instid0(VALU_DEP_2) | instskip(SKIP_2) | instid1(VALU_DEP_1)
	v_add_nc_u64_e32 v[2:3], s[0:1], v[2:3]
	s_mov_b32 s0, 0
	s_wait_kmcnt 0x0
	v_add_nc_u64_e32 v[2:3], s[2:3], v[2:3]
	s_delay_alu instid0(VALU_DEP_1)
	v_add_nc_u64_e32 v[2:3], v[2:3], v[18:19]
.LBB1297_237:                           ; =>This Inner Loop Header: Depth=1
	ds_load_b64 v[4:5], v18
	v_add_nc_u32_e32 v1, 0x200, v1
	v_add_nc_u32_e32 v18, 0x1000, v18
	s_delay_alu instid0(VALU_DEP_2)
	v_cmp_ge_u32_e32 vcc_lo, v1, v22
	s_or_b32 s0, vcc_lo, s0
	s_wait_dscnt 0x0
	global_store_b64 v[2:3], v[4:5], off
	s_wait_xcnt 0x0
	v_add_nc_u64_e32 v[2:3], 0x1000, v[2:3]
	s_and_not1_b32 exec_lo, exec_lo, s0
	s_cbranch_execnz .LBB1297_237
; %bb.238:
	s_or_b32 exec_lo, exec_lo, s0
	v_cmp_eq_u32_e32 vcc_lo, 0, v0
	s_and_b32 s0, vcc_lo, s16
	s_delay_alu instid0(SALU_CYCLE_1)
	s_and_saveexec_b32 s1, s0
	s_cbranch_execz .LBB1297_206
.LBB1297_239:
	v_mov_b32_e32 v23, 0
	s_delay_alu instid0(VALU_DEP_1) | instskip(SKIP_1) | instid1(VALU_DEP_1)
	v_add_nc_u64_e32 v[0:1], s[14:15], v[22:23]
	v_mov_b32_e32 v25, v23
	v_add_nc_u64_e32 v[0:1], v[0:1], v[24:25]
	global_store_b64 v23, v[0:1], s[12:13]
	s_endpgm
	.section	.rodata,"a",@progbits
	.p2align	6, 0x0
	.amdhsa_kernel _ZN7rocprim17ROCPRIM_400000_NS6detail17trampoline_kernelINS0_14default_configENS1_25partition_config_selectorILNS1_17partition_subalgoE8ElNS0_10empty_typeEbEEZZNS1_14partition_implILS5_8ELb0ES3_jPlPS6_PKS6_NS0_5tupleIJS9_S6_EEENSD_IJSA_SA_EEENS0_18inequality_wrapperIZN2at6native12_GLOBAL__N_124unique_dim_cuda_templateIN3c104HalfEEESt5tupleIJNSH_6TensorESO_SO_EERKSO_lbbbEUlllE0_EEPmJS6_EEE10hipError_tPvRmT3_T4_T5_T6_T7_T9_mT8_P12ihipStream_tbDpT10_ENKUlT_T0_E_clISt17integral_constantIbLb0EES1E_EEDaS19_S1A_EUlS19_E_NS1_11comp_targetILNS1_3genE0ELNS1_11target_archE4294967295ELNS1_3gpuE0ELNS1_3repE0EEENS1_30default_config_static_selectorELNS0_4arch9wavefront6targetE0EEEvT1_
		.amdhsa_group_segment_fixed_size 28680
		.amdhsa_private_segment_fixed_size 0
		.amdhsa_kernarg_size 120
		.amdhsa_user_sgpr_count 2
		.amdhsa_user_sgpr_dispatch_ptr 0
		.amdhsa_user_sgpr_queue_ptr 0
		.amdhsa_user_sgpr_kernarg_segment_ptr 1
		.amdhsa_user_sgpr_dispatch_id 0
		.amdhsa_user_sgpr_kernarg_preload_length 0
		.amdhsa_user_sgpr_kernarg_preload_offset 0
		.amdhsa_user_sgpr_private_segment_size 0
		.amdhsa_wavefront_size32 1
		.amdhsa_uses_dynamic_stack 0
		.amdhsa_enable_private_segment 0
		.amdhsa_system_sgpr_workgroup_id_x 1
		.amdhsa_system_sgpr_workgroup_id_y 0
		.amdhsa_system_sgpr_workgroup_id_z 0
		.amdhsa_system_sgpr_workgroup_info 0
		.amdhsa_system_vgpr_workitem_id 0
		.amdhsa_next_free_vgpr 54
		.amdhsa_next_free_sgpr 36
		.amdhsa_named_barrier_count 0
		.amdhsa_reserve_vcc 1
		.amdhsa_float_round_mode_32 0
		.amdhsa_float_round_mode_16_64 0
		.amdhsa_float_denorm_mode_32 3
		.amdhsa_float_denorm_mode_16_64 3
		.amdhsa_fp16_overflow 0
		.amdhsa_memory_ordered 1
		.amdhsa_forward_progress 1
		.amdhsa_inst_pref_size 82
		.amdhsa_round_robin_scheduling 0
		.amdhsa_exception_fp_ieee_invalid_op 0
		.amdhsa_exception_fp_denorm_src 0
		.amdhsa_exception_fp_ieee_div_zero 0
		.amdhsa_exception_fp_ieee_overflow 0
		.amdhsa_exception_fp_ieee_underflow 0
		.amdhsa_exception_fp_ieee_inexact 0
		.amdhsa_exception_int_div_zero 0
	.end_amdhsa_kernel
	.section	.text._ZN7rocprim17ROCPRIM_400000_NS6detail17trampoline_kernelINS0_14default_configENS1_25partition_config_selectorILNS1_17partition_subalgoE8ElNS0_10empty_typeEbEEZZNS1_14partition_implILS5_8ELb0ES3_jPlPS6_PKS6_NS0_5tupleIJS9_S6_EEENSD_IJSA_SA_EEENS0_18inequality_wrapperIZN2at6native12_GLOBAL__N_124unique_dim_cuda_templateIN3c104HalfEEESt5tupleIJNSH_6TensorESO_SO_EERKSO_lbbbEUlllE0_EEPmJS6_EEE10hipError_tPvRmT3_T4_T5_T6_T7_T9_mT8_P12ihipStream_tbDpT10_ENKUlT_T0_E_clISt17integral_constantIbLb0EES1E_EEDaS19_S1A_EUlS19_E_NS1_11comp_targetILNS1_3genE0ELNS1_11target_archE4294967295ELNS1_3gpuE0ELNS1_3repE0EEENS1_30default_config_static_selectorELNS0_4arch9wavefront6targetE0EEEvT1_,"axG",@progbits,_ZN7rocprim17ROCPRIM_400000_NS6detail17trampoline_kernelINS0_14default_configENS1_25partition_config_selectorILNS1_17partition_subalgoE8ElNS0_10empty_typeEbEEZZNS1_14partition_implILS5_8ELb0ES3_jPlPS6_PKS6_NS0_5tupleIJS9_S6_EEENSD_IJSA_SA_EEENS0_18inequality_wrapperIZN2at6native12_GLOBAL__N_124unique_dim_cuda_templateIN3c104HalfEEESt5tupleIJNSH_6TensorESO_SO_EERKSO_lbbbEUlllE0_EEPmJS6_EEE10hipError_tPvRmT3_T4_T5_T6_T7_T9_mT8_P12ihipStream_tbDpT10_ENKUlT_T0_E_clISt17integral_constantIbLb0EES1E_EEDaS19_S1A_EUlS19_E_NS1_11comp_targetILNS1_3genE0ELNS1_11target_archE4294967295ELNS1_3gpuE0ELNS1_3repE0EEENS1_30default_config_static_selectorELNS0_4arch9wavefront6targetE0EEEvT1_,comdat
.Lfunc_end1297:
	.size	_ZN7rocprim17ROCPRIM_400000_NS6detail17trampoline_kernelINS0_14default_configENS1_25partition_config_selectorILNS1_17partition_subalgoE8ElNS0_10empty_typeEbEEZZNS1_14partition_implILS5_8ELb0ES3_jPlPS6_PKS6_NS0_5tupleIJS9_S6_EEENSD_IJSA_SA_EEENS0_18inequality_wrapperIZN2at6native12_GLOBAL__N_124unique_dim_cuda_templateIN3c104HalfEEESt5tupleIJNSH_6TensorESO_SO_EERKSO_lbbbEUlllE0_EEPmJS6_EEE10hipError_tPvRmT3_T4_T5_T6_T7_T9_mT8_P12ihipStream_tbDpT10_ENKUlT_T0_E_clISt17integral_constantIbLb0EES1E_EEDaS19_S1A_EUlS19_E_NS1_11comp_targetILNS1_3genE0ELNS1_11target_archE4294967295ELNS1_3gpuE0ELNS1_3repE0EEENS1_30default_config_static_selectorELNS0_4arch9wavefront6targetE0EEEvT1_, .Lfunc_end1297-_ZN7rocprim17ROCPRIM_400000_NS6detail17trampoline_kernelINS0_14default_configENS1_25partition_config_selectorILNS1_17partition_subalgoE8ElNS0_10empty_typeEbEEZZNS1_14partition_implILS5_8ELb0ES3_jPlPS6_PKS6_NS0_5tupleIJS9_S6_EEENSD_IJSA_SA_EEENS0_18inequality_wrapperIZN2at6native12_GLOBAL__N_124unique_dim_cuda_templateIN3c104HalfEEESt5tupleIJNSH_6TensorESO_SO_EERKSO_lbbbEUlllE0_EEPmJS6_EEE10hipError_tPvRmT3_T4_T5_T6_T7_T9_mT8_P12ihipStream_tbDpT10_ENKUlT_T0_E_clISt17integral_constantIbLb0EES1E_EEDaS19_S1A_EUlS19_E_NS1_11comp_targetILNS1_3genE0ELNS1_11target_archE4294967295ELNS1_3gpuE0ELNS1_3repE0EEENS1_30default_config_static_selectorELNS0_4arch9wavefront6targetE0EEEvT1_
                                        ; -- End function
	.set _ZN7rocprim17ROCPRIM_400000_NS6detail17trampoline_kernelINS0_14default_configENS1_25partition_config_selectorILNS1_17partition_subalgoE8ElNS0_10empty_typeEbEEZZNS1_14partition_implILS5_8ELb0ES3_jPlPS6_PKS6_NS0_5tupleIJS9_S6_EEENSD_IJSA_SA_EEENS0_18inequality_wrapperIZN2at6native12_GLOBAL__N_124unique_dim_cuda_templateIN3c104HalfEEESt5tupleIJNSH_6TensorESO_SO_EERKSO_lbbbEUlllE0_EEPmJS6_EEE10hipError_tPvRmT3_T4_T5_T6_T7_T9_mT8_P12ihipStream_tbDpT10_ENKUlT_T0_E_clISt17integral_constantIbLb0EES1E_EEDaS19_S1A_EUlS19_E_NS1_11comp_targetILNS1_3genE0ELNS1_11target_archE4294967295ELNS1_3gpuE0ELNS1_3repE0EEENS1_30default_config_static_selectorELNS0_4arch9wavefront6targetE0EEEvT1_.num_vgpr, 54
	.set _ZN7rocprim17ROCPRIM_400000_NS6detail17trampoline_kernelINS0_14default_configENS1_25partition_config_selectorILNS1_17partition_subalgoE8ElNS0_10empty_typeEbEEZZNS1_14partition_implILS5_8ELb0ES3_jPlPS6_PKS6_NS0_5tupleIJS9_S6_EEENSD_IJSA_SA_EEENS0_18inequality_wrapperIZN2at6native12_GLOBAL__N_124unique_dim_cuda_templateIN3c104HalfEEESt5tupleIJNSH_6TensorESO_SO_EERKSO_lbbbEUlllE0_EEPmJS6_EEE10hipError_tPvRmT3_T4_T5_T6_T7_T9_mT8_P12ihipStream_tbDpT10_ENKUlT_T0_E_clISt17integral_constantIbLb0EES1E_EEDaS19_S1A_EUlS19_E_NS1_11comp_targetILNS1_3genE0ELNS1_11target_archE4294967295ELNS1_3gpuE0ELNS1_3repE0EEENS1_30default_config_static_selectorELNS0_4arch9wavefront6targetE0EEEvT1_.num_agpr, 0
	.set _ZN7rocprim17ROCPRIM_400000_NS6detail17trampoline_kernelINS0_14default_configENS1_25partition_config_selectorILNS1_17partition_subalgoE8ElNS0_10empty_typeEbEEZZNS1_14partition_implILS5_8ELb0ES3_jPlPS6_PKS6_NS0_5tupleIJS9_S6_EEENSD_IJSA_SA_EEENS0_18inequality_wrapperIZN2at6native12_GLOBAL__N_124unique_dim_cuda_templateIN3c104HalfEEESt5tupleIJNSH_6TensorESO_SO_EERKSO_lbbbEUlllE0_EEPmJS6_EEE10hipError_tPvRmT3_T4_T5_T6_T7_T9_mT8_P12ihipStream_tbDpT10_ENKUlT_T0_E_clISt17integral_constantIbLb0EES1E_EEDaS19_S1A_EUlS19_E_NS1_11comp_targetILNS1_3genE0ELNS1_11target_archE4294967295ELNS1_3gpuE0ELNS1_3repE0EEENS1_30default_config_static_selectorELNS0_4arch9wavefront6targetE0EEEvT1_.numbered_sgpr, 36
	.set _ZN7rocprim17ROCPRIM_400000_NS6detail17trampoline_kernelINS0_14default_configENS1_25partition_config_selectorILNS1_17partition_subalgoE8ElNS0_10empty_typeEbEEZZNS1_14partition_implILS5_8ELb0ES3_jPlPS6_PKS6_NS0_5tupleIJS9_S6_EEENSD_IJSA_SA_EEENS0_18inequality_wrapperIZN2at6native12_GLOBAL__N_124unique_dim_cuda_templateIN3c104HalfEEESt5tupleIJNSH_6TensorESO_SO_EERKSO_lbbbEUlllE0_EEPmJS6_EEE10hipError_tPvRmT3_T4_T5_T6_T7_T9_mT8_P12ihipStream_tbDpT10_ENKUlT_T0_E_clISt17integral_constantIbLb0EES1E_EEDaS19_S1A_EUlS19_E_NS1_11comp_targetILNS1_3genE0ELNS1_11target_archE4294967295ELNS1_3gpuE0ELNS1_3repE0EEENS1_30default_config_static_selectorELNS0_4arch9wavefront6targetE0EEEvT1_.num_named_barrier, 0
	.set _ZN7rocprim17ROCPRIM_400000_NS6detail17trampoline_kernelINS0_14default_configENS1_25partition_config_selectorILNS1_17partition_subalgoE8ElNS0_10empty_typeEbEEZZNS1_14partition_implILS5_8ELb0ES3_jPlPS6_PKS6_NS0_5tupleIJS9_S6_EEENSD_IJSA_SA_EEENS0_18inequality_wrapperIZN2at6native12_GLOBAL__N_124unique_dim_cuda_templateIN3c104HalfEEESt5tupleIJNSH_6TensorESO_SO_EERKSO_lbbbEUlllE0_EEPmJS6_EEE10hipError_tPvRmT3_T4_T5_T6_T7_T9_mT8_P12ihipStream_tbDpT10_ENKUlT_T0_E_clISt17integral_constantIbLb0EES1E_EEDaS19_S1A_EUlS19_E_NS1_11comp_targetILNS1_3genE0ELNS1_11target_archE4294967295ELNS1_3gpuE0ELNS1_3repE0EEENS1_30default_config_static_selectorELNS0_4arch9wavefront6targetE0EEEvT1_.private_seg_size, 0
	.set _ZN7rocprim17ROCPRIM_400000_NS6detail17trampoline_kernelINS0_14default_configENS1_25partition_config_selectorILNS1_17partition_subalgoE8ElNS0_10empty_typeEbEEZZNS1_14partition_implILS5_8ELb0ES3_jPlPS6_PKS6_NS0_5tupleIJS9_S6_EEENSD_IJSA_SA_EEENS0_18inequality_wrapperIZN2at6native12_GLOBAL__N_124unique_dim_cuda_templateIN3c104HalfEEESt5tupleIJNSH_6TensorESO_SO_EERKSO_lbbbEUlllE0_EEPmJS6_EEE10hipError_tPvRmT3_T4_T5_T6_T7_T9_mT8_P12ihipStream_tbDpT10_ENKUlT_T0_E_clISt17integral_constantIbLb0EES1E_EEDaS19_S1A_EUlS19_E_NS1_11comp_targetILNS1_3genE0ELNS1_11target_archE4294967295ELNS1_3gpuE0ELNS1_3repE0EEENS1_30default_config_static_selectorELNS0_4arch9wavefront6targetE0EEEvT1_.uses_vcc, 1
	.set _ZN7rocprim17ROCPRIM_400000_NS6detail17trampoline_kernelINS0_14default_configENS1_25partition_config_selectorILNS1_17partition_subalgoE8ElNS0_10empty_typeEbEEZZNS1_14partition_implILS5_8ELb0ES3_jPlPS6_PKS6_NS0_5tupleIJS9_S6_EEENSD_IJSA_SA_EEENS0_18inequality_wrapperIZN2at6native12_GLOBAL__N_124unique_dim_cuda_templateIN3c104HalfEEESt5tupleIJNSH_6TensorESO_SO_EERKSO_lbbbEUlllE0_EEPmJS6_EEE10hipError_tPvRmT3_T4_T5_T6_T7_T9_mT8_P12ihipStream_tbDpT10_ENKUlT_T0_E_clISt17integral_constantIbLb0EES1E_EEDaS19_S1A_EUlS19_E_NS1_11comp_targetILNS1_3genE0ELNS1_11target_archE4294967295ELNS1_3gpuE0ELNS1_3repE0EEENS1_30default_config_static_selectorELNS0_4arch9wavefront6targetE0EEEvT1_.uses_flat_scratch, 0
	.set _ZN7rocprim17ROCPRIM_400000_NS6detail17trampoline_kernelINS0_14default_configENS1_25partition_config_selectorILNS1_17partition_subalgoE8ElNS0_10empty_typeEbEEZZNS1_14partition_implILS5_8ELb0ES3_jPlPS6_PKS6_NS0_5tupleIJS9_S6_EEENSD_IJSA_SA_EEENS0_18inequality_wrapperIZN2at6native12_GLOBAL__N_124unique_dim_cuda_templateIN3c104HalfEEESt5tupleIJNSH_6TensorESO_SO_EERKSO_lbbbEUlllE0_EEPmJS6_EEE10hipError_tPvRmT3_T4_T5_T6_T7_T9_mT8_P12ihipStream_tbDpT10_ENKUlT_T0_E_clISt17integral_constantIbLb0EES1E_EEDaS19_S1A_EUlS19_E_NS1_11comp_targetILNS1_3genE0ELNS1_11target_archE4294967295ELNS1_3gpuE0ELNS1_3repE0EEENS1_30default_config_static_selectorELNS0_4arch9wavefront6targetE0EEEvT1_.has_dyn_sized_stack, 0
	.set _ZN7rocprim17ROCPRIM_400000_NS6detail17trampoline_kernelINS0_14default_configENS1_25partition_config_selectorILNS1_17partition_subalgoE8ElNS0_10empty_typeEbEEZZNS1_14partition_implILS5_8ELb0ES3_jPlPS6_PKS6_NS0_5tupleIJS9_S6_EEENSD_IJSA_SA_EEENS0_18inequality_wrapperIZN2at6native12_GLOBAL__N_124unique_dim_cuda_templateIN3c104HalfEEESt5tupleIJNSH_6TensorESO_SO_EERKSO_lbbbEUlllE0_EEPmJS6_EEE10hipError_tPvRmT3_T4_T5_T6_T7_T9_mT8_P12ihipStream_tbDpT10_ENKUlT_T0_E_clISt17integral_constantIbLb0EES1E_EEDaS19_S1A_EUlS19_E_NS1_11comp_targetILNS1_3genE0ELNS1_11target_archE4294967295ELNS1_3gpuE0ELNS1_3repE0EEENS1_30default_config_static_selectorELNS0_4arch9wavefront6targetE0EEEvT1_.has_recursion, 0
	.set _ZN7rocprim17ROCPRIM_400000_NS6detail17trampoline_kernelINS0_14default_configENS1_25partition_config_selectorILNS1_17partition_subalgoE8ElNS0_10empty_typeEbEEZZNS1_14partition_implILS5_8ELb0ES3_jPlPS6_PKS6_NS0_5tupleIJS9_S6_EEENSD_IJSA_SA_EEENS0_18inequality_wrapperIZN2at6native12_GLOBAL__N_124unique_dim_cuda_templateIN3c104HalfEEESt5tupleIJNSH_6TensorESO_SO_EERKSO_lbbbEUlllE0_EEPmJS6_EEE10hipError_tPvRmT3_T4_T5_T6_T7_T9_mT8_P12ihipStream_tbDpT10_ENKUlT_T0_E_clISt17integral_constantIbLb0EES1E_EEDaS19_S1A_EUlS19_E_NS1_11comp_targetILNS1_3genE0ELNS1_11target_archE4294967295ELNS1_3gpuE0ELNS1_3repE0EEENS1_30default_config_static_selectorELNS0_4arch9wavefront6targetE0EEEvT1_.has_indirect_call, 0
	.section	.AMDGPU.csdata,"",@progbits
; Kernel info:
; codeLenInByte = 10408
; TotalNumSgprs: 38
; NumVgprs: 54
; ScratchSize: 0
; MemoryBound: 0
; FloatMode: 240
; IeeeMode: 1
; LDSByteSize: 28680 bytes/workgroup (compile time only)
; SGPRBlocks: 0
; VGPRBlocks: 3
; NumSGPRsForWavesPerEU: 38
; NumVGPRsForWavesPerEU: 54
; NamedBarCnt: 0
; Occupancy: 16
; WaveLimiterHint : 1
; COMPUTE_PGM_RSRC2:SCRATCH_EN: 0
; COMPUTE_PGM_RSRC2:USER_SGPR: 2
; COMPUTE_PGM_RSRC2:TRAP_HANDLER: 0
; COMPUTE_PGM_RSRC2:TGID_X_EN: 1
; COMPUTE_PGM_RSRC2:TGID_Y_EN: 0
; COMPUTE_PGM_RSRC2:TGID_Z_EN: 0
; COMPUTE_PGM_RSRC2:TIDIG_COMP_CNT: 0
	.section	.text._ZN7rocprim17ROCPRIM_400000_NS6detail17trampoline_kernelINS0_14default_configENS1_25partition_config_selectorILNS1_17partition_subalgoE8ElNS0_10empty_typeEbEEZZNS1_14partition_implILS5_8ELb0ES3_jPlPS6_PKS6_NS0_5tupleIJS9_S6_EEENSD_IJSA_SA_EEENS0_18inequality_wrapperIZN2at6native12_GLOBAL__N_124unique_dim_cuda_templateIN3c104HalfEEESt5tupleIJNSH_6TensorESO_SO_EERKSO_lbbbEUlllE0_EEPmJS6_EEE10hipError_tPvRmT3_T4_T5_T6_T7_T9_mT8_P12ihipStream_tbDpT10_ENKUlT_T0_E_clISt17integral_constantIbLb0EES1E_EEDaS19_S1A_EUlS19_E_NS1_11comp_targetILNS1_3genE5ELNS1_11target_archE942ELNS1_3gpuE9ELNS1_3repE0EEENS1_30default_config_static_selectorELNS0_4arch9wavefront6targetE0EEEvT1_,"axG",@progbits,_ZN7rocprim17ROCPRIM_400000_NS6detail17trampoline_kernelINS0_14default_configENS1_25partition_config_selectorILNS1_17partition_subalgoE8ElNS0_10empty_typeEbEEZZNS1_14partition_implILS5_8ELb0ES3_jPlPS6_PKS6_NS0_5tupleIJS9_S6_EEENSD_IJSA_SA_EEENS0_18inequality_wrapperIZN2at6native12_GLOBAL__N_124unique_dim_cuda_templateIN3c104HalfEEESt5tupleIJNSH_6TensorESO_SO_EERKSO_lbbbEUlllE0_EEPmJS6_EEE10hipError_tPvRmT3_T4_T5_T6_T7_T9_mT8_P12ihipStream_tbDpT10_ENKUlT_T0_E_clISt17integral_constantIbLb0EES1E_EEDaS19_S1A_EUlS19_E_NS1_11comp_targetILNS1_3genE5ELNS1_11target_archE942ELNS1_3gpuE9ELNS1_3repE0EEENS1_30default_config_static_selectorELNS0_4arch9wavefront6targetE0EEEvT1_,comdat
	.globl	_ZN7rocprim17ROCPRIM_400000_NS6detail17trampoline_kernelINS0_14default_configENS1_25partition_config_selectorILNS1_17partition_subalgoE8ElNS0_10empty_typeEbEEZZNS1_14partition_implILS5_8ELb0ES3_jPlPS6_PKS6_NS0_5tupleIJS9_S6_EEENSD_IJSA_SA_EEENS0_18inequality_wrapperIZN2at6native12_GLOBAL__N_124unique_dim_cuda_templateIN3c104HalfEEESt5tupleIJNSH_6TensorESO_SO_EERKSO_lbbbEUlllE0_EEPmJS6_EEE10hipError_tPvRmT3_T4_T5_T6_T7_T9_mT8_P12ihipStream_tbDpT10_ENKUlT_T0_E_clISt17integral_constantIbLb0EES1E_EEDaS19_S1A_EUlS19_E_NS1_11comp_targetILNS1_3genE5ELNS1_11target_archE942ELNS1_3gpuE9ELNS1_3repE0EEENS1_30default_config_static_selectorELNS0_4arch9wavefront6targetE0EEEvT1_ ; -- Begin function _ZN7rocprim17ROCPRIM_400000_NS6detail17trampoline_kernelINS0_14default_configENS1_25partition_config_selectorILNS1_17partition_subalgoE8ElNS0_10empty_typeEbEEZZNS1_14partition_implILS5_8ELb0ES3_jPlPS6_PKS6_NS0_5tupleIJS9_S6_EEENSD_IJSA_SA_EEENS0_18inequality_wrapperIZN2at6native12_GLOBAL__N_124unique_dim_cuda_templateIN3c104HalfEEESt5tupleIJNSH_6TensorESO_SO_EERKSO_lbbbEUlllE0_EEPmJS6_EEE10hipError_tPvRmT3_T4_T5_T6_T7_T9_mT8_P12ihipStream_tbDpT10_ENKUlT_T0_E_clISt17integral_constantIbLb0EES1E_EEDaS19_S1A_EUlS19_E_NS1_11comp_targetILNS1_3genE5ELNS1_11target_archE942ELNS1_3gpuE9ELNS1_3repE0EEENS1_30default_config_static_selectorELNS0_4arch9wavefront6targetE0EEEvT1_
	.p2align	8
	.type	_ZN7rocprim17ROCPRIM_400000_NS6detail17trampoline_kernelINS0_14default_configENS1_25partition_config_selectorILNS1_17partition_subalgoE8ElNS0_10empty_typeEbEEZZNS1_14partition_implILS5_8ELb0ES3_jPlPS6_PKS6_NS0_5tupleIJS9_S6_EEENSD_IJSA_SA_EEENS0_18inequality_wrapperIZN2at6native12_GLOBAL__N_124unique_dim_cuda_templateIN3c104HalfEEESt5tupleIJNSH_6TensorESO_SO_EERKSO_lbbbEUlllE0_EEPmJS6_EEE10hipError_tPvRmT3_T4_T5_T6_T7_T9_mT8_P12ihipStream_tbDpT10_ENKUlT_T0_E_clISt17integral_constantIbLb0EES1E_EEDaS19_S1A_EUlS19_E_NS1_11comp_targetILNS1_3genE5ELNS1_11target_archE942ELNS1_3gpuE9ELNS1_3repE0EEENS1_30default_config_static_selectorELNS0_4arch9wavefront6targetE0EEEvT1_,@function
_ZN7rocprim17ROCPRIM_400000_NS6detail17trampoline_kernelINS0_14default_configENS1_25partition_config_selectorILNS1_17partition_subalgoE8ElNS0_10empty_typeEbEEZZNS1_14partition_implILS5_8ELb0ES3_jPlPS6_PKS6_NS0_5tupleIJS9_S6_EEENSD_IJSA_SA_EEENS0_18inequality_wrapperIZN2at6native12_GLOBAL__N_124unique_dim_cuda_templateIN3c104HalfEEESt5tupleIJNSH_6TensorESO_SO_EERKSO_lbbbEUlllE0_EEPmJS6_EEE10hipError_tPvRmT3_T4_T5_T6_T7_T9_mT8_P12ihipStream_tbDpT10_ENKUlT_T0_E_clISt17integral_constantIbLb0EES1E_EEDaS19_S1A_EUlS19_E_NS1_11comp_targetILNS1_3genE5ELNS1_11target_archE942ELNS1_3gpuE9ELNS1_3repE0EEENS1_30default_config_static_selectorELNS0_4arch9wavefront6targetE0EEEvT1_: ; @_ZN7rocprim17ROCPRIM_400000_NS6detail17trampoline_kernelINS0_14default_configENS1_25partition_config_selectorILNS1_17partition_subalgoE8ElNS0_10empty_typeEbEEZZNS1_14partition_implILS5_8ELb0ES3_jPlPS6_PKS6_NS0_5tupleIJS9_S6_EEENSD_IJSA_SA_EEENS0_18inequality_wrapperIZN2at6native12_GLOBAL__N_124unique_dim_cuda_templateIN3c104HalfEEESt5tupleIJNSH_6TensorESO_SO_EERKSO_lbbbEUlllE0_EEPmJS6_EEE10hipError_tPvRmT3_T4_T5_T6_T7_T9_mT8_P12ihipStream_tbDpT10_ENKUlT_T0_E_clISt17integral_constantIbLb0EES1E_EEDaS19_S1A_EUlS19_E_NS1_11comp_targetILNS1_3genE5ELNS1_11target_archE942ELNS1_3gpuE9ELNS1_3repE0EEENS1_30default_config_static_selectorELNS0_4arch9wavefront6targetE0EEEvT1_
; %bb.0:
	.section	.rodata,"a",@progbits
	.p2align	6, 0x0
	.amdhsa_kernel _ZN7rocprim17ROCPRIM_400000_NS6detail17trampoline_kernelINS0_14default_configENS1_25partition_config_selectorILNS1_17partition_subalgoE8ElNS0_10empty_typeEbEEZZNS1_14partition_implILS5_8ELb0ES3_jPlPS6_PKS6_NS0_5tupleIJS9_S6_EEENSD_IJSA_SA_EEENS0_18inequality_wrapperIZN2at6native12_GLOBAL__N_124unique_dim_cuda_templateIN3c104HalfEEESt5tupleIJNSH_6TensorESO_SO_EERKSO_lbbbEUlllE0_EEPmJS6_EEE10hipError_tPvRmT3_T4_T5_T6_T7_T9_mT8_P12ihipStream_tbDpT10_ENKUlT_T0_E_clISt17integral_constantIbLb0EES1E_EEDaS19_S1A_EUlS19_E_NS1_11comp_targetILNS1_3genE5ELNS1_11target_archE942ELNS1_3gpuE9ELNS1_3repE0EEENS1_30default_config_static_selectorELNS0_4arch9wavefront6targetE0EEEvT1_
		.amdhsa_group_segment_fixed_size 0
		.amdhsa_private_segment_fixed_size 0
		.amdhsa_kernarg_size 120
		.amdhsa_user_sgpr_count 2
		.amdhsa_user_sgpr_dispatch_ptr 0
		.amdhsa_user_sgpr_queue_ptr 0
		.amdhsa_user_sgpr_kernarg_segment_ptr 1
		.amdhsa_user_sgpr_dispatch_id 0
		.amdhsa_user_sgpr_kernarg_preload_length 0
		.amdhsa_user_sgpr_kernarg_preload_offset 0
		.amdhsa_user_sgpr_private_segment_size 0
		.amdhsa_wavefront_size32 1
		.amdhsa_uses_dynamic_stack 0
		.amdhsa_enable_private_segment 0
		.amdhsa_system_sgpr_workgroup_id_x 1
		.amdhsa_system_sgpr_workgroup_id_y 0
		.amdhsa_system_sgpr_workgroup_id_z 0
		.amdhsa_system_sgpr_workgroup_info 0
		.amdhsa_system_vgpr_workitem_id 0
		.amdhsa_next_free_vgpr 1
		.amdhsa_next_free_sgpr 1
		.amdhsa_named_barrier_count 0
		.amdhsa_reserve_vcc 0
		.amdhsa_float_round_mode_32 0
		.amdhsa_float_round_mode_16_64 0
		.amdhsa_float_denorm_mode_32 3
		.amdhsa_float_denorm_mode_16_64 3
		.amdhsa_fp16_overflow 0
		.amdhsa_memory_ordered 1
		.amdhsa_forward_progress 1
		.amdhsa_inst_pref_size 0
		.amdhsa_round_robin_scheduling 0
		.amdhsa_exception_fp_ieee_invalid_op 0
		.amdhsa_exception_fp_denorm_src 0
		.amdhsa_exception_fp_ieee_div_zero 0
		.amdhsa_exception_fp_ieee_overflow 0
		.amdhsa_exception_fp_ieee_underflow 0
		.amdhsa_exception_fp_ieee_inexact 0
		.amdhsa_exception_int_div_zero 0
	.end_amdhsa_kernel
	.section	.text._ZN7rocprim17ROCPRIM_400000_NS6detail17trampoline_kernelINS0_14default_configENS1_25partition_config_selectorILNS1_17partition_subalgoE8ElNS0_10empty_typeEbEEZZNS1_14partition_implILS5_8ELb0ES3_jPlPS6_PKS6_NS0_5tupleIJS9_S6_EEENSD_IJSA_SA_EEENS0_18inequality_wrapperIZN2at6native12_GLOBAL__N_124unique_dim_cuda_templateIN3c104HalfEEESt5tupleIJNSH_6TensorESO_SO_EERKSO_lbbbEUlllE0_EEPmJS6_EEE10hipError_tPvRmT3_T4_T5_T6_T7_T9_mT8_P12ihipStream_tbDpT10_ENKUlT_T0_E_clISt17integral_constantIbLb0EES1E_EEDaS19_S1A_EUlS19_E_NS1_11comp_targetILNS1_3genE5ELNS1_11target_archE942ELNS1_3gpuE9ELNS1_3repE0EEENS1_30default_config_static_selectorELNS0_4arch9wavefront6targetE0EEEvT1_,"axG",@progbits,_ZN7rocprim17ROCPRIM_400000_NS6detail17trampoline_kernelINS0_14default_configENS1_25partition_config_selectorILNS1_17partition_subalgoE8ElNS0_10empty_typeEbEEZZNS1_14partition_implILS5_8ELb0ES3_jPlPS6_PKS6_NS0_5tupleIJS9_S6_EEENSD_IJSA_SA_EEENS0_18inequality_wrapperIZN2at6native12_GLOBAL__N_124unique_dim_cuda_templateIN3c104HalfEEESt5tupleIJNSH_6TensorESO_SO_EERKSO_lbbbEUlllE0_EEPmJS6_EEE10hipError_tPvRmT3_T4_T5_T6_T7_T9_mT8_P12ihipStream_tbDpT10_ENKUlT_T0_E_clISt17integral_constantIbLb0EES1E_EEDaS19_S1A_EUlS19_E_NS1_11comp_targetILNS1_3genE5ELNS1_11target_archE942ELNS1_3gpuE9ELNS1_3repE0EEENS1_30default_config_static_selectorELNS0_4arch9wavefront6targetE0EEEvT1_,comdat
.Lfunc_end1298:
	.size	_ZN7rocprim17ROCPRIM_400000_NS6detail17trampoline_kernelINS0_14default_configENS1_25partition_config_selectorILNS1_17partition_subalgoE8ElNS0_10empty_typeEbEEZZNS1_14partition_implILS5_8ELb0ES3_jPlPS6_PKS6_NS0_5tupleIJS9_S6_EEENSD_IJSA_SA_EEENS0_18inequality_wrapperIZN2at6native12_GLOBAL__N_124unique_dim_cuda_templateIN3c104HalfEEESt5tupleIJNSH_6TensorESO_SO_EERKSO_lbbbEUlllE0_EEPmJS6_EEE10hipError_tPvRmT3_T4_T5_T6_T7_T9_mT8_P12ihipStream_tbDpT10_ENKUlT_T0_E_clISt17integral_constantIbLb0EES1E_EEDaS19_S1A_EUlS19_E_NS1_11comp_targetILNS1_3genE5ELNS1_11target_archE942ELNS1_3gpuE9ELNS1_3repE0EEENS1_30default_config_static_selectorELNS0_4arch9wavefront6targetE0EEEvT1_, .Lfunc_end1298-_ZN7rocprim17ROCPRIM_400000_NS6detail17trampoline_kernelINS0_14default_configENS1_25partition_config_selectorILNS1_17partition_subalgoE8ElNS0_10empty_typeEbEEZZNS1_14partition_implILS5_8ELb0ES3_jPlPS6_PKS6_NS0_5tupleIJS9_S6_EEENSD_IJSA_SA_EEENS0_18inequality_wrapperIZN2at6native12_GLOBAL__N_124unique_dim_cuda_templateIN3c104HalfEEESt5tupleIJNSH_6TensorESO_SO_EERKSO_lbbbEUlllE0_EEPmJS6_EEE10hipError_tPvRmT3_T4_T5_T6_T7_T9_mT8_P12ihipStream_tbDpT10_ENKUlT_T0_E_clISt17integral_constantIbLb0EES1E_EEDaS19_S1A_EUlS19_E_NS1_11comp_targetILNS1_3genE5ELNS1_11target_archE942ELNS1_3gpuE9ELNS1_3repE0EEENS1_30default_config_static_selectorELNS0_4arch9wavefront6targetE0EEEvT1_
                                        ; -- End function
	.set _ZN7rocprim17ROCPRIM_400000_NS6detail17trampoline_kernelINS0_14default_configENS1_25partition_config_selectorILNS1_17partition_subalgoE8ElNS0_10empty_typeEbEEZZNS1_14partition_implILS5_8ELb0ES3_jPlPS6_PKS6_NS0_5tupleIJS9_S6_EEENSD_IJSA_SA_EEENS0_18inequality_wrapperIZN2at6native12_GLOBAL__N_124unique_dim_cuda_templateIN3c104HalfEEESt5tupleIJNSH_6TensorESO_SO_EERKSO_lbbbEUlllE0_EEPmJS6_EEE10hipError_tPvRmT3_T4_T5_T6_T7_T9_mT8_P12ihipStream_tbDpT10_ENKUlT_T0_E_clISt17integral_constantIbLb0EES1E_EEDaS19_S1A_EUlS19_E_NS1_11comp_targetILNS1_3genE5ELNS1_11target_archE942ELNS1_3gpuE9ELNS1_3repE0EEENS1_30default_config_static_selectorELNS0_4arch9wavefront6targetE0EEEvT1_.num_vgpr, 0
	.set _ZN7rocprim17ROCPRIM_400000_NS6detail17trampoline_kernelINS0_14default_configENS1_25partition_config_selectorILNS1_17partition_subalgoE8ElNS0_10empty_typeEbEEZZNS1_14partition_implILS5_8ELb0ES3_jPlPS6_PKS6_NS0_5tupleIJS9_S6_EEENSD_IJSA_SA_EEENS0_18inequality_wrapperIZN2at6native12_GLOBAL__N_124unique_dim_cuda_templateIN3c104HalfEEESt5tupleIJNSH_6TensorESO_SO_EERKSO_lbbbEUlllE0_EEPmJS6_EEE10hipError_tPvRmT3_T4_T5_T6_T7_T9_mT8_P12ihipStream_tbDpT10_ENKUlT_T0_E_clISt17integral_constantIbLb0EES1E_EEDaS19_S1A_EUlS19_E_NS1_11comp_targetILNS1_3genE5ELNS1_11target_archE942ELNS1_3gpuE9ELNS1_3repE0EEENS1_30default_config_static_selectorELNS0_4arch9wavefront6targetE0EEEvT1_.num_agpr, 0
	.set _ZN7rocprim17ROCPRIM_400000_NS6detail17trampoline_kernelINS0_14default_configENS1_25partition_config_selectorILNS1_17partition_subalgoE8ElNS0_10empty_typeEbEEZZNS1_14partition_implILS5_8ELb0ES3_jPlPS6_PKS6_NS0_5tupleIJS9_S6_EEENSD_IJSA_SA_EEENS0_18inequality_wrapperIZN2at6native12_GLOBAL__N_124unique_dim_cuda_templateIN3c104HalfEEESt5tupleIJNSH_6TensorESO_SO_EERKSO_lbbbEUlllE0_EEPmJS6_EEE10hipError_tPvRmT3_T4_T5_T6_T7_T9_mT8_P12ihipStream_tbDpT10_ENKUlT_T0_E_clISt17integral_constantIbLb0EES1E_EEDaS19_S1A_EUlS19_E_NS1_11comp_targetILNS1_3genE5ELNS1_11target_archE942ELNS1_3gpuE9ELNS1_3repE0EEENS1_30default_config_static_selectorELNS0_4arch9wavefront6targetE0EEEvT1_.numbered_sgpr, 0
	.set _ZN7rocprim17ROCPRIM_400000_NS6detail17trampoline_kernelINS0_14default_configENS1_25partition_config_selectorILNS1_17partition_subalgoE8ElNS0_10empty_typeEbEEZZNS1_14partition_implILS5_8ELb0ES3_jPlPS6_PKS6_NS0_5tupleIJS9_S6_EEENSD_IJSA_SA_EEENS0_18inequality_wrapperIZN2at6native12_GLOBAL__N_124unique_dim_cuda_templateIN3c104HalfEEESt5tupleIJNSH_6TensorESO_SO_EERKSO_lbbbEUlllE0_EEPmJS6_EEE10hipError_tPvRmT3_T4_T5_T6_T7_T9_mT8_P12ihipStream_tbDpT10_ENKUlT_T0_E_clISt17integral_constantIbLb0EES1E_EEDaS19_S1A_EUlS19_E_NS1_11comp_targetILNS1_3genE5ELNS1_11target_archE942ELNS1_3gpuE9ELNS1_3repE0EEENS1_30default_config_static_selectorELNS0_4arch9wavefront6targetE0EEEvT1_.num_named_barrier, 0
	.set _ZN7rocprim17ROCPRIM_400000_NS6detail17trampoline_kernelINS0_14default_configENS1_25partition_config_selectorILNS1_17partition_subalgoE8ElNS0_10empty_typeEbEEZZNS1_14partition_implILS5_8ELb0ES3_jPlPS6_PKS6_NS0_5tupleIJS9_S6_EEENSD_IJSA_SA_EEENS0_18inequality_wrapperIZN2at6native12_GLOBAL__N_124unique_dim_cuda_templateIN3c104HalfEEESt5tupleIJNSH_6TensorESO_SO_EERKSO_lbbbEUlllE0_EEPmJS6_EEE10hipError_tPvRmT3_T4_T5_T6_T7_T9_mT8_P12ihipStream_tbDpT10_ENKUlT_T0_E_clISt17integral_constantIbLb0EES1E_EEDaS19_S1A_EUlS19_E_NS1_11comp_targetILNS1_3genE5ELNS1_11target_archE942ELNS1_3gpuE9ELNS1_3repE0EEENS1_30default_config_static_selectorELNS0_4arch9wavefront6targetE0EEEvT1_.private_seg_size, 0
	.set _ZN7rocprim17ROCPRIM_400000_NS6detail17trampoline_kernelINS0_14default_configENS1_25partition_config_selectorILNS1_17partition_subalgoE8ElNS0_10empty_typeEbEEZZNS1_14partition_implILS5_8ELb0ES3_jPlPS6_PKS6_NS0_5tupleIJS9_S6_EEENSD_IJSA_SA_EEENS0_18inequality_wrapperIZN2at6native12_GLOBAL__N_124unique_dim_cuda_templateIN3c104HalfEEESt5tupleIJNSH_6TensorESO_SO_EERKSO_lbbbEUlllE0_EEPmJS6_EEE10hipError_tPvRmT3_T4_T5_T6_T7_T9_mT8_P12ihipStream_tbDpT10_ENKUlT_T0_E_clISt17integral_constantIbLb0EES1E_EEDaS19_S1A_EUlS19_E_NS1_11comp_targetILNS1_3genE5ELNS1_11target_archE942ELNS1_3gpuE9ELNS1_3repE0EEENS1_30default_config_static_selectorELNS0_4arch9wavefront6targetE0EEEvT1_.uses_vcc, 0
	.set _ZN7rocprim17ROCPRIM_400000_NS6detail17trampoline_kernelINS0_14default_configENS1_25partition_config_selectorILNS1_17partition_subalgoE8ElNS0_10empty_typeEbEEZZNS1_14partition_implILS5_8ELb0ES3_jPlPS6_PKS6_NS0_5tupleIJS9_S6_EEENSD_IJSA_SA_EEENS0_18inequality_wrapperIZN2at6native12_GLOBAL__N_124unique_dim_cuda_templateIN3c104HalfEEESt5tupleIJNSH_6TensorESO_SO_EERKSO_lbbbEUlllE0_EEPmJS6_EEE10hipError_tPvRmT3_T4_T5_T6_T7_T9_mT8_P12ihipStream_tbDpT10_ENKUlT_T0_E_clISt17integral_constantIbLb0EES1E_EEDaS19_S1A_EUlS19_E_NS1_11comp_targetILNS1_3genE5ELNS1_11target_archE942ELNS1_3gpuE9ELNS1_3repE0EEENS1_30default_config_static_selectorELNS0_4arch9wavefront6targetE0EEEvT1_.uses_flat_scratch, 0
	.set _ZN7rocprim17ROCPRIM_400000_NS6detail17trampoline_kernelINS0_14default_configENS1_25partition_config_selectorILNS1_17partition_subalgoE8ElNS0_10empty_typeEbEEZZNS1_14partition_implILS5_8ELb0ES3_jPlPS6_PKS6_NS0_5tupleIJS9_S6_EEENSD_IJSA_SA_EEENS0_18inequality_wrapperIZN2at6native12_GLOBAL__N_124unique_dim_cuda_templateIN3c104HalfEEESt5tupleIJNSH_6TensorESO_SO_EERKSO_lbbbEUlllE0_EEPmJS6_EEE10hipError_tPvRmT3_T4_T5_T6_T7_T9_mT8_P12ihipStream_tbDpT10_ENKUlT_T0_E_clISt17integral_constantIbLb0EES1E_EEDaS19_S1A_EUlS19_E_NS1_11comp_targetILNS1_3genE5ELNS1_11target_archE942ELNS1_3gpuE9ELNS1_3repE0EEENS1_30default_config_static_selectorELNS0_4arch9wavefront6targetE0EEEvT1_.has_dyn_sized_stack, 0
	.set _ZN7rocprim17ROCPRIM_400000_NS6detail17trampoline_kernelINS0_14default_configENS1_25partition_config_selectorILNS1_17partition_subalgoE8ElNS0_10empty_typeEbEEZZNS1_14partition_implILS5_8ELb0ES3_jPlPS6_PKS6_NS0_5tupleIJS9_S6_EEENSD_IJSA_SA_EEENS0_18inequality_wrapperIZN2at6native12_GLOBAL__N_124unique_dim_cuda_templateIN3c104HalfEEESt5tupleIJNSH_6TensorESO_SO_EERKSO_lbbbEUlllE0_EEPmJS6_EEE10hipError_tPvRmT3_T4_T5_T6_T7_T9_mT8_P12ihipStream_tbDpT10_ENKUlT_T0_E_clISt17integral_constantIbLb0EES1E_EEDaS19_S1A_EUlS19_E_NS1_11comp_targetILNS1_3genE5ELNS1_11target_archE942ELNS1_3gpuE9ELNS1_3repE0EEENS1_30default_config_static_selectorELNS0_4arch9wavefront6targetE0EEEvT1_.has_recursion, 0
	.set _ZN7rocprim17ROCPRIM_400000_NS6detail17trampoline_kernelINS0_14default_configENS1_25partition_config_selectorILNS1_17partition_subalgoE8ElNS0_10empty_typeEbEEZZNS1_14partition_implILS5_8ELb0ES3_jPlPS6_PKS6_NS0_5tupleIJS9_S6_EEENSD_IJSA_SA_EEENS0_18inequality_wrapperIZN2at6native12_GLOBAL__N_124unique_dim_cuda_templateIN3c104HalfEEESt5tupleIJNSH_6TensorESO_SO_EERKSO_lbbbEUlllE0_EEPmJS6_EEE10hipError_tPvRmT3_T4_T5_T6_T7_T9_mT8_P12ihipStream_tbDpT10_ENKUlT_T0_E_clISt17integral_constantIbLb0EES1E_EEDaS19_S1A_EUlS19_E_NS1_11comp_targetILNS1_3genE5ELNS1_11target_archE942ELNS1_3gpuE9ELNS1_3repE0EEENS1_30default_config_static_selectorELNS0_4arch9wavefront6targetE0EEEvT1_.has_indirect_call, 0
	.section	.AMDGPU.csdata,"",@progbits
; Kernel info:
; codeLenInByte = 0
; TotalNumSgprs: 0
; NumVgprs: 0
; ScratchSize: 0
; MemoryBound: 0
; FloatMode: 240
; IeeeMode: 1
; LDSByteSize: 0 bytes/workgroup (compile time only)
; SGPRBlocks: 0
; VGPRBlocks: 0
; NumSGPRsForWavesPerEU: 1
; NumVGPRsForWavesPerEU: 1
; NamedBarCnt: 0
; Occupancy: 16
; WaveLimiterHint : 0
; COMPUTE_PGM_RSRC2:SCRATCH_EN: 0
; COMPUTE_PGM_RSRC2:USER_SGPR: 2
; COMPUTE_PGM_RSRC2:TRAP_HANDLER: 0
; COMPUTE_PGM_RSRC2:TGID_X_EN: 1
; COMPUTE_PGM_RSRC2:TGID_Y_EN: 0
; COMPUTE_PGM_RSRC2:TGID_Z_EN: 0
; COMPUTE_PGM_RSRC2:TIDIG_COMP_CNT: 0
	.section	.text._ZN7rocprim17ROCPRIM_400000_NS6detail17trampoline_kernelINS0_14default_configENS1_25partition_config_selectorILNS1_17partition_subalgoE8ElNS0_10empty_typeEbEEZZNS1_14partition_implILS5_8ELb0ES3_jPlPS6_PKS6_NS0_5tupleIJS9_S6_EEENSD_IJSA_SA_EEENS0_18inequality_wrapperIZN2at6native12_GLOBAL__N_124unique_dim_cuda_templateIN3c104HalfEEESt5tupleIJNSH_6TensorESO_SO_EERKSO_lbbbEUlllE0_EEPmJS6_EEE10hipError_tPvRmT3_T4_T5_T6_T7_T9_mT8_P12ihipStream_tbDpT10_ENKUlT_T0_E_clISt17integral_constantIbLb0EES1E_EEDaS19_S1A_EUlS19_E_NS1_11comp_targetILNS1_3genE4ELNS1_11target_archE910ELNS1_3gpuE8ELNS1_3repE0EEENS1_30default_config_static_selectorELNS0_4arch9wavefront6targetE0EEEvT1_,"axG",@progbits,_ZN7rocprim17ROCPRIM_400000_NS6detail17trampoline_kernelINS0_14default_configENS1_25partition_config_selectorILNS1_17partition_subalgoE8ElNS0_10empty_typeEbEEZZNS1_14partition_implILS5_8ELb0ES3_jPlPS6_PKS6_NS0_5tupleIJS9_S6_EEENSD_IJSA_SA_EEENS0_18inequality_wrapperIZN2at6native12_GLOBAL__N_124unique_dim_cuda_templateIN3c104HalfEEESt5tupleIJNSH_6TensorESO_SO_EERKSO_lbbbEUlllE0_EEPmJS6_EEE10hipError_tPvRmT3_T4_T5_T6_T7_T9_mT8_P12ihipStream_tbDpT10_ENKUlT_T0_E_clISt17integral_constantIbLb0EES1E_EEDaS19_S1A_EUlS19_E_NS1_11comp_targetILNS1_3genE4ELNS1_11target_archE910ELNS1_3gpuE8ELNS1_3repE0EEENS1_30default_config_static_selectorELNS0_4arch9wavefront6targetE0EEEvT1_,comdat
	.globl	_ZN7rocprim17ROCPRIM_400000_NS6detail17trampoline_kernelINS0_14default_configENS1_25partition_config_selectorILNS1_17partition_subalgoE8ElNS0_10empty_typeEbEEZZNS1_14partition_implILS5_8ELb0ES3_jPlPS6_PKS6_NS0_5tupleIJS9_S6_EEENSD_IJSA_SA_EEENS0_18inequality_wrapperIZN2at6native12_GLOBAL__N_124unique_dim_cuda_templateIN3c104HalfEEESt5tupleIJNSH_6TensorESO_SO_EERKSO_lbbbEUlllE0_EEPmJS6_EEE10hipError_tPvRmT3_T4_T5_T6_T7_T9_mT8_P12ihipStream_tbDpT10_ENKUlT_T0_E_clISt17integral_constantIbLb0EES1E_EEDaS19_S1A_EUlS19_E_NS1_11comp_targetILNS1_3genE4ELNS1_11target_archE910ELNS1_3gpuE8ELNS1_3repE0EEENS1_30default_config_static_selectorELNS0_4arch9wavefront6targetE0EEEvT1_ ; -- Begin function _ZN7rocprim17ROCPRIM_400000_NS6detail17trampoline_kernelINS0_14default_configENS1_25partition_config_selectorILNS1_17partition_subalgoE8ElNS0_10empty_typeEbEEZZNS1_14partition_implILS5_8ELb0ES3_jPlPS6_PKS6_NS0_5tupleIJS9_S6_EEENSD_IJSA_SA_EEENS0_18inequality_wrapperIZN2at6native12_GLOBAL__N_124unique_dim_cuda_templateIN3c104HalfEEESt5tupleIJNSH_6TensorESO_SO_EERKSO_lbbbEUlllE0_EEPmJS6_EEE10hipError_tPvRmT3_T4_T5_T6_T7_T9_mT8_P12ihipStream_tbDpT10_ENKUlT_T0_E_clISt17integral_constantIbLb0EES1E_EEDaS19_S1A_EUlS19_E_NS1_11comp_targetILNS1_3genE4ELNS1_11target_archE910ELNS1_3gpuE8ELNS1_3repE0EEENS1_30default_config_static_selectorELNS0_4arch9wavefront6targetE0EEEvT1_
	.p2align	8
	.type	_ZN7rocprim17ROCPRIM_400000_NS6detail17trampoline_kernelINS0_14default_configENS1_25partition_config_selectorILNS1_17partition_subalgoE8ElNS0_10empty_typeEbEEZZNS1_14partition_implILS5_8ELb0ES3_jPlPS6_PKS6_NS0_5tupleIJS9_S6_EEENSD_IJSA_SA_EEENS0_18inequality_wrapperIZN2at6native12_GLOBAL__N_124unique_dim_cuda_templateIN3c104HalfEEESt5tupleIJNSH_6TensorESO_SO_EERKSO_lbbbEUlllE0_EEPmJS6_EEE10hipError_tPvRmT3_T4_T5_T6_T7_T9_mT8_P12ihipStream_tbDpT10_ENKUlT_T0_E_clISt17integral_constantIbLb0EES1E_EEDaS19_S1A_EUlS19_E_NS1_11comp_targetILNS1_3genE4ELNS1_11target_archE910ELNS1_3gpuE8ELNS1_3repE0EEENS1_30default_config_static_selectorELNS0_4arch9wavefront6targetE0EEEvT1_,@function
_ZN7rocprim17ROCPRIM_400000_NS6detail17trampoline_kernelINS0_14default_configENS1_25partition_config_selectorILNS1_17partition_subalgoE8ElNS0_10empty_typeEbEEZZNS1_14partition_implILS5_8ELb0ES3_jPlPS6_PKS6_NS0_5tupleIJS9_S6_EEENSD_IJSA_SA_EEENS0_18inequality_wrapperIZN2at6native12_GLOBAL__N_124unique_dim_cuda_templateIN3c104HalfEEESt5tupleIJNSH_6TensorESO_SO_EERKSO_lbbbEUlllE0_EEPmJS6_EEE10hipError_tPvRmT3_T4_T5_T6_T7_T9_mT8_P12ihipStream_tbDpT10_ENKUlT_T0_E_clISt17integral_constantIbLb0EES1E_EEDaS19_S1A_EUlS19_E_NS1_11comp_targetILNS1_3genE4ELNS1_11target_archE910ELNS1_3gpuE8ELNS1_3repE0EEENS1_30default_config_static_selectorELNS0_4arch9wavefront6targetE0EEEvT1_: ; @_ZN7rocprim17ROCPRIM_400000_NS6detail17trampoline_kernelINS0_14default_configENS1_25partition_config_selectorILNS1_17partition_subalgoE8ElNS0_10empty_typeEbEEZZNS1_14partition_implILS5_8ELb0ES3_jPlPS6_PKS6_NS0_5tupleIJS9_S6_EEENSD_IJSA_SA_EEENS0_18inequality_wrapperIZN2at6native12_GLOBAL__N_124unique_dim_cuda_templateIN3c104HalfEEESt5tupleIJNSH_6TensorESO_SO_EERKSO_lbbbEUlllE0_EEPmJS6_EEE10hipError_tPvRmT3_T4_T5_T6_T7_T9_mT8_P12ihipStream_tbDpT10_ENKUlT_T0_E_clISt17integral_constantIbLb0EES1E_EEDaS19_S1A_EUlS19_E_NS1_11comp_targetILNS1_3genE4ELNS1_11target_archE910ELNS1_3gpuE8ELNS1_3repE0EEENS1_30default_config_static_selectorELNS0_4arch9wavefront6targetE0EEEvT1_
; %bb.0:
	.section	.rodata,"a",@progbits
	.p2align	6, 0x0
	.amdhsa_kernel _ZN7rocprim17ROCPRIM_400000_NS6detail17trampoline_kernelINS0_14default_configENS1_25partition_config_selectorILNS1_17partition_subalgoE8ElNS0_10empty_typeEbEEZZNS1_14partition_implILS5_8ELb0ES3_jPlPS6_PKS6_NS0_5tupleIJS9_S6_EEENSD_IJSA_SA_EEENS0_18inequality_wrapperIZN2at6native12_GLOBAL__N_124unique_dim_cuda_templateIN3c104HalfEEESt5tupleIJNSH_6TensorESO_SO_EERKSO_lbbbEUlllE0_EEPmJS6_EEE10hipError_tPvRmT3_T4_T5_T6_T7_T9_mT8_P12ihipStream_tbDpT10_ENKUlT_T0_E_clISt17integral_constantIbLb0EES1E_EEDaS19_S1A_EUlS19_E_NS1_11comp_targetILNS1_3genE4ELNS1_11target_archE910ELNS1_3gpuE8ELNS1_3repE0EEENS1_30default_config_static_selectorELNS0_4arch9wavefront6targetE0EEEvT1_
		.amdhsa_group_segment_fixed_size 0
		.amdhsa_private_segment_fixed_size 0
		.amdhsa_kernarg_size 120
		.amdhsa_user_sgpr_count 2
		.amdhsa_user_sgpr_dispatch_ptr 0
		.amdhsa_user_sgpr_queue_ptr 0
		.amdhsa_user_sgpr_kernarg_segment_ptr 1
		.amdhsa_user_sgpr_dispatch_id 0
		.amdhsa_user_sgpr_kernarg_preload_length 0
		.amdhsa_user_sgpr_kernarg_preload_offset 0
		.amdhsa_user_sgpr_private_segment_size 0
		.amdhsa_wavefront_size32 1
		.amdhsa_uses_dynamic_stack 0
		.amdhsa_enable_private_segment 0
		.amdhsa_system_sgpr_workgroup_id_x 1
		.amdhsa_system_sgpr_workgroup_id_y 0
		.amdhsa_system_sgpr_workgroup_id_z 0
		.amdhsa_system_sgpr_workgroup_info 0
		.amdhsa_system_vgpr_workitem_id 0
		.amdhsa_next_free_vgpr 1
		.amdhsa_next_free_sgpr 1
		.amdhsa_named_barrier_count 0
		.amdhsa_reserve_vcc 0
		.amdhsa_float_round_mode_32 0
		.amdhsa_float_round_mode_16_64 0
		.amdhsa_float_denorm_mode_32 3
		.amdhsa_float_denorm_mode_16_64 3
		.amdhsa_fp16_overflow 0
		.amdhsa_memory_ordered 1
		.amdhsa_forward_progress 1
		.amdhsa_inst_pref_size 0
		.amdhsa_round_robin_scheduling 0
		.amdhsa_exception_fp_ieee_invalid_op 0
		.amdhsa_exception_fp_denorm_src 0
		.amdhsa_exception_fp_ieee_div_zero 0
		.amdhsa_exception_fp_ieee_overflow 0
		.amdhsa_exception_fp_ieee_underflow 0
		.amdhsa_exception_fp_ieee_inexact 0
		.amdhsa_exception_int_div_zero 0
	.end_amdhsa_kernel
	.section	.text._ZN7rocprim17ROCPRIM_400000_NS6detail17trampoline_kernelINS0_14default_configENS1_25partition_config_selectorILNS1_17partition_subalgoE8ElNS0_10empty_typeEbEEZZNS1_14partition_implILS5_8ELb0ES3_jPlPS6_PKS6_NS0_5tupleIJS9_S6_EEENSD_IJSA_SA_EEENS0_18inequality_wrapperIZN2at6native12_GLOBAL__N_124unique_dim_cuda_templateIN3c104HalfEEESt5tupleIJNSH_6TensorESO_SO_EERKSO_lbbbEUlllE0_EEPmJS6_EEE10hipError_tPvRmT3_T4_T5_T6_T7_T9_mT8_P12ihipStream_tbDpT10_ENKUlT_T0_E_clISt17integral_constantIbLb0EES1E_EEDaS19_S1A_EUlS19_E_NS1_11comp_targetILNS1_3genE4ELNS1_11target_archE910ELNS1_3gpuE8ELNS1_3repE0EEENS1_30default_config_static_selectorELNS0_4arch9wavefront6targetE0EEEvT1_,"axG",@progbits,_ZN7rocprim17ROCPRIM_400000_NS6detail17trampoline_kernelINS0_14default_configENS1_25partition_config_selectorILNS1_17partition_subalgoE8ElNS0_10empty_typeEbEEZZNS1_14partition_implILS5_8ELb0ES3_jPlPS6_PKS6_NS0_5tupleIJS9_S6_EEENSD_IJSA_SA_EEENS0_18inequality_wrapperIZN2at6native12_GLOBAL__N_124unique_dim_cuda_templateIN3c104HalfEEESt5tupleIJNSH_6TensorESO_SO_EERKSO_lbbbEUlllE0_EEPmJS6_EEE10hipError_tPvRmT3_T4_T5_T6_T7_T9_mT8_P12ihipStream_tbDpT10_ENKUlT_T0_E_clISt17integral_constantIbLb0EES1E_EEDaS19_S1A_EUlS19_E_NS1_11comp_targetILNS1_3genE4ELNS1_11target_archE910ELNS1_3gpuE8ELNS1_3repE0EEENS1_30default_config_static_selectorELNS0_4arch9wavefront6targetE0EEEvT1_,comdat
.Lfunc_end1299:
	.size	_ZN7rocprim17ROCPRIM_400000_NS6detail17trampoline_kernelINS0_14default_configENS1_25partition_config_selectorILNS1_17partition_subalgoE8ElNS0_10empty_typeEbEEZZNS1_14partition_implILS5_8ELb0ES3_jPlPS6_PKS6_NS0_5tupleIJS9_S6_EEENSD_IJSA_SA_EEENS0_18inequality_wrapperIZN2at6native12_GLOBAL__N_124unique_dim_cuda_templateIN3c104HalfEEESt5tupleIJNSH_6TensorESO_SO_EERKSO_lbbbEUlllE0_EEPmJS6_EEE10hipError_tPvRmT3_T4_T5_T6_T7_T9_mT8_P12ihipStream_tbDpT10_ENKUlT_T0_E_clISt17integral_constantIbLb0EES1E_EEDaS19_S1A_EUlS19_E_NS1_11comp_targetILNS1_3genE4ELNS1_11target_archE910ELNS1_3gpuE8ELNS1_3repE0EEENS1_30default_config_static_selectorELNS0_4arch9wavefront6targetE0EEEvT1_, .Lfunc_end1299-_ZN7rocprim17ROCPRIM_400000_NS6detail17trampoline_kernelINS0_14default_configENS1_25partition_config_selectorILNS1_17partition_subalgoE8ElNS0_10empty_typeEbEEZZNS1_14partition_implILS5_8ELb0ES3_jPlPS6_PKS6_NS0_5tupleIJS9_S6_EEENSD_IJSA_SA_EEENS0_18inequality_wrapperIZN2at6native12_GLOBAL__N_124unique_dim_cuda_templateIN3c104HalfEEESt5tupleIJNSH_6TensorESO_SO_EERKSO_lbbbEUlllE0_EEPmJS6_EEE10hipError_tPvRmT3_T4_T5_T6_T7_T9_mT8_P12ihipStream_tbDpT10_ENKUlT_T0_E_clISt17integral_constantIbLb0EES1E_EEDaS19_S1A_EUlS19_E_NS1_11comp_targetILNS1_3genE4ELNS1_11target_archE910ELNS1_3gpuE8ELNS1_3repE0EEENS1_30default_config_static_selectorELNS0_4arch9wavefront6targetE0EEEvT1_
                                        ; -- End function
	.set _ZN7rocprim17ROCPRIM_400000_NS6detail17trampoline_kernelINS0_14default_configENS1_25partition_config_selectorILNS1_17partition_subalgoE8ElNS0_10empty_typeEbEEZZNS1_14partition_implILS5_8ELb0ES3_jPlPS6_PKS6_NS0_5tupleIJS9_S6_EEENSD_IJSA_SA_EEENS0_18inequality_wrapperIZN2at6native12_GLOBAL__N_124unique_dim_cuda_templateIN3c104HalfEEESt5tupleIJNSH_6TensorESO_SO_EERKSO_lbbbEUlllE0_EEPmJS6_EEE10hipError_tPvRmT3_T4_T5_T6_T7_T9_mT8_P12ihipStream_tbDpT10_ENKUlT_T0_E_clISt17integral_constantIbLb0EES1E_EEDaS19_S1A_EUlS19_E_NS1_11comp_targetILNS1_3genE4ELNS1_11target_archE910ELNS1_3gpuE8ELNS1_3repE0EEENS1_30default_config_static_selectorELNS0_4arch9wavefront6targetE0EEEvT1_.num_vgpr, 0
	.set _ZN7rocprim17ROCPRIM_400000_NS6detail17trampoline_kernelINS0_14default_configENS1_25partition_config_selectorILNS1_17partition_subalgoE8ElNS0_10empty_typeEbEEZZNS1_14partition_implILS5_8ELb0ES3_jPlPS6_PKS6_NS0_5tupleIJS9_S6_EEENSD_IJSA_SA_EEENS0_18inequality_wrapperIZN2at6native12_GLOBAL__N_124unique_dim_cuda_templateIN3c104HalfEEESt5tupleIJNSH_6TensorESO_SO_EERKSO_lbbbEUlllE0_EEPmJS6_EEE10hipError_tPvRmT3_T4_T5_T6_T7_T9_mT8_P12ihipStream_tbDpT10_ENKUlT_T0_E_clISt17integral_constantIbLb0EES1E_EEDaS19_S1A_EUlS19_E_NS1_11comp_targetILNS1_3genE4ELNS1_11target_archE910ELNS1_3gpuE8ELNS1_3repE0EEENS1_30default_config_static_selectorELNS0_4arch9wavefront6targetE0EEEvT1_.num_agpr, 0
	.set _ZN7rocprim17ROCPRIM_400000_NS6detail17trampoline_kernelINS0_14default_configENS1_25partition_config_selectorILNS1_17partition_subalgoE8ElNS0_10empty_typeEbEEZZNS1_14partition_implILS5_8ELb0ES3_jPlPS6_PKS6_NS0_5tupleIJS9_S6_EEENSD_IJSA_SA_EEENS0_18inequality_wrapperIZN2at6native12_GLOBAL__N_124unique_dim_cuda_templateIN3c104HalfEEESt5tupleIJNSH_6TensorESO_SO_EERKSO_lbbbEUlllE0_EEPmJS6_EEE10hipError_tPvRmT3_T4_T5_T6_T7_T9_mT8_P12ihipStream_tbDpT10_ENKUlT_T0_E_clISt17integral_constantIbLb0EES1E_EEDaS19_S1A_EUlS19_E_NS1_11comp_targetILNS1_3genE4ELNS1_11target_archE910ELNS1_3gpuE8ELNS1_3repE0EEENS1_30default_config_static_selectorELNS0_4arch9wavefront6targetE0EEEvT1_.numbered_sgpr, 0
	.set _ZN7rocprim17ROCPRIM_400000_NS6detail17trampoline_kernelINS0_14default_configENS1_25partition_config_selectorILNS1_17partition_subalgoE8ElNS0_10empty_typeEbEEZZNS1_14partition_implILS5_8ELb0ES3_jPlPS6_PKS6_NS0_5tupleIJS9_S6_EEENSD_IJSA_SA_EEENS0_18inequality_wrapperIZN2at6native12_GLOBAL__N_124unique_dim_cuda_templateIN3c104HalfEEESt5tupleIJNSH_6TensorESO_SO_EERKSO_lbbbEUlllE0_EEPmJS6_EEE10hipError_tPvRmT3_T4_T5_T6_T7_T9_mT8_P12ihipStream_tbDpT10_ENKUlT_T0_E_clISt17integral_constantIbLb0EES1E_EEDaS19_S1A_EUlS19_E_NS1_11comp_targetILNS1_3genE4ELNS1_11target_archE910ELNS1_3gpuE8ELNS1_3repE0EEENS1_30default_config_static_selectorELNS0_4arch9wavefront6targetE0EEEvT1_.num_named_barrier, 0
	.set _ZN7rocprim17ROCPRIM_400000_NS6detail17trampoline_kernelINS0_14default_configENS1_25partition_config_selectorILNS1_17partition_subalgoE8ElNS0_10empty_typeEbEEZZNS1_14partition_implILS5_8ELb0ES3_jPlPS6_PKS6_NS0_5tupleIJS9_S6_EEENSD_IJSA_SA_EEENS0_18inequality_wrapperIZN2at6native12_GLOBAL__N_124unique_dim_cuda_templateIN3c104HalfEEESt5tupleIJNSH_6TensorESO_SO_EERKSO_lbbbEUlllE0_EEPmJS6_EEE10hipError_tPvRmT3_T4_T5_T6_T7_T9_mT8_P12ihipStream_tbDpT10_ENKUlT_T0_E_clISt17integral_constantIbLb0EES1E_EEDaS19_S1A_EUlS19_E_NS1_11comp_targetILNS1_3genE4ELNS1_11target_archE910ELNS1_3gpuE8ELNS1_3repE0EEENS1_30default_config_static_selectorELNS0_4arch9wavefront6targetE0EEEvT1_.private_seg_size, 0
	.set _ZN7rocprim17ROCPRIM_400000_NS6detail17trampoline_kernelINS0_14default_configENS1_25partition_config_selectorILNS1_17partition_subalgoE8ElNS0_10empty_typeEbEEZZNS1_14partition_implILS5_8ELb0ES3_jPlPS6_PKS6_NS0_5tupleIJS9_S6_EEENSD_IJSA_SA_EEENS0_18inequality_wrapperIZN2at6native12_GLOBAL__N_124unique_dim_cuda_templateIN3c104HalfEEESt5tupleIJNSH_6TensorESO_SO_EERKSO_lbbbEUlllE0_EEPmJS6_EEE10hipError_tPvRmT3_T4_T5_T6_T7_T9_mT8_P12ihipStream_tbDpT10_ENKUlT_T0_E_clISt17integral_constantIbLb0EES1E_EEDaS19_S1A_EUlS19_E_NS1_11comp_targetILNS1_3genE4ELNS1_11target_archE910ELNS1_3gpuE8ELNS1_3repE0EEENS1_30default_config_static_selectorELNS0_4arch9wavefront6targetE0EEEvT1_.uses_vcc, 0
	.set _ZN7rocprim17ROCPRIM_400000_NS6detail17trampoline_kernelINS0_14default_configENS1_25partition_config_selectorILNS1_17partition_subalgoE8ElNS0_10empty_typeEbEEZZNS1_14partition_implILS5_8ELb0ES3_jPlPS6_PKS6_NS0_5tupleIJS9_S6_EEENSD_IJSA_SA_EEENS0_18inequality_wrapperIZN2at6native12_GLOBAL__N_124unique_dim_cuda_templateIN3c104HalfEEESt5tupleIJNSH_6TensorESO_SO_EERKSO_lbbbEUlllE0_EEPmJS6_EEE10hipError_tPvRmT3_T4_T5_T6_T7_T9_mT8_P12ihipStream_tbDpT10_ENKUlT_T0_E_clISt17integral_constantIbLb0EES1E_EEDaS19_S1A_EUlS19_E_NS1_11comp_targetILNS1_3genE4ELNS1_11target_archE910ELNS1_3gpuE8ELNS1_3repE0EEENS1_30default_config_static_selectorELNS0_4arch9wavefront6targetE0EEEvT1_.uses_flat_scratch, 0
	.set _ZN7rocprim17ROCPRIM_400000_NS6detail17trampoline_kernelINS0_14default_configENS1_25partition_config_selectorILNS1_17partition_subalgoE8ElNS0_10empty_typeEbEEZZNS1_14partition_implILS5_8ELb0ES3_jPlPS6_PKS6_NS0_5tupleIJS9_S6_EEENSD_IJSA_SA_EEENS0_18inequality_wrapperIZN2at6native12_GLOBAL__N_124unique_dim_cuda_templateIN3c104HalfEEESt5tupleIJNSH_6TensorESO_SO_EERKSO_lbbbEUlllE0_EEPmJS6_EEE10hipError_tPvRmT3_T4_T5_T6_T7_T9_mT8_P12ihipStream_tbDpT10_ENKUlT_T0_E_clISt17integral_constantIbLb0EES1E_EEDaS19_S1A_EUlS19_E_NS1_11comp_targetILNS1_3genE4ELNS1_11target_archE910ELNS1_3gpuE8ELNS1_3repE0EEENS1_30default_config_static_selectorELNS0_4arch9wavefront6targetE0EEEvT1_.has_dyn_sized_stack, 0
	.set _ZN7rocprim17ROCPRIM_400000_NS6detail17trampoline_kernelINS0_14default_configENS1_25partition_config_selectorILNS1_17partition_subalgoE8ElNS0_10empty_typeEbEEZZNS1_14partition_implILS5_8ELb0ES3_jPlPS6_PKS6_NS0_5tupleIJS9_S6_EEENSD_IJSA_SA_EEENS0_18inequality_wrapperIZN2at6native12_GLOBAL__N_124unique_dim_cuda_templateIN3c104HalfEEESt5tupleIJNSH_6TensorESO_SO_EERKSO_lbbbEUlllE0_EEPmJS6_EEE10hipError_tPvRmT3_T4_T5_T6_T7_T9_mT8_P12ihipStream_tbDpT10_ENKUlT_T0_E_clISt17integral_constantIbLb0EES1E_EEDaS19_S1A_EUlS19_E_NS1_11comp_targetILNS1_3genE4ELNS1_11target_archE910ELNS1_3gpuE8ELNS1_3repE0EEENS1_30default_config_static_selectorELNS0_4arch9wavefront6targetE0EEEvT1_.has_recursion, 0
	.set _ZN7rocprim17ROCPRIM_400000_NS6detail17trampoline_kernelINS0_14default_configENS1_25partition_config_selectorILNS1_17partition_subalgoE8ElNS0_10empty_typeEbEEZZNS1_14partition_implILS5_8ELb0ES3_jPlPS6_PKS6_NS0_5tupleIJS9_S6_EEENSD_IJSA_SA_EEENS0_18inequality_wrapperIZN2at6native12_GLOBAL__N_124unique_dim_cuda_templateIN3c104HalfEEESt5tupleIJNSH_6TensorESO_SO_EERKSO_lbbbEUlllE0_EEPmJS6_EEE10hipError_tPvRmT3_T4_T5_T6_T7_T9_mT8_P12ihipStream_tbDpT10_ENKUlT_T0_E_clISt17integral_constantIbLb0EES1E_EEDaS19_S1A_EUlS19_E_NS1_11comp_targetILNS1_3genE4ELNS1_11target_archE910ELNS1_3gpuE8ELNS1_3repE0EEENS1_30default_config_static_selectorELNS0_4arch9wavefront6targetE0EEEvT1_.has_indirect_call, 0
	.section	.AMDGPU.csdata,"",@progbits
; Kernel info:
; codeLenInByte = 0
; TotalNumSgprs: 0
; NumVgprs: 0
; ScratchSize: 0
; MemoryBound: 0
; FloatMode: 240
; IeeeMode: 1
; LDSByteSize: 0 bytes/workgroup (compile time only)
; SGPRBlocks: 0
; VGPRBlocks: 0
; NumSGPRsForWavesPerEU: 1
; NumVGPRsForWavesPerEU: 1
; NamedBarCnt: 0
; Occupancy: 16
; WaveLimiterHint : 0
; COMPUTE_PGM_RSRC2:SCRATCH_EN: 0
; COMPUTE_PGM_RSRC2:USER_SGPR: 2
; COMPUTE_PGM_RSRC2:TRAP_HANDLER: 0
; COMPUTE_PGM_RSRC2:TGID_X_EN: 1
; COMPUTE_PGM_RSRC2:TGID_Y_EN: 0
; COMPUTE_PGM_RSRC2:TGID_Z_EN: 0
; COMPUTE_PGM_RSRC2:TIDIG_COMP_CNT: 0
	.section	.text._ZN7rocprim17ROCPRIM_400000_NS6detail17trampoline_kernelINS0_14default_configENS1_25partition_config_selectorILNS1_17partition_subalgoE8ElNS0_10empty_typeEbEEZZNS1_14partition_implILS5_8ELb0ES3_jPlPS6_PKS6_NS0_5tupleIJS9_S6_EEENSD_IJSA_SA_EEENS0_18inequality_wrapperIZN2at6native12_GLOBAL__N_124unique_dim_cuda_templateIN3c104HalfEEESt5tupleIJNSH_6TensorESO_SO_EERKSO_lbbbEUlllE0_EEPmJS6_EEE10hipError_tPvRmT3_T4_T5_T6_T7_T9_mT8_P12ihipStream_tbDpT10_ENKUlT_T0_E_clISt17integral_constantIbLb0EES1E_EEDaS19_S1A_EUlS19_E_NS1_11comp_targetILNS1_3genE3ELNS1_11target_archE908ELNS1_3gpuE7ELNS1_3repE0EEENS1_30default_config_static_selectorELNS0_4arch9wavefront6targetE0EEEvT1_,"axG",@progbits,_ZN7rocprim17ROCPRIM_400000_NS6detail17trampoline_kernelINS0_14default_configENS1_25partition_config_selectorILNS1_17partition_subalgoE8ElNS0_10empty_typeEbEEZZNS1_14partition_implILS5_8ELb0ES3_jPlPS6_PKS6_NS0_5tupleIJS9_S6_EEENSD_IJSA_SA_EEENS0_18inequality_wrapperIZN2at6native12_GLOBAL__N_124unique_dim_cuda_templateIN3c104HalfEEESt5tupleIJNSH_6TensorESO_SO_EERKSO_lbbbEUlllE0_EEPmJS6_EEE10hipError_tPvRmT3_T4_T5_T6_T7_T9_mT8_P12ihipStream_tbDpT10_ENKUlT_T0_E_clISt17integral_constantIbLb0EES1E_EEDaS19_S1A_EUlS19_E_NS1_11comp_targetILNS1_3genE3ELNS1_11target_archE908ELNS1_3gpuE7ELNS1_3repE0EEENS1_30default_config_static_selectorELNS0_4arch9wavefront6targetE0EEEvT1_,comdat
	.globl	_ZN7rocprim17ROCPRIM_400000_NS6detail17trampoline_kernelINS0_14default_configENS1_25partition_config_selectorILNS1_17partition_subalgoE8ElNS0_10empty_typeEbEEZZNS1_14partition_implILS5_8ELb0ES3_jPlPS6_PKS6_NS0_5tupleIJS9_S6_EEENSD_IJSA_SA_EEENS0_18inequality_wrapperIZN2at6native12_GLOBAL__N_124unique_dim_cuda_templateIN3c104HalfEEESt5tupleIJNSH_6TensorESO_SO_EERKSO_lbbbEUlllE0_EEPmJS6_EEE10hipError_tPvRmT3_T4_T5_T6_T7_T9_mT8_P12ihipStream_tbDpT10_ENKUlT_T0_E_clISt17integral_constantIbLb0EES1E_EEDaS19_S1A_EUlS19_E_NS1_11comp_targetILNS1_3genE3ELNS1_11target_archE908ELNS1_3gpuE7ELNS1_3repE0EEENS1_30default_config_static_selectorELNS0_4arch9wavefront6targetE0EEEvT1_ ; -- Begin function _ZN7rocprim17ROCPRIM_400000_NS6detail17trampoline_kernelINS0_14default_configENS1_25partition_config_selectorILNS1_17partition_subalgoE8ElNS0_10empty_typeEbEEZZNS1_14partition_implILS5_8ELb0ES3_jPlPS6_PKS6_NS0_5tupleIJS9_S6_EEENSD_IJSA_SA_EEENS0_18inequality_wrapperIZN2at6native12_GLOBAL__N_124unique_dim_cuda_templateIN3c104HalfEEESt5tupleIJNSH_6TensorESO_SO_EERKSO_lbbbEUlllE0_EEPmJS6_EEE10hipError_tPvRmT3_T4_T5_T6_T7_T9_mT8_P12ihipStream_tbDpT10_ENKUlT_T0_E_clISt17integral_constantIbLb0EES1E_EEDaS19_S1A_EUlS19_E_NS1_11comp_targetILNS1_3genE3ELNS1_11target_archE908ELNS1_3gpuE7ELNS1_3repE0EEENS1_30default_config_static_selectorELNS0_4arch9wavefront6targetE0EEEvT1_
	.p2align	8
	.type	_ZN7rocprim17ROCPRIM_400000_NS6detail17trampoline_kernelINS0_14default_configENS1_25partition_config_selectorILNS1_17partition_subalgoE8ElNS0_10empty_typeEbEEZZNS1_14partition_implILS5_8ELb0ES3_jPlPS6_PKS6_NS0_5tupleIJS9_S6_EEENSD_IJSA_SA_EEENS0_18inequality_wrapperIZN2at6native12_GLOBAL__N_124unique_dim_cuda_templateIN3c104HalfEEESt5tupleIJNSH_6TensorESO_SO_EERKSO_lbbbEUlllE0_EEPmJS6_EEE10hipError_tPvRmT3_T4_T5_T6_T7_T9_mT8_P12ihipStream_tbDpT10_ENKUlT_T0_E_clISt17integral_constantIbLb0EES1E_EEDaS19_S1A_EUlS19_E_NS1_11comp_targetILNS1_3genE3ELNS1_11target_archE908ELNS1_3gpuE7ELNS1_3repE0EEENS1_30default_config_static_selectorELNS0_4arch9wavefront6targetE0EEEvT1_,@function
_ZN7rocprim17ROCPRIM_400000_NS6detail17trampoline_kernelINS0_14default_configENS1_25partition_config_selectorILNS1_17partition_subalgoE8ElNS0_10empty_typeEbEEZZNS1_14partition_implILS5_8ELb0ES3_jPlPS6_PKS6_NS0_5tupleIJS9_S6_EEENSD_IJSA_SA_EEENS0_18inequality_wrapperIZN2at6native12_GLOBAL__N_124unique_dim_cuda_templateIN3c104HalfEEESt5tupleIJNSH_6TensorESO_SO_EERKSO_lbbbEUlllE0_EEPmJS6_EEE10hipError_tPvRmT3_T4_T5_T6_T7_T9_mT8_P12ihipStream_tbDpT10_ENKUlT_T0_E_clISt17integral_constantIbLb0EES1E_EEDaS19_S1A_EUlS19_E_NS1_11comp_targetILNS1_3genE3ELNS1_11target_archE908ELNS1_3gpuE7ELNS1_3repE0EEENS1_30default_config_static_selectorELNS0_4arch9wavefront6targetE0EEEvT1_: ; @_ZN7rocprim17ROCPRIM_400000_NS6detail17trampoline_kernelINS0_14default_configENS1_25partition_config_selectorILNS1_17partition_subalgoE8ElNS0_10empty_typeEbEEZZNS1_14partition_implILS5_8ELb0ES3_jPlPS6_PKS6_NS0_5tupleIJS9_S6_EEENSD_IJSA_SA_EEENS0_18inequality_wrapperIZN2at6native12_GLOBAL__N_124unique_dim_cuda_templateIN3c104HalfEEESt5tupleIJNSH_6TensorESO_SO_EERKSO_lbbbEUlllE0_EEPmJS6_EEE10hipError_tPvRmT3_T4_T5_T6_T7_T9_mT8_P12ihipStream_tbDpT10_ENKUlT_T0_E_clISt17integral_constantIbLb0EES1E_EEDaS19_S1A_EUlS19_E_NS1_11comp_targetILNS1_3genE3ELNS1_11target_archE908ELNS1_3gpuE7ELNS1_3repE0EEENS1_30default_config_static_selectorELNS0_4arch9wavefront6targetE0EEEvT1_
; %bb.0:
	.section	.rodata,"a",@progbits
	.p2align	6, 0x0
	.amdhsa_kernel _ZN7rocprim17ROCPRIM_400000_NS6detail17trampoline_kernelINS0_14default_configENS1_25partition_config_selectorILNS1_17partition_subalgoE8ElNS0_10empty_typeEbEEZZNS1_14partition_implILS5_8ELb0ES3_jPlPS6_PKS6_NS0_5tupleIJS9_S6_EEENSD_IJSA_SA_EEENS0_18inequality_wrapperIZN2at6native12_GLOBAL__N_124unique_dim_cuda_templateIN3c104HalfEEESt5tupleIJNSH_6TensorESO_SO_EERKSO_lbbbEUlllE0_EEPmJS6_EEE10hipError_tPvRmT3_T4_T5_T6_T7_T9_mT8_P12ihipStream_tbDpT10_ENKUlT_T0_E_clISt17integral_constantIbLb0EES1E_EEDaS19_S1A_EUlS19_E_NS1_11comp_targetILNS1_3genE3ELNS1_11target_archE908ELNS1_3gpuE7ELNS1_3repE0EEENS1_30default_config_static_selectorELNS0_4arch9wavefront6targetE0EEEvT1_
		.amdhsa_group_segment_fixed_size 0
		.amdhsa_private_segment_fixed_size 0
		.amdhsa_kernarg_size 120
		.amdhsa_user_sgpr_count 2
		.amdhsa_user_sgpr_dispatch_ptr 0
		.amdhsa_user_sgpr_queue_ptr 0
		.amdhsa_user_sgpr_kernarg_segment_ptr 1
		.amdhsa_user_sgpr_dispatch_id 0
		.amdhsa_user_sgpr_kernarg_preload_length 0
		.amdhsa_user_sgpr_kernarg_preload_offset 0
		.amdhsa_user_sgpr_private_segment_size 0
		.amdhsa_wavefront_size32 1
		.amdhsa_uses_dynamic_stack 0
		.amdhsa_enable_private_segment 0
		.amdhsa_system_sgpr_workgroup_id_x 1
		.amdhsa_system_sgpr_workgroup_id_y 0
		.amdhsa_system_sgpr_workgroup_id_z 0
		.amdhsa_system_sgpr_workgroup_info 0
		.amdhsa_system_vgpr_workitem_id 0
		.amdhsa_next_free_vgpr 1
		.amdhsa_next_free_sgpr 1
		.amdhsa_named_barrier_count 0
		.amdhsa_reserve_vcc 0
		.amdhsa_float_round_mode_32 0
		.amdhsa_float_round_mode_16_64 0
		.amdhsa_float_denorm_mode_32 3
		.amdhsa_float_denorm_mode_16_64 3
		.amdhsa_fp16_overflow 0
		.amdhsa_memory_ordered 1
		.amdhsa_forward_progress 1
		.amdhsa_inst_pref_size 0
		.amdhsa_round_robin_scheduling 0
		.amdhsa_exception_fp_ieee_invalid_op 0
		.amdhsa_exception_fp_denorm_src 0
		.amdhsa_exception_fp_ieee_div_zero 0
		.amdhsa_exception_fp_ieee_overflow 0
		.amdhsa_exception_fp_ieee_underflow 0
		.amdhsa_exception_fp_ieee_inexact 0
		.amdhsa_exception_int_div_zero 0
	.end_amdhsa_kernel
	.section	.text._ZN7rocprim17ROCPRIM_400000_NS6detail17trampoline_kernelINS0_14default_configENS1_25partition_config_selectorILNS1_17partition_subalgoE8ElNS0_10empty_typeEbEEZZNS1_14partition_implILS5_8ELb0ES3_jPlPS6_PKS6_NS0_5tupleIJS9_S6_EEENSD_IJSA_SA_EEENS0_18inequality_wrapperIZN2at6native12_GLOBAL__N_124unique_dim_cuda_templateIN3c104HalfEEESt5tupleIJNSH_6TensorESO_SO_EERKSO_lbbbEUlllE0_EEPmJS6_EEE10hipError_tPvRmT3_T4_T5_T6_T7_T9_mT8_P12ihipStream_tbDpT10_ENKUlT_T0_E_clISt17integral_constantIbLb0EES1E_EEDaS19_S1A_EUlS19_E_NS1_11comp_targetILNS1_3genE3ELNS1_11target_archE908ELNS1_3gpuE7ELNS1_3repE0EEENS1_30default_config_static_selectorELNS0_4arch9wavefront6targetE0EEEvT1_,"axG",@progbits,_ZN7rocprim17ROCPRIM_400000_NS6detail17trampoline_kernelINS0_14default_configENS1_25partition_config_selectorILNS1_17partition_subalgoE8ElNS0_10empty_typeEbEEZZNS1_14partition_implILS5_8ELb0ES3_jPlPS6_PKS6_NS0_5tupleIJS9_S6_EEENSD_IJSA_SA_EEENS0_18inequality_wrapperIZN2at6native12_GLOBAL__N_124unique_dim_cuda_templateIN3c104HalfEEESt5tupleIJNSH_6TensorESO_SO_EERKSO_lbbbEUlllE0_EEPmJS6_EEE10hipError_tPvRmT3_T4_T5_T6_T7_T9_mT8_P12ihipStream_tbDpT10_ENKUlT_T0_E_clISt17integral_constantIbLb0EES1E_EEDaS19_S1A_EUlS19_E_NS1_11comp_targetILNS1_3genE3ELNS1_11target_archE908ELNS1_3gpuE7ELNS1_3repE0EEENS1_30default_config_static_selectorELNS0_4arch9wavefront6targetE0EEEvT1_,comdat
.Lfunc_end1300:
	.size	_ZN7rocprim17ROCPRIM_400000_NS6detail17trampoline_kernelINS0_14default_configENS1_25partition_config_selectorILNS1_17partition_subalgoE8ElNS0_10empty_typeEbEEZZNS1_14partition_implILS5_8ELb0ES3_jPlPS6_PKS6_NS0_5tupleIJS9_S6_EEENSD_IJSA_SA_EEENS0_18inequality_wrapperIZN2at6native12_GLOBAL__N_124unique_dim_cuda_templateIN3c104HalfEEESt5tupleIJNSH_6TensorESO_SO_EERKSO_lbbbEUlllE0_EEPmJS6_EEE10hipError_tPvRmT3_T4_T5_T6_T7_T9_mT8_P12ihipStream_tbDpT10_ENKUlT_T0_E_clISt17integral_constantIbLb0EES1E_EEDaS19_S1A_EUlS19_E_NS1_11comp_targetILNS1_3genE3ELNS1_11target_archE908ELNS1_3gpuE7ELNS1_3repE0EEENS1_30default_config_static_selectorELNS0_4arch9wavefront6targetE0EEEvT1_, .Lfunc_end1300-_ZN7rocprim17ROCPRIM_400000_NS6detail17trampoline_kernelINS0_14default_configENS1_25partition_config_selectorILNS1_17partition_subalgoE8ElNS0_10empty_typeEbEEZZNS1_14partition_implILS5_8ELb0ES3_jPlPS6_PKS6_NS0_5tupleIJS9_S6_EEENSD_IJSA_SA_EEENS0_18inequality_wrapperIZN2at6native12_GLOBAL__N_124unique_dim_cuda_templateIN3c104HalfEEESt5tupleIJNSH_6TensorESO_SO_EERKSO_lbbbEUlllE0_EEPmJS6_EEE10hipError_tPvRmT3_T4_T5_T6_T7_T9_mT8_P12ihipStream_tbDpT10_ENKUlT_T0_E_clISt17integral_constantIbLb0EES1E_EEDaS19_S1A_EUlS19_E_NS1_11comp_targetILNS1_3genE3ELNS1_11target_archE908ELNS1_3gpuE7ELNS1_3repE0EEENS1_30default_config_static_selectorELNS0_4arch9wavefront6targetE0EEEvT1_
                                        ; -- End function
	.set _ZN7rocprim17ROCPRIM_400000_NS6detail17trampoline_kernelINS0_14default_configENS1_25partition_config_selectorILNS1_17partition_subalgoE8ElNS0_10empty_typeEbEEZZNS1_14partition_implILS5_8ELb0ES3_jPlPS6_PKS6_NS0_5tupleIJS9_S6_EEENSD_IJSA_SA_EEENS0_18inequality_wrapperIZN2at6native12_GLOBAL__N_124unique_dim_cuda_templateIN3c104HalfEEESt5tupleIJNSH_6TensorESO_SO_EERKSO_lbbbEUlllE0_EEPmJS6_EEE10hipError_tPvRmT3_T4_T5_T6_T7_T9_mT8_P12ihipStream_tbDpT10_ENKUlT_T0_E_clISt17integral_constantIbLb0EES1E_EEDaS19_S1A_EUlS19_E_NS1_11comp_targetILNS1_3genE3ELNS1_11target_archE908ELNS1_3gpuE7ELNS1_3repE0EEENS1_30default_config_static_selectorELNS0_4arch9wavefront6targetE0EEEvT1_.num_vgpr, 0
	.set _ZN7rocprim17ROCPRIM_400000_NS6detail17trampoline_kernelINS0_14default_configENS1_25partition_config_selectorILNS1_17partition_subalgoE8ElNS0_10empty_typeEbEEZZNS1_14partition_implILS5_8ELb0ES3_jPlPS6_PKS6_NS0_5tupleIJS9_S6_EEENSD_IJSA_SA_EEENS0_18inequality_wrapperIZN2at6native12_GLOBAL__N_124unique_dim_cuda_templateIN3c104HalfEEESt5tupleIJNSH_6TensorESO_SO_EERKSO_lbbbEUlllE0_EEPmJS6_EEE10hipError_tPvRmT3_T4_T5_T6_T7_T9_mT8_P12ihipStream_tbDpT10_ENKUlT_T0_E_clISt17integral_constantIbLb0EES1E_EEDaS19_S1A_EUlS19_E_NS1_11comp_targetILNS1_3genE3ELNS1_11target_archE908ELNS1_3gpuE7ELNS1_3repE0EEENS1_30default_config_static_selectorELNS0_4arch9wavefront6targetE0EEEvT1_.num_agpr, 0
	.set _ZN7rocprim17ROCPRIM_400000_NS6detail17trampoline_kernelINS0_14default_configENS1_25partition_config_selectorILNS1_17partition_subalgoE8ElNS0_10empty_typeEbEEZZNS1_14partition_implILS5_8ELb0ES3_jPlPS6_PKS6_NS0_5tupleIJS9_S6_EEENSD_IJSA_SA_EEENS0_18inequality_wrapperIZN2at6native12_GLOBAL__N_124unique_dim_cuda_templateIN3c104HalfEEESt5tupleIJNSH_6TensorESO_SO_EERKSO_lbbbEUlllE0_EEPmJS6_EEE10hipError_tPvRmT3_T4_T5_T6_T7_T9_mT8_P12ihipStream_tbDpT10_ENKUlT_T0_E_clISt17integral_constantIbLb0EES1E_EEDaS19_S1A_EUlS19_E_NS1_11comp_targetILNS1_3genE3ELNS1_11target_archE908ELNS1_3gpuE7ELNS1_3repE0EEENS1_30default_config_static_selectorELNS0_4arch9wavefront6targetE0EEEvT1_.numbered_sgpr, 0
	.set _ZN7rocprim17ROCPRIM_400000_NS6detail17trampoline_kernelINS0_14default_configENS1_25partition_config_selectorILNS1_17partition_subalgoE8ElNS0_10empty_typeEbEEZZNS1_14partition_implILS5_8ELb0ES3_jPlPS6_PKS6_NS0_5tupleIJS9_S6_EEENSD_IJSA_SA_EEENS0_18inequality_wrapperIZN2at6native12_GLOBAL__N_124unique_dim_cuda_templateIN3c104HalfEEESt5tupleIJNSH_6TensorESO_SO_EERKSO_lbbbEUlllE0_EEPmJS6_EEE10hipError_tPvRmT3_T4_T5_T6_T7_T9_mT8_P12ihipStream_tbDpT10_ENKUlT_T0_E_clISt17integral_constantIbLb0EES1E_EEDaS19_S1A_EUlS19_E_NS1_11comp_targetILNS1_3genE3ELNS1_11target_archE908ELNS1_3gpuE7ELNS1_3repE0EEENS1_30default_config_static_selectorELNS0_4arch9wavefront6targetE0EEEvT1_.num_named_barrier, 0
	.set _ZN7rocprim17ROCPRIM_400000_NS6detail17trampoline_kernelINS0_14default_configENS1_25partition_config_selectorILNS1_17partition_subalgoE8ElNS0_10empty_typeEbEEZZNS1_14partition_implILS5_8ELb0ES3_jPlPS6_PKS6_NS0_5tupleIJS9_S6_EEENSD_IJSA_SA_EEENS0_18inequality_wrapperIZN2at6native12_GLOBAL__N_124unique_dim_cuda_templateIN3c104HalfEEESt5tupleIJNSH_6TensorESO_SO_EERKSO_lbbbEUlllE0_EEPmJS6_EEE10hipError_tPvRmT3_T4_T5_T6_T7_T9_mT8_P12ihipStream_tbDpT10_ENKUlT_T0_E_clISt17integral_constantIbLb0EES1E_EEDaS19_S1A_EUlS19_E_NS1_11comp_targetILNS1_3genE3ELNS1_11target_archE908ELNS1_3gpuE7ELNS1_3repE0EEENS1_30default_config_static_selectorELNS0_4arch9wavefront6targetE0EEEvT1_.private_seg_size, 0
	.set _ZN7rocprim17ROCPRIM_400000_NS6detail17trampoline_kernelINS0_14default_configENS1_25partition_config_selectorILNS1_17partition_subalgoE8ElNS0_10empty_typeEbEEZZNS1_14partition_implILS5_8ELb0ES3_jPlPS6_PKS6_NS0_5tupleIJS9_S6_EEENSD_IJSA_SA_EEENS0_18inequality_wrapperIZN2at6native12_GLOBAL__N_124unique_dim_cuda_templateIN3c104HalfEEESt5tupleIJNSH_6TensorESO_SO_EERKSO_lbbbEUlllE0_EEPmJS6_EEE10hipError_tPvRmT3_T4_T5_T6_T7_T9_mT8_P12ihipStream_tbDpT10_ENKUlT_T0_E_clISt17integral_constantIbLb0EES1E_EEDaS19_S1A_EUlS19_E_NS1_11comp_targetILNS1_3genE3ELNS1_11target_archE908ELNS1_3gpuE7ELNS1_3repE0EEENS1_30default_config_static_selectorELNS0_4arch9wavefront6targetE0EEEvT1_.uses_vcc, 0
	.set _ZN7rocprim17ROCPRIM_400000_NS6detail17trampoline_kernelINS0_14default_configENS1_25partition_config_selectorILNS1_17partition_subalgoE8ElNS0_10empty_typeEbEEZZNS1_14partition_implILS5_8ELb0ES3_jPlPS6_PKS6_NS0_5tupleIJS9_S6_EEENSD_IJSA_SA_EEENS0_18inequality_wrapperIZN2at6native12_GLOBAL__N_124unique_dim_cuda_templateIN3c104HalfEEESt5tupleIJNSH_6TensorESO_SO_EERKSO_lbbbEUlllE0_EEPmJS6_EEE10hipError_tPvRmT3_T4_T5_T6_T7_T9_mT8_P12ihipStream_tbDpT10_ENKUlT_T0_E_clISt17integral_constantIbLb0EES1E_EEDaS19_S1A_EUlS19_E_NS1_11comp_targetILNS1_3genE3ELNS1_11target_archE908ELNS1_3gpuE7ELNS1_3repE0EEENS1_30default_config_static_selectorELNS0_4arch9wavefront6targetE0EEEvT1_.uses_flat_scratch, 0
	.set _ZN7rocprim17ROCPRIM_400000_NS6detail17trampoline_kernelINS0_14default_configENS1_25partition_config_selectorILNS1_17partition_subalgoE8ElNS0_10empty_typeEbEEZZNS1_14partition_implILS5_8ELb0ES3_jPlPS6_PKS6_NS0_5tupleIJS9_S6_EEENSD_IJSA_SA_EEENS0_18inequality_wrapperIZN2at6native12_GLOBAL__N_124unique_dim_cuda_templateIN3c104HalfEEESt5tupleIJNSH_6TensorESO_SO_EERKSO_lbbbEUlllE0_EEPmJS6_EEE10hipError_tPvRmT3_T4_T5_T6_T7_T9_mT8_P12ihipStream_tbDpT10_ENKUlT_T0_E_clISt17integral_constantIbLb0EES1E_EEDaS19_S1A_EUlS19_E_NS1_11comp_targetILNS1_3genE3ELNS1_11target_archE908ELNS1_3gpuE7ELNS1_3repE0EEENS1_30default_config_static_selectorELNS0_4arch9wavefront6targetE0EEEvT1_.has_dyn_sized_stack, 0
	.set _ZN7rocprim17ROCPRIM_400000_NS6detail17trampoline_kernelINS0_14default_configENS1_25partition_config_selectorILNS1_17partition_subalgoE8ElNS0_10empty_typeEbEEZZNS1_14partition_implILS5_8ELb0ES3_jPlPS6_PKS6_NS0_5tupleIJS9_S6_EEENSD_IJSA_SA_EEENS0_18inequality_wrapperIZN2at6native12_GLOBAL__N_124unique_dim_cuda_templateIN3c104HalfEEESt5tupleIJNSH_6TensorESO_SO_EERKSO_lbbbEUlllE0_EEPmJS6_EEE10hipError_tPvRmT3_T4_T5_T6_T7_T9_mT8_P12ihipStream_tbDpT10_ENKUlT_T0_E_clISt17integral_constantIbLb0EES1E_EEDaS19_S1A_EUlS19_E_NS1_11comp_targetILNS1_3genE3ELNS1_11target_archE908ELNS1_3gpuE7ELNS1_3repE0EEENS1_30default_config_static_selectorELNS0_4arch9wavefront6targetE0EEEvT1_.has_recursion, 0
	.set _ZN7rocprim17ROCPRIM_400000_NS6detail17trampoline_kernelINS0_14default_configENS1_25partition_config_selectorILNS1_17partition_subalgoE8ElNS0_10empty_typeEbEEZZNS1_14partition_implILS5_8ELb0ES3_jPlPS6_PKS6_NS0_5tupleIJS9_S6_EEENSD_IJSA_SA_EEENS0_18inequality_wrapperIZN2at6native12_GLOBAL__N_124unique_dim_cuda_templateIN3c104HalfEEESt5tupleIJNSH_6TensorESO_SO_EERKSO_lbbbEUlllE0_EEPmJS6_EEE10hipError_tPvRmT3_T4_T5_T6_T7_T9_mT8_P12ihipStream_tbDpT10_ENKUlT_T0_E_clISt17integral_constantIbLb0EES1E_EEDaS19_S1A_EUlS19_E_NS1_11comp_targetILNS1_3genE3ELNS1_11target_archE908ELNS1_3gpuE7ELNS1_3repE0EEENS1_30default_config_static_selectorELNS0_4arch9wavefront6targetE0EEEvT1_.has_indirect_call, 0
	.section	.AMDGPU.csdata,"",@progbits
; Kernel info:
; codeLenInByte = 0
; TotalNumSgprs: 0
; NumVgprs: 0
; ScratchSize: 0
; MemoryBound: 0
; FloatMode: 240
; IeeeMode: 1
; LDSByteSize: 0 bytes/workgroup (compile time only)
; SGPRBlocks: 0
; VGPRBlocks: 0
; NumSGPRsForWavesPerEU: 1
; NumVGPRsForWavesPerEU: 1
; NamedBarCnt: 0
; Occupancy: 16
; WaveLimiterHint : 0
; COMPUTE_PGM_RSRC2:SCRATCH_EN: 0
; COMPUTE_PGM_RSRC2:USER_SGPR: 2
; COMPUTE_PGM_RSRC2:TRAP_HANDLER: 0
; COMPUTE_PGM_RSRC2:TGID_X_EN: 1
; COMPUTE_PGM_RSRC2:TGID_Y_EN: 0
; COMPUTE_PGM_RSRC2:TGID_Z_EN: 0
; COMPUTE_PGM_RSRC2:TIDIG_COMP_CNT: 0
	.section	.text._ZN7rocprim17ROCPRIM_400000_NS6detail17trampoline_kernelINS0_14default_configENS1_25partition_config_selectorILNS1_17partition_subalgoE8ElNS0_10empty_typeEbEEZZNS1_14partition_implILS5_8ELb0ES3_jPlPS6_PKS6_NS0_5tupleIJS9_S6_EEENSD_IJSA_SA_EEENS0_18inequality_wrapperIZN2at6native12_GLOBAL__N_124unique_dim_cuda_templateIN3c104HalfEEESt5tupleIJNSH_6TensorESO_SO_EERKSO_lbbbEUlllE0_EEPmJS6_EEE10hipError_tPvRmT3_T4_T5_T6_T7_T9_mT8_P12ihipStream_tbDpT10_ENKUlT_T0_E_clISt17integral_constantIbLb0EES1E_EEDaS19_S1A_EUlS19_E_NS1_11comp_targetILNS1_3genE2ELNS1_11target_archE906ELNS1_3gpuE6ELNS1_3repE0EEENS1_30default_config_static_selectorELNS0_4arch9wavefront6targetE0EEEvT1_,"axG",@progbits,_ZN7rocprim17ROCPRIM_400000_NS6detail17trampoline_kernelINS0_14default_configENS1_25partition_config_selectorILNS1_17partition_subalgoE8ElNS0_10empty_typeEbEEZZNS1_14partition_implILS5_8ELb0ES3_jPlPS6_PKS6_NS0_5tupleIJS9_S6_EEENSD_IJSA_SA_EEENS0_18inequality_wrapperIZN2at6native12_GLOBAL__N_124unique_dim_cuda_templateIN3c104HalfEEESt5tupleIJNSH_6TensorESO_SO_EERKSO_lbbbEUlllE0_EEPmJS6_EEE10hipError_tPvRmT3_T4_T5_T6_T7_T9_mT8_P12ihipStream_tbDpT10_ENKUlT_T0_E_clISt17integral_constantIbLb0EES1E_EEDaS19_S1A_EUlS19_E_NS1_11comp_targetILNS1_3genE2ELNS1_11target_archE906ELNS1_3gpuE6ELNS1_3repE0EEENS1_30default_config_static_selectorELNS0_4arch9wavefront6targetE0EEEvT1_,comdat
	.globl	_ZN7rocprim17ROCPRIM_400000_NS6detail17trampoline_kernelINS0_14default_configENS1_25partition_config_selectorILNS1_17partition_subalgoE8ElNS0_10empty_typeEbEEZZNS1_14partition_implILS5_8ELb0ES3_jPlPS6_PKS6_NS0_5tupleIJS9_S6_EEENSD_IJSA_SA_EEENS0_18inequality_wrapperIZN2at6native12_GLOBAL__N_124unique_dim_cuda_templateIN3c104HalfEEESt5tupleIJNSH_6TensorESO_SO_EERKSO_lbbbEUlllE0_EEPmJS6_EEE10hipError_tPvRmT3_T4_T5_T6_T7_T9_mT8_P12ihipStream_tbDpT10_ENKUlT_T0_E_clISt17integral_constantIbLb0EES1E_EEDaS19_S1A_EUlS19_E_NS1_11comp_targetILNS1_3genE2ELNS1_11target_archE906ELNS1_3gpuE6ELNS1_3repE0EEENS1_30default_config_static_selectorELNS0_4arch9wavefront6targetE0EEEvT1_ ; -- Begin function _ZN7rocprim17ROCPRIM_400000_NS6detail17trampoline_kernelINS0_14default_configENS1_25partition_config_selectorILNS1_17partition_subalgoE8ElNS0_10empty_typeEbEEZZNS1_14partition_implILS5_8ELb0ES3_jPlPS6_PKS6_NS0_5tupleIJS9_S6_EEENSD_IJSA_SA_EEENS0_18inequality_wrapperIZN2at6native12_GLOBAL__N_124unique_dim_cuda_templateIN3c104HalfEEESt5tupleIJNSH_6TensorESO_SO_EERKSO_lbbbEUlllE0_EEPmJS6_EEE10hipError_tPvRmT3_T4_T5_T6_T7_T9_mT8_P12ihipStream_tbDpT10_ENKUlT_T0_E_clISt17integral_constantIbLb0EES1E_EEDaS19_S1A_EUlS19_E_NS1_11comp_targetILNS1_3genE2ELNS1_11target_archE906ELNS1_3gpuE6ELNS1_3repE0EEENS1_30default_config_static_selectorELNS0_4arch9wavefront6targetE0EEEvT1_
	.p2align	8
	.type	_ZN7rocprim17ROCPRIM_400000_NS6detail17trampoline_kernelINS0_14default_configENS1_25partition_config_selectorILNS1_17partition_subalgoE8ElNS0_10empty_typeEbEEZZNS1_14partition_implILS5_8ELb0ES3_jPlPS6_PKS6_NS0_5tupleIJS9_S6_EEENSD_IJSA_SA_EEENS0_18inequality_wrapperIZN2at6native12_GLOBAL__N_124unique_dim_cuda_templateIN3c104HalfEEESt5tupleIJNSH_6TensorESO_SO_EERKSO_lbbbEUlllE0_EEPmJS6_EEE10hipError_tPvRmT3_T4_T5_T6_T7_T9_mT8_P12ihipStream_tbDpT10_ENKUlT_T0_E_clISt17integral_constantIbLb0EES1E_EEDaS19_S1A_EUlS19_E_NS1_11comp_targetILNS1_3genE2ELNS1_11target_archE906ELNS1_3gpuE6ELNS1_3repE0EEENS1_30default_config_static_selectorELNS0_4arch9wavefront6targetE0EEEvT1_,@function
_ZN7rocprim17ROCPRIM_400000_NS6detail17trampoline_kernelINS0_14default_configENS1_25partition_config_selectorILNS1_17partition_subalgoE8ElNS0_10empty_typeEbEEZZNS1_14partition_implILS5_8ELb0ES3_jPlPS6_PKS6_NS0_5tupleIJS9_S6_EEENSD_IJSA_SA_EEENS0_18inequality_wrapperIZN2at6native12_GLOBAL__N_124unique_dim_cuda_templateIN3c104HalfEEESt5tupleIJNSH_6TensorESO_SO_EERKSO_lbbbEUlllE0_EEPmJS6_EEE10hipError_tPvRmT3_T4_T5_T6_T7_T9_mT8_P12ihipStream_tbDpT10_ENKUlT_T0_E_clISt17integral_constantIbLb0EES1E_EEDaS19_S1A_EUlS19_E_NS1_11comp_targetILNS1_3genE2ELNS1_11target_archE906ELNS1_3gpuE6ELNS1_3repE0EEENS1_30default_config_static_selectorELNS0_4arch9wavefront6targetE0EEEvT1_: ; @_ZN7rocprim17ROCPRIM_400000_NS6detail17trampoline_kernelINS0_14default_configENS1_25partition_config_selectorILNS1_17partition_subalgoE8ElNS0_10empty_typeEbEEZZNS1_14partition_implILS5_8ELb0ES3_jPlPS6_PKS6_NS0_5tupleIJS9_S6_EEENSD_IJSA_SA_EEENS0_18inequality_wrapperIZN2at6native12_GLOBAL__N_124unique_dim_cuda_templateIN3c104HalfEEESt5tupleIJNSH_6TensorESO_SO_EERKSO_lbbbEUlllE0_EEPmJS6_EEE10hipError_tPvRmT3_T4_T5_T6_T7_T9_mT8_P12ihipStream_tbDpT10_ENKUlT_T0_E_clISt17integral_constantIbLb0EES1E_EEDaS19_S1A_EUlS19_E_NS1_11comp_targetILNS1_3genE2ELNS1_11target_archE906ELNS1_3gpuE6ELNS1_3repE0EEENS1_30default_config_static_selectorELNS0_4arch9wavefront6targetE0EEEvT1_
; %bb.0:
	.section	.rodata,"a",@progbits
	.p2align	6, 0x0
	.amdhsa_kernel _ZN7rocprim17ROCPRIM_400000_NS6detail17trampoline_kernelINS0_14default_configENS1_25partition_config_selectorILNS1_17partition_subalgoE8ElNS0_10empty_typeEbEEZZNS1_14partition_implILS5_8ELb0ES3_jPlPS6_PKS6_NS0_5tupleIJS9_S6_EEENSD_IJSA_SA_EEENS0_18inequality_wrapperIZN2at6native12_GLOBAL__N_124unique_dim_cuda_templateIN3c104HalfEEESt5tupleIJNSH_6TensorESO_SO_EERKSO_lbbbEUlllE0_EEPmJS6_EEE10hipError_tPvRmT3_T4_T5_T6_T7_T9_mT8_P12ihipStream_tbDpT10_ENKUlT_T0_E_clISt17integral_constantIbLb0EES1E_EEDaS19_S1A_EUlS19_E_NS1_11comp_targetILNS1_3genE2ELNS1_11target_archE906ELNS1_3gpuE6ELNS1_3repE0EEENS1_30default_config_static_selectorELNS0_4arch9wavefront6targetE0EEEvT1_
		.amdhsa_group_segment_fixed_size 0
		.amdhsa_private_segment_fixed_size 0
		.amdhsa_kernarg_size 120
		.amdhsa_user_sgpr_count 2
		.amdhsa_user_sgpr_dispatch_ptr 0
		.amdhsa_user_sgpr_queue_ptr 0
		.amdhsa_user_sgpr_kernarg_segment_ptr 1
		.amdhsa_user_sgpr_dispatch_id 0
		.amdhsa_user_sgpr_kernarg_preload_length 0
		.amdhsa_user_sgpr_kernarg_preload_offset 0
		.amdhsa_user_sgpr_private_segment_size 0
		.amdhsa_wavefront_size32 1
		.amdhsa_uses_dynamic_stack 0
		.amdhsa_enable_private_segment 0
		.amdhsa_system_sgpr_workgroup_id_x 1
		.amdhsa_system_sgpr_workgroup_id_y 0
		.amdhsa_system_sgpr_workgroup_id_z 0
		.amdhsa_system_sgpr_workgroup_info 0
		.amdhsa_system_vgpr_workitem_id 0
		.amdhsa_next_free_vgpr 1
		.amdhsa_next_free_sgpr 1
		.amdhsa_named_barrier_count 0
		.amdhsa_reserve_vcc 0
		.amdhsa_float_round_mode_32 0
		.amdhsa_float_round_mode_16_64 0
		.amdhsa_float_denorm_mode_32 3
		.amdhsa_float_denorm_mode_16_64 3
		.amdhsa_fp16_overflow 0
		.amdhsa_memory_ordered 1
		.amdhsa_forward_progress 1
		.amdhsa_inst_pref_size 0
		.amdhsa_round_robin_scheduling 0
		.amdhsa_exception_fp_ieee_invalid_op 0
		.amdhsa_exception_fp_denorm_src 0
		.amdhsa_exception_fp_ieee_div_zero 0
		.amdhsa_exception_fp_ieee_overflow 0
		.amdhsa_exception_fp_ieee_underflow 0
		.amdhsa_exception_fp_ieee_inexact 0
		.amdhsa_exception_int_div_zero 0
	.end_amdhsa_kernel
	.section	.text._ZN7rocprim17ROCPRIM_400000_NS6detail17trampoline_kernelINS0_14default_configENS1_25partition_config_selectorILNS1_17partition_subalgoE8ElNS0_10empty_typeEbEEZZNS1_14partition_implILS5_8ELb0ES3_jPlPS6_PKS6_NS0_5tupleIJS9_S6_EEENSD_IJSA_SA_EEENS0_18inequality_wrapperIZN2at6native12_GLOBAL__N_124unique_dim_cuda_templateIN3c104HalfEEESt5tupleIJNSH_6TensorESO_SO_EERKSO_lbbbEUlllE0_EEPmJS6_EEE10hipError_tPvRmT3_T4_T5_T6_T7_T9_mT8_P12ihipStream_tbDpT10_ENKUlT_T0_E_clISt17integral_constantIbLb0EES1E_EEDaS19_S1A_EUlS19_E_NS1_11comp_targetILNS1_3genE2ELNS1_11target_archE906ELNS1_3gpuE6ELNS1_3repE0EEENS1_30default_config_static_selectorELNS0_4arch9wavefront6targetE0EEEvT1_,"axG",@progbits,_ZN7rocprim17ROCPRIM_400000_NS6detail17trampoline_kernelINS0_14default_configENS1_25partition_config_selectorILNS1_17partition_subalgoE8ElNS0_10empty_typeEbEEZZNS1_14partition_implILS5_8ELb0ES3_jPlPS6_PKS6_NS0_5tupleIJS9_S6_EEENSD_IJSA_SA_EEENS0_18inequality_wrapperIZN2at6native12_GLOBAL__N_124unique_dim_cuda_templateIN3c104HalfEEESt5tupleIJNSH_6TensorESO_SO_EERKSO_lbbbEUlllE0_EEPmJS6_EEE10hipError_tPvRmT3_T4_T5_T6_T7_T9_mT8_P12ihipStream_tbDpT10_ENKUlT_T0_E_clISt17integral_constantIbLb0EES1E_EEDaS19_S1A_EUlS19_E_NS1_11comp_targetILNS1_3genE2ELNS1_11target_archE906ELNS1_3gpuE6ELNS1_3repE0EEENS1_30default_config_static_selectorELNS0_4arch9wavefront6targetE0EEEvT1_,comdat
.Lfunc_end1301:
	.size	_ZN7rocprim17ROCPRIM_400000_NS6detail17trampoline_kernelINS0_14default_configENS1_25partition_config_selectorILNS1_17partition_subalgoE8ElNS0_10empty_typeEbEEZZNS1_14partition_implILS5_8ELb0ES3_jPlPS6_PKS6_NS0_5tupleIJS9_S6_EEENSD_IJSA_SA_EEENS0_18inequality_wrapperIZN2at6native12_GLOBAL__N_124unique_dim_cuda_templateIN3c104HalfEEESt5tupleIJNSH_6TensorESO_SO_EERKSO_lbbbEUlllE0_EEPmJS6_EEE10hipError_tPvRmT3_T4_T5_T6_T7_T9_mT8_P12ihipStream_tbDpT10_ENKUlT_T0_E_clISt17integral_constantIbLb0EES1E_EEDaS19_S1A_EUlS19_E_NS1_11comp_targetILNS1_3genE2ELNS1_11target_archE906ELNS1_3gpuE6ELNS1_3repE0EEENS1_30default_config_static_selectorELNS0_4arch9wavefront6targetE0EEEvT1_, .Lfunc_end1301-_ZN7rocprim17ROCPRIM_400000_NS6detail17trampoline_kernelINS0_14default_configENS1_25partition_config_selectorILNS1_17partition_subalgoE8ElNS0_10empty_typeEbEEZZNS1_14partition_implILS5_8ELb0ES3_jPlPS6_PKS6_NS0_5tupleIJS9_S6_EEENSD_IJSA_SA_EEENS0_18inequality_wrapperIZN2at6native12_GLOBAL__N_124unique_dim_cuda_templateIN3c104HalfEEESt5tupleIJNSH_6TensorESO_SO_EERKSO_lbbbEUlllE0_EEPmJS6_EEE10hipError_tPvRmT3_T4_T5_T6_T7_T9_mT8_P12ihipStream_tbDpT10_ENKUlT_T0_E_clISt17integral_constantIbLb0EES1E_EEDaS19_S1A_EUlS19_E_NS1_11comp_targetILNS1_3genE2ELNS1_11target_archE906ELNS1_3gpuE6ELNS1_3repE0EEENS1_30default_config_static_selectorELNS0_4arch9wavefront6targetE0EEEvT1_
                                        ; -- End function
	.set _ZN7rocprim17ROCPRIM_400000_NS6detail17trampoline_kernelINS0_14default_configENS1_25partition_config_selectorILNS1_17partition_subalgoE8ElNS0_10empty_typeEbEEZZNS1_14partition_implILS5_8ELb0ES3_jPlPS6_PKS6_NS0_5tupleIJS9_S6_EEENSD_IJSA_SA_EEENS0_18inequality_wrapperIZN2at6native12_GLOBAL__N_124unique_dim_cuda_templateIN3c104HalfEEESt5tupleIJNSH_6TensorESO_SO_EERKSO_lbbbEUlllE0_EEPmJS6_EEE10hipError_tPvRmT3_T4_T5_T6_T7_T9_mT8_P12ihipStream_tbDpT10_ENKUlT_T0_E_clISt17integral_constantIbLb0EES1E_EEDaS19_S1A_EUlS19_E_NS1_11comp_targetILNS1_3genE2ELNS1_11target_archE906ELNS1_3gpuE6ELNS1_3repE0EEENS1_30default_config_static_selectorELNS0_4arch9wavefront6targetE0EEEvT1_.num_vgpr, 0
	.set _ZN7rocprim17ROCPRIM_400000_NS6detail17trampoline_kernelINS0_14default_configENS1_25partition_config_selectorILNS1_17partition_subalgoE8ElNS0_10empty_typeEbEEZZNS1_14partition_implILS5_8ELb0ES3_jPlPS6_PKS6_NS0_5tupleIJS9_S6_EEENSD_IJSA_SA_EEENS0_18inequality_wrapperIZN2at6native12_GLOBAL__N_124unique_dim_cuda_templateIN3c104HalfEEESt5tupleIJNSH_6TensorESO_SO_EERKSO_lbbbEUlllE0_EEPmJS6_EEE10hipError_tPvRmT3_T4_T5_T6_T7_T9_mT8_P12ihipStream_tbDpT10_ENKUlT_T0_E_clISt17integral_constantIbLb0EES1E_EEDaS19_S1A_EUlS19_E_NS1_11comp_targetILNS1_3genE2ELNS1_11target_archE906ELNS1_3gpuE6ELNS1_3repE0EEENS1_30default_config_static_selectorELNS0_4arch9wavefront6targetE0EEEvT1_.num_agpr, 0
	.set _ZN7rocprim17ROCPRIM_400000_NS6detail17trampoline_kernelINS0_14default_configENS1_25partition_config_selectorILNS1_17partition_subalgoE8ElNS0_10empty_typeEbEEZZNS1_14partition_implILS5_8ELb0ES3_jPlPS6_PKS6_NS0_5tupleIJS9_S6_EEENSD_IJSA_SA_EEENS0_18inequality_wrapperIZN2at6native12_GLOBAL__N_124unique_dim_cuda_templateIN3c104HalfEEESt5tupleIJNSH_6TensorESO_SO_EERKSO_lbbbEUlllE0_EEPmJS6_EEE10hipError_tPvRmT3_T4_T5_T6_T7_T9_mT8_P12ihipStream_tbDpT10_ENKUlT_T0_E_clISt17integral_constantIbLb0EES1E_EEDaS19_S1A_EUlS19_E_NS1_11comp_targetILNS1_3genE2ELNS1_11target_archE906ELNS1_3gpuE6ELNS1_3repE0EEENS1_30default_config_static_selectorELNS0_4arch9wavefront6targetE0EEEvT1_.numbered_sgpr, 0
	.set _ZN7rocprim17ROCPRIM_400000_NS6detail17trampoline_kernelINS0_14default_configENS1_25partition_config_selectorILNS1_17partition_subalgoE8ElNS0_10empty_typeEbEEZZNS1_14partition_implILS5_8ELb0ES3_jPlPS6_PKS6_NS0_5tupleIJS9_S6_EEENSD_IJSA_SA_EEENS0_18inequality_wrapperIZN2at6native12_GLOBAL__N_124unique_dim_cuda_templateIN3c104HalfEEESt5tupleIJNSH_6TensorESO_SO_EERKSO_lbbbEUlllE0_EEPmJS6_EEE10hipError_tPvRmT3_T4_T5_T6_T7_T9_mT8_P12ihipStream_tbDpT10_ENKUlT_T0_E_clISt17integral_constantIbLb0EES1E_EEDaS19_S1A_EUlS19_E_NS1_11comp_targetILNS1_3genE2ELNS1_11target_archE906ELNS1_3gpuE6ELNS1_3repE0EEENS1_30default_config_static_selectorELNS0_4arch9wavefront6targetE0EEEvT1_.num_named_barrier, 0
	.set _ZN7rocprim17ROCPRIM_400000_NS6detail17trampoline_kernelINS0_14default_configENS1_25partition_config_selectorILNS1_17partition_subalgoE8ElNS0_10empty_typeEbEEZZNS1_14partition_implILS5_8ELb0ES3_jPlPS6_PKS6_NS0_5tupleIJS9_S6_EEENSD_IJSA_SA_EEENS0_18inequality_wrapperIZN2at6native12_GLOBAL__N_124unique_dim_cuda_templateIN3c104HalfEEESt5tupleIJNSH_6TensorESO_SO_EERKSO_lbbbEUlllE0_EEPmJS6_EEE10hipError_tPvRmT3_T4_T5_T6_T7_T9_mT8_P12ihipStream_tbDpT10_ENKUlT_T0_E_clISt17integral_constantIbLb0EES1E_EEDaS19_S1A_EUlS19_E_NS1_11comp_targetILNS1_3genE2ELNS1_11target_archE906ELNS1_3gpuE6ELNS1_3repE0EEENS1_30default_config_static_selectorELNS0_4arch9wavefront6targetE0EEEvT1_.private_seg_size, 0
	.set _ZN7rocprim17ROCPRIM_400000_NS6detail17trampoline_kernelINS0_14default_configENS1_25partition_config_selectorILNS1_17partition_subalgoE8ElNS0_10empty_typeEbEEZZNS1_14partition_implILS5_8ELb0ES3_jPlPS6_PKS6_NS0_5tupleIJS9_S6_EEENSD_IJSA_SA_EEENS0_18inequality_wrapperIZN2at6native12_GLOBAL__N_124unique_dim_cuda_templateIN3c104HalfEEESt5tupleIJNSH_6TensorESO_SO_EERKSO_lbbbEUlllE0_EEPmJS6_EEE10hipError_tPvRmT3_T4_T5_T6_T7_T9_mT8_P12ihipStream_tbDpT10_ENKUlT_T0_E_clISt17integral_constantIbLb0EES1E_EEDaS19_S1A_EUlS19_E_NS1_11comp_targetILNS1_3genE2ELNS1_11target_archE906ELNS1_3gpuE6ELNS1_3repE0EEENS1_30default_config_static_selectorELNS0_4arch9wavefront6targetE0EEEvT1_.uses_vcc, 0
	.set _ZN7rocprim17ROCPRIM_400000_NS6detail17trampoline_kernelINS0_14default_configENS1_25partition_config_selectorILNS1_17partition_subalgoE8ElNS0_10empty_typeEbEEZZNS1_14partition_implILS5_8ELb0ES3_jPlPS6_PKS6_NS0_5tupleIJS9_S6_EEENSD_IJSA_SA_EEENS0_18inequality_wrapperIZN2at6native12_GLOBAL__N_124unique_dim_cuda_templateIN3c104HalfEEESt5tupleIJNSH_6TensorESO_SO_EERKSO_lbbbEUlllE0_EEPmJS6_EEE10hipError_tPvRmT3_T4_T5_T6_T7_T9_mT8_P12ihipStream_tbDpT10_ENKUlT_T0_E_clISt17integral_constantIbLb0EES1E_EEDaS19_S1A_EUlS19_E_NS1_11comp_targetILNS1_3genE2ELNS1_11target_archE906ELNS1_3gpuE6ELNS1_3repE0EEENS1_30default_config_static_selectorELNS0_4arch9wavefront6targetE0EEEvT1_.uses_flat_scratch, 0
	.set _ZN7rocprim17ROCPRIM_400000_NS6detail17trampoline_kernelINS0_14default_configENS1_25partition_config_selectorILNS1_17partition_subalgoE8ElNS0_10empty_typeEbEEZZNS1_14partition_implILS5_8ELb0ES3_jPlPS6_PKS6_NS0_5tupleIJS9_S6_EEENSD_IJSA_SA_EEENS0_18inequality_wrapperIZN2at6native12_GLOBAL__N_124unique_dim_cuda_templateIN3c104HalfEEESt5tupleIJNSH_6TensorESO_SO_EERKSO_lbbbEUlllE0_EEPmJS6_EEE10hipError_tPvRmT3_T4_T5_T6_T7_T9_mT8_P12ihipStream_tbDpT10_ENKUlT_T0_E_clISt17integral_constantIbLb0EES1E_EEDaS19_S1A_EUlS19_E_NS1_11comp_targetILNS1_3genE2ELNS1_11target_archE906ELNS1_3gpuE6ELNS1_3repE0EEENS1_30default_config_static_selectorELNS0_4arch9wavefront6targetE0EEEvT1_.has_dyn_sized_stack, 0
	.set _ZN7rocprim17ROCPRIM_400000_NS6detail17trampoline_kernelINS0_14default_configENS1_25partition_config_selectorILNS1_17partition_subalgoE8ElNS0_10empty_typeEbEEZZNS1_14partition_implILS5_8ELb0ES3_jPlPS6_PKS6_NS0_5tupleIJS9_S6_EEENSD_IJSA_SA_EEENS0_18inequality_wrapperIZN2at6native12_GLOBAL__N_124unique_dim_cuda_templateIN3c104HalfEEESt5tupleIJNSH_6TensorESO_SO_EERKSO_lbbbEUlllE0_EEPmJS6_EEE10hipError_tPvRmT3_T4_T5_T6_T7_T9_mT8_P12ihipStream_tbDpT10_ENKUlT_T0_E_clISt17integral_constantIbLb0EES1E_EEDaS19_S1A_EUlS19_E_NS1_11comp_targetILNS1_3genE2ELNS1_11target_archE906ELNS1_3gpuE6ELNS1_3repE0EEENS1_30default_config_static_selectorELNS0_4arch9wavefront6targetE0EEEvT1_.has_recursion, 0
	.set _ZN7rocprim17ROCPRIM_400000_NS6detail17trampoline_kernelINS0_14default_configENS1_25partition_config_selectorILNS1_17partition_subalgoE8ElNS0_10empty_typeEbEEZZNS1_14partition_implILS5_8ELb0ES3_jPlPS6_PKS6_NS0_5tupleIJS9_S6_EEENSD_IJSA_SA_EEENS0_18inequality_wrapperIZN2at6native12_GLOBAL__N_124unique_dim_cuda_templateIN3c104HalfEEESt5tupleIJNSH_6TensorESO_SO_EERKSO_lbbbEUlllE0_EEPmJS6_EEE10hipError_tPvRmT3_T4_T5_T6_T7_T9_mT8_P12ihipStream_tbDpT10_ENKUlT_T0_E_clISt17integral_constantIbLb0EES1E_EEDaS19_S1A_EUlS19_E_NS1_11comp_targetILNS1_3genE2ELNS1_11target_archE906ELNS1_3gpuE6ELNS1_3repE0EEENS1_30default_config_static_selectorELNS0_4arch9wavefront6targetE0EEEvT1_.has_indirect_call, 0
	.section	.AMDGPU.csdata,"",@progbits
; Kernel info:
; codeLenInByte = 0
; TotalNumSgprs: 0
; NumVgprs: 0
; ScratchSize: 0
; MemoryBound: 0
; FloatMode: 240
; IeeeMode: 1
; LDSByteSize: 0 bytes/workgroup (compile time only)
; SGPRBlocks: 0
; VGPRBlocks: 0
; NumSGPRsForWavesPerEU: 1
; NumVGPRsForWavesPerEU: 1
; NamedBarCnt: 0
; Occupancy: 16
; WaveLimiterHint : 0
; COMPUTE_PGM_RSRC2:SCRATCH_EN: 0
; COMPUTE_PGM_RSRC2:USER_SGPR: 2
; COMPUTE_PGM_RSRC2:TRAP_HANDLER: 0
; COMPUTE_PGM_RSRC2:TGID_X_EN: 1
; COMPUTE_PGM_RSRC2:TGID_Y_EN: 0
; COMPUTE_PGM_RSRC2:TGID_Z_EN: 0
; COMPUTE_PGM_RSRC2:TIDIG_COMP_CNT: 0
	.section	.text._ZN7rocprim17ROCPRIM_400000_NS6detail17trampoline_kernelINS0_14default_configENS1_25partition_config_selectorILNS1_17partition_subalgoE8ElNS0_10empty_typeEbEEZZNS1_14partition_implILS5_8ELb0ES3_jPlPS6_PKS6_NS0_5tupleIJS9_S6_EEENSD_IJSA_SA_EEENS0_18inequality_wrapperIZN2at6native12_GLOBAL__N_124unique_dim_cuda_templateIN3c104HalfEEESt5tupleIJNSH_6TensorESO_SO_EERKSO_lbbbEUlllE0_EEPmJS6_EEE10hipError_tPvRmT3_T4_T5_T6_T7_T9_mT8_P12ihipStream_tbDpT10_ENKUlT_T0_E_clISt17integral_constantIbLb0EES1E_EEDaS19_S1A_EUlS19_E_NS1_11comp_targetILNS1_3genE10ELNS1_11target_archE1200ELNS1_3gpuE4ELNS1_3repE0EEENS1_30default_config_static_selectorELNS0_4arch9wavefront6targetE0EEEvT1_,"axG",@progbits,_ZN7rocprim17ROCPRIM_400000_NS6detail17trampoline_kernelINS0_14default_configENS1_25partition_config_selectorILNS1_17partition_subalgoE8ElNS0_10empty_typeEbEEZZNS1_14partition_implILS5_8ELb0ES3_jPlPS6_PKS6_NS0_5tupleIJS9_S6_EEENSD_IJSA_SA_EEENS0_18inequality_wrapperIZN2at6native12_GLOBAL__N_124unique_dim_cuda_templateIN3c104HalfEEESt5tupleIJNSH_6TensorESO_SO_EERKSO_lbbbEUlllE0_EEPmJS6_EEE10hipError_tPvRmT3_T4_T5_T6_T7_T9_mT8_P12ihipStream_tbDpT10_ENKUlT_T0_E_clISt17integral_constantIbLb0EES1E_EEDaS19_S1A_EUlS19_E_NS1_11comp_targetILNS1_3genE10ELNS1_11target_archE1200ELNS1_3gpuE4ELNS1_3repE0EEENS1_30default_config_static_selectorELNS0_4arch9wavefront6targetE0EEEvT1_,comdat
	.globl	_ZN7rocprim17ROCPRIM_400000_NS6detail17trampoline_kernelINS0_14default_configENS1_25partition_config_selectorILNS1_17partition_subalgoE8ElNS0_10empty_typeEbEEZZNS1_14partition_implILS5_8ELb0ES3_jPlPS6_PKS6_NS0_5tupleIJS9_S6_EEENSD_IJSA_SA_EEENS0_18inequality_wrapperIZN2at6native12_GLOBAL__N_124unique_dim_cuda_templateIN3c104HalfEEESt5tupleIJNSH_6TensorESO_SO_EERKSO_lbbbEUlllE0_EEPmJS6_EEE10hipError_tPvRmT3_T4_T5_T6_T7_T9_mT8_P12ihipStream_tbDpT10_ENKUlT_T0_E_clISt17integral_constantIbLb0EES1E_EEDaS19_S1A_EUlS19_E_NS1_11comp_targetILNS1_3genE10ELNS1_11target_archE1200ELNS1_3gpuE4ELNS1_3repE0EEENS1_30default_config_static_selectorELNS0_4arch9wavefront6targetE0EEEvT1_ ; -- Begin function _ZN7rocprim17ROCPRIM_400000_NS6detail17trampoline_kernelINS0_14default_configENS1_25partition_config_selectorILNS1_17partition_subalgoE8ElNS0_10empty_typeEbEEZZNS1_14partition_implILS5_8ELb0ES3_jPlPS6_PKS6_NS0_5tupleIJS9_S6_EEENSD_IJSA_SA_EEENS0_18inequality_wrapperIZN2at6native12_GLOBAL__N_124unique_dim_cuda_templateIN3c104HalfEEESt5tupleIJNSH_6TensorESO_SO_EERKSO_lbbbEUlllE0_EEPmJS6_EEE10hipError_tPvRmT3_T4_T5_T6_T7_T9_mT8_P12ihipStream_tbDpT10_ENKUlT_T0_E_clISt17integral_constantIbLb0EES1E_EEDaS19_S1A_EUlS19_E_NS1_11comp_targetILNS1_3genE10ELNS1_11target_archE1200ELNS1_3gpuE4ELNS1_3repE0EEENS1_30default_config_static_selectorELNS0_4arch9wavefront6targetE0EEEvT1_
	.p2align	8
	.type	_ZN7rocprim17ROCPRIM_400000_NS6detail17trampoline_kernelINS0_14default_configENS1_25partition_config_selectorILNS1_17partition_subalgoE8ElNS0_10empty_typeEbEEZZNS1_14partition_implILS5_8ELb0ES3_jPlPS6_PKS6_NS0_5tupleIJS9_S6_EEENSD_IJSA_SA_EEENS0_18inequality_wrapperIZN2at6native12_GLOBAL__N_124unique_dim_cuda_templateIN3c104HalfEEESt5tupleIJNSH_6TensorESO_SO_EERKSO_lbbbEUlllE0_EEPmJS6_EEE10hipError_tPvRmT3_T4_T5_T6_T7_T9_mT8_P12ihipStream_tbDpT10_ENKUlT_T0_E_clISt17integral_constantIbLb0EES1E_EEDaS19_S1A_EUlS19_E_NS1_11comp_targetILNS1_3genE10ELNS1_11target_archE1200ELNS1_3gpuE4ELNS1_3repE0EEENS1_30default_config_static_selectorELNS0_4arch9wavefront6targetE0EEEvT1_,@function
_ZN7rocprim17ROCPRIM_400000_NS6detail17trampoline_kernelINS0_14default_configENS1_25partition_config_selectorILNS1_17partition_subalgoE8ElNS0_10empty_typeEbEEZZNS1_14partition_implILS5_8ELb0ES3_jPlPS6_PKS6_NS0_5tupleIJS9_S6_EEENSD_IJSA_SA_EEENS0_18inequality_wrapperIZN2at6native12_GLOBAL__N_124unique_dim_cuda_templateIN3c104HalfEEESt5tupleIJNSH_6TensorESO_SO_EERKSO_lbbbEUlllE0_EEPmJS6_EEE10hipError_tPvRmT3_T4_T5_T6_T7_T9_mT8_P12ihipStream_tbDpT10_ENKUlT_T0_E_clISt17integral_constantIbLb0EES1E_EEDaS19_S1A_EUlS19_E_NS1_11comp_targetILNS1_3genE10ELNS1_11target_archE1200ELNS1_3gpuE4ELNS1_3repE0EEENS1_30default_config_static_selectorELNS0_4arch9wavefront6targetE0EEEvT1_: ; @_ZN7rocprim17ROCPRIM_400000_NS6detail17trampoline_kernelINS0_14default_configENS1_25partition_config_selectorILNS1_17partition_subalgoE8ElNS0_10empty_typeEbEEZZNS1_14partition_implILS5_8ELb0ES3_jPlPS6_PKS6_NS0_5tupleIJS9_S6_EEENSD_IJSA_SA_EEENS0_18inequality_wrapperIZN2at6native12_GLOBAL__N_124unique_dim_cuda_templateIN3c104HalfEEESt5tupleIJNSH_6TensorESO_SO_EERKSO_lbbbEUlllE0_EEPmJS6_EEE10hipError_tPvRmT3_T4_T5_T6_T7_T9_mT8_P12ihipStream_tbDpT10_ENKUlT_T0_E_clISt17integral_constantIbLb0EES1E_EEDaS19_S1A_EUlS19_E_NS1_11comp_targetILNS1_3genE10ELNS1_11target_archE1200ELNS1_3gpuE4ELNS1_3repE0EEENS1_30default_config_static_selectorELNS0_4arch9wavefront6targetE0EEEvT1_
; %bb.0:
	.section	.rodata,"a",@progbits
	.p2align	6, 0x0
	.amdhsa_kernel _ZN7rocprim17ROCPRIM_400000_NS6detail17trampoline_kernelINS0_14default_configENS1_25partition_config_selectorILNS1_17partition_subalgoE8ElNS0_10empty_typeEbEEZZNS1_14partition_implILS5_8ELb0ES3_jPlPS6_PKS6_NS0_5tupleIJS9_S6_EEENSD_IJSA_SA_EEENS0_18inequality_wrapperIZN2at6native12_GLOBAL__N_124unique_dim_cuda_templateIN3c104HalfEEESt5tupleIJNSH_6TensorESO_SO_EERKSO_lbbbEUlllE0_EEPmJS6_EEE10hipError_tPvRmT3_T4_T5_T6_T7_T9_mT8_P12ihipStream_tbDpT10_ENKUlT_T0_E_clISt17integral_constantIbLb0EES1E_EEDaS19_S1A_EUlS19_E_NS1_11comp_targetILNS1_3genE10ELNS1_11target_archE1200ELNS1_3gpuE4ELNS1_3repE0EEENS1_30default_config_static_selectorELNS0_4arch9wavefront6targetE0EEEvT1_
		.amdhsa_group_segment_fixed_size 0
		.amdhsa_private_segment_fixed_size 0
		.amdhsa_kernarg_size 120
		.amdhsa_user_sgpr_count 2
		.amdhsa_user_sgpr_dispatch_ptr 0
		.amdhsa_user_sgpr_queue_ptr 0
		.amdhsa_user_sgpr_kernarg_segment_ptr 1
		.amdhsa_user_sgpr_dispatch_id 0
		.amdhsa_user_sgpr_kernarg_preload_length 0
		.amdhsa_user_sgpr_kernarg_preload_offset 0
		.amdhsa_user_sgpr_private_segment_size 0
		.amdhsa_wavefront_size32 1
		.amdhsa_uses_dynamic_stack 0
		.amdhsa_enable_private_segment 0
		.amdhsa_system_sgpr_workgroup_id_x 1
		.amdhsa_system_sgpr_workgroup_id_y 0
		.amdhsa_system_sgpr_workgroup_id_z 0
		.amdhsa_system_sgpr_workgroup_info 0
		.amdhsa_system_vgpr_workitem_id 0
		.amdhsa_next_free_vgpr 1
		.amdhsa_next_free_sgpr 1
		.amdhsa_named_barrier_count 0
		.amdhsa_reserve_vcc 0
		.amdhsa_float_round_mode_32 0
		.amdhsa_float_round_mode_16_64 0
		.amdhsa_float_denorm_mode_32 3
		.amdhsa_float_denorm_mode_16_64 3
		.amdhsa_fp16_overflow 0
		.amdhsa_memory_ordered 1
		.amdhsa_forward_progress 1
		.amdhsa_inst_pref_size 0
		.amdhsa_round_robin_scheduling 0
		.amdhsa_exception_fp_ieee_invalid_op 0
		.amdhsa_exception_fp_denorm_src 0
		.amdhsa_exception_fp_ieee_div_zero 0
		.amdhsa_exception_fp_ieee_overflow 0
		.amdhsa_exception_fp_ieee_underflow 0
		.amdhsa_exception_fp_ieee_inexact 0
		.amdhsa_exception_int_div_zero 0
	.end_amdhsa_kernel
	.section	.text._ZN7rocprim17ROCPRIM_400000_NS6detail17trampoline_kernelINS0_14default_configENS1_25partition_config_selectorILNS1_17partition_subalgoE8ElNS0_10empty_typeEbEEZZNS1_14partition_implILS5_8ELb0ES3_jPlPS6_PKS6_NS0_5tupleIJS9_S6_EEENSD_IJSA_SA_EEENS0_18inequality_wrapperIZN2at6native12_GLOBAL__N_124unique_dim_cuda_templateIN3c104HalfEEESt5tupleIJNSH_6TensorESO_SO_EERKSO_lbbbEUlllE0_EEPmJS6_EEE10hipError_tPvRmT3_T4_T5_T6_T7_T9_mT8_P12ihipStream_tbDpT10_ENKUlT_T0_E_clISt17integral_constantIbLb0EES1E_EEDaS19_S1A_EUlS19_E_NS1_11comp_targetILNS1_3genE10ELNS1_11target_archE1200ELNS1_3gpuE4ELNS1_3repE0EEENS1_30default_config_static_selectorELNS0_4arch9wavefront6targetE0EEEvT1_,"axG",@progbits,_ZN7rocprim17ROCPRIM_400000_NS6detail17trampoline_kernelINS0_14default_configENS1_25partition_config_selectorILNS1_17partition_subalgoE8ElNS0_10empty_typeEbEEZZNS1_14partition_implILS5_8ELb0ES3_jPlPS6_PKS6_NS0_5tupleIJS9_S6_EEENSD_IJSA_SA_EEENS0_18inequality_wrapperIZN2at6native12_GLOBAL__N_124unique_dim_cuda_templateIN3c104HalfEEESt5tupleIJNSH_6TensorESO_SO_EERKSO_lbbbEUlllE0_EEPmJS6_EEE10hipError_tPvRmT3_T4_T5_T6_T7_T9_mT8_P12ihipStream_tbDpT10_ENKUlT_T0_E_clISt17integral_constantIbLb0EES1E_EEDaS19_S1A_EUlS19_E_NS1_11comp_targetILNS1_3genE10ELNS1_11target_archE1200ELNS1_3gpuE4ELNS1_3repE0EEENS1_30default_config_static_selectorELNS0_4arch9wavefront6targetE0EEEvT1_,comdat
.Lfunc_end1302:
	.size	_ZN7rocprim17ROCPRIM_400000_NS6detail17trampoline_kernelINS0_14default_configENS1_25partition_config_selectorILNS1_17partition_subalgoE8ElNS0_10empty_typeEbEEZZNS1_14partition_implILS5_8ELb0ES3_jPlPS6_PKS6_NS0_5tupleIJS9_S6_EEENSD_IJSA_SA_EEENS0_18inequality_wrapperIZN2at6native12_GLOBAL__N_124unique_dim_cuda_templateIN3c104HalfEEESt5tupleIJNSH_6TensorESO_SO_EERKSO_lbbbEUlllE0_EEPmJS6_EEE10hipError_tPvRmT3_T4_T5_T6_T7_T9_mT8_P12ihipStream_tbDpT10_ENKUlT_T0_E_clISt17integral_constantIbLb0EES1E_EEDaS19_S1A_EUlS19_E_NS1_11comp_targetILNS1_3genE10ELNS1_11target_archE1200ELNS1_3gpuE4ELNS1_3repE0EEENS1_30default_config_static_selectorELNS0_4arch9wavefront6targetE0EEEvT1_, .Lfunc_end1302-_ZN7rocprim17ROCPRIM_400000_NS6detail17trampoline_kernelINS0_14default_configENS1_25partition_config_selectorILNS1_17partition_subalgoE8ElNS0_10empty_typeEbEEZZNS1_14partition_implILS5_8ELb0ES3_jPlPS6_PKS6_NS0_5tupleIJS9_S6_EEENSD_IJSA_SA_EEENS0_18inequality_wrapperIZN2at6native12_GLOBAL__N_124unique_dim_cuda_templateIN3c104HalfEEESt5tupleIJNSH_6TensorESO_SO_EERKSO_lbbbEUlllE0_EEPmJS6_EEE10hipError_tPvRmT3_T4_T5_T6_T7_T9_mT8_P12ihipStream_tbDpT10_ENKUlT_T0_E_clISt17integral_constantIbLb0EES1E_EEDaS19_S1A_EUlS19_E_NS1_11comp_targetILNS1_3genE10ELNS1_11target_archE1200ELNS1_3gpuE4ELNS1_3repE0EEENS1_30default_config_static_selectorELNS0_4arch9wavefront6targetE0EEEvT1_
                                        ; -- End function
	.set _ZN7rocprim17ROCPRIM_400000_NS6detail17trampoline_kernelINS0_14default_configENS1_25partition_config_selectorILNS1_17partition_subalgoE8ElNS0_10empty_typeEbEEZZNS1_14partition_implILS5_8ELb0ES3_jPlPS6_PKS6_NS0_5tupleIJS9_S6_EEENSD_IJSA_SA_EEENS0_18inequality_wrapperIZN2at6native12_GLOBAL__N_124unique_dim_cuda_templateIN3c104HalfEEESt5tupleIJNSH_6TensorESO_SO_EERKSO_lbbbEUlllE0_EEPmJS6_EEE10hipError_tPvRmT3_T4_T5_T6_T7_T9_mT8_P12ihipStream_tbDpT10_ENKUlT_T0_E_clISt17integral_constantIbLb0EES1E_EEDaS19_S1A_EUlS19_E_NS1_11comp_targetILNS1_3genE10ELNS1_11target_archE1200ELNS1_3gpuE4ELNS1_3repE0EEENS1_30default_config_static_selectorELNS0_4arch9wavefront6targetE0EEEvT1_.num_vgpr, 0
	.set _ZN7rocprim17ROCPRIM_400000_NS6detail17trampoline_kernelINS0_14default_configENS1_25partition_config_selectorILNS1_17partition_subalgoE8ElNS0_10empty_typeEbEEZZNS1_14partition_implILS5_8ELb0ES3_jPlPS6_PKS6_NS0_5tupleIJS9_S6_EEENSD_IJSA_SA_EEENS0_18inequality_wrapperIZN2at6native12_GLOBAL__N_124unique_dim_cuda_templateIN3c104HalfEEESt5tupleIJNSH_6TensorESO_SO_EERKSO_lbbbEUlllE0_EEPmJS6_EEE10hipError_tPvRmT3_T4_T5_T6_T7_T9_mT8_P12ihipStream_tbDpT10_ENKUlT_T0_E_clISt17integral_constantIbLb0EES1E_EEDaS19_S1A_EUlS19_E_NS1_11comp_targetILNS1_3genE10ELNS1_11target_archE1200ELNS1_3gpuE4ELNS1_3repE0EEENS1_30default_config_static_selectorELNS0_4arch9wavefront6targetE0EEEvT1_.num_agpr, 0
	.set _ZN7rocprim17ROCPRIM_400000_NS6detail17trampoline_kernelINS0_14default_configENS1_25partition_config_selectorILNS1_17partition_subalgoE8ElNS0_10empty_typeEbEEZZNS1_14partition_implILS5_8ELb0ES3_jPlPS6_PKS6_NS0_5tupleIJS9_S6_EEENSD_IJSA_SA_EEENS0_18inequality_wrapperIZN2at6native12_GLOBAL__N_124unique_dim_cuda_templateIN3c104HalfEEESt5tupleIJNSH_6TensorESO_SO_EERKSO_lbbbEUlllE0_EEPmJS6_EEE10hipError_tPvRmT3_T4_T5_T6_T7_T9_mT8_P12ihipStream_tbDpT10_ENKUlT_T0_E_clISt17integral_constantIbLb0EES1E_EEDaS19_S1A_EUlS19_E_NS1_11comp_targetILNS1_3genE10ELNS1_11target_archE1200ELNS1_3gpuE4ELNS1_3repE0EEENS1_30default_config_static_selectorELNS0_4arch9wavefront6targetE0EEEvT1_.numbered_sgpr, 0
	.set _ZN7rocprim17ROCPRIM_400000_NS6detail17trampoline_kernelINS0_14default_configENS1_25partition_config_selectorILNS1_17partition_subalgoE8ElNS0_10empty_typeEbEEZZNS1_14partition_implILS5_8ELb0ES3_jPlPS6_PKS6_NS0_5tupleIJS9_S6_EEENSD_IJSA_SA_EEENS0_18inequality_wrapperIZN2at6native12_GLOBAL__N_124unique_dim_cuda_templateIN3c104HalfEEESt5tupleIJNSH_6TensorESO_SO_EERKSO_lbbbEUlllE0_EEPmJS6_EEE10hipError_tPvRmT3_T4_T5_T6_T7_T9_mT8_P12ihipStream_tbDpT10_ENKUlT_T0_E_clISt17integral_constantIbLb0EES1E_EEDaS19_S1A_EUlS19_E_NS1_11comp_targetILNS1_3genE10ELNS1_11target_archE1200ELNS1_3gpuE4ELNS1_3repE0EEENS1_30default_config_static_selectorELNS0_4arch9wavefront6targetE0EEEvT1_.num_named_barrier, 0
	.set _ZN7rocprim17ROCPRIM_400000_NS6detail17trampoline_kernelINS0_14default_configENS1_25partition_config_selectorILNS1_17partition_subalgoE8ElNS0_10empty_typeEbEEZZNS1_14partition_implILS5_8ELb0ES3_jPlPS6_PKS6_NS0_5tupleIJS9_S6_EEENSD_IJSA_SA_EEENS0_18inequality_wrapperIZN2at6native12_GLOBAL__N_124unique_dim_cuda_templateIN3c104HalfEEESt5tupleIJNSH_6TensorESO_SO_EERKSO_lbbbEUlllE0_EEPmJS6_EEE10hipError_tPvRmT3_T4_T5_T6_T7_T9_mT8_P12ihipStream_tbDpT10_ENKUlT_T0_E_clISt17integral_constantIbLb0EES1E_EEDaS19_S1A_EUlS19_E_NS1_11comp_targetILNS1_3genE10ELNS1_11target_archE1200ELNS1_3gpuE4ELNS1_3repE0EEENS1_30default_config_static_selectorELNS0_4arch9wavefront6targetE0EEEvT1_.private_seg_size, 0
	.set _ZN7rocprim17ROCPRIM_400000_NS6detail17trampoline_kernelINS0_14default_configENS1_25partition_config_selectorILNS1_17partition_subalgoE8ElNS0_10empty_typeEbEEZZNS1_14partition_implILS5_8ELb0ES3_jPlPS6_PKS6_NS0_5tupleIJS9_S6_EEENSD_IJSA_SA_EEENS0_18inequality_wrapperIZN2at6native12_GLOBAL__N_124unique_dim_cuda_templateIN3c104HalfEEESt5tupleIJNSH_6TensorESO_SO_EERKSO_lbbbEUlllE0_EEPmJS6_EEE10hipError_tPvRmT3_T4_T5_T6_T7_T9_mT8_P12ihipStream_tbDpT10_ENKUlT_T0_E_clISt17integral_constantIbLb0EES1E_EEDaS19_S1A_EUlS19_E_NS1_11comp_targetILNS1_3genE10ELNS1_11target_archE1200ELNS1_3gpuE4ELNS1_3repE0EEENS1_30default_config_static_selectorELNS0_4arch9wavefront6targetE0EEEvT1_.uses_vcc, 0
	.set _ZN7rocprim17ROCPRIM_400000_NS6detail17trampoline_kernelINS0_14default_configENS1_25partition_config_selectorILNS1_17partition_subalgoE8ElNS0_10empty_typeEbEEZZNS1_14partition_implILS5_8ELb0ES3_jPlPS6_PKS6_NS0_5tupleIJS9_S6_EEENSD_IJSA_SA_EEENS0_18inequality_wrapperIZN2at6native12_GLOBAL__N_124unique_dim_cuda_templateIN3c104HalfEEESt5tupleIJNSH_6TensorESO_SO_EERKSO_lbbbEUlllE0_EEPmJS6_EEE10hipError_tPvRmT3_T4_T5_T6_T7_T9_mT8_P12ihipStream_tbDpT10_ENKUlT_T0_E_clISt17integral_constantIbLb0EES1E_EEDaS19_S1A_EUlS19_E_NS1_11comp_targetILNS1_3genE10ELNS1_11target_archE1200ELNS1_3gpuE4ELNS1_3repE0EEENS1_30default_config_static_selectorELNS0_4arch9wavefront6targetE0EEEvT1_.uses_flat_scratch, 0
	.set _ZN7rocprim17ROCPRIM_400000_NS6detail17trampoline_kernelINS0_14default_configENS1_25partition_config_selectorILNS1_17partition_subalgoE8ElNS0_10empty_typeEbEEZZNS1_14partition_implILS5_8ELb0ES3_jPlPS6_PKS6_NS0_5tupleIJS9_S6_EEENSD_IJSA_SA_EEENS0_18inequality_wrapperIZN2at6native12_GLOBAL__N_124unique_dim_cuda_templateIN3c104HalfEEESt5tupleIJNSH_6TensorESO_SO_EERKSO_lbbbEUlllE0_EEPmJS6_EEE10hipError_tPvRmT3_T4_T5_T6_T7_T9_mT8_P12ihipStream_tbDpT10_ENKUlT_T0_E_clISt17integral_constantIbLb0EES1E_EEDaS19_S1A_EUlS19_E_NS1_11comp_targetILNS1_3genE10ELNS1_11target_archE1200ELNS1_3gpuE4ELNS1_3repE0EEENS1_30default_config_static_selectorELNS0_4arch9wavefront6targetE0EEEvT1_.has_dyn_sized_stack, 0
	.set _ZN7rocprim17ROCPRIM_400000_NS6detail17trampoline_kernelINS0_14default_configENS1_25partition_config_selectorILNS1_17partition_subalgoE8ElNS0_10empty_typeEbEEZZNS1_14partition_implILS5_8ELb0ES3_jPlPS6_PKS6_NS0_5tupleIJS9_S6_EEENSD_IJSA_SA_EEENS0_18inequality_wrapperIZN2at6native12_GLOBAL__N_124unique_dim_cuda_templateIN3c104HalfEEESt5tupleIJNSH_6TensorESO_SO_EERKSO_lbbbEUlllE0_EEPmJS6_EEE10hipError_tPvRmT3_T4_T5_T6_T7_T9_mT8_P12ihipStream_tbDpT10_ENKUlT_T0_E_clISt17integral_constantIbLb0EES1E_EEDaS19_S1A_EUlS19_E_NS1_11comp_targetILNS1_3genE10ELNS1_11target_archE1200ELNS1_3gpuE4ELNS1_3repE0EEENS1_30default_config_static_selectorELNS0_4arch9wavefront6targetE0EEEvT1_.has_recursion, 0
	.set _ZN7rocprim17ROCPRIM_400000_NS6detail17trampoline_kernelINS0_14default_configENS1_25partition_config_selectorILNS1_17partition_subalgoE8ElNS0_10empty_typeEbEEZZNS1_14partition_implILS5_8ELb0ES3_jPlPS6_PKS6_NS0_5tupleIJS9_S6_EEENSD_IJSA_SA_EEENS0_18inequality_wrapperIZN2at6native12_GLOBAL__N_124unique_dim_cuda_templateIN3c104HalfEEESt5tupleIJNSH_6TensorESO_SO_EERKSO_lbbbEUlllE0_EEPmJS6_EEE10hipError_tPvRmT3_T4_T5_T6_T7_T9_mT8_P12ihipStream_tbDpT10_ENKUlT_T0_E_clISt17integral_constantIbLb0EES1E_EEDaS19_S1A_EUlS19_E_NS1_11comp_targetILNS1_3genE10ELNS1_11target_archE1200ELNS1_3gpuE4ELNS1_3repE0EEENS1_30default_config_static_selectorELNS0_4arch9wavefront6targetE0EEEvT1_.has_indirect_call, 0
	.section	.AMDGPU.csdata,"",@progbits
; Kernel info:
; codeLenInByte = 0
; TotalNumSgprs: 0
; NumVgprs: 0
; ScratchSize: 0
; MemoryBound: 0
; FloatMode: 240
; IeeeMode: 1
; LDSByteSize: 0 bytes/workgroup (compile time only)
; SGPRBlocks: 0
; VGPRBlocks: 0
; NumSGPRsForWavesPerEU: 1
; NumVGPRsForWavesPerEU: 1
; NamedBarCnt: 0
; Occupancy: 16
; WaveLimiterHint : 0
; COMPUTE_PGM_RSRC2:SCRATCH_EN: 0
; COMPUTE_PGM_RSRC2:USER_SGPR: 2
; COMPUTE_PGM_RSRC2:TRAP_HANDLER: 0
; COMPUTE_PGM_RSRC2:TGID_X_EN: 1
; COMPUTE_PGM_RSRC2:TGID_Y_EN: 0
; COMPUTE_PGM_RSRC2:TGID_Z_EN: 0
; COMPUTE_PGM_RSRC2:TIDIG_COMP_CNT: 0
	.section	.text._ZN7rocprim17ROCPRIM_400000_NS6detail17trampoline_kernelINS0_14default_configENS1_25partition_config_selectorILNS1_17partition_subalgoE8ElNS0_10empty_typeEbEEZZNS1_14partition_implILS5_8ELb0ES3_jPlPS6_PKS6_NS0_5tupleIJS9_S6_EEENSD_IJSA_SA_EEENS0_18inequality_wrapperIZN2at6native12_GLOBAL__N_124unique_dim_cuda_templateIN3c104HalfEEESt5tupleIJNSH_6TensorESO_SO_EERKSO_lbbbEUlllE0_EEPmJS6_EEE10hipError_tPvRmT3_T4_T5_T6_T7_T9_mT8_P12ihipStream_tbDpT10_ENKUlT_T0_E_clISt17integral_constantIbLb0EES1E_EEDaS19_S1A_EUlS19_E_NS1_11comp_targetILNS1_3genE9ELNS1_11target_archE1100ELNS1_3gpuE3ELNS1_3repE0EEENS1_30default_config_static_selectorELNS0_4arch9wavefront6targetE0EEEvT1_,"axG",@progbits,_ZN7rocprim17ROCPRIM_400000_NS6detail17trampoline_kernelINS0_14default_configENS1_25partition_config_selectorILNS1_17partition_subalgoE8ElNS0_10empty_typeEbEEZZNS1_14partition_implILS5_8ELb0ES3_jPlPS6_PKS6_NS0_5tupleIJS9_S6_EEENSD_IJSA_SA_EEENS0_18inequality_wrapperIZN2at6native12_GLOBAL__N_124unique_dim_cuda_templateIN3c104HalfEEESt5tupleIJNSH_6TensorESO_SO_EERKSO_lbbbEUlllE0_EEPmJS6_EEE10hipError_tPvRmT3_T4_T5_T6_T7_T9_mT8_P12ihipStream_tbDpT10_ENKUlT_T0_E_clISt17integral_constantIbLb0EES1E_EEDaS19_S1A_EUlS19_E_NS1_11comp_targetILNS1_3genE9ELNS1_11target_archE1100ELNS1_3gpuE3ELNS1_3repE0EEENS1_30default_config_static_selectorELNS0_4arch9wavefront6targetE0EEEvT1_,comdat
	.globl	_ZN7rocprim17ROCPRIM_400000_NS6detail17trampoline_kernelINS0_14default_configENS1_25partition_config_selectorILNS1_17partition_subalgoE8ElNS0_10empty_typeEbEEZZNS1_14partition_implILS5_8ELb0ES3_jPlPS6_PKS6_NS0_5tupleIJS9_S6_EEENSD_IJSA_SA_EEENS0_18inequality_wrapperIZN2at6native12_GLOBAL__N_124unique_dim_cuda_templateIN3c104HalfEEESt5tupleIJNSH_6TensorESO_SO_EERKSO_lbbbEUlllE0_EEPmJS6_EEE10hipError_tPvRmT3_T4_T5_T6_T7_T9_mT8_P12ihipStream_tbDpT10_ENKUlT_T0_E_clISt17integral_constantIbLb0EES1E_EEDaS19_S1A_EUlS19_E_NS1_11comp_targetILNS1_3genE9ELNS1_11target_archE1100ELNS1_3gpuE3ELNS1_3repE0EEENS1_30default_config_static_selectorELNS0_4arch9wavefront6targetE0EEEvT1_ ; -- Begin function _ZN7rocprim17ROCPRIM_400000_NS6detail17trampoline_kernelINS0_14default_configENS1_25partition_config_selectorILNS1_17partition_subalgoE8ElNS0_10empty_typeEbEEZZNS1_14partition_implILS5_8ELb0ES3_jPlPS6_PKS6_NS0_5tupleIJS9_S6_EEENSD_IJSA_SA_EEENS0_18inequality_wrapperIZN2at6native12_GLOBAL__N_124unique_dim_cuda_templateIN3c104HalfEEESt5tupleIJNSH_6TensorESO_SO_EERKSO_lbbbEUlllE0_EEPmJS6_EEE10hipError_tPvRmT3_T4_T5_T6_T7_T9_mT8_P12ihipStream_tbDpT10_ENKUlT_T0_E_clISt17integral_constantIbLb0EES1E_EEDaS19_S1A_EUlS19_E_NS1_11comp_targetILNS1_3genE9ELNS1_11target_archE1100ELNS1_3gpuE3ELNS1_3repE0EEENS1_30default_config_static_selectorELNS0_4arch9wavefront6targetE0EEEvT1_
	.p2align	8
	.type	_ZN7rocprim17ROCPRIM_400000_NS6detail17trampoline_kernelINS0_14default_configENS1_25partition_config_selectorILNS1_17partition_subalgoE8ElNS0_10empty_typeEbEEZZNS1_14partition_implILS5_8ELb0ES3_jPlPS6_PKS6_NS0_5tupleIJS9_S6_EEENSD_IJSA_SA_EEENS0_18inequality_wrapperIZN2at6native12_GLOBAL__N_124unique_dim_cuda_templateIN3c104HalfEEESt5tupleIJNSH_6TensorESO_SO_EERKSO_lbbbEUlllE0_EEPmJS6_EEE10hipError_tPvRmT3_T4_T5_T6_T7_T9_mT8_P12ihipStream_tbDpT10_ENKUlT_T0_E_clISt17integral_constantIbLb0EES1E_EEDaS19_S1A_EUlS19_E_NS1_11comp_targetILNS1_3genE9ELNS1_11target_archE1100ELNS1_3gpuE3ELNS1_3repE0EEENS1_30default_config_static_selectorELNS0_4arch9wavefront6targetE0EEEvT1_,@function
_ZN7rocprim17ROCPRIM_400000_NS6detail17trampoline_kernelINS0_14default_configENS1_25partition_config_selectorILNS1_17partition_subalgoE8ElNS0_10empty_typeEbEEZZNS1_14partition_implILS5_8ELb0ES3_jPlPS6_PKS6_NS0_5tupleIJS9_S6_EEENSD_IJSA_SA_EEENS0_18inequality_wrapperIZN2at6native12_GLOBAL__N_124unique_dim_cuda_templateIN3c104HalfEEESt5tupleIJNSH_6TensorESO_SO_EERKSO_lbbbEUlllE0_EEPmJS6_EEE10hipError_tPvRmT3_T4_T5_T6_T7_T9_mT8_P12ihipStream_tbDpT10_ENKUlT_T0_E_clISt17integral_constantIbLb0EES1E_EEDaS19_S1A_EUlS19_E_NS1_11comp_targetILNS1_3genE9ELNS1_11target_archE1100ELNS1_3gpuE3ELNS1_3repE0EEENS1_30default_config_static_selectorELNS0_4arch9wavefront6targetE0EEEvT1_: ; @_ZN7rocprim17ROCPRIM_400000_NS6detail17trampoline_kernelINS0_14default_configENS1_25partition_config_selectorILNS1_17partition_subalgoE8ElNS0_10empty_typeEbEEZZNS1_14partition_implILS5_8ELb0ES3_jPlPS6_PKS6_NS0_5tupleIJS9_S6_EEENSD_IJSA_SA_EEENS0_18inequality_wrapperIZN2at6native12_GLOBAL__N_124unique_dim_cuda_templateIN3c104HalfEEESt5tupleIJNSH_6TensorESO_SO_EERKSO_lbbbEUlllE0_EEPmJS6_EEE10hipError_tPvRmT3_T4_T5_T6_T7_T9_mT8_P12ihipStream_tbDpT10_ENKUlT_T0_E_clISt17integral_constantIbLb0EES1E_EEDaS19_S1A_EUlS19_E_NS1_11comp_targetILNS1_3genE9ELNS1_11target_archE1100ELNS1_3gpuE3ELNS1_3repE0EEENS1_30default_config_static_selectorELNS0_4arch9wavefront6targetE0EEEvT1_
; %bb.0:
	.section	.rodata,"a",@progbits
	.p2align	6, 0x0
	.amdhsa_kernel _ZN7rocprim17ROCPRIM_400000_NS6detail17trampoline_kernelINS0_14default_configENS1_25partition_config_selectorILNS1_17partition_subalgoE8ElNS0_10empty_typeEbEEZZNS1_14partition_implILS5_8ELb0ES3_jPlPS6_PKS6_NS0_5tupleIJS9_S6_EEENSD_IJSA_SA_EEENS0_18inequality_wrapperIZN2at6native12_GLOBAL__N_124unique_dim_cuda_templateIN3c104HalfEEESt5tupleIJNSH_6TensorESO_SO_EERKSO_lbbbEUlllE0_EEPmJS6_EEE10hipError_tPvRmT3_T4_T5_T6_T7_T9_mT8_P12ihipStream_tbDpT10_ENKUlT_T0_E_clISt17integral_constantIbLb0EES1E_EEDaS19_S1A_EUlS19_E_NS1_11comp_targetILNS1_3genE9ELNS1_11target_archE1100ELNS1_3gpuE3ELNS1_3repE0EEENS1_30default_config_static_selectorELNS0_4arch9wavefront6targetE0EEEvT1_
		.amdhsa_group_segment_fixed_size 0
		.amdhsa_private_segment_fixed_size 0
		.amdhsa_kernarg_size 120
		.amdhsa_user_sgpr_count 2
		.amdhsa_user_sgpr_dispatch_ptr 0
		.amdhsa_user_sgpr_queue_ptr 0
		.amdhsa_user_sgpr_kernarg_segment_ptr 1
		.amdhsa_user_sgpr_dispatch_id 0
		.amdhsa_user_sgpr_kernarg_preload_length 0
		.amdhsa_user_sgpr_kernarg_preload_offset 0
		.amdhsa_user_sgpr_private_segment_size 0
		.amdhsa_wavefront_size32 1
		.amdhsa_uses_dynamic_stack 0
		.amdhsa_enable_private_segment 0
		.amdhsa_system_sgpr_workgroup_id_x 1
		.amdhsa_system_sgpr_workgroup_id_y 0
		.amdhsa_system_sgpr_workgroup_id_z 0
		.amdhsa_system_sgpr_workgroup_info 0
		.amdhsa_system_vgpr_workitem_id 0
		.amdhsa_next_free_vgpr 1
		.amdhsa_next_free_sgpr 1
		.amdhsa_named_barrier_count 0
		.amdhsa_reserve_vcc 0
		.amdhsa_float_round_mode_32 0
		.amdhsa_float_round_mode_16_64 0
		.amdhsa_float_denorm_mode_32 3
		.amdhsa_float_denorm_mode_16_64 3
		.amdhsa_fp16_overflow 0
		.amdhsa_memory_ordered 1
		.amdhsa_forward_progress 1
		.amdhsa_inst_pref_size 0
		.amdhsa_round_robin_scheduling 0
		.amdhsa_exception_fp_ieee_invalid_op 0
		.amdhsa_exception_fp_denorm_src 0
		.amdhsa_exception_fp_ieee_div_zero 0
		.amdhsa_exception_fp_ieee_overflow 0
		.amdhsa_exception_fp_ieee_underflow 0
		.amdhsa_exception_fp_ieee_inexact 0
		.amdhsa_exception_int_div_zero 0
	.end_amdhsa_kernel
	.section	.text._ZN7rocprim17ROCPRIM_400000_NS6detail17trampoline_kernelINS0_14default_configENS1_25partition_config_selectorILNS1_17partition_subalgoE8ElNS0_10empty_typeEbEEZZNS1_14partition_implILS5_8ELb0ES3_jPlPS6_PKS6_NS0_5tupleIJS9_S6_EEENSD_IJSA_SA_EEENS0_18inequality_wrapperIZN2at6native12_GLOBAL__N_124unique_dim_cuda_templateIN3c104HalfEEESt5tupleIJNSH_6TensorESO_SO_EERKSO_lbbbEUlllE0_EEPmJS6_EEE10hipError_tPvRmT3_T4_T5_T6_T7_T9_mT8_P12ihipStream_tbDpT10_ENKUlT_T0_E_clISt17integral_constantIbLb0EES1E_EEDaS19_S1A_EUlS19_E_NS1_11comp_targetILNS1_3genE9ELNS1_11target_archE1100ELNS1_3gpuE3ELNS1_3repE0EEENS1_30default_config_static_selectorELNS0_4arch9wavefront6targetE0EEEvT1_,"axG",@progbits,_ZN7rocprim17ROCPRIM_400000_NS6detail17trampoline_kernelINS0_14default_configENS1_25partition_config_selectorILNS1_17partition_subalgoE8ElNS0_10empty_typeEbEEZZNS1_14partition_implILS5_8ELb0ES3_jPlPS6_PKS6_NS0_5tupleIJS9_S6_EEENSD_IJSA_SA_EEENS0_18inequality_wrapperIZN2at6native12_GLOBAL__N_124unique_dim_cuda_templateIN3c104HalfEEESt5tupleIJNSH_6TensorESO_SO_EERKSO_lbbbEUlllE0_EEPmJS6_EEE10hipError_tPvRmT3_T4_T5_T6_T7_T9_mT8_P12ihipStream_tbDpT10_ENKUlT_T0_E_clISt17integral_constantIbLb0EES1E_EEDaS19_S1A_EUlS19_E_NS1_11comp_targetILNS1_3genE9ELNS1_11target_archE1100ELNS1_3gpuE3ELNS1_3repE0EEENS1_30default_config_static_selectorELNS0_4arch9wavefront6targetE0EEEvT1_,comdat
.Lfunc_end1303:
	.size	_ZN7rocprim17ROCPRIM_400000_NS6detail17trampoline_kernelINS0_14default_configENS1_25partition_config_selectorILNS1_17partition_subalgoE8ElNS0_10empty_typeEbEEZZNS1_14partition_implILS5_8ELb0ES3_jPlPS6_PKS6_NS0_5tupleIJS9_S6_EEENSD_IJSA_SA_EEENS0_18inequality_wrapperIZN2at6native12_GLOBAL__N_124unique_dim_cuda_templateIN3c104HalfEEESt5tupleIJNSH_6TensorESO_SO_EERKSO_lbbbEUlllE0_EEPmJS6_EEE10hipError_tPvRmT3_T4_T5_T6_T7_T9_mT8_P12ihipStream_tbDpT10_ENKUlT_T0_E_clISt17integral_constantIbLb0EES1E_EEDaS19_S1A_EUlS19_E_NS1_11comp_targetILNS1_3genE9ELNS1_11target_archE1100ELNS1_3gpuE3ELNS1_3repE0EEENS1_30default_config_static_selectorELNS0_4arch9wavefront6targetE0EEEvT1_, .Lfunc_end1303-_ZN7rocprim17ROCPRIM_400000_NS6detail17trampoline_kernelINS0_14default_configENS1_25partition_config_selectorILNS1_17partition_subalgoE8ElNS0_10empty_typeEbEEZZNS1_14partition_implILS5_8ELb0ES3_jPlPS6_PKS6_NS0_5tupleIJS9_S6_EEENSD_IJSA_SA_EEENS0_18inequality_wrapperIZN2at6native12_GLOBAL__N_124unique_dim_cuda_templateIN3c104HalfEEESt5tupleIJNSH_6TensorESO_SO_EERKSO_lbbbEUlllE0_EEPmJS6_EEE10hipError_tPvRmT3_T4_T5_T6_T7_T9_mT8_P12ihipStream_tbDpT10_ENKUlT_T0_E_clISt17integral_constantIbLb0EES1E_EEDaS19_S1A_EUlS19_E_NS1_11comp_targetILNS1_3genE9ELNS1_11target_archE1100ELNS1_3gpuE3ELNS1_3repE0EEENS1_30default_config_static_selectorELNS0_4arch9wavefront6targetE0EEEvT1_
                                        ; -- End function
	.set _ZN7rocprim17ROCPRIM_400000_NS6detail17trampoline_kernelINS0_14default_configENS1_25partition_config_selectorILNS1_17partition_subalgoE8ElNS0_10empty_typeEbEEZZNS1_14partition_implILS5_8ELb0ES3_jPlPS6_PKS6_NS0_5tupleIJS9_S6_EEENSD_IJSA_SA_EEENS0_18inequality_wrapperIZN2at6native12_GLOBAL__N_124unique_dim_cuda_templateIN3c104HalfEEESt5tupleIJNSH_6TensorESO_SO_EERKSO_lbbbEUlllE0_EEPmJS6_EEE10hipError_tPvRmT3_T4_T5_T6_T7_T9_mT8_P12ihipStream_tbDpT10_ENKUlT_T0_E_clISt17integral_constantIbLb0EES1E_EEDaS19_S1A_EUlS19_E_NS1_11comp_targetILNS1_3genE9ELNS1_11target_archE1100ELNS1_3gpuE3ELNS1_3repE0EEENS1_30default_config_static_selectorELNS0_4arch9wavefront6targetE0EEEvT1_.num_vgpr, 0
	.set _ZN7rocprim17ROCPRIM_400000_NS6detail17trampoline_kernelINS0_14default_configENS1_25partition_config_selectorILNS1_17partition_subalgoE8ElNS0_10empty_typeEbEEZZNS1_14partition_implILS5_8ELb0ES3_jPlPS6_PKS6_NS0_5tupleIJS9_S6_EEENSD_IJSA_SA_EEENS0_18inequality_wrapperIZN2at6native12_GLOBAL__N_124unique_dim_cuda_templateIN3c104HalfEEESt5tupleIJNSH_6TensorESO_SO_EERKSO_lbbbEUlllE0_EEPmJS6_EEE10hipError_tPvRmT3_T4_T5_T6_T7_T9_mT8_P12ihipStream_tbDpT10_ENKUlT_T0_E_clISt17integral_constantIbLb0EES1E_EEDaS19_S1A_EUlS19_E_NS1_11comp_targetILNS1_3genE9ELNS1_11target_archE1100ELNS1_3gpuE3ELNS1_3repE0EEENS1_30default_config_static_selectorELNS0_4arch9wavefront6targetE0EEEvT1_.num_agpr, 0
	.set _ZN7rocprim17ROCPRIM_400000_NS6detail17trampoline_kernelINS0_14default_configENS1_25partition_config_selectorILNS1_17partition_subalgoE8ElNS0_10empty_typeEbEEZZNS1_14partition_implILS5_8ELb0ES3_jPlPS6_PKS6_NS0_5tupleIJS9_S6_EEENSD_IJSA_SA_EEENS0_18inequality_wrapperIZN2at6native12_GLOBAL__N_124unique_dim_cuda_templateIN3c104HalfEEESt5tupleIJNSH_6TensorESO_SO_EERKSO_lbbbEUlllE0_EEPmJS6_EEE10hipError_tPvRmT3_T4_T5_T6_T7_T9_mT8_P12ihipStream_tbDpT10_ENKUlT_T0_E_clISt17integral_constantIbLb0EES1E_EEDaS19_S1A_EUlS19_E_NS1_11comp_targetILNS1_3genE9ELNS1_11target_archE1100ELNS1_3gpuE3ELNS1_3repE0EEENS1_30default_config_static_selectorELNS0_4arch9wavefront6targetE0EEEvT1_.numbered_sgpr, 0
	.set _ZN7rocprim17ROCPRIM_400000_NS6detail17trampoline_kernelINS0_14default_configENS1_25partition_config_selectorILNS1_17partition_subalgoE8ElNS0_10empty_typeEbEEZZNS1_14partition_implILS5_8ELb0ES3_jPlPS6_PKS6_NS0_5tupleIJS9_S6_EEENSD_IJSA_SA_EEENS0_18inequality_wrapperIZN2at6native12_GLOBAL__N_124unique_dim_cuda_templateIN3c104HalfEEESt5tupleIJNSH_6TensorESO_SO_EERKSO_lbbbEUlllE0_EEPmJS6_EEE10hipError_tPvRmT3_T4_T5_T6_T7_T9_mT8_P12ihipStream_tbDpT10_ENKUlT_T0_E_clISt17integral_constantIbLb0EES1E_EEDaS19_S1A_EUlS19_E_NS1_11comp_targetILNS1_3genE9ELNS1_11target_archE1100ELNS1_3gpuE3ELNS1_3repE0EEENS1_30default_config_static_selectorELNS0_4arch9wavefront6targetE0EEEvT1_.num_named_barrier, 0
	.set _ZN7rocprim17ROCPRIM_400000_NS6detail17trampoline_kernelINS0_14default_configENS1_25partition_config_selectorILNS1_17partition_subalgoE8ElNS0_10empty_typeEbEEZZNS1_14partition_implILS5_8ELb0ES3_jPlPS6_PKS6_NS0_5tupleIJS9_S6_EEENSD_IJSA_SA_EEENS0_18inequality_wrapperIZN2at6native12_GLOBAL__N_124unique_dim_cuda_templateIN3c104HalfEEESt5tupleIJNSH_6TensorESO_SO_EERKSO_lbbbEUlllE0_EEPmJS6_EEE10hipError_tPvRmT3_T4_T5_T6_T7_T9_mT8_P12ihipStream_tbDpT10_ENKUlT_T0_E_clISt17integral_constantIbLb0EES1E_EEDaS19_S1A_EUlS19_E_NS1_11comp_targetILNS1_3genE9ELNS1_11target_archE1100ELNS1_3gpuE3ELNS1_3repE0EEENS1_30default_config_static_selectorELNS0_4arch9wavefront6targetE0EEEvT1_.private_seg_size, 0
	.set _ZN7rocprim17ROCPRIM_400000_NS6detail17trampoline_kernelINS0_14default_configENS1_25partition_config_selectorILNS1_17partition_subalgoE8ElNS0_10empty_typeEbEEZZNS1_14partition_implILS5_8ELb0ES3_jPlPS6_PKS6_NS0_5tupleIJS9_S6_EEENSD_IJSA_SA_EEENS0_18inequality_wrapperIZN2at6native12_GLOBAL__N_124unique_dim_cuda_templateIN3c104HalfEEESt5tupleIJNSH_6TensorESO_SO_EERKSO_lbbbEUlllE0_EEPmJS6_EEE10hipError_tPvRmT3_T4_T5_T6_T7_T9_mT8_P12ihipStream_tbDpT10_ENKUlT_T0_E_clISt17integral_constantIbLb0EES1E_EEDaS19_S1A_EUlS19_E_NS1_11comp_targetILNS1_3genE9ELNS1_11target_archE1100ELNS1_3gpuE3ELNS1_3repE0EEENS1_30default_config_static_selectorELNS0_4arch9wavefront6targetE0EEEvT1_.uses_vcc, 0
	.set _ZN7rocprim17ROCPRIM_400000_NS6detail17trampoline_kernelINS0_14default_configENS1_25partition_config_selectorILNS1_17partition_subalgoE8ElNS0_10empty_typeEbEEZZNS1_14partition_implILS5_8ELb0ES3_jPlPS6_PKS6_NS0_5tupleIJS9_S6_EEENSD_IJSA_SA_EEENS0_18inequality_wrapperIZN2at6native12_GLOBAL__N_124unique_dim_cuda_templateIN3c104HalfEEESt5tupleIJNSH_6TensorESO_SO_EERKSO_lbbbEUlllE0_EEPmJS6_EEE10hipError_tPvRmT3_T4_T5_T6_T7_T9_mT8_P12ihipStream_tbDpT10_ENKUlT_T0_E_clISt17integral_constantIbLb0EES1E_EEDaS19_S1A_EUlS19_E_NS1_11comp_targetILNS1_3genE9ELNS1_11target_archE1100ELNS1_3gpuE3ELNS1_3repE0EEENS1_30default_config_static_selectorELNS0_4arch9wavefront6targetE0EEEvT1_.uses_flat_scratch, 0
	.set _ZN7rocprim17ROCPRIM_400000_NS6detail17trampoline_kernelINS0_14default_configENS1_25partition_config_selectorILNS1_17partition_subalgoE8ElNS0_10empty_typeEbEEZZNS1_14partition_implILS5_8ELb0ES3_jPlPS6_PKS6_NS0_5tupleIJS9_S6_EEENSD_IJSA_SA_EEENS0_18inequality_wrapperIZN2at6native12_GLOBAL__N_124unique_dim_cuda_templateIN3c104HalfEEESt5tupleIJNSH_6TensorESO_SO_EERKSO_lbbbEUlllE0_EEPmJS6_EEE10hipError_tPvRmT3_T4_T5_T6_T7_T9_mT8_P12ihipStream_tbDpT10_ENKUlT_T0_E_clISt17integral_constantIbLb0EES1E_EEDaS19_S1A_EUlS19_E_NS1_11comp_targetILNS1_3genE9ELNS1_11target_archE1100ELNS1_3gpuE3ELNS1_3repE0EEENS1_30default_config_static_selectorELNS0_4arch9wavefront6targetE0EEEvT1_.has_dyn_sized_stack, 0
	.set _ZN7rocprim17ROCPRIM_400000_NS6detail17trampoline_kernelINS0_14default_configENS1_25partition_config_selectorILNS1_17partition_subalgoE8ElNS0_10empty_typeEbEEZZNS1_14partition_implILS5_8ELb0ES3_jPlPS6_PKS6_NS0_5tupleIJS9_S6_EEENSD_IJSA_SA_EEENS0_18inequality_wrapperIZN2at6native12_GLOBAL__N_124unique_dim_cuda_templateIN3c104HalfEEESt5tupleIJNSH_6TensorESO_SO_EERKSO_lbbbEUlllE0_EEPmJS6_EEE10hipError_tPvRmT3_T4_T5_T6_T7_T9_mT8_P12ihipStream_tbDpT10_ENKUlT_T0_E_clISt17integral_constantIbLb0EES1E_EEDaS19_S1A_EUlS19_E_NS1_11comp_targetILNS1_3genE9ELNS1_11target_archE1100ELNS1_3gpuE3ELNS1_3repE0EEENS1_30default_config_static_selectorELNS0_4arch9wavefront6targetE0EEEvT1_.has_recursion, 0
	.set _ZN7rocprim17ROCPRIM_400000_NS6detail17trampoline_kernelINS0_14default_configENS1_25partition_config_selectorILNS1_17partition_subalgoE8ElNS0_10empty_typeEbEEZZNS1_14partition_implILS5_8ELb0ES3_jPlPS6_PKS6_NS0_5tupleIJS9_S6_EEENSD_IJSA_SA_EEENS0_18inequality_wrapperIZN2at6native12_GLOBAL__N_124unique_dim_cuda_templateIN3c104HalfEEESt5tupleIJNSH_6TensorESO_SO_EERKSO_lbbbEUlllE0_EEPmJS6_EEE10hipError_tPvRmT3_T4_T5_T6_T7_T9_mT8_P12ihipStream_tbDpT10_ENKUlT_T0_E_clISt17integral_constantIbLb0EES1E_EEDaS19_S1A_EUlS19_E_NS1_11comp_targetILNS1_3genE9ELNS1_11target_archE1100ELNS1_3gpuE3ELNS1_3repE0EEENS1_30default_config_static_selectorELNS0_4arch9wavefront6targetE0EEEvT1_.has_indirect_call, 0
	.section	.AMDGPU.csdata,"",@progbits
; Kernel info:
; codeLenInByte = 0
; TotalNumSgprs: 0
; NumVgprs: 0
; ScratchSize: 0
; MemoryBound: 0
; FloatMode: 240
; IeeeMode: 1
; LDSByteSize: 0 bytes/workgroup (compile time only)
; SGPRBlocks: 0
; VGPRBlocks: 0
; NumSGPRsForWavesPerEU: 1
; NumVGPRsForWavesPerEU: 1
; NamedBarCnt: 0
; Occupancy: 16
; WaveLimiterHint : 0
; COMPUTE_PGM_RSRC2:SCRATCH_EN: 0
; COMPUTE_PGM_RSRC2:USER_SGPR: 2
; COMPUTE_PGM_RSRC2:TRAP_HANDLER: 0
; COMPUTE_PGM_RSRC2:TGID_X_EN: 1
; COMPUTE_PGM_RSRC2:TGID_Y_EN: 0
; COMPUTE_PGM_RSRC2:TGID_Z_EN: 0
; COMPUTE_PGM_RSRC2:TIDIG_COMP_CNT: 0
	.section	.text._ZN7rocprim17ROCPRIM_400000_NS6detail17trampoline_kernelINS0_14default_configENS1_25partition_config_selectorILNS1_17partition_subalgoE8ElNS0_10empty_typeEbEEZZNS1_14partition_implILS5_8ELb0ES3_jPlPS6_PKS6_NS0_5tupleIJS9_S6_EEENSD_IJSA_SA_EEENS0_18inequality_wrapperIZN2at6native12_GLOBAL__N_124unique_dim_cuda_templateIN3c104HalfEEESt5tupleIJNSH_6TensorESO_SO_EERKSO_lbbbEUlllE0_EEPmJS6_EEE10hipError_tPvRmT3_T4_T5_T6_T7_T9_mT8_P12ihipStream_tbDpT10_ENKUlT_T0_E_clISt17integral_constantIbLb0EES1E_EEDaS19_S1A_EUlS19_E_NS1_11comp_targetILNS1_3genE8ELNS1_11target_archE1030ELNS1_3gpuE2ELNS1_3repE0EEENS1_30default_config_static_selectorELNS0_4arch9wavefront6targetE0EEEvT1_,"axG",@progbits,_ZN7rocprim17ROCPRIM_400000_NS6detail17trampoline_kernelINS0_14default_configENS1_25partition_config_selectorILNS1_17partition_subalgoE8ElNS0_10empty_typeEbEEZZNS1_14partition_implILS5_8ELb0ES3_jPlPS6_PKS6_NS0_5tupleIJS9_S6_EEENSD_IJSA_SA_EEENS0_18inequality_wrapperIZN2at6native12_GLOBAL__N_124unique_dim_cuda_templateIN3c104HalfEEESt5tupleIJNSH_6TensorESO_SO_EERKSO_lbbbEUlllE0_EEPmJS6_EEE10hipError_tPvRmT3_T4_T5_T6_T7_T9_mT8_P12ihipStream_tbDpT10_ENKUlT_T0_E_clISt17integral_constantIbLb0EES1E_EEDaS19_S1A_EUlS19_E_NS1_11comp_targetILNS1_3genE8ELNS1_11target_archE1030ELNS1_3gpuE2ELNS1_3repE0EEENS1_30default_config_static_selectorELNS0_4arch9wavefront6targetE0EEEvT1_,comdat
	.globl	_ZN7rocprim17ROCPRIM_400000_NS6detail17trampoline_kernelINS0_14default_configENS1_25partition_config_selectorILNS1_17partition_subalgoE8ElNS0_10empty_typeEbEEZZNS1_14partition_implILS5_8ELb0ES3_jPlPS6_PKS6_NS0_5tupleIJS9_S6_EEENSD_IJSA_SA_EEENS0_18inequality_wrapperIZN2at6native12_GLOBAL__N_124unique_dim_cuda_templateIN3c104HalfEEESt5tupleIJNSH_6TensorESO_SO_EERKSO_lbbbEUlllE0_EEPmJS6_EEE10hipError_tPvRmT3_T4_T5_T6_T7_T9_mT8_P12ihipStream_tbDpT10_ENKUlT_T0_E_clISt17integral_constantIbLb0EES1E_EEDaS19_S1A_EUlS19_E_NS1_11comp_targetILNS1_3genE8ELNS1_11target_archE1030ELNS1_3gpuE2ELNS1_3repE0EEENS1_30default_config_static_selectorELNS0_4arch9wavefront6targetE0EEEvT1_ ; -- Begin function _ZN7rocprim17ROCPRIM_400000_NS6detail17trampoline_kernelINS0_14default_configENS1_25partition_config_selectorILNS1_17partition_subalgoE8ElNS0_10empty_typeEbEEZZNS1_14partition_implILS5_8ELb0ES3_jPlPS6_PKS6_NS0_5tupleIJS9_S6_EEENSD_IJSA_SA_EEENS0_18inequality_wrapperIZN2at6native12_GLOBAL__N_124unique_dim_cuda_templateIN3c104HalfEEESt5tupleIJNSH_6TensorESO_SO_EERKSO_lbbbEUlllE0_EEPmJS6_EEE10hipError_tPvRmT3_T4_T5_T6_T7_T9_mT8_P12ihipStream_tbDpT10_ENKUlT_T0_E_clISt17integral_constantIbLb0EES1E_EEDaS19_S1A_EUlS19_E_NS1_11comp_targetILNS1_3genE8ELNS1_11target_archE1030ELNS1_3gpuE2ELNS1_3repE0EEENS1_30default_config_static_selectorELNS0_4arch9wavefront6targetE0EEEvT1_
	.p2align	8
	.type	_ZN7rocprim17ROCPRIM_400000_NS6detail17trampoline_kernelINS0_14default_configENS1_25partition_config_selectorILNS1_17partition_subalgoE8ElNS0_10empty_typeEbEEZZNS1_14partition_implILS5_8ELb0ES3_jPlPS6_PKS6_NS0_5tupleIJS9_S6_EEENSD_IJSA_SA_EEENS0_18inequality_wrapperIZN2at6native12_GLOBAL__N_124unique_dim_cuda_templateIN3c104HalfEEESt5tupleIJNSH_6TensorESO_SO_EERKSO_lbbbEUlllE0_EEPmJS6_EEE10hipError_tPvRmT3_T4_T5_T6_T7_T9_mT8_P12ihipStream_tbDpT10_ENKUlT_T0_E_clISt17integral_constantIbLb0EES1E_EEDaS19_S1A_EUlS19_E_NS1_11comp_targetILNS1_3genE8ELNS1_11target_archE1030ELNS1_3gpuE2ELNS1_3repE0EEENS1_30default_config_static_selectorELNS0_4arch9wavefront6targetE0EEEvT1_,@function
_ZN7rocprim17ROCPRIM_400000_NS6detail17trampoline_kernelINS0_14default_configENS1_25partition_config_selectorILNS1_17partition_subalgoE8ElNS0_10empty_typeEbEEZZNS1_14partition_implILS5_8ELb0ES3_jPlPS6_PKS6_NS0_5tupleIJS9_S6_EEENSD_IJSA_SA_EEENS0_18inequality_wrapperIZN2at6native12_GLOBAL__N_124unique_dim_cuda_templateIN3c104HalfEEESt5tupleIJNSH_6TensorESO_SO_EERKSO_lbbbEUlllE0_EEPmJS6_EEE10hipError_tPvRmT3_T4_T5_T6_T7_T9_mT8_P12ihipStream_tbDpT10_ENKUlT_T0_E_clISt17integral_constantIbLb0EES1E_EEDaS19_S1A_EUlS19_E_NS1_11comp_targetILNS1_3genE8ELNS1_11target_archE1030ELNS1_3gpuE2ELNS1_3repE0EEENS1_30default_config_static_selectorELNS0_4arch9wavefront6targetE0EEEvT1_: ; @_ZN7rocprim17ROCPRIM_400000_NS6detail17trampoline_kernelINS0_14default_configENS1_25partition_config_selectorILNS1_17partition_subalgoE8ElNS0_10empty_typeEbEEZZNS1_14partition_implILS5_8ELb0ES3_jPlPS6_PKS6_NS0_5tupleIJS9_S6_EEENSD_IJSA_SA_EEENS0_18inequality_wrapperIZN2at6native12_GLOBAL__N_124unique_dim_cuda_templateIN3c104HalfEEESt5tupleIJNSH_6TensorESO_SO_EERKSO_lbbbEUlllE0_EEPmJS6_EEE10hipError_tPvRmT3_T4_T5_T6_T7_T9_mT8_P12ihipStream_tbDpT10_ENKUlT_T0_E_clISt17integral_constantIbLb0EES1E_EEDaS19_S1A_EUlS19_E_NS1_11comp_targetILNS1_3genE8ELNS1_11target_archE1030ELNS1_3gpuE2ELNS1_3repE0EEENS1_30default_config_static_selectorELNS0_4arch9wavefront6targetE0EEEvT1_
; %bb.0:
	.section	.rodata,"a",@progbits
	.p2align	6, 0x0
	.amdhsa_kernel _ZN7rocprim17ROCPRIM_400000_NS6detail17trampoline_kernelINS0_14default_configENS1_25partition_config_selectorILNS1_17partition_subalgoE8ElNS0_10empty_typeEbEEZZNS1_14partition_implILS5_8ELb0ES3_jPlPS6_PKS6_NS0_5tupleIJS9_S6_EEENSD_IJSA_SA_EEENS0_18inequality_wrapperIZN2at6native12_GLOBAL__N_124unique_dim_cuda_templateIN3c104HalfEEESt5tupleIJNSH_6TensorESO_SO_EERKSO_lbbbEUlllE0_EEPmJS6_EEE10hipError_tPvRmT3_T4_T5_T6_T7_T9_mT8_P12ihipStream_tbDpT10_ENKUlT_T0_E_clISt17integral_constantIbLb0EES1E_EEDaS19_S1A_EUlS19_E_NS1_11comp_targetILNS1_3genE8ELNS1_11target_archE1030ELNS1_3gpuE2ELNS1_3repE0EEENS1_30default_config_static_selectorELNS0_4arch9wavefront6targetE0EEEvT1_
		.amdhsa_group_segment_fixed_size 0
		.amdhsa_private_segment_fixed_size 0
		.amdhsa_kernarg_size 120
		.amdhsa_user_sgpr_count 2
		.amdhsa_user_sgpr_dispatch_ptr 0
		.amdhsa_user_sgpr_queue_ptr 0
		.amdhsa_user_sgpr_kernarg_segment_ptr 1
		.amdhsa_user_sgpr_dispatch_id 0
		.amdhsa_user_sgpr_kernarg_preload_length 0
		.amdhsa_user_sgpr_kernarg_preload_offset 0
		.amdhsa_user_sgpr_private_segment_size 0
		.amdhsa_wavefront_size32 1
		.amdhsa_uses_dynamic_stack 0
		.amdhsa_enable_private_segment 0
		.amdhsa_system_sgpr_workgroup_id_x 1
		.amdhsa_system_sgpr_workgroup_id_y 0
		.amdhsa_system_sgpr_workgroup_id_z 0
		.amdhsa_system_sgpr_workgroup_info 0
		.amdhsa_system_vgpr_workitem_id 0
		.amdhsa_next_free_vgpr 1
		.amdhsa_next_free_sgpr 1
		.amdhsa_named_barrier_count 0
		.amdhsa_reserve_vcc 0
		.amdhsa_float_round_mode_32 0
		.amdhsa_float_round_mode_16_64 0
		.amdhsa_float_denorm_mode_32 3
		.amdhsa_float_denorm_mode_16_64 3
		.amdhsa_fp16_overflow 0
		.amdhsa_memory_ordered 1
		.amdhsa_forward_progress 1
		.amdhsa_inst_pref_size 0
		.amdhsa_round_robin_scheduling 0
		.amdhsa_exception_fp_ieee_invalid_op 0
		.amdhsa_exception_fp_denorm_src 0
		.amdhsa_exception_fp_ieee_div_zero 0
		.amdhsa_exception_fp_ieee_overflow 0
		.amdhsa_exception_fp_ieee_underflow 0
		.amdhsa_exception_fp_ieee_inexact 0
		.amdhsa_exception_int_div_zero 0
	.end_amdhsa_kernel
	.section	.text._ZN7rocprim17ROCPRIM_400000_NS6detail17trampoline_kernelINS0_14default_configENS1_25partition_config_selectorILNS1_17partition_subalgoE8ElNS0_10empty_typeEbEEZZNS1_14partition_implILS5_8ELb0ES3_jPlPS6_PKS6_NS0_5tupleIJS9_S6_EEENSD_IJSA_SA_EEENS0_18inequality_wrapperIZN2at6native12_GLOBAL__N_124unique_dim_cuda_templateIN3c104HalfEEESt5tupleIJNSH_6TensorESO_SO_EERKSO_lbbbEUlllE0_EEPmJS6_EEE10hipError_tPvRmT3_T4_T5_T6_T7_T9_mT8_P12ihipStream_tbDpT10_ENKUlT_T0_E_clISt17integral_constantIbLb0EES1E_EEDaS19_S1A_EUlS19_E_NS1_11comp_targetILNS1_3genE8ELNS1_11target_archE1030ELNS1_3gpuE2ELNS1_3repE0EEENS1_30default_config_static_selectorELNS0_4arch9wavefront6targetE0EEEvT1_,"axG",@progbits,_ZN7rocprim17ROCPRIM_400000_NS6detail17trampoline_kernelINS0_14default_configENS1_25partition_config_selectorILNS1_17partition_subalgoE8ElNS0_10empty_typeEbEEZZNS1_14partition_implILS5_8ELb0ES3_jPlPS6_PKS6_NS0_5tupleIJS9_S6_EEENSD_IJSA_SA_EEENS0_18inequality_wrapperIZN2at6native12_GLOBAL__N_124unique_dim_cuda_templateIN3c104HalfEEESt5tupleIJNSH_6TensorESO_SO_EERKSO_lbbbEUlllE0_EEPmJS6_EEE10hipError_tPvRmT3_T4_T5_T6_T7_T9_mT8_P12ihipStream_tbDpT10_ENKUlT_T0_E_clISt17integral_constantIbLb0EES1E_EEDaS19_S1A_EUlS19_E_NS1_11comp_targetILNS1_3genE8ELNS1_11target_archE1030ELNS1_3gpuE2ELNS1_3repE0EEENS1_30default_config_static_selectorELNS0_4arch9wavefront6targetE0EEEvT1_,comdat
.Lfunc_end1304:
	.size	_ZN7rocprim17ROCPRIM_400000_NS6detail17trampoline_kernelINS0_14default_configENS1_25partition_config_selectorILNS1_17partition_subalgoE8ElNS0_10empty_typeEbEEZZNS1_14partition_implILS5_8ELb0ES3_jPlPS6_PKS6_NS0_5tupleIJS9_S6_EEENSD_IJSA_SA_EEENS0_18inequality_wrapperIZN2at6native12_GLOBAL__N_124unique_dim_cuda_templateIN3c104HalfEEESt5tupleIJNSH_6TensorESO_SO_EERKSO_lbbbEUlllE0_EEPmJS6_EEE10hipError_tPvRmT3_T4_T5_T6_T7_T9_mT8_P12ihipStream_tbDpT10_ENKUlT_T0_E_clISt17integral_constantIbLb0EES1E_EEDaS19_S1A_EUlS19_E_NS1_11comp_targetILNS1_3genE8ELNS1_11target_archE1030ELNS1_3gpuE2ELNS1_3repE0EEENS1_30default_config_static_selectorELNS0_4arch9wavefront6targetE0EEEvT1_, .Lfunc_end1304-_ZN7rocprim17ROCPRIM_400000_NS6detail17trampoline_kernelINS0_14default_configENS1_25partition_config_selectorILNS1_17partition_subalgoE8ElNS0_10empty_typeEbEEZZNS1_14partition_implILS5_8ELb0ES3_jPlPS6_PKS6_NS0_5tupleIJS9_S6_EEENSD_IJSA_SA_EEENS0_18inequality_wrapperIZN2at6native12_GLOBAL__N_124unique_dim_cuda_templateIN3c104HalfEEESt5tupleIJNSH_6TensorESO_SO_EERKSO_lbbbEUlllE0_EEPmJS6_EEE10hipError_tPvRmT3_T4_T5_T6_T7_T9_mT8_P12ihipStream_tbDpT10_ENKUlT_T0_E_clISt17integral_constantIbLb0EES1E_EEDaS19_S1A_EUlS19_E_NS1_11comp_targetILNS1_3genE8ELNS1_11target_archE1030ELNS1_3gpuE2ELNS1_3repE0EEENS1_30default_config_static_selectorELNS0_4arch9wavefront6targetE0EEEvT1_
                                        ; -- End function
	.set _ZN7rocprim17ROCPRIM_400000_NS6detail17trampoline_kernelINS0_14default_configENS1_25partition_config_selectorILNS1_17partition_subalgoE8ElNS0_10empty_typeEbEEZZNS1_14partition_implILS5_8ELb0ES3_jPlPS6_PKS6_NS0_5tupleIJS9_S6_EEENSD_IJSA_SA_EEENS0_18inequality_wrapperIZN2at6native12_GLOBAL__N_124unique_dim_cuda_templateIN3c104HalfEEESt5tupleIJNSH_6TensorESO_SO_EERKSO_lbbbEUlllE0_EEPmJS6_EEE10hipError_tPvRmT3_T4_T5_T6_T7_T9_mT8_P12ihipStream_tbDpT10_ENKUlT_T0_E_clISt17integral_constantIbLb0EES1E_EEDaS19_S1A_EUlS19_E_NS1_11comp_targetILNS1_3genE8ELNS1_11target_archE1030ELNS1_3gpuE2ELNS1_3repE0EEENS1_30default_config_static_selectorELNS0_4arch9wavefront6targetE0EEEvT1_.num_vgpr, 0
	.set _ZN7rocprim17ROCPRIM_400000_NS6detail17trampoline_kernelINS0_14default_configENS1_25partition_config_selectorILNS1_17partition_subalgoE8ElNS0_10empty_typeEbEEZZNS1_14partition_implILS5_8ELb0ES3_jPlPS6_PKS6_NS0_5tupleIJS9_S6_EEENSD_IJSA_SA_EEENS0_18inequality_wrapperIZN2at6native12_GLOBAL__N_124unique_dim_cuda_templateIN3c104HalfEEESt5tupleIJNSH_6TensorESO_SO_EERKSO_lbbbEUlllE0_EEPmJS6_EEE10hipError_tPvRmT3_T4_T5_T6_T7_T9_mT8_P12ihipStream_tbDpT10_ENKUlT_T0_E_clISt17integral_constantIbLb0EES1E_EEDaS19_S1A_EUlS19_E_NS1_11comp_targetILNS1_3genE8ELNS1_11target_archE1030ELNS1_3gpuE2ELNS1_3repE0EEENS1_30default_config_static_selectorELNS0_4arch9wavefront6targetE0EEEvT1_.num_agpr, 0
	.set _ZN7rocprim17ROCPRIM_400000_NS6detail17trampoline_kernelINS0_14default_configENS1_25partition_config_selectorILNS1_17partition_subalgoE8ElNS0_10empty_typeEbEEZZNS1_14partition_implILS5_8ELb0ES3_jPlPS6_PKS6_NS0_5tupleIJS9_S6_EEENSD_IJSA_SA_EEENS0_18inequality_wrapperIZN2at6native12_GLOBAL__N_124unique_dim_cuda_templateIN3c104HalfEEESt5tupleIJNSH_6TensorESO_SO_EERKSO_lbbbEUlllE0_EEPmJS6_EEE10hipError_tPvRmT3_T4_T5_T6_T7_T9_mT8_P12ihipStream_tbDpT10_ENKUlT_T0_E_clISt17integral_constantIbLb0EES1E_EEDaS19_S1A_EUlS19_E_NS1_11comp_targetILNS1_3genE8ELNS1_11target_archE1030ELNS1_3gpuE2ELNS1_3repE0EEENS1_30default_config_static_selectorELNS0_4arch9wavefront6targetE0EEEvT1_.numbered_sgpr, 0
	.set _ZN7rocprim17ROCPRIM_400000_NS6detail17trampoline_kernelINS0_14default_configENS1_25partition_config_selectorILNS1_17partition_subalgoE8ElNS0_10empty_typeEbEEZZNS1_14partition_implILS5_8ELb0ES3_jPlPS6_PKS6_NS0_5tupleIJS9_S6_EEENSD_IJSA_SA_EEENS0_18inequality_wrapperIZN2at6native12_GLOBAL__N_124unique_dim_cuda_templateIN3c104HalfEEESt5tupleIJNSH_6TensorESO_SO_EERKSO_lbbbEUlllE0_EEPmJS6_EEE10hipError_tPvRmT3_T4_T5_T6_T7_T9_mT8_P12ihipStream_tbDpT10_ENKUlT_T0_E_clISt17integral_constantIbLb0EES1E_EEDaS19_S1A_EUlS19_E_NS1_11comp_targetILNS1_3genE8ELNS1_11target_archE1030ELNS1_3gpuE2ELNS1_3repE0EEENS1_30default_config_static_selectorELNS0_4arch9wavefront6targetE0EEEvT1_.num_named_barrier, 0
	.set _ZN7rocprim17ROCPRIM_400000_NS6detail17trampoline_kernelINS0_14default_configENS1_25partition_config_selectorILNS1_17partition_subalgoE8ElNS0_10empty_typeEbEEZZNS1_14partition_implILS5_8ELb0ES3_jPlPS6_PKS6_NS0_5tupleIJS9_S6_EEENSD_IJSA_SA_EEENS0_18inequality_wrapperIZN2at6native12_GLOBAL__N_124unique_dim_cuda_templateIN3c104HalfEEESt5tupleIJNSH_6TensorESO_SO_EERKSO_lbbbEUlllE0_EEPmJS6_EEE10hipError_tPvRmT3_T4_T5_T6_T7_T9_mT8_P12ihipStream_tbDpT10_ENKUlT_T0_E_clISt17integral_constantIbLb0EES1E_EEDaS19_S1A_EUlS19_E_NS1_11comp_targetILNS1_3genE8ELNS1_11target_archE1030ELNS1_3gpuE2ELNS1_3repE0EEENS1_30default_config_static_selectorELNS0_4arch9wavefront6targetE0EEEvT1_.private_seg_size, 0
	.set _ZN7rocprim17ROCPRIM_400000_NS6detail17trampoline_kernelINS0_14default_configENS1_25partition_config_selectorILNS1_17partition_subalgoE8ElNS0_10empty_typeEbEEZZNS1_14partition_implILS5_8ELb0ES3_jPlPS6_PKS6_NS0_5tupleIJS9_S6_EEENSD_IJSA_SA_EEENS0_18inequality_wrapperIZN2at6native12_GLOBAL__N_124unique_dim_cuda_templateIN3c104HalfEEESt5tupleIJNSH_6TensorESO_SO_EERKSO_lbbbEUlllE0_EEPmJS6_EEE10hipError_tPvRmT3_T4_T5_T6_T7_T9_mT8_P12ihipStream_tbDpT10_ENKUlT_T0_E_clISt17integral_constantIbLb0EES1E_EEDaS19_S1A_EUlS19_E_NS1_11comp_targetILNS1_3genE8ELNS1_11target_archE1030ELNS1_3gpuE2ELNS1_3repE0EEENS1_30default_config_static_selectorELNS0_4arch9wavefront6targetE0EEEvT1_.uses_vcc, 0
	.set _ZN7rocprim17ROCPRIM_400000_NS6detail17trampoline_kernelINS0_14default_configENS1_25partition_config_selectorILNS1_17partition_subalgoE8ElNS0_10empty_typeEbEEZZNS1_14partition_implILS5_8ELb0ES3_jPlPS6_PKS6_NS0_5tupleIJS9_S6_EEENSD_IJSA_SA_EEENS0_18inequality_wrapperIZN2at6native12_GLOBAL__N_124unique_dim_cuda_templateIN3c104HalfEEESt5tupleIJNSH_6TensorESO_SO_EERKSO_lbbbEUlllE0_EEPmJS6_EEE10hipError_tPvRmT3_T4_T5_T6_T7_T9_mT8_P12ihipStream_tbDpT10_ENKUlT_T0_E_clISt17integral_constantIbLb0EES1E_EEDaS19_S1A_EUlS19_E_NS1_11comp_targetILNS1_3genE8ELNS1_11target_archE1030ELNS1_3gpuE2ELNS1_3repE0EEENS1_30default_config_static_selectorELNS0_4arch9wavefront6targetE0EEEvT1_.uses_flat_scratch, 0
	.set _ZN7rocprim17ROCPRIM_400000_NS6detail17trampoline_kernelINS0_14default_configENS1_25partition_config_selectorILNS1_17partition_subalgoE8ElNS0_10empty_typeEbEEZZNS1_14partition_implILS5_8ELb0ES3_jPlPS6_PKS6_NS0_5tupleIJS9_S6_EEENSD_IJSA_SA_EEENS0_18inequality_wrapperIZN2at6native12_GLOBAL__N_124unique_dim_cuda_templateIN3c104HalfEEESt5tupleIJNSH_6TensorESO_SO_EERKSO_lbbbEUlllE0_EEPmJS6_EEE10hipError_tPvRmT3_T4_T5_T6_T7_T9_mT8_P12ihipStream_tbDpT10_ENKUlT_T0_E_clISt17integral_constantIbLb0EES1E_EEDaS19_S1A_EUlS19_E_NS1_11comp_targetILNS1_3genE8ELNS1_11target_archE1030ELNS1_3gpuE2ELNS1_3repE0EEENS1_30default_config_static_selectorELNS0_4arch9wavefront6targetE0EEEvT1_.has_dyn_sized_stack, 0
	.set _ZN7rocprim17ROCPRIM_400000_NS6detail17trampoline_kernelINS0_14default_configENS1_25partition_config_selectorILNS1_17partition_subalgoE8ElNS0_10empty_typeEbEEZZNS1_14partition_implILS5_8ELb0ES3_jPlPS6_PKS6_NS0_5tupleIJS9_S6_EEENSD_IJSA_SA_EEENS0_18inequality_wrapperIZN2at6native12_GLOBAL__N_124unique_dim_cuda_templateIN3c104HalfEEESt5tupleIJNSH_6TensorESO_SO_EERKSO_lbbbEUlllE0_EEPmJS6_EEE10hipError_tPvRmT3_T4_T5_T6_T7_T9_mT8_P12ihipStream_tbDpT10_ENKUlT_T0_E_clISt17integral_constantIbLb0EES1E_EEDaS19_S1A_EUlS19_E_NS1_11comp_targetILNS1_3genE8ELNS1_11target_archE1030ELNS1_3gpuE2ELNS1_3repE0EEENS1_30default_config_static_selectorELNS0_4arch9wavefront6targetE0EEEvT1_.has_recursion, 0
	.set _ZN7rocprim17ROCPRIM_400000_NS6detail17trampoline_kernelINS0_14default_configENS1_25partition_config_selectorILNS1_17partition_subalgoE8ElNS0_10empty_typeEbEEZZNS1_14partition_implILS5_8ELb0ES3_jPlPS6_PKS6_NS0_5tupleIJS9_S6_EEENSD_IJSA_SA_EEENS0_18inequality_wrapperIZN2at6native12_GLOBAL__N_124unique_dim_cuda_templateIN3c104HalfEEESt5tupleIJNSH_6TensorESO_SO_EERKSO_lbbbEUlllE0_EEPmJS6_EEE10hipError_tPvRmT3_T4_T5_T6_T7_T9_mT8_P12ihipStream_tbDpT10_ENKUlT_T0_E_clISt17integral_constantIbLb0EES1E_EEDaS19_S1A_EUlS19_E_NS1_11comp_targetILNS1_3genE8ELNS1_11target_archE1030ELNS1_3gpuE2ELNS1_3repE0EEENS1_30default_config_static_selectorELNS0_4arch9wavefront6targetE0EEEvT1_.has_indirect_call, 0
	.section	.AMDGPU.csdata,"",@progbits
; Kernel info:
; codeLenInByte = 0
; TotalNumSgprs: 0
; NumVgprs: 0
; ScratchSize: 0
; MemoryBound: 0
; FloatMode: 240
; IeeeMode: 1
; LDSByteSize: 0 bytes/workgroup (compile time only)
; SGPRBlocks: 0
; VGPRBlocks: 0
; NumSGPRsForWavesPerEU: 1
; NumVGPRsForWavesPerEU: 1
; NamedBarCnt: 0
; Occupancy: 16
; WaveLimiterHint : 0
; COMPUTE_PGM_RSRC2:SCRATCH_EN: 0
; COMPUTE_PGM_RSRC2:USER_SGPR: 2
; COMPUTE_PGM_RSRC2:TRAP_HANDLER: 0
; COMPUTE_PGM_RSRC2:TGID_X_EN: 1
; COMPUTE_PGM_RSRC2:TGID_Y_EN: 0
; COMPUTE_PGM_RSRC2:TGID_Z_EN: 0
; COMPUTE_PGM_RSRC2:TIDIG_COMP_CNT: 0
	.section	.text._ZN7rocprim17ROCPRIM_400000_NS6detail17trampoline_kernelINS0_14default_configENS1_25partition_config_selectorILNS1_17partition_subalgoE8ElNS0_10empty_typeEbEEZZNS1_14partition_implILS5_8ELb0ES3_jPlPS6_PKS6_NS0_5tupleIJS9_S6_EEENSD_IJSA_SA_EEENS0_18inequality_wrapperIZN2at6native12_GLOBAL__N_124unique_dim_cuda_templateIN3c104HalfEEESt5tupleIJNSH_6TensorESO_SO_EERKSO_lbbbEUlllE0_EEPmJS6_EEE10hipError_tPvRmT3_T4_T5_T6_T7_T9_mT8_P12ihipStream_tbDpT10_ENKUlT_T0_E_clISt17integral_constantIbLb1EES1E_EEDaS19_S1A_EUlS19_E_NS1_11comp_targetILNS1_3genE0ELNS1_11target_archE4294967295ELNS1_3gpuE0ELNS1_3repE0EEENS1_30default_config_static_selectorELNS0_4arch9wavefront6targetE0EEEvT1_,"axG",@progbits,_ZN7rocprim17ROCPRIM_400000_NS6detail17trampoline_kernelINS0_14default_configENS1_25partition_config_selectorILNS1_17partition_subalgoE8ElNS0_10empty_typeEbEEZZNS1_14partition_implILS5_8ELb0ES3_jPlPS6_PKS6_NS0_5tupleIJS9_S6_EEENSD_IJSA_SA_EEENS0_18inequality_wrapperIZN2at6native12_GLOBAL__N_124unique_dim_cuda_templateIN3c104HalfEEESt5tupleIJNSH_6TensorESO_SO_EERKSO_lbbbEUlllE0_EEPmJS6_EEE10hipError_tPvRmT3_T4_T5_T6_T7_T9_mT8_P12ihipStream_tbDpT10_ENKUlT_T0_E_clISt17integral_constantIbLb1EES1E_EEDaS19_S1A_EUlS19_E_NS1_11comp_targetILNS1_3genE0ELNS1_11target_archE4294967295ELNS1_3gpuE0ELNS1_3repE0EEENS1_30default_config_static_selectorELNS0_4arch9wavefront6targetE0EEEvT1_,comdat
	.globl	_ZN7rocprim17ROCPRIM_400000_NS6detail17trampoline_kernelINS0_14default_configENS1_25partition_config_selectorILNS1_17partition_subalgoE8ElNS0_10empty_typeEbEEZZNS1_14partition_implILS5_8ELb0ES3_jPlPS6_PKS6_NS0_5tupleIJS9_S6_EEENSD_IJSA_SA_EEENS0_18inequality_wrapperIZN2at6native12_GLOBAL__N_124unique_dim_cuda_templateIN3c104HalfEEESt5tupleIJNSH_6TensorESO_SO_EERKSO_lbbbEUlllE0_EEPmJS6_EEE10hipError_tPvRmT3_T4_T5_T6_T7_T9_mT8_P12ihipStream_tbDpT10_ENKUlT_T0_E_clISt17integral_constantIbLb1EES1E_EEDaS19_S1A_EUlS19_E_NS1_11comp_targetILNS1_3genE0ELNS1_11target_archE4294967295ELNS1_3gpuE0ELNS1_3repE0EEENS1_30default_config_static_selectorELNS0_4arch9wavefront6targetE0EEEvT1_ ; -- Begin function _ZN7rocprim17ROCPRIM_400000_NS6detail17trampoline_kernelINS0_14default_configENS1_25partition_config_selectorILNS1_17partition_subalgoE8ElNS0_10empty_typeEbEEZZNS1_14partition_implILS5_8ELb0ES3_jPlPS6_PKS6_NS0_5tupleIJS9_S6_EEENSD_IJSA_SA_EEENS0_18inequality_wrapperIZN2at6native12_GLOBAL__N_124unique_dim_cuda_templateIN3c104HalfEEESt5tupleIJNSH_6TensorESO_SO_EERKSO_lbbbEUlllE0_EEPmJS6_EEE10hipError_tPvRmT3_T4_T5_T6_T7_T9_mT8_P12ihipStream_tbDpT10_ENKUlT_T0_E_clISt17integral_constantIbLb1EES1E_EEDaS19_S1A_EUlS19_E_NS1_11comp_targetILNS1_3genE0ELNS1_11target_archE4294967295ELNS1_3gpuE0ELNS1_3repE0EEENS1_30default_config_static_selectorELNS0_4arch9wavefront6targetE0EEEvT1_
	.p2align	8
	.type	_ZN7rocprim17ROCPRIM_400000_NS6detail17trampoline_kernelINS0_14default_configENS1_25partition_config_selectorILNS1_17partition_subalgoE8ElNS0_10empty_typeEbEEZZNS1_14partition_implILS5_8ELb0ES3_jPlPS6_PKS6_NS0_5tupleIJS9_S6_EEENSD_IJSA_SA_EEENS0_18inequality_wrapperIZN2at6native12_GLOBAL__N_124unique_dim_cuda_templateIN3c104HalfEEESt5tupleIJNSH_6TensorESO_SO_EERKSO_lbbbEUlllE0_EEPmJS6_EEE10hipError_tPvRmT3_T4_T5_T6_T7_T9_mT8_P12ihipStream_tbDpT10_ENKUlT_T0_E_clISt17integral_constantIbLb1EES1E_EEDaS19_S1A_EUlS19_E_NS1_11comp_targetILNS1_3genE0ELNS1_11target_archE4294967295ELNS1_3gpuE0ELNS1_3repE0EEENS1_30default_config_static_selectorELNS0_4arch9wavefront6targetE0EEEvT1_,@function
_ZN7rocprim17ROCPRIM_400000_NS6detail17trampoline_kernelINS0_14default_configENS1_25partition_config_selectorILNS1_17partition_subalgoE8ElNS0_10empty_typeEbEEZZNS1_14partition_implILS5_8ELb0ES3_jPlPS6_PKS6_NS0_5tupleIJS9_S6_EEENSD_IJSA_SA_EEENS0_18inequality_wrapperIZN2at6native12_GLOBAL__N_124unique_dim_cuda_templateIN3c104HalfEEESt5tupleIJNSH_6TensorESO_SO_EERKSO_lbbbEUlllE0_EEPmJS6_EEE10hipError_tPvRmT3_T4_T5_T6_T7_T9_mT8_P12ihipStream_tbDpT10_ENKUlT_T0_E_clISt17integral_constantIbLb1EES1E_EEDaS19_S1A_EUlS19_E_NS1_11comp_targetILNS1_3genE0ELNS1_11target_archE4294967295ELNS1_3gpuE0ELNS1_3repE0EEENS1_30default_config_static_selectorELNS0_4arch9wavefront6targetE0EEEvT1_: ; @_ZN7rocprim17ROCPRIM_400000_NS6detail17trampoline_kernelINS0_14default_configENS1_25partition_config_selectorILNS1_17partition_subalgoE8ElNS0_10empty_typeEbEEZZNS1_14partition_implILS5_8ELb0ES3_jPlPS6_PKS6_NS0_5tupleIJS9_S6_EEENSD_IJSA_SA_EEENS0_18inequality_wrapperIZN2at6native12_GLOBAL__N_124unique_dim_cuda_templateIN3c104HalfEEESt5tupleIJNSH_6TensorESO_SO_EERKSO_lbbbEUlllE0_EEPmJS6_EEE10hipError_tPvRmT3_T4_T5_T6_T7_T9_mT8_P12ihipStream_tbDpT10_ENKUlT_T0_E_clISt17integral_constantIbLb1EES1E_EEDaS19_S1A_EUlS19_E_NS1_11comp_targetILNS1_3genE0ELNS1_11target_archE4294967295ELNS1_3gpuE0ELNS1_3repE0EEENS1_30default_config_static_selectorELNS0_4arch9wavefront6targetE0EEEvT1_
; %bb.0:
	s_endpgm
	.section	.rodata,"a",@progbits
	.p2align	6, 0x0
	.amdhsa_kernel _ZN7rocprim17ROCPRIM_400000_NS6detail17trampoline_kernelINS0_14default_configENS1_25partition_config_selectorILNS1_17partition_subalgoE8ElNS0_10empty_typeEbEEZZNS1_14partition_implILS5_8ELb0ES3_jPlPS6_PKS6_NS0_5tupleIJS9_S6_EEENSD_IJSA_SA_EEENS0_18inequality_wrapperIZN2at6native12_GLOBAL__N_124unique_dim_cuda_templateIN3c104HalfEEESt5tupleIJNSH_6TensorESO_SO_EERKSO_lbbbEUlllE0_EEPmJS6_EEE10hipError_tPvRmT3_T4_T5_T6_T7_T9_mT8_P12ihipStream_tbDpT10_ENKUlT_T0_E_clISt17integral_constantIbLb1EES1E_EEDaS19_S1A_EUlS19_E_NS1_11comp_targetILNS1_3genE0ELNS1_11target_archE4294967295ELNS1_3gpuE0ELNS1_3repE0EEENS1_30default_config_static_selectorELNS0_4arch9wavefront6targetE0EEEvT1_
		.amdhsa_group_segment_fixed_size 0
		.amdhsa_private_segment_fixed_size 0
		.amdhsa_kernarg_size 136
		.amdhsa_user_sgpr_count 2
		.amdhsa_user_sgpr_dispatch_ptr 0
		.amdhsa_user_sgpr_queue_ptr 0
		.amdhsa_user_sgpr_kernarg_segment_ptr 1
		.amdhsa_user_sgpr_dispatch_id 0
		.amdhsa_user_sgpr_kernarg_preload_length 0
		.amdhsa_user_sgpr_kernarg_preload_offset 0
		.amdhsa_user_sgpr_private_segment_size 0
		.amdhsa_wavefront_size32 1
		.amdhsa_uses_dynamic_stack 0
		.amdhsa_enable_private_segment 0
		.amdhsa_system_sgpr_workgroup_id_x 1
		.amdhsa_system_sgpr_workgroup_id_y 0
		.amdhsa_system_sgpr_workgroup_id_z 0
		.amdhsa_system_sgpr_workgroup_info 0
		.amdhsa_system_vgpr_workitem_id 0
		.amdhsa_next_free_vgpr 1
		.amdhsa_next_free_sgpr 1
		.amdhsa_named_barrier_count 0
		.amdhsa_reserve_vcc 0
		.amdhsa_float_round_mode_32 0
		.amdhsa_float_round_mode_16_64 0
		.amdhsa_float_denorm_mode_32 3
		.amdhsa_float_denorm_mode_16_64 3
		.amdhsa_fp16_overflow 0
		.amdhsa_memory_ordered 1
		.amdhsa_forward_progress 1
		.amdhsa_inst_pref_size 1
		.amdhsa_round_robin_scheduling 0
		.amdhsa_exception_fp_ieee_invalid_op 0
		.amdhsa_exception_fp_denorm_src 0
		.amdhsa_exception_fp_ieee_div_zero 0
		.amdhsa_exception_fp_ieee_overflow 0
		.amdhsa_exception_fp_ieee_underflow 0
		.amdhsa_exception_fp_ieee_inexact 0
		.amdhsa_exception_int_div_zero 0
	.end_amdhsa_kernel
	.section	.text._ZN7rocprim17ROCPRIM_400000_NS6detail17trampoline_kernelINS0_14default_configENS1_25partition_config_selectorILNS1_17partition_subalgoE8ElNS0_10empty_typeEbEEZZNS1_14partition_implILS5_8ELb0ES3_jPlPS6_PKS6_NS0_5tupleIJS9_S6_EEENSD_IJSA_SA_EEENS0_18inequality_wrapperIZN2at6native12_GLOBAL__N_124unique_dim_cuda_templateIN3c104HalfEEESt5tupleIJNSH_6TensorESO_SO_EERKSO_lbbbEUlllE0_EEPmJS6_EEE10hipError_tPvRmT3_T4_T5_T6_T7_T9_mT8_P12ihipStream_tbDpT10_ENKUlT_T0_E_clISt17integral_constantIbLb1EES1E_EEDaS19_S1A_EUlS19_E_NS1_11comp_targetILNS1_3genE0ELNS1_11target_archE4294967295ELNS1_3gpuE0ELNS1_3repE0EEENS1_30default_config_static_selectorELNS0_4arch9wavefront6targetE0EEEvT1_,"axG",@progbits,_ZN7rocprim17ROCPRIM_400000_NS6detail17trampoline_kernelINS0_14default_configENS1_25partition_config_selectorILNS1_17partition_subalgoE8ElNS0_10empty_typeEbEEZZNS1_14partition_implILS5_8ELb0ES3_jPlPS6_PKS6_NS0_5tupleIJS9_S6_EEENSD_IJSA_SA_EEENS0_18inequality_wrapperIZN2at6native12_GLOBAL__N_124unique_dim_cuda_templateIN3c104HalfEEESt5tupleIJNSH_6TensorESO_SO_EERKSO_lbbbEUlllE0_EEPmJS6_EEE10hipError_tPvRmT3_T4_T5_T6_T7_T9_mT8_P12ihipStream_tbDpT10_ENKUlT_T0_E_clISt17integral_constantIbLb1EES1E_EEDaS19_S1A_EUlS19_E_NS1_11comp_targetILNS1_3genE0ELNS1_11target_archE4294967295ELNS1_3gpuE0ELNS1_3repE0EEENS1_30default_config_static_selectorELNS0_4arch9wavefront6targetE0EEEvT1_,comdat
.Lfunc_end1305:
	.size	_ZN7rocprim17ROCPRIM_400000_NS6detail17trampoline_kernelINS0_14default_configENS1_25partition_config_selectorILNS1_17partition_subalgoE8ElNS0_10empty_typeEbEEZZNS1_14partition_implILS5_8ELb0ES3_jPlPS6_PKS6_NS0_5tupleIJS9_S6_EEENSD_IJSA_SA_EEENS0_18inequality_wrapperIZN2at6native12_GLOBAL__N_124unique_dim_cuda_templateIN3c104HalfEEESt5tupleIJNSH_6TensorESO_SO_EERKSO_lbbbEUlllE0_EEPmJS6_EEE10hipError_tPvRmT3_T4_T5_T6_T7_T9_mT8_P12ihipStream_tbDpT10_ENKUlT_T0_E_clISt17integral_constantIbLb1EES1E_EEDaS19_S1A_EUlS19_E_NS1_11comp_targetILNS1_3genE0ELNS1_11target_archE4294967295ELNS1_3gpuE0ELNS1_3repE0EEENS1_30default_config_static_selectorELNS0_4arch9wavefront6targetE0EEEvT1_, .Lfunc_end1305-_ZN7rocprim17ROCPRIM_400000_NS6detail17trampoline_kernelINS0_14default_configENS1_25partition_config_selectorILNS1_17partition_subalgoE8ElNS0_10empty_typeEbEEZZNS1_14partition_implILS5_8ELb0ES3_jPlPS6_PKS6_NS0_5tupleIJS9_S6_EEENSD_IJSA_SA_EEENS0_18inequality_wrapperIZN2at6native12_GLOBAL__N_124unique_dim_cuda_templateIN3c104HalfEEESt5tupleIJNSH_6TensorESO_SO_EERKSO_lbbbEUlllE0_EEPmJS6_EEE10hipError_tPvRmT3_T4_T5_T6_T7_T9_mT8_P12ihipStream_tbDpT10_ENKUlT_T0_E_clISt17integral_constantIbLb1EES1E_EEDaS19_S1A_EUlS19_E_NS1_11comp_targetILNS1_3genE0ELNS1_11target_archE4294967295ELNS1_3gpuE0ELNS1_3repE0EEENS1_30default_config_static_selectorELNS0_4arch9wavefront6targetE0EEEvT1_
                                        ; -- End function
	.set _ZN7rocprim17ROCPRIM_400000_NS6detail17trampoline_kernelINS0_14default_configENS1_25partition_config_selectorILNS1_17partition_subalgoE8ElNS0_10empty_typeEbEEZZNS1_14partition_implILS5_8ELb0ES3_jPlPS6_PKS6_NS0_5tupleIJS9_S6_EEENSD_IJSA_SA_EEENS0_18inequality_wrapperIZN2at6native12_GLOBAL__N_124unique_dim_cuda_templateIN3c104HalfEEESt5tupleIJNSH_6TensorESO_SO_EERKSO_lbbbEUlllE0_EEPmJS6_EEE10hipError_tPvRmT3_T4_T5_T6_T7_T9_mT8_P12ihipStream_tbDpT10_ENKUlT_T0_E_clISt17integral_constantIbLb1EES1E_EEDaS19_S1A_EUlS19_E_NS1_11comp_targetILNS1_3genE0ELNS1_11target_archE4294967295ELNS1_3gpuE0ELNS1_3repE0EEENS1_30default_config_static_selectorELNS0_4arch9wavefront6targetE0EEEvT1_.num_vgpr, 0
	.set _ZN7rocprim17ROCPRIM_400000_NS6detail17trampoline_kernelINS0_14default_configENS1_25partition_config_selectorILNS1_17partition_subalgoE8ElNS0_10empty_typeEbEEZZNS1_14partition_implILS5_8ELb0ES3_jPlPS6_PKS6_NS0_5tupleIJS9_S6_EEENSD_IJSA_SA_EEENS0_18inequality_wrapperIZN2at6native12_GLOBAL__N_124unique_dim_cuda_templateIN3c104HalfEEESt5tupleIJNSH_6TensorESO_SO_EERKSO_lbbbEUlllE0_EEPmJS6_EEE10hipError_tPvRmT3_T4_T5_T6_T7_T9_mT8_P12ihipStream_tbDpT10_ENKUlT_T0_E_clISt17integral_constantIbLb1EES1E_EEDaS19_S1A_EUlS19_E_NS1_11comp_targetILNS1_3genE0ELNS1_11target_archE4294967295ELNS1_3gpuE0ELNS1_3repE0EEENS1_30default_config_static_selectorELNS0_4arch9wavefront6targetE0EEEvT1_.num_agpr, 0
	.set _ZN7rocprim17ROCPRIM_400000_NS6detail17trampoline_kernelINS0_14default_configENS1_25partition_config_selectorILNS1_17partition_subalgoE8ElNS0_10empty_typeEbEEZZNS1_14partition_implILS5_8ELb0ES3_jPlPS6_PKS6_NS0_5tupleIJS9_S6_EEENSD_IJSA_SA_EEENS0_18inequality_wrapperIZN2at6native12_GLOBAL__N_124unique_dim_cuda_templateIN3c104HalfEEESt5tupleIJNSH_6TensorESO_SO_EERKSO_lbbbEUlllE0_EEPmJS6_EEE10hipError_tPvRmT3_T4_T5_T6_T7_T9_mT8_P12ihipStream_tbDpT10_ENKUlT_T0_E_clISt17integral_constantIbLb1EES1E_EEDaS19_S1A_EUlS19_E_NS1_11comp_targetILNS1_3genE0ELNS1_11target_archE4294967295ELNS1_3gpuE0ELNS1_3repE0EEENS1_30default_config_static_selectorELNS0_4arch9wavefront6targetE0EEEvT1_.numbered_sgpr, 0
	.set _ZN7rocprim17ROCPRIM_400000_NS6detail17trampoline_kernelINS0_14default_configENS1_25partition_config_selectorILNS1_17partition_subalgoE8ElNS0_10empty_typeEbEEZZNS1_14partition_implILS5_8ELb0ES3_jPlPS6_PKS6_NS0_5tupleIJS9_S6_EEENSD_IJSA_SA_EEENS0_18inequality_wrapperIZN2at6native12_GLOBAL__N_124unique_dim_cuda_templateIN3c104HalfEEESt5tupleIJNSH_6TensorESO_SO_EERKSO_lbbbEUlllE0_EEPmJS6_EEE10hipError_tPvRmT3_T4_T5_T6_T7_T9_mT8_P12ihipStream_tbDpT10_ENKUlT_T0_E_clISt17integral_constantIbLb1EES1E_EEDaS19_S1A_EUlS19_E_NS1_11comp_targetILNS1_3genE0ELNS1_11target_archE4294967295ELNS1_3gpuE0ELNS1_3repE0EEENS1_30default_config_static_selectorELNS0_4arch9wavefront6targetE0EEEvT1_.num_named_barrier, 0
	.set _ZN7rocprim17ROCPRIM_400000_NS6detail17trampoline_kernelINS0_14default_configENS1_25partition_config_selectorILNS1_17partition_subalgoE8ElNS0_10empty_typeEbEEZZNS1_14partition_implILS5_8ELb0ES3_jPlPS6_PKS6_NS0_5tupleIJS9_S6_EEENSD_IJSA_SA_EEENS0_18inequality_wrapperIZN2at6native12_GLOBAL__N_124unique_dim_cuda_templateIN3c104HalfEEESt5tupleIJNSH_6TensorESO_SO_EERKSO_lbbbEUlllE0_EEPmJS6_EEE10hipError_tPvRmT3_T4_T5_T6_T7_T9_mT8_P12ihipStream_tbDpT10_ENKUlT_T0_E_clISt17integral_constantIbLb1EES1E_EEDaS19_S1A_EUlS19_E_NS1_11comp_targetILNS1_3genE0ELNS1_11target_archE4294967295ELNS1_3gpuE0ELNS1_3repE0EEENS1_30default_config_static_selectorELNS0_4arch9wavefront6targetE0EEEvT1_.private_seg_size, 0
	.set _ZN7rocprim17ROCPRIM_400000_NS6detail17trampoline_kernelINS0_14default_configENS1_25partition_config_selectorILNS1_17partition_subalgoE8ElNS0_10empty_typeEbEEZZNS1_14partition_implILS5_8ELb0ES3_jPlPS6_PKS6_NS0_5tupleIJS9_S6_EEENSD_IJSA_SA_EEENS0_18inequality_wrapperIZN2at6native12_GLOBAL__N_124unique_dim_cuda_templateIN3c104HalfEEESt5tupleIJNSH_6TensorESO_SO_EERKSO_lbbbEUlllE0_EEPmJS6_EEE10hipError_tPvRmT3_T4_T5_T6_T7_T9_mT8_P12ihipStream_tbDpT10_ENKUlT_T0_E_clISt17integral_constantIbLb1EES1E_EEDaS19_S1A_EUlS19_E_NS1_11comp_targetILNS1_3genE0ELNS1_11target_archE4294967295ELNS1_3gpuE0ELNS1_3repE0EEENS1_30default_config_static_selectorELNS0_4arch9wavefront6targetE0EEEvT1_.uses_vcc, 0
	.set _ZN7rocprim17ROCPRIM_400000_NS6detail17trampoline_kernelINS0_14default_configENS1_25partition_config_selectorILNS1_17partition_subalgoE8ElNS0_10empty_typeEbEEZZNS1_14partition_implILS5_8ELb0ES3_jPlPS6_PKS6_NS0_5tupleIJS9_S6_EEENSD_IJSA_SA_EEENS0_18inequality_wrapperIZN2at6native12_GLOBAL__N_124unique_dim_cuda_templateIN3c104HalfEEESt5tupleIJNSH_6TensorESO_SO_EERKSO_lbbbEUlllE0_EEPmJS6_EEE10hipError_tPvRmT3_T4_T5_T6_T7_T9_mT8_P12ihipStream_tbDpT10_ENKUlT_T0_E_clISt17integral_constantIbLb1EES1E_EEDaS19_S1A_EUlS19_E_NS1_11comp_targetILNS1_3genE0ELNS1_11target_archE4294967295ELNS1_3gpuE0ELNS1_3repE0EEENS1_30default_config_static_selectorELNS0_4arch9wavefront6targetE0EEEvT1_.uses_flat_scratch, 0
	.set _ZN7rocprim17ROCPRIM_400000_NS6detail17trampoline_kernelINS0_14default_configENS1_25partition_config_selectorILNS1_17partition_subalgoE8ElNS0_10empty_typeEbEEZZNS1_14partition_implILS5_8ELb0ES3_jPlPS6_PKS6_NS0_5tupleIJS9_S6_EEENSD_IJSA_SA_EEENS0_18inequality_wrapperIZN2at6native12_GLOBAL__N_124unique_dim_cuda_templateIN3c104HalfEEESt5tupleIJNSH_6TensorESO_SO_EERKSO_lbbbEUlllE0_EEPmJS6_EEE10hipError_tPvRmT3_T4_T5_T6_T7_T9_mT8_P12ihipStream_tbDpT10_ENKUlT_T0_E_clISt17integral_constantIbLb1EES1E_EEDaS19_S1A_EUlS19_E_NS1_11comp_targetILNS1_3genE0ELNS1_11target_archE4294967295ELNS1_3gpuE0ELNS1_3repE0EEENS1_30default_config_static_selectorELNS0_4arch9wavefront6targetE0EEEvT1_.has_dyn_sized_stack, 0
	.set _ZN7rocprim17ROCPRIM_400000_NS6detail17trampoline_kernelINS0_14default_configENS1_25partition_config_selectorILNS1_17partition_subalgoE8ElNS0_10empty_typeEbEEZZNS1_14partition_implILS5_8ELb0ES3_jPlPS6_PKS6_NS0_5tupleIJS9_S6_EEENSD_IJSA_SA_EEENS0_18inequality_wrapperIZN2at6native12_GLOBAL__N_124unique_dim_cuda_templateIN3c104HalfEEESt5tupleIJNSH_6TensorESO_SO_EERKSO_lbbbEUlllE0_EEPmJS6_EEE10hipError_tPvRmT3_T4_T5_T6_T7_T9_mT8_P12ihipStream_tbDpT10_ENKUlT_T0_E_clISt17integral_constantIbLb1EES1E_EEDaS19_S1A_EUlS19_E_NS1_11comp_targetILNS1_3genE0ELNS1_11target_archE4294967295ELNS1_3gpuE0ELNS1_3repE0EEENS1_30default_config_static_selectorELNS0_4arch9wavefront6targetE0EEEvT1_.has_recursion, 0
	.set _ZN7rocprim17ROCPRIM_400000_NS6detail17trampoline_kernelINS0_14default_configENS1_25partition_config_selectorILNS1_17partition_subalgoE8ElNS0_10empty_typeEbEEZZNS1_14partition_implILS5_8ELb0ES3_jPlPS6_PKS6_NS0_5tupleIJS9_S6_EEENSD_IJSA_SA_EEENS0_18inequality_wrapperIZN2at6native12_GLOBAL__N_124unique_dim_cuda_templateIN3c104HalfEEESt5tupleIJNSH_6TensorESO_SO_EERKSO_lbbbEUlllE0_EEPmJS6_EEE10hipError_tPvRmT3_T4_T5_T6_T7_T9_mT8_P12ihipStream_tbDpT10_ENKUlT_T0_E_clISt17integral_constantIbLb1EES1E_EEDaS19_S1A_EUlS19_E_NS1_11comp_targetILNS1_3genE0ELNS1_11target_archE4294967295ELNS1_3gpuE0ELNS1_3repE0EEENS1_30default_config_static_selectorELNS0_4arch9wavefront6targetE0EEEvT1_.has_indirect_call, 0
	.section	.AMDGPU.csdata,"",@progbits
; Kernel info:
; codeLenInByte = 4
; TotalNumSgprs: 0
; NumVgprs: 0
; ScratchSize: 0
; MemoryBound: 0
; FloatMode: 240
; IeeeMode: 1
; LDSByteSize: 0 bytes/workgroup (compile time only)
; SGPRBlocks: 0
; VGPRBlocks: 0
; NumSGPRsForWavesPerEU: 1
; NumVGPRsForWavesPerEU: 1
; NamedBarCnt: 0
; Occupancy: 16
; WaveLimiterHint : 0
; COMPUTE_PGM_RSRC2:SCRATCH_EN: 0
; COMPUTE_PGM_RSRC2:USER_SGPR: 2
; COMPUTE_PGM_RSRC2:TRAP_HANDLER: 0
; COMPUTE_PGM_RSRC2:TGID_X_EN: 1
; COMPUTE_PGM_RSRC2:TGID_Y_EN: 0
; COMPUTE_PGM_RSRC2:TGID_Z_EN: 0
; COMPUTE_PGM_RSRC2:TIDIG_COMP_CNT: 0
	.section	.text._ZN7rocprim17ROCPRIM_400000_NS6detail17trampoline_kernelINS0_14default_configENS1_25partition_config_selectorILNS1_17partition_subalgoE8ElNS0_10empty_typeEbEEZZNS1_14partition_implILS5_8ELb0ES3_jPlPS6_PKS6_NS0_5tupleIJS9_S6_EEENSD_IJSA_SA_EEENS0_18inequality_wrapperIZN2at6native12_GLOBAL__N_124unique_dim_cuda_templateIN3c104HalfEEESt5tupleIJNSH_6TensorESO_SO_EERKSO_lbbbEUlllE0_EEPmJS6_EEE10hipError_tPvRmT3_T4_T5_T6_T7_T9_mT8_P12ihipStream_tbDpT10_ENKUlT_T0_E_clISt17integral_constantIbLb1EES1E_EEDaS19_S1A_EUlS19_E_NS1_11comp_targetILNS1_3genE5ELNS1_11target_archE942ELNS1_3gpuE9ELNS1_3repE0EEENS1_30default_config_static_selectorELNS0_4arch9wavefront6targetE0EEEvT1_,"axG",@progbits,_ZN7rocprim17ROCPRIM_400000_NS6detail17trampoline_kernelINS0_14default_configENS1_25partition_config_selectorILNS1_17partition_subalgoE8ElNS0_10empty_typeEbEEZZNS1_14partition_implILS5_8ELb0ES3_jPlPS6_PKS6_NS0_5tupleIJS9_S6_EEENSD_IJSA_SA_EEENS0_18inequality_wrapperIZN2at6native12_GLOBAL__N_124unique_dim_cuda_templateIN3c104HalfEEESt5tupleIJNSH_6TensorESO_SO_EERKSO_lbbbEUlllE0_EEPmJS6_EEE10hipError_tPvRmT3_T4_T5_T6_T7_T9_mT8_P12ihipStream_tbDpT10_ENKUlT_T0_E_clISt17integral_constantIbLb1EES1E_EEDaS19_S1A_EUlS19_E_NS1_11comp_targetILNS1_3genE5ELNS1_11target_archE942ELNS1_3gpuE9ELNS1_3repE0EEENS1_30default_config_static_selectorELNS0_4arch9wavefront6targetE0EEEvT1_,comdat
	.globl	_ZN7rocprim17ROCPRIM_400000_NS6detail17trampoline_kernelINS0_14default_configENS1_25partition_config_selectorILNS1_17partition_subalgoE8ElNS0_10empty_typeEbEEZZNS1_14partition_implILS5_8ELb0ES3_jPlPS6_PKS6_NS0_5tupleIJS9_S6_EEENSD_IJSA_SA_EEENS0_18inequality_wrapperIZN2at6native12_GLOBAL__N_124unique_dim_cuda_templateIN3c104HalfEEESt5tupleIJNSH_6TensorESO_SO_EERKSO_lbbbEUlllE0_EEPmJS6_EEE10hipError_tPvRmT3_T4_T5_T6_T7_T9_mT8_P12ihipStream_tbDpT10_ENKUlT_T0_E_clISt17integral_constantIbLb1EES1E_EEDaS19_S1A_EUlS19_E_NS1_11comp_targetILNS1_3genE5ELNS1_11target_archE942ELNS1_3gpuE9ELNS1_3repE0EEENS1_30default_config_static_selectorELNS0_4arch9wavefront6targetE0EEEvT1_ ; -- Begin function _ZN7rocprim17ROCPRIM_400000_NS6detail17trampoline_kernelINS0_14default_configENS1_25partition_config_selectorILNS1_17partition_subalgoE8ElNS0_10empty_typeEbEEZZNS1_14partition_implILS5_8ELb0ES3_jPlPS6_PKS6_NS0_5tupleIJS9_S6_EEENSD_IJSA_SA_EEENS0_18inequality_wrapperIZN2at6native12_GLOBAL__N_124unique_dim_cuda_templateIN3c104HalfEEESt5tupleIJNSH_6TensorESO_SO_EERKSO_lbbbEUlllE0_EEPmJS6_EEE10hipError_tPvRmT3_T4_T5_T6_T7_T9_mT8_P12ihipStream_tbDpT10_ENKUlT_T0_E_clISt17integral_constantIbLb1EES1E_EEDaS19_S1A_EUlS19_E_NS1_11comp_targetILNS1_3genE5ELNS1_11target_archE942ELNS1_3gpuE9ELNS1_3repE0EEENS1_30default_config_static_selectorELNS0_4arch9wavefront6targetE0EEEvT1_
	.p2align	8
	.type	_ZN7rocprim17ROCPRIM_400000_NS6detail17trampoline_kernelINS0_14default_configENS1_25partition_config_selectorILNS1_17partition_subalgoE8ElNS0_10empty_typeEbEEZZNS1_14partition_implILS5_8ELb0ES3_jPlPS6_PKS6_NS0_5tupleIJS9_S6_EEENSD_IJSA_SA_EEENS0_18inequality_wrapperIZN2at6native12_GLOBAL__N_124unique_dim_cuda_templateIN3c104HalfEEESt5tupleIJNSH_6TensorESO_SO_EERKSO_lbbbEUlllE0_EEPmJS6_EEE10hipError_tPvRmT3_T4_T5_T6_T7_T9_mT8_P12ihipStream_tbDpT10_ENKUlT_T0_E_clISt17integral_constantIbLb1EES1E_EEDaS19_S1A_EUlS19_E_NS1_11comp_targetILNS1_3genE5ELNS1_11target_archE942ELNS1_3gpuE9ELNS1_3repE0EEENS1_30default_config_static_selectorELNS0_4arch9wavefront6targetE0EEEvT1_,@function
_ZN7rocprim17ROCPRIM_400000_NS6detail17trampoline_kernelINS0_14default_configENS1_25partition_config_selectorILNS1_17partition_subalgoE8ElNS0_10empty_typeEbEEZZNS1_14partition_implILS5_8ELb0ES3_jPlPS6_PKS6_NS0_5tupleIJS9_S6_EEENSD_IJSA_SA_EEENS0_18inequality_wrapperIZN2at6native12_GLOBAL__N_124unique_dim_cuda_templateIN3c104HalfEEESt5tupleIJNSH_6TensorESO_SO_EERKSO_lbbbEUlllE0_EEPmJS6_EEE10hipError_tPvRmT3_T4_T5_T6_T7_T9_mT8_P12ihipStream_tbDpT10_ENKUlT_T0_E_clISt17integral_constantIbLb1EES1E_EEDaS19_S1A_EUlS19_E_NS1_11comp_targetILNS1_3genE5ELNS1_11target_archE942ELNS1_3gpuE9ELNS1_3repE0EEENS1_30default_config_static_selectorELNS0_4arch9wavefront6targetE0EEEvT1_: ; @_ZN7rocprim17ROCPRIM_400000_NS6detail17trampoline_kernelINS0_14default_configENS1_25partition_config_selectorILNS1_17partition_subalgoE8ElNS0_10empty_typeEbEEZZNS1_14partition_implILS5_8ELb0ES3_jPlPS6_PKS6_NS0_5tupleIJS9_S6_EEENSD_IJSA_SA_EEENS0_18inequality_wrapperIZN2at6native12_GLOBAL__N_124unique_dim_cuda_templateIN3c104HalfEEESt5tupleIJNSH_6TensorESO_SO_EERKSO_lbbbEUlllE0_EEPmJS6_EEE10hipError_tPvRmT3_T4_T5_T6_T7_T9_mT8_P12ihipStream_tbDpT10_ENKUlT_T0_E_clISt17integral_constantIbLb1EES1E_EEDaS19_S1A_EUlS19_E_NS1_11comp_targetILNS1_3genE5ELNS1_11target_archE942ELNS1_3gpuE9ELNS1_3repE0EEENS1_30default_config_static_selectorELNS0_4arch9wavefront6targetE0EEEvT1_
; %bb.0:
	.section	.rodata,"a",@progbits
	.p2align	6, 0x0
	.amdhsa_kernel _ZN7rocprim17ROCPRIM_400000_NS6detail17trampoline_kernelINS0_14default_configENS1_25partition_config_selectorILNS1_17partition_subalgoE8ElNS0_10empty_typeEbEEZZNS1_14partition_implILS5_8ELb0ES3_jPlPS6_PKS6_NS0_5tupleIJS9_S6_EEENSD_IJSA_SA_EEENS0_18inequality_wrapperIZN2at6native12_GLOBAL__N_124unique_dim_cuda_templateIN3c104HalfEEESt5tupleIJNSH_6TensorESO_SO_EERKSO_lbbbEUlllE0_EEPmJS6_EEE10hipError_tPvRmT3_T4_T5_T6_T7_T9_mT8_P12ihipStream_tbDpT10_ENKUlT_T0_E_clISt17integral_constantIbLb1EES1E_EEDaS19_S1A_EUlS19_E_NS1_11comp_targetILNS1_3genE5ELNS1_11target_archE942ELNS1_3gpuE9ELNS1_3repE0EEENS1_30default_config_static_selectorELNS0_4arch9wavefront6targetE0EEEvT1_
		.amdhsa_group_segment_fixed_size 0
		.amdhsa_private_segment_fixed_size 0
		.amdhsa_kernarg_size 136
		.amdhsa_user_sgpr_count 2
		.amdhsa_user_sgpr_dispatch_ptr 0
		.amdhsa_user_sgpr_queue_ptr 0
		.amdhsa_user_sgpr_kernarg_segment_ptr 1
		.amdhsa_user_sgpr_dispatch_id 0
		.amdhsa_user_sgpr_kernarg_preload_length 0
		.amdhsa_user_sgpr_kernarg_preload_offset 0
		.amdhsa_user_sgpr_private_segment_size 0
		.amdhsa_wavefront_size32 1
		.amdhsa_uses_dynamic_stack 0
		.amdhsa_enable_private_segment 0
		.amdhsa_system_sgpr_workgroup_id_x 1
		.amdhsa_system_sgpr_workgroup_id_y 0
		.amdhsa_system_sgpr_workgroup_id_z 0
		.amdhsa_system_sgpr_workgroup_info 0
		.amdhsa_system_vgpr_workitem_id 0
		.amdhsa_next_free_vgpr 1
		.amdhsa_next_free_sgpr 1
		.amdhsa_named_barrier_count 0
		.amdhsa_reserve_vcc 0
		.amdhsa_float_round_mode_32 0
		.amdhsa_float_round_mode_16_64 0
		.amdhsa_float_denorm_mode_32 3
		.amdhsa_float_denorm_mode_16_64 3
		.amdhsa_fp16_overflow 0
		.amdhsa_memory_ordered 1
		.amdhsa_forward_progress 1
		.amdhsa_inst_pref_size 0
		.amdhsa_round_robin_scheduling 0
		.amdhsa_exception_fp_ieee_invalid_op 0
		.amdhsa_exception_fp_denorm_src 0
		.amdhsa_exception_fp_ieee_div_zero 0
		.amdhsa_exception_fp_ieee_overflow 0
		.amdhsa_exception_fp_ieee_underflow 0
		.amdhsa_exception_fp_ieee_inexact 0
		.amdhsa_exception_int_div_zero 0
	.end_amdhsa_kernel
	.section	.text._ZN7rocprim17ROCPRIM_400000_NS6detail17trampoline_kernelINS0_14default_configENS1_25partition_config_selectorILNS1_17partition_subalgoE8ElNS0_10empty_typeEbEEZZNS1_14partition_implILS5_8ELb0ES3_jPlPS6_PKS6_NS0_5tupleIJS9_S6_EEENSD_IJSA_SA_EEENS0_18inequality_wrapperIZN2at6native12_GLOBAL__N_124unique_dim_cuda_templateIN3c104HalfEEESt5tupleIJNSH_6TensorESO_SO_EERKSO_lbbbEUlllE0_EEPmJS6_EEE10hipError_tPvRmT3_T4_T5_T6_T7_T9_mT8_P12ihipStream_tbDpT10_ENKUlT_T0_E_clISt17integral_constantIbLb1EES1E_EEDaS19_S1A_EUlS19_E_NS1_11comp_targetILNS1_3genE5ELNS1_11target_archE942ELNS1_3gpuE9ELNS1_3repE0EEENS1_30default_config_static_selectorELNS0_4arch9wavefront6targetE0EEEvT1_,"axG",@progbits,_ZN7rocprim17ROCPRIM_400000_NS6detail17trampoline_kernelINS0_14default_configENS1_25partition_config_selectorILNS1_17partition_subalgoE8ElNS0_10empty_typeEbEEZZNS1_14partition_implILS5_8ELb0ES3_jPlPS6_PKS6_NS0_5tupleIJS9_S6_EEENSD_IJSA_SA_EEENS0_18inequality_wrapperIZN2at6native12_GLOBAL__N_124unique_dim_cuda_templateIN3c104HalfEEESt5tupleIJNSH_6TensorESO_SO_EERKSO_lbbbEUlllE0_EEPmJS6_EEE10hipError_tPvRmT3_T4_T5_T6_T7_T9_mT8_P12ihipStream_tbDpT10_ENKUlT_T0_E_clISt17integral_constantIbLb1EES1E_EEDaS19_S1A_EUlS19_E_NS1_11comp_targetILNS1_3genE5ELNS1_11target_archE942ELNS1_3gpuE9ELNS1_3repE0EEENS1_30default_config_static_selectorELNS0_4arch9wavefront6targetE0EEEvT1_,comdat
.Lfunc_end1306:
	.size	_ZN7rocprim17ROCPRIM_400000_NS6detail17trampoline_kernelINS0_14default_configENS1_25partition_config_selectorILNS1_17partition_subalgoE8ElNS0_10empty_typeEbEEZZNS1_14partition_implILS5_8ELb0ES3_jPlPS6_PKS6_NS0_5tupleIJS9_S6_EEENSD_IJSA_SA_EEENS0_18inequality_wrapperIZN2at6native12_GLOBAL__N_124unique_dim_cuda_templateIN3c104HalfEEESt5tupleIJNSH_6TensorESO_SO_EERKSO_lbbbEUlllE0_EEPmJS6_EEE10hipError_tPvRmT3_T4_T5_T6_T7_T9_mT8_P12ihipStream_tbDpT10_ENKUlT_T0_E_clISt17integral_constantIbLb1EES1E_EEDaS19_S1A_EUlS19_E_NS1_11comp_targetILNS1_3genE5ELNS1_11target_archE942ELNS1_3gpuE9ELNS1_3repE0EEENS1_30default_config_static_selectorELNS0_4arch9wavefront6targetE0EEEvT1_, .Lfunc_end1306-_ZN7rocprim17ROCPRIM_400000_NS6detail17trampoline_kernelINS0_14default_configENS1_25partition_config_selectorILNS1_17partition_subalgoE8ElNS0_10empty_typeEbEEZZNS1_14partition_implILS5_8ELb0ES3_jPlPS6_PKS6_NS0_5tupleIJS9_S6_EEENSD_IJSA_SA_EEENS0_18inequality_wrapperIZN2at6native12_GLOBAL__N_124unique_dim_cuda_templateIN3c104HalfEEESt5tupleIJNSH_6TensorESO_SO_EERKSO_lbbbEUlllE0_EEPmJS6_EEE10hipError_tPvRmT3_T4_T5_T6_T7_T9_mT8_P12ihipStream_tbDpT10_ENKUlT_T0_E_clISt17integral_constantIbLb1EES1E_EEDaS19_S1A_EUlS19_E_NS1_11comp_targetILNS1_3genE5ELNS1_11target_archE942ELNS1_3gpuE9ELNS1_3repE0EEENS1_30default_config_static_selectorELNS0_4arch9wavefront6targetE0EEEvT1_
                                        ; -- End function
	.set _ZN7rocprim17ROCPRIM_400000_NS6detail17trampoline_kernelINS0_14default_configENS1_25partition_config_selectorILNS1_17partition_subalgoE8ElNS0_10empty_typeEbEEZZNS1_14partition_implILS5_8ELb0ES3_jPlPS6_PKS6_NS0_5tupleIJS9_S6_EEENSD_IJSA_SA_EEENS0_18inequality_wrapperIZN2at6native12_GLOBAL__N_124unique_dim_cuda_templateIN3c104HalfEEESt5tupleIJNSH_6TensorESO_SO_EERKSO_lbbbEUlllE0_EEPmJS6_EEE10hipError_tPvRmT3_T4_T5_T6_T7_T9_mT8_P12ihipStream_tbDpT10_ENKUlT_T0_E_clISt17integral_constantIbLb1EES1E_EEDaS19_S1A_EUlS19_E_NS1_11comp_targetILNS1_3genE5ELNS1_11target_archE942ELNS1_3gpuE9ELNS1_3repE0EEENS1_30default_config_static_selectorELNS0_4arch9wavefront6targetE0EEEvT1_.num_vgpr, 0
	.set _ZN7rocprim17ROCPRIM_400000_NS6detail17trampoline_kernelINS0_14default_configENS1_25partition_config_selectorILNS1_17partition_subalgoE8ElNS0_10empty_typeEbEEZZNS1_14partition_implILS5_8ELb0ES3_jPlPS6_PKS6_NS0_5tupleIJS9_S6_EEENSD_IJSA_SA_EEENS0_18inequality_wrapperIZN2at6native12_GLOBAL__N_124unique_dim_cuda_templateIN3c104HalfEEESt5tupleIJNSH_6TensorESO_SO_EERKSO_lbbbEUlllE0_EEPmJS6_EEE10hipError_tPvRmT3_T4_T5_T6_T7_T9_mT8_P12ihipStream_tbDpT10_ENKUlT_T0_E_clISt17integral_constantIbLb1EES1E_EEDaS19_S1A_EUlS19_E_NS1_11comp_targetILNS1_3genE5ELNS1_11target_archE942ELNS1_3gpuE9ELNS1_3repE0EEENS1_30default_config_static_selectorELNS0_4arch9wavefront6targetE0EEEvT1_.num_agpr, 0
	.set _ZN7rocprim17ROCPRIM_400000_NS6detail17trampoline_kernelINS0_14default_configENS1_25partition_config_selectorILNS1_17partition_subalgoE8ElNS0_10empty_typeEbEEZZNS1_14partition_implILS5_8ELb0ES3_jPlPS6_PKS6_NS0_5tupleIJS9_S6_EEENSD_IJSA_SA_EEENS0_18inequality_wrapperIZN2at6native12_GLOBAL__N_124unique_dim_cuda_templateIN3c104HalfEEESt5tupleIJNSH_6TensorESO_SO_EERKSO_lbbbEUlllE0_EEPmJS6_EEE10hipError_tPvRmT3_T4_T5_T6_T7_T9_mT8_P12ihipStream_tbDpT10_ENKUlT_T0_E_clISt17integral_constantIbLb1EES1E_EEDaS19_S1A_EUlS19_E_NS1_11comp_targetILNS1_3genE5ELNS1_11target_archE942ELNS1_3gpuE9ELNS1_3repE0EEENS1_30default_config_static_selectorELNS0_4arch9wavefront6targetE0EEEvT1_.numbered_sgpr, 0
	.set _ZN7rocprim17ROCPRIM_400000_NS6detail17trampoline_kernelINS0_14default_configENS1_25partition_config_selectorILNS1_17partition_subalgoE8ElNS0_10empty_typeEbEEZZNS1_14partition_implILS5_8ELb0ES3_jPlPS6_PKS6_NS0_5tupleIJS9_S6_EEENSD_IJSA_SA_EEENS0_18inequality_wrapperIZN2at6native12_GLOBAL__N_124unique_dim_cuda_templateIN3c104HalfEEESt5tupleIJNSH_6TensorESO_SO_EERKSO_lbbbEUlllE0_EEPmJS6_EEE10hipError_tPvRmT3_T4_T5_T6_T7_T9_mT8_P12ihipStream_tbDpT10_ENKUlT_T0_E_clISt17integral_constantIbLb1EES1E_EEDaS19_S1A_EUlS19_E_NS1_11comp_targetILNS1_3genE5ELNS1_11target_archE942ELNS1_3gpuE9ELNS1_3repE0EEENS1_30default_config_static_selectorELNS0_4arch9wavefront6targetE0EEEvT1_.num_named_barrier, 0
	.set _ZN7rocprim17ROCPRIM_400000_NS6detail17trampoline_kernelINS0_14default_configENS1_25partition_config_selectorILNS1_17partition_subalgoE8ElNS0_10empty_typeEbEEZZNS1_14partition_implILS5_8ELb0ES3_jPlPS6_PKS6_NS0_5tupleIJS9_S6_EEENSD_IJSA_SA_EEENS0_18inequality_wrapperIZN2at6native12_GLOBAL__N_124unique_dim_cuda_templateIN3c104HalfEEESt5tupleIJNSH_6TensorESO_SO_EERKSO_lbbbEUlllE0_EEPmJS6_EEE10hipError_tPvRmT3_T4_T5_T6_T7_T9_mT8_P12ihipStream_tbDpT10_ENKUlT_T0_E_clISt17integral_constantIbLb1EES1E_EEDaS19_S1A_EUlS19_E_NS1_11comp_targetILNS1_3genE5ELNS1_11target_archE942ELNS1_3gpuE9ELNS1_3repE0EEENS1_30default_config_static_selectorELNS0_4arch9wavefront6targetE0EEEvT1_.private_seg_size, 0
	.set _ZN7rocprim17ROCPRIM_400000_NS6detail17trampoline_kernelINS0_14default_configENS1_25partition_config_selectorILNS1_17partition_subalgoE8ElNS0_10empty_typeEbEEZZNS1_14partition_implILS5_8ELb0ES3_jPlPS6_PKS6_NS0_5tupleIJS9_S6_EEENSD_IJSA_SA_EEENS0_18inequality_wrapperIZN2at6native12_GLOBAL__N_124unique_dim_cuda_templateIN3c104HalfEEESt5tupleIJNSH_6TensorESO_SO_EERKSO_lbbbEUlllE0_EEPmJS6_EEE10hipError_tPvRmT3_T4_T5_T6_T7_T9_mT8_P12ihipStream_tbDpT10_ENKUlT_T0_E_clISt17integral_constantIbLb1EES1E_EEDaS19_S1A_EUlS19_E_NS1_11comp_targetILNS1_3genE5ELNS1_11target_archE942ELNS1_3gpuE9ELNS1_3repE0EEENS1_30default_config_static_selectorELNS0_4arch9wavefront6targetE0EEEvT1_.uses_vcc, 0
	.set _ZN7rocprim17ROCPRIM_400000_NS6detail17trampoline_kernelINS0_14default_configENS1_25partition_config_selectorILNS1_17partition_subalgoE8ElNS0_10empty_typeEbEEZZNS1_14partition_implILS5_8ELb0ES3_jPlPS6_PKS6_NS0_5tupleIJS9_S6_EEENSD_IJSA_SA_EEENS0_18inequality_wrapperIZN2at6native12_GLOBAL__N_124unique_dim_cuda_templateIN3c104HalfEEESt5tupleIJNSH_6TensorESO_SO_EERKSO_lbbbEUlllE0_EEPmJS6_EEE10hipError_tPvRmT3_T4_T5_T6_T7_T9_mT8_P12ihipStream_tbDpT10_ENKUlT_T0_E_clISt17integral_constantIbLb1EES1E_EEDaS19_S1A_EUlS19_E_NS1_11comp_targetILNS1_3genE5ELNS1_11target_archE942ELNS1_3gpuE9ELNS1_3repE0EEENS1_30default_config_static_selectorELNS0_4arch9wavefront6targetE0EEEvT1_.uses_flat_scratch, 0
	.set _ZN7rocprim17ROCPRIM_400000_NS6detail17trampoline_kernelINS0_14default_configENS1_25partition_config_selectorILNS1_17partition_subalgoE8ElNS0_10empty_typeEbEEZZNS1_14partition_implILS5_8ELb0ES3_jPlPS6_PKS6_NS0_5tupleIJS9_S6_EEENSD_IJSA_SA_EEENS0_18inequality_wrapperIZN2at6native12_GLOBAL__N_124unique_dim_cuda_templateIN3c104HalfEEESt5tupleIJNSH_6TensorESO_SO_EERKSO_lbbbEUlllE0_EEPmJS6_EEE10hipError_tPvRmT3_T4_T5_T6_T7_T9_mT8_P12ihipStream_tbDpT10_ENKUlT_T0_E_clISt17integral_constantIbLb1EES1E_EEDaS19_S1A_EUlS19_E_NS1_11comp_targetILNS1_3genE5ELNS1_11target_archE942ELNS1_3gpuE9ELNS1_3repE0EEENS1_30default_config_static_selectorELNS0_4arch9wavefront6targetE0EEEvT1_.has_dyn_sized_stack, 0
	.set _ZN7rocprim17ROCPRIM_400000_NS6detail17trampoline_kernelINS0_14default_configENS1_25partition_config_selectorILNS1_17partition_subalgoE8ElNS0_10empty_typeEbEEZZNS1_14partition_implILS5_8ELb0ES3_jPlPS6_PKS6_NS0_5tupleIJS9_S6_EEENSD_IJSA_SA_EEENS0_18inequality_wrapperIZN2at6native12_GLOBAL__N_124unique_dim_cuda_templateIN3c104HalfEEESt5tupleIJNSH_6TensorESO_SO_EERKSO_lbbbEUlllE0_EEPmJS6_EEE10hipError_tPvRmT3_T4_T5_T6_T7_T9_mT8_P12ihipStream_tbDpT10_ENKUlT_T0_E_clISt17integral_constantIbLb1EES1E_EEDaS19_S1A_EUlS19_E_NS1_11comp_targetILNS1_3genE5ELNS1_11target_archE942ELNS1_3gpuE9ELNS1_3repE0EEENS1_30default_config_static_selectorELNS0_4arch9wavefront6targetE0EEEvT1_.has_recursion, 0
	.set _ZN7rocprim17ROCPRIM_400000_NS6detail17trampoline_kernelINS0_14default_configENS1_25partition_config_selectorILNS1_17partition_subalgoE8ElNS0_10empty_typeEbEEZZNS1_14partition_implILS5_8ELb0ES3_jPlPS6_PKS6_NS0_5tupleIJS9_S6_EEENSD_IJSA_SA_EEENS0_18inequality_wrapperIZN2at6native12_GLOBAL__N_124unique_dim_cuda_templateIN3c104HalfEEESt5tupleIJNSH_6TensorESO_SO_EERKSO_lbbbEUlllE0_EEPmJS6_EEE10hipError_tPvRmT3_T4_T5_T6_T7_T9_mT8_P12ihipStream_tbDpT10_ENKUlT_T0_E_clISt17integral_constantIbLb1EES1E_EEDaS19_S1A_EUlS19_E_NS1_11comp_targetILNS1_3genE5ELNS1_11target_archE942ELNS1_3gpuE9ELNS1_3repE0EEENS1_30default_config_static_selectorELNS0_4arch9wavefront6targetE0EEEvT1_.has_indirect_call, 0
	.section	.AMDGPU.csdata,"",@progbits
; Kernel info:
; codeLenInByte = 0
; TotalNumSgprs: 0
; NumVgprs: 0
; ScratchSize: 0
; MemoryBound: 0
; FloatMode: 240
; IeeeMode: 1
; LDSByteSize: 0 bytes/workgroup (compile time only)
; SGPRBlocks: 0
; VGPRBlocks: 0
; NumSGPRsForWavesPerEU: 1
; NumVGPRsForWavesPerEU: 1
; NamedBarCnt: 0
; Occupancy: 16
; WaveLimiterHint : 0
; COMPUTE_PGM_RSRC2:SCRATCH_EN: 0
; COMPUTE_PGM_RSRC2:USER_SGPR: 2
; COMPUTE_PGM_RSRC2:TRAP_HANDLER: 0
; COMPUTE_PGM_RSRC2:TGID_X_EN: 1
; COMPUTE_PGM_RSRC2:TGID_Y_EN: 0
; COMPUTE_PGM_RSRC2:TGID_Z_EN: 0
; COMPUTE_PGM_RSRC2:TIDIG_COMP_CNT: 0
	.section	.text._ZN7rocprim17ROCPRIM_400000_NS6detail17trampoline_kernelINS0_14default_configENS1_25partition_config_selectorILNS1_17partition_subalgoE8ElNS0_10empty_typeEbEEZZNS1_14partition_implILS5_8ELb0ES3_jPlPS6_PKS6_NS0_5tupleIJS9_S6_EEENSD_IJSA_SA_EEENS0_18inequality_wrapperIZN2at6native12_GLOBAL__N_124unique_dim_cuda_templateIN3c104HalfEEESt5tupleIJNSH_6TensorESO_SO_EERKSO_lbbbEUlllE0_EEPmJS6_EEE10hipError_tPvRmT3_T4_T5_T6_T7_T9_mT8_P12ihipStream_tbDpT10_ENKUlT_T0_E_clISt17integral_constantIbLb1EES1E_EEDaS19_S1A_EUlS19_E_NS1_11comp_targetILNS1_3genE4ELNS1_11target_archE910ELNS1_3gpuE8ELNS1_3repE0EEENS1_30default_config_static_selectorELNS0_4arch9wavefront6targetE0EEEvT1_,"axG",@progbits,_ZN7rocprim17ROCPRIM_400000_NS6detail17trampoline_kernelINS0_14default_configENS1_25partition_config_selectorILNS1_17partition_subalgoE8ElNS0_10empty_typeEbEEZZNS1_14partition_implILS5_8ELb0ES3_jPlPS6_PKS6_NS0_5tupleIJS9_S6_EEENSD_IJSA_SA_EEENS0_18inequality_wrapperIZN2at6native12_GLOBAL__N_124unique_dim_cuda_templateIN3c104HalfEEESt5tupleIJNSH_6TensorESO_SO_EERKSO_lbbbEUlllE0_EEPmJS6_EEE10hipError_tPvRmT3_T4_T5_T6_T7_T9_mT8_P12ihipStream_tbDpT10_ENKUlT_T0_E_clISt17integral_constantIbLb1EES1E_EEDaS19_S1A_EUlS19_E_NS1_11comp_targetILNS1_3genE4ELNS1_11target_archE910ELNS1_3gpuE8ELNS1_3repE0EEENS1_30default_config_static_selectorELNS0_4arch9wavefront6targetE0EEEvT1_,comdat
	.globl	_ZN7rocprim17ROCPRIM_400000_NS6detail17trampoline_kernelINS0_14default_configENS1_25partition_config_selectorILNS1_17partition_subalgoE8ElNS0_10empty_typeEbEEZZNS1_14partition_implILS5_8ELb0ES3_jPlPS6_PKS6_NS0_5tupleIJS9_S6_EEENSD_IJSA_SA_EEENS0_18inequality_wrapperIZN2at6native12_GLOBAL__N_124unique_dim_cuda_templateIN3c104HalfEEESt5tupleIJNSH_6TensorESO_SO_EERKSO_lbbbEUlllE0_EEPmJS6_EEE10hipError_tPvRmT3_T4_T5_T6_T7_T9_mT8_P12ihipStream_tbDpT10_ENKUlT_T0_E_clISt17integral_constantIbLb1EES1E_EEDaS19_S1A_EUlS19_E_NS1_11comp_targetILNS1_3genE4ELNS1_11target_archE910ELNS1_3gpuE8ELNS1_3repE0EEENS1_30default_config_static_selectorELNS0_4arch9wavefront6targetE0EEEvT1_ ; -- Begin function _ZN7rocprim17ROCPRIM_400000_NS6detail17trampoline_kernelINS0_14default_configENS1_25partition_config_selectorILNS1_17partition_subalgoE8ElNS0_10empty_typeEbEEZZNS1_14partition_implILS5_8ELb0ES3_jPlPS6_PKS6_NS0_5tupleIJS9_S6_EEENSD_IJSA_SA_EEENS0_18inequality_wrapperIZN2at6native12_GLOBAL__N_124unique_dim_cuda_templateIN3c104HalfEEESt5tupleIJNSH_6TensorESO_SO_EERKSO_lbbbEUlllE0_EEPmJS6_EEE10hipError_tPvRmT3_T4_T5_T6_T7_T9_mT8_P12ihipStream_tbDpT10_ENKUlT_T0_E_clISt17integral_constantIbLb1EES1E_EEDaS19_S1A_EUlS19_E_NS1_11comp_targetILNS1_3genE4ELNS1_11target_archE910ELNS1_3gpuE8ELNS1_3repE0EEENS1_30default_config_static_selectorELNS0_4arch9wavefront6targetE0EEEvT1_
	.p2align	8
	.type	_ZN7rocprim17ROCPRIM_400000_NS6detail17trampoline_kernelINS0_14default_configENS1_25partition_config_selectorILNS1_17partition_subalgoE8ElNS0_10empty_typeEbEEZZNS1_14partition_implILS5_8ELb0ES3_jPlPS6_PKS6_NS0_5tupleIJS9_S6_EEENSD_IJSA_SA_EEENS0_18inequality_wrapperIZN2at6native12_GLOBAL__N_124unique_dim_cuda_templateIN3c104HalfEEESt5tupleIJNSH_6TensorESO_SO_EERKSO_lbbbEUlllE0_EEPmJS6_EEE10hipError_tPvRmT3_T4_T5_T6_T7_T9_mT8_P12ihipStream_tbDpT10_ENKUlT_T0_E_clISt17integral_constantIbLb1EES1E_EEDaS19_S1A_EUlS19_E_NS1_11comp_targetILNS1_3genE4ELNS1_11target_archE910ELNS1_3gpuE8ELNS1_3repE0EEENS1_30default_config_static_selectorELNS0_4arch9wavefront6targetE0EEEvT1_,@function
_ZN7rocprim17ROCPRIM_400000_NS6detail17trampoline_kernelINS0_14default_configENS1_25partition_config_selectorILNS1_17partition_subalgoE8ElNS0_10empty_typeEbEEZZNS1_14partition_implILS5_8ELb0ES3_jPlPS6_PKS6_NS0_5tupleIJS9_S6_EEENSD_IJSA_SA_EEENS0_18inequality_wrapperIZN2at6native12_GLOBAL__N_124unique_dim_cuda_templateIN3c104HalfEEESt5tupleIJNSH_6TensorESO_SO_EERKSO_lbbbEUlllE0_EEPmJS6_EEE10hipError_tPvRmT3_T4_T5_T6_T7_T9_mT8_P12ihipStream_tbDpT10_ENKUlT_T0_E_clISt17integral_constantIbLb1EES1E_EEDaS19_S1A_EUlS19_E_NS1_11comp_targetILNS1_3genE4ELNS1_11target_archE910ELNS1_3gpuE8ELNS1_3repE0EEENS1_30default_config_static_selectorELNS0_4arch9wavefront6targetE0EEEvT1_: ; @_ZN7rocprim17ROCPRIM_400000_NS6detail17trampoline_kernelINS0_14default_configENS1_25partition_config_selectorILNS1_17partition_subalgoE8ElNS0_10empty_typeEbEEZZNS1_14partition_implILS5_8ELb0ES3_jPlPS6_PKS6_NS0_5tupleIJS9_S6_EEENSD_IJSA_SA_EEENS0_18inequality_wrapperIZN2at6native12_GLOBAL__N_124unique_dim_cuda_templateIN3c104HalfEEESt5tupleIJNSH_6TensorESO_SO_EERKSO_lbbbEUlllE0_EEPmJS6_EEE10hipError_tPvRmT3_T4_T5_T6_T7_T9_mT8_P12ihipStream_tbDpT10_ENKUlT_T0_E_clISt17integral_constantIbLb1EES1E_EEDaS19_S1A_EUlS19_E_NS1_11comp_targetILNS1_3genE4ELNS1_11target_archE910ELNS1_3gpuE8ELNS1_3repE0EEENS1_30default_config_static_selectorELNS0_4arch9wavefront6targetE0EEEvT1_
; %bb.0:
	.section	.rodata,"a",@progbits
	.p2align	6, 0x0
	.amdhsa_kernel _ZN7rocprim17ROCPRIM_400000_NS6detail17trampoline_kernelINS0_14default_configENS1_25partition_config_selectorILNS1_17partition_subalgoE8ElNS0_10empty_typeEbEEZZNS1_14partition_implILS5_8ELb0ES3_jPlPS6_PKS6_NS0_5tupleIJS9_S6_EEENSD_IJSA_SA_EEENS0_18inequality_wrapperIZN2at6native12_GLOBAL__N_124unique_dim_cuda_templateIN3c104HalfEEESt5tupleIJNSH_6TensorESO_SO_EERKSO_lbbbEUlllE0_EEPmJS6_EEE10hipError_tPvRmT3_T4_T5_T6_T7_T9_mT8_P12ihipStream_tbDpT10_ENKUlT_T0_E_clISt17integral_constantIbLb1EES1E_EEDaS19_S1A_EUlS19_E_NS1_11comp_targetILNS1_3genE4ELNS1_11target_archE910ELNS1_3gpuE8ELNS1_3repE0EEENS1_30default_config_static_selectorELNS0_4arch9wavefront6targetE0EEEvT1_
		.amdhsa_group_segment_fixed_size 0
		.amdhsa_private_segment_fixed_size 0
		.amdhsa_kernarg_size 136
		.amdhsa_user_sgpr_count 2
		.amdhsa_user_sgpr_dispatch_ptr 0
		.amdhsa_user_sgpr_queue_ptr 0
		.amdhsa_user_sgpr_kernarg_segment_ptr 1
		.amdhsa_user_sgpr_dispatch_id 0
		.amdhsa_user_sgpr_kernarg_preload_length 0
		.amdhsa_user_sgpr_kernarg_preload_offset 0
		.amdhsa_user_sgpr_private_segment_size 0
		.amdhsa_wavefront_size32 1
		.amdhsa_uses_dynamic_stack 0
		.amdhsa_enable_private_segment 0
		.amdhsa_system_sgpr_workgroup_id_x 1
		.amdhsa_system_sgpr_workgroup_id_y 0
		.amdhsa_system_sgpr_workgroup_id_z 0
		.amdhsa_system_sgpr_workgroup_info 0
		.amdhsa_system_vgpr_workitem_id 0
		.amdhsa_next_free_vgpr 1
		.amdhsa_next_free_sgpr 1
		.amdhsa_named_barrier_count 0
		.amdhsa_reserve_vcc 0
		.amdhsa_float_round_mode_32 0
		.amdhsa_float_round_mode_16_64 0
		.amdhsa_float_denorm_mode_32 3
		.amdhsa_float_denorm_mode_16_64 3
		.amdhsa_fp16_overflow 0
		.amdhsa_memory_ordered 1
		.amdhsa_forward_progress 1
		.amdhsa_inst_pref_size 0
		.amdhsa_round_robin_scheduling 0
		.amdhsa_exception_fp_ieee_invalid_op 0
		.amdhsa_exception_fp_denorm_src 0
		.amdhsa_exception_fp_ieee_div_zero 0
		.amdhsa_exception_fp_ieee_overflow 0
		.amdhsa_exception_fp_ieee_underflow 0
		.amdhsa_exception_fp_ieee_inexact 0
		.amdhsa_exception_int_div_zero 0
	.end_amdhsa_kernel
	.section	.text._ZN7rocprim17ROCPRIM_400000_NS6detail17trampoline_kernelINS0_14default_configENS1_25partition_config_selectorILNS1_17partition_subalgoE8ElNS0_10empty_typeEbEEZZNS1_14partition_implILS5_8ELb0ES3_jPlPS6_PKS6_NS0_5tupleIJS9_S6_EEENSD_IJSA_SA_EEENS0_18inequality_wrapperIZN2at6native12_GLOBAL__N_124unique_dim_cuda_templateIN3c104HalfEEESt5tupleIJNSH_6TensorESO_SO_EERKSO_lbbbEUlllE0_EEPmJS6_EEE10hipError_tPvRmT3_T4_T5_T6_T7_T9_mT8_P12ihipStream_tbDpT10_ENKUlT_T0_E_clISt17integral_constantIbLb1EES1E_EEDaS19_S1A_EUlS19_E_NS1_11comp_targetILNS1_3genE4ELNS1_11target_archE910ELNS1_3gpuE8ELNS1_3repE0EEENS1_30default_config_static_selectorELNS0_4arch9wavefront6targetE0EEEvT1_,"axG",@progbits,_ZN7rocprim17ROCPRIM_400000_NS6detail17trampoline_kernelINS0_14default_configENS1_25partition_config_selectorILNS1_17partition_subalgoE8ElNS0_10empty_typeEbEEZZNS1_14partition_implILS5_8ELb0ES3_jPlPS6_PKS6_NS0_5tupleIJS9_S6_EEENSD_IJSA_SA_EEENS0_18inequality_wrapperIZN2at6native12_GLOBAL__N_124unique_dim_cuda_templateIN3c104HalfEEESt5tupleIJNSH_6TensorESO_SO_EERKSO_lbbbEUlllE0_EEPmJS6_EEE10hipError_tPvRmT3_T4_T5_T6_T7_T9_mT8_P12ihipStream_tbDpT10_ENKUlT_T0_E_clISt17integral_constantIbLb1EES1E_EEDaS19_S1A_EUlS19_E_NS1_11comp_targetILNS1_3genE4ELNS1_11target_archE910ELNS1_3gpuE8ELNS1_3repE0EEENS1_30default_config_static_selectorELNS0_4arch9wavefront6targetE0EEEvT1_,comdat
.Lfunc_end1307:
	.size	_ZN7rocprim17ROCPRIM_400000_NS6detail17trampoline_kernelINS0_14default_configENS1_25partition_config_selectorILNS1_17partition_subalgoE8ElNS0_10empty_typeEbEEZZNS1_14partition_implILS5_8ELb0ES3_jPlPS6_PKS6_NS0_5tupleIJS9_S6_EEENSD_IJSA_SA_EEENS0_18inequality_wrapperIZN2at6native12_GLOBAL__N_124unique_dim_cuda_templateIN3c104HalfEEESt5tupleIJNSH_6TensorESO_SO_EERKSO_lbbbEUlllE0_EEPmJS6_EEE10hipError_tPvRmT3_T4_T5_T6_T7_T9_mT8_P12ihipStream_tbDpT10_ENKUlT_T0_E_clISt17integral_constantIbLb1EES1E_EEDaS19_S1A_EUlS19_E_NS1_11comp_targetILNS1_3genE4ELNS1_11target_archE910ELNS1_3gpuE8ELNS1_3repE0EEENS1_30default_config_static_selectorELNS0_4arch9wavefront6targetE0EEEvT1_, .Lfunc_end1307-_ZN7rocprim17ROCPRIM_400000_NS6detail17trampoline_kernelINS0_14default_configENS1_25partition_config_selectorILNS1_17partition_subalgoE8ElNS0_10empty_typeEbEEZZNS1_14partition_implILS5_8ELb0ES3_jPlPS6_PKS6_NS0_5tupleIJS9_S6_EEENSD_IJSA_SA_EEENS0_18inequality_wrapperIZN2at6native12_GLOBAL__N_124unique_dim_cuda_templateIN3c104HalfEEESt5tupleIJNSH_6TensorESO_SO_EERKSO_lbbbEUlllE0_EEPmJS6_EEE10hipError_tPvRmT3_T4_T5_T6_T7_T9_mT8_P12ihipStream_tbDpT10_ENKUlT_T0_E_clISt17integral_constantIbLb1EES1E_EEDaS19_S1A_EUlS19_E_NS1_11comp_targetILNS1_3genE4ELNS1_11target_archE910ELNS1_3gpuE8ELNS1_3repE0EEENS1_30default_config_static_selectorELNS0_4arch9wavefront6targetE0EEEvT1_
                                        ; -- End function
	.set _ZN7rocprim17ROCPRIM_400000_NS6detail17trampoline_kernelINS0_14default_configENS1_25partition_config_selectorILNS1_17partition_subalgoE8ElNS0_10empty_typeEbEEZZNS1_14partition_implILS5_8ELb0ES3_jPlPS6_PKS6_NS0_5tupleIJS9_S6_EEENSD_IJSA_SA_EEENS0_18inequality_wrapperIZN2at6native12_GLOBAL__N_124unique_dim_cuda_templateIN3c104HalfEEESt5tupleIJNSH_6TensorESO_SO_EERKSO_lbbbEUlllE0_EEPmJS6_EEE10hipError_tPvRmT3_T4_T5_T6_T7_T9_mT8_P12ihipStream_tbDpT10_ENKUlT_T0_E_clISt17integral_constantIbLb1EES1E_EEDaS19_S1A_EUlS19_E_NS1_11comp_targetILNS1_3genE4ELNS1_11target_archE910ELNS1_3gpuE8ELNS1_3repE0EEENS1_30default_config_static_selectorELNS0_4arch9wavefront6targetE0EEEvT1_.num_vgpr, 0
	.set _ZN7rocprim17ROCPRIM_400000_NS6detail17trampoline_kernelINS0_14default_configENS1_25partition_config_selectorILNS1_17partition_subalgoE8ElNS0_10empty_typeEbEEZZNS1_14partition_implILS5_8ELb0ES3_jPlPS6_PKS6_NS0_5tupleIJS9_S6_EEENSD_IJSA_SA_EEENS0_18inequality_wrapperIZN2at6native12_GLOBAL__N_124unique_dim_cuda_templateIN3c104HalfEEESt5tupleIJNSH_6TensorESO_SO_EERKSO_lbbbEUlllE0_EEPmJS6_EEE10hipError_tPvRmT3_T4_T5_T6_T7_T9_mT8_P12ihipStream_tbDpT10_ENKUlT_T0_E_clISt17integral_constantIbLb1EES1E_EEDaS19_S1A_EUlS19_E_NS1_11comp_targetILNS1_3genE4ELNS1_11target_archE910ELNS1_3gpuE8ELNS1_3repE0EEENS1_30default_config_static_selectorELNS0_4arch9wavefront6targetE0EEEvT1_.num_agpr, 0
	.set _ZN7rocprim17ROCPRIM_400000_NS6detail17trampoline_kernelINS0_14default_configENS1_25partition_config_selectorILNS1_17partition_subalgoE8ElNS0_10empty_typeEbEEZZNS1_14partition_implILS5_8ELb0ES3_jPlPS6_PKS6_NS0_5tupleIJS9_S6_EEENSD_IJSA_SA_EEENS0_18inequality_wrapperIZN2at6native12_GLOBAL__N_124unique_dim_cuda_templateIN3c104HalfEEESt5tupleIJNSH_6TensorESO_SO_EERKSO_lbbbEUlllE0_EEPmJS6_EEE10hipError_tPvRmT3_T4_T5_T6_T7_T9_mT8_P12ihipStream_tbDpT10_ENKUlT_T0_E_clISt17integral_constantIbLb1EES1E_EEDaS19_S1A_EUlS19_E_NS1_11comp_targetILNS1_3genE4ELNS1_11target_archE910ELNS1_3gpuE8ELNS1_3repE0EEENS1_30default_config_static_selectorELNS0_4arch9wavefront6targetE0EEEvT1_.numbered_sgpr, 0
	.set _ZN7rocprim17ROCPRIM_400000_NS6detail17trampoline_kernelINS0_14default_configENS1_25partition_config_selectorILNS1_17partition_subalgoE8ElNS0_10empty_typeEbEEZZNS1_14partition_implILS5_8ELb0ES3_jPlPS6_PKS6_NS0_5tupleIJS9_S6_EEENSD_IJSA_SA_EEENS0_18inequality_wrapperIZN2at6native12_GLOBAL__N_124unique_dim_cuda_templateIN3c104HalfEEESt5tupleIJNSH_6TensorESO_SO_EERKSO_lbbbEUlllE0_EEPmJS6_EEE10hipError_tPvRmT3_T4_T5_T6_T7_T9_mT8_P12ihipStream_tbDpT10_ENKUlT_T0_E_clISt17integral_constantIbLb1EES1E_EEDaS19_S1A_EUlS19_E_NS1_11comp_targetILNS1_3genE4ELNS1_11target_archE910ELNS1_3gpuE8ELNS1_3repE0EEENS1_30default_config_static_selectorELNS0_4arch9wavefront6targetE0EEEvT1_.num_named_barrier, 0
	.set _ZN7rocprim17ROCPRIM_400000_NS6detail17trampoline_kernelINS0_14default_configENS1_25partition_config_selectorILNS1_17partition_subalgoE8ElNS0_10empty_typeEbEEZZNS1_14partition_implILS5_8ELb0ES3_jPlPS6_PKS6_NS0_5tupleIJS9_S6_EEENSD_IJSA_SA_EEENS0_18inequality_wrapperIZN2at6native12_GLOBAL__N_124unique_dim_cuda_templateIN3c104HalfEEESt5tupleIJNSH_6TensorESO_SO_EERKSO_lbbbEUlllE0_EEPmJS6_EEE10hipError_tPvRmT3_T4_T5_T6_T7_T9_mT8_P12ihipStream_tbDpT10_ENKUlT_T0_E_clISt17integral_constantIbLb1EES1E_EEDaS19_S1A_EUlS19_E_NS1_11comp_targetILNS1_3genE4ELNS1_11target_archE910ELNS1_3gpuE8ELNS1_3repE0EEENS1_30default_config_static_selectorELNS0_4arch9wavefront6targetE0EEEvT1_.private_seg_size, 0
	.set _ZN7rocprim17ROCPRIM_400000_NS6detail17trampoline_kernelINS0_14default_configENS1_25partition_config_selectorILNS1_17partition_subalgoE8ElNS0_10empty_typeEbEEZZNS1_14partition_implILS5_8ELb0ES3_jPlPS6_PKS6_NS0_5tupleIJS9_S6_EEENSD_IJSA_SA_EEENS0_18inequality_wrapperIZN2at6native12_GLOBAL__N_124unique_dim_cuda_templateIN3c104HalfEEESt5tupleIJNSH_6TensorESO_SO_EERKSO_lbbbEUlllE0_EEPmJS6_EEE10hipError_tPvRmT3_T4_T5_T6_T7_T9_mT8_P12ihipStream_tbDpT10_ENKUlT_T0_E_clISt17integral_constantIbLb1EES1E_EEDaS19_S1A_EUlS19_E_NS1_11comp_targetILNS1_3genE4ELNS1_11target_archE910ELNS1_3gpuE8ELNS1_3repE0EEENS1_30default_config_static_selectorELNS0_4arch9wavefront6targetE0EEEvT1_.uses_vcc, 0
	.set _ZN7rocprim17ROCPRIM_400000_NS6detail17trampoline_kernelINS0_14default_configENS1_25partition_config_selectorILNS1_17partition_subalgoE8ElNS0_10empty_typeEbEEZZNS1_14partition_implILS5_8ELb0ES3_jPlPS6_PKS6_NS0_5tupleIJS9_S6_EEENSD_IJSA_SA_EEENS0_18inequality_wrapperIZN2at6native12_GLOBAL__N_124unique_dim_cuda_templateIN3c104HalfEEESt5tupleIJNSH_6TensorESO_SO_EERKSO_lbbbEUlllE0_EEPmJS6_EEE10hipError_tPvRmT3_T4_T5_T6_T7_T9_mT8_P12ihipStream_tbDpT10_ENKUlT_T0_E_clISt17integral_constantIbLb1EES1E_EEDaS19_S1A_EUlS19_E_NS1_11comp_targetILNS1_3genE4ELNS1_11target_archE910ELNS1_3gpuE8ELNS1_3repE0EEENS1_30default_config_static_selectorELNS0_4arch9wavefront6targetE0EEEvT1_.uses_flat_scratch, 0
	.set _ZN7rocprim17ROCPRIM_400000_NS6detail17trampoline_kernelINS0_14default_configENS1_25partition_config_selectorILNS1_17partition_subalgoE8ElNS0_10empty_typeEbEEZZNS1_14partition_implILS5_8ELb0ES3_jPlPS6_PKS6_NS0_5tupleIJS9_S6_EEENSD_IJSA_SA_EEENS0_18inequality_wrapperIZN2at6native12_GLOBAL__N_124unique_dim_cuda_templateIN3c104HalfEEESt5tupleIJNSH_6TensorESO_SO_EERKSO_lbbbEUlllE0_EEPmJS6_EEE10hipError_tPvRmT3_T4_T5_T6_T7_T9_mT8_P12ihipStream_tbDpT10_ENKUlT_T0_E_clISt17integral_constantIbLb1EES1E_EEDaS19_S1A_EUlS19_E_NS1_11comp_targetILNS1_3genE4ELNS1_11target_archE910ELNS1_3gpuE8ELNS1_3repE0EEENS1_30default_config_static_selectorELNS0_4arch9wavefront6targetE0EEEvT1_.has_dyn_sized_stack, 0
	.set _ZN7rocprim17ROCPRIM_400000_NS6detail17trampoline_kernelINS0_14default_configENS1_25partition_config_selectorILNS1_17partition_subalgoE8ElNS0_10empty_typeEbEEZZNS1_14partition_implILS5_8ELb0ES3_jPlPS6_PKS6_NS0_5tupleIJS9_S6_EEENSD_IJSA_SA_EEENS0_18inequality_wrapperIZN2at6native12_GLOBAL__N_124unique_dim_cuda_templateIN3c104HalfEEESt5tupleIJNSH_6TensorESO_SO_EERKSO_lbbbEUlllE0_EEPmJS6_EEE10hipError_tPvRmT3_T4_T5_T6_T7_T9_mT8_P12ihipStream_tbDpT10_ENKUlT_T0_E_clISt17integral_constantIbLb1EES1E_EEDaS19_S1A_EUlS19_E_NS1_11comp_targetILNS1_3genE4ELNS1_11target_archE910ELNS1_3gpuE8ELNS1_3repE0EEENS1_30default_config_static_selectorELNS0_4arch9wavefront6targetE0EEEvT1_.has_recursion, 0
	.set _ZN7rocprim17ROCPRIM_400000_NS6detail17trampoline_kernelINS0_14default_configENS1_25partition_config_selectorILNS1_17partition_subalgoE8ElNS0_10empty_typeEbEEZZNS1_14partition_implILS5_8ELb0ES3_jPlPS6_PKS6_NS0_5tupleIJS9_S6_EEENSD_IJSA_SA_EEENS0_18inequality_wrapperIZN2at6native12_GLOBAL__N_124unique_dim_cuda_templateIN3c104HalfEEESt5tupleIJNSH_6TensorESO_SO_EERKSO_lbbbEUlllE0_EEPmJS6_EEE10hipError_tPvRmT3_T4_T5_T6_T7_T9_mT8_P12ihipStream_tbDpT10_ENKUlT_T0_E_clISt17integral_constantIbLb1EES1E_EEDaS19_S1A_EUlS19_E_NS1_11comp_targetILNS1_3genE4ELNS1_11target_archE910ELNS1_3gpuE8ELNS1_3repE0EEENS1_30default_config_static_selectorELNS0_4arch9wavefront6targetE0EEEvT1_.has_indirect_call, 0
	.section	.AMDGPU.csdata,"",@progbits
; Kernel info:
; codeLenInByte = 0
; TotalNumSgprs: 0
; NumVgprs: 0
; ScratchSize: 0
; MemoryBound: 0
; FloatMode: 240
; IeeeMode: 1
; LDSByteSize: 0 bytes/workgroup (compile time only)
; SGPRBlocks: 0
; VGPRBlocks: 0
; NumSGPRsForWavesPerEU: 1
; NumVGPRsForWavesPerEU: 1
; NamedBarCnt: 0
; Occupancy: 16
; WaveLimiterHint : 0
; COMPUTE_PGM_RSRC2:SCRATCH_EN: 0
; COMPUTE_PGM_RSRC2:USER_SGPR: 2
; COMPUTE_PGM_RSRC2:TRAP_HANDLER: 0
; COMPUTE_PGM_RSRC2:TGID_X_EN: 1
; COMPUTE_PGM_RSRC2:TGID_Y_EN: 0
; COMPUTE_PGM_RSRC2:TGID_Z_EN: 0
; COMPUTE_PGM_RSRC2:TIDIG_COMP_CNT: 0
	.section	.text._ZN7rocprim17ROCPRIM_400000_NS6detail17trampoline_kernelINS0_14default_configENS1_25partition_config_selectorILNS1_17partition_subalgoE8ElNS0_10empty_typeEbEEZZNS1_14partition_implILS5_8ELb0ES3_jPlPS6_PKS6_NS0_5tupleIJS9_S6_EEENSD_IJSA_SA_EEENS0_18inequality_wrapperIZN2at6native12_GLOBAL__N_124unique_dim_cuda_templateIN3c104HalfEEESt5tupleIJNSH_6TensorESO_SO_EERKSO_lbbbEUlllE0_EEPmJS6_EEE10hipError_tPvRmT3_T4_T5_T6_T7_T9_mT8_P12ihipStream_tbDpT10_ENKUlT_T0_E_clISt17integral_constantIbLb1EES1E_EEDaS19_S1A_EUlS19_E_NS1_11comp_targetILNS1_3genE3ELNS1_11target_archE908ELNS1_3gpuE7ELNS1_3repE0EEENS1_30default_config_static_selectorELNS0_4arch9wavefront6targetE0EEEvT1_,"axG",@progbits,_ZN7rocprim17ROCPRIM_400000_NS6detail17trampoline_kernelINS0_14default_configENS1_25partition_config_selectorILNS1_17partition_subalgoE8ElNS0_10empty_typeEbEEZZNS1_14partition_implILS5_8ELb0ES3_jPlPS6_PKS6_NS0_5tupleIJS9_S6_EEENSD_IJSA_SA_EEENS0_18inequality_wrapperIZN2at6native12_GLOBAL__N_124unique_dim_cuda_templateIN3c104HalfEEESt5tupleIJNSH_6TensorESO_SO_EERKSO_lbbbEUlllE0_EEPmJS6_EEE10hipError_tPvRmT3_T4_T5_T6_T7_T9_mT8_P12ihipStream_tbDpT10_ENKUlT_T0_E_clISt17integral_constantIbLb1EES1E_EEDaS19_S1A_EUlS19_E_NS1_11comp_targetILNS1_3genE3ELNS1_11target_archE908ELNS1_3gpuE7ELNS1_3repE0EEENS1_30default_config_static_selectorELNS0_4arch9wavefront6targetE0EEEvT1_,comdat
	.globl	_ZN7rocprim17ROCPRIM_400000_NS6detail17trampoline_kernelINS0_14default_configENS1_25partition_config_selectorILNS1_17partition_subalgoE8ElNS0_10empty_typeEbEEZZNS1_14partition_implILS5_8ELb0ES3_jPlPS6_PKS6_NS0_5tupleIJS9_S6_EEENSD_IJSA_SA_EEENS0_18inequality_wrapperIZN2at6native12_GLOBAL__N_124unique_dim_cuda_templateIN3c104HalfEEESt5tupleIJNSH_6TensorESO_SO_EERKSO_lbbbEUlllE0_EEPmJS6_EEE10hipError_tPvRmT3_T4_T5_T6_T7_T9_mT8_P12ihipStream_tbDpT10_ENKUlT_T0_E_clISt17integral_constantIbLb1EES1E_EEDaS19_S1A_EUlS19_E_NS1_11comp_targetILNS1_3genE3ELNS1_11target_archE908ELNS1_3gpuE7ELNS1_3repE0EEENS1_30default_config_static_selectorELNS0_4arch9wavefront6targetE0EEEvT1_ ; -- Begin function _ZN7rocprim17ROCPRIM_400000_NS6detail17trampoline_kernelINS0_14default_configENS1_25partition_config_selectorILNS1_17partition_subalgoE8ElNS0_10empty_typeEbEEZZNS1_14partition_implILS5_8ELb0ES3_jPlPS6_PKS6_NS0_5tupleIJS9_S6_EEENSD_IJSA_SA_EEENS0_18inequality_wrapperIZN2at6native12_GLOBAL__N_124unique_dim_cuda_templateIN3c104HalfEEESt5tupleIJNSH_6TensorESO_SO_EERKSO_lbbbEUlllE0_EEPmJS6_EEE10hipError_tPvRmT3_T4_T5_T6_T7_T9_mT8_P12ihipStream_tbDpT10_ENKUlT_T0_E_clISt17integral_constantIbLb1EES1E_EEDaS19_S1A_EUlS19_E_NS1_11comp_targetILNS1_3genE3ELNS1_11target_archE908ELNS1_3gpuE7ELNS1_3repE0EEENS1_30default_config_static_selectorELNS0_4arch9wavefront6targetE0EEEvT1_
	.p2align	8
	.type	_ZN7rocprim17ROCPRIM_400000_NS6detail17trampoline_kernelINS0_14default_configENS1_25partition_config_selectorILNS1_17partition_subalgoE8ElNS0_10empty_typeEbEEZZNS1_14partition_implILS5_8ELb0ES3_jPlPS6_PKS6_NS0_5tupleIJS9_S6_EEENSD_IJSA_SA_EEENS0_18inequality_wrapperIZN2at6native12_GLOBAL__N_124unique_dim_cuda_templateIN3c104HalfEEESt5tupleIJNSH_6TensorESO_SO_EERKSO_lbbbEUlllE0_EEPmJS6_EEE10hipError_tPvRmT3_T4_T5_T6_T7_T9_mT8_P12ihipStream_tbDpT10_ENKUlT_T0_E_clISt17integral_constantIbLb1EES1E_EEDaS19_S1A_EUlS19_E_NS1_11comp_targetILNS1_3genE3ELNS1_11target_archE908ELNS1_3gpuE7ELNS1_3repE0EEENS1_30default_config_static_selectorELNS0_4arch9wavefront6targetE0EEEvT1_,@function
_ZN7rocprim17ROCPRIM_400000_NS6detail17trampoline_kernelINS0_14default_configENS1_25partition_config_selectorILNS1_17partition_subalgoE8ElNS0_10empty_typeEbEEZZNS1_14partition_implILS5_8ELb0ES3_jPlPS6_PKS6_NS0_5tupleIJS9_S6_EEENSD_IJSA_SA_EEENS0_18inequality_wrapperIZN2at6native12_GLOBAL__N_124unique_dim_cuda_templateIN3c104HalfEEESt5tupleIJNSH_6TensorESO_SO_EERKSO_lbbbEUlllE0_EEPmJS6_EEE10hipError_tPvRmT3_T4_T5_T6_T7_T9_mT8_P12ihipStream_tbDpT10_ENKUlT_T0_E_clISt17integral_constantIbLb1EES1E_EEDaS19_S1A_EUlS19_E_NS1_11comp_targetILNS1_3genE3ELNS1_11target_archE908ELNS1_3gpuE7ELNS1_3repE0EEENS1_30default_config_static_selectorELNS0_4arch9wavefront6targetE0EEEvT1_: ; @_ZN7rocprim17ROCPRIM_400000_NS6detail17trampoline_kernelINS0_14default_configENS1_25partition_config_selectorILNS1_17partition_subalgoE8ElNS0_10empty_typeEbEEZZNS1_14partition_implILS5_8ELb0ES3_jPlPS6_PKS6_NS0_5tupleIJS9_S6_EEENSD_IJSA_SA_EEENS0_18inequality_wrapperIZN2at6native12_GLOBAL__N_124unique_dim_cuda_templateIN3c104HalfEEESt5tupleIJNSH_6TensorESO_SO_EERKSO_lbbbEUlllE0_EEPmJS6_EEE10hipError_tPvRmT3_T4_T5_T6_T7_T9_mT8_P12ihipStream_tbDpT10_ENKUlT_T0_E_clISt17integral_constantIbLb1EES1E_EEDaS19_S1A_EUlS19_E_NS1_11comp_targetILNS1_3genE3ELNS1_11target_archE908ELNS1_3gpuE7ELNS1_3repE0EEENS1_30default_config_static_selectorELNS0_4arch9wavefront6targetE0EEEvT1_
; %bb.0:
	.section	.rodata,"a",@progbits
	.p2align	6, 0x0
	.amdhsa_kernel _ZN7rocprim17ROCPRIM_400000_NS6detail17trampoline_kernelINS0_14default_configENS1_25partition_config_selectorILNS1_17partition_subalgoE8ElNS0_10empty_typeEbEEZZNS1_14partition_implILS5_8ELb0ES3_jPlPS6_PKS6_NS0_5tupleIJS9_S6_EEENSD_IJSA_SA_EEENS0_18inequality_wrapperIZN2at6native12_GLOBAL__N_124unique_dim_cuda_templateIN3c104HalfEEESt5tupleIJNSH_6TensorESO_SO_EERKSO_lbbbEUlllE0_EEPmJS6_EEE10hipError_tPvRmT3_T4_T5_T6_T7_T9_mT8_P12ihipStream_tbDpT10_ENKUlT_T0_E_clISt17integral_constantIbLb1EES1E_EEDaS19_S1A_EUlS19_E_NS1_11comp_targetILNS1_3genE3ELNS1_11target_archE908ELNS1_3gpuE7ELNS1_3repE0EEENS1_30default_config_static_selectorELNS0_4arch9wavefront6targetE0EEEvT1_
		.amdhsa_group_segment_fixed_size 0
		.amdhsa_private_segment_fixed_size 0
		.amdhsa_kernarg_size 136
		.amdhsa_user_sgpr_count 2
		.amdhsa_user_sgpr_dispatch_ptr 0
		.amdhsa_user_sgpr_queue_ptr 0
		.amdhsa_user_sgpr_kernarg_segment_ptr 1
		.amdhsa_user_sgpr_dispatch_id 0
		.amdhsa_user_sgpr_kernarg_preload_length 0
		.amdhsa_user_sgpr_kernarg_preload_offset 0
		.amdhsa_user_sgpr_private_segment_size 0
		.amdhsa_wavefront_size32 1
		.amdhsa_uses_dynamic_stack 0
		.amdhsa_enable_private_segment 0
		.amdhsa_system_sgpr_workgroup_id_x 1
		.amdhsa_system_sgpr_workgroup_id_y 0
		.amdhsa_system_sgpr_workgroup_id_z 0
		.amdhsa_system_sgpr_workgroup_info 0
		.amdhsa_system_vgpr_workitem_id 0
		.amdhsa_next_free_vgpr 1
		.amdhsa_next_free_sgpr 1
		.amdhsa_named_barrier_count 0
		.amdhsa_reserve_vcc 0
		.amdhsa_float_round_mode_32 0
		.amdhsa_float_round_mode_16_64 0
		.amdhsa_float_denorm_mode_32 3
		.amdhsa_float_denorm_mode_16_64 3
		.amdhsa_fp16_overflow 0
		.amdhsa_memory_ordered 1
		.amdhsa_forward_progress 1
		.amdhsa_inst_pref_size 0
		.amdhsa_round_robin_scheduling 0
		.amdhsa_exception_fp_ieee_invalid_op 0
		.amdhsa_exception_fp_denorm_src 0
		.amdhsa_exception_fp_ieee_div_zero 0
		.amdhsa_exception_fp_ieee_overflow 0
		.amdhsa_exception_fp_ieee_underflow 0
		.amdhsa_exception_fp_ieee_inexact 0
		.amdhsa_exception_int_div_zero 0
	.end_amdhsa_kernel
	.section	.text._ZN7rocprim17ROCPRIM_400000_NS6detail17trampoline_kernelINS0_14default_configENS1_25partition_config_selectorILNS1_17partition_subalgoE8ElNS0_10empty_typeEbEEZZNS1_14partition_implILS5_8ELb0ES3_jPlPS6_PKS6_NS0_5tupleIJS9_S6_EEENSD_IJSA_SA_EEENS0_18inequality_wrapperIZN2at6native12_GLOBAL__N_124unique_dim_cuda_templateIN3c104HalfEEESt5tupleIJNSH_6TensorESO_SO_EERKSO_lbbbEUlllE0_EEPmJS6_EEE10hipError_tPvRmT3_T4_T5_T6_T7_T9_mT8_P12ihipStream_tbDpT10_ENKUlT_T0_E_clISt17integral_constantIbLb1EES1E_EEDaS19_S1A_EUlS19_E_NS1_11comp_targetILNS1_3genE3ELNS1_11target_archE908ELNS1_3gpuE7ELNS1_3repE0EEENS1_30default_config_static_selectorELNS0_4arch9wavefront6targetE0EEEvT1_,"axG",@progbits,_ZN7rocprim17ROCPRIM_400000_NS6detail17trampoline_kernelINS0_14default_configENS1_25partition_config_selectorILNS1_17partition_subalgoE8ElNS0_10empty_typeEbEEZZNS1_14partition_implILS5_8ELb0ES3_jPlPS6_PKS6_NS0_5tupleIJS9_S6_EEENSD_IJSA_SA_EEENS0_18inequality_wrapperIZN2at6native12_GLOBAL__N_124unique_dim_cuda_templateIN3c104HalfEEESt5tupleIJNSH_6TensorESO_SO_EERKSO_lbbbEUlllE0_EEPmJS6_EEE10hipError_tPvRmT3_T4_T5_T6_T7_T9_mT8_P12ihipStream_tbDpT10_ENKUlT_T0_E_clISt17integral_constantIbLb1EES1E_EEDaS19_S1A_EUlS19_E_NS1_11comp_targetILNS1_3genE3ELNS1_11target_archE908ELNS1_3gpuE7ELNS1_3repE0EEENS1_30default_config_static_selectorELNS0_4arch9wavefront6targetE0EEEvT1_,comdat
.Lfunc_end1308:
	.size	_ZN7rocprim17ROCPRIM_400000_NS6detail17trampoline_kernelINS0_14default_configENS1_25partition_config_selectorILNS1_17partition_subalgoE8ElNS0_10empty_typeEbEEZZNS1_14partition_implILS5_8ELb0ES3_jPlPS6_PKS6_NS0_5tupleIJS9_S6_EEENSD_IJSA_SA_EEENS0_18inequality_wrapperIZN2at6native12_GLOBAL__N_124unique_dim_cuda_templateIN3c104HalfEEESt5tupleIJNSH_6TensorESO_SO_EERKSO_lbbbEUlllE0_EEPmJS6_EEE10hipError_tPvRmT3_T4_T5_T6_T7_T9_mT8_P12ihipStream_tbDpT10_ENKUlT_T0_E_clISt17integral_constantIbLb1EES1E_EEDaS19_S1A_EUlS19_E_NS1_11comp_targetILNS1_3genE3ELNS1_11target_archE908ELNS1_3gpuE7ELNS1_3repE0EEENS1_30default_config_static_selectorELNS0_4arch9wavefront6targetE0EEEvT1_, .Lfunc_end1308-_ZN7rocprim17ROCPRIM_400000_NS6detail17trampoline_kernelINS0_14default_configENS1_25partition_config_selectorILNS1_17partition_subalgoE8ElNS0_10empty_typeEbEEZZNS1_14partition_implILS5_8ELb0ES3_jPlPS6_PKS6_NS0_5tupleIJS9_S6_EEENSD_IJSA_SA_EEENS0_18inequality_wrapperIZN2at6native12_GLOBAL__N_124unique_dim_cuda_templateIN3c104HalfEEESt5tupleIJNSH_6TensorESO_SO_EERKSO_lbbbEUlllE0_EEPmJS6_EEE10hipError_tPvRmT3_T4_T5_T6_T7_T9_mT8_P12ihipStream_tbDpT10_ENKUlT_T0_E_clISt17integral_constantIbLb1EES1E_EEDaS19_S1A_EUlS19_E_NS1_11comp_targetILNS1_3genE3ELNS1_11target_archE908ELNS1_3gpuE7ELNS1_3repE0EEENS1_30default_config_static_selectorELNS0_4arch9wavefront6targetE0EEEvT1_
                                        ; -- End function
	.set _ZN7rocprim17ROCPRIM_400000_NS6detail17trampoline_kernelINS0_14default_configENS1_25partition_config_selectorILNS1_17partition_subalgoE8ElNS0_10empty_typeEbEEZZNS1_14partition_implILS5_8ELb0ES3_jPlPS6_PKS6_NS0_5tupleIJS9_S6_EEENSD_IJSA_SA_EEENS0_18inequality_wrapperIZN2at6native12_GLOBAL__N_124unique_dim_cuda_templateIN3c104HalfEEESt5tupleIJNSH_6TensorESO_SO_EERKSO_lbbbEUlllE0_EEPmJS6_EEE10hipError_tPvRmT3_T4_T5_T6_T7_T9_mT8_P12ihipStream_tbDpT10_ENKUlT_T0_E_clISt17integral_constantIbLb1EES1E_EEDaS19_S1A_EUlS19_E_NS1_11comp_targetILNS1_3genE3ELNS1_11target_archE908ELNS1_3gpuE7ELNS1_3repE0EEENS1_30default_config_static_selectorELNS0_4arch9wavefront6targetE0EEEvT1_.num_vgpr, 0
	.set _ZN7rocprim17ROCPRIM_400000_NS6detail17trampoline_kernelINS0_14default_configENS1_25partition_config_selectorILNS1_17partition_subalgoE8ElNS0_10empty_typeEbEEZZNS1_14partition_implILS5_8ELb0ES3_jPlPS6_PKS6_NS0_5tupleIJS9_S6_EEENSD_IJSA_SA_EEENS0_18inequality_wrapperIZN2at6native12_GLOBAL__N_124unique_dim_cuda_templateIN3c104HalfEEESt5tupleIJNSH_6TensorESO_SO_EERKSO_lbbbEUlllE0_EEPmJS6_EEE10hipError_tPvRmT3_T4_T5_T6_T7_T9_mT8_P12ihipStream_tbDpT10_ENKUlT_T0_E_clISt17integral_constantIbLb1EES1E_EEDaS19_S1A_EUlS19_E_NS1_11comp_targetILNS1_3genE3ELNS1_11target_archE908ELNS1_3gpuE7ELNS1_3repE0EEENS1_30default_config_static_selectorELNS0_4arch9wavefront6targetE0EEEvT1_.num_agpr, 0
	.set _ZN7rocprim17ROCPRIM_400000_NS6detail17trampoline_kernelINS0_14default_configENS1_25partition_config_selectorILNS1_17partition_subalgoE8ElNS0_10empty_typeEbEEZZNS1_14partition_implILS5_8ELb0ES3_jPlPS6_PKS6_NS0_5tupleIJS9_S6_EEENSD_IJSA_SA_EEENS0_18inequality_wrapperIZN2at6native12_GLOBAL__N_124unique_dim_cuda_templateIN3c104HalfEEESt5tupleIJNSH_6TensorESO_SO_EERKSO_lbbbEUlllE0_EEPmJS6_EEE10hipError_tPvRmT3_T4_T5_T6_T7_T9_mT8_P12ihipStream_tbDpT10_ENKUlT_T0_E_clISt17integral_constantIbLb1EES1E_EEDaS19_S1A_EUlS19_E_NS1_11comp_targetILNS1_3genE3ELNS1_11target_archE908ELNS1_3gpuE7ELNS1_3repE0EEENS1_30default_config_static_selectorELNS0_4arch9wavefront6targetE0EEEvT1_.numbered_sgpr, 0
	.set _ZN7rocprim17ROCPRIM_400000_NS6detail17trampoline_kernelINS0_14default_configENS1_25partition_config_selectorILNS1_17partition_subalgoE8ElNS0_10empty_typeEbEEZZNS1_14partition_implILS5_8ELb0ES3_jPlPS6_PKS6_NS0_5tupleIJS9_S6_EEENSD_IJSA_SA_EEENS0_18inequality_wrapperIZN2at6native12_GLOBAL__N_124unique_dim_cuda_templateIN3c104HalfEEESt5tupleIJNSH_6TensorESO_SO_EERKSO_lbbbEUlllE0_EEPmJS6_EEE10hipError_tPvRmT3_T4_T5_T6_T7_T9_mT8_P12ihipStream_tbDpT10_ENKUlT_T0_E_clISt17integral_constantIbLb1EES1E_EEDaS19_S1A_EUlS19_E_NS1_11comp_targetILNS1_3genE3ELNS1_11target_archE908ELNS1_3gpuE7ELNS1_3repE0EEENS1_30default_config_static_selectorELNS0_4arch9wavefront6targetE0EEEvT1_.num_named_barrier, 0
	.set _ZN7rocprim17ROCPRIM_400000_NS6detail17trampoline_kernelINS0_14default_configENS1_25partition_config_selectorILNS1_17partition_subalgoE8ElNS0_10empty_typeEbEEZZNS1_14partition_implILS5_8ELb0ES3_jPlPS6_PKS6_NS0_5tupleIJS9_S6_EEENSD_IJSA_SA_EEENS0_18inequality_wrapperIZN2at6native12_GLOBAL__N_124unique_dim_cuda_templateIN3c104HalfEEESt5tupleIJNSH_6TensorESO_SO_EERKSO_lbbbEUlllE0_EEPmJS6_EEE10hipError_tPvRmT3_T4_T5_T6_T7_T9_mT8_P12ihipStream_tbDpT10_ENKUlT_T0_E_clISt17integral_constantIbLb1EES1E_EEDaS19_S1A_EUlS19_E_NS1_11comp_targetILNS1_3genE3ELNS1_11target_archE908ELNS1_3gpuE7ELNS1_3repE0EEENS1_30default_config_static_selectorELNS0_4arch9wavefront6targetE0EEEvT1_.private_seg_size, 0
	.set _ZN7rocprim17ROCPRIM_400000_NS6detail17trampoline_kernelINS0_14default_configENS1_25partition_config_selectorILNS1_17partition_subalgoE8ElNS0_10empty_typeEbEEZZNS1_14partition_implILS5_8ELb0ES3_jPlPS6_PKS6_NS0_5tupleIJS9_S6_EEENSD_IJSA_SA_EEENS0_18inequality_wrapperIZN2at6native12_GLOBAL__N_124unique_dim_cuda_templateIN3c104HalfEEESt5tupleIJNSH_6TensorESO_SO_EERKSO_lbbbEUlllE0_EEPmJS6_EEE10hipError_tPvRmT3_T4_T5_T6_T7_T9_mT8_P12ihipStream_tbDpT10_ENKUlT_T0_E_clISt17integral_constantIbLb1EES1E_EEDaS19_S1A_EUlS19_E_NS1_11comp_targetILNS1_3genE3ELNS1_11target_archE908ELNS1_3gpuE7ELNS1_3repE0EEENS1_30default_config_static_selectorELNS0_4arch9wavefront6targetE0EEEvT1_.uses_vcc, 0
	.set _ZN7rocprim17ROCPRIM_400000_NS6detail17trampoline_kernelINS0_14default_configENS1_25partition_config_selectorILNS1_17partition_subalgoE8ElNS0_10empty_typeEbEEZZNS1_14partition_implILS5_8ELb0ES3_jPlPS6_PKS6_NS0_5tupleIJS9_S6_EEENSD_IJSA_SA_EEENS0_18inequality_wrapperIZN2at6native12_GLOBAL__N_124unique_dim_cuda_templateIN3c104HalfEEESt5tupleIJNSH_6TensorESO_SO_EERKSO_lbbbEUlllE0_EEPmJS6_EEE10hipError_tPvRmT3_T4_T5_T6_T7_T9_mT8_P12ihipStream_tbDpT10_ENKUlT_T0_E_clISt17integral_constantIbLb1EES1E_EEDaS19_S1A_EUlS19_E_NS1_11comp_targetILNS1_3genE3ELNS1_11target_archE908ELNS1_3gpuE7ELNS1_3repE0EEENS1_30default_config_static_selectorELNS0_4arch9wavefront6targetE0EEEvT1_.uses_flat_scratch, 0
	.set _ZN7rocprim17ROCPRIM_400000_NS6detail17trampoline_kernelINS0_14default_configENS1_25partition_config_selectorILNS1_17partition_subalgoE8ElNS0_10empty_typeEbEEZZNS1_14partition_implILS5_8ELb0ES3_jPlPS6_PKS6_NS0_5tupleIJS9_S6_EEENSD_IJSA_SA_EEENS0_18inequality_wrapperIZN2at6native12_GLOBAL__N_124unique_dim_cuda_templateIN3c104HalfEEESt5tupleIJNSH_6TensorESO_SO_EERKSO_lbbbEUlllE0_EEPmJS6_EEE10hipError_tPvRmT3_T4_T5_T6_T7_T9_mT8_P12ihipStream_tbDpT10_ENKUlT_T0_E_clISt17integral_constantIbLb1EES1E_EEDaS19_S1A_EUlS19_E_NS1_11comp_targetILNS1_3genE3ELNS1_11target_archE908ELNS1_3gpuE7ELNS1_3repE0EEENS1_30default_config_static_selectorELNS0_4arch9wavefront6targetE0EEEvT1_.has_dyn_sized_stack, 0
	.set _ZN7rocprim17ROCPRIM_400000_NS6detail17trampoline_kernelINS0_14default_configENS1_25partition_config_selectorILNS1_17partition_subalgoE8ElNS0_10empty_typeEbEEZZNS1_14partition_implILS5_8ELb0ES3_jPlPS6_PKS6_NS0_5tupleIJS9_S6_EEENSD_IJSA_SA_EEENS0_18inequality_wrapperIZN2at6native12_GLOBAL__N_124unique_dim_cuda_templateIN3c104HalfEEESt5tupleIJNSH_6TensorESO_SO_EERKSO_lbbbEUlllE0_EEPmJS6_EEE10hipError_tPvRmT3_T4_T5_T6_T7_T9_mT8_P12ihipStream_tbDpT10_ENKUlT_T0_E_clISt17integral_constantIbLb1EES1E_EEDaS19_S1A_EUlS19_E_NS1_11comp_targetILNS1_3genE3ELNS1_11target_archE908ELNS1_3gpuE7ELNS1_3repE0EEENS1_30default_config_static_selectorELNS0_4arch9wavefront6targetE0EEEvT1_.has_recursion, 0
	.set _ZN7rocprim17ROCPRIM_400000_NS6detail17trampoline_kernelINS0_14default_configENS1_25partition_config_selectorILNS1_17partition_subalgoE8ElNS0_10empty_typeEbEEZZNS1_14partition_implILS5_8ELb0ES3_jPlPS6_PKS6_NS0_5tupleIJS9_S6_EEENSD_IJSA_SA_EEENS0_18inequality_wrapperIZN2at6native12_GLOBAL__N_124unique_dim_cuda_templateIN3c104HalfEEESt5tupleIJNSH_6TensorESO_SO_EERKSO_lbbbEUlllE0_EEPmJS6_EEE10hipError_tPvRmT3_T4_T5_T6_T7_T9_mT8_P12ihipStream_tbDpT10_ENKUlT_T0_E_clISt17integral_constantIbLb1EES1E_EEDaS19_S1A_EUlS19_E_NS1_11comp_targetILNS1_3genE3ELNS1_11target_archE908ELNS1_3gpuE7ELNS1_3repE0EEENS1_30default_config_static_selectorELNS0_4arch9wavefront6targetE0EEEvT1_.has_indirect_call, 0
	.section	.AMDGPU.csdata,"",@progbits
; Kernel info:
; codeLenInByte = 0
; TotalNumSgprs: 0
; NumVgprs: 0
; ScratchSize: 0
; MemoryBound: 0
; FloatMode: 240
; IeeeMode: 1
; LDSByteSize: 0 bytes/workgroup (compile time only)
; SGPRBlocks: 0
; VGPRBlocks: 0
; NumSGPRsForWavesPerEU: 1
; NumVGPRsForWavesPerEU: 1
; NamedBarCnt: 0
; Occupancy: 16
; WaveLimiterHint : 0
; COMPUTE_PGM_RSRC2:SCRATCH_EN: 0
; COMPUTE_PGM_RSRC2:USER_SGPR: 2
; COMPUTE_PGM_RSRC2:TRAP_HANDLER: 0
; COMPUTE_PGM_RSRC2:TGID_X_EN: 1
; COMPUTE_PGM_RSRC2:TGID_Y_EN: 0
; COMPUTE_PGM_RSRC2:TGID_Z_EN: 0
; COMPUTE_PGM_RSRC2:TIDIG_COMP_CNT: 0
	.section	.text._ZN7rocprim17ROCPRIM_400000_NS6detail17trampoline_kernelINS0_14default_configENS1_25partition_config_selectorILNS1_17partition_subalgoE8ElNS0_10empty_typeEbEEZZNS1_14partition_implILS5_8ELb0ES3_jPlPS6_PKS6_NS0_5tupleIJS9_S6_EEENSD_IJSA_SA_EEENS0_18inequality_wrapperIZN2at6native12_GLOBAL__N_124unique_dim_cuda_templateIN3c104HalfEEESt5tupleIJNSH_6TensorESO_SO_EERKSO_lbbbEUlllE0_EEPmJS6_EEE10hipError_tPvRmT3_T4_T5_T6_T7_T9_mT8_P12ihipStream_tbDpT10_ENKUlT_T0_E_clISt17integral_constantIbLb1EES1E_EEDaS19_S1A_EUlS19_E_NS1_11comp_targetILNS1_3genE2ELNS1_11target_archE906ELNS1_3gpuE6ELNS1_3repE0EEENS1_30default_config_static_selectorELNS0_4arch9wavefront6targetE0EEEvT1_,"axG",@progbits,_ZN7rocprim17ROCPRIM_400000_NS6detail17trampoline_kernelINS0_14default_configENS1_25partition_config_selectorILNS1_17partition_subalgoE8ElNS0_10empty_typeEbEEZZNS1_14partition_implILS5_8ELb0ES3_jPlPS6_PKS6_NS0_5tupleIJS9_S6_EEENSD_IJSA_SA_EEENS0_18inequality_wrapperIZN2at6native12_GLOBAL__N_124unique_dim_cuda_templateIN3c104HalfEEESt5tupleIJNSH_6TensorESO_SO_EERKSO_lbbbEUlllE0_EEPmJS6_EEE10hipError_tPvRmT3_T4_T5_T6_T7_T9_mT8_P12ihipStream_tbDpT10_ENKUlT_T0_E_clISt17integral_constantIbLb1EES1E_EEDaS19_S1A_EUlS19_E_NS1_11comp_targetILNS1_3genE2ELNS1_11target_archE906ELNS1_3gpuE6ELNS1_3repE0EEENS1_30default_config_static_selectorELNS0_4arch9wavefront6targetE0EEEvT1_,comdat
	.globl	_ZN7rocprim17ROCPRIM_400000_NS6detail17trampoline_kernelINS0_14default_configENS1_25partition_config_selectorILNS1_17partition_subalgoE8ElNS0_10empty_typeEbEEZZNS1_14partition_implILS5_8ELb0ES3_jPlPS6_PKS6_NS0_5tupleIJS9_S6_EEENSD_IJSA_SA_EEENS0_18inequality_wrapperIZN2at6native12_GLOBAL__N_124unique_dim_cuda_templateIN3c104HalfEEESt5tupleIJNSH_6TensorESO_SO_EERKSO_lbbbEUlllE0_EEPmJS6_EEE10hipError_tPvRmT3_T4_T5_T6_T7_T9_mT8_P12ihipStream_tbDpT10_ENKUlT_T0_E_clISt17integral_constantIbLb1EES1E_EEDaS19_S1A_EUlS19_E_NS1_11comp_targetILNS1_3genE2ELNS1_11target_archE906ELNS1_3gpuE6ELNS1_3repE0EEENS1_30default_config_static_selectorELNS0_4arch9wavefront6targetE0EEEvT1_ ; -- Begin function _ZN7rocprim17ROCPRIM_400000_NS6detail17trampoline_kernelINS0_14default_configENS1_25partition_config_selectorILNS1_17partition_subalgoE8ElNS0_10empty_typeEbEEZZNS1_14partition_implILS5_8ELb0ES3_jPlPS6_PKS6_NS0_5tupleIJS9_S6_EEENSD_IJSA_SA_EEENS0_18inequality_wrapperIZN2at6native12_GLOBAL__N_124unique_dim_cuda_templateIN3c104HalfEEESt5tupleIJNSH_6TensorESO_SO_EERKSO_lbbbEUlllE0_EEPmJS6_EEE10hipError_tPvRmT3_T4_T5_T6_T7_T9_mT8_P12ihipStream_tbDpT10_ENKUlT_T0_E_clISt17integral_constantIbLb1EES1E_EEDaS19_S1A_EUlS19_E_NS1_11comp_targetILNS1_3genE2ELNS1_11target_archE906ELNS1_3gpuE6ELNS1_3repE0EEENS1_30default_config_static_selectorELNS0_4arch9wavefront6targetE0EEEvT1_
	.p2align	8
	.type	_ZN7rocprim17ROCPRIM_400000_NS6detail17trampoline_kernelINS0_14default_configENS1_25partition_config_selectorILNS1_17partition_subalgoE8ElNS0_10empty_typeEbEEZZNS1_14partition_implILS5_8ELb0ES3_jPlPS6_PKS6_NS0_5tupleIJS9_S6_EEENSD_IJSA_SA_EEENS0_18inequality_wrapperIZN2at6native12_GLOBAL__N_124unique_dim_cuda_templateIN3c104HalfEEESt5tupleIJNSH_6TensorESO_SO_EERKSO_lbbbEUlllE0_EEPmJS6_EEE10hipError_tPvRmT3_T4_T5_T6_T7_T9_mT8_P12ihipStream_tbDpT10_ENKUlT_T0_E_clISt17integral_constantIbLb1EES1E_EEDaS19_S1A_EUlS19_E_NS1_11comp_targetILNS1_3genE2ELNS1_11target_archE906ELNS1_3gpuE6ELNS1_3repE0EEENS1_30default_config_static_selectorELNS0_4arch9wavefront6targetE0EEEvT1_,@function
_ZN7rocprim17ROCPRIM_400000_NS6detail17trampoline_kernelINS0_14default_configENS1_25partition_config_selectorILNS1_17partition_subalgoE8ElNS0_10empty_typeEbEEZZNS1_14partition_implILS5_8ELb0ES3_jPlPS6_PKS6_NS0_5tupleIJS9_S6_EEENSD_IJSA_SA_EEENS0_18inequality_wrapperIZN2at6native12_GLOBAL__N_124unique_dim_cuda_templateIN3c104HalfEEESt5tupleIJNSH_6TensorESO_SO_EERKSO_lbbbEUlllE0_EEPmJS6_EEE10hipError_tPvRmT3_T4_T5_T6_T7_T9_mT8_P12ihipStream_tbDpT10_ENKUlT_T0_E_clISt17integral_constantIbLb1EES1E_EEDaS19_S1A_EUlS19_E_NS1_11comp_targetILNS1_3genE2ELNS1_11target_archE906ELNS1_3gpuE6ELNS1_3repE0EEENS1_30default_config_static_selectorELNS0_4arch9wavefront6targetE0EEEvT1_: ; @_ZN7rocprim17ROCPRIM_400000_NS6detail17trampoline_kernelINS0_14default_configENS1_25partition_config_selectorILNS1_17partition_subalgoE8ElNS0_10empty_typeEbEEZZNS1_14partition_implILS5_8ELb0ES3_jPlPS6_PKS6_NS0_5tupleIJS9_S6_EEENSD_IJSA_SA_EEENS0_18inequality_wrapperIZN2at6native12_GLOBAL__N_124unique_dim_cuda_templateIN3c104HalfEEESt5tupleIJNSH_6TensorESO_SO_EERKSO_lbbbEUlllE0_EEPmJS6_EEE10hipError_tPvRmT3_T4_T5_T6_T7_T9_mT8_P12ihipStream_tbDpT10_ENKUlT_T0_E_clISt17integral_constantIbLb1EES1E_EEDaS19_S1A_EUlS19_E_NS1_11comp_targetILNS1_3genE2ELNS1_11target_archE906ELNS1_3gpuE6ELNS1_3repE0EEENS1_30default_config_static_selectorELNS0_4arch9wavefront6targetE0EEEvT1_
; %bb.0:
	.section	.rodata,"a",@progbits
	.p2align	6, 0x0
	.amdhsa_kernel _ZN7rocprim17ROCPRIM_400000_NS6detail17trampoline_kernelINS0_14default_configENS1_25partition_config_selectorILNS1_17partition_subalgoE8ElNS0_10empty_typeEbEEZZNS1_14partition_implILS5_8ELb0ES3_jPlPS6_PKS6_NS0_5tupleIJS9_S6_EEENSD_IJSA_SA_EEENS0_18inequality_wrapperIZN2at6native12_GLOBAL__N_124unique_dim_cuda_templateIN3c104HalfEEESt5tupleIJNSH_6TensorESO_SO_EERKSO_lbbbEUlllE0_EEPmJS6_EEE10hipError_tPvRmT3_T4_T5_T6_T7_T9_mT8_P12ihipStream_tbDpT10_ENKUlT_T0_E_clISt17integral_constantIbLb1EES1E_EEDaS19_S1A_EUlS19_E_NS1_11comp_targetILNS1_3genE2ELNS1_11target_archE906ELNS1_3gpuE6ELNS1_3repE0EEENS1_30default_config_static_selectorELNS0_4arch9wavefront6targetE0EEEvT1_
		.amdhsa_group_segment_fixed_size 0
		.amdhsa_private_segment_fixed_size 0
		.amdhsa_kernarg_size 136
		.amdhsa_user_sgpr_count 2
		.amdhsa_user_sgpr_dispatch_ptr 0
		.amdhsa_user_sgpr_queue_ptr 0
		.amdhsa_user_sgpr_kernarg_segment_ptr 1
		.amdhsa_user_sgpr_dispatch_id 0
		.amdhsa_user_sgpr_kernarg_preload_length 0
		.amdhsa_user_sgpr_kernarg_preload_offset 0
		.amdhsa_user_sgpr_private_segment_size 0
		.amdhsa_wavefront_size32 1
		.amdhsa_uses_dynamic_stack 0
		.amdhsa_enable_private_segment 0
		.amdhsa_system_sgpr_workgroup_id_x 1
		.amdhsa_system_sgpr_workgroup_id_y 0
		.amdhsa_system_sgpr_workgroup_id_z 0
		.amdhsa_system_sgpr_workgroup_info 0
		.amdhsa_system_vgpr_workitem_id 0
		.amdhsa_next_free_vgpr 1
		.amdhsa_next_free_sgpr 1
		.amdhsa_named_barrier_count 0
		.amdhsa_reserve_vcc 0
		.amdhsa_float_round_mode_32 0
		.amdhsa_float_round_mode_16_64 0
		.amdhsa_float_denorm_mode_32 3
		.amdhsa_float_denorm_mode_16_64 3
		.amdhsa_fp16_overflow 0
		.amdhsa_memory_ordered 1
		.amdhsa_forward_progress 1
		.amdhsa_inst_pref_size 0
		.amdhsa_round_robin_scheduling 0
		.amdhsa_exception_fp_ieee_invalid_op 0
		.amdhsa_exception_fp_denorm_src 0
		.amdhsa_exception_fp_ieee_div_zero 0
		.amdhsa_exception_fp_ieee_overflow 0
		.amdhsa_exception_fp_ieee_underflow 0
		.amdhsa_exception_fp_ieee_inexact 0
		.amdhsa_exception_int_div_zero 0
	.end_amdhsa_kernel
	.section	.text._ZN7rocprim17ROCPRIM_400000_NS6detail17trampoline_kernelINS0_14default_configENS1_25partition_config_selectorILNS1_17partition_subalgoE8ElNS0_10empty_typeEbEEZZNS1_14partition_implILS5_8ELb0ES3_jPlPS6_PKS6_NS0_5tupleIJS9_S6_EEENSD_IJSA_SA_EEENS0_18inequality_wrapperIZN2at6native12_GLOBAL__N_124unique_dim_cuda_templateIN3c104HalfEEESt5tupleIJNSH_6TensorESO_SO_EERKSO_lbbbEUlllE0_EEPmJS6_EEE10hipError_tPvRmT3_T4_T5_T6_T7_T9_mT8_P12ihipStream_tbDpT10_ENKUlT_T0_E_clISt17integral_constantIbLb1EES1E_EEDaS19_S1A_EUlS19_E_NS1_11comp_targetILNS1_3genE2ELNS1_11target_archE906ELNS1_3gpuE6ELNS1_3repE0EEENS1_30default_config_static_selectorELNS0_4arch9wavefront6targetE0EEEvT1_,"axG",@progbits,_ZN7rocprim17ROCPRIM_400000_NS6detail17trampoline_kernelINS0_14default_configENS1_25partition_config_selectorILNS1_17partition_subalgoE8ElNS0_10empty_typeEbEEZZNS1_14partition_implILS5_8ELb0ES3_jPlPS6_PKS6_NS0_5tupleIJS9_S6_EEENSD_IJSA_SA_EEENS0_18inequality_wrapperIZN2at6native12_GLOBAL__N_124unique_dim_cuda_templateIN3c104HalfEEESt5tupleIJNSH_6TensorESO_SO_EERKSO_lbbbEUlllE0_EEPmJS6_EEE10hipError_tPvRmT3_T4_T5_T6_T7_T9_mT8_P12ihipStream_tbDpT10_ENKUlT_T0_E_clISt17integral_constantIbLb1EES1E_EEDaS19_S1A_EUlS19_E_NS1_11comp_targetILNS1_3genE2ELNS1_11target_archE906ELNS1_3gpuE6ELNS1_3repE0EEENS1_30default_config_static_selectorELNS0_4arch9wavefront6targetE0EEEvT1_,comdat
.Lfunc_end1309:
	.size	_ZN7rocprim17ROCPRIM_400000_NS6detail17trampoline_kernelINS0_14default_configENS1_25partition_config_selectorILNS1_17partition_subalgoE8ElNS0_10empty_typeEbEEZZNS1_14partition_implILS5_8ELb0ES3_jPlPS6_PKS6_NS0_5tupleIJS9_S6_EEENSD_IJSA_SA_EEENS0_18inequality_wrapperIZN2at6native12_GLOBAL__N_124unique_dim_cuda_templateIN3c104HalfEEESt5tupleIJNSH_6TensorESO_SO_EERKSO_lbbbEUlllE0_EEPmJS6_EEE10hipError_tPvRmT3_T4_T5_T6_T7_T9_mT8_P12ihipStream_tbDpT10_ENKUlT_T0_E_clISt17integral_constantIbLb1EES1E_EEDaS19_S1A_EUlS19_E_NS1_11comp_targetILNS1_3genE2ELNS1_11target_archE906ELNS1_3gpuE6ELNS1_3repE0EEENS1_30default_config_static_selectorELNS0_4arch9wavefront6targetE0EEEvT1_, .Lfunc_end1309-_ZN7rocprim17ROCPRIM_400000_NS6detail17trampoline_kernelINS0_14default_configENS1_25partition_config_selectorILNS1_17partition_subalgoE8ElNS0_10empty_typeEbEEZZNS1_14partition_implILS5_8ELb0ES3_jPlPS6_PKS6_NS0_5tupleIJS9_S6_EEENSD_IJSA_SA_EEENS0_18inequality_wrapperIZN2at6native12_GLOBAL__N_124unique_dim_cuda_templateIN3c104HalfEEESt5tupleIJNSH_6TensorESO_SO_EERKSO_lbbbEUlllE0_EEPmJS6_EEE10hipError_tPvRmT3_T4_T5_T6_T7_T9_mT8_P12ihipStream_tbDpT10_ENKUlT_T0_E_clISt17integral_constantIbLb1EES1E_EEDaS19_S1A_EUlS19_E_NS1_11comp_targetILNS1_3genE2ELNS1_11target_archE906ELNS1_3gpuE6ELNS1_3repE0EEENS1_30default_config_static_selectorELNS0_4arch9wavefront6targetE0EEEvT1_
                                        ; -- End function
	.set _ZN7rocprim17ROCPRIM_400000_NS6detail17trampoline_kernelINS0_14default_configENS1_25partition_config_selectorILNS1_17partition_subalgoE8ElNS0_10empty_typeEbEEZZNS1_14partition_implILS5_8ELb0ES3_jPlPS6_PKS6_NS0_5tupleIJS9_S6_EEENSD_IJSA_SA_EEENS0_18inequality_wrapperIZN2at6native12_GLOBAL__N_124unique_dim_cuda_templateIN3c104HalfEEESt5tupleIJNSH_6TensorESO_SO_EERKSO_lbbbEUlllE0_EEPmJS6_EEE10hipError_tPvRmT3_T4_T5_T6_T7_T9_mT8_P12ihipStream_tbDpT10_ENKUlT_T0_E_clISt17integral_constantIbLb1EES1E_EEDaS19_S1A_EUlS19_E_NS1_11comp_targetILNS1_3genE2ELNS1_11target_archE906ELNS1_3gpuE6ELNS1_3repE0EEENS1_30default_config_static_selectorELNS0_4arch9wavefront6targetE0EEEvT1_.num_vgpr, 0
	.set _ZN7rocprim17ROCPRIM_400000_NS6detail17trampoline_kernelINS0_14default_configENS1_25partition_config_selectorILNS1_17partition_subalgoE8ElNS0_10empty_typeEbEEZZNS1_14partition_implILS5_8ELb0ES3_jPlPS6_PKS6_NS0_5tupleIJS9_S6_EEENSD_IJSA_SA_EEENS0_18inequality_wrapperIZN2at6native12_GLOBAL__N_124unique_dim_cuda_templateIN3c104HalfEEESt5tupleIJNSH_6TensorESO_SO_EERKSO_lbbbEUlllE0_EEPmJS6_EEE10hipError_tPvRmT3_T4_T5_T6_T7_T9_mT8_P12ihipStream_tbDpT10_ENKUlT_T0_E_clISt17integral_constantIbLb1EES1E_EEDaS19_S1A_EUlS19_E_NS1_11comp_targetILNS1_3genE2ELNS1_11target_archE906ELNS1_3gpuE6ELNS1_3repE0EEENS1_30default_config_static_selectorELNS0_4arch9wavefront6targetE0EEEvT1_.num_agpr, 0
	.set _ZN7rocprim17ROCPRIM_400000_NS6detail17trampoline_kernelINS0_14default_configENS1_25partition_config_selectorILNS1_17partition_subalgoE8ElNS0_10empty_typeEbEEZZNS1_14partition_implILS5_8ELb0ES3_jPlPS6_PKS6_NS0_5tupleIJS9_S6_EEENSD_IJSA_SA_EEENS0_18inequality_wrapperIZN2at6native12_GLOBAL__N_124unique_dim_cuda_templateIN3c104HalfEEESt5tupleIJNSH_6TensorESO_SO_EERKSO_lbbbEUlllE0_EEPmJS6_EEE10hipError_tPvRmT3_T4_T5_T6_T7_T9_mT8_P12ihipStream_tbDpT10_ENKUlT_T0_E_clISt17integral_constantIbLb1EES1E_EEDaS19_S1A_EUlS19_E_NS1_11comp_targetILNS1_3genE2ELNS1_11target_archE906ELNS1_3gpuE6ELNS1_3repE0EEENS1_30default_config_static_selectorELNS0_4arch9wavefront6targetE0EEEvT1_.numbered_sgpr, 0
	.set _ZN7rocprim17ROCPRIM_400000_NS6detail17trampoline_kernelINS0_14default_configENS1_25partition_config_selectorILNS1_17partition_subalgoE8ElNS0_10empty_typeEbEEZZNS1_14partition_implILS5_8ELb0ES3_jPlPS6_PKS6_NS0_5tupleIJS9_S6_EEENSD_IJSA_SA_EEENS0_18inequality_wrapperIZN2at6native12_GLOBAL__N_124unique_dim_cuda_templateIN3c104HalfEEESt5tupleIJNSH_6TensorESO_SO_EERKSO_lbbbEUlllE0_EEPmJS6_EEE10hipError_tPvRmT3_T4_T5_T6_T7_T9_mT8_P12ihipStream_tbDpT10_ENKUlT_T0_E_clISt17integral_constantIbLb1EES1E_EEDaS19_S1A_EUlS19_E_NS1_11comp_targetILNS1_3genE2ELNS1_11target_archE906ELNS1_3gpuE6ELNS1_3repE0EEENS1_30default_config_static_selectorELNS0_4arch9wavefront6targetE0EEEvT1_.num_named_barrier, 0
	.set _ZN7rocprim17ROCPRIM_400000_NS6detail17trampoline_kernelINS0_14default_configENS1_25partition_config_selectorILNS1_17partition_subalgoE8ElNS0_10empty_typeEbEEZZNS1_14partition_implILS5_8ELb0ES3_jPlPS6_PKS6_NS0_5tupleIJS9_S6_EEENSD_IJSA_SA_EEENS0_18inequality_wrapperIZN2at6native12_GLOBAL__N_124unique_dim_cuda_templateIN3c104HalfEEESt5tupleIJNSH_6TensorESO_SO_EERKSO_lbbbEUlllE0_EEPmJS6_EEE10hipError_tPvRmT3_T4_T5_T6_T7_T9_mT8_P12ihipStream_tbDpT10_ENKUlT_T0_E_clISt17integral_constantIbLb1EES1E_EEDaS19_S1A_EUlS19_E_NS1_11comp_targetILNS1_3genE2ELNS1_11target_archE906ELNS1_3gpuE6ELNS1_3repE0EEENS1_30default_config_static_selectorELNS0_4arch9wavefront6targetE0EEEvT1_.private_seg_size, 0
	.set _ZN7rocprim17ROCPRIM_400000_NS6detail17trampoline_kernelINS0_14default_configENS1_25partition_config_selectorILNS1_17partition_subalgoE8ElNS0_10empty_typeEbEEZZNS1_14partition_implILS5_8ELb0ES3_jPlPS6_PKS6_NS0_5tupleIJS9_S6_EEENSD_IJSA_SA_EEENS0_18inequality_wrapperIZN2at6native12_GLOBAL__N_124unique_dim_cuda_templateIN3c104HalfEEESt5tupleIJNSH_6TensorESO_SO_EERKSO_lbbbEUlllE0_EEPmJS6_EEE10hipError_tPvRmT3_T4_T5_T6_T7_T9_mT8_P12ihipStream_tbDpT10_ENKUlT_T0_E_clISt17integral_constantIbLb1EES1E_EEDaS19_S1A_EUlS19_E_NS1_11comp_targetILNS1_3genE2ELNS1_11target_archE906ELNS1_3gpuE6ELNS1_3repE0EEENS1_30default_config_static_selectorELNS0_4arch9wavefront6targetE0EEEvT1_.uses_vcc, 0
	.set _ZN7rocprim17ROCPRIM_400000_NS6detail17trampoline_kernelINS0_14default_configENS1_25partition_config_selectorILNS1_17partition_subalgoE8ElNS0_10empty_typeEbEEZZNS1_14partition_implILS5_8ELb0ES3_jPlPS6_PKS6_NS0_5tupleIJS9_S6_EEENSD_IJSA_SA_EEENS0_18inequality_wrapperIZN2at6native12_GLOBAL__N_124unique_dim_cuda_templateIN3c104HalfEEESt5tupleIJNSH_6TensorESO_SO_EERKSO_lbbbEUlllE0_EEPmJS6_EEE10hipError_tPvRmT3_T4_T5_T6_T7_T9_mT8_P12ihipStream_tbDpT10_ENKUlT_T0_E_clISt17integral_constantIbLb1EES1E_EEDaS19_S1A_EUlS19_E_NS1_11comp_targetILNS1_3genE2ELNS1_11target_archE906ELNS1_3gpuE6ELNS1_3repE0EEENS1_30default_config_static_selectorELNS0_4arch9wavefront6targetE0EEEvT1_.uses_flat_scratch, 0
	.set _ZN7rocprim17ROCPRIM_400000_NS6detail17trampoline_kernelINS0_14default_configENS1_25partition_config_selectorILNS1_17partition_subalgoE8ElNS0_10empty_typeEbEEZZNS1_14partition_implILS5_8ELb0ES3_jPlPS6_PKS6_NS0_5tupleIJS9_S6_EEENSD_IJSA_SA_EEENS0_18inequality_wrapperIZN2at6native12_GLOBAL__N_124unique_dim_cuda_templateIN3c104HalfEEESt5tupleIJNSH_6TensorESO_SO_EERKSO_lbbbEUlllE0_EEPmJS6_EEE10hipError_tPvRmT3_T4_T5_T6_T7_T9_mT8_P12ihipStream_tbDpT10_ENKUlT_T0_E_clISt17integral_constantIbLb1EES1E_EEDaS19_S1A_EUlS19_E_NS1_11comp_targetILNS1_3genE2ELNS1_11target_archE906ELNS1_3gpuE6ELNS1_3repE0EEENS1_30default_config_static_selectorELNS0_4arch9wavefront6targetE0EEEvT1_.has_dyn_sized_stack, 0
	.set _ZN7rocprim17ROCPRIM_400000_NS6detail17trampoline_kernelINS0_14default_configENS1_25partition_config_selectorILNS1_17partition_subalgoE8ElNS0_10empty_typeEbEEZZNS1_14partition_implILS5_8ELb0ES3_jPlPS6_PKS6_NS0_5tupleIJS9_S6_EEENSD_IJSA_SA_EEENS0_18inequality_wrapperIZN2at6native12_GLOBAL__N_124unique_dim_cuda_templateIN3c104HalfEEESt5tupleIJNSH_6TensorESO_SO_EERKSO_lbbbEUlllE0_EEPmJS6_EEE10hipError_tPvRmT3_T4_T5_T6_T7_T9_mT8_P12ihipStream_tbDpT10_ENKUlT_T0_E_clISt17integral_constantIbLb1EES1E_EEDaS19_S1A_EUlS19_E_NS1_11comp_targetILNS1_3genE2ELNS1_11target_archE906ELNS1_3gpuE6ELNS1_3repE0EEENS1_30default_config_static_selectorELNS0_4arch9wavefront6targetE0EEEvT1_.has_recursion, 0
	.set _ZN7rocprim17ROCPRIM_400000_NS6detail17trampoline_kernelINS0_14default_configENS1_25partition_config_selectorILNS1_17partition_subalgoE8ElNS0_10empty_typeEbEEZZNS1_14partition_implILS5_8ELb0ES3_jPlPS6_PKS6_NS0_5tupleIJS9_S6_EEENSD_IJSA_SA_EEENS0_18inequality_wrapperIZN2at6native12_GLOBAL__N_124unique_dim_cuda_templateIN3c104HalfEEESt5tupleIJNSH_6TensorESO_SO_EERKSO_lbbbEUlllE0_EEPmJS6_EEE10hipError_tPvRmT3_T4_T5_T6_T7_T9_mT8_P12ihipStream_tbDpT10_ENKUlT_T0_E_clISt17integral_constantIbLb1EES1E_EEDaS19_S1A_EUlS19_E_NS1_11comp_targetILNS1_3genE2ELNS1_11target_archE906ELNS1_3gpuE6ELNS1_3repE0EEENS1_30default_config_static_selectorELNS0_4arch9wavefront6targetE0EEEvT1_.has_indirect_call, 0
	.section	.AMDGPU.csdata,"",@progbits
; Kernel info:
; codeLenInByte = 0
; TotalNumSgprs: 0
; NumVgprs: 0
; ScratchSize: 0
; MemoryBound: 0
; FloatMode: 240
; IeeeMode: 1
; LDSByteSize: 0 bytes/workgroup (compile time only)
; SGPRBlocks: 0
; VGPRBlocks: 0
; NumSGPRsForWavesPerEU: 1
; NumVGPRsForWavesPerEU: 1
; NamedBarCnt: 0
; Occupancy: 16
; WaveLimiterHint : 0
; COMPUTE_PGM_RSRC2:SCRATCH_EN: 0
; COMPUTE_PGM_RSRC2:USER_SGPR: 2
; COMPUTE_PGM_RSRC2:TRAP_HANDLER: 0
; COMPUTE_PGM_RSRC2:TGID_X_EN: 1
; COMPUTE_PGM_RSRC2:TGID_Y_EN: 0
; COMPUTE_PGM_RSRC2:TGID_Z_EN: 0
; COMPUTE_PGM_RSRC2:TIDIG_COMP_CNT: 0
	.section	.text._ZN7rocprim17ROCPRIM_400000_NS6detail17trampoline_kernelINS0_14default_configENS1_25partition_config_selectorILNS1_17partition_subalgoE8ElNS0_10empty_typeEbEEZZNS1_14partition_implILS5_8ELb0ES3_jPlPS6_PKS6_NS0_5tupleIJS9_S6_EEENSD_IJSA_SA_EEENS0_18inequality_wrapperIZN2at6native12_GLOBAL__N_124unique_dim_cuda_templateIN3c104HalfEEESt5tupleIJNSH_6TensorESO_SO_EERKSO_lbbbEUlllE0_EEPmJS6_EEE10hipError_tPvRmT3_T4_T5_T6_T7_T9_mT8_P12ihipStream_tbDpT10_ENKUlT_T0_E_clISt17integral_constantIbLb1EES1E_EEDaS19_S1A_EUlS19_E_NS1_11comp_targetILNS1_3genE10ELNS1_11target_archE1200ELNS1_3gpuE4ELNS1_3repE0EEENS1_30default_config_static_selectorELNS0_4arch9wavefront6targetE0EEEvT1_,"axG",@progbits,_ZN7rocprim17ROCPRIM_400000_NS6detail17trampoline_kernelINS0_14default_configENS1_25partition_config_selectorILNS1_17partition_subalgoE8ElNS0_10empty_typeEbEEZZNS1_14partition_implILS5_8ELb0ES3_jPlPS6_PKS6_NS0_5tupleIJS9_S6_EEENSD_IJSA_SA_EEENS0_18inequality_wrapperIZN2at6native12_GLOBAL__N_124unique_dim_cuda_templateIN3c104HalfEEESt5tupleIJNSH_6TensorESO_SO_EERKSO_lbbbEUlllE0_EEPmJS6_EEE10hipError_tPvRmT3_T4_T5_T6_T7_T9_mT8_P12ihipStream_tbDpT10_ENKUlT_T0_E_clISt17integral_constantIbLb1EES1E_EEDaS19_S1A_EUlS19_E_NS1_11comp_targetILNS1_3genE10ELNS1_11target_archE1200ELNS1_3gpuE4ELNS1_3repE0EEENS1_30default_config_static_selectorELNS0_4arch9wavefront6targetE0EEEvT1_,comdat
	.globl	_ZN7rocprim17ROCPRIM_400000_NS6detail17trampoline_kernelINS0_14default_configENS1_25partition_config_selectorILNS1_17partition_subalgoE8ElNS0_10empty_typeEbEEZZNS1_14partition_implILS5_8ELb0ES3_jPlPS6_PKS6_NS0_5tupleIJS9_S6_EEENSD_IJSA_SA_EEENS0_18inequality_wrapperIZN2at6native12_GLOBAL__N_124unique_dim_cuda_templateIN3c104HalfEEESt5tupleIJNSH_6TensorESO_SO_EERKSO_lbbbEUlllE0_EEPmJS6_EEE10hipError_tPvRmT3_T4_T5_T6_T7_T9_mT8_P12ihipStream_tbDpT10_ENKUlT_T0_E_clISt17integral_constantIbLb1EES1E_EEDaS19_S1A_EUlS19_E_NS1_11comp_targetILNS1_3genE10ELNS1_11target_archE1200ELNS1_3gpuE4ELNS1_3repE0EEENS1_30default_config_static_selectorELNS0_4arch9wavefront6targetE0EEEvT1_ ; -- Begin function _ZN7rocprim17ROCPRIM_400000_NS6detail17trampoline_kernelINS0_14default_configENS1_25partition_config_selectorILNS1_17partition_subalgoE8ElNS0_10empty_typeEbEEZZNS1_14partition_implILS5_8ELb0ES3_jPlPS6_PKS6_NS0_5tupleIJS9_S6_EEENSD_IJSA_SA_EEENS0_18inequality_wrapperIZN2at6native12_GLOBAL__N_124unique_dim_cuda_templateIN3c104HalfEEESt5tupleIJNSH_6TensorESO_SO_EERKSO_lbbbEUlllE0_EEPmJS6_EEE10hipError_tPvRmT3_T4_T5_T6_T7_T9_mT8_P12ihipStream_tbDpT10_ENKUlT_T0_E_clISt17integral_constantIbLb1EES1E_EEDaS19_S1A_EUlS19_E_NS1_11comp_targetILNS1_3genE10ELNS1_11target_archE1200ELNS1_3gpuE4ELNS1_3repE0EEENS1_30default_config_static_selectorELNS0_4arch9wavefront6targetE0EEEvT1_
	.p2align	8
	.type	_ZN7rocprim17ROCPRIM_400000_NS6detail17trampoline_kernelINS0_14default_configENS1_25partition_config_selectorILNS1_17partition_subalgoE8ElNS0_10empty_typeEbEEZZNS1_14partition_implILS5_8ELb0ES3_jPlPS6_PKS6_NS0_5tupleIJS9_S6_EEENSD_IJSA_SA_EEENS0_18inequality_wrapperIZN2at6native12_GLOBAL__N_124unique_dim_cuda_templateIN3c104HalfEEESt5tupleIJNSH_6TensorESO_SO_EERKSO_lbbbEUlllE0_EEPmJS6_EEE10hipError_tPvRmT3_T4_T5_T6_T7_T9_mT8_P12ihipStream_tbDpT10_ENKUlT_T0_E_clISt17integral_constantIbLb1EES1E_EEDaS19_S1A_EUlS19_E_NS1_11comp_targetILNS1_3genE10ELNS1_11target_archE1200ELNS1_3gpuE4ELNS1_3repE0EEENS1_30default_config_static_selectorELNS0_4arch9wavefront6targetE0EEEvT1_,@function
_ZN7rocprim17ROCPRIM_400000_NS6detail17trampoline_kernelINS0_14default_configENS1_25partition_config_selectorILNS1_17partition_subalgoE8ElNS0_10empty_typeEbEEZZNS1_14partition_implILS5_8ELb0ES3_jPlPS6_PKS6_NS0_5tupleIJS9_S6_EEENSD_IJSA_SA_EEENS0_18inequality_wrapperIZN2at6native12_GLOBAL__N_124unique_dim_cuda_templateIN3c104HalfEEESt5tupleIJNSH_6TensorESO_SO_EERKSO_lbbbEUlllE0_EEPmJS6_EEE10hipError_tPvRmT3_T4_T5_T6_T7_T9_mT8_P12ihipStream_tbDpT10_ENKUlT_T0_E_clISt17integral_constantIbLb1EES1E_EEDaS19_S1A_EUlS19_E_NS1_11comp_targetILNS1_3genE10ELNS1_11target_archE1200ELNS1_3gpuE4ELNS1_3repE0EEENS1_30default_config_static_selectorELNS0_4arch9wavefront6targetE0EEEvT1_: ; @_ZN7rocprim17ROCPRIM_400000_NS6detail17trampoline_kernelINS0_14default_configENS1_25partition_config_selectorILNS1_17partition_subalgoE8ElNS0_10empty_typeEbEEZZNS1_14partition_implILS5_8ELb0ES3_jPlPS6_PKS6_NS0_5tupleIJS9_S6_EEENSD_IJSA_SA_EEENS0_18inequality_wrapperIZN2at6native12_GLOBAL__N_124unique_dim_cuda_templateIN3c104HalfEEESt5tupleIJNSH_6TensorESO_SO_EERKSO_lbbbEUlllE0_EEPmJS6_EEE10hipError_tPvRmT3_T4_T5_T6_T7_T9_mT8_P12ihipStream_tbDpT10_ENKUlT_T0_E_clISt17integral_constantIbLb1EES1E_EEDaS19_S1A_EUlS19_E_NS1_11comp_targetILNS1_3genE10ELNS1_11target_archE1200ELNS1_3gpuE4ELNS1_3repE0EEENS1_30default_config_static_selectorELNS0_4arch9wavefront6targetE0EEEvT1_
; %bb.0:
	.section	.rodata,"a",@progbits
	.p2align	6, 0x0
	.amdhsa_kernel _ZN7rocprim17ROCPRIM_400000_NS6detail17trampoline_kernelINS0_14default_configENS1_25partition_config_selectorILNS1_17partition_subalgoE8ElNS0_10empty_typeEbEEZZNS1_14partition_implILS5_8ELb0ES3_jPlPS6_PKS6_NS0_5tupleIJS9_S6_EEENSD_IJSA_SA_EEENS0_18inequality_wrapperIZN2at6native12_GLOBAL__N_124unique_dim_cuda_templateIN3c104HalfEEESt5tupleIJNSH_6TensorESO_SO_EERKSO_lbbbEUlllE0_EEPmJS6_EEE10hipError_tPvRmT3_T4_T5_T6_T7_T9_mT8_P12ihipStream_tbDpT10_ENKUlT_T0_E_clISt17integral_constantIbLb1EES1E_EEDaS19_S1A_EUlS19_E_NS1_11comp_targetILNS1_3genE10ELNS1_11target_archE1200ELNS1_3gpuE4ELNS1_3repE0EEENS1_30default_config_static_selectorELNS0_4arch9wavefront6targetE0EEEvT1_
		.amdhsa_group_segment_fixed_size 0
		.amdhsa_private_segment_fixed_size 0
		.amdhsa_kernarg_size 136
		.amdhsa_user_sgpr_count 2
		.amdhsa_user_sgpr_dispatch_ptr 0
		.amdhsa_user_sgpr_queue_ptr 0
		.amdhsa_user_sgpr_kernarg_segment_ptr 1
		.amdhsa_user_sgpr_dispatch_id 0
		.amdhsa_user_sgpr_kernarg_preload_length 0
		.amdhsa_user_sgpr_kernarg_preload_offset 0
		.amdhsa_user_sgpr_private_segment_size 0
		.amdhsa_wavefront_size32 1
		.amdhsa_uses_dynamic_stack 0
		.amdhsa_enable_private_segment 0
		.amdhsa_system_sgpr_workgroup_id_x 1
		.amdhsa_system_sgpr_workgroup_id_y 0
		.amdhsa_system_sgpr_workgroup_id_z 0
		.amdhsa_system_sgpr_workgroup_info 0
		.amdhsa_system_vgpr_workitem_id 0
		.amdhsa_next_free_vgpr 1
		.amdhsa_next_free_sgpr 1
		.amdhsa_named_barrier_count 0
		.amdhsa_reserve_vcc 0
		.amdhsa_float_round_mode_32 0
		.amdhsa_float_round_mode_16_64 0
		.amdhsa_float_denorm_mode_32 3
		.amdhsa_float_denorm_mode_16_64 3
		.amdhsa_fp16_overflow 0
		.amdhsa_memory_ordered 1
		.amdhsa_forward_progress 1
		.amdhsa_inst_pref_size 0
		.amdhsa_round_robin_scheduling 0
		.amdhsa_exception_fp_ieee_invalid_op 0
		.amdhsa_exception_fp_denorm_src 0
		.amdhsa_exception_fp_ieee_div_zero 0
		.amdhsa_exception_fp_ieee_overflow 0
		.amdhsa_exception_fp_ieee_underflow 0
		.amdhsa_exception_fp_ieee_inexact 0
		.amdhsa_exception_int_div_zero 0
	.end_amdhsa_kernel
	.section	.text._ZN7rocprim17ROCPRIM_400000_NS6detail17trampoline_kernelINS0_14default_configENS1_25partition_config_selectorILNS1_17partition_subalgoE8ElNS0_10empty_typeEbEEZZNS1_14partition_implILS5_8ELb0ES3_jPlPS6_PKS6_NS0_5tupleIJS9_S6_EEENSD_IJSA_SA_EEENS0_18inequality_wrapperIZN2at6native12_GLOBAL__N_124unique_dim_cuda_templateIN3c104HalfEEESt5tupleIJNSH_6TensorESO_SO_EERKSO_lbbbEUlllE0_EEPmJS6_EEE10hipError_tPvRmT3_T4_T5_T6_T7_T9_mT8_P12ihipStream_tbDpT10_ENKUlT_T0_E_clISt17integral_constantIbLb1EES1E_EEDaS19_S1A_EUlS19_E_NS1_11comp_targetILNS1_3genE10ELNS1_11target_archE1200ELNS1_3gpuE4ELNS1_3repE0EEENS1_30default_config_static_selectorELNS0_4arch9wavefront6targetE0EEEvT1_,"axG",@progbits,_ZN7rocprim17ROCPRIM_400000_NS6detail17trampoline_kernelINS0_14default_configENS1_25partition_config_selectorILNS1_17partition_subalgoE8ElNS0_10empty_typeEbEEZZNS1_14partition_implILS5_8ELb0ES3_jPlPS6_PKS6_NS0_5tupleIJS9_S6_EEENSD_IJSA_SA_EEENS0_18inequality_wrapperIZN2at6native12_GLOBAL__N_124unique_dim_cuda_templateIN3c104HalfEEESt5tupleIJNSH_6TensorESO_SO_EERKSO_lbbbEUlllE0_EEPmJS6_EEE10hipError_tPvRmT3_T4_T5_T6_T7_T9_mT8_P12ihipStream_tbDpT10_ENKUlT_T0_E_clISt17integral_constantIbLb1EES1E_EEDaS19_S1A_EUlS19_E_NS1_11comp_targetILNS1_3genE10ELNS1_11target_archE1200ELNS1_3gpuE4ELNS1_3repE0EEENS1_30default_config_static_selectorELNS0_4arch9wavefront6targetE0EEEvT1_,comdat
.Lfunc_end1310:
	.size	_ZN7rocprim17ROCPRIM_400000_NS6detail17trampoline_kernelINS0_14default_configENS1_25partition_config_selectorILNS1_17partition_subalgoE8ElNS0_10empty_typeEbEEZZNS1_14partition_implILS5_8ELb0ES3_jPlPS6_PKS6_NS0_5tupleIJS9_S6_EEENSD_IJSA_SA_EEENS0_18inequality_wrapperIZN2at6native12_GLOBAL__N_124unique_dim_cuda_templateIN3c104HalfEEESt5tupleIJNSH_6TensorESO_SO_EERKSO_lbbbEUlllE0_EEPmJS6_EEE10hipError_tPvRmT3_T4_T5_T6_T7_T9_mT8_P12ihipStream_tbDpT10_ENKUlT_T0_E_clISt17integral_constantIbLb1EES1E_EEDaS19_S1A_EUlS19_E_NS1_11comp_targetILNS1_3genE10ELNS1_11target_archE1200ELNS1_3gpuE4ELNS1_3repE0EEENS1_30default_config_static_selectorELNS0_4arch9wavefront6targetE0EEEvT1_, .Lfunc_end1310-_ZN7rocprim17ROCPRIM_400000_NS6detail17trampoline_kernelINS0_14default_configENS1_25partition_config_selectorILNS1_17partition_subalgoE8ElNS0_10empty_typeEbEEZZNS1_14partition_implILS5_8ELb0ES3_jPlPS6_PKS6_NS0_5tupleIJS9_S6_EEENSD_IJSA_SA_EEENS0_18inequality_wrapperIZN2at6native12_GLOBAL__N_124unique_dim_cuda_templateIN3c104HalfEEESt5tupleIJNSH_6TensorESO_SO_EERKSO_lbbbEUlllE0_EEPmJS6_EEE10hipError_tPvRmT3_T4_T5_T6_T7_T9_mT8_P12ihipStream_tbDpT10_ENKUlT_T0_E_clISt17integral_constantIbLb1EES1E_EEDaS19_S1A_EUlS19_E_NS1_11comp_targetILNS1_3genE10ELNS1_11target_archE1200ELNS1_3gpuE4ELNS1_3repE0EEENS1_30default_config_static_selectorELNS0_4arch9wavefront6targetE0EEEvT1_
                                        ; -- End function
	.set _ZN7rocprim17ROCPRIM_400000_NS6detail17trampoline_kernelINS0_14default_configENS1_25partition_config_selectorILNS1_17partition_subalgoE8ElNS0_10empty_typeEbEEZZNS1_14partition_implILS5_8ELb0ES3_jPlPS6_PKS6_NS0_5tupleIJS9_S6_EEENSD_IJSA_SA_EEENS0_18inequality_wrapperIZN2at6native12_GLOBAL__N_124unique_dim_cuda_templateIN3c104HalfEEESt5tupleIJNSH_6TensorESO_SO_EERKSO_lbbbEUlllE0_EEPmJS6_EEE10hipError_tPvRmT3_T4_T5_T6_T7_T9_mT8_P12ihipStream_tbDpT10_ENKUlT_T0_E_clISt17integral_constantIbLb1EES1E_EEDaS19_S1A_EUlS19_E_NS1_11comp_targetILNS1_3genE10ELNS1_11target_archE1200ELNS1_3gpuE4ELNS1_3repE0EEENS1_30default_config_static_selectorELNS0_4arch9wavefront6targetE0EEEvT1_.num_vgpr, 0
	.set _ZN7rocprim17ROCPRIM_400000_NS6detail17trampoline_kernelINS0_14default_configENS1_25partition_config_selectorILNS1_17partition_subalgoE8ElNS0_10empty_typeEbEEZZNS1_14partition_implILS5_8ELb0ES3_jPlPS6_PKS6_NS0_5tupleIJS9_S6_EEENSD_IJSA_SA_EEENS0_18inequality_wrapperIZN2at6native12_GLOBAL__N_124unique_dim_cuda_templateIN3c104HalfEEESt5tupleIJNSH_6TensorESO_SO_EERKSO_lbbbEUlllE0_EEPmJS6_EEE10hipError_tPvRmT3_T4_T5_T6_T7_T9_mT8_P12ihipStream_tbDpT10_ENKUlT_T0_E_clISt17integral_constantIbLb1EES1E_EEDaS19_S1A_EUlS19_E_NS1_11comp_targetILNS1_3genE10ELNS1_11target_archE1200ELNS1_3gpuE4ELNS1_3repE0EEENS1_30default_config_static_selectorELNS0_4arch9wavefront6targetE0EEEvT1_.num_agpr, 0
	.set _ZN7rocprim17ROCPRIM_400000_NS6detail17trampoline_kernelINS0_14default_configENS1_25partition_config_selectorILNS1_17partition_subalgoE8ElNS0_10empty_typeEbEEZZNS1_14partition_implILS5_8ELb0ES3_jPlPS6_PKS6_NS0_5tupleIJS9_S6_EEENSD_IJSA_SA_EEENS0_18inequality_wrapperIZN2at6native12_GLOBAL__N_124unique_dim_cuda_templateIN3c104HalfEEESt5tupleIJNSH_6TensorESO_SO_EERKSO_lbbbEUlllE0_EEPmJS6_EEE10hipError_tPvRmT3_T4_T5_T6_T7_T9_mT8_P12ihipStream_tbDpT10_ENKUlT_T0_E_clISt17integral_constantIbLb1EES1E_EEDaS19_S1A_EUlS19_E_NS1_11comp_targetILNS1_3genE10ELNS1_11target_archE1200ELNS1_3gpuE4ELNS1_3repE0EEENS1_30default_config_static_selectorELNS0_4arch9wavefront6targetE0EEEvT1_.numbered_sgpr, 0
	.set _ZN7rocprim17ROCPRIM_400000_NS6detail17trampoline_kernelINS0_14default_configENS1_25partition_config_selectorILNS1_17partition_subalgoE8ElNS0_10empty_typeEbEEZZNS1_14partition_implILS5_8ELb0ES3_jPlPS6_PKS6_NS0_5tupleIJS9_S6_EEENSD_IJSA_SA_EEENS0_18inequality_wrapperIZN2at6native12_GLOBAL__N_124unique_dim_cuda_templateIN3c104HalfEEESt5tupleIJNSH_6TensorESO_SO_EERKSO_lbbbEUlllE0_EEPmJS6_EEE10hipError_tPvRmT3_T4_T5_T6_T7_T9_mT8_P12ihipStream_tbDpT10_ENKUlT_T0_E_clISt17integral_constantIbLb1EES1E_EEDaS19_S1A_EUlS19_E_NS1_11comp_targetILNS1_3genE10ELNS1_11target_archE1200ELNS1_3gpuE4ELNS1_3repE0EEENS1_30default_config_static_selectorELNS0_4arch9wavefront6targetE0EEEvT1_.num_named_barrier, 0
	.set _ZN7rocprim17ROCPRIM_400000_NS6detail17trampoline_kernelINS0_14default_configENS1_25partition_config_selectorILNS1_17partition_subalgoE8ElNS0_10empty_typeEbEEZZNS1_14partition_implILS5_8ELb0ES3_jPlPS6_PKS6_NS0_5tupleIJS9_S6_EEENSD_IJSA_SA_EEENS0_18inequality_wrapperIZN2at6native12_GLOBAL__N_124unique_dim_cuda_templateIN3c104HalfEEESt5tupleIJNSH_6TensorESO_SO_EERKSO_lbbbEUlllE0_EEPmJS6_EEE10hipError_tPvRmT3_T4_T5_T6_T7_T9_mT8_P12ihipStream_tbDpT10_ENKUlT_T0_E_clISt17integral_constantIbLb1EES1E_EEDaS19_S1A_EUlS19_E_NS1_11comp_targetILNS1_3genE10ELNS1_11target_archE1200ELNS1_3gpuE4ELNS1_3repE0EEENS1_30default_config_static_selectorELNS0_4arch9wavefront6targetE0EEEvT1_.private_seg_size, 0
	.set _ZN7rocprim17ROCPRIM_400000_NS6detail17trampoline_kernelINS0_14default_configENS1_25partition_config_selectorILNS1_17partition_subalgoE8ElNS0_10empty_typeEbEEZZNS1_14partition_implILS5_8ELb0ES3_jPlPS6_PKS6_NS0_5tupleIJS9_S6_EEENSD_IJSA_SA_EEENS0_18inequality_wrapperIZN2at6native12_GLOBAL__N_124unique_dim_cuda_templateIN3c104HalfEEESt5tupleIJNSH_6TensorESO_SO_EERKSO_lbbbEUlllE0_EEPmJS6_EEE10hipError_tPvRmT3_T4_T5_T6_T7_T9_mT8_P12ihipStream_tbDpT10_ENKUlT_T0_E_clISt17integral_constantIbLb1EES1E_EEDaS19_S1A_EUlS19_E_NS1_11comp_targetILNS1_3genE10ELNS1_11target_archE1200ELNS1_3gpuE4ELNS1_3repE0EEENS1_30default_config_static_selectorELNS0_4arch9wavefront6targetE0EEEvT1_.uses_vcc, 0
	.set _ZN7rocprim17ROCPRIM_400000_NS6detail17trampoline_kernelINS0_14default_configENS1_25partition_config_selectorILNS1_17partition_subalgoE8ElNS0_10empty_typeEbEEZZNS1_14partition_implILS5_8ELb0ES3_jPlPS6_PKS6_NS0_5tupleIJS9_S6_EEENSD_IJSA_SA_EEENS0_18inequality_wrapperIZN2at6native12_GLOBAL__N_124unique_dim_cuda_templateIN3c104HalfEEESt5tupleIJNSH_6TensorESO_SO_EERKSO_lbbbEUlllE0_EEPmJS6_EEE10hipError_tPvRmT3_T4_T5_T6_T7_T9_mT8_P12ihipStream_tbDpT10_ENKUlT_T0_E_clISt17integral_constantIbLb1EES1E_EEDaS19_S1A_EUlS19_E_NS1_11comp_targetILNS1_3genE10ELNS1_11target_archE1200ELNS1_3gpuE4ELNS1_3repE0EEENS1_30default_config_static_selectorELNS0_4arch9wavefront6targetE0EEEvT1_.uses_flat_scratch, 0
	.set _ZN7rocprim17ROCPRIM_400000_NS6detail17trampoline_kernelINS0_14default_configENS1_25partition_config_selectorILNS1_17partition_subalgoE8ElNS0_10empty_typeEbEEZZNS1_14partition_implILS5_8ELb0ES3_jPlPS6_PKS6_NS0_5tupleIJS9_S6_EEENSD_IJSA_SA_EEENS0_18inequality_wrapperIZN2at6native12_GLOBAL__N_124unique_dim_cuda_templateIN3c104HalfEEESt5tupleIJNSH_6TensorESO_SO_EERKSO_lbbbEUlllE0_EEPmJS6_EEE10hipError_tPvRmT3_T4_T5_T6_T7_T9_mT8_P12ihipStream_tbDpT10_ENKUlT_T0_E_clISt17integral_constantIbLb1EES1E_EEDaS19_S1A_EUlS19_E_NS1_11comp_targetILNS1_3genE10ELNS1_11target_archE1200ELNS1_3gpuE4ELNS1_3repE0EEENS1_30default_config_static_selectorELNS0_4arch9wavefront6targetE0EEEvT1_.has_dyn_sized_stack, 0
	.set _ZN7rocprim17ROCPRIM_400000_NS6detail17trampoline_kernelINS0_14default_configENS1_25partition_config_selectorILNS1_17partition_subalgoE8ElNS0_10empty_typeEbEEZZNS1_14partition_implILS5_8ELb0ES3_jPlPS6_PKS6_NS0_5tupleIJS9_S6_EEENSD_IJSA_SA_EEENS0_18inequality_wrapperIZN2at6native12_GLOBAL__N_124unique_dim_cuda_templateIN3c104HalfEEESt5tupleIJNSH_6TensorESO_SO_EERKSO_lbbbEUlllE0_EEPmJS6_EEE10hipError_tPvRmT3_T4_T5_T6_T7_T9_mT8_P12ihipStream_tbDpT10_ENKUlT_T0_E_clISt17integral_constantIbLb1EES1E_EEDaS19_S1A_EUlS19_E_NS1_11comp_targetILNS1_3genE10ELNS1_11target_archE1200ELNS1_3gpuE4ELNS1_3repE0EEENS1_30default_config_static_selectorELNS0_4arch9wavefront6targetE0EEEvT1_.has_recursion, 0
	.set _ZN7rocprim17ROCPRIM_400000_NS6detail17trampoline_kernelINS0_14default_configENS1_25partition_config_selectorILNS1_17partition_subalgoE8ElNS0_10empty_typeEbEEZZNS1_14partition_implILS5_8ELb0ES3_jPlPS6_PKS6_NS0_5tupleIJS9_S6_EEENSD_IJSA_SA_EEENS0_18inequality_wrapperIZN2at6native12_GLOBAL__N_124unique_dim_cuda_templateIN3c104HalfEEESt5tupleIJNSH_6TensorESO_SO_EERKSO_lbbbEUlllE0_EEPmJS6_EEE10hipError_tPvRmT3_T4_T5_T6_T7_T9_mT8_P12ihipStream_tbDpT10_ENKUlT_T0_E_clISt17integral_constantIbLb1EES1E_EEDaS19_S1A_EUlS19_E_NS1_11comp_targetILNS1_3genE10ELNS1_11target_archE1200ELNS1_3gpuE4ELNS1_3repE0EEENS1_30default_config_static_selectorELNS0_4arch9wavefront6targetE0EEEvT1_.has_indirect_call, 0
	.section	.AMDGPU.csdata,"",@progbits
; Kernel info:
; codeLenInByte = 0
; TotalNumSgprs: 0
; NumVgprs: 0
; ScratchSize: 0
; MemoryBound: 0
; FloatMode: 240
; IeeeMode: 1
; LDSByteSize: 0 bytes/workgroup (compile time only)
; SGPRBlocks: 0
; VGPRBlocks: 0
; NumSGPRsForWavesPerEU: 1
; NumVGPRsForWavesPerEU: 1
; NamedBarCnt: 0
; Occupancy: 16
; WaveLimiterHint : 0
; COMPUTE_PGM_RSRC2:SCRATCH_EN: 0
; COMPUTE_PGM_RSRC2:USER_SGPR: 2
; COMPUTE_PGM_RSRC2:TRAP_HANDLER: 0
; COMPUTE_PGM_RSRC2:TGID_X_EN: 1
; COMPUTE_PGM_RSRC2:TGID_Y_EN: 0
; COMPUTE_PGM_RSRC2:TGID_Z_EN: 0
; COMPUTE_PGM_RSRC2:TIDIG_COMP_CNT: 0
	.section	.text._ZN7rocprim17ROCPRIM_400000_NS6detail17trampoline_kernelINS0_14default_configENS1_25partition_config_selectorILNS1_17partition_subalgoE8ElNS0_10empty_typeEbEEZZNS1_14partition_implILS5_8ELb0ES3_jPlPS6_PKS6_NS0_5tupleIJS9_S6_EEENSD_IJSA_SA_EEENS0_18inequality_wrapperIZN2at6native12_GLOBAL__N_124unique_dim_cuda_templateIN3c104HalfEEESt5tupleIJNSH_6TensorESO_SO_EERKSO_lbbbEUlllE0_EEPmJS6_EEE10hipError_tPvRmT3_T4_T5_T6_T7_T9_mT8_P12ihipStream_tbDpT10_ENKUlT_T0_E_clISt17integral_constantIbLb1EES1E_EEDaS19_S1A_EUlS19_E_NS1_11comp_targetILNS1_3genE9ELNS1_11target_archE1100ELNS1_3gpuE3ELNS1_3repE0EEENS1_30default_config_static_selectorELNS0_4arch9wavefront6targetE0EEEvT1_,"axG",@progbits,_ZN7rocprim17ROCPRIM_400000_NS6detail17trampoline_kernelINS0_14default_configENS1_25partition_config_selectorILNS1_17partition_subalgoE8ElNS0_10empty_typeEbEEZZNS1_14partition_implILS5_8ELb0ES3_jPlPS6_PKS6_NS0_5tupleIJS9_S6_EEENSD_IJSA_SA_EEENS0_18inequality_wrapperIZN2at6native12_GLOBAL__N_124unique_dim_cuda_templateIN3c104HalfEEESt5tupleIJNSH_6TensorESO_SO_EERKSO_lbbbEUlllE0_EEPmJS6_EEE10hipError_tPvRmT3_T4_T5_T6_T7_T9_mT8_P12ihipStream_tbDpT10_ENKUlT_T0_E_clISt17integral_constantIbLb1EES1E_EEDaS19_S1A_EUlS19_E_NS1_11comp_targetILNS1_3genE9ELNS1_11target_archE1100ELNS1_3gpuE3ELNS1_3repE0EEENS1_30default_config_static_selectorELNS0_4arch9wavefront6targetE0EEEvT1_,comdat
	.globl	_ZN7rocprim17ROCPRIM_400000_NS6detail17trampoline_kernelINS0_14default_configENS1_25partition_config_selectorILNS1_17partition_subalgoE8ElNS0_10empty_typeEbEEZZNS1_14partition_implILS5_8ELb0ES3_jPlPS6_PKS6_NS0_5tupleIJS9_S6_EEENSD_IJSA_SA_EEENS0_18inequality_wrapperIZN2at6native12_GLOBAL__N_124unique_dim_cuda_templateIN3c104HalfEEESt5tupleIJNSH_6TensorESO_SO_EERKSO_lbbbEUlllE0_EEPmJS6_EEE10hipError_tPvRmT3_T4_T5_T6_T7_T9_mT8_P12ihipStream_tbDpT10_ENKUlT_T0_E_clISt17integral_constantIbLb1EES1E_EEDaS19_S1A_EUlS19_E_NS1_11comp_targetILNS1_3genE9ELNS1_11target_archE1100ELNS1_3gpuE3ELNS1_3repE0EEENS1_30default_config_static_selectorELNS0_4arch9wavefront6targetE0EEEvT1_ ; -- Begin function _ZN7rocprim17ROCPRIM_400000_NS6detail17trampoline_kernelINS0_14default_configENS1_25partition_config_selectorILNS1_17partition_subalgoE8ElNS0_10empty_typeEbEEZZNS1_14partition_implILS5_8ELb0ES3_jPlPS6_PKS6_NS0_5tupleIJS9_S6_EEENSD_IJSA_SA_EEENS0_18inequality_wrapperIZN2at6native12_GLOBAL__N_124unique_dim_cuda_templateIN3c104HalfEEESt5tupleIJNSH_6TensorESO_SO_EERKSO_lbbbEUlllE0_EEPmJS6_EEE10hipError_tPvRmT3_T4_T5_T6_T7_T9_mT8_P12ihipStream_tbDpT10_ENKUlT_T0_E_clISt17integral_constantIbLb1EES1E_EEDaS19_S1A_EUlS19_E_NS1_11comp_targetILNS1_3genE9ELNS1_11target_archE1100ELNS1_3gpuE3ELNS1_3repE0EEENS1_30default_config_static_selectorELNS0_4arch9wavefront6targetE0EEEvT1_
	.p2align	8
	.type	_ZN7rocprim17ROCPRIM_400000_NS6detail17trampoline_kernelINS0_14default_configENS1_25partition_config_selectorILNS1_17partition_subalgoE8ElNS0_10empty_typeEbEEZZNS1_14partition_implILS5_8ELb0ES3_jPlPS6_PKS6_NS0_5tupleIJS9_S6_EEENSD_IJSA_SA_EEENS0_18inequality_wrapperIZN2at6native12_GLOBAL__N_124unique_dim_cuda_templateIN3c104HalfEEESt5tupleIJNSH_6TensorESO_SO_EERKSO_lbbbEUlllE0_EEPmJS6_EEE10hipError_tPvRmT3_T4_T5_T6_T7_T9_mT8_P12ihipStream_tbDpT10_ENKUlT_T0_E_clISt17integral_constantIbLb1EES1E_EEDaS19_S1A_EUlS19_E_NS1_11comp_targetILNS1_3genE9ELNS1_11target_archE1100ELNS1_3gpuE3ELNS1_3repE0EEENS1_30default_config_static_selectorELNS0_4arch9wavefront6targetE0EEEvT1_,@function
_ZN7rocprim17ROCPRIM_400000_NS6detail17trampoline_kernelINS0_14default_configENS1_25partition_config_selectorILNS1_17partition_subalgoE8ElNS0_10empty_typeEbEEZZNS1_14partition_implILS5_8ELb0ES3_jPlPS6_PKS6_NS0_5tupleIJS9_S6_EEENSD_IJSA_SA_EEENS0_18inequality_wrapperIZN2at6native12_GLOBAL__N_124unique_dim_cuda_templateIN3c104HalfEEESt5tupleIJNSH_6TensorESO_SO_EERKSO_lbbbEUlllE0_EEPmJS6_EEE10hipError_tPvRmT3_T4_T5_T6_T7_T9_mT8_P12ihipStream_tbDpT10_ENKUlT_T0_E_clISt17integral_constantIbLb1EES1E_EEDaS19_S1A_EUlS19_E_NS1_11comp_targetILNS1_3genE9ELNS1_11target_archE1100ELNS1_3gpuE3ELNS1_3repE0EEENS1_30default_config_static_selectorELNS0_4arch9wavefront6targetE0EEEvT1_: ; @_ZN7rocprim17ROCPRIM_400000_NS6detail17trampoline_kernelINS0_14default_configENS1_25partition_config_selectorILNS1_17partition_subalgoE8ElNS0_10empty_typeEbEEZZNS1_14partition_implILS5_8ELb0ES3_jPlPS6_PKS6_NS0_5tupleIJS9_S6_EEENSD_IJSA_SA_EEENS0_18inequality_wrapperIZN2at6native12_GLOBAL__N_124unique_dim_cuda_templateIN3c104HalfEEESt5tupleIJNSH_6TensorESO_SO_EERKSO_lbbbEUlllE0_EEPmJS6_EEE10hipError_tPvRmT3_T4_T5_T6_T7_T9_mT8_P12ihipStream_tbDpT10_ENKUlT_T0_E_clISt17integral_constantIbLb1EES1E_EEDaS19_S1A_EUlS19_E_NS1_11comp_targetILNS1_3genE9ELNS1_11target_archE1100ELNS1_3gpuE3ELNS1_3repE0EEENS1_30default_config_static_selectorELNS0_4arch9wavefront6targetE0EEEvT1_
; %bb.0:
	.section	.rodata,"a",@progbits
	.p2align	6, 0x0
	.amdhsa_kernel _ZN7rocprim17ROCPRIM_400000_NS6detail17trampoline_kernelINS0_14default_configENS1_25partition_config_selectorILNS1_17partition_subalgoE8ElNS0_10empty_typeEbEEZZNS1_14partition_implILS5_8ELb0ES3_jPlPS6_PKS6_NS0_5tupleIJS9_S6_EEENSD_IJSA_SA_EEENS0_18inequality_wrapperIZN2at6native12_GLOBAL__N_124unique_dim_cuda_templateIN3c104HalfEEESt5tupleIJNSH_6TensorESO_SO_EERKSO_lbbbEUlllE0_EEPmJS6_EEE10hipError_tPvRmT3_T4_T5_T6_T7_T9_mT8_P12ihipStream_tbDpT10_ENKUlT_T0_E_clISt17integral_constantIbLb1EES1E_EEDaS19_S1A_EUlS19_E_NS1_11comp_targetILNS1_3genE9ELNS1_11target_archE1100ELNS1_3gpuE3ELNS1_3repE0EEENS1_30default_config_static_selectorELNS0_4arch9wavefront6targetE0EEEvT1_
		.amdhsa_group_segment_fixed_size 0
		.amdhsa_private_segment_fixed_size 0
		.amdhsa_kernarg_size 136
		.amdhsa_user_sgpr_count 2
		.amdhsa_user_sgpr_dispatch_ptr 0
		.amdhsa_user_sgpr_queue_ptr 0
		.amdhsa_user_sgpr_kernarg_segment_ptr 1
		.amdhsa_user_sgpr_dispatch_id 0
		.amdhsa_user_sgpr_kernarg_preload_length 0
		.amdhsa_user_sgpr_kernarg_preload_offset 0
		.amdhsa_user_sgpr_private_segment_size 0
		.amdhsa_wavefront_size32 1
		.amdhsa_uses_dynamic_stack 0
		.amdhsa_enable_private_segment 0
		.amdhsa_system_sgpr_workgroup_id_x 1
		.amdhsa_system_sgpr_workgroup_id_y 0
		.amdhsa_system_sgpr_workgroup_id_z 0
		.amdhsa_system_sgpr_workgroup_info 0
		.amdhsa_system_vgpr_workitem_id 0
		.amdhsa_next_free_vgpr 1
		.amdhsa_next_free_sgpr 1
		.amdhsa_named_barrier_count 0
		.amdhsa_reserve_vcc 0
		.amdhsa_float_round_mode_32 0
		.amdhsa_float_round_mode_16_64 0
		.amdhsa_float_denorm_mode_32 3
		.amdhsa_float_denorm_mode_16_64 3
		.amdhsa_fp16_overflow 0
		.amdhsa_memory_ordered 1
		.amdhsa_forward_progress 1
		.amdhsa_inst_pref_size 0
		.amdhsa_round_robin_scheduling 0
		.amdhsa_exception_fp_ieee_invalid_op 0
		.amdhsa_exception_fp_denorm_src 0
		.amdhsa_exception_fp_ieee_div_zero 0
		.amdhsa_exception_fp_ieee_overflow 0
		.amdhsa_exception_fp_ieee_underflow 0
		.amdhsa_exception_fp_ieee_inexact 0
		.amdhsa_exception_int_div_zero 0
	.end_amdhsa_kernel
	.section	.text._ZN7rocprim17ROCPRIM_400000_NS6detail17trampoline_kernelINS0_14default_configENS1_25partition_config_selectorILNS1_17partition_subalgoE8ElNS0_10empty_typeEbEEZZNS1_14partition_implILS5_8ELb0ES3_jPlPS6_PKS6_NS0_5tupleIJS9_S6_EEENSD_IJSA_SA_EEENS0_18inequality_wrapperIZN2at6native12_GLOBAL__N_124unique_dim_cuda_templateIN3c104HalfEEESt5tupleIJNSH_6TensorESO_SO_EERKSO_lbbbEUlllE0_EEPmJS6_EEE10hipError_tPvRmT3_T4_T5_T6_T7_T9_mT8_P12ihipStream_tbDpT10_ENKUlT_T0_E_clISt17integral_constantIbLb1EES1E_EEDaS19_S1A_EUlS19_E_NS1_11comp_targetILNS1_3genE9ELNS1_11target_archE1100ELNS1_3gpuE3ELNS1_3repE0EEENS1_30default_config_static_selectorELNS0_4arch9wavefront6targetE0EEEvT1_,"axG",@progbits,_ZN7rocprim17ROCPRIM_400000_NS6detail17trampoline_kernelINS0_14default_configENS1_25partition_config_selectorILNS1_17partition_subalgoE8ElNS0_10empty_typeEbEEZZNS1_14partition_implILS5_8ELb0ES3_jPlPS6_PKS6_NS0_5tupleIJS9_S6_EEENSD_IJSA_SA_EEENS0_18inequality_wrapperIZN2at6native12_GLOBAL__N_124unique_dim_cuda_templateIN3c104HalfEEESt5tupleIJNSH_6TensorESO_SO_EERKSO_lbbbEUlllE0_EEPmJS6_EEE10hipError_tPvRmT3_T4_T5_T6_T7_T9_mT8_P12ihipStream_tbDpT10_ENKUlT_T0_E_clISt17integral_constantIbLb1EES1E_EEDaS19_S1A_EUlS19_E_NS1_11comp_targetILNS1_3genE9ELNS1_11target_archE1100ELNS1_3gpuE3ELNS1_3repE0EEENS1_30default_config_static_selectorELNS0_4arch9wavefront6targetE0EEEvT1_,comdat
.Lfunc_end1311:
	.size	_ZN7rocprim17ROCPRIM_400000_NS6detail17trampoline_kernelINS0_14default_configENS1_25partition_config_selectorILNS1_17partition_subalgoE8ElNS0_10empty_typeEbEEZZNS1_14partition_implILS5_8ELb0ES3_jPlPS6_PKS6_NS0_5tupleIJS9_S6_EEENSD_IJSA_SA_EEENS0_18inequality_wrapperIZN2at6native12_GLOBAL__N_124unique_dim_cuda_templateIN3c104HalfEEESt5tupleIJNSH_6TensorESO_SO_EERKSO_lbbbEUlllE0_EEPmJS6_EEE10hipError_tPvRmT3_T4_T5_T6_T7_T9_mT8_P12ihipStream_tbDpT10_ENKUlT_T0_E_clISt17integral_constantIbLb1EES1E_EEDaS19_S1A_EUlS19_E_NS1_11comp_targetILNS1_3genE9ELNS1_11target_archE1100ELNS1_3gpuE3ELNS1_3repE0EEENS1_30default_config_static_selectorELNS0_4arch9wavefront6targetE0EEEvT1_, .Lfunc_end1311-_ZN7rocprim17ROCPRIM_400000_NS6detail17trampoline_kernelINS0_14default_configENS1_25partition_config_selectorILNS1_17partition_subalgoE8ElNS0_10empty_typeEbEEZZNS1_14partition_implILS5_8ELb0ES3_jPlPS6_PKS6_NS0_5tupleIJS9_S6_EEENSD_IJSA_SA_EEENS0_18inequality_wrapperIZN2at6native12_GLOBAL__N_124unique_dim_cuda_templateIN3c104HalfEEESt5tupleIJNSH_6TensorESO_SO_EERKSO_lbbbEUlllE0_EEPmJS6_EEE10hipError_tPvRmT3_T4_T5_T6_T7_T9_mT8_P12ihipStream_tbDpT10_ENKUlT_T0_E_clISt17integral_constantIbLb1EES1E_EEDaS19_S1A_EUlS19_E_NS1_11comp_targetILNS1_3genE9ELNS1_11target_archE1100ELNS1_3gpuE3ELNS1_3repE0EEENS1_30default_config_static_selectorELNS0_4arch9wavefront6targetE0EEEvT1_
                                        ; -- End function
	.set _ZN7rocprim17ROCPRIM_400000_NS6detail17trampoline_kernelINS0_14default_configENS1_25partition_config_selectorILNS1_17partition_subalgoE8ElNS0_10empty_typeEbEEZZNS1_14partition_implILS5_8ELb0ES3_jPlPS6_PKS6_NS0_5tupleIJS9_S6_EEENSD_IJSA_SA_EEENS0_18inequality_wrapperIZN2at6native12_GLOBAL__N_124unique_dim_cuda_templateIN3c104HalfEEESt5tupleIJNSH_6TensorESO_SO_EERKSO_lbbbEUlllE0_EEPmJS6_EEE10hipError_tPvRmT3_T4_T5_T6_T7_T9_mT8_P12ihipStream_tbDpT10_ENKUlT_T0_E_clISt17integral_constantIbLb1EES1E_EEDaS19_S1A_EUlS19_E_NS1_11comp_targetILNS1_3genE9ELNS1_11target_archE1100ELNS1_3gpuE3ELNS1_3repE0EEENS1_30default_config_static_selectorELNS0_4arch9wavefront6targetE0EEEvT1_.num_vgpr, 0
	.set _ZN7rocprim17ROCPRIM_400000_NS6detail17trampoline_kernelINS0_14default_configENS1_25partition_config_selectorILNS1_17partition_subalgoE8ElNS0_10empty_typeEbEEZZNS1_14partition_implILS5_8ELb0ES3_jPlPS6_PKS6_NS0_5tupleIJS9_S6_EEENSD_IJSA_SA_EEENS0_18inequality_wrapperIZN2at6native12_GLOBAL__N_124unique_dim_cuda_templateIN3c104HalfEEESt5tupleIJNSH_6TensorESO_SO_EERKSO_lbbbEUlllE0_EEPmJS6_EEE10hipError_tPvRmT3_T4_T5_T6_T7_T9_mT8_P12ihipStream_tbDpT10_ENKUlT_T0_E_clISt17integral_constantIbLb1EES1E_EEDaS19_S1A_EUlS19_E_NS1_11comp_targetILNS1_3genE9ELNS1_11target_archE1100ELNS1_3gpuE3ELNS1_3repE0EEENS1_30default_config_static_selectorELNS0_4arch9wavefront6targetE0EEEvT1_.num_agpr, 0
	.set _ZN7rocprim17ROCPRIM_400000_NS6detail17trampoline_kernelINS0_14default_configENS1_25partition_config_selectorILNS1_17partition_subalgoE8ElNS0_10empty_typeEbEEZZNS1_14partition_implILS5_8ELb0ES3_jPlPS6_PKS6_NS0_5tupleIJS9_S6_EEENSD_IJSA_SA_EEENS0_18inequality_wrapperIZN2at6native12_GLOBAL__N_124unique_dim_cuda_templateIN3c104HalfEEESt5tupleIJNSH_6TensorESO_SO_EERKSO_lbbbEUlllE0_EEPmJS6_EEE10hipError_tPvRmT3_T4_T5_T6_T7_T9_mT8_P12ihipStream_tbDpT10_ENKUlT_T0_E_clISt17integral_constantIbLb1EES1E_EEDaS19_S1A_EUlS19_E_NS1_11comp_targetILNS1_3genE9ELNS1_11target_archE1100ELNS1_3gpuE3ELNS1_3repE0EEENS1_30default_config_static_selectorELNS0_4arch9wavefront6targetE0EEEvT1_.numbered_sgpr, 0
	.set _ZN7rocprim17ROCPRIM_400000_NS6detail17trampoline_kernelINS0_14default_configENS1_25partition_config_selectorILNS1_17partition_subalgoE8ElNS0_10empty_typeEbEEZZNS1_14partition_implILS5_8ELb0ES3_jPlPS6_PKS6_NS0_5tupleIJS9_S6_EEENSD_IJSA_SA_EEENS0_18inequality_wrapperIZN2at6native12_GLOBAL__N_124unique_dim_cuda_templateIN3c104HalfEEESt5tupleIJNSH_6TensorESO_SO_EERKSO_lbbbEUlllE0_EEPmJS6_EEE10hipError_tPvRmT3_T4_T5_T6_T7_T9_mT8_P12ihipStream_tbDpT10_ENKUlT_T0_E_clISt17integral_constantIbLb1EES1E_EEDaS19_S1A_EUlS19_E_NS1_11comp_targetILNS1_3genE9ELNS1_11target_archE1100ELNS1_3gpuE3ELNS1_3repE0EEENS1_30default_config_static_selectorELNS0_4arch9wavefront6targetE0EEEvT1_.num_named_barrier, 0
	.set _ZN7rocprim17ROCPRIM_400000_NS6detail17trampoline_kernelINS0_14default_configENS1_25partition_config_selectorILNS1_17partition_subalgoE8ElNS0_10empty_typeEbEEZZNS1_14partition_implILS5_8ELb0ES3_jPlPS6_PKS6_NS0_5tupleIJS9_S6_EEENSD_IJSA_SA_EEENS0_18inequality_wrapperIZN2at6native12_GLOBAL__N_124unique_dim_cuda_templateIN3c104HalfEEESt5tupleIJNSH_6TensorESO_SO_EERKSO_lbbbEUlllE0_EEPmJS6_EEE10hipError_tPvRmT3_T4_T5_T6_T7_T9_mT8_P12ihipStream_tbDpT10_ENKUlT_T0_E_clISt17integral_constantIbLb1EES1E_EEDaS19_S1A_EUlS19_E_NS1_11comp_targetILNS1_3genE9ELNS1_11target_archE1100ELNS1_3gpuE3ELNS1_3repE0EEENS1_30default_config_static_selectorELNS0_4arch9wavefront6targetE0EEEvT1_.private_seg_size, 0
	.set _ZN7rocprim17ROCPRIM_400000_NS6detail17trampoline_kernelINS0_14default_configENS1_25partition_config_selectorILNS1_17partition_subalgoE8ElNS0_10empty_typeEbEEZZNS1_14partition_implILS5_8ELb0ES3_jPlPS6_PKS6_NS0_5tupleIJS9_S6_EEENSD_IJSA_SA_EEENS0_18inequality_wrapperIZN2at6native12_GLOBAL__N_124unique_dim_cuda_templateIN3c104HalfEEESt5tupleIJNSH_6TensorESO_SO_EERKSO_lbbbEUlllE0_EEPmJS6_EEE10hipError_tPvRmT3_T4_T5_T6_T7_T9_mT8_P12ihipStream_tbDpT10_ENKUlT_T0_E_clISt17integral_constantIbLb1EES1E_EEDaS19_S1A_EUlS19_E_NS1_11comp_targetILNS1_3genE9ELNS1_11target_archE1100ELNS1_3gpuE3ELNS1_3repE0EEENS1_30default_config_static_selectorELNS0_4arch9wavefront6targetE0EEEvT1_.uses_vcc, 0
	.set _ZN7rocprim17ROCPRIM_400000_NS6detail17trampoline_kernelINS0_14default_configENS1_25partition_config_selectorILNS1_17partition_subalgoE8ElNS0_10empty_typeEbEEZZNS1_14partition_implILS5_8ELb0ES3_jPlPS6_PKS6_NS0_5tupleIJS9_S6_EEENSD_IJSA_SA_EEENS0_18inequality_wrapperIZN2at6native12_GLOBAL__N_124unique_dim_cuda_templateIN3c104HalfEEESt5tupleIJNSH_6TensorESO_SO_EERKSO_lbbbEUlllE0_EEPmJS6_EEE10hipError_tPvRmT3_T4_T5_T6_T7_T9_mT8_P12ihipStream_tbDpT10_ENKUlT_T0_E_clISt17integral_constantIbLb1EES1E_EEDaS19_S1A_EUlS19_E_NS1_11comp_targetILNS1_3genE9ELNS1_11target_archE1100ELNS1_3gpuE3ELNS1_3repE0EEENS1_30default_config_static_selectorELNS0_4arch9wavefront6targetE0EEEvT1_.uses_flat_scratch, 0
	.set _ZN7rocprim17ROCPRIM_400000_NS6detail17trampoline_kernelINS0_14default_configENS1_25partition_config_selectorILNS1_17partition_subalgoE8ElNS0_10empty_typeEbEEZZNS1_14partition_implILS5_8ELb0ES3_jPlPS6_PKS6_NS0_5tupleIJS9_S6_EEENSD_IJSA_SA_EEENS0_18inequality_wrapperIZN2at6native12_GLOBAL__N_124unique_dim_cuda_templateIN3c104HalfEEESt5tupleIJNSH_6TensorESO_SO_EERKSO_lbbbEUlllE0_EEPmJS6_EEE10hipError_tPvRmT3_T4_T5_T6_T7_T9_mT8_P12ihipStream_tbDpT10_ENKUlT_T0_E_clISt17integral_constantIbLb1EES1E_EEDaS19_S1A_EUlS19_E_NS1_11comp_targetILNS1_3genE9ELNS1_11target_archE1100ELNS1_3gpuE3ELNS1_3repE0EEENS1_30default_config_static_selectorELNS0_4arch9wavefront6targetE0EEEvT1_.has_dyn_sized_stack, 0
	.set _ZN7rocprim17ROCPRIM_400000_NS6detail17trampoline_kernelINS0_14default_configENS1_25partition_config_selectorILNS1_17partition_subalgoE8ElNS0_10empty_typeEbEEZZNS1_14partition_implILS5_8ELb0ES3_jPlPS6_PKS6_NS0_5tupleIJS9_S6_EEENSD_IJSA_SA_EEENS0_18inequality_wrapperIZN2at6native12_GLOBAL__N_124unique_dim_cuda_templateIN3c104HalfEEESt5tupleIJNSH_6TensorESO_SO_EERKSO_lbbbEUlllE0_EEPmJS6_EEE10hipError_tPvRmT3_T4_T5_T6_T7_T9_mT8_P12ihipStream_tbDpT10_ENKUlT_T0_E_clISt17integral_constantIbLb1EES1E_EEDaS19_S1A_EUlS19_E_NS1_11comp_targetILNS1_3genE9ELNS1_11target_archE1100ELNS1_3gpuE3ELNS1_3repE0EEENS1_30default_config_static_selectorELNS0_4arch9wavefront6targetE0EEEvT1_.has_recursion, 0
	.set _ZN7rocprim17ROCPRIM_400000_NS6detail17trampoline_kernelINS0_14default_configENS1_25partition_config_selectorILNS1_17partition_subalgoE8ElNS0_10empty_typeEbEEZZNS1_14partition_implILS5_8ELb0ES3_jPlPS6_PKS6_NS0_5tupleIJS9_S6_EEENSD_IJSA_SA_EEENS0_18inequality_wrapperIZN2at6native12_GLOBAL__N_124unique_dim_cuda_templateIN3c104HalfEEESt5tupleIJNSH_6TensorESO_SO_EERKSO_lbbbEUlllE0_EEPmJS6_EEE10hipError_tPvRmT3_T4_T5_T6_T7_T9_mT8_P12ihipStream_tbDpT10_ENKUlT_T0_E_clISt17integral_constantIbLb1EES1E_EEDaS19_S1A_EUlS19_E_NS1_11comp_targetILNS1_3genE9ELNS1_11target_archE1100ELNS1_3gpuE3ELNS1_3repE0EEENS1_30default_config_static_selectorELNS0_4arch9wavefront6targetE0EEEvT1_.has_indirect_call, 0
	.section	.AMDGPU.csdata,"",@progbits
; Kernel info:
; codeLenInByte = 0
; TotalNumSgprs: 0
; NumVgprs: 0
; ScratchSize: 0
; MemoryBound: 0
; FloatMode: 240
; IeeeMode: 1
; LDSByteSize: 0 bytes/workgroup (compile time only)
; SGPRBlocks: 0
; VGPRBlocks: 0
; NumSGPRsForWavesPerEU: 1
; NumVGPRsForWavesPerEU: 1
; NamedBarCnt: 0
; Occupancy: 16
; WaveLimiterHint : 0
; COMPUTE_PGM_RSRC2:SCRATCH_EN: 0
; COMPUTE_PGM_RSRC2:USER_SGPR: 2
; COMPUTE_PGM_RSRC2:TRAP_HANDLER: 0
; COMPUTE_PGM_RSRC2:TGID_X_EN: 1
; COMPUTE_PGM_RSRC2:TGID_Y_EN: 0
; COMPUTE_PGM_RSRC2:TGID_Z_EN: 0
; COMPUTE_PGM_RSRC2:TIDIG_COMP_CNT: 0
	.section	.text._ZN7rocprim17ROCPRIM_400000_NS6detail17trampoline_kernelINS0_14default_configENS1_25partition_config_selectorILNS1_17partition_subalgoE8ElNS0_10empty_typeEbEEZZNS1_14partition_implILS5_8ELb0ES3_jPlPS6_PKS6_NS0_5tupleIJS9_S6_EEENSD_IJSA_SA_EEENS0_18inequality_wrapperIZN2at6native12_GLOBAL__N_124unique_dim_cuda_templateIN3c104HalfEEESt5tupleIJNSH_6TensorESO_SO_EERKSO_lbbbEUlllE0_EEPmJS6_EEE10hipError_tPvRmT3_T4_T5_T6_T7_T9_mT8_P12ihipStream_tbDpT10_ENKUlT_T0_E_clISt17integral_constantIbLb1EES1E_EEDaS19_S1A_EUlS19_E_NS1_11comp_targetILNS1_3genE8ELNS1_11target_archE1030ELNS1_3gpuE2ELNS1_3repE0EEENS1_30default_config_static_selectorELNS0_4arch9wavefront6targetE0EEEvT1_,"axG",@progbits,_ZN7rocprim17ROCPRIM_400000_NS6detail17trampoline_kernelINS0_14default_configENS1_25partition_config_selectorILNS1_17partition_subalgoE8ElNS0_10empty_typeEbEEZZNS1_14partition_implILS5_8ELb0ES3_jPlPS6_PKS6_NS0_5tupleIJS9_S6_EEENSD_IJSA_SA_EEENS0_18inequality_wrapperIZN2at6native12_GLOBAL__N_124unique_dim_cuda_templateIN3c104HalfEEESt5tupleIJNSH_6TensorESO_SO_EERKSO_lbbbEUlllE0_EEPmJS6_EEE10hipError_tPvRmT3_T4_T5_T6_T7_T9_mT8_P12ihipStream_tbDpT10_ENKUlT_T0_E_clISt17integral_constantIbLb1EES1E_EEDaS19_S1A_EUlS19_E_NS1_11comp_targetILNS1_3genE8ELNS1_11target_archE1030ELNS1_3gpuE2ELNS1_3repE0EEENS1_30default_config_static_selectorELNS0_4arch9wavefront6targetE0EEEvT1_,comdat
	.globl	_ZN7rocprim17ROCPRIM_400000_NS6detail17trampoline_kernelINS0_14default_configENS1_25partition_config_selectorILNS1_17partition_subalgoE8ElNS0_10empty_typeEbEEZZNS1_14partition_implILS5_8ELb0ES3_jPlPS6_PKS6_NS0_5tupleIJS9_S6_EEENSD_IJSA_SA_EEENS0_18inequality_wrapperIZN2at6native12_GLOBAL__N_124unique_dim_cuda_templateIN3c104HalfEEESt5tupleIJNSH_6TensorESO_SO_EERKSO_lbbbEUlllE0_EEPmJS6_EEE10hipError_tPvRmT3_T4_T5_T6_T7_T9_mT8_P12ihipStream_tbDpT10_ENKUlT_T0_E_clISt17integral_constantIbLb1EES1E_EEDaS19_S1A_EUlS19_E_NS1_11comp_targetILNS1_3genE8ELNS1_11target_archE1030ELNS1_3gpuE2ELNS1_3repE0EEENS1_30default_config_static_selectorELNS0_4arch9wavefront6targetE0EEEvT1_ ; -- Begin function _ZN7rocprim17ROCPRIM_400000_NS6detail17trampoline_kernelINS0_14default_configENS1_25partition_config_selectorILNS1_17partition_subalgoE8ElNS0_10empty_typeEbEEZZNS1_14partition_implILS5_8ELb0ES3_jPlPS6_PKS6_NS0_5tupleIJS9_S6_EEENSD_IJSA_SA_EEENS0_18inequality_wrapperIZN2at6native12_GLOBAL__N_124unique_dim_cuda_templateIN3c104HalfEEESt5tupleIJNSH_6TensorESO_SO_EERKSO_lbbbEUlllE0_EEPmJS6_EEE10hipError_tPvRmT3_T4_T5_T6_T7_T9_mT8_P12ihipStream_tbDpT10_ENKUlT_T0_E_clISt17integral_constantIbLb1EES1E_EEDaS19_S1A_EUlS19_E_NS1_11comp_targetILNS1_3genE8ELNS1_11target_archE1030ELNS1_3gpuE2ELNS1_3repE0EEENS1_30default_config_static_selectorELNS0_4arch9wavefront6targetE0EEEvT1_
	.p2align	8
	.type	_ZN7rocprim17ROCPRIM_400000_NS6detail17trampoline_kernelINS0_14default_configENS1_25partition_config_selectorILNS1_17partition_subalgoE8ElNS0_10empty_typeEbEEZZNS1_14partition_implILS5_8ELb0ES3_jPlPS6_PKS6_NS0_5tupleIJS9_S6_EEENSD_IJSA_SA_EEENS0_18inequality_wrapperIZN2at6native12_GLOBAL__N_124unique_dim_cuda_templateIN3c104HalfEEESt5tupleIJNSH_6TensorESO_SO_EERKSO_lbbbEUlllE0_EEPmJS6_EEE10hipError_tPvRmT3_T4_T5_T6_T7_T9_mT8_P12ihipStream_tbDpT10_ENKUlT_T0_E_clISt17integral_constantIbLb1EES1E_EEDaS19_S1A_EUlS19_E_NS1_11comp_targetILNS1_3genE8ELNS1_11target_archE1030ELNS1_3gpuE2ELNS1_3repE0EEENS1_30default_config_static_selectorELNS0_4arch9wavefront6targetE0EEEvT1_,@function
_ZN7rocprim17ROCPRIM_400000_NS6detail17trampoline_kernelINS0_14default_configENS1_25partition_config_selectorILNS1_17partition_subalgoE8ElNS0_10empty_typeEbEEZZNS1_14partition_implILS5_8ELb0ES3_jPlPS6_PKS6_NS0_5tupleIJS9_S6_EEENSD_IJSA_SA_EEENS0_18inequality_wrapperIZN2at6native12_GLOBAL__N_124unique_dim_cuda_templateIN3c104HalfEEESt5tupleIJNSH_6TensorESO_SO_EERKSO_lbbbEUlllE0_EEPmJS6_EEE10hipError_tPvRmT3_T4_T5_T6_T7_T9_mT8_P12ihipStream_tbDpT10_ENKUlT_T0_E_clISt17integral_constantIbLb1EES1E_EEDaS19_S1A_EUlS19_E_NS1_11comp_targetILNS1_3genE8ELNS1_11target_archE1030ELNS1_3gpuE2ELNS1_3repE0EEENS1_30default_config_static_selectorELNS0_4arch9wavefront6targetE0EEEvT1_: ; @_ZN7rocprim17ROCPRIM_400000_NS6detail17trampoline_kernelINS0_14default_configENS1_25partition_config_selectorILNS1_17partition_subalgoE8ElNS0_10empty_typeEbEEZZNS1_14partition_implILS5_8ELb0ES3_jPlPS6_PKS6_NS0_5tupleIJS9_S6_EEENSD_IJSA_SA_EEENS0_18inequality_wrapperIZN2at6native12_GLOBAL__N_124unique_dim_cuda_templateIN3c104HalfEEESt5tupleIJNSH_6TensorESO_SO_EERKSO_lbbbEUlllE0_EEPmJS6_EEE10hipError_tPvRmT3_T4_T5_T6_T7_T9_mT8_P12ihipStream_tbDpT10_ENKUlT_T0_E_clISt17integral_constantIbLb1EES1E_EEDaS19_S1A_EUlS19_E_NS1_11comp_targetILNS1_3genE8ELNS1_11target_archE1030ELNS1_3gpuE2ELNS1_3repE0EEENS1_30default_config_static_selectorELNS0_4arch9wavefront6targetE0EEEvT1_
; %bb.0:
	.section	.rodata,"a",@progbits
	.p2align	6, 0x0
	.amdhsa_kernel _ZN7rocprim17ROCPRIM_400000_NS6detail17trampoline_kernelINS0_14default_configENS1_25partition_config_selectorILNS1_17partition_subalgoE8ElNS0_10empty_typeEbEEZZNS1_14partition_implILS5_8ELb0ES3_jPlPS6_PKS6_NS0_5tupleIJS9_S6_EEENSD_IJSA_SA_EEENS0_18inequality_wrapperIZN2at6native12_GLOBAL__N_124unique_dim_cuda_templateIN3c104HalfEEESt5tupleIJNSH_6TensorESO_SO_EERKSO_lbbbEUlllE0_EEPmJS6_EEE10hipError_tPvRmT3_T4_T5_T6_T7_T9_mT8_P12ihipStream_tbDpT10_ENKUlT_T0_E_clISt17integral_constantIbLb1EES1E_EEDaS19_S1A_EUlS19_E_NS1_11comp_targetILNS1_3genE8ELNS1_11target_archE1030ELNS1_3gpuE2ELNS1_3repE0EEENS1_30default_config_static_selectorELNS0_4arch9wavefront6targetE0EEEvT1_
		.amdhsa_group_segment_fixed_size 0
		.amdhsa_private_segment_fixed_size 0
		.amdhsa_kernarg_size 136
		.amdhsa_user_sgpr_count 2
		.amdhsa_user_sgpr_dispatch_ptr 0
		.amdhsa_user_sgpr_queue_ptr 0
		.amdhsa_user_sgpr_kernarg_segment_ptr 1
		.amdhsa_user_sgpr_dispatch_id 0
		.amdhsa_user_sgpr_kernarg_preload_length 0
		.amdhsa_user_sgpr_kernarg_preload_offset 0
		.amdhsa_user_sgpr_private_segment_size 0
		.amdhsa_wavefront_size32 1
		.amdhsa_uses_dynamic_stack 0
		.amdhsa_enable_private_segment 0
		.amdhsa_system_sgpr_workgroup_id_x 1
		.amdhsa_system_sgpr_workgroup_id_y 0
		.amdhsa_system_sgpr_workgroup_id_z 0
		.amdhsa_system_sgpr_workgroup_info 0
		.amdhsa_system_vgpr_workitem_id 0
		.amdhsa_next_free_vgpr 1
		.amdhsa_next_free_sgpr 1
		.amdhsa_named_barrier_count 0
		.amdhsa_reserve_vcc 0
		.amdhsa_float_round_mode_32 0
		.amdhsa_float_round_mode_16_64 0
		.amdhsa_float_denorm_mode_32 3
		.amdhsa_float_denorm_mode_16_64 3
		.amdhsa_fp16_overflow 0
		.amdhsa_memory_ordered 1
		.amdhsa_forward_progress 1
		.amdhsa_inst_pref_size 0
		.amdhsa_round_robin_scheduling 0
		.amdhsa_exception_fp_ieee_invalid_op 0
		.amdhsa_exception_fp_denorm_src 0
		.amdhsa_exception_fp_ieee_div_zero 0
		.amdhsa_exception_fp_ieee_overflow 0
		.amdhsa_exception_fp_ieee_underflow 0
		.amdhsa_exception_fp_ieee_inexact 0
		.amdhsa_exception_int_div_zero 0
	.end_amdhsa_kernel
	.section	.text._ZN7rocprim17ROCPRIM_400000_NS6detail17trampoline_kernelINS0_14default_configENS1_25partition_config_selectorILNS1_17partition_subalgoE8ElNS0_10empty_typeEbEEZZNS1_14partition_implILS5_8ELb0ES3_jPlPS6_PKS6_NS0_5tupleIJS9_S6_EEENSD_IJSA_SA_EEENS0_18inequality_wrapperIZN2at6native12_GLOBAL__N_124unique_dim_cuda_templateIN3c104HalfEEESt5tupleIJNSH_6TensorESO_SO_EERKSO_lbbbEUlllE0_EEPmJS6_EEE10hipError_tPvRmT3_T4_T5_T6_T7_T9_mT8_P12ihipStream_tbDpT10_ENKUlT_T0_E_clISt17integral_constantIbLb1EES1E_EEDaS19_S1A_EUlS19_E_NS1_11comp_targetILNS1_3genE8ELNS1_11target_archE1030ELNS1_3gpuE2ELNS1_3repE0EEENS1_30default_config_static_selectorELNS0_4arch9wavefront6targetE0EEEvT1_,"axG",@progbits,_ZN7rocprim17ROCPRIM_400000_NS6detail17trampoline_kernelINS0_14default_configENS1_25partition_config_selectorILNS1_17partition_subalgoE8ElNS0_10empty_typeEbEEZZNS1_14partition_implILS5_8ELb0ES3_jPlPS6_PKS6_NS0_5tupleIJS9_S6_EEENSD_IJSA_SA_EEENS0_18inequality_wrapperIZN2at6native12_GLOBAL__N_124unique_dim_cuda_templateIN3c104HalfEEESt5tupleIJNSH_6TensorESO_SO_EERKSO_lbbbEUlllE0_EEPmJS6_EEE10hipError_tPvRmT3_T4_T5_T6_T7_T9_mT8_P12ihipStream_tbDpT10_ENKUlT_T0_E_clISt17integral_constantIbLb1EES1E_EEDaS19_S1A_EUlS19_E_NS1_11comp_targetILNS1_3genE8ELNS1_11target_archE1030ELNS1_3gpuE2ELNS1_3repE0EEENS1_30default_config_static_selectorELNS0_4arch9wavefront6targetE0EEEvT1_,comdat
.Lfunc_end1312:
	.size	_ZN7rocprim17ROCPRIM_400000_NS6detail17trampoline_kernelINS0_14default_configENS1_25partition_config_selectorILNS1_17partition_subalgoE8ElNS0_10empty_typeEbEEZZNS1_14partition_implILS5_8ELb0ES3_jPlPS6_PKS6_NS0_5tupleIJS9_S6_EEENSD_IJSA_SA_EEENS0_18inequality_wrapperIZN2at6native12_GLOBAL__N_124unique_dim_cuda_templateIN3c104HalfEEESt5tupleIJNSH_6TensorESO_SO_EERKSO_lbbbEUlllE0_EEPmJS6_EEE10hipError_tPvRmT3_T4_T5_T6_T7_T9_mT8_P12ihipStream_tbDpT10_ENKUlT_T0_E_clISt17integral_constantIbLb1EES1E_EEDaS19_S1A_EUlS19_E_NS1_11comp_targetILNS1_3genE8ELNS1_11target_archE1030ELNS1_3gpuE2ELNS1_3repE0EEENS1_30default_config_static_selectorELNS0_4arch9wavefront6targetE0EEEvT1_, .Lfunc_end1312-_ZN7rocprim17ROCPRIM_400000_NS6detail17trampoline_kernelINS0_14default_configENS1_25partition_config_selectorILNS1_17partition_subalgoE8ElNS0_10empty_typeEbEEZZNS1_14partition_implILS5_8ELb0ES3_jPlPS6_PKS6_NS0_5tupleIJS9_S6_EEENSD_IJSA_SA_EEENS0_18inequality_wrapperIZN2at6native12_GLOBAL__N_124unique_dim_cuda_templateIN3c104HalfEEESt5tupleIJNSH_6TensorESO_SO_EERKSO_lbbbEUlllE0_EEPmJS6_EEE10hipError_tPvRmT3_T4_T5_T6_T7_T9_mT8_P12ihipStream_tbDpT10_ENKUlT_T0_E_clISt17integral_constantIbLb1EES1E_EEDaS19_S1A_EUlS19_E_NS1_11comp_targetILNS1_3genE8ELNS1_11target_archE1030ELNS1_3gpuE2ELNS1_3repE0EEENS1_30default_config_static_selectorELNS0_4arch9wavefront6targetE0EEEvT1_
                                        ; -- End function
	.set _ZN7rocprim17ROCPRIM_400000_NS6detail17trampoline_kernelINS0_14default_configENS1_25partition_config_selectorILNS1_17partition_subalgoE8ElNS0_10empty_typeEbEEZZNS1_14partition_implILS5_8ELb0ES3_jPlPS6_PKS6_NS0_5tupleIJS9_S6_EEENSD_IJSA_SA_EEENS0_18inequality_wrapperIZN2at6native12_GLOBAL__N_124unique_dim_cuda_templateIN3c104HalfEEESt5tupleIJNSH_6TensorESO_SO_EERKSO_lbbbEUlllE0_EEPmJS6_EEE10hipError_tPvRmT3_T4_T5_T6_T7_T9_mT8_P12ihipStream_tbDpT10_ENKUlT_T0_E_clISt17integral_constantIbLb1EES1E_EEDaS19_S1A_EUlS19_E_NS1_11comp_targetILNS1_3genE8ELNS1_11target_archE1030ELNS1_3gpuE2ELNS1_3repE0EEENS1_30default_config_static_selectorELNS0_4arch9wavefront6targetE0EEEvT1_.num_vgpr, 0
	.set _ZN7rocprim17ROCPRIM_400000_NS6detail17trampoline_kernelINS0_14default_configENS1_25partition_config_selectorILNS1_17partition_subalgoE8ElNS0_10empty_typeEbEEZZNS1_14partition_implILS5_8ELb0ES3_jPlPS6_PKS6_NS0_5tupleIJS9_S6_EEENSD_IJSA_SA_EEENS0_18inequality_wrapperIZN2at6native12_GLOBAL__N_124unique_dim_cuda_templateIN3c104HalfEEESt5tupleIJNSH_6TensorESO_SO_EERKSO_lbbbEUlllE0_EEPmJS6_EEE10hipError_tPvRmT3_T4_T5_T6_T7_T9_mT8_P12ihipStream_tbDpT10_ENKUlT_T0_E_clISt17integral_constantIbLb1EES1E_EEDaS19_S1A_EUlS19_E_NS1_11comp_targetILNS1_3genE8ELNS1_11target_archE1030ELNS1_3gpuE2ELNS1_3repE0EEENS1_30default_config_static_selectorELNS0_4arch9wavefront6targetE0EEEvT1_.num_agpr, 0
	.set _ZN7rocprim17ROCPRIM_400000_NS6detail17trampoline_kernelINS0_14default_configENS1_25partition_config_selectorILNS1_17partition_subalgoE8ElNS0_10empty_typeEbEEZZNS1_14partition_implILS5_8ELb0ES3_jPlPS6_PKS6_NS0_5tupleIJS9_S6_EEENSD_IJSA_SA_EEENS0_18inequality_wrapperIZN2at6native12_GLOBAL__N_124unique_dim_cuda_templateIN3c104HalfEEESt5tupleIJNSH_6TensorESO_SO_EERKSO_lbbbEUlllE0_EEPmJS6_EEE10hipError_tPvRmT3_T4_T5_T6_T7_T9_mT8_P12ihipStream_tbDpT10_ENKUlT_T0_E_clISt17integral_constantIbLb1EES1E_EEDaS19_S1A_EUlS19_E_NS1_11comp_targetILNS1_3genE8ELNS1_11target_archE1030ELNS1_3gpuE2ELNS1_3repE0EEENS1_30default_config_static_selectorELNS0_4arch9wavefront6targetE0EEEvT1_.numbered_sgpr, 0
	.set _ZN7rocprim17ROCPRIM_400000_NS6detail17trampoline_kernelINS0_14default_configENS1_25partition_config_selectorILNS1_17partition_subalgoE8ElNS0_10empty_typeEbEEZZNS1_14partition_implILS5_8ELb0ES3_jPlPS6_PKS6_NS0_5tupleIJS9_S6_EEENSD_IJSA_SA_EEENS0_18inequality_wrapperIZN2at6native12_GLOBAL__N_124unique_dim_cuda_templateIN3c104HalfEEESt5tupleIJNSH_6TensorESO_SO_EERKSO_lbbbEUlllE0_EEPmJS6_EEE10hipError_tPvRmT3_T4_T5_T6_T7_T9_mT8_P12ihipStream_tbDpT10_ENKUlT_T0_E_clISt17integral_constantIbLb1EES1E_EEDaS19_S1A_EUlS19_E_NS1_11comp_targetILNS1_3genE8ELNS1_11target_archE1030ELNS1_3gpuE2ELNS1_3repE0EEENS1_30default_config_static_selectorELNS0_4arch9wavefront6targetE0EEEvT1_.num_named_barrier, 0
	.set _ZN7rocprim17ROCPRIM_400000_NS6detail17trampoline_kernelINS0_14default_configENS1_25partition_config_selectorILNS1_17partition_subalgoE8ElNS0_10empty_typeEbEEZZNS1_14partition_implILS5_8ELb0ES3_jPlPS6_PKS6_NS0_5tupleIJS9_S6_EEENSD_IJSA_SA_EEENS0_18inequality_wrapperIZN2at6native12_GLOBAL__N_124unique_dim_cuda_templateIN3c104HalfEEESt5tupleIJNSH_6TensorESO_SO_EERKSO_lbbbEUlllE0_EEPmJS6_EEE10hipError_tPvRmT3_T4_T5_T6_T7_T9_mT8_P12ihipStream_tbDpT10_ENKUlT_T0_E_clISt17integral_constantIbLb1EES1E_EEDaS19_S1A_EUlS19_E_NS1_11comp_targetILNS1_3genE8ELNS1_11target_archE1030ELNS1_3gpuE2ELNS1_3repE0EEENS1_30default_config_static_selectorELNS0_4arch9wavefront6targetE0EEEvT1_.private_seg_size, 0
	.set _ZN7rocprim17ROCPRIM_400000_NS6detail17trampoline_kernelINS0_14default_configENS1_25partition_config_selectorILNS1_17partition_subalgoE8ElNS0_10empty_typeEbEEZZNS1_14partition_implILS5_8ELb0ES3_jPlPS6_PKS6_NS0_5tupleIJS9_S6_EEENSD_IJSA_SA_EEENS0_18inequality_wrapperIZN2at6native12_GLOBAL__N_124unique_dim_cuda_templateIN3c104HalfEEESt5tupleIJNSH_6TensorESO_SO_EERKSO_lbbbEUlllE0_EEPmJS6_EEE10hipError_tPvRmT3_T4_T5_T6_T7_T9_mT8_P12ihipStream_tbDpT10_ENKUlT_T0_E_clISt17integral_constantIbLb1EES1E_EEDaS19_S1A_EUlS19_E_NS1_11comp_targetILNS1_3genE8ELNS1_11target_archE1030ELNS1_3gpuE2ELNS1_3repE0EEENS1_30default_config_static_selectorELNS0_4arch9wavefront6targetE0EEEvT1_.uses_vcc, 0
	.set _ZN7rocprim17ROCPRIM_400000_NS6detail17trampoline_kernelINS0_14default_configENS1_25partition_config_selectorILNS1_17partition_subalgoE8ElNS0_10empty_typeEbEEZZNS1_14partition_implILS5_8ELb0ES3_jPlPS6_PKS6_NS0_5tupleIJS9_S6_EEENSD_IJSA_SA_EEENS0_18inequality_wrapperIZN2at6native12_GLOBAL__N_124unique_dim_cuda_templateIN3c104HalfEEESt5tupleIJNSH_6TensorESO_SO_EERKSO_lbbbEUlllE0_EEPmJS6_EEE10hipError_tPvRmT3_T4_T5_T6_T7_T9_mT8_P12ihipStream_tbDpT10_ENKUlT_T0_E_clISt17integral_constantIbLb1EES1E_EEDaS19_S1A_EUlS19_E_NS1_11comp_targetILNS1_3genE8ELNS1_11target_archE1030ELNS1_3gpuE2ELNS1_3repE0EEENS1_30default_config_static_selectorELNS0_4arch9wavefront6targetE0EEEvT1_.uses_flat_scratch, 0
	.set _ZN7rocprim17ROCPRIM_400000_NS6detail17trampoline_kernelINS0_14default_configENS1_25partition_config_selectorILNS1_17partition_subalgoE8ElNS0_10empty_typeEbEEZZNS1_14partition_implILS5_8ELb0ES3_jPlPS6_PKS6_NS0_5tupleIJS9_S6_EEENSD_IJSA_SA_EEENS0_18inequality_wrapperIZN2at6native12_GLOBAL__N_124unique_dim_cuda_templateIN3c104HalfEEESt5tupleIJNSH_6TensorESO_SO_EERKSO_lbbbEUlllE0_EEPmJS6_EEE10hipError_tPvRmT3_T4_T5_T6_T7_T9_mT8_P12ihipStream_tbDpT10_ENKUlT_T0_E_clISt17integral_constantIbLb1EES1E_EEDaS19_S1A_EUlS19_E_NS1_11comp_targetILNS1_3genE8ELNS1_11target_archE1030ELNS1_3gpuE2ELNS1_3repE0EEENS1_30default_config_static_selectorELNS0_4arch9wavefront6targetE0EEEvT1_.has_dyn_sized_stack, 0
	.set _ZN7rocprim17ROCPRIM_400000_NS6detail17trampoline_kernelINS0_14default_configENS1_25partition_config_selectorILNS1_17partition_subalgoE8ElNS0_10empty_typeEbEEZZNS1_14partition_implILS5_8ELb0ES3_jPlPS6_PKS6_NS0_5tupleIJS9_S6_EEENSD_IJSA_SA_EEENS0_18inequality_wrapperIZN2at6native12_GLOBAL__N_124unique_dim_cuda_templateIN3c104HalfEEESt5tupleIJNSH_6TensorESO_SO_EERKSO_lbbbEUlllE0_EEPmJS6_EEE10hipError_tPvRmT3_T4_T5_T6_T7_T9_mT8_P12ihipStream_tbDpT10_ENKUlT_T0_E_clISt17integral_constantIbLb1EES1E_EEDaS19_S1A_EUlS19_E_NS1_11comp_targetILNS1_3genE8ELNS1_11target_archE1030ELNS1_3gpuE2ELNS1_3repE0EEENS1_30default_config_static_selectorELNS0_4arch9wavefront6targetE0EEEvT1_.has_recursion, 0
	.set _ZN7rocprim17ROCPRIM_400000_NS6detail17trampoline_kernelINS0_14default_configENS1_25partition_config_selectorILNS1_17partition_subalgoE8ElNS0_10empty_typeEbEEZZNS1_14partition_implILS5_8ELb0ES3_jPlPS6_PKS6_NS0_5tupleIJS9_S6_EEENSD_IJSA_SA_EEENS0_18inequality_wrapperIZN2at6native12_GLOBAL__N_124unique_dim_cuda_templateIN3c104HalfEEESt5tupleIJNSH_6TensorESO_SO_EERKSO_lbbbEUlllE0_EEPmJS6_EEE10hipError_tPvRmT3_T4_T5_T6_T7_T9_mT8_P12ihipStream_tbDpT10_ENKUlT_T0_E_clISt17integral_constantIbLb1EES1E_EEDaS19_S1A_EUlS19_E_NS1_11comp_targetILNS1_3genE8ELNS1_11target_archE1030ELNS1_3gpuE2ELNS1_3repE0EEENS1_30default_config_static_selectorELNS0_4arch9wavefront6targetE0EEEvT1_.has_indirect_call, 0
	.section	.AMDGPU.csdata,"",@progbits
; Kernel info:
; codeLenInByte = 0
; TotalNumSgprs: 0
; NumVgprs: 0
; ScratchSize: 0
; MemoryBound: 0
; FloatMode: 240
; IeeeMode: 1
; LDSByteSize: 0 bytes/workgroup (compile time only)
; SGPRBlocks: 0
; VGPRBlocks: 0
; NumSGPRsForWavesPerEU: 1
; NumVGPRsForWavesPerEU: 1
; NamedBarCnt: 0
; Occupancy: 16
; WaveLimiterHint : 0
; COMPUTE_PGM_RSRC2:SCRATCH_EN: 0
; COMPUTE_PGM_RSRC2:USER_SGPR: 2
; COMPUTE_PGM_RSRC2:TRAP_HANDLER: 0
; COMPUTE_PGM_RSRC2:TGID_X_EN: 1
; COMPUTE_PGM_RSRC2:TGID_Y_EN: 0
; COMPUTE_PGM_RSRC2:TGID_Z_EN: 0
; COMPUTE_PGM_RSRC2:TIDIG_COMP_CNT: 0
	.section	.text._ZN7rocprim17ROCPRIM_400000_NS6detail17trampoline_kernelINS0_14default_configENS1_25partition_config_selectorILNS1_17partition_subalgoE8ElNS0_10empty_typeEbEEZZNS1_14partition_implILS5_8ELb0ES3_jPlPS6_PKS6_NS0_5tupleIJS9_S6_EEENSD_IJSA_SA_EEENS0_18inequality_wrapperIZN2at6native12_GLOBAL__N_124unique_dim_cuda_templateIN3c104HalfEEESt5tupleIJNSH_6TensorESO_SO_EERKSO_lbbbEUlllE0_EEPmJS6_EEE10hipError_tPvRmT3_T4_T5_T6_T7_T9_mT8_P12ihipStream_tbDpT10_ENKUlT_T0_E_clISt17integral_constantIbLb1EES1D_IbLb0EEEEDaS19_S1A_EUlS19_E_NS1_11comp_targetILNS1_3genE0ELNS1_11target_archE4294967295ELNS1_3gpuE0ELNS1_3repE0EEENS1_30default_config_static_selectorELNS0_4arch9wavefront6targetE0EEEvT1_,"axG",@progbits,_ZN7rocprim17ROCPRIM_400000_NS6detail17trampoline_kernelINS0_14default_configENS1_25partition_config_selectorILNS1_17partition_subalgoE8ElNS0_10empty_typeEbEEZZNS1_14partition_implILS5_8ELb0ES3_jPlPS6_PKS6_NS0_5tupleIJS9_S6_EEENSD_IJSA_SA_EEENS0_18inequality_wrapperIZN2at6native12_GLOBAL__N_124unique_dim_cuda_templateIN3c104HalfEEESt5tupleIJNSH_6TensorESO_SO_EERKSO_lbbbEUlllE0_EEPmJS6_EEE10hipError_tPvRmT3_T4_T5_T6_T7_T9_mT8_P12ihipStream_tbDpT10_ENKUlT_T0_E_clISt17integral_constantIbLb1EES1D_IbLb0EEEEDaS19_S1A_EUlS19_E_NS1_11comp_targetILNS1_3genE0ELNS1_11target_archE4294967295ELNS1_3gpuE0ELNS1_3repE0EEENS1_30default_config_static_selectorELNS0_4arch9wavefront6targetE0EEEvT1_,comdat
	.globl	_ZN7rocprim17ROCPRIM_400000_NS6detail17trampoline_kernelINS0_14default_configENS1_25partition_config_selectorILNS1_17partition_subalgoE8ElNS0_10empty_typeEbEEZZNS1_14partition_implILS5_8ELb0ES3_jPlPS6_PKS6_NS0_5tupleIJS9_S6_EEENSD_IJSA_SA_EEENS0_18inequality_wrapperIZN2at6native12_GLOBAL__N_124unique_dim_cuda_templateIN3c104HalfEEESt5tupleIJNSH_6TensorESO_SO_EERKSO_lbbbEUlllE0_EEPmJS6_EEE10hipError_tPvRmT3_T4_T5_T6_T7_T9_mT8_P12ihipStream_tbDpT10_ENKUlT_T0_E_clISt17integral_constantIbLb1EES1D_IbLb0EEEEDaS19_S1A_EUlS19_E_NS1_11comp_targetILNS1_3genE0ELNS1_11target_archE4294967295ELNS1_3gpuE0ELNS1_3repE0EEENS1_30default_config_static_selectorELNS0_4arch9wavefront6targetE0EEEvT1_ ; -- Begin function _ZN7rocprim17ROCPRIM_400000_NS6detail17trampoline_kernelINS0_14default_configENS1_25partition_config_selectorILNS1_17partition_subalgoE8ElNS0_10empty_typeEbEEZZNS1_14partition_implILS5_8ELb0ES3_jPlPS6_PKS6_NS0_5tupleIJS9_S6_EEENSD_IJSA_SA_EEENS0_18inequality_wrapperIZN2at6native12_GLOBAL__N_124unique_dim_cuda_templateIN3c104HalfEEESt5tupleIJNSH_6TensorESO_SO_EERKSO_lbbbEUlllE0_EEPmJS6_EEE10hipError_tPvRmT3_T4_T5_T6_T7_T9_mT8_P12ihipStream_tbDpT10_ENKUlT_T0_E_clISt17integral_constantIbLb1EES1D_IbLb0EEEEDaS19_S1A_EUlS19_E_NS1_11comp_targetILNS1_3genE0ELNS1_11target_archE4294967295ELNS1_3gpuE0ELNS1_3repE0EEENS1_30default_config_static_selectorELNS0_4arch9wavefront6targetE0EEEvT1_
	.p2align	8
	.type	_ZN7rocprim17ROCPRIM_400000_NS6detail17trampoline_kernelINS0_14default_configENS1_25partition_config_selectorILNS1_17partition_subalgoE8ElNS0_10empty_typeEbEEZZNS1_14partition_implILS5_8ELb0ES3_jPlPS6_PKS6_NS0_5tupleIJS9_S6_EEENSD_IJSA_SA_EEENS0_18inequality_wrapperIZN2at6native12_GLOBAL__N_124unique_dim_cuda_templateIN3c104HalfEEESt5tupleIJNSH_6TensorESO_SO_EERKSO_lbbbEUlllE0_EEPmJS6_EEE10hipError_tPvRmT3_T4_T5_T6_T7_T9_mT8_P12ihipStream_tbDpT10_ENKUlT_T0_E_clISt17integral_constantIbLb1EES1D_IbLb0EEEEDaS19_S1A_EUlS19_E_NS1_11comp_targetILNS1_3genE0ELNS1_11target_archE4294967295ELNS1_3gpuE0ELNS1_3repE0EEENS1_30default_config_static_selectorELNS0_4arch9wavefront6targetE0EEEvT1_,@function
_ZN7rocprim17ROCPRIM_400000_NS6detail17trampoline_kernelINS0_14default_configENS1_25partition_config_selectorILNS1_17partition_subalgoE8ElNS0_10empty_typeEbEEZZNS1_14partition_implILS5_8ELb0ES3_jPlPS6_PKS6_NS0_5tupleIJS9_S6_EEENSD_IJSA_SA_EEENS0_18inequality_wrapperIZN2at6native12_GLOBAL__N_124unique_dim_cuda_templateIN3c104HalfEEESt5tupleIJNSH_6TensorESO_SO_EERKSO_lbbbEUlllE0_EEPmJS6_EEE10hipError_tPvRmT3_T4_T5_T6_T7_T9_mT8_P12ihipStream_tbDpT10_ENKUlT_T0_E_clISt17integral_constantIbLb1EES1D_IbLb0EEEEDaS19_S1A_EUlS19_E_NS1_11comp_targetILNS1_3genE0ELNS1_11target_archE4294967295ELNS1_3gpuE0ELNS1_3repE0EEENS1_30default_config_static_selectorELNS0_4arch9wavefront6targetE0EEEvT1_: ; @_ZN7rocprim17ROCPRIM_400000_NS6detail17trampoline_kernelINS0_14default_configENS1_25partition_config_selectorILNS1_17partition_subalgoE8ElNS0_10empty_typeEbEEZZNS1_14partition_implILS5_8ELb0ES3_jPlPS6_PKS6_NS0_5tupleIJS9_S6_EEENSD_IJSA_SA_EEENS0_18inequality_wrapperIZN2at6native12_GLOBAL__N_124unique_dim_cuda_templateIN3c104HalfEEESt5tupleIJNSH_6TensorESO_SO_EERKSO_lbbbEUlllE0_EEPmJS6_EEE10hipError_tPvRmT3_T4_T5_T6_T7_T9_mT8_P12ihipStream_tbDpT10_ENKUlT_T0_E_clISt17integral_constantIbLb1EES1D_IbLb0EEEEDaS19_S1A_EUlS19_E_NS1_11comp_targetILNS1_3genE0ELNS1_11target_archE4294967295ELNS1_3gpuE0ELNS1_3repE0EEENS1_30default_config_static_selectorELNS0_4arch9wavefront6targetE0EEEvT1_
; %bb.0:
	s_endpgm
	.section	.rodata,"a",@progbits
	.p2align	6, 0x0
	.amdhsa_kernel _ZN7rocprim17ROCPRIM_400000_NS6detail17trampoline_kernelINS0_14default_configENS1_25partition_config_selectorILNS1_17partition_subalgoE8ElNS0_10empty_typeEbEEZZNS1_14partition_implILS5_8ELb0ES3_jPlPS6_PKS6_NS0_5tupleIJS9_S6_EEENSD_IJSA_SA_EEENS0_18inequality_wrapperIZN2at6native12_GLOBAL__N_124unique_dim_cuda_templateIN3c104HalfEEESt5tupleIJNSH_6TensorESO_SO_EERKSO_lbbbEUlllE0_EEPmJS6_EEE10hipError_tPvRmT3_T4_T5_T6_T7_T9_mT8_P12ihipStream_tbDpT10_ENKUlT_T0_E_clISt17integral_constantIbLb1EES1D_IbLb0EEEEDaS19_S1A_EUlS19_E_NS1_11comp_targetILNS1_3genE0ELNS1_11target_archE4294967295ELNS1_3gpuE0ELNS1_3repE0EEENS1_30default_config_static_selectorELNS0_4arch9wavefront6targetE0EEEvT1_
		.amdhsa_group_segment_fixed_size 0
		.amdhsa_private_segment_fixed_size 0
		.amdhsa_kernarg_size 120
		.amdhsa_user_sgpr_count 2
		.amdhsa_user_sgpr_dispatch_ptr 0
		.amdhsa_user_sgpr_queue_ptr 0
		.amdhsa_user_sgpr_kernarg_segment_ptr 1
		.amdhsa_user_sgpr_dispatch_id 0
		.amdhsa_user_sgpr_kernarg_preload_length 0
		.amdhsa_user_sgpr_kernarg_preload_offset 0
		.amdhsa_user_sgpr_private_segment_size 0
		.amdhsa_wavefront_size32 1
		.amdhsa_uses_dynamic_stack 0
		.amdhsa_enable_private_segment 0
		.amdhsa_system_sgpr_workgroup_id_x 1
		.amdhsa_system_sgpr_workgroup_id_y 0
		.amdhsa_system_sgpr_workgroup_id_z 0
		.amdhsa_system_sgpr_workgroup_info 0
		.amdhsa_system_vgpr_workitem_id 0
		.amdhsa_next_free_vgpr 1
		.amdhsa_next_free_sgpr 1
		.amdhsa_named_barrier_count 0
		.amdhsa_reserve_vcc 0
		.amdhsa_float_round_mode_32 0
		.amdhsa_float_round_mode_16_64 0
		.amdhsa_float_denorm_mode_32 3
		.amdhsa_float_denorm_mode_16_64 3
		.amdhsa_fp16_overflow 0
		.amdhsa_memory_ordered 1
		.amdhsa_forward_progress 1
		.amdhsa_inst_pref_size 1
		.amdhsa_round_robin_scheduling 0
		.amdhsa_exception_fp_ieee_invalid_op 0
		.amdhsa_exception_fp_denorm_src 0
		.amdhsa_exception_fp_ieee_div_zero 0
		.amdhsa_exception_fp_ieee_overflow 0
		.amdhsa_exception_fp_ieee_underflow 0
		.amdhsa_exception_fp_ieee_inexact 0
		.amdhsa_exception_int_div_zero 0
	.end_amdhsa_kernel
	.section	.text._ZN7rocprim17ROCPRIM_400000_NS6detail17trampoline_kernelINS0_14default_configENS1_25partition_config_selectorILNS1_17partition_subalgoE8ElNS0_10empty_typeEbEEZZNS1_14partition_implILS5_8ELb0ES3_jPlPS6_PKS6_NS0_5tupleIJS9_S6_EEENSD_IJSA_SA_EEENS0_18inequality_wrapperIZN2at6native12_GLOBAL__N_124unique_dim_cuda_templateIN3c104HalfEEESt5tupleIJNSH_6TensorESO_SO_EERKSO_lbbbEUlllE0_EEPmJS6_EEE10hipError_tPvRmT3_T4_T5_T6_T7_T9_mT8_P12ihipStream_tbDpT10_ENKUlT_T0_E_clISt17integral_constantIbLb1EES1D_IbLb0EEEEDaS19_S1A_EUlS19_E_NS1_11comp_targetILNS1_3genE0ELNS1_11target_archE4294967295ELNS1_3gpuE0ELNS1_3repE0EEENS1_30default_config_static_selectorELNS0_4arch9wavefront6targetE0EEEvT1_,"axG",@progbits,_ZN7rocprim17ROCPRIM_400000_NS6detail17trampoline_kernelINS0_14default_configENS1_25partition_config_selectorILNS1_17partition_subalgoE8ElNS0_10empty_typeEbEEZZNS1_14partition_implILS5_8ELb0ES3_jPlPS6_PKS6_NS0_5tupleIJS9_S6_EEENSD_IJSA_SA_EEENS0_18inequality_wrapperIZN2at6native12_GLOBAL__N_124unique_dim_cuda_templateIN3c104HalfEEESt5tupleIJNSH_6TensorESO_SO_EERKSO_lbbbEUlllE0_EEPmJS6_EEE10hipError_tPvRmT3_T4_T5_T6_T7_T9_mT8_P12ihipStream_tbDpT10_ENKUlT_T0_E_clISt17integral_constantIbLb1EES1D_IbLb0EEEEDaS19_S1A_EUlS19_E_NS1_11comp_targetILNS1_3genE0ELNS1_11target_archE4294967295ELNS1_3gpuE0ELNS1_3repE0EEENS1_30default_config_static_selectorELNS0_4arch9wavefront6targetE0EEEvT1_,comdat
.Lfunc_end1313:
	.size	_ZN7rocprim17ROCPRIM_400000_NS6detail17trampoline_kernelINS0_14default_configENS1_25partition_config_selectorILNS1_17partition_subalgoE8ElNS0_10empty_typeEbEEZZNS1_14partition_implILS5_8ELb0ES3_jPlPS6_PKS6_NS0_5tupleIJS9_S6_EEENSD_IJSA_SA_EEENS0_18inequality_wrapperIZN2at6native12_GLOBAL__N_124unique_dim_cuda_templateIN3c104HalfEEESt5tupleIJNSH_6TensorESO_SO_EERKSO_lbbbEUlllE0_EEPmJS6_EEE10hipError_tPvRmT3_T4_T5_T6_T7_T9_mT8_P12ihipStream_tbDpT10_ENKUlT_T0_E_clISt17integral_constantIbLb1EES1D_IbLb0EEEEDaS19_S1A_EUlS19_E_NS1_11comp_targetILNS1_3genE0ELNS1_11target_archE4294967295ELNS1_3gpuE0ELNS1_3repE0EEENS1_30default_config_static_selectorELNS0_4arch9wavefront6targetE0EEEvT1_, .Lfunc_end1313-_ZN7rocprim17ROCPRIM_400000_NS6detail17trampoline_kernelINS0_14default_configENS1_25partition_config_selectorILNS1_17partition_subalgoE8ElNS0_10empty_typeEbEEZZNS1_14partition_implILS5_8ELb0ES3_jPlPS6_PKS6_NS0_5tupleIJS9_S6_EEENSD_IJSA_SA_EEENS0_18inequality_wrapperIZN2at6native12_GLOBAL__N_124unique_dim_cuda_templateIN3c104HalfEEESt5tupleIJNSH_6TensorESO_SO_EERKSO_lbbbEUlllE0_EEPmJS6_EEE10hipError_tPvRmT3_T4_T5_T6_T7_T9_mT8_P12ihipStream_tbDpT10_ENKUlT_T0_E_clISt17integral_constantIbLb1EES1D_IbLb0EEEEDaS19_S1A_EUlS19_E_NS1_11comp_targetILNS1_3genE0ELNS1_11target_archE4294967295ELNS1_3gpuE0ELNS1_3repE0EEENS1_30default_config_static_selectorELNS0_4arch9wavefront6targetE0EEEvT1_
                                        ; -- End function
	.set _ZN7rocprim17ROCPRIM_400000_NS6detail17trampoline_kernelINS0_14default_configENS1_25partition_config_selectorILNS1_17partition_subalgoE8ElNS0_10empty_typeEbEEZZNS1_14partition_implILS5_8ELb0ES3_jPlPS6_PKS6_NS0_5tupleIJS9_S6_EEENSD_IJSA_SA_EEENS0_18inequality_wrapperIZN2at6native12_GLOBAL__N_124unique_dim_cuda_templateIN3c104HalfEEESt5tupleIJNSH_6TensorESO_SO_EERKSO_lbbbEUlllE0_EEPmJS6_EEE10hipError_tPvRmT3_T4_T5_T6_T7_T9_mT8_P12ihipStream_tbDpT10_ENKUlT_T0_E_clISt17integral_constantIbLb1EES1D_IbLb0EEEEDaS19_S1A_EUlS19_E_NS1_11comp_targetILNS1_3genE0ELNS1_11target_archE4294967295ELNS1_3gpuE0ELNS1_3repE0EEENS1_30default_config_static_selectorELNS0_4arch9wavefront6targetE0EEEvT1_.num_vgpr, 0
	.set _ZN7rocprim17ROCPRIM_400000_NS6detail17trampoline_kernelINS0_14default_configENS1_25partition_config_selectorILNS1_17partition_subalgoE8ElNS0_10empty_typeEbEEZZNS1_14partition_implILS5_8ELb0ES3_jPlPS6_PKS6_NS0_5tupleIJS9_S6_EEENSD_IJSA_SA_EEENS0_18inequality_wrapperIZN2at6native12_GLOBAL__N_124unique_dim_cuda_templateIN3c104HalfEEESt5tupleIJNSH_6TensorESO_SO_EERKSO_lbbbEUlllE0_EEPmJS6_EEE10hipError_tPvRmT3_T4_T5_T6_T7_T9_mT8_P12ihipStream_tbDpT10_ENKUlT_T0_E_clISt17integral_constantIbLb1EES1D_IbLb0EEEEDaS19_S1A_EUlS19_E_NS1_11comp_targetILNS1_3genE0ELNS1_11target_archE4294967295ELNS1_3gpuE0ELNS1_3repE0EEENS1_30default_config_static_selectorELNS0_4arch9wavefront6targetE0EEEvT1_.num_agpr, 0
	.set _ZN7rocprim17ROCPRIM_400000_NS6detail17trampoline_kernelINS0_14default_configENS1_25partition_config_selectorILNS1_17partition_subalgoE8ElNS0_10empty_typeEbEEZZNS1_14partition_implILS5_8ELb0ES3_jPlPS6_PKS6_NS0_5tupleIJS9_S6_EEENSD_IJSA_SA_EEENS0_18inequality_wrapperIZN2at6native12_GLOBAL__N_124unique_dim_cuda_templateIN3c104HalfEEESt5tupleIJNSH_6TensorESO_SO_EERKSO_lbbbEUlllE0_EEPmJS6_EEE10hipError_tPvRmT3_T4_T5_T6_T7_T9_mT8_P12ihipStream_tbDpT10_ENKUlT_T0_E_clISt17integral_constantIbLb1EES1D_IbLb0EEEEDaS19_S1A_EUlS19_E_NS1_11comp_targetILNS1_3genE0ELNS1_11target_archE4294967295ELNS1_3gpuE0ELNS1_3repE0EEENS1_30default_config_static_selectorELNS0_4arch9wavefront6targetE0EEEvT1_.numbered_sgpr, 0
	.set _ZN7rocprim17ROCPRIM_400000_NS6detail17trampoline_kernelINS0_14default_configENS1_25partition_config_selectorILNS1_17partition_subalgoE8ElNS0_10empty_typeEbEEZZNS1_14partition_implILS5_8ELb0ES3_jPlPS6_PKS6_NS0_5tupleIJS9_S6_EEENSD_IJSA_SA_EEENS0_18inequality_wrapperIZN2at6native12_GLOBAL__N_124unique_dim_cuda_templateIN3c104HalfEEESt5tupleIJNSH_6TensorESO_SO_EERKSO_lbbbEUlllE0_EEPmJS6_EEE10hipError_tPvRmT3_T4_T5_T6_T7_T9_mT8_P12ihipStream_tbDpT10_ENKUlT_T0_E_clISt17integral_constantIbLb1EES1D_IbLb0EEEEDaS19_S1A_EUlS19_E_NS1_11comp_targetILNS1_3genE0ELNS1_11target_archE4294967295ELNS1_3gpuE0ELNS1_3repE0EEENS1_30default_config_static_selectorELNS0_4arch9wavefront6targetE0EEEvT1_.num_named_barrier, 0
	.set _ZN7rocprim17ROCPRIM_400000_NS6detail17trampoline_kernelINS0_14default_configENS1_25partition_config_selectorILNS1_17partition_subalgoE8ElNS0_10empty_typeEbEEZZNS1_14partition_implILS5_8ELb0ES3_jPlPS6_PKS6_NS0_5tupleIJS9_S6_EEENSD_IJSA_SA_EEENS0_18inequality_wrapperIZN2at6native12_GLOBAL__N_124unique_dim_cuda_templateIN3c104HalfEEESt5tupleIJNSH_6TensorESO_SO_EERKSO_lbbbEUlllE0_EEPmJS6_EEE10hipError_tPvRmT3_T4_T5_T6_T7_T9_mT8_P12ihipStream_tbDpT10_ENKUlT_T0_E_clISt17integral_constantIbLb1EES1D_IbLb0EEEEDaS19_S1A_EUlS19_E_NS1_11comp_targetILNS1_3genE0ELNS1_11target_archE4294967295ELNS1_3gpuE0ELNS1_3repE0EEENS1_30default_config_static_selectorELNS0_4arch9wavefront6targetE0EEEvT1_.private_seg_size, 0
	.set _ZN7rocprim17ROCPRIM_400000_NS6detail17trampoline_kernelINS0_14default_configENS1_25partition_config_selectorILNS1_17partition_subalgoE8ElNS0_10empty_typeEbEEZZNS1_14partition_implILS5_8ELb0ES3_jPlPS6_PKS6_NS0_5tupleIJS9_S6_EEENSD_IJSA_SA_EEENS0_18inequality_wrapperIZN2at6native12_GLOBAL__N_124unique_dim_cuda_templateIN3c104HalfEEESt5tupleIJNSH_6TensorESO_SO_EERKSO_lbbbEUlllE0_EEPmJS6_EEE10hipError_tPvRmT3_T4_T5_T6_T7_T9_mT8_P12ihipStream_tbDpT10_ENKUlT_T0_E_clISt17integral_constantIbLb1EES1D_IbLb0EEEEDaS19_S1A_EUlS19_E_NS1_11comp_targetILNS1_3genE0ELNS1_11target_archE4294967295ELNS1_3gpuE0ELNS1_3repE0EEENS1_30default_config_static_selectorELNS0_4arch9wavefront6targetE0EEEvT1_.uses_vcc, 0
	.set _ZN7rocprim17ROCPRIM_400000_NS6detail17trampoline_kernelINS0_14default_configENS1_25partition_config_selectorILNS1_17partition_subalgoE8ElNS0_10empty_typeEbEEZZNS1_14partition_implILS5_8ELb0ES3_jPlPS6_PKS6_NS0_5tupleIJS9_S6_EEENSD_IJSA_SA_EEENS0_18inequality_wrapperIZN2at6native12_GLOBAL__N_124unique_dim_cuda_templateIN3c104HalfEEESt5tupleIJNSH_6TensorESO_SO_EERKSO_lbbbEUlllE0_EEPmJS6_EEE10hipError_tPvRmT3_T4_T5_T6_T7_T9_mT8_P12ihipStream_tbDpT10_ENKUlT_T0_E_clISt17integral_constantIbLb1EES1D_IbLb0EEEEDaS19_S1A_EUlS19_E_NS1_11comp_targetILNS1_3genE0ELNS1_11target_archE4294967295ELNS1_3gpuE0ELNS1_3repE0EEENS1_30default_config_static_selectorELNS0_4arch9wavefront6targetE0EEEvT1_.uses_flat_scratch, 0
	.set _ZN7rocprim17ROCPRIM_400000_NS6detail17trampoline_kernelINS0_14default_configENS1_25partition_config_selectorILNS1_17partition_subalgoE8ElNS0_10empty_typeEbEEZZNS1_14partition_implILS5_8ELb0ES3_jPlPS6_PKS6_NS0_5tupleIJS9_S6_EEENSD_IJSA_SA_EEENS0_18inequality_wrapperIZN2at6native12_GLOBAL__N_124unique_dim_cuda_templateIN3c104HalfEEESt5tupleIJNSH_6TensorESO_SO_EERKSO_lbbbEUlllE0_EEPmJS6_EEE10hipError_tPvRmT3_T4_T5_T6_T7_T9_mT8_P12ihipStream_tbDpT10_ENKUlT_T0_E_clISt17integral_constantIbLb1EES1D_IbLb0EEEEDaS19_S1A_EUlS19_E_NS1_11comp_targetILNS1_3genE0ELNS1_11target_archE4294967295ELNS1_3gpuE0ELNS1_3repE0EEENS1_30default_config_static_selectorELNS0_4arch9wavefront6targetE0EEEvT1_.has_dyn_sized_stack, 0
	.set _ZN7rocprim17ROCPRIM_400000_NS6detail17trampoline_kernelINS0_14default_configENS1_25partition_config_selectorILNS1_17partition_subalgoE8ElNS0_10empty_typeEbEEZZNS1_14partition_implILS5_8ELb0ES3_jPlPS6_PKS6_NS0_5tupleIJS9_S6_EEENSD_IJSA_SA_EEENS0_18inequality_wrapperIZN2at6native12_GLOBAL__N_124unique_dim_cuda_templateIN3c104HalfEEESt5tupleIJNSH_6TensorESO_SO_EERKSO_lbbbEUlllE0_EEPmJS6_EEE10hipError_tPvRmT3_T4_T5_T6_T7_T9_mT8_P12ihipStream_tbDpT10_ENKUlT_T0_E_clISt17integral_constantIbLb1EES1D_IbLb0EEEEDaS19_S1A_EUlS19_E_NS1_11comp_targetILNS1_3genE0ELNS1_11target_archE4294967295ELNS1_3gpuE0ELNS1_3repE0EEENS1_30default_config_static_selectorELNS0_4arch9wavefront6targetE0EEEvT1_.has_recursion, 0
	.set _ZN7rocprim17ROCPRIM_400000_NS6detail17trampoline_kernelINS0_14default_configENS1_25partition_config_selectorILNS1_17partition_subalgoE8ElNS0_10empty_typeEbEEZZNS1_14partition_implILS5_8ELb0ES3_jPlPS6_PKS6_NS0_5tupleIJS9_S6_EEENSD_IJSA_SA_EEENS0_18inequality_wrapperIZN2at6native12_GLOBAL__N_124unique_dim_cuda_templateIN3c104HalfEEESt5tupleIJNSH_6TensorESO_SO_EERKSO_lbbbEUlllE0_EEPmJS6_EEE10hipError_tPvRmT3_T4_T5_T6_T7_T9_mT8_P12ihipStream_tbDpT10_ENKUlT_T0_E_clISt17integral_constantIbLb1EES1D_IbLb0EEEEDaS19_S1A_EUlS19_E_NS1_11comp_targetILNS1_3genE0ELNS1_11target_archE4294967295ELNS1_3gpuE0ELNS1_3repE0EEENS1_30default_config_static_selectorELNS0_4arch9wavefront6targetE0EEEvT1_.has_indirect_call, 0
	.section	.AMDGPU.csdata,"",@progbits
; Kernel info:
; codeLenInByte = 4
; TotalNumSgprs: 0
; NumVgprs: 0
; ScratchSize: 0
; MemoryBound: 0
; FloatMode: 240
; IeeeMode: 1
; LDSByteSize: 0 bytes/workgroup (compile time only)
; SGPRBlocks: 0
; VGPRBlocks: 0
; NumSGPRsForWavesPerEU: 1
; NumVGPRsForWavesPerEU: 1
; NamedBarCnt: 0
; Occupancy: 16
; WaveLimiterHint : 0
; COMPUTE_PGM_RSRC2:SCRATCH_EN: 0
; COMPUTE_PGM_RSRC2:USER_SGPR: 2
; COMPUTE_PGM_RSRC2:TRAP_HANDLER: 0
; COMPUTE_PGM_RSRC2:TGID_X_EN: 1
; COMPUTE_PGM_RSRC2:TGID_Y_EN: 0
; COMPUTE_PGM_RSRC2:TGID_Z_EN: 0
; COMPUTE_PGM_RSRC2:TIDIG_COMP_CNT: 0
	.section	.text._ZN7rocprim17ROCPRIM_400000_NS6detail17trampoline_kernelINS0_14default_configENS1_25partition_config_selectorILNS1_17partition_subalgoE8ElNS0_10empty_typeEbEEZZNS1_14partition_implILS5_8ELb0ES3_jPlPS6_PKS6_NS0_5tupleIJS9_S6_EEENSD_IJSA_SA_EEENS0_18inequality_wrapperIZN2at6native12_GLOBAL__N_124unique_dim_cuda_templateIN3c104HalfEEESt5tupleIJNSH_6TensorESO_SO_EERKSO_lbbbEUlllE0_EEPmJS6_EEE10hipError_tPvRmT3_T4_T5_T6_T7_T9_mT8_P12ihipStream_tbDpT10_ENKUlT_T0_E_clISt17integral_constantIbLb1EES1D_IbLb0EEEEDaS19_S1A_EUlS19_E_NS1_11comp_targetILNS1_3genE5ELNS1_11target_archE942ELNS1_3gpuE9ELNS1_3repE0EEENS1_30default_config_static_selectorELNS0_4arch9wavefront6targetE0EEEvT1_,"axG",@progbits,_ZN7rocprim17ROCPRIM_400000_NS6detail17trampoline_kernelINS0_14default_configENS1_25partition_config_selectorILNS1_17partition_subalgoE8ElNS0_10empty_typeEbEEZZNS1_14partition_implILS5_8ELb0ES3_jPlPS6_PKS6_NS0_5tupleIJS9_S6_EEENSD_IJSA_SA_EEENS0_18inequality_wrapperIZN2at6native12_GLOBAL__N_124unique_dim_cuda_templateIN3c104HalfEEESt5tupleIJNSH_6TensorESO_SO_EERKSO_lbbbEUlllE0_EEPmJS6_EEE10hipError_tPvRmT3_T4_T5_T6_T7_T9_mT8_P12ihipStream_tbDpT10_ENKUlT_T0_E_clISt17integral_constantIbLb1EES1D_IbLb0EEEEDaS19_S1A_EUlS19_E_NS1_11comp_targetILNS1_3genE5ELNS1_11target_archE942ELNS1_3gpuE9ELNS1_3repE0EEENS1_30default_config_static_selectorELNS0_4arch9wavefront6targetE0EEEvT1_,comdat
	.globl	_ZN7rocprim17ROCPRIM_400000_NS6detail17trampoline_kernelINS0_14default_configENS1_25partition_config_selectorILNS1_17partition_subalgoE8ElNS0_10empty_typeEbEEZZNS1_14partition_implILS5_8ELb0ES3_jPlPS6_PKS6_NS0_5tupleIJS9_S6_EEENSD_IJSA_SA_EEENS0_18inequality_wrapperIZN2at6native12_GLOBAL__N_124unique_dim_cuda_templateIN3c104HalfEEESt5tupleIJNSH_6TensorESO_SO_EERKSO_lbbbEUlllE0_EEPmJS6_EEE10hipError_tPvRmT3_T4_T5_T6_T7_T9_mT8_P12ihipStream_tbDpT10_ENKUlT_T0_E_clISt17integral_constantIbLb1EES1D_IbLb0EEEEDaS19_S1A_EUlS19_E_NS1_11comp_targetILNS1_3genE5ELNS1_11target_archE942ELNS1_3gpuE9ELNS1_3repE0EEENS1_30default_config_static_selectorELNS0_4arch9wavefront6targetE0EEEvT1_ ; -- Begin function _ZN7rocprim17ROCPRIM_400000_NS6detail17trampoline_kernelINS0_14default_configENS1_25partition_config_selectorILNS1_17partition_subalgoE8ElNS0_10empty_typeEbEEZZNS1_14partition_implILS5_8ELb0ES3_jPlPS6_PKS6_NS0_5tupleIJS9_S6_EEENSD_IJSA_SA_EEENS0_18inequality_wrapperIZN2at6native12_GLOBAL__N_124unique_dim_cuda_templateIN3c104HalfEEESt5tupleIJNSH_6TensorESO_SO_EERKSO_lbbbEUlllE0_EEPmJS6_EEE10hipError_tPvRmT3_T4_T5_T6_T7_T9_mT8_P12ihipStream_tbDpT10_ENKUlT_T0_E_clISt17integral_constantIbLb1EES1D_IbLb0EEEEDaS19_S1A_EUlS19_E_NS1_11comp_targetILNS1_3genE5ELNS1_11target_archE942ELNS1_3gpuE9ELNS1_3repE0EEENS1_30default_config_static_selectorELNS0_4arch9wavefront6targetE0EEEvT1_
	.p2align	8
	.type	_ZN7rocprim17ROCPRIM_400000_NS6detail17trampoline_kernelINS0_14default_configENS1_25partition_config_selectorILNS1_17partition_subalgoE8ElNS0_10empty_typeEbEEZZNS1_14partition_implILS5_8ELb0ES3_jPlPS6_PKS6_NS0_5tupleIJS9_S6_EEENSD_IJSA_SA_EEENS0_18inequality_wrapperIZN2at6native12_GLOBAL__N_124unique_dim_cuda_templateIN3c104HalfEEESt5tupleIJNSH_6TensorESO_SO_EERKSO_lbbbEUlllE0_EEPmJS6_EEE10hipError_tPvRmT3_T4_T5_T6_T7_T9_mT8_P12ihipStream_tbDpT10_ENKUlT_T0_E_clISt17integral_constantIbLb1EES1D_IbLb0EEEEDaS19_S1A_EUlS19_E_NS1_11comp_targetILNS1_3genE5ELNS1_11target_archE942ELNS1_3gpuE9ELNS1_3repE0EEENS1_30default_config_static_selectorELNS0_4arch9wavefront6targetE0EEEvT1_,@function
_ZN7rocprim17ROCPRIM_400000_NS6detail17trampoline_kernelINS0_14default_configENS1_25partition_config_selectorILNS1_17partition_subalgoE8ElNS0_10empty_typeEbEEZZNS1_14partition_implILS5_8ELb0ES3_jPlPS6_PKS6_NS0_5tupleIJS9_S6_EEENSD_IJSA_SA_EEENS0_18inequality_wrapperIZN2at6native12_GLOBAL__N_124unique_dim_cuda_templateIN3c104HalfEEESt5tupleIJNSH_6TensorESO_SO_EERKSO_lbbbEUlllE0_EEPmJS6_EEE10hipError_tPvRmT3_T4_T5_T6_T7_T9_mT8_P12ihipStream_tbDpT10_ENKUlT_T0_E_clISt17integral_constantIbLb1EES1D_IbLb0EEEEDaS19_S1A_EUlS19_E_NS1_11comp_targetILNS1_3genE5ELNS1_11target_archE942ELNS1_3gpuE9ELNS1_3repE0EEENS1_30default_config_static_selectorELNS0_4arch9wavefront6targetE0EEEvT1_: ; @_ZN7rocprim17ROCPRIM_400000_NS6detail17trampoline_kernelINS0_14default_configENS1_25partition_config_selectorILNS1_17partition_subalgoE8ElNS0_10empty_typeEbEEZZNS1_14partition_implILS5_8ELb0ES3_jPlPS6_PKS6_NS0_5tupleIJS9_S6_EEENSD_IJSA_SA_EEENS0_18inequality_wrapperIZN2at6native12_GLOBAL__N_124unique_dim_cuda_templateIN3c104HalfEEESt5tupleIJNSH_6TensorESO_SO_EERKSO_lbbbEUlllE0_EEPmJS6_EEE10hipError_tPvRmT3_T4_T5_T6_T7_T9_mT8_P12ihipStream_tbDpT10_ENKUlT_T0_E_clISt17integral_constantIbLb1EES1D_IbLb0EEEEDaS19_S1A_EUlS19_E_NS1_11comp_targetILNS1_3genE5ELNS1_11target_archE942ELNS1_3gpuE9ELNS1_3repE0EEENS1_30default_config_static_selectorELNS0_4arch9wavefront6targetE0EEEvT1_
; %bb.0:
	.section	.rodata,"a",@progbits
	.p2align	6, 0x0
	.amdhsa_kernel _ZN7rocprim17ROCPRIM_400000_NS6detail17trampoline_kernelINS0_14default_configENS1_25partition_config_selectorILNS1_17partition_subalgoE8ElNS0_10empty_typeEbEEZZNS1_14partition_implILS5_8ELb0ES3_jPlPS6_PKS6_NS0_5tupleIJS9_S6_EEENSD_IJSA_SA_EEENS0_18inequality_wrapperIZN2at6native12_GLOBAL__N_124unique_dim_cuda_templateIN3c104HalfEEESt5tupleIJNSH_6TensorESO_SO_EERKSO_lbbbEUlllE0_EEPmJS6_EEE10hipError_tPvRmT3_T4_T5_T6_T7_T9_mT8_P12ihipStream_tbDpT10_ENKUlT_T0_E_clISt17integral_constantIbLb1EES1D_IbLb0EEEEDaS19_S1A_EUlS19_E_NS1_11comp_targetILNS1_3genE5ELNS1_11target_archE942ELNS1_3gpuE9ELNS1_3repE0EEENS1_30default_config_static_selectorELNS0_4arch9wavefront6targetE0EEEvT1_
		.amdhsa_group_segment_fixed_size 0
		.amdhsa_private_segment_fixed_size 0
		.amdhsa_kernarg_size 120
		.amdhsa_user_sgpr_count 2
		.amdhsa_user_sgpr_dispatch_ptr 0
		.amdhsa_user_sgpr_queue_ptr 0
		.amdhsa_user_sgpr_kernarg_segment_ptr 1
		.amdhsa_user_sgpr_dispatch_id 0
		.amdhsa_user_sgpr_kernarg_preload_length 0
		.amdhsa_user_sgpr_kernarg_preload_offset 0
		.amdhsa_user_sgpr_private_segment_size 0
		.amdhsa_wavefront_size32 1
		.amdhsa_uses_dynamic_stack 0
		.amdhsa_enable_private_segment 0
		.amdhsa_system_sgpr_workgroup_id_x 1
		.amdhsa_system_sgpr_workgroup_id_y 0
		.amdhsa_system_sgpr_workgroup_id_z 0
		.amdhsa_system_sgpr_workgroup_info 0
		.amdhsa_system_vgpr_workitem_id 0
		.amdhsa_next_free_vgpr 1
		.amdhsa_next_free_sgpr 1
		.amdhsa_named_barrier_count 0
		.amdhsa_reserve_vcc 0
		.amdhsa_float_round_mode_32 0
		.amdhsa_float_round_mode_16_64 0
		.amdhsa_float_denorm_mode_32 3
		.amdhsa_float_denorm_mode_16_64 3
		.amdhsa_fp16_overflow 0
		.amdhsa_memory_ordered 1
		.amdhsa_forward_progress 1
		.amdhsa_inst_pref_size 0
		.amdhsa_round_robin_scheduling 0
		.amdhsa_exception_fp_ieee_invalid_op 0
		.amdhsa_exception_fp_denorm_src 0
		.amdhsa_exception_fp_ieee_div_zero 0
		.amdhsa_exception_fp_ieee_overflow 0
		.amdhsa_exception_fp_ieee_underflow 0
		.amdhsa_exception_fp_ieee_inexact 0
		.amdhsa_exception_int_div_zero 0
	.end_amdhsa_kernel
	.section	.text._ZN7rocprim17ROCPRIM_400000_NS6detail17trampoline_kernelINS0_14default_configENS1_25partition_config_selectorILNS1_17partition_subalgoE8ElNS0_10empty_typeEbEEZZNS1_14partition_implILS5_8ELb0ES3_jPlPS6_PKS6_NS0_5tupleIJS9_S6_EEENSD_IJSA_SA_EEENS0_18inequality_wrapperIZN2at6native12_GLOBAL__N_124unique_dim_cuda_templateIN3c104HalfEEESt5tupleIJNSH_6TensorESO_SO_EERKSO_lbbbEUlllE0_EEPmJS6_EEE10hipError_tPvRmT3_T4_T5_T6_T7_T9_mT8_P12ihipStream_tbDpT10_ENKUlT_T0_E_clISt17integral_constantIbLb1EES1D_IbLb0EEEEDaS19_S1A_EUlS19_E_NS1_11comp_targetILNS1_3genE5ELNS1_11target_archE942ELNS1_3gpuE9ELNS1_3repE0EEENS1_30default_config_static_selectorELNS0_4arch9wavefront6targetE0EEEvT1_,"axG",@progbits,_ZN7rocprim17ROCPRIM_400000_NS6detail17trampoline_kernelINS0_14default_configENS1_25partition_config_selectorILNS1_17partition_subalgoE8ElNS0_10empty_typeEbEEZZNS1_14partition_implILS5_8ELb0ES3_jPlPS6_PKS6_NS0_5tupleIJS9_S6_EEENSD_IJSA_SA_EEENS0_18inequality_wrapperIZN2at6native12_GLOBAL__N_124unique_dim_cuda_templateIN3c104HalfEEESt5tupleIJNSH_6TensorESO_SO_EERKSO_lbbbEUlllE0_EEPmJS6_EEE10hipError_tPvRmT3_T4_T5_T6_T7_T9_mT8_P12ihipStream_tbDpT10_ENKUlT_T0_E_clISt17integral_constantIbLb1EES1D_IbLb0EEEEDaS19_S1A_EUlS19_E_NS1_11comp_targetILNS1_3genE5ELNS1_11target_archE942ELNS1_3gpuE9ELNS1_3repE0EEENS1_30default_config_static_selectorELNS0_4arch9wavefront6targetE0EEEvT1_,comdat
.Lfunc_end1314:
	.size	_ZN7rocprim17ROCPRIM_400000_NS6detail17trampoline_kernelINS0_14default_configENS1_25partition_config_selectorILNS1_17partition_subalgoE8ElNS0_10empty_typeEbEEZZNS1_14partition_implILS5_8ELb0ES3_jPlPS6_PKS6_NS0_5tupleIJS9_S6_EEENSD_IJSA_SA_EEENS0_18inequality_wrapperIZN2at6native12_GLOBAL__N_124unique_dim_cuda_templateIN3c104HalfEEESt5tupleIJNSH_6TensorESO_SO_EERKSO_lbbbEUlllE0_EEPmJS6_EEE10hipError_tPvRmT3_T4_T5_T6_T7_T9_mT8_P12ihipStream_tbDpT10_ENKUlT_T0_E_clISt17integral_constantIbLb1EES1D_IbLb0EEEEDaS19_S1A_EUlS19_E_NS1_11comp_targetILNS1_3genE5ELNS1_11target_archE942ELNS1_3gpuE9ELNS1_3repE0EEENS1_30default_config_static_selectorELNS0_4arch9wavefront6targetE0EEEvT1_, .Lfunc_end1314-_ZN7rocprim17ROCPRIM_400000_NS6detail17trampoline_kernelINS0_14default_configENS1_25partition_config_selectorILNS1_17partition_subalgoE8ElNS0_10empty_typeEbEEZZNS1_14partition_implILS5_8ELb0ES3_jPlPS6_PKS6_NS0_5tupleIJS9_S6_EEENSD_IJSA_SA_EEENS0_18inequality_wrapperIZN2at6native12_GLOBAL__N_124unique_dim_cuda_templateIN3c104HalfEEESt5tupleIJNSH_6TensorESO_SO_EERKSO_lbbbEUlllE0_EEPmJS6_EEE10hipError_tPvRmT3_T4_T5_T6_T7_T9_mT8_P12ihipStream_tbDpT10_ENKUlT_T0_E_clISt17integral_constantIbLb1EES1D_IbLb0EEEEDaS19_S1A_EUlS19_E_NS1_11comp_targetILNS1_3genE5ELNS1_11target_archE942ELNS1_3gpuE9ELNS1_3repE0EEENS1_30default_config_static_selectorELNS0_4arch9wavefront6targetE0EEEvT1_
                                        ; -- End function
	.set _ZN7rocprim17ROCPRIM_400000_NS6detail17trampoline_kernelINS0_14default_configENS1_25partition_config_selectorILNS1_17partition_subalgoE8ElNS0_10empty_typeEbEEZZNS1_14partition_implILS5_8ELb0ES3_jPlPS6_PKS6_NS0_5tupleIJS9_S6_EEENSD_IJSA_SA_EEENS0_18inequality_wrapperIZN2at6native12_GLOBAL__N_124unique_dim_cuda_templateIN3c104HalfEEESt5tupleIJNSH_6TensorESO_SO_EERKSO_lbbbEUlllE0_EEPmJS6_EEE10hipError_tPvRmT3_T4_T5_T6_T7_T9_mT8_P12ihipStream_tbDpT10_ENKUlT_T0_E_clISt17integral_constantIbLb1EES1D_IbLb0EEEEDaS19_S1A_EUlS19_E_NS1_11comp_targetILNS1_3genE5ELNS1_11target_archE942ELNS1_3gpuE9ELNS1_3repE0EEENS1_30default_config_static_selectorELNS0_4arch9wavefront6targetE0EEEvT1_.num_vgpr, 0
	.set _ZN7rocprim17ROCPRIM_400000_NS6detail17trampoline_kernelINS0_14default_configENS1_25partition_config_selectorILNS1_17partition_subalgoE8ElNS0_10empty_typeEbEEZZNS1_14partition_implILS5_8ELb0ES3_jPlPS6_PKS6_NS0_5tupleIJS9_S6_EEENSD_IJSA_SA_EEENS0_18inequality_wrapperIZN2at6native12_GLOBAL__N_124unique_dim_cuda_templateIN3c104HalfEEESt5tupleIJNSH_6TensorESO_SO_EERKSO_lbbbEUlllE0_EEPmJS6_EEE10hipError_tPvRmT3_T4_T5_T6_T7_T9_mT8_P12ihipStream_tbDpT10_ENKUlT_T0_E_clISt17integral_constantIbLb1EES1D_IbLb0EEEEDaS19_S1A_EUlS19_E_NS1_11comp_targetILNS1_3genE5ELNS1_11target_archE942ELNS1_3gpuE9ELNS1_3repE0EEENS1_30default_config_static_selectorELNS0_4arch9wavefront6targetE0EEEvT1_.num_agpr, 0
	.set _ZN7rocprim17ROCPRIM_400000_NS6detail17trampoline_kernelINS0_14default_configENS1_25partition_config_selectorILNS1_17partition_subalgoE8ElNS0_10empty_typeEbEEZZNS1_14partition_implILS5_8ELb0ES3_jPlPS6_PKS6_NS0_5tupleIJS9_S6_EEENSD_IJSA_SA_EEENS0_18inequality_wrapperIZN2at6native12_GLOBAL__N_124unique_dim_cuda_templateIN3c104HalfEEESt5tupleIJNSH_6TensorESO_SO_EERKSO_lbbbEUlllE0_EEPmJS6_EEE10hipError_tPvRmT3_T4_T5_T6_T7_T9_mT8_P12ihipStream_tbDpT10_ENKUlT_T0_E_clISt17integral_constantIbLb1EES1D_IbLb0EEEEDaS19_S1A_EUlS19_E_NS1_11comp_targetILNS1_3genE5ELNS1_11target_archE942ELNS1_3gpuE9ELNS1_3repE0EEENS1_30default_config_static_selectorELNS0_4arch9wavefront6targetE0EEEvT1_.numbered_sgpr, 0
	.set _ZN7rocprim17ROCPRIM_400000_NS6detail17trampoline_kernelINS0_14default_configENS1_25partition_config_selectorILNS1_17partition_subalgoE8ElNS0_10empty_typeEbEEZZNS1_14partition_implILS5_8ELb0ES3_jPlPS6_PKS6_NS0_5tupleIJS9_S6_EEENSD_IJSA_SA_EEENS0_18inequality_wrapperIZN2at6native12_GLOBAL__N_124unique_dim_cuda_templateIN3c104HalfEEESt5tupleIJNSH_6TensorESO_SO_EERKSO_lbbbEUlllE0_EEPmJS6_EEE10hipError_tPvRmT3_T4_T5_T6_T7_T9_mT8_P12ihipStream_tbDpT10_ENKUlT_T0_E_clISt17integral_constantIbLb1EES1D_IbLb0EEEEDaS19_S1A_EUlS19_E_NS1_11comp_targetILNS1_3genE5ELNS1_11target_archE942ELNS1_3gpuE9ELNS1_3repE0EEENS1_30default_config_static_selectorELNS0_4arch9wavefront6targetE0EEEvT1_.num_named_barrier, 0
	.set _ZN7rocprim17ROCPRIM_400000_NS6detail17trampoline_kernelINS0_14default_configENS1_25partition_config_selectorILNS1_17partition_subalgoE8ElNS0_10empty_typeEbEEZZNS1_14partition_implILS5_8ELb0ES3_jPlPS6_PKS6_NS0_5tupleIJS9_S6_EEENSD_IJSA_SA_EEENS0_18inequality_wrapperIZN2at6native12_GLOBAL__N_124unique_dim_cuda_templateIN3c104HalfEEESt5tupleIJNSH_6TensorESO_SO_EERKSO_lbbbEUlllE0_EEPmJS6_EEE10hipError_tPvRmT3_T4_T5_T6_T7_T9_mT8_P12ihipStream_tbDpT10_ENKUlT_T0_E_clISt17integral_constantIbLb1EES1D_IbLb0EEEEDaS19_S1A_EUlS19_E_NS1_11comp_targetILNS1_3genE5ELNS1_11target_archE942ELNS1_3gpuE9ELNS1_3repE0EEENS1_30default_config_static_selectorELNS0_4arch9wavefront6targetE0EEEvT1_.private_seg_size, 0
	.set _ZN7rocprim17ROCPRIM_400000_NS6detail17trampoline_kernelINS0_14default_configENS1_25partition_config_selectorILNS1_17partition_subalgoE8ElNS0_10empty_typeEbEEZZNS1_14partition_implILS5_8ELb0ES3_jPlPS6_PKS6_NS0_5tupleIJS9_S6_EEENSD_IJSA_SA_EEENS0_18inequality_wrapperIZN2at6native12_GLOBAL__N_124unique_dim_cuda_templateIN3c104HalfEEESt5tupleIJNSH_6TensorESO_SO_EERKSO_lbbbEUlllE0_EEPmJS6_EEE10hipError_tPvRmT3_T4_T5_T6_T7_T9_mT8_P12ihipStream_tbDpT10_ENKUlT_T0_E_clISt17integral_constantIbLb1EES1D_IbLb0EEEEDaS19_S1A_EUlS19_E_NS1_11comp_targetILNS1_3genE5ELNS1_11target_archE942ELNS1_3gpuE9ELNS1_3repE0EEENS1_30default_config_static_selectorELNS0_4arch9wavefront6targetE0EEEvT1_.uses_vcc, 0
	.set _ZN7rocprim17ROCPRIM_400000_NS6detail17trampoline_kernelINS0_14default_configENS1_25partition_config_selectorILNS1_17partition_subalgoE8ElNS0_10empty_typeEbEEZZNS1_14partition_implILS5_8ELb0ES3_jPlPS6_PKS6_NS0_5tupleIJS9_S6_EEENSD_IJSA_SA_EEENS0_18inequality_wrapperIZN2at6native12_GLOBAL__N_124unique_dim_cuda_templateIN3c104HalfEEESt5tupleIJNSH_6TensorESO_SO_EERKSO_lbbbEUlllE0_EEPmJS6_EEE10hipError_tPvRmT3_T4_T5_T6_T7_T9_mT8_P12ihipStream_tbDpT10_ENKUlT_T0_E_clISt17integral_constantIbLb1EES1D_IbLb0EEEEDaS19_S1A_EUlS19_E_NS1_11comp_targetILNS1_3genE5ELNS1_11target_archE942ELNS1_3gpuE9ELNS1_3repE0EEENS1_30default_config_static_selectorELNS0_4arch9wavefront6targetE0EEEvT1_.uses_flat_scratch, 0
	.set _ZN7rocprim17ROCPRIM_400000_NS6detail17trampoline_kernelINS0_14default_configENS1_25partition_config_selectorILNS1_17partition_subalgoE8ElNS0_10empty_typeEbEEZZNS1_14partition_implILS5_8ELb0ES3_jPlPS6_PKS6_NS0_5tupleIJS9_S6_EEENSD_IJSA_SA_EEENS0_18inequality_wrapperIZN2at6native12_GLOBAL__N_124unique_dim_cuda_templateIN3c104HalfEEESt5tupleIJNSH_6TensorESO_SO_EERKSO_lbbbEUlllE0_EEPmJS6_EEE10hipError_tPvRmT3_T4_T5_T6_T7_T9_mT8_P12ihipStream_tbDpT10_ENKUlT_T0_E_clISt17integral_constantIbLb1EES1D_IbLb0EEEEDaS19_S1A_EUlS19_E_NS1_11comp_targetILNS1_3genE5ELNS1_11target_archE942ELNS1_3gpuE9ELNS1_3repE0EEENS1_30default_config_static_selectorELNS0_4arch9wavefront6targetE0EEEvT1_.has_dyn_sized_stack, 0
	.set _ZN7rocprim17ROCPRIM_400000_NS6detail17trampoline_kernelINS0_14default_configENS1_25partition_config_selectorILNS1_17partition_subalgoE8ElNS0_10empty_typeEbEEZZNS1_14partition_implILS5_8ELb0ES3_jPlPS6_PKS6_NS0_5tupleIJS9_S6_EEENSD_IJSA_SA_EEENS0_18inequality_wrapperIZN2at6native12_GLOBAL__N_124unique_dim_cuda_templateIN3c104HalfEEESt5tupleIJNSH_6TensorESO_SO_EERKSO_lbbbEUlllE0_EEPmJS6_EEE10hipError_tPvRmT3_T4_T5_T6_T7_T9_mT8_P12ihipStream_tbDpT10_ENKUlT_T0_E_clISt17integral_constantIbLb1EES1D_IbLb0EEEEDaS19_S1A_EUlS19_E_NS1_11comp_targetILNS1_3genE5ELNS1_11target_archE942ELNS1_3gpuE9ELNS1_3repE0EEENS1_30default_config_static_selectorELNS0_4arch9wavefront6targetE0EEEvT1_.has_recursion, 0
	.set _ZN7rocprim17ROCPRIM_400000_NS6detail17trampoline_kernelINS0_14default_configENS1_25partition_config_selectorILNS1_17partition_subalgoE8ElNS0_10empty_typeEbEEZZNS1_14partition_implILS5_8ELb0ES3_jPlPS6_PKS6_NS0_5tupleIJS9_S6_EEENSD_IJSA_SA_EEENS0_18inequality_wrapperIZN2at6native12_GLOBAL__N_124unique_dim_cuda_templateIN3c104HalfEEESt5tupleIJNSH_6TensorESO_SO_EERKSO_lbbbEUlllE0_EEPmJS6_EEE10hipError_tPvRmT3_T4_T5_T6_T7_T9_mT8_P12ihipStream_tbDpT10_ENKUlT_T0_E_clISt17integral_constantIbLb1EES1D_IbLb0EEEEDaS19_S1A_EUlS19_E_NS1_11comp_targetILNS1_3genE5ELNS1_11target_archE942ELNS1_3gpuE9ELNS1_3repE0EEENS1_30default_config_static_selectorELNS0_4arch9wavefront6targetE0EEEvT1_.has_indirect_call, 0
	.section	.AMDGPU.csdata,"",@progbits
; Kernel info:
; codeLenInByte = 0
; TotalNumSgprs: 0
; NumVgprs: 0
; ScratchSize: 0
; MemoryBound: 0
; FloatMode: 240
; IeeeMode: 1
; LDSByteSize: 0 bytes/workgroup (compile time only)
; SGPRBlocks: 0
; VGPRBlocks: 0
; NumSGPRsForWavesPerEU: 1
; NumVGPRsForWavesPerEU: 1
; NamedBarCnt: 0
; Occupancy: 16
; WaveLimiterHint : 0
; COMPUTE_PGM_RSRC2:SCRATCH_EN: 0
; COMPUTE_PGM_RSRC2:USER_SGPR: 2
; COMPUTE_PGM_RSRC2:TRAP_HANDLER: 0
; COMPUTE_PGM_RSRC2:TGID_X_EN: 1
; COMPUTE_PGM_RSRC2:TGID_Y_EN: 0
; COMPUTE_PGM_RSRC2:TGID_Z_EN: 0
; COMPUTE_PGM_RSRC2:TIDIG_COMP_CNT: 0
	.section	.text._ZN7rocprim17ROCPRIM_400000_NS6detail17trampoline_kernelINS0_14default_configENS1_25partition_config_selectorILNS1_17partition_subalgoE8ElNS0_10empty_typeEbEEZZNS1_14partition_implILS5_8ELb0ES3_jPlPS6_PKS6_NS0_5tupleIJS9_S6_EEENSD_IJSA_SA_EEENS0_18inequality_wrapperIZN2at6native12_GLOBAL__N_124unique_dim_cuda_templateIN3c104HalfEEESt5tupleIJNSH_6TensorESO_SO_EERKSO_lbbbEUlllE0_EEPmJS6_EEE10hipError_tPvRmT3_T4_T5_T6_T7_T9_mT8_P12ihipStream_tbDpT10_ENKUlT_T0_E_clISt17integral_constantIbLb1EES1D_IbLb0EEEEDaS19_S1A_EUlS19_E_NS1_11comp_targetILNS1_3genE4ELNS1_11target_archE910ELNS1_3gpuE8ELNS1_3repE0EEENS1_30default_config_static_selectorELNS0_4arch9wavefront6targetE0EEEvT1_,"axG",@progbits,_ZN7rocprim17ROCPRIM_400000_NS6detail17trampoline_kernelINS0_14default_configENS1_25partition_config_selectorILNS1_17partition_subalgoE8ElNS0_10empty_typeEbEEZZNS1_14partition_implILS5_8ELb0ES3_jPlPS6_PKS6_NS0_5tupleIJS9_S6_EEENSD_IJSA_SA_EEENS0_18inequality_wrapperIZN2at6native12_GLOBAL__N_124unique_dim_cuda_templateIN3c104HalfEEESt5tupleIJNSH_6TensorESO_SO_EERKSO_lbbbEUlllE0_EEPmJS6_EEE10hipError_tPvRmT3_T4_T5_T6_T7_T9_mT8_P12ihipStream_tbDpT10_ENKUlT_T0_E_clISt17integral_constantIbLb1EES1D_IbLb0EEEEDaS19_S1A_EUlS19_E_NS1_11comp_targetILNS1_3genE4ELNS1_11target_archE910ELNS1_3gpuE8ELNS1_3repE0EEENS1_30default_config_static_selectorELNS0_4arch9wavefront6targetE0EEEvT1_,comdat
	.globl	_ZN7rocprim17ROCPRIM_400000_NS6detail17trampoline_kernelINS0_14default_configENS1_25partition_config_selectorILNS1_17partition_subalgoE8ElNS0_10empty_typeEbEEZZNS1_14partition_implILS5_8ELb0ES3_jPlPS6_PKS6_NS0_5tupleIJS9_S6_EEENSD_IJSA_SA_EEENS0_18inequality_wrapperIZN2at6native12_GLOBAL__N_124unique_dim_cuda_templateIN3c104HalfEEESt5tupleIJNSH_6TensorESO_SO_EERKSO_lbbbEUlllE0_EEPmJS6_EEE10hipError_tPvRmT3_T4_T5_T6_T7_T9_mT8_P12ihipStream_tbDpT10_ENKUlT_T0_E_clISt17integral_constantIbLb1EES1D_IbLb0EEEEDaS19_S1A_EUlS19_E_NS1_11comp_targetILNS1_3genE4ELNS1_11target_archE910ELNS1_3gpuE8ELNS1_3repE0EEENS1_30default_config_static_selectorELNS0_4arch9wavefront6targetE0EEEvT1_ ; -- Begin function _ZN7rocprim17ROCPRIM_400000_NS6detail17trampoline_kernelINS0_14default_configENS1_25partition_config_selectorILNS1_17partition_subalgoE8ElNS0_10empty_typeEbEEZZNS1_14partition_implILS5_8ELb0ES3_jPlPS6_PKS6_NS0_5tupleIJS9_S6_EEENSD_IJSA_SA_EEENS0_18inequality_wrapperIZN2at6native12_GLOBAL__N_124unique_dim_cuda_templateIN3c104HalfEEESt5tupleIJNSH_6TensorESO_SO_EERKSO_lbbbEUlllE0_EEPmJS6_EEE10hipError_tPvRmT3_T4_T5_T6_T7_T9_mT8_P12ihipStream_tbDpT10_ENKUlT_T0_E_clISt17integral_constantIbLb1EES1D_IbLb0EEEEDaS19_S1A_EUlS19_E_NS1_11comp_targetILNS1_3genE4ELNS1_11target_archE910ELNS1_3gpuE8ELNS1_3repE0EEENS1_30default_config_static_selectorELNS0_4arch9wavefront6targetE0EEEvT1_
	.p2align	8
	.type	_ZN7rocprim17ROCPRIM_400000_NS6detail17trampoline_kernelINS0_14default_configENS1_25partition_config_selectorILNS1_17partition_subalgoE8ElNS0_10empty_typeEbEEZZNS1_14partition_implILS5_8ELb0ES3_jPlPS6_PKS6_NS0_5tupleIJS9_S6_EEENSD_IJSA_SA_EEENS0_18inequality_wrapperIZN2at6native12_GLOBAL__N_124unique_dim_cuda_templateIN3c104HalfEEESt5tupleIJNSH_6TensorESO_SO_EERKSO_lbbbEUlllE0_EEPmJS6_EEE10hipError_tPvRmT3_T4_T5_T6_T7_T9_mT8_P12ihipStream_tbDpT10_ENKUlT_T0_E_clISt17integral_constantIbLb1EES1D_IbLb0EEEEDaS19_S1A_EUlS19_E_NS1_11comp_targetILNS1_3genE4ELNS1_11target_archE910ELNS1_3gpuE8ELNS1_3repE0EEENS1_30default_config_static_selectorELNS0_4arch9wavefront6targetE0EEEvT1_,@function
_ZN7rocprim17ROCPRIM_400000_NS6detail17trampoline_kernelINS0_14default_configENS1_25partition_config_selectorILNS1_17partition_subalgoE8ElNS0_10empty_typeEbEEZZNS1_14partition_implILS5_8ELb0ES3_jPlPS6_PKS6_NS0_5tupleIJS9_S6_EEENSD_IJSA_SA_EEENS0_18inequality_wrapperIZN2at6native12_GLOBAL__N_124unique_dim_cuda_templateIN3c104HalfEEESt5tupleIJNSH_6TensorESO_SO_EERKSO_lbbbEUlllE0_EEPmJS6_EEE10hipError_tPvRmT3_T4_T5_T6_T7_T9_mT8_P12ihipStream_tbDpT10_ENKUlT_T0_E_clISt17integral_constantIbLb1EES1D_IbLb0EEEEDaS19_S1A_EUlS19_E_NS1_11comp_targetILNS1_3genE4ELNS1_11target_archE910ELNS1_3gpuE8ELNS1_3repE0EEENS1_30default_config_static_selectorELNS0_4arch9wavefront6targetE0EEEvT1_: ; @_ZN7rocprim17ROCPRIM_400000_NS6detail17trampoline_kernelINS0_14default_configENS1_25partition_config_selectorILNS1_17partition_subalgoE8ElNS0_10empty_typeEbEEZZNS1_14partition_implILS5_8ELb0ES3_jPlPS6_PKS6_NS0_5tupleIJS9_S6_EEENSD_IJSA_SA_EEENS0_18inequality_wrapperIZN2at6native12_GLOBAL__N_124unique_dim_cuda_templateIN3c104HalfEEESt5tupleIJNSH_6TensorESO_SO_EERKSO_lbbbEUlllE0_EEPmJS6_EEE10hipError_tPvRmT3_T4_T5_T6_T7_T9_mT8_P12ihipStream_tbDpT10_ENKUlT_T0_E_clISt17integral_constantIbLb1EES1D_IbLb0EEEEDaS19_S1A_EUlS19_E_NS1_11comp_targetILNS1_3genE4ELNS1_11target_archE910ELNS1_3gpuE8ELNS1_3repE0EEENS1_30default_config_static_selectorELNS0_4arch9wavefront6targetE0EEEvT1_
; %bb.0:
	.section	.rodata,"a",@progbits
	.p2align	6, 0x0
	.amdhsa_kernel _ZN7rocprim17ROCPRIM_400000_NS6detail17trampoline_kernelINS0_14default_configENS1_25partition_config_selectorILNS1_17partition_subalgoE8ElNS0_10empty_typeEbEEZZNS1_14partition_implILS5_8ELb0ES3_jPlPS6_PKS6_NS0_5tupleIJS9_S6_EEENSD_IJSA_SA_EEENS0_18inequality_wrapperIZN2at6native12_GLOBAL__N_124unique_dim_cuda_templateIN3c104HalfEEESt5tupleIJNSH_6TensorESO_SO_EERKSO_lbbbEUlllE0_EEPmJS6_EEE10hipError_tPvRmT3_T4_T5_T6_T7_T9_mT8_P12ihipStream_tbDpT10_ENKUlT_T0_E_clISt17integral_constantIbLb1EES1D_IbLb0EEEEDaS19_S1A_EUlS19_E_NS1_11comp_targetILNS1_3genE4ELNS1_11target_archE910ELNS1_3gpuE8ELNS1_3repE0EEENS1_30default_config_static_selectorELNS0_4arch9wavefront6targetE0EEEvT1_
		.amdhsa_group_segment_fixed_size 0
		.amdhsa_private_segment_fixed_size 0
		.amdhsa_kernarg_size 120
		.amdhsa_user_sgpr_count 2
		.amdhsa_user_sgpr_dispatch_ptr 0
		.amdhsa_user_sgpr_queue_ptr 0
		.amdhsa_user_sgpr_kernarg_segment_ptr 1
		.amdhsa_user_sgpr_dispatch_id 0
		.amdhsa_user_sgpr_kernarg_preload_length 0
		.amdhsa_user_sgpr_kernarg_preload_offset 0
		.amdhsa_user_sgpr_private_segment_size 0
		.amdhsa_wavefront_size32 1
		.amdhsa_uses_dynamic_stack 0
		.amdhsa_enable_private_segment 0
		.amdhsa_system_sgpr_workgroup_id_x 1
		.amdhsa_system_sgpr_workgroup_id_y 0
		.amdhsa_system_sgpr_workgroup_id_z 0
		.amdhsa_system_sgpr_workgroup_info 0
		.amdhsa_system_vgpr_workitem_id 0
		.amdhsa_next_free_vgpr 1
		.amdhsa_next_free_sgpr 1
		.amdhsa_named_barrier_count 0
		.amdhsa_reserve_vcc 0
		.amdhsa_float_round_mode_32 0
		.amdhsa_float_round_mode_16_64 0
		.amdhsa_float_denorm_mode_32 3
		.amdhsa_float_denorm_mode_16_64 3
		.amdhsa_fp16_overflow 0
		.amdhsa_memory_ordered 1
		.amdhsa_forward_progress 1
		.amdhsa_inst_pref_size 0
		.amdhsa_round_robin_scheduling 0
		.amdhsa_exception_fp_ieee_invalid_op 0
		.amdhsa_exception_fp_denorm_src 0
		.amdhsa_exception_fp_ieee_div_zero 0
		.amdhsa_exception_fp_ieee_overflow 0
		.amdhsa_exception_fp_ieee_underflow 0
		.amdhsa_exception_fp_ieee_inexact 0
		.amdhsa_exception_int_div_zero 0
	.end_amdhsa_kernel
	.section	.text._ZN7rocprim17ROCPRIM_400000_NS6detail17trampoline_kernelINS0_14default_configENS1_25partition_config_selectorILNS1_17partition_subalgoE8ElNS0_10empty_typeEbEEZZNS1_14partition_implILS5_8ELb0ES3_jPlPS6_PKS6_NS0_5tupleIJS9_S6_EEENSD_IJSA_SA_EEENS0_18inequality_wrapperIZN2at6native12_GLOBAL__N_124unique_dim_cuda_templateIN3c104HalfEEESt5tupleIJNSH_6TensorESO_SO_EERKSO_lbbbEUlllE0_EEPmJS6_EEE10hipError_tPvRmT3_T4_T5_T6_T7_T9_mT8_P12ihipStream_tbDpT10_ENKUlT_T0_E_clISt17integral_constantIbLb1EES1D_IbLb0EEEEDaS19_S1A_EUlS19_E_NS1_11comp_targetILNS1_3genE4ELNS1_11target_archE910ELNS1_3gpuE8ELNS1_3repE0EEENS1_30default_config_static_selectorELNS0_4arch9wavefront6targetE0EEEvT1_,"axG",@progbits,_ZN7rocprim17ROCPRIM_400000_NS6detail17trampoline_kernelINS0_14default_configENS1_25partition_config_selectorILNS1_17partition_subalgoE8ElNS0_10empty_typeEbEEZZNS1_14partition_implILS5_8ELb0ES3_jPlPS6_PKS6_NS0_5tupleIJS9_S6_EEENSD_IJSA_SA_EEENS0_18inequality_wrapperIZN2at6native12_GLOBAL__N_124unique_dim_cuda_templateIN3c104HalfEEESt5tupleIJNSH_6TensorESO_SO_EERKSO_lbbbEUlllE0_EEPmJS6_EEE10hipError_tPvRmT3_T4_T5_T6_T7_T9_mT8_P12ihipStream_tbDpT10_ENKUlT_T0_E_clISt17integral_constantIbLb1EES1D_IbLb0EEEEDaS19_S1A_EUlS19_E_NS1_11comp_targetILNS1_3genE4ELNS1_11target_archE910ELNS1_3gpuE8ELNS1_3repE0EEENS1_30default_config_static_selectorELNS0_4arch9wavefront6targetE0EEEvT1_,comdat
.Lfunc_end1315:
	.size	_ZN7rocprim17ROCPRIM_400000_NS6detail17trampoline_kernelINS0_14default_configENS1_25partition_config_selectorILNS1_17partition_subalgoE8ElNS0_10empty_typeEbEEZZNS1_14partition_implILS5_8ELb0ES3_jPlPS6_PKS6_NS0_5tupleIJS9_S6_EEENSD_IJSA_SA_EEENS0_18inequality_wrapperIZN2at6native12_GLOBAL__N_124unique_dim_cuda_templateIN3c104HalfEEESt5tupleIJNSH_6TensorESO_SO_EERKSO_lbbbEUlllE0_EEPmJS6_EEE10hipError_tPvRmT3_T4_T5_T6_T7_T9_mT8_P12ihipStream_tbDpT10_ENKUlT_T0_E_clISt17integral_constantIbLb1EES1D_IbLb0EEEEDaS19_S1A_EUlS19_E_NS1_11comp_targetILNS1_3genE4ELNS1_11target_archE910ELNS1_3gpuE8ELNS1_3repE0EEENS1_30default_config_static_selectorELNS0_4arch9wavefront6targetE0EEEvT1_, .Lfunc_end1315-_ZN7rocprim17ROCPRIM_400000_NS6detail17trampoline_kernelINS0_14default_configENS1_25partition_config_selectorILNS1_17partition_subalgoE8ElNS0_10empty_typeEbEEZZNS1_14partition_implILS5_8ELb0ES3_jPlPS6_PKS6_NS0_5tupleIJS9_S6_EEENSD_IJSA_SA_EEENS0_18inequality_wrapperIZN2at6native12_GLOBAL__N_124unique_dim_cuda_templateIN3c104HalfEEESt5tupleIJNSH_6TensorESO_SO_EERKSO_lbbbEUlllE0_EEPmJS6_EEE10hipError_tPvRmT3_T4_T5_T6_T7_T9_mT8_P12ihipStream_tbDpT10_ENKUlT_T0_E_clISt17integral_constantIbLb1EES1D_IbLb0EEEEDaS19_S1A_EUlS19_E_NS1_11comp_targetILNS1_3genE4ELNS1_11target_archE910ELNS1_3gpuE8ELNS1_3repE0EEENS1_30default_config_static_selectorELNS0_4arch9wavefront6targetE0EEEvT1_
                                        ; -- End function
	.set _ZN7rocprim17ROCPRIM_400000_NS6detail17trampoline_kernelINS0_14default_configENS1_25partition_config_selectorILNS1_17partition_subalgoE8ElNS0_10empty_typeEbEEZZNS1_14partition_implILS5_8ELb0ES3_jPlPS6_PKS6_NS0_5tupleIJS9_S6_EEENSD_IJSA_SA_EEENS0_18inequality_wrapperIZN2at6native12_GLOBAL__N_124unique_dim_cuda_templateIN3c104HalfEEESt5tupleIJNSH_6TensorESO_SO_EERKSO_lbbbEUlllE0_EEPmJS6_EEE10hipError_tPvRmT3_T4_T5_T6_T7_T9_mT8_P12ihipStream_tbDpT10_ENKUlT_T0_E_clISt17integral_constantIbLb1EES1D_IbLb0EEEEDaS19_S1A_EUlS19_E_NS1_11comp_targetILNS1_3genE4ELNS1_11target_archE910ELNS1_3gpuE8ELNS1_3repE0EEENS1_30default_config_static_selectorELNS0_4arch9wavefront6targetE0EEEvT1_.num_vgpr, 0
	.set _ZN7rocprim17ROCPRIM_400000_NS6detail17trampoline_kernelINS0_14default_configENS1_25partition_config_selectorILNS1_17partition_subalgoE8ElNS0_10empty_typeEbEEZZNS1_14partition_implILS5_8ELb0ES3_jPlPS6_PKS6_NS0_5tupleIJS9_S6_EEENSD_IJSA_SA_EEENS0_18inequality_wrapperIZN2at6native12_GLOBAL__N_124unique_dim_cuda_templateIN3c104HalfEEESt5tupleIJNSH_6TensorESO_SO_EERKSO_lbbbEUlllE0_EEPmJS6_EEE10hipError_tPvRmT3_T4_T5_T6_T7_T9_mT8_P12ihipStream_tbDpT10_ENKUlT_T0_E_clISt17integral_constantIbLb1EES1D_IbLb0EEEEDaS19_S1A_EUlS19_E_NS1_11comp_targetILNS1_3genE4ELNS1_11target_archE910ELNS1_3gpuE8ELNS1_3repE0EEENS1_30default_config_static_selectorELNS0_4arch9wavefront6targetE0EEEvT1_.num_agpr, 0
	.set _ZN7rocprim17ROCPRIM_400000_NS6detail17trampoline_kernelINS0_14default_configENS1_25partition_config_selectorILNS1_17partition_subalgoE8ElNS0_10empty_typeEbEEZZNS1_14partition_implILS5_8ELb0ES3_jPlPS6_PKS6_NS0_5tupleIJS9_S6_EEENSD_IJSA_SA_EEENS0_18inequality_wrapperIZN2at6native12_GLOBAL__N_124unique_dim_cuda_templateIN3c104HalfEEESt5tupleIJNSH_6TensorESO_SO_EERKSO_lbbbEUlllE0_EEPmJS6_EEE10hipError_tPvRmT3_T4_T5_T6_T7_T9_mT8_P12ihipStream_tbDpT10_ENKUlT_T0_E_clISt17integral_constantIbLb1EES1D_IbLb0EEEEDaS19_S1A_EUlS19_E_NS1_11comp_targetILNS1_3genE4ELNS1_11target_archE910ELNS1_3gpuE8ELNS1_3repE0EEENS1_30default_config_static_selectorELNS0_4arch9wavefront6targetE0EEEvT1_.numbered_sgpr, 0
	.set _ZN7rocprim17ROCPRIM_400000_NS6detail17trampoline_kernelINS0_14default_configENS1_25partition_config_selectorILNS1_17partition_subalgoE8ElNS0_10empty_typeEbEEZZNS1_14partition_implILS5_8ELb0ES3_jPlPS6_PKS6_NS0_5tupleIJS9_S6_EEENSD_IJSA_SA_EEENS0_18inequality_wrapperIZN2at6native12_GLOBAL__N_124unique_dim_cuda_templateIN3c104HalfEEESt5tupleIJNSH_6TensorESO_SO_EERKSO_lbbbEUlllE0_EEPmJS6_EEE10hipError_tPvRmT3_T4_T5_T6_T7_T9_mT8_P12ihipStream_tbDpT10_ENKUlT_T0_E_clISt17integral_constantIbLb1EES1D_IbLb0EEEEDaS19_S1A_EUlS19_E_NS1_11comp_targetILNS1_3genE4ELNS1_11target_archE910ELNS1_3gpuE8ELNS1_3repE0EEENS1_30default_config_static_selectorELNS0_4arch9wavefront6targetE0EEEvT1_.num_named_barrier, 0
	.set _ZN7rocprim17ROCPRIM_400000_NS6detail17trampoline_kernelINS0_14default_configENS1_25partition_config_selectorILNS1_17partition_subalgoE8ElNS0_10empty_typeEbEEZZNS1_14partition_implILS5_8ELb0ES3_jPlPS6_PKS6_NS0_5tupleIJS9_S6_EEENSD_IJSA_SA_EEENS0_18inequality_wrapperIZN2at6native12_GLOBAL__N_124unique_dim_cuda_templateIN3c104HalfEEESt5tupleIJNSH_6TensorESO_SO_EERKSO_lbbbEUlllE0_EEPmJS6_EEE10hipError_tPvRmT3_T4_T5_T6_T7_T9_mT8_P12ihipStream_tbDpT10_ENKUlT_T0_E_clISt17integral_constantIbLb1EES1D_IbLb0EEEEDaS19_S1A_EUlS19_E_NS1_11comp_targetILNS1_3genE4ELNS1_11target_archE910ELNS1_3gpuE8ELNS1_3repE0EEENS1_30default_config_static_selectorELNS0_4arch9wavefront6targetE0EEEvT1_.private_seg_size, 0
	.set _ZN7rocprim17ROCPRIM_400000_NS6detail17trampoline_kernelINS0_14default_configENS1_25partition_config_selectorILNS1_17partition_subalgoE8ElNS0_10empty_typeEbEEZZNS1_14partition_implILS5_8ELb0ES3_jPlPS6_PKS6_NS0_5tupleIJS9_S6_EEENSD_IJSA_SA_EEENS0_18inequality_wrapperIZN2at6native12_GLOBAL__N_124unique_dim_cuda_templateIN3c104HalfEEESt5tupleIJNSH_6TensorESO_SO_EERKSO_lbbbEUlllE0_EEPmJS6_EEE10hipError_tPvRmT3_T4_T5_T6_T7_T9_mT8_P12ihipStream_tbDpT10_ENKUlT_T0_E_clISt17integral_constantIbLb1EES1D_IbLb0EEEEDaS19_S1A_EUlS19_E_NS1_11comp_targetILNS1_3genE4ELNS1_11target_archE910ELNS1_3gpuE8ELNS1_3repE0EEENS1_30default_config_static_selectorELNS0_4arch9wavefront6targetE0EEEvT1_.uses_vcc, 0
	.set _ZN7rocprim17ROCPRIM_400000_NS6detail17trampoline_kernelINS0_14default_configENS1_25partition_config_selectorILNS1_17partition_subalgoE8ElNS0_10empty_typeEbEEZZNS1_14partition_implILS5_8ELb0ES3_jPlPS6_PKS6_NS0_5tupleIJS9_S6_EEENSD_IJSA_SA_EEENS0_18inequality_wrapperIZN2at6native12_GLOBAL__N_124unique_dim_cuda_templateIN3c104HalfEEESt5tupleIJNSH_6TensorESO_SO_EERKSO_lbbbEUlllE0_EEPmJS6_EEE10hipError_tPvRmT3_T4_T5_T6_T7_T9_mT8_P12ihipStream_tbDpT10_ENKUlT_T0_E_clISt17integral_constantIbLb1EES1D_IbLb0EEEEDaS19_S1A_EUlS19_E_NS1_11comp_targetILNS1_3genE4ELNS1_11target_archE910ELNS1_3gpuE8ELNS1_3repE0EEENS1_30default_config_static_selectorELNS0_4arch9wavefront6targetE0EEEvT1_.uses_flat_scratch, 0
	.set _ZN7rocprim17ROCPRIM_400000_NS6detail17trampoline_kernelINS0_14default_configENS1_25partition_config_selectorILNS1_17partition_subalgoE8ElNS0_10empty_typeEbEEZZNS1_14partition_implILS5_8ELb0ES3_jPlPS6_PKS6_NS0_5tupleIJS9_S6_EEENSD_IJSA_SA_EEENS0_18inequality_wrapperIZN2at6native12_GLOBAL__N_124unique_dim_cuda_templateIN3c104HalfEEESt5tupleIJNSH_6TensorESO_SO_EERKSO_lbbbEUlllE0_EEPmJS6_EEE10hipError_tPvRmT3_T4_T5_T6_T7_T9_mT8_P12ihipStream_tbDpT10_ENKUlT_T0_E_clISt17integral_constantIbLb1EES1D_IbLb0EEEEDaS19_S1A_EUlS19_E_NS1_11comp_targetILNS1_3genE4ELNS1_11target_archE910ELNS1_3gpuE8ELNS1_3repE0EEENS1_30default_config_static_selectorELNS0_4arch9wavefront6targetE0EEEvT1_.has_dyn_sized_stack, 0
	.set _ZN7rocprim17ROCPRIM_400000_NS6detail17trampoline_kernelINS0_14default_configENS1_25partition_config_selectorILNS1_17partition_subalgoE8ElNS0_10empty_typeEbEEZZNS1_14partition_implILS5_8ELb0ES3_jPlPS6_PKS6_NS0_5tupleIJS9_S6_EEENSD_IJSA_SA_EEENS0_18inequality_wrapperIZN2at6native12_GLOBAL__N_124unique_dim_cuda_templateIN3c104HalfEEESt5tupleIJNSH_6TensorESO_SO_EERKSO_lbbbEUlllE0_EEPmJS6_EEE10hipError_tPvRmT3_T4_T5_T6_T7_T9_mT8_P12ihipStream_tbDpT10_ENKUlT_T0_E_clISt17integral_constantIbLb1EES1D_IbLb0EEEEDaS19_S1A_EUlS19_E_NS1_11comp_targetILNS1_3genE4ELNS1_11target_archE910ELNS1_3gpuE8ELNS1_3repE0EEENS1_30default_config_static_selectorELNS0_4arch9wavefront6targetE0EEEvT1_.has_recursion, 0
	.set _ZN7rocprim17ROCPRIM_400000_NS6detail17trampoline_kernelINS0_14default_configENS1_25partition_config_selectorILNS1_17partition_subalgoE8ElNS0_10empty_typeEbEEZZNS1_14partition_implILS5_8ELb0ES3_jPlPS6_PKS6_NS0_5tupleIJS9_S6_EEENSD_IJSA_SA_EEENS0_18inequality_wrapperIZN2at6native12_GLOBAL__N_124unique_dim_cuda_templateIN3c104HalfEEESt5tupleIJNSH_6TensorESO_SO_EERKSO_lbbbEUlllE0_EEPmJS6_EEE10hipError_tPvRmT3_T4_T5_T6_T7_T9_mT8_P12ihipStream_tbDpT10_ENKUlT_T0_E_clISt17integral_constantIbLb1EES1D_IbLb0EEEEDaS19_S1A_EUlS19_E_NS1_11comp_targetILNS1_3genE4ELNS1_11target_archE910ELNS1_3gpuE8ELNS1_3repE0EEENS1_30default_config_static_selectorELNS0_4arch9wavefront6targetE0EEEvT1_.has_indirect_call, 0
	.section	.AMDGPU.csdata,"",@progbits
; Kernel info:
; codeLenInByte = 0
; TotalNumSgprs: 0
; NumVgprs: 0
; ScratchSize: 0
; MemoryBound: 0
; FloatMode: 240
; IeeeMode: 1
; LDSByteSize: 0 bytes/workgroup (compile time only)
; SGPRBlocks: 0
; VGPRBlocks: 0
; NumSGPRsForWavesPerEU: 1
; NumVGPRsForWavesPerEU: 1
; NamedBarCnt: 0
; Occupancy: 16
; WaveLimiterHint : 0
; COMPUTE_PGM_RSRC2:SCRATCH_EN: 0
; COMPUTE_PGM_RSRC2:USER_SGPR: 2
; COMPUTE_PGM_RSRC2:TRAP_HANDLER: 0
; COMPUTE_PGM_RSRC2:TGID_X_EN: 1
; COMPUTE_PGM_RSRC2:TGID_Y_EN: 0
; COMPUTE_PGM_RSRC2:TGID_Z_EN: 0
; COMPUTE_PGM_RSRC2:TIDIG_COMP_CNT: 0
	.section	.text._ZN7rocprim17ROCPRIM_400000_NS6detail17trampoline_kernelINS0_14default_configENS1_25partition_config_selectorILNS1_17partition_subalgoE8ElNS0_10empty_typeEbEEZZNS1_14partition_implILS5_8ELb0ES3_jPlPS6_PKS6_NS0_5tupleIJS9_S6_EEENSD_IJSA_SA_EEENS0_18inequality_wrapperIZN2at6native12_GLOBAL__N_124unique_dim_cuda_templateIN3c104HalfEEESt5tupleIJNSH_6TensorESO_SO_EERKSO_lbbbEUlllE0_EEPmJS6_EEE10hipError_tPvRmT3_T4_T5_T6_T7_T9_mT8_P12ihipStream_tbDpT10_ENKUlT_T0_E_clISt17integral_constantIbLb1EES1D_IbLb0EEEEDaS19_S1A_EUlS19_E_NS1_11comp_targetILNS1_3genE3ELNS1_11target_archE908ELNS1_3gpuE7ELNS1_3repE0EEENS1_30default_config_static_selectorELNS0_4arch9wavefront6targetE0EEEvT1_,"axG",@progbits,_ZN7rocprim17ROCPRIM_400000_NS6detail17trampoline_kernelINS0_14default_configENS1_25partition_config_selectorILNS1_17partition_subalgoE8ElNS0_10empty_typeEbEEZZNS1_14partition_implILS5_8ELb0ES3_jPlPS6_PKS6_NS0_5tupleIJS9_S6_EEENSD_IJSA_SA_EEENS0_18inequality_wrapperIZN2at6native12_GLOBAL__N_124unique_dim_cuda_templateIN3c104HalfEEESt5tupleIJNSH_6TensorESO_SO_EERKSO_lbbbEUlllE0_EEPmJS6_EEE10hipError_tPvRmT3_T4_T5_T6_T7_T9_mT8_P12ihipStream_tbDpT10_ENKUlT_T0_E_clISt17integral_constantIbLb1EES1D_IbLb0EEEEDaS19_S1A_EUlS19_E_NS1_11comp_targetILNS1_3genE3ELNS1_11target_archE908ELNS1_3gpuE7ELNS1_3repE0EEENS1_30default_config_static_selectorELNS0_4arch9wavefront6targetE0EEEvT1_,comdat
	.globl	_ZN7rocprim17ROCPRIM_400000_NS6detail17trampoline_kernelINS0_14default_configENS1_25partition_config_selectorILNS1_17partition_subalgoE8ElNS0_10empty_typeEbEEZZNS1_14partition_implILS5_8ELb0ES3_jPlPS6_PKS6_NS0_5tupleIJS9_S6_EEENSD_IJSA_SA_EEENS0_18inequality_wrapperIZN2at6native12_GLOBAL__N_124unique_dim_cuda_templateIN3c104HalfEEESt5tupleIJNSH_6TensorESO_SO_EERKSO_lbbbEUlllE0_EEPmJS6_EEE10hipError_tPvRmT3_T4_T5_T6_T7_T9_mT8_P12ihipStream_tbDpT10_ENKUlT_T0_E_clISt17integral_constantIbLb1EES1D_IbLb0EEEEDaS19_S1A_EUlS19_E_NS1_11comp_targetILNS1_3genE3ELNS1_11target_archE908ELNS1_3gpuE7ELNS1_3repE0EEENS1_30default_config_static_selectorELNS0_4arch9wavefront6targetE0EEEvT1_ ; -- Begin function _ZN7rocprim17ROCPRIM_400000_NS6detail17trampoline_kernelINS0_14default_configENS1_25partition_config_selectorILNS1_17partition_subalgoE8ElNS0_10empty_typeEbEEZZNS1_14partition_implILS5_8ELb0ES3_jPlPS6_PKS6_NS0_5tupleIJS9_S6_EEENSD_IJSA_SA_EEENS0_18inequality_wrapperIZN2at6native12_GLOBAL__N_124unique_dim_cuda_templateIN3c104HalfEEESt5tupleIJNSH_6TensorESO_SO_EERKSO_lbbbEUlllE0_EEPmJS6_EEE10hipError_tPvRmT3_T4_T5_T6_T7_T9_mT8_P12ihipStream_tbDpT10_ENKUlT_T0_E_clISt17integral_constantIbLb1EES1D_IbLb0EEEEDaS19_S1A_EUlS19_E_NS1_11comp_targetILNS1_3genE3ELNS1_11target_archE908ELNS1_3gpuE7ELNS1_3repE0EEENS1_30default_config_static_selectorELNS0_4arch9wavefront6targetE0EEEvT1_
	.p2align	8
	.type	_ZN7rocprim17ROCPRIM_400000_NS6detail17trampoline_kernelINS0_14default_configENS1_25partition_config_selectorILNS1_17partition_subalgoE8ElNS0_10empty_typeEbEEZZNS1_14partition_implILS5_8ELb0ES3_jPlPS6_PKS6_NS0_5tupleIJS9_S6_EEENSD_IJSA_SA_EEENS0_18inequality_wrapperIZN2at6native12_GLOBAL__N_124unique_dim_cuda_templateIN3c104HalfEEESt5tupleIJNSH_6TensorESO_SO_EERKSO_lbbbEUlllE0_EEPmJS6_EEE10hipError_tPvRmT3_T4_T5_T6_T7_T9_mT8_P12ihipStream_tbDpT10_ENKUlT_T0_E_clISt17integral_constantIbLb1EES1D_IbLb0EEEEDaS19_S1A_EUlS19_E_NS1_11comp_targetILNS1_3genE3ELNS1_11target_archE908ELNS1_3gpuE7ELNS1_3repE0EEENS1_30default_config_static_selectorELNS0_4arch9wavefront6targetE0EEEvT1_,@function
_ZN7rocprim17ROCPRIM_400000_NS6detail17trampoline_kernelINS0_14default_configENS1_25partition_config_selectorILNS1_17partition_subalgoE8ElNS0_10empty_typeEbEEZZNS1_14partition_implILS5_8ELb0ES3_jPlPS6_PKS6_NS0_5tupleIJS9_S6_EEENSD_IJSA_SA_EEENS0_18inequality_wrapperIZN2at6native12_GLOBAL__N_124unique_dim_cuda_templateIN3c104HalfEEESt5tupleIJNSH_6TensorESO_SO_EERKSO_lbbbEUlllE0_EEPmJS6_EEE10hipError_tPvRmT3_T4_T5_T6_T7_T9_mT8_P12ihipStream_tbDpT10_ENKUlT_T0_E_clISt17integral_constantIbLb1EES1D_IbLb0EEEEDaS19_S1A_EUlS19_E_NS1_11comp_targetILNS1_3genE3ELNS1_11target_archE908ELNS1_3gpuE7ELNS1_3repE0EEENS1_30default_config_static_selectorELNS0_4arch9wavefront6targetE0EEEvT1_: ; @_ZN7rocprim17ROCPRIM_400000_NS6detail17trampoline_kernelINS0_14default_configENS1_25partition_config_selectorILNS1_17partition_subalgoE8ElNS0_10empty_typeEbEEZZNS1_14partition_implILS5_8ELb0ES3_jPlPS6_PKS6_NS0_5tupleIJS9_S6_EEENSD_IJSA_SA_EEENS0_18inequality_wrapperIZN2at6native12_GLOBAL__N_124unique_dim_cuda_templateIN3c104HalfEEESt5tupleIJNSH_6TensorESO_SO_EERKSO_lbbbEUlllE0_EEPmJS6_EEE10hipError_tPvRmT3_T4_T5_T6_T7_T9_mT8_P12ihipStream_tbDpT10_ENKUlT_T0_E_clISt17integral_constantIbLb1EES1D_IbLb0EEEEDaS19_S1A_EUlS19_E_NS1_11comp_targetILNS1_3genE3ELNS1_11target_archE908ELNS1_3gpuE7ELNS1_3repE0EEENS1_30default_config_static_selectorELNS0_4arch9wavefront6targetE0EEEvT1_
; %bb.0:
	.section	.rodata,"a",@progbits
	.p2align	6, 0x0
	.amdhsa_kernel _ZN7rocprim17ROCPRIM_400000_NS6detail17trampoline_kernelINS0_14default_configENS1_25partition_config_selectorILNS1_17partition_subalgoE8ElNS0_10empty_typeEbEEZZNS1_14partition_implILS5_8ELb0ES3_jPlPS6_PKS6_NS0_5tupleIJS9_S6_EEENSD_IJSA_SA_EEENS0_18inequality_wrapperIZN2at6native12_GLOBAL__N_124unique_dim_cuda_templateIN3c104HalfEEESt5tupleIJNSH_6TensorESO_SO_EERKSO_lbbbEUlllE0_EEPmJS6_EEE10hipError_tPvRmT3_T4_T5_T6_T7_T9_mT8_P12ihipStream_tbDpT10_ENKUlT_T0_E_clISt17integral_constantIbLb1EES1D_IbLb0EEEEDaS19_S1A_EUlS19_E_NS1_11comp_targetILNS1_3genE3ELNS1_11target_archE908ELNS1_3gpuE7ELNS1_3repE0EEENS1_30default_config_static_selectorELNS0_4arch9wavefront6targetE0EEEvT1_
		.amdhsa_group_segment_fixed_size 0
		.amdhsa_private_segment_fixed_size 0
		.amdhsa_kernarg_size 120
		.amdhsa_user_sgpr_count 2
		.amdhsa_user_sgpr_dispatch_ptr 0
		.amdhsa_user_sgpr_queue_ptr 0
		.amdhsa_user_sgpr_kernarg_segment_ptr 1
		.amdhsa_user_sgpr_dispatch_id 0
		.amdhsa_user_sgpr_kernarg_preload_length 0
		.amdhsa_user_sgpr_kernarg_preload_offset 0
		.amdhsa_user_sgpr_private_segment_size 0
		.amdhsa_wavefront_size32 1
		.amdhsa_uses_dynamic_stack 0
		.amdhsa_enable_private_segment 0
		.amdhsa_system_sgpr_workgroup_id_x 1
		.amdhsa_system_sgpr_workgroup_id_y 0
		.amdhsa_system_sgpr_workgroup_id_z 0
		.amdhsa_system_sgpr_workgroup_info 0
		.amdhsa_system_vgpr_workitem_id 0
		.amdhsa_next_free_vgpr 1
		.amdhsa_next_free_sgpr 1
		.amdhsa_named_barrier_count 0
		.amdhsa_reserve_vcc 0
		.amdhsa_float_round_mode_32 0
		.amdhsa_float_round_mode_16_64 0
		.amdhsa_float_denorm_mode_32 3
		.amdhsa_float_denorm_mode_16_64 3
		.amdhsa_fp16_overflow 0
		.amdhsa_memory_ordered 1
		.amdhsa_forward_progress 1
		.amdhsa_inst_pref_size 0
		.amdhsa_round_robin_scheduling 0
		.amdhsa_exception_fp_ieee_invalid_op 0
		.amdhsa_exception_fp_denorm_src 0
		.amdhsa_exception_fp_ieee_div_zero 0
		.amdhsa_exception_fp_ieee_overflow 0
		.amdhsa_exception_fp_ieee_underflow 0
		.amdhsa_exception_fp_ieee_inexact 0
		.amdhsa_exception_int_div_zero 0
	.end_amdhsa_kernel
	.section	.text._ZN7rocprim17ROCPRIM_400000_NS6detail17trampoline_kernelINS0_14default_configENS1_25partition_config_selectorILNS1_17partition_subalgoE8ElNS0_10empty_typeEbEEZZNS1_14partition_implILS5_8ELb0ES3_jPlPS6_PKS6_NS0_5tupleIJS9_S6_EEENSD_IJSA_SA_EEENS0_18inequality_wrapperIZN2at6native12_GLOBAL__N_124unique_dim_cuda_templateIN3c104HalfEEESt5tupleIJNSH_6TensorESO_SO_EERKSO_lbbbEUlllE0_EEPmJS6_EEE10hipError_tPvRmT3_T4_T5_T6_T7_T9_mT8_P12ihipStream_tbDpT10_ENKUlT_T0_E_clISt17integral_constantIbLb1EES1D_IbLb0EEEEDaS19_S1A_EUlS19_E_NS1_11comp_targetILNS1_3genE3ELNS1_11target_archE908ELNS1_3gpuE7ELNS1_3repE0EEENS1_30default_config_static_selectorELNS0_4arch9wavefront6targetE0EEEvT1_,"axG",@progbits,_ZN7rocprim17ROCPRIM_400000_NS6detail17trampoline_kernelINS0_14default_configENS1_25partition_config_selectorILNS1_17partition_subalgoE8ElNS0_10empty_typeEbEEZZNS1_14partition_implILS5_8ELb0ES3_jPlPS6_PKS6_NS0_5tupleIJS9_S6_EEENSD_IJSA_SA_EEENS0_18inequality_wrapperIZN2at6native12_GLOBAL__N_124unique_dim_cuda_templateIN3c104HalfEEESt5tupleIJNSH_6TensorESO_SO_EERKSO_lbbbEUlllE0_EEPmJS6_EEE10hipError_tPvRmT3_T4_T5_T6_T7_T9_mT8_P12ihipStream_tbDpT10_ENKUlT_T0_E_clISt17integral_constantIbLb1EES1D_IbLb0EEEEDaS19_S1A_EUlS19_E_NS1_11comp_targetILNS1_3genE3ELNS1_11target_archE908ELNS1_3gpuE7ELNS1_3repE0EEENS1_30default_config_static_selectorELNS0_4arch9wavefront6targetE0EEEvT1_,comdat
.Lfunc_end1316:
	.size	_ZN7rocprim17ROCPRIM_400000_NS6detail17trampoline_kernelINS0_14default_configENS1_25partition_config_selectorILNS1_17partition_subalgoE8ElNS0_10empty_typeEbEEZZNS1_14partition_implILS5_8ELb0ES3_jPlPS6_PKS6_NS0_5tupleIJS9_S6_EEENSD_IJSA_SA_EEENS0_18inequality_wrapperIZN2at6native12_GLOBAL__N_124unique_dim_cuda_templateIN3c104HalfEEESt5tupleIJNSH_6TensorESO_SO_EERKSO_lbbbEUlllE0_EEPmJS6_EEE10hipError_tPvRmT3_T4_T5_T6_T7_T9_mT8_P12ihipStream_tbDpT10_ENKUlT_T0_E_clISt17integral_constantIbLb1EES1D_IbLb0EEEEDaS19_S1A_EUlS19_E_NS1_11comp_targetILNS1_3genE3ELNS1_11target_archE908ELNS1_3gpuE7ELNS1_3repE0EEENS1_30default_config_static_selectorELNS0_4arch9wavefront6targetE0EEEvT1_, .Lfunc_end1316-_ZN7rocprim17ROCPRIM_400000_NS6detail17trampoline_kernelINS0_14default_configENS1_25partition_config_selectorILNS1_17partition_subalgoE8ElNS0_10empty_typeEbEEZZNS1_14partition_implILS5_8ELb0ES3_jPlPS6_PKS6_NS0_5tupleIJS9_S6_EEENSD_IJSA_SA_EEENS0_18inequality_wrapperIZN2at6native12_GLOBAL__N_124unique_dim_cuda_templateIN3c104HalfEEESt5tupleIJNSH_6TensorESO_SO_EERKSO_lbbbEUlllE0_EEPmJS6_EEE10hipError_tPvRmT3_T4_T5_T6_T7_T9_mT8_P12ihipStream_tbDpT10_ENKUlT_T0_E_clISt17integral_constantIbLb1EES1D_IbLb0EEEEDaS19_S1A_EUlS19_E_NS1_11comp_targetILNS1_3genE3ELNS1_11target_archE908ELNS1_3gpuE7ELNS1_3repE0EEENS1_30default_config_static_selectorELNS0_4arch9wavefront6targetE0EEEvT1_
                                        ; -- End function
	.set _ZN7rocprim17ROCPRIM_400000_NS6detail17trampoline_kernelINS0_14default_configENS1_25partition_config_selectorILNS1_17partition_subalgoE8ElNS0_10empty_typeEbEEZZNS1_14partition_implILS5_8ELb0ES3_jPlPS6_PKS6_NS0_5tupleIJS9_S6_EEENSD_IJSA_SA_EEENS0_18inequality_wrapperIZN2at6native12_GLOBAL__N_124unique_dim_cuda_templateIN3c104HalfEEESt5tupleIJNSH_6TensorESO_SO_EERKSO_lbbbEUlllE0_EEPmJS6_EEE10hipError_tPvRmT3_T4_T5_T6_T7_T9_mT8_P12ihipStream_tbDpT10_ENKUlT_T0_E_clISt17integral_constantIbLb1EES1D_IbLb0EEEEDaS19_S1A_EUlS19_E_NS1_11comp_targetILNS1_3genE3ELNS1_11target_archE908ELNS1_3gpuE7ELNS1_3repE0EEENS1_30default_config_static_selectorELNS0_4arch9wavefront6targetE0EEEvT1_.num_vgpr, 0
	.set _ZN7rocprim17ROCPRIM_400000_NS6detail17trampoline_kernelINS0_14default_configENS1_25partition_config_selectorILNS1_17partition_subalgoE8ElNS0_10empty_typeEbEEZZNS1_14partition_implILS5_8ELb0ES3_jPlPS6_PKS6_NS0_5tupleIJS9_S6_EEENSD_IJSA_SA_EEENS0_18inequality_wrapperIZN2at6native12_GLOBAL__N_124unique_dim_cuda_templateIN3c104HalfEEESt5tupleIJNSH_6TensorESO_SO_EERKSO_lbbbEUlllE0_EEPmJS6_EEE10hipError_tPvRmT3_T4_T5_T6_T7_T9_mT8_P12ihipStream_tbDpT10_ENKUlT_T0_E_clISt17integral_constantIbLb1EES1D_IbLb0EEEEDaS19_S1A_EUlS19_E_NS1_11comp_targetILNS1_3genE3ELNS1_11target_archE908ELNS1_3gpuE7ELNS1_3repE0EEENS1_30default_config_static_selectorELNS0_4arch9wavefront6targetE0EEEvT1_.num_agpr, 0
	.set _ZN7rocprim17ROCPRIM_400000_NS6detail17trampoline_kernelINS0_14default_configENS1_25partition_config_selectorILNS1_17partition_subalgoE8ElNS0_10empty_typeEbEEZZNS1_14partition_implILS5_8ELb0ES3_jPlPS6_PKS6_NS0_5tupleIJS9_S6_EEENSD_IJSA_SA_EEENS0_18inequality_wrapperIZN2at6native12_GLOBAL__N_124unique_dim_cuda_templateIN3c104HalfEEESt5tupleIJNSH_6TensorESO_SO_EERKSO_lbbbEUlllE0_EEPmJS6_EEE10hipError_tPvRmT3_T4_T5_T6_T7_T9_mT8_P12ihipStream_tbDpT10_ENKUlT_T0_E_clISt17integral_constantIbLb1EES1D_IbLb0EEEEDaS19_S1A_EUlS19_E_NS1_11comp_targetILNS1_3genE3ELNS1_11target_archE908ELNS1_3gpuE7ELNS1_3repE0EEENS1_30default_config_static_selectorELNS0_4arch9wavefront6targetE0EEEvT1_.numbered_sgpr, 0
	.set _ZN7rocprim17ROCPRIM_400000_NS6detail17trampoline_kernelINS0_14default_configENS1_25partition_config_selectorILNS1_17partition_subalgoE8ElNS0_10empty_typeEbEEZZNS1_14partition_implILS5_8ELb0ES3_jPlPS6_PKS6_NS0_5tupleIJS9_S6_EEENSD_IJSA_SA_EEENS0_18inequality_wrapperIZN2at6native12_GLOBAL__N_124unique_dim_cuda_templateIN3c104HalfEEESt5tupleIJNSH_6TensorESO_SO_EERKSO_lbbbEUlllE0_EEPmJS6_EEE10hipError_tPvRmT3_T4_T5_T6_T7_T9_mT8_P12ihipStream_tbDpT10_ENKUlT_T0_E_clISt17integral_constantIbLb1EES1D_IbLb0EEEEDaS19_S1A_EUlS19_E_NS1_11comp_targetILNS1_3genE3ELNS1_11target_archE908ELNS1_3gpuE7ELNS1_3repE0EEENS1_30default_config_static_selectorELNS0_4arch9wavefront6targetE0EEEvT1_.num_named_barrier, 0
	.set _ZN7rocprim17ROCPRIM_400000_NS6detail17trampoline_kernelINS0_14default_configENS1_25partition_config_selectorILNS1_17partition_subalgoE8ElNS0_10empty_typeEbEEZZNS1_14partition_implILS5_8ELb0ES3_jPlPS6_PKS6_NS0_5tupleIJS9_S6_EEENSD_IJSA_SA_EEENS0_18inequality_wrapperIZN2at6native12_GLOBAL__N_124unique_dim_cuda_templateIN3c104HalfEEESt5tupleIJNSH_6TensorESO_SO_EERKSO_lbbbEUlllE0_EEPmJS6_EEE10hipError_tPvRmT3_T4_T5_T6_T7_T9_mT8_P12ihipStream_tbDpT10_ENKUlT_T0_E_clISt17integral_constantIbLb1EES1D_IbLb0EEEEDaS19_S1A_EUlS19_E_NS1_11comp_targetILNS1_3genE3ELNS1_11target_archE908ELNS1_3gpuE7ELNS1_3repE0EEENS1_30default_config_static_selectorELNS0_4arch9wavefront6targetE0EEEvT1_.private_seg_size, 0
	.set _ZN7rocprim17ROCPRIM_400000_NS6detail17trampoline_kernelINS0_14default_configENS1_25partition_config_selectorILNS1_17partition_subalgoE8ElNS0_10empty_typeEbEEZZNS1_14partition_implILS5_8ELb0ES3_jPlPS6_PKS6_NS0_5tupleIJS9_S6_EEENSD_IJSA_SA_EEENS0_18inequality_wrapperIZN2at6native12_GLOBAL__N_124unique_dim_cuda_templateIN3c104HalfEEESt5tupleIJNSH_6TensorESO_SO_EERKSO_lbbbEUlllE0_EEPmJS6_EEE10hipError_tPvRmT3_T4_T5_T6_T7_T9_mT8_P12ihipStream_tbDpT10_ENKUlT_T0_E_clISt17integral_constantIbLb1EES1D_IbLb0EEEEDaS19_S1A_EUlS19_E_NS1_11comp_targetILNS1_3genE3ELNS1_11target_archE908ELNS1_3gpuE7ELNS1_3repE0EEENS1_30default_config_static_selectorELNS0_4arch9wavefront6targetE0EEEvT1_.uses_vcc, 0
	.set _ZN7rocprim17ROCPRIM_400000_NS6detail17trampoline_kernelINS0_14default_configENS1_25partition_config_selectorILNS1_17partition_subalgoE8ElNS0_10empty_typeEbEEZZNS1_14partition_implILS5_8ELb0ES3_jPlPS6_PKS6_NS0_5tupleIJS9_S6_EEENSD_IJSA_SA_EEENS0_18inequality_wrapperIZN2at6native12_GLOBAL__N_124unique_dim_cuda_templateIN3c104HalfEEESt5tupleIJNSH_6TensorESO_SO_EERKSO_lbbbEUlllE0_EEPmJS6_EEE10hipError_tPvRmT3_T4_T5_T6_T7_T9_mT8_P12ihipStream_tbDpT10_ENKUlT_T0_E_clISt17integral_constantIbLb1EES1D_IbLb0EEEEDaS19_S1A_EUlS19_E_NS1_11comp_targetILNS1_3genE3ELNS1_11target_archE908ELNS1_3gpuE7ELNS1_3repE0EEENS1_30default_config_static_selectorELNS0_4arch9wavefront6targetE0EEEvT1_.uses_flat_scratch, 0
	.set _ZN7rocprim17ROCPRIM_400000_NS6detail17trampoline_kernelINS0_14default_configENS1_25partition_config_selectorILNS1_17partition_subalgoE8ElNS0_10empty_typeEbEEZZNS1_14partition_implILS5_8ELb0ES3_jPlPS6_PKS6_NS0_5tupleIJS9_S6_EEENSD_IJSA_SA_EEENS0_18inequality_wrapperIZN2at6native12_GLOBAL__N_124unique_dim_cuda_templateIN3c104HalfEEESt5tupleIJNSH_6TensorESO_SO_EERKSO_lbbbEUlllE0_EEPmJS6_EEE10hipError_tPvRmT3_T4_T5_T6_T7_T9_mT8_P12ihipStream_tbDpT10_ENKUlT_T0_E_clISt17integral_constantIbLb1EES1D_IbLb0EEEEDaS19_S1A_EUlS19_E_NS1_11comp_targetILNS1_3genE3ELNS1_11target_archE908ELNS1_3gpuE7ELNS1_3repE0EEENS1_30default_config_static_selectorELNS0_4arch9wavefront6targetE0EEEvT1_.has_dyn_sized_stack, 0
	.set _ZN7rocprim17ROCPRIM_400000_NS6detail17trampoline_kernelINS0_14default_configENS1_25partition_config_selectorILNS1_17partition_subalgoE8ElNS0_10empty_typeEbEEZZNS1_14partition_implILS5_8ELb0ES3_jPlPS6_PKS6_NS0_5tupleIJS9_S6_EEENSD_IJSA_SA_EEENS0_18inequality_wrapperIZN2at6native12_GLOBAL__N_124unique_dim_cuda_templateIN3c104HalfEEESt5tupleIJNSH_6TensorESO_SO_EERKSO_lbbbEUlllE0_EEPmJS6_EEE10hipError_tPvRmT3_T4_T5_T6_T7_T9_mT8_P12ihipStream_tbDpT10_ENKUlT_T0_E_clISt17integral_constantIbLb1EES1D_IbLb0EEEEDaS19_S1A_EUlS19_E_NS1_11comp_targetILNS1_3genE3ELNS1_11target_archE908ELNS1_3gpuE7ELNS1_3repE0EEENS1_30default_config_static_selectorELNS0_4arch9wavefront6targetE0EEEvT1_.has_recursion, 0
	.set _ZN7rocprim17ROCPRIM_400000_NS6detail17trampoline_kernelINS0_14default_configENS1_25partition_config_selectorILNS1_17partition_subalgoE8ElNS0_10empty_typeEbEEZZNS1_14partition_implILS5_8ELb0ES3_jPlPS6_PKS6_NS0_5tupleIJS9_S6_EEENSD_IJSA_SA_EEENS0_18inequality_wrapperIZN2at6native12_GLOBAL__N_124unique_dim_cuda_templateIN3c104HalfEEESt5tupleIJNSH_6TensorESO_SO_EERKSO_lbbbEUlllE0_EEPmJS6_EEE10hipError_tPvRmT3_T4_T5_T6_T7_T9_mT8_P12ihipStream_tbDpT10_ENKUlT_T0_E_clISt17integral_constantIbLb1EES1D_IbLb0EEEEDaS19_S1A_EUlS19_E_NS1_11comp_targetILNS1_3genE3ELNS1_11target_archE908ELNS1_3gpuE7ELNS1_3repE0EEENS1_30default_config_static_selectorELNS0_4arch9wavefront6targetE0EEEvT1_.has_indirect_call, 0
	.section	.AMDGPU.csdata,"",@progbits
; Kernel info:
; codeLenInByte = 0
; TotalNumSgprs: 0
; NumVgprs: 0
; ScratchSize: 0
; MemoryBound: 0
; FloatMode: 240
; IeeeMode: 1
; LDSByteSize: 0 bytes/workgroup (compile time only)
; SGPRBlocks: 0
; VGPRBlocks: 0
; NumSGPRsForWavesPerEU: 1
; NumVGPRsForWavesPerEU: 1
; NamedBarCnt: 0
; Occupancy: 16
; WaveLimiterHint : 0
; COMPUTE_PGM_RSRC2:SCRATCH_EN: 0
; COMPUTE_PGM_RSRC2:USER_SGPR: 2
; COMPUTE_PGM_RSRC2:TRAP_HANDLER: 0
; COMPUTE_PGM_RSRC2:TGID_X_EN: 1
; COMPUTE_PGM_RSRC2:TGID_Y_EN: 0
; COMPUTE_PGM_RSRC2:TGID_Z_EN: 0
; COMPUTE_PGM_RSRC2:TIDIG_COMP_CNT: 0
	.section	.text._ZN7rocprim17ROCPRIM_400000_NS6detail17trampoline_kernelINS0_14default_configENS1_25partition_config_selectorILNS1_17partition_subalgoE8ElNS0_10empty_typeEbEEZZNS1_14partition_implILS5_8ELb0ES3_jPlPS6_PKS6_NS0_5tupleIJS9_S6_EEENSD_IJSA_SA_EEENS0_18inequality_wrapperIZN2at6native12_GLOBAL__N_124unique_dim_cuda_templateIN3c104HalfEEESt5tupleIJNSH_6TensorESO_SO_EERKSO_lbbbEUlllE0_EEPmJS6_EEE10hipError_tPvRmT3_T4_T5_T6_T7_T9_mT8_P12ihipStream_tbDpT10_ENKUlT_T0_E_clISt17integral_constantIbLb1EES1D_IbLb0EEEEDaS19_S1A_EUlS19_E_NS1_11comp_targetILNS1_3genE2ELNS1_11target_archE906ELNS1_3gpuE6ELNS1_3repE0EEENS1_30default_config_static_selectorELNS0_4arch9wavefront6targetE0EEEvT1_,"axG",@progbits,_ZN7rocprim17ROCPRIM_400000_NS6detail17trampoline_kernelINS0_14default_configENS1_25partition_config_selectorILNS1_17partition_subalgoE8ElNS0_10empty_typeEbEEZZNS1_14partition_implILS5_8ELb0ES3_jPlPS6_PKS6_NS0_5tupleIJS9_S6_EEENSD_IJSA_SA_EEENS0_18inequality_wrapperIZN2at6native12_GLOBAL__N_124unique_dim_cuda_templateIN3c104HalfEEESt5tupleIJNSH_6TensorESO_SO_EERKSO_lbbbEUlllE0_EEPmJS6_EEE10hipError_tPvRmT3_T4_T5_T6_T7_T9_mT8_P12ihipStream_tbDpT10_ENKUlT_T0_E_clISt17integral_constantIbLb1EES1D_IbLb0EEEEDaS19_S1A_EUlS19_E_NS1_11comp_targetILNS1_3genE2ELNS1_11target_archE906ELNS1_3gpuE6ELNS1_3repE0EEENS1_30default_config_static_selectorELNS0_4arch9wavefront6targetE0EEEvT1_,comdat
	.globl	_ZN7rocprim17ROCPRIM_400000_NS6detail17trampoline_kernelINS0_14default_configENS1_25partition_config_selectorILNS1_17partition_subalgoE8ElNS0_10empty_typeEbEEZZNS1_14partition_implILS5_8ELb0ES3_jPlPS6_PKS6_NS0_5tupleIJS9_S6_EEENSD_IJSA_SA_EEENS0_18inequality_wrapperIZN2at6native12_GLOBAL__N_124unique_dim_cuda_templateIN3c104HalfEEESt5tupleIJNSH_6TensorESO_SO_EERKSO_lbbbEUlllE0_EEPmJS6_EEE10hipError_tPvRmT3_T4_T5_T6_T7_T9_mT8_P12ihipStream_tbDpT10_ENKUlT_T0_E_clISt17integral_constantIbLb1EES1D_IbLb0EEEEDaS19_S1A_EUlS19_E_NS1_11comp_targetILNS1_3genE2ELNS1_11target_archE906ELNS1_3gpuE6ELNS1_3repE0EEENS1_30default_config_static_selectorELNS0_4arch9wavefront6targetE0EEEvT1_ ; -- Begin function _ZN7rocprim17ROCPRIM_400000_NS6detail17trampoline_kernelINS0_14default_configENS1_25partition_config_selectorILNS1_17partition_subalgoE8ElNS0_10empty_typeEbEEZZNS1_14partition_implILS5_8ELb0ES3_jPlPS6_PKS6_NS0_5tupleIJS9_S6_EEENSD_IJSA_SA_EEENS0_18inequality_wrapperIZN2at6native12_GLOBAL__N_124unique_dim_cuda_templateIN3c104HalfEEESt5tupleIJNSH_6TensorESO_SO_EERKSO_lbbbEUlllE0_EEPmJS6_EEE10hipError_tPvRmT3_T4_T5_T6_T7_T9_mT8_P12ihipStream_tbDpT10_ENKUlT_T0_E_clISt17integral_constantIbLb1EES1D_IbLb0EEEEDaS19_S1A_EUlS19_E_NS1_11comp_targetILNS1_3genE2ELNS1_11target_archE906ELNS1_3gpuE6ELNS1_3repE0EEENS1_30default_config_static_selectorELNS0_4arch9wavefront6targetE0EEEvT1_
	.p2align	8
	.type	_ZN7rocprim17ROCPRIM_400000_NS6detail17trampoline_kernelINS0_14default_configENS1_25partition_config_selectorILNS1_17partition_subalgoE8ElNS0_10empty_typeEbEEZZNS1_14partition_implILS5_8ELb0ES3_jPlPS6_PKS6_NS0_5tupleIJS9_S6_EEENSD_IJSA_SA_EEENS0_18inequality_wrapperIZN2at6native12_GLOBAL__N_124unique_dim_cuda_templateIN3c104HalfEEESt5tupleIJNSH_6TensorESO_SO_EERKSO_lbbbEUlllE0_EEPmJS6_EEE10hipError_tPvRmT3_T4_T5_T6_T7_T9_mT8_P12ihipStream_tbDpT10_ENKUlT_T0_E_clISt17integral_constantIbLb1EES1D_IbLb0EEEEDaS19_S1A_EUlS19_E_NS1_11comp_targetILNS1_3genE2ELNS1_11target_archE906ELNS1_3gpuE6ELNS1_3repE0EEENS1_30default_config_static_selectorELNS0_4arch9wavefront6targetE0EEEvT1_,@function
_ZN7rocprim17ROCPRIM_400000_NS6detail17trampoline_kernelINS0_14default_configENS1_25partition_config_selectorILNS1_17partition_subalgoE8ElNS0_10empty_typeEbEEZZNS1_14partition_implILS5_8ELb0ES3_jPlPS6_PKS6_NS0_5tupleIJS9_S6_EEENSD_IJSA_SA_EEENS0_18inequality_wrapperIZN2at6native12_GLOBAL__N_124unique_dim_cuda_templateIN3c104HalfEEESt5tupleIJNSH_6TensorESO_SO_EERKSO_lbbbEUlllE0_EEPmJS6_EEE10hipError_tPvRmT3_T4_T5_T6_T7_T9_mT8_P12ihipStream_tbDpT10_ENKUlT_T0_E_clISt17integral_constantIbLb1EES1D_IbLb0EEEEDaS19_S1A_EUlS19_E_NS1_11comp_targetILNS1_3genE2ELNS1_11target_archE906ELNS1_3gpuE6ELNS1_3repE0EEENS1_30default_config_static_selectorELNS0_4arch9wavefront6targetE0EEEvT1_: ; @_ZN7rocprim17ROCPRIM_400000_NS6detail17trampoline_kernelINS0_14default_configENS1_25partition_config_selectorILNS1_17partition_subalgoE8ElNS0_10empty_typeEbEEZZNS1_14partition_implILS5_8ELb0ES3_jPlPS6_PKS6_NS0_5tupleIJS9_S6_EEENSD_IJSA_SA_EEENS0_18inequality_wrapperIZN2at6native12_GLOBAL__N_124unique_dim_cuda_templateIN3c104HalfEEESt5tupleIJNSH_6TensorESO_SO_EERKSO_lbbbEUlllE0_EEPmJS6_EEE10hipError_tPvRmT3_T4_T5_T6_T7_T9_mT8_P12ihipStream_tbDpT10_ENKUlT_T0_E_clISt17integral_constantIbLb1EES1D_IbLb0EEEEDaS19_S1A_EUlS19_E_NS1_11comp_targetILNS1_3genE2ELNS1_11target_archE906ELNS1_3gpuE6ELNS1_3repE0EEENS1_30default_config_static_selectorELNS0_4arch9wavefront6targetE0EEEvT1_
; %bb.0:
	.section	.rodata,"a",@progbits
	.p2align	6, 0x0
	.amdhsa_kernel _ZN7rocprim17ROCPRIM_400000_NS6detail17trampoline_kernelINS0_14default_configENS1_25partition_config_selectorILNS1_17partition_subalgoE8ElNS0_10empty_typeEbEEZZNS1_14partition_implILS5_8ELb0ES3_jPlPS6_PKS6_NS0_5tupleIJS9_S6_EEENSD_IJSA_SA_EEENS0_18inequality_wrapperIZN2at6native12_GLOBAL__N_124unique_dim_cuda_templateIN3c104HalfEEESt5tupleIJNSH_6TensorESO_SO_EERKSO_lbbbEUlllE0_EEPmJS6_EEE10hipError_tPvRmT3_T4_T5_T6_T7_T9_mT8_P12ihipStream_tbDpT10_ENKUlT_T0_E_clISt17integral_constantIbLb1EES1D_IbLb0EEEEDaS19_S1A_EUlS19_E_NS1_11comp_targetILNS1_3genE2ELNS1_11target_archE906ELNS1_3gpuE6ELNS1_3repE0EEENS1_30default_config_static_selectorELNS0_4arch9wavefront6targetE0EEEvT1_
		.amdhsa_group_segment_fixed_size 0
		.amdhsa_private_segment_fixed_size 0
		.amdhsa_kernarg_size 120
		.amdhsa_user_sgpr_count 2
		.amdhsa_user_sgpr_dispatch_ptr 0
		.amdhsa_user_sgpr_queue_ptr 0
		.amdhsa_user_sgpr_kernarg_segment_ptr 1
		.amdhsa_user_sgpr_dispatch_id 0
		.amdhsa_user_sgpr_kernarg_preload_length 0
		.amdhsa_user_sgpr_kernarg_preload_offset 0
		.amdhsa_user_sgpr_private_segment_size 0
		.amdhsa_wavefront_size32 1
		.amdhsa_uses_dynamic_stack 0
		.amdhsa_enable_private_segment 0
		.amdhsa_system_sgpr_workgroup_id_x 1
		.amdhsa_system_sgpr_workgroup_id_y 0
		.amdhsa_system_sgpr_workgroup_id_z 0
		.amdhsa_system_sgpr_workgroup_info 0
		.amdhsa_system_vgpr_workitem_id 0
		.amdhsa_next_free_vgpr 1
		.amdhsa_next_free_sgpr 1
		.amdhsa_named_barrier_count 0
		.amdhsa_reserve_vcc 0
		.amdhsa_float_round_mode_32 0
		.amdhsa_float_round_mode_16_64 0
		.amdhsa_float_denorm_mode_32 3
		.amdhsa_float_denorm_mode_16_64 3
		.amdhsa_fp16_overflow 0
		.amdhsa_memory_ordered 1
		.amdhsa_forward_progress 1
		.amdhsa_inst_pref_size 0
		.amdhsa_round_robin_scheduling 0
		.amdhsa_exception_fp_ieee_invalid_op 0
		.amdhsa_exception_fp_denorm_src 0
		.amdhsa_exception_fp_ieee_div_zero 0
		.amdhsa_exception_fp_ieee_overflow 0
		.amdhsa_exception_fp_ieee_underflow 0
		.amdhsa_exception_fp_ieee_inexact 0
		.amdhsa_exception_int_div_zero 0
	.end_amdhsa_kernel
	.section	.text._ZN7rocprim17ROCPRIM_400000_NS6detail17trampoline_kernelINS0_14default_configENS1_25partition_config_selectorILNS1_17partition_subalgoE8ElNS0_10empty_typeEbEEZZNS1_14partition_implILS5_8ELb0ES3_jPlPS6_PKS6_NS0_5tupleIJS9_S6_EEENSD_IJSA_SA_EEENS0_18inequality_wrapperIZN2at6native12_GLOBAL__N_124unique_dim_cuda_templateIN3c104HalfEEESt5tupleIJNSH_6TensorESO_SO_EERKSO_lbbbEUlllE0_EEPmJS6_EEE10hipError_tPvRmT3_T4_T5_T6_T7_T9_mT8_P12ihipStream_tbDpT10_ENKUlT_T0_E_clISt17integral_constantIbLb1EES1D_IbLb0EEEEDaS19_S1A_EUlS19_E_NS1_11comp_targetILNS1_3genE2ELNS1_11target_archE906ELNS1_3gpuE6ELNS1_3repE0EEENS1_30default_config_static_selectorELNS0_4arch9wavefront6targetE0EEEvT1_,"axG",@progbits,_ZN7rocprim17ROCPRIM_400000_NS6detail17trampoline_kernelINS0_14default_configENS1_25partition_config_selectorILNS1_17partition_subalgoE8ElNS0_10empty_typeEbEEZZNS1_14partition_implILS5_8ELb0ES3_jPlPS6_PKS6_NS0_5tupleIJS9_S6_EEENSD_IJSA_SA_EEENS0_18inequality_wrapperIZN2at6native12_GLOBAL__N_124unique_dim_cuda_templateIN3c104HalfEEESt5tupleIJNSH_6TensorESO_SO_EERKSO_lbbbEUlllE0_EEPmJS6_EEE10hipError_tPvRmT3_T4_T5_T6_T7_T9_mT8_P12ihipStream_tbDpT10_ENKUlT_T0_E_clISt17integral_constantIbLb1EES1D_IbLb0EEEEDaS19_S1A_EUlS19_E_NS1_11comp_targetILNS1_3genE2ELNS1_11target_archE906ELNS1_3gpuE6ELNS1_3repE0EEENS1_30default_config_static_selectorELNS0_4arch9wavefront6targetE0EEEvT1_,comdat
.Lfunc_end1317:
	.size	_ZN7rocprim17ROCPRIM_400000_NS6detail17trampoline_kernelINS0_14default_configENS1_25partition_config_selectorILNS1_17partition_subalgoE8ElNS0_10empty_typeEbEEZZNS1_14partition_implILS5_8ELb0ES3_jPlPS6_PKS6_NS0_5tupleIJS9_S6_EEENSD_IJSA_SA_EEENS0_18inequality_wrapperIZN2at6native12_GLOBAL__N_124unique_dim_cuda_templateIN3c104HalfEEESt5tupleIJNSH_6TensorESO_SO_EERKSO_lbbbEUlllE0_EEPmJS6_EEE10hipError_tPvRmT3_T4_T5_T6_T7_T9_mT8_P12ihipStream_tbDpT10_ENKUlT_T0_E_clISt17integral_constantIbLb1EES1D_IbLb0EEEEDaS19_S1A_EUlS19_E_NS1_11comp_targetILNS1_3genE2ELNS1_11target_archE906ELNS1_3gpuE6ELNS1_3repE0EEENS1_30default_config_static_selectorELNS0_4arch9wavefront6targetE0EEEvT1_, .Lfunc_end1317-_ZN7rocprim17ROCPRIM_400000_NS6detail17trampoline_kernelINS0_14default_configENS1_25partition_config_selectorILNS1_17partition_subalgoE8ElNS0_10empty_typeEbEEZZNS1_14partition_implILS5_8ELb0ES3_jPlPS6_PKS6_NS0_5tupleIJS9_S6_EEENSD_IJSA_SA_EEENS0_18inequality_wrapperIZN2at6native12_GLOBAL__N_124unique_dim_cuda_templateIN3c104HalfEEESt5tupleIJNSH_6TensorESO_SO_EERKSO_lbbbEUlllE0_EEPmJS6_EEE10hipError_tPvRmT3_T4_T5_T6_T7_T9_mT8_P12ihipStream_tbDpT10_ENKUlT_T0_E_clISt17integral_constantIbLb1EES1D_IbLb0EEEEDaS19_S1A_EUlS19_E_NS1_11comp_targetILNS1_3genE2ELNS1_11target_archE906ELNS1_3gpuE6ELNS1_3repE0EEENS1_30default_config_static_selectorELNS0_4arch9wavefront6targetE0EEEvT1_
                                        ; -- End function
	.set _ZN7rocprim17ROCPRIM_400000_NS6detail17trampoline_kernelINS0_14default_configENS1_25partition_config_selectorILNS1_17partition_subalgoE8ElNS0_10empty_typeEbEEZZNS1_14partition_implILS5_8ELb0ES3_jPlPS6_PKS6_NS0_5tupleIJS9_S6_EEENSD_IJSA_SA_EEENS0_18inequality_wrapperIZN2at6native12_GLOBAL__N_124unique_dim_cuda_templateIN3c104HalfEEESt5tupleIJNSH_6TensorESO_SO_EERKSO_lbbbEUlllE0_EEPmJS6_EEE10hipError_tPvRmT3_T4_T5_T6_T7_T9_mT8_P12ihipStream_tbDpT10_ENKUlT_T0_E_clISt17integral_constantIbLb1EES1D_IbLb0EEEEDaS19_S1A_EUlS19_E_NS1_11comp_targetILNS1_3genE2ELNS1_11target_archE906ELNS1_3gpuE6ELNS1_3repE0EEENS1_30default_config_static_selectorELNS0_4arch9wavefront6targetE0EEEvT1_.num_vgpr, 0
	.set _ZN7rocprim17ROCPRIM_400000_NS6detail17trampoline_kernelINS0_14default_configENS1_25partition_config_selectorILNS1_17partition_subalgoE8ElNS0_10empty_typeEbEEZZNS1_14partition_implILS5_8ELb0ES3_jPlPS6_PKS6_NS0_5tupleIJS9_S6_EEENSD_IJSA_SA_EEENS0_18inequality_wrapperIZN2at6native12_GLOBAL__N_124unique_dim_cuda_templateIN3c104HalfEEESt5tupleIJNSH_6TensorESO_SO_EERKSO_lbbbEUlllE0_EEPmJS6_EEE10hipError_tPvRmT3_T4_T5_T6_T7_T9_mT8_P12ihipStream_tbDpT10_ENKUlT_T0_E_clISt17integral_constantIbLb1EES1D_IbLb0EEEEDaS19_S1A_EUlS19_E_NS1_11comp_targetILNS1_3genE2ELNS1_11target_archE906ELNS1_3gpuE6ELNS1_3repE0EEENS1_30default_config_static_selectorELNS0_4arch9wavefront6targetE0EEEvT1_.num_agpr, 0
	.set _ZN7rocprim17ROCPRIM_400000_NS6detail17trampoline_kernelINS0_14default_configENS1_25partition_config_selectorILNS1_17partition_subalgoE8ElNS0_10empty_typeEbEEZZNS1_14partition_implILS5_8ELb0ES3_jPlPS6_PKS6_NS0_5tupleIJS9_S6_EEENSD_IJSA_SA_EEENS0_18inequality_wrapperIZN2at6native12_GLOBAL__N_124unique_dim_cuda_templateIN3c104HalfEEESt5tupleIJNSH_6TensorESO_SO_EERKSO_lbbbEUlllE0_EEPmJS6_EEE10hipError_tPvRmT3_T4_T5_T6_T7_T9_mT8_P12ihipStream_tbDpT10_ENKUlT_T0_E_clISt17integral_constantIbLb1EES1D_IbLb0EEEEDaS19_S1A_EUlS19_E_NS1_11comp_targetILNS1_3genE2ELNS1_11target_archE906ELNS1_3gpuE6ELNS1_3repE0EEENS1_30default_config_static_selectorELNS0_4arch9wavefront6targetE0EEEvT1_.numbered_sgpr, 0
	.set _ZN7rocprim17ROCPRIM_400000_NS6detail17trampoline_kernelINS0_14default_configENS1_25partition_config_selectorILNS1_17partition_subalgoE8ElNS0_10empty_typeEbEEZZNS1_14partition_implILS5_8ELb0ES3_jPlPS6_PKS6_NS0_5tupleIJS9_S6_EEENSD_IJSA_SA_EEENS0_18inequality_wrapperIZN2at6native12_GLOBAL__N_124unique_dim_cuda_templateIN3c104HalfEEESt5tupleIJNSH_6TensorESO_SO_EERKSO_lbbbEUlllE0_EEPmJS6_EEE10hipError_tPvRmT3_T4_T5_T6_T7_T9_mT8_P12ihipStream_tbDpT10_ENKUlT_T0_E_clISt17integral_constantIbLb1EES1D_IbLb0EEEEDaS19_S1A_EUlS19_E_NS1_11comp_targetILNS1_3genE2ELNS1_11target_archE906ELNS1_3gpuE6ELNS1_3repE0EEENS1_30default_config_static_selectorELNS0_4arch9wavefront6targetE0EEEvT1_.num_named_barrier, 0
	.set _ZN7rocprim17ROCPRIM_400000_NS6detail17trampoline_kernelINS0_14default_configENS1_25partition_config_selectorILNS1_17partition_subalgoE8ElNS0_10empty_typeEbEEZZNS1_14partition_implILS5_8ELb0ES3_jPlPS6_PKS6_NS0_5tupleIJS9_S6_EEENSD_IJSA_SA_EEENS0_18inequality_wrapperIZN2at6native12_GLOBAL__N_124unique_dim_cuda_templateIN3c104HalfEEESt5tupleIJNSH_6TensorESO_SO_EERKSO_lbbbEUlllE0_EEPmJS6_EEE10hipError_tPvRmT3_T4_T5_T6_T7_T9_mT8_P12ihipStream_tbDpT10_ENKUlT_T0_E_clISt17integral_constantIbLb1EES1D_IbLb0EEEEDaS19_S1A_EUlS19_E_NS1_11comp_targetILNS1_3genE2ELNS1_11target_archE906ELNS1_3gpuE6ELNS1_3repE0EEENS1_30default_config_static_selectorELNS0_4arch9wavefront6targetE0EEEvT1_.private_seg_size, 0
	.set _ZN7rocprim17ROCPRIM_400000_NS6detail17trampoline_kernelINS0_14default_configENS1_25partition_config_selectorILNS1_17partition_subalgoE8ElNS0_10empty_typeEbEEZZNS1_14partition_implILS5_8ELb0ES3_jPlPS6_PKS6_NS0_5tupleIJS9_S6_EEENSD_IJSA_SA_EEENS0_18inequality_wrapperIZN2at6native12_GLOBAL__N_124unique_dim_cuda_templateIN3c104HalfEEESt5tupleIJNSH_6TensorESO_SO_EERKSO_lbbbEUlllE0_EEPmJS6_EEE10hipError_tPvRmT3_T4_T5_T6_T7_T9_mT8_P12ihipStream_tbDpT10_ENKUlT_T0_E_clISt17integral_constantIbLb1EES1D_IbLb0EEEEDaS19_S1A_EUlS19_E_NS1_11comp_targetILNS1_3genE2ELNS1_11target_archE906ELNS1_3gpuE6ELNS1_3repE0EEENS1_30default_config_static_selectorELNS0_4arch9wavefront6targetE0EEEvT1_.uses_vcc, 0
	.set _ZN7rocprim17ROCPRIM_400000_NS6detail17trampoline_kernelINS0_14default_configENS1_25partition_config_selectorILNS1_17partition_subalgoE8ElNS0_10empty_typeEbEEZZNS1_14partition_implILS5_8ELb0ES3_jPlPS6_PKS6_NS0_5tupleIJS9_S6_EEENSD_IJSA_SA_EEENS0_18inequality_wrapperIZN2at6native12_GLOBAL__N_124unique_dim_cuda_templateIN3c104HalfEEESt5tupleIJNSH_6TensorESO_SO_EERKSO_lbbbEUlllE0_EEPmJS6_EEE10hipError_tPvRmT3_T4_T5_T6_T7_T9_mT8_P12ihipStream_tbDpT10_ENKUlT_T0_E_clISt17integral_constantIbLb1EES1D_IbLb0EEEEDaS19_S1A_EUlS19_E_NS1_11comp_targetILNS1_3genE2ELNS1_11target_archE906ELNS1_3gpuE6ELNS1_3repE0EEENS1_30default_config_static_selectorELNS0_4arch9wavefront6targetE0EEEvT1_.uses_flat_scratch, 0
	.set _ZN7rocprim17ROCPRIM_400000_NS6detail17trampoline_kernelINS0_14default_configENS1_25partition_config_selectorILNS1_17partition_subalgoE8ElNS0_10empty_typeEbEEZZNS1_14partition_implILS5_8ELb0ES3_jPlPS6_PKS6_NS0_5tupleIJS9_S6_EEENSD_IJSA_SA_EEENS0_18inequality_wrapperIZN2at6native12_GLOBAL__N_124unique_dim_cuda_templateIN3c104HalfEEESt5tupleIJNSH_6TensorESO_SO_EERKSO_lbbbEUlllE0_EEPmJS6_EEE10hipError_tPvRmT3_T4_T5_T6_T7_T9_mT8_P12ihipStream_tbDpT10_ENKUlT_T0_E_clISt17integral_constantIbLb1EES1D_IbLb0EEEEDaS19_S1A_EUlS19_E_NS1_11comp_targetILNS1_3genE2ELNS1_11target_archE906ELNS1_3gpuE6ELNS1_3repE0EEENS1_30default_config_static_selectorELNS0_4arch9wavefront6targetE0EEEvT1_.has_dyn_sized_stack, 0
	.set _ZN7rocprim17ROCPRIM_400000_NS6detail17trampoline_kernelINS0_14default_configENS1_25partition_config_selectorILNS1_17partition_subalgoE8ElNS0_10empty_typeEbEEZZNS1_14partition_implILS5_8ELb0ES3_jPlPS6_PKS6_NS0_5tupleIJS9_S6_EEENSD_IJSA_SA_EEENS0_18inequality_wrapperIZN2at6native12_GLOBAL__N_124unique_dim_cuda_templateIN3c104HalfEEESt5tupleIJNSH_6TensorESO_SO_EERKSO_lbbbEUlllE0_EEPmJS6_EEE10hipError_tPvRmT3_T4_T5_T6_T7_T9_mT8_P12ihipStream_tbDpT10_ENKUlT_T0_E_clISt17integral_constantIbLb1EES1D_IbLb0EEEEDaS19_S1A_EUlS19_E_NS1_11comp_targetILNS1_3genE2ELNS1_11target_archE906ELNS1_3gpuE6ELNS1_3repE0EEENS1_30default_config_static_selectorELNS0_4arch9wavefront6targetE0EEEvT1_.has_recursion, 0
	.set _ZN7rocprim17ROCPRIM_400000_NS6detail17trampoline_kernelINS0_14default_configENS1_25partition_config_selectorILNS1_17partition_subalgoE8ElNS0_10empty_typeEbEEZZNS1_14partition_implILS5_8ELb0ES3_jPlPS6_PKS6_NS0_5tupleIJS9_S6_EEENSD_IJSA_SA_EEENS0_18inequality_wrapperIZN2at6native12_GLOBAL__N_124unique_dim_cuda_templateIN3c104HalfEEESt5tupleIJNSH_6TensorESO_SO_EERKSO_lbbbEUlllE0_EEPmJS6_EEE10hipError_tPvRmT3_T4_T5_T6_T7_T9_mT8_P12ihipStream_tbDpT10_ENKUlT_T0_E_clISt17integral_constantIbLb1EES1D_IbLb0EEEEDaS19_S1A_EUlS19_E_NS1_11comp_targetILNS1_3genE2ELNS1_11target_archE906ELNS1_3gpuE6ELNS1_3repE0EEENS1_30default_config_static_selectorELNS0_4arch9wavefront6targetE0EEEvT1_.has_indirect_call, 0
	.section	.AMDGPU.csdata,"",@progbits
; Kernel info:
; codeLenInByte = 0
; TotalNumSgprs: 0
; NumVgprs: 0
; ScratchSize: 0
; MemoryBound: 0
; FloatMode: 240
; IeeeMode: 1
; LDSByteSize: 0 bytes/workgroup (compile time only)
; SGPRBlocks: 0
; VGPRBlocks: 0
; NumSGPRsForWavesPerEU: 1
; NumVGPRsForWavesPerEU: 1
; NamedBarCnt: 0
; Occupancy: 16
; WaveLimiterHint : 0
; COMPUTE_PGM_RSRC2:SCRATCH_EN: 0
; COMPUTE_PGM_RSRC2:USER_SGPR: 2
; COMPUTE_PGM_RSRC2:TRAP_HANDLER: 0
; COMPUTE_PGM_RSRC2:TGID_X_EN: 1
; COMPUTE_PGM_RSRC2:TGID_Y_EN: 0
; COMPUTE_PGM_RSRC2:TGID_Z_EN: 0
; COMPUTE_PGM_RSRC2:TIDIG_COMP_CNT: 0
	.section	.text._ZN7rocprim17ROCPRIM_400000_NS6detail17trampoline_kernelINS0_14default_configENS1_25partition_config_selectorILNS1_17partition_subalgoE8ElNS0_10empty_typeEbEEZZNS1_14partition_implILS5_8ELb0ES3_jPlPS6_PKS6_NS0_5tupleIJS9_S6_EEENSD_IJSA_SA_EEENS0_18inequality_wrapperIZN2at6native12_GLOBAL__N_124unique_dim_cuda_templateIN3c104HalfEEESt5tupleIJNSH_6TensorESO_SO_EERKSO_lbbbEUlllE0_EEPmJS6_EEE10hipError_tPvRmT3_T4_T5_T6_T7_T9_mT8_P12ihipStream_tbDpT10_ENKUlT_T0_E_clISt17integral_constantIbLb1EES1D_IbLb0EEEEDaS19_S1A_EUlS19_E_NS1_11comp_targetILNS1_3genE10ELNS1_11target_archE1200ELNS1_3gpuE4ELNS1_3repE0EEENS1_30default_config_static_selectorELNS0_4arch9wavefront6targetE0EEEvT1_,"axG",@progbits,_ZN7rocprim17ROCPRIM_400000_NS6detail17trampoline_kernelINS0_14default_configENS1_25partition_config_selectorILNS1_17partition_subalgoE8ElNS0_10empty_typeEbEEZZNS1_14partition_implILS5_8ELb0ES3_jPlPS6_PKS6_NS0_5tupleIJS9_S6_EEENSD_IJSA_SA_EEENS0_18inequality_wrapperIZN2at6native12_GLOBAL__N_124unique_dim_cuda_templateIN3c104HalfEEESt5tupleIJNSH_6TensorESO_SO_EERKSO_lbbbEUlllE0_EEPmJS6_EEE10hipError_tPvRmT3_T4_T5_T6_T7_T9_mT8_P12ihipStream_tbDpT10_ENKUlT_T0_E_clISt17integral_constantIbLb1EES1D_IbLb0EEEEDaS19_S1A_EUlS19_E_NS1_11comp_targetILNS1_3genE10ELNS1_11target_archE1200ELNS1_3gpuE4ELNS1_3repE0EEENS1_30default_config_static_selectorELNS0_4arch9wavefront6targetE0EEEvT1_,comdat
	.globl	_ZN7rocprim17ROCPRIM_400000_NS6detail17trampoline_kernelINS0_14default_configENS1_25partition_config_selectorILNS1_17partition_subalgoE8ElNS0_10empty_typeEbEEZZNS1_14partition_implILS5_8ELb0ES3_jPlPS6_PKS6_NS0_5tupleIJS9_S6_EEENSD_IJSA_SA_EEENS0_18inequality_wrapperIZN2at6native12_GLOBAL__N_124unique_dim_cuda_templateIN3c104HalfEEESt5tupleIJNSH_6TensorESO_SO_EERKSO_lbbbEUlllE0_EEPmJS6_EEE10hipError_tPvRmT3_T4_T5_T6_T7_T9_mT8_P12ihipStream_tbDpT10_ENKUlT_T0_E_clISt17integral_constantIbLb1EES1D_IbLb0EEEEDaS19_S1A_EUlS19_E_NS1_11comp_targetILNS1_3genE10ELNS1_11target_archE1200ELNS1_3gpuE4ELNS1_3repE0EEENS1_30default_config_static_selectorELNS0_4arch9wavefront6targetE0EEEvT1_ ; -- Begin function _ZN7rocprim17ROCPRIM_400000_NS6detail17trampoline_kernelINS0_14default_configENS1_25partition_config_selectorILNS1_17partition_subalgoE8ElNS0_10empty_typeEbEEZZNS1_14partition_implILS5_8ELb0ES3_jPlPS6_PKS6_NS0_5tupleIJS9_S6_EEENSD_IJSA_SA_EEENS0_18inequality_wrapperIZN2at6native12_GLOBAL__N_124unique_dim_cuda_templateIN3c104HalfEEESt5tupleIJNSH_6TensorESO_SO_EERKSO_lbbbEUlllE0_EEPmJS6_EEE10hipError_tPvRmT3_T4_T5_T6_T7_T9_mT8_P12ihipStream_tbDpT10_ENKUlT_T0_E_clISt17integral_constantIbLb1EES1D_IbLb0EEEEDaS19_S1A_EUlS19_E_NS1_11comp_targetILNS1_3genE10ELNS1_11target_archE1200ELNS1_3gpuE4ELNS1_3repE0EEENS1_30default_config_static_selectorELNS0_4arch9wavefront6targetE0EEEvT1_
	.p2align	8
	.type	_ZN7rocprim17ROCPRIM_400000_NS6detail17trampoline_kernelINS0_14default_configENS1_25partition_config_selectorILNS1_17partition_subalgoE8ElNS0_10empty_typeEbEEZZNS1_14partition_implILS5_8ELb0ES3_jPlPS6_PKS6_NS0_5tupleIJS9_S6_EEENSD_IJSA_SA_EEENS0_18inequality_wrapperIZN2at6native12_GLOBAL__N_124unique_dim_cuda_templateIN3c104HalfEEESt5tupleIJNSH_6TensorESO_SO_EERKSO_lbbbEUlllE0_EEPmJS6_EEE10hipError_tPvRmT3_T4_T5_T6_T7_T9_mT8_P12ihipStream_tbDpT10_ENKUlT_T0_E_clISt17integral_constantIbLb1EES1D_IbLb0EEEEDaS19_S1A_EUlS19_E_NS1_11comp_targetILNS1_3genE10ELNS1_11target_archE1200ELNS1_3gpuE4ELNS1_3repE0EEENS1_30default_config_static_selectorELNS0_4arch9wavefront6targetE0EEEvT1_,@function
_ZN7rocprim17ROCPRIM_400000_NS6detail17trampoline_kernelINS0_14default_configENS1_25partition_config_selectorILNS1_17partition_subalgoE8ElNS0_10empty_typeEbEEZZNS1_14partition_implILS5_8ELb0ES3_jPlPS6_PKS6_NS0_5tupleIJS9_S6_EEENSD_IJSA_SA_EEENS0_18inequality_wrapperIZN2at6native12_GLOBAL__N_124unique_dim_cuda_templateIN3c104HalfEEESt5tupleIJNSH_6TensorESO_SO_EERKSO_lbbbEUlllE0_EEPmJS6_EEE10hipError_tPvRmT3_T4_T5_T6_T7_T9_mT8_P12ihipStream_tbDpT10_ENKUlT_T0_E_clISt17integral_constantIbLb1EES1D_IbLb0EEEEDaS19_S1A_EUlS19_E_NS1_11comp_targetILNS1_3genE10ELNS1_11target_archE1200ELNS1_3gpuE4ELNS1_3repE0EEENS1_30default_config_static_selectorELNS0_4arch9wavefront6targetE0EEEvT1_: ; @_ZN7rocprim17ROCPRIM_400000_NS6detail17trampoline_kernelINS0_14default_configENS1_25partition_config_selectorILNS1_17partition_subalgoE8ElNS0_10empty_typeEbEEZZNS1_14partition_implILS5_8ELb0ES3_jPlPS6_PKS6_NS0_5tupleIJS9_S6_EEENSD_IJSA_SA_EEENS0_18inequality_wrapperIZN2at6native12_GLOBAL__N_124unique_dim_cuda_templateIN3c104HalfEEESt5tupleIJNSH_6TensorESO_SO_EERKSO_lbbbEUlllE0_EEPmJS6_EEE10hipError_tPvRmT3_T4_T5_T6_T7_T9_mT8_P12ihipStream_tbDpT10_ENKUlT_T0_E_clISt17integral_constantIbLb1EES1D_IbLb0EEEEDaS19_S1A_EUlS19_E_NS1_11comp_targetILNS1_3genE10ELNS1_11target_archE1200ELNS1_3gpuE4ELNS1_3repE0EEENS1_30default_config_static_selectorELNS0_4arch9wavefront6targetE0EEEvT1_
; %bb.0:
	.section	.rodata,"a",@progbits
	.p2align	6, 0x0
	.amdhsa_kernel _ZN7rocprim17ROCPRIM_400000_NS6detail17trampoline_kernelINS0_14default_configENS1_25partition_config_selectorILNS1_17partition_subalgoE8ElNS0_10empty_typeEbEEZZNS1_14partition_implILS5_8ELb0ES3_jPlPS6_PKS6_NS0_5tupleIJS9_S6_EEENSD_IJSA_SA_EEENS0_18inequality_wrapperIZN2at6native12_GLOBAL__N_124unique_dim_cuda_templateIN3c104HalfEEESt5tupleIJNSH_6TensorESO_SO_EERKSO_lbbbEUlllE0_EEPmJS6_EEE10hipError_tPvRmT3_T4_T5_T6_T7_T9_mT8_P12ihipStream_tbDpT10_ENKUlT_T0_E_clISt17integral_constantIbLb1EES1D_IbLb0EEEEDaS19_S1A_EUlS19_E_NS1_11comp_targetILNS1_3genE10ELNS1_11target_archE1200ELNS1_3gpuE4ELNS1_3repE0EEENS1_30default_config_static_selectorELNS0_4arch9wavefront6targetE0EEEvT1_
		.amdhsa_group_segment_fixed_size 0
		.amdhsa_private_segment_fixed_size 0
		.amdhsa_kernarg_size 120
		.amdhsa_user_sgpr_count 2
		.amdhsa_user_sgpr_dispatch_ptr 0
		.amdhsa_user_sgpr_queue_ptr 0
		.amdhsa_user_sgpr_kernarg_segment_ptr 1
		.amdhsa_user_sgpr_dispatch_id 0
		.amdhsa_user_sgpr_kernarg_preload_length 0
		.amdhsa_user_sgpr_kernarg_preload_offset 0
		.amdhsa_user_sgpr_private_segment_size 0
		.amdhsa_wavefront_size32 1
		.amdhsa_uses_dynamic_stack 0
		.amdhsa_enable_private_segment 0
		.amdhsa_system_sgpr_workgroup_id_x 1
		.amdhsa_system_sgpr_workgroup_id_y 0
		.amdhsa_system_sgpr_workgroup_id_z 0
		.amdhsa_system_sgpr_workgroup_info 0
		.amdhsa_system_vgpr_workitem_id 0
		.amdhsa_next_free_vgpr 1
		.amdhsa_next_free_sgpr 1
		.amdhsa_named_barrier_count 0
		.amdhsa_reserve_vcc 0
		.amdhsa_float_round_mode_32 0
		.amdhsa_float_round_mode_16_64 0
		.amdhsa_float_denorm_mode_32 3
		.amdhsa_float_denorm_mode_16_64 3
		.amdhsa_fp16_overflow 0
		.amdhsa_memory_ordered 1
		.amdhsa_forward_progress 1
		.amdhsa_inst_pref_size 0
		.amdhsa_round_robin_scheduling 0
		.amdhsa_exception_fp_ieee_invalid_op 0
		.amdhsa_exception_fp_denorm_src 0
		.amdhsa_exception_fp_ieee_div_zero 0
		.amdhsa_exception_fp_ieee_overflow 0
		.amdhsa_exception_fp_ieee_underflow 0
		.amdhsa_exception_fp_ieee_inexact 0
		.amdhsa_exception_int_div_zero 0
	.end_amdhsa_kernel
	.section	.text._ZN7rocprim17ROCPRIM_400000_NS6detail17trampoline_kernelINS0_14default_configENS1_25partition_config_selectorILNS1_17partition_subalgoE8ElNS0_10empty_typeEbEEZZNS1_14partition_implILS5_8ELb0ES3_jPlPS6_PKS6_NS0_5tupleIJS9_S6_EEENSD_IJSA_SA_EEENS0_18inequality_wrapperIZN2at6native12_GLOBAL__N_124unique_dim_cuda_templateIN3c104HalfEEESt5tupleIJNSH_6TensorESO_SO_EERKSO_lbbbEUlllE0_EEPmJS6_EEE10hipError_tPvRmT3_T4_T5_T6_T7_T9_mT8_P12ihipStream_tbDpT10_ENKUlT_T0_E_clISt17integral_constantIbLb1EES1D_IbLb0EEEEDaS19_S1A_EUlS19_E_NS1_11comp_targetILNS1_3genE10ELNS1_11target_archE1200ELNS1_3gpuE4ELNS1_3repE0EEENS1_30default_config_static_selectorELNS0_4arch9wavefront6targetE0EEEvT1_,"axG",@progbits,_ZN7rocprim17ROCPRIM_400000_NS6detail17trampoline_kernelINS0_14default_configENS1_25partition_config_selectorILNS1_17partition_subalgoE8ElNS0_10empty_typeEbEEZZNS1_14partition_implILS5_8ELb0ES3_jPlPS6_PKS6_NS0_5tupleIJS9_S6_EEENSD_IJSA_SA_EEENS0_18inequality_wrapperIZN2at6native12_GLOBAL__N_124unique_dim_cuda_templateIN3c104HalfEEESt5tupleIJNSH_6TensorESO_SO_EERKSO_lbbbEUlllE0_EEPmJS6_EEE10hipError_tPvRmT3_T4_T5_T6_T7_T9_mT8_P12ihipStream_tbDpT10_ENKUlT_T0_E_clISt17integral_constantIbLb1EES1D_IbLb0EEEEDaS19_S1A_EUlS19_E_NS1_11comp_targetILNS1_3genE10ELNS1_11target_archE1200ELNS1_3gpuE4ELNS1_3repE0EEENS1_30default_config_static_selectorELNS0_4arch9wavefront6targetE0EEEvT1_,comdat
.Lfunc_end1318:
	.size	_ZN7rocprim17ROCPRIM_400000_NS6detail17trampoline_kernelINS0_14default_configENS1_25partition_config_selectorILNS1_17partition_subalgoE8ElNS0_10empty_typeEbEEZZNS1_14partition_implILS5_8ELb0ES3_jPlPS6_PKS6_NS0_5tupleIJS9_S6_EEENSD_IJSA_SA_EEENS0_18inequality_wrapperIZN2at6native12_GLOBAL__N_124unique_dim_cuda_templateIN3c104HalfEEESt5tupleIJNSH_6TensorESO_SO_EERKSO_lbbbEUlllE0_EEPmJS6_EEE10hipError_tPvRmT3_T4_T5_T6_T7_T9_mT8_P12ihipStream_tbDpT10_ENKUlT_T0_E_clISt17integral_constantIbLb1EES1D_IbLb0EEEEDaS19_S1A_EUlS19_E_NS1_11comp_targetILNS1_3genE10ELNS1_11target_archE1200ELNS1_3gpuE4ELNS1_3repE0EEENS1_30default_config_static_selectorELNS0_4arch9wavefront6targetE0EEEvT1_, .Lfunc_end1318-_ZN7rocprim17ROCPRIM_400000_NS6detail17trampoline_kernelINS0_14default_configENS1_25partition_config_selectorILNS1_17partition_subalgoE8ElNS0_10empty_typeEbEEZZNS1_14partition_implILS5_8ELb0ES3_jPlPS6_PKS6_NS0_5tupleIJS9_S6_EEENSD_IJSA_SA_EEENS0_18inequality_wrapperIZN2at6native12_GLOBAL__N_124unique_dim_cuda_templateIN3c104HalfEEESt5tupleIJNSH_6TensorESO_SO_EERKSO_lbbbEUlllE0_EEPmJS6_EEE10hipError_tPvRmT3_T4_T5_T6_T7_T9_mT8_P12ihipStream_tbDpT10_ENKUlT_T0_E_clISt17integral_constantIbLb1EES1D_IbLb0EEEEDaS19_S1A_EUlS19_E_NS1_11comp_targetILNS1_3genE10ELNS1_11target_archE1200ELNS1_3gpuE4ELNS1_3repE0EEENS1_30default_config_static_selectorELNS0_4arch9wavefront6targetE0EEEvT1_
                                        ; -- End function
	.set _ZN7rocprim17ROCPRIM_400000_NS6detail17trampoline_kernelINS0_14default_configENS1_25partition_config_selectorILNS1_17partition_subalgoE8ElNS0_10empty_typeEbEEZZNS1_14partition_implILS5_8ELb0ES3_jPlPS6_PKS6_NS0_5tupleIJS9_S6_EEENSD_IJSA_SA_EEENS0_18inequality_wrapperIZN2at6native12_GLOBAL__N_124unique_dim_cuda_templateIN3c104HalfEEESt5tupleIJNSH_6TensorESO_SO_EERKSO_lbbbEUlllE0_EEPmJS6_EEE10hipError_tPvRmT3_T4_T5_T6_T7_T9_mT8_P12ihipStream_tbDpT10_ENKUlT_T0_E_clISt17integral_constantIbLb1EES1D_IbLb0EEEEDaS19_S1A_EUlS19_E_NS1_11comp_targetILNS1_3genE10ELNS1_11target_archE1200ELNS1_3gpuE4ELNS1_3repE0EEENS1_30default_config_static_selectorELNS0_4arch9wavefront6targetE0EEEvT1_.num_vgpr, 0
	.set _ZN7rocprim17ROCPRIM_400000_NS6detail17trampoline_kernelINS0_14default_configENS1_25partition_config_selectorILNS1_17partition_subalgoE8ElNS0_10empty_typeEbEEZZNS1_14partition_implILS5_8ELb0ES3_jPlPS6_PKS6_NS0_5tupleIJS9_S6_EEENSD_IJSA_SA_EEENS0_18inequality_wrapperIZN2at6native12_GLOBAL__N_124unique_dim_cuda_templateIN3c104HalfEEESt5tupleIJNSH_6TensorESO_SO_EERKSO_lbbbEUlllE0_EEPmJS6_EEE10hipError_tPvRmT3_T4_T5_T6_T7_T9_mT8_P12ihipStream_tbDpT10_ENKUlT_T0_E_clISt17integral_constantIbLb1EES1D_IbLb0EEEEDaS19_S1A_EUlS19_E_NS1_11comp_targetILNS1_3genE10ELNS1_11target_archE1200ELNS1_3gpuE4ELNS1_3repE0EEENS1_30default_config_static_selectorELNS0_4arch9wavefront6targetE0EEEvT1_.num_agpr, 0
	.set _ZN7rocprim17ROCPRIM_400000_NS6detail17trampoline_kernelINS0_14default_configENS1_25partition_config_selectorILNS1_17partition_subalgoE8ElNS0_10empty_typeEbEEZZNS1_14partition_implILS5_8ELb0ES3_jPlPS6_PKS6_NS0_5tupleIJS9_S6_EEENSD_IJSA_SA_EEENS0_18inequality_wrapperIZN2at6native12_GLOBAL__N_124unique_dim_cuda_templateIN3c104HalfEEESt5tupleIJNSH_6TensorESO_SO_EERKSO_lbbbEUlllE0_EEPmJS6_EEE10hipError_tPvRmT3_T4_T5_T6_T7_T9_mT8_P12ihipStream_tbDpT10_ENKUlT_T0_E_clISt17integral_constantIbLb1EES1D_IbLb0EEEEDaS19_S1A_EUlS19_E_NS1_11comp_targetILNS1_3genE10ELNS1_11target_archE1200ELNS1_3gpuE4ELNS1_3repE0EEENS1_30default_config_static_selectorELNS0_4arch9wavefront6targetE0EEEvT1_.numbered_sgpr, 0
	.set _ZN7rocprim17ROCPRIM_400000_NS6detail17trampoline_kernelINS0_14default_configENS1_25partition_config_selectorILNS1_17partition_subalgoE8ElNS0_10empty_typeEbEEZZNS1_14partition_implILS5_8ELb0ES3_jPlPS6_PKS6_NS0_5tupleIJS9_S6_EEENSD_IJSA_SA_EEENS0_18inequality_wrapperIZN2at6native12_GLOBAL__N_124unique_dim_cuda_templateIN3c104HalfEEESt5tupleIJNSH_6TensorESO_SO_EERKSO_lbbbEUlllE0_EEPmJS6_EEE10hipError_tPvRmT3_T4_T5_T6_T7_T9_mT8_P12ihipStream_tbDpT10_ENKUlT_T0_E_clISt17integral_constantIbLb1EES1D_IbLb0EEEEDaS19_S1A_EUlS19_E_NS1_11comp_targetILNS1_3genE10ELNS1_11target_archE1200ELNS1_3gpuE4ELNS1_3repE0EEENS1_30default_config_static_selectorELNS0_4arch9wavefront6targetE0EEEvT1_.num_named_barrier, 0
	.set _ZN7rocprim17ROCPRIM_400000_NS6detail17trampoline_kernelINS0_14default_configENS1_25partition_config_selectorILNS1_17partition_subalgoE8ElNS0_10empty_typeEbEEZZNS1_14partition_implILS5_8ELb0ES3_jPlPS6_PKS6_NS0_5tupleIJS9_S6_EEENSD_IJSA_SA_EEENS0_18inequality_wrapperIZN2at6native12_GLOBAL__N_124unique_dim_cuda_templateIN3c104HalfEEESt5tupleIJNSH_6TensorESO_SO_EERKSO_lbbbEUlllE0_EEPmJS6_EEE10hipError_tPvRmT3_T4_T5_T6_T7_T9_mT8_P12ihipStream_tbDpT10_ENKUlT_T0_E_clISt17integral_constantIbLb1EES1D_IbLb0EEEEDaS19_S1A_EUlS19_E_NS1_11comp_targetILNS1_3genE10ELNS1_11target_archE1200ELNS1_3gpuE4ELNS1_3repE0EEENS1_30default_config_static_selectorELNS0_4arch9wavefront6targetE0EEEvT1_.private_seg_size, 0
	.set _ZN7rocprim17ROCPRIM_400000_NS6detail17trampoline_kernelINS0_14default_configENS1_25partition_config_selectorILNS1_17partition_subalgoE8ElNS0_10empty_typeEbEEZZNS1_14partition_implILS5_8ELb0ES3_jPlPS6_PKS6_NS0_5tupleIJS9_S6_EEENSD_IJSA_SA_EEENS0_18inequality_wrapperIZN2at6native12_GLOBAL__N_124unique_dim_cuda_templateIN3c104HalfEEESt5tupleIJNSH_6TensorESO_SO_EERKSO_lbbbEUlllE0_EEPmJS6_EEE10hipError_tPvRmT3_T4_T5_T6_T7_T9_mT8_P12ihipStream_tbDpT10_ENKUlT_T0_E_clISt17integral_constantIbLb1EES1D_IbLb0EEEEDaS19_S1A_EUlS19_E_NS1_11comp_targetILNS1_3genE10ELNS1_11target_archE1200ELNS1_3gpuE4ELNS1_3repE0EEENS1_30default_config_static_selectorELNS0_4arch9wavefront6targetE0EEEvT1_.uses_vcc, 0
	.set _ZN7rocprim17ROCPRIM_400000_NS6detail17trampoline_kernelINS0_14default_configENS1_25partition_config_selectorILNS1_17partition_subalgoE8ElNS0_10empty_typeEbEEZZNS1_14partition_implILS5_8ELb0ES3_jPlPS6_PKS6_NS0_5tupleIJS9_S6_EEENSD_IJSA_SA_EEENS0_18inequality_wrapperIZN2at6native12_GLOBAL__N_124unique_dim_cuda_templateIN3c104HalfEEESt5tupleIJNSH_6TensorESO_SO_EERKSO_lbbbEUlllE0_EEPmJS6_EEE10hipError_tPvRmT3_T4_T5_T6_T7_T9_mT8_P12ihipStream_tbDpT10_ENKUlT_T0_E_clISt17integral_constantIbLb1EES1D_IbLb0EEEEDaS19_S1A_EUlS19_E_NS1_11comp_targetILNS1_3genE10ELNS1_11target_archE1200ELNS1_3gpuE4ELNS1_3repE0EEENS1_30default_config_static_selectorELNS0_4arch9wavefront6targetE0EEEvT1_.uses_flat_scratch, 0
	.set _ZN7rocprim17ROCPRIM_400000_NS6detail17trampoline_kernelINS0_14default_configENS1_25partition_config_selectorILNS1_17partition_subalgoE8ElNS0_10empty_typeEbEEZZNS1_14partition_implILS5_8ELb0ES3_jPlPS6_PKS6_NS0_5tupleIJS9_S6_EEENSD_IJSA_SA_EEENS0_18inequality_wrapperIZN2at6native12_GLOBAL__N_124unique_dim_cuda_templateIN3c104HalfEEESt5tupleIJNSH_6TensorESO_SO_EERKSO_lbbbEUlllE0_EEPmJS6_EEE10hipError_tPvRmT3_T4_T5_T6_T7_T9_mT8_P12ihipStream_tbDpT10_ENKUlT_T0_E_clISt17integral_constantIbLb1EES1D_IbLb0EEEEDaS19_S1A_EUlS19_E_NS1_11comp_targetILNS1_3genE10ELNS1_11target_archE1200ELNS1_3gpuE4ELNS1_3repE0EEENS1_30default_config_static_selectorELNS0_4arch9wavefront6targetE0EEEvT1_.has_dyn_sized_stack, 0
	.set _ZN7rocprim17ROCPRIM_400000_NS6detail17trampoline_kernelINS0_14default_configENS1_25partition_config_selectorILNS1_17partition_subalgoE8ElNS0_10empty_typeEbEEZZNS1_14partition_implILS5_8ELb0ES3_jPlPS6_PKS6_NS0_5tupleIJS9_S6_EEENSD_IJSA_SA_EEENS0_18inequality_wrapperIZN2at6native12_GLOBAL__N_124unique_dim_cuda_templateIN3c104HalfEEESt5tupleIJNSH_6TensorESO_SO_EERKSO_lbbbEUlllE0_EEPmJS6_EEE10hipError_tPvRmT3_T4_T5_T6_T7_T9_mT8_P12ihipStream_tbDpT10_ENKUlT_T0_E_clISt17integral_constantIbLb1EES1D_IbLb0EEEEDaS19_S1A_EUlS19_E_NS1_11comp_targetILNS1_3genE10ELNS1_11target_archE1200ELNS1_3gpuE4ELNS1_3repE0EEENS1_30default_config_static_selectorELNS0_4arch9wavefront6targetE0EEEvT1_.has_recursion, 0
	.set _ZN7rocprim17ROCPRIM_400000_NS6detail17trampoline_kernelINS0_14default_configENS1_25partition_config_selectorILNS1_17partition_subalgoE8ElNS0_10empty_typeEbEEZZNS1_14partition_implILS5_8ELb0ES3_jPlPS6_PKS6_NS0_5tupleIJS9_S6_EEENSD_IJSA_SA_EEENS0_18inequality_wrapperIZN2at6native12_GLOBAL__N_124unique_dim_cuda_templateIN3c104HalfEEESt5tupleIJNSH_6TensorESO_SO_EERKSO_lbbbEUlllE0_EEPmJS6_EEE10hipError_tPvRmT3_T4_T5_T6_T7_T9_mT8_P12ihipStream_tbDpT10_ENKUlT_T0_E_clISt17integral_constantIbLb1EES1D_IbLb0EEEEDaS19_S1A_EUlS19_E_NS1_11comp_targetILNS1_3genE10ELNS1_11target_archE1200ELNS1_3gpuE4ELNS1_3repE0EEENS1_30default_config_static_selectorELNS0_4arch9wavefront6targetE0EEEvT1_.has_indirect_call, 0
	.section	.AMDGPU.csdata,"",@progbits
; Kernel info:
; codeLenInByte = 0
; TotalNumSgprs: 0
; NumVgprs: 0
; ScratchSize: 0
; MemoryBound: 0
; FloatMode: 240
; IeeeMode: 1
; LDSByteSize: 0 bytes/workgroup (compile time only)
; SGPRBlocks: 0
; VGPRBlocks: 0
; NumSGPRsForWavesPerEU: 1
; NumVGPRsForWavesPerEU: 1
; NamedBarCnt: 0
; Occupancy: 16
; WaveLimiterHint : 0
; COMPUTE_PGM_RSRC2:SCRATCH_EN: 0
; COMPUTE_PGM_RSRC2:USER_SGPR: 2
; COMPUTE_PGM_RSRC2:TRAP_HANDLER: 0
; COMPUTE_PGM_RSRC2:TGID_X_EN: 1
; COMPUTE_PGM_RSRC2:TGID_Y_EN: 0
; COMPUTE_PGM_RSRC2:TGID_Z_EN: 0
; COMPUTE_PGM_RSRC2:TIDIG_COMP_CNT: 0
	.section	.text._ZN7rocprim17ROCPRIM_400000_NS6detail17trampoline_kernelINS0_14default_configENS1_25partition_config_selectorILNS1_17partition_subalgoE8ElNS0_10empty_typeEbEEZZNS1_14partition_implILS5_8ELb0ES3_jPlPS6_PKS6_NS0_5tupleIJS9_S6_EEENSD_IJSA_SA_EEENS0_18inequality_wrapperIZN2at6native12_GLOBAL__N_124unique_dim_cuda_templateIN3c104HalfEEESt5tupleIJNSH_6TensorESO_SO_EERKSO_lbbbEUlllE0_EEPmJS6_EEE10hipError_tPvRmT3_T4_T5_T6_T7_T9_mT8_P12ihipStream_tbDpT10_ENKUlT_T0_E_clISt17integral_constantIbLb1EES1D_IbLb0EEEEDaS19_S1A_EUlS19_E_NS1_11comp_targetILNS1_3genE9ELNS1_11target_archE1100ELNS1_3gpuE3ELNS1_3repE0EEENS1_30default_config_static_selectorELNS0_4arch9wavefront6targetE0EEEvT1_,"axG",@progbits,_ZN7rocprim17ROCPRIM_400000_NS6detail17trampoline_kernelINS0_14default_configENS1_25partition_config_selectorILNS1_17partition_subalgoE8ElNS0_10empty_typeEbEEZZNS1_14partition_implILS5_8ELb0ES3_jPlPS6_PKS6_NS0_5tupleIJS9_S6_EEENSD_IJSA_SA_EEENS0_18inequality_wrapperIZN2at6native12_GLOBAL__N_124unique_dim_cuda_templateIN3c104HalfEEESt5tupleIJNSH_6TensorESO_SO_EERKSO_lbbbEUlllE0_EEPmJS6_EEE10hipError_tPvRmT3_T4_T5_T6_T7_T9_mT8_P12ihipStream_tbDpT10_ENKUlT_T0_E_clISt17integral_constantIbLb1EES1D_IbLb0EEEEDaS19_S1A_EUlS19_E_NS1_11comp_targetILNS1_3genE9ELNS1_11target_archE1100ELNS1_3gpuE3ELNS1_3repE0EEENS1_30default_config_static_selectorELNS0_4arch9wavefront6targetE0EEEvT1_,comdat
	.globl	_ZN7rocprim17ROCPRIM_400000_NS6detail17trampoline_kernelINS0_14default_configENS1_25partition_config_selectorILNS1_17partition_subalgoE8ElNS0_10empty_typeEbEEZZNS1_14partition_implILS5_8ELb0ES3_jPlPS6_PKS6_NS0_5tupleIJS9_S6_EEENSD_IJSA_SA_EEENS0_18inequality_wrapperIZN2at6native12_GLOBAL__N_124unique_dim_cuda_templateIN3c104HalfEEESt5tupleIJNSH_6TensorESO_SO_EERKSO_lbbbEUlllE0_EEPmJS6_EEE10hipError_tPvRmT3_T4_T5_T6_T7_T9_mT8_P12ihipStream_tbDpT10_ENKUlT_T0_E_clISt17integral_constantIbLb1EES1D_IbLb0EEEEDaS19_S1A_EUlS19_E_NS1_11comp_targetILNS1_3genE9ELNS1_11target_archE1100ELNS1_3gpuE3ELNS1_3repE0EEENS1_30default_config_static_selectorELNS0_4arch9wavefront6targetE0EEEvT1_ ; -- Begin function _ZN7rocprim17ROCPRIM_400000_NS6detail17trampoline_kernelINS0_14default_configENS1_25partition_config_selectorILNS1_17partition_subalgoE8ElNS0_10empty_typeEbEEZZNS1_14partition_implILS5_8ELb0ES3_jPlPS6_PKS6_NS0_5tupleIJS9_S6_EEENSD_IJSA_SA_EEENS0_18inequality_wrapperIZN2at6native12_GLOBAL__N_124unique_dim_cuda_templateIN3c104HalfEEESt5tupleIJNSH_6TensorESO_SO_EERKSO_lbbbEUlllE0_EEPmJS6_EEE10hipError_tPvRmT3_T4_T5_T6_T7_T9_mT8_P12ihipStream_tbDpT10_ENKUlT_T0_E_clISt17integral_constantIbLb1EES1D_IbLb0EEEEDaS19_S1A_EUlS19_E_NS1_11comp_targetILNS1_3genE9ELNS1_11target_archE1100ELNS1_3gpuE3ELNS1_3repE0EEENS1_30default_config_static_selectorELNS0_4arch9wavefront6targetE0EEEvT1_
	.p2align	8
	.type	_ZN7rocprim17ROCPRIM_400000_NS6detail17trampoline_kernelINS0_14default_configENS1_25partition_config_selectorILNS1_17partition_subalgoE8ElNS0_10empty_typeEbEEZZNS1_14partition_implILS5_8ELb0ES3_jPlPS6_PKS6_NS0_5tupleIJS9_S6_EEENSD_IJSA_SA_EEENS0_18inequality_wrapperIZN2at6native12_GLOBAL__N_124unique_dim_cuda_templateIN3c104HalfEEESt5tupleIJNSH_6TensorESO_SO_EERKSO_lbbbEUlllE0_EEPmJS6_EEE10hipError_tPvRmT3_T4_T5_T6_T7_T9_mT8_P12ihipStream_tbDpT10_ENKUlT_T0_E_clISt17integral_constantIbLb1EES1D_IbLb0EEEEDaS19_S1A_EUlS19_E_NS1_11comp_targetILNS1_3genE9ELNS1_11target_archE1100ELNS1_3gpuE3ELNS1_3repE0EEENS1_30default_config_static_selectorELNS0_4arch9wavefront6targetE0EEEvT1_,@function
_ZN7rocprim17ROCPRIM_400000_NS6detail17trampoline_kernelINS0_14default_configENS1_25partition_config_selectorILNS1_17partition_subalgoE8ElNS0_10empty_typeEbEEZZNS1_14partition_implILS5_8ELb0ES3_jPlPS6_PKS6_NS0_5tupleIJS9_S6_EEENSD_IJSA_SA_EEENS0_18inequality_wrapperIZN2at6native12_GLOBAL__N_124unique_dim_cuda_templateIN3c104HalfEEESt5tupleIJNSH_6TensorESO_SO_EERKSO_lbbbEUlllE0_EEPmJS6_EEE10hipError_tPvRmT3_T4_T5_T6_T7_T9_mT8_P12ihipStream_tbDpT10_ENKUlT_T0_E_clISt17integral_constantIbLb1EES1D_IbLb0EEEEDaS19_S1A_EUlS19_E_NS1_11comp_targetILNS1_3genE9ELNS1_11target_archE1100ELNS1_3gpuE3ELNS1_3repE0EEENS1_30default_config_static_selectorELNS0_4arch9wavefront6targetE0EEEvT1_: ; @_ZN7rocprim17ROCPRIM_400000_NS6detail17trampoline_kernelINS0_14default_configENS1_25partition_config_selectorILNS1_17partition_subalgoE8ElNS0_10empty_typeEbEEZZNS1_14partition_implILS5_8ELb0ES3_jPlPS6_PKS6_NS0_5tupleIJS9_S6_EEENSD_IJSA_SA_EEENS0_18inequality_wrapperIZN2at6native12_GLOBAL__N_124unique_dim_cuda_templateIN3c104HalfEEESt5tupleIJNSH_6TensorESO_SO_EERKSO_lbbbEUlllE0_EEPmJS6_EEE10hipError_tPvRmT3_T4_T5_T6_T7_T9_mT8_P12ihipStream_tbDpT10_ENKUlT_T0_E_clISt17integral_constantIbLb1EES1D_IbLb0EEEEDaS19_S1A_EUlS19_E_NS1_11comp_targetILNS1_3genE9ELNS1_11target_archE1100ELNS1_3gpuE3ELNS1_3repE0EEENS1_30default_config_static_selectorELNS0_4arch9wavefront6targetE0EEEvT1_
; %bb.0:
	.section	.rodata,"a",@progbits
	.p2align	6, 0x0
	.amdhsa_kernel _ZN7rocprim17ROCPRIM_400000_NS6detail17trampoline_kernelINS0_14default_configENS1_25partition_config_selectorILNS1_17partition_subalgoE8ElNS0_10empty_typeEbEEZZNS1_14partition_implILS5_8ELb0ES3_jPlPS6_PKS6_NS0_5tupleIJS9_S6_EEENSD_IJSA_SA_EEENS0_18inequality_wrapperIZN2at6native12_GLOBAL__N_124unique_dim_cuda_templateIN3c104HalfEEESt5tupleIJNSH_6TensorESO_SO_EERKSO_lbbbEUlllE0_EEPmJS6_EEE10hipError_tPvRmT3_T4_T5_T6_T7_T9_mT8_P12ihipStream_tbDpT10_ENKUlT_T0_E_clISt17integral_constantIbLb1EES1D_IbLb0EEEEDaS19_S1A_EUlS19_E_NS1_11comp_targetILNS1_3genE9ELNS1_11target_archE1100ELNS1_3gpuE3ELNS1_3repE0EEENS1_30default_config_static_selectorELNS0_4arch9wavefront6targetE0EEEvT1_
		.amdhsa_group_segment_fixed_size 0
		.amdhsa_private_segment_fixed_size 0
		.amdhsa_kernarg_size 120
		.amdhsa_user_sgpr_count 2
		.amdhsa_user_sgpr_dispatch_ptr 0
		.amdhsa_user_sgpr_queue_ptr 0
		.amdhsa_user_sgpr_kernarg_segment_ptr 1
		.amdhsa_user_sgpr_dispatch_id 0
		.amdhsa_user_sgpr_kernarg_preload_length 0
		.amdhsa_user_sgpr_kernarg_preload_offset 0
		.amdhsa_user_sgpr_private_segment_size 0
		.amdhsa_wavefront_size32 1
		.amdhsa_uses_dynamic_stack 0
		.amdhsa_enable_private_segment 0
		.amdhsa_system_sgpr_workgroup_id_x 1
		.amdhsa_system_sgpr_workgroup_id_y 0
		.amdhsa_system_sgpr_workgroup_id_z 0
		.amdhsa_system_sgpr_workgroup_info 0
		.amdhsa_system_vgpr_workitem_id 0
		.amdhsa_next_free_vgpr 1
		.amdhsa_next_free_sgpr 1
		.amdhsa_named_barrier_count 0
		.amdhsa_reserve_vcc 0
		.amdhsa_float_round_mode_32 0
		.amdhsa_float_round_mode_16_64 0
		.amdhsa_float_denorm_mode_32 3
		.amdhsa_float_denorm_mode_16_64 3
		.amdhsa_fp16_overflow 0
		.amdhsa_memory_ordered 1
		.amdhsa_forward_progress 1
		.amdhsa_inst_pref_size 0
		.amdhsa_round_robin_scheduling 0
		.amdhsa_exception_fp_ieee_invalid_op 0
		.amdhsa_exception_fp_denorm_src 0
		.amdhsa_exception_fp_ieee_div_zero 0
		.amdhsa_exception_fp_ieee_overflow 0
		.amdhsa_exception_fp_ieee_underflow 0
		.amdhsa_exception_fp_ieee_inexact 0
		.amdhsa_exception_int_div_zero 0
	.end_amdhsa_kernel
	.section	.text._ZN7rocprim17ROCPRIM_400000_NS6detail17trampoline_kernelINS0_14default_configENS1_25partition_config_selectorILNS1_17partition_subalgoE8ElNS0_10empty_typeEbEEZZNS1_14partition_implILS5_8ELb0ES3_jPlPS6_PKS6_NS0_5tupleIJS9_S6_EEENSD_IJSA_SA_EEENS0_18inequality_wrapperIZN2at6native12_GLOBAL__N_124unique_dim_cuda_templateIN3c104HalfEEESt5tupleIJNSH_6TensorESO_SO_EERKSO_lbbbEUlllE0_EEPmJS6_EEE10hipError_tPvRmT3_T4_T5_T6_T7_T9_mT8_P12ihipStream_tbDpT10_ENKUlT_T0_E_clISt17integral_constantIbLb1EES1D_IbLb0EEEEDaS19_S1A_EUlS19_E_NS1_11comp_targetILNS1_3genE9ELNS1_11target_archE1100ELNS1_3gpuE3ELNS1_3repE0EEENS1_30default_config_static_selectorELNS0_4arch9wavefront6targetE0EEEvT1_,"axG",@progbits,_ZN7rocprim17ROCPRIM_400000_NS6detail17trampoline_kernelINS0_14default_configENS1_25partition_config_selectorILNS1_17partition_subalgoE8ElNS0_10empty_typeEbEEZZNS1_14partition_implILS5_8ELb0ES3_jPlPS6_PKS6_NS0_5tupleIJS9_S6_EEENSD_IJSA_SA_EEENS0_18inequality_wrapperIZN2at6native12_GLOBAL__N_124unique_dim_cuda_templateIN3c104HalfEEESt5tupleIJNSH_6TensorESO_SO_EERKSO_lbbbEUlllE0_EEPmJS6_EEE10hipError_tPvRmT3_T4_T5_T6_T7_T9_mT8_P12ihipStream_tbDpT10_ENKUlT_T0_E_clISt17integral_constantIbLb1EES1D_IbLb0EEEEDaS19_S1A_EUlS19_E_NS1_11comp_targetILNS1_3genE9ELNS1_11target_archE1100ELNS1_3gpuE3ELNS1_3repE0EEENS1_30default_config_static_selectorELNS0_4arch9wavefront6targetE0EEEvT1_,comdat
.Lfunc_end1319:
	.size	_ZN7rocprim17ROCPRIM_400000_NS6detail17trampoline_kernelINS0_14default_configENS1_25partition_config_selectorILNS1_17partition_subalgoE8ElNS0_10empty_typeEbEEZZNS1_14partition_implILS5_8ELb0ES3_jPlPS6_PKS6_NS0_5tupleIJS9_S6_EEENSD_IJSA_SA_EEENS0_18inequality_wrapperIZN2at6native12_GLOBAL__N_124unique_dim_cuda_templateIN3c104HalfEEESt5tupleIJNSH_6TensorESO_SO_EERKSO_lbbbEUlllE0_EEPmJS6_EEE10hipError_tPvRmT3_T4_T5_T6_T7_T9_mT8_P12ihipStream_tbDpT10_ENKUlT_T0_E_clISt17integral_constantIbLb1EES1D_IbLb0EEEEDaS19_S1A_EUlS19_E_NS1_11comp_targetILNS1_3genE9ELNS1_11target_archE1100ELNS1_3gpuE3ELNS1_3repE0EEENS1_30default_config_static_selectorELNS0_4arch9wavefront6targetE0EEEvT1_, .Lfunc_end1319-_ZN7rocprim17ROCPRIM_400000_NS6detail17trampoline_kernelINS0_14default_configENS1_25partition_config_selectorILNS1_17partition_subalgoE8ElNS0_10empty_typeEbEEZZNS1_14partition_implILS5_8ELb0ES3_jPlPS6_PKS6_NS0_5tupleIJS9_S6_EEENSD_IJSA_SA_EEENS0_18inequality_wrapperIZN2at6native12_GLOBAL__N_124unique_dim_cuda_templateIN3c104HalfEEESt5tupleIJNSH_6TensorESO_SO_EERKSO_lbbbEUlllE0_EEPmJS6_EEE10hipError_tPvRmT3_T4_T5_T6_T7_T9_mT8_P12ihipStream_tbDpT10_ENKUlT_T0_E_clISt17integral_constantIbLb1EES1D_IbLb0EEEEDaS19_S1A_EUlS19_E_NS1_11comp_targetILNS1_3genE9ELNS1_11target_archE1100ELNS1_3gpuE3ELNS1_3repE0EEENS1_30default_config_static_selectorELNS0_4arch9wavefront6targetE0EEEvT1_
                                        ; -- End function
	.set _ZN7rocprim17ROCPRIM_400000_NS6detail17trampoline_kernelINS0_14default_configENS1_25partition_config_selectorILNS1_17partition_subalgoE8ElNS0_10empty_typeEbEEZZNS1_14partition_implILS5_8ELb0ES3_jPlPS6_PKS6_NS0_5tupleIJS9_S6_EEENSD_IJSA_SA_EEENS0_18inequality_wrapperIZN2at6native12_GLOBAL__N_124unique_dim_cuda_templateIN3c104HalfEEESt5tupleIJNSH_6TensorESO_SO_EERKSO_lbbbEUlllE0_EEPmJS6_EEE10hipError_tPvRmT3_T4_T5_T6_T7_T9_mT8_P12ihipStream_tbDpT10_ENKUlT_T0_E_clISt17integral_constantIbLb1EES1D_IbLb0EEEEDaS19_S1A_EUlS19_E_NS1_11comp_targetILNS1_3genE9ELNS1_11target_archE1100ELNS1_3gpuE3ELNS1_3repE0EEENS1_30default_config_static_selectorELNS0_4arch9wavefront6targetE0EEEvT1_.num_vgpr, 0
	.set _ZN7rocprim17ROCPRIM_400000_NS6detail17trampoline_kernelINS0_14default_configENS1_25partition_config_selectorILNS1_17partition_subalgoE8ElNS0_10empty_typeEbEEZZNS1_14partition_implILS5_8ELb0ES3_jPlPS6_PKS6_NS0_5tupleIJS9_S6_EEENSD_IJSA_SA_EEENS0_18inequality_wrapperIZN2at6native12_GLOBAL__N_124unique_dim_cuda_templateIN3c104HalfEEESt5tupleIJNSH_6TensorESO_SO_EERKSO_lbbbEUlllE0_EEPmJS6_EEE10hipError_tPvRmT3_T4_T5_T6_T7_T9_mT8_P12ihipStream_tbDpT10_ENKUlT_T0_E_clISt17integral_constantIbLb1EES1D_IbLb0EEEEDaS19_S1A_EUlS19_E_NS1_11comp_targetILNS1_3genE9ELNS1_11target_archE1100ELNS1_3gpuE3ELNS1_3repE0EEENS1_30default_config_static_selectorELNS0_4arch9wavefront6targetE0EEEvT1_.num_agpr, 0
	.set _ZN7rocprim17ROCPRIM_400000_NS6detail17trampoline_kernelINS0_14default_configENS1_25partition_config_selectorILNS1_17partition_subalgoE8ElNS0_10empty_typeEbEEZZNS1_14partition_implILS5_8ELb0ES3_jPlPS6_PKS6_NS0_5tupleIJS9_S6_EEENSD_IJSA_SA_EEENS0_18inequality_wrapperIZN2at6native12_GLOBAL__N_124unique_dim_cuda_templateIN3c104HalfEEESt5tupleIJNSH_6TensorESO_SO_EERKSO_lbbbEUlllE0_EEPmJS6_EEE10hipError_tPvRmT3_T4_T5_T6_T7_T9_mT8_P12ihipStream_tbDpT10_ENKUlT_T0_E_clISt17integral_constantIbLb1EES1D_IbLb0EEEEDaS19_S1A_EUlS19_E_NS1_11comp_targetILNS1_3genE9ELNS1_11target_archE1100ELNS1_3gpuE3ELNS1_3repE0EEENS1_30default_config_static_selectorELNS0_4arch9wavefront6targetE0EEEvT1_.numbered_sgpr, 0
	.set _ZN7rocprim17ROCPRIM_400000_NS6detail17trampoline_kernelINS0_14default_configENS1_25partition_config_selectorILNS1_17partition_subalgoE8ElNS0_10empty_typeEbEEZZNS1_14partition_implILS5_8ELb0ES3_jPlPS6_PKS6_NS0_5tupleIJS9_S6_EEENSD_IJSA_SA_EEENS0_18inequality_wrapperIZN2at6native12_GLOBAL__N_124unique_dim_cuda_templateIN3c104HalfEEESt5tupleIJNSH_6TensorESO_SO_EERKSO_lbbbEUlllE0_EEPmJS6_EEE10hipError_tPvRmT3_T4_T5_T6_T7_T9_mT8_P12ihipStream_tbDpT10_ENKUlT_T0_E_clISt17integral_constantIbLb1EES1D_IbLb0EEEEDaS19_S1A_EUlS19_E_NS1_11comp_targetILNS1_3genE9ELNS1_11target_archE1100ELNS1_3gpuE3ELNS1_3repE0EEENS1_30default_config_static_selectorELNS0_4arch9wavefront6targetE0EEEvT1_.num_named_barrier, 0
	.set _ZN7rocprim17ROCPRIM_400000_NS6detail17trampoline_kernelINS0_14default_configENS1_25partition_config_selectorILNS1_17partition_subalgoE8ElNS0_10empty_typeEbEEZZNS1_14partition_implILS5_8ELb0ES3_jPlPS6_PKS6_NS0_5tupleIJS9_S6_EEENSD_IJSA_SA_EEENS0_18inequality_wrapperIZN2at6native12_GLOBAL__N_124unique_dim_cuda_templateIN3c104HalfEEESt5tupleIJNSH_6TensorESO_SO_EERKSO_lbbbEUlllE0_EEPmJS6_EEE10hipError_tPvRmT3_T4_T5_T6_T7_T9_mT8_P12ihipStream_tbDpT10_ENKUlT_T0_E_clISt17integral_constantIbLb1EES1D_IbLb0EEEEDaS19_S1A_EUlS19_E_NS1_11comp_targetILNS1_3genE9ELNS1_11target_archE1100ELNS1_3gpuE3ELNS1_3repE0EEENS1_30default_config_static_selectorELNS0_4arch9wavefront6targetE0EEEvT1_.private_seg_size, 0
	.set _ZN7rocprim17ROCPRIM_400000_NS6detail17trampoline_kernelINS0_14default_configENS1_25partition_config_selectorILNS1_17partition_subalgoE8ElNS0_10empty_typeEbEEZZNS1_14partition_implILS5_8ELb0ES3_jPlPS6_PKS6_NS0_5tupleIJS9_S6_EEENSD_IJSA_SA_EEENS0_18inequality_wrapperIZN2at6native12_GLOBAL__N_124unique_dim_cuda_templateIN3c104HalfEEESt5tupleIJNSH_6TensorESO_SO_EERKSO_lbbbEUlllE0_EEPmJS6_EEE10hipError_tPvRmT3_T4_T5_T6_T7_T9_mT8_P12ihipStream_tbDpT10_ENKUlT_T0_E_clISt17integral_constantIbLb1EES1D_IbLb0EEEEDaS19_S1A_EUlS19_E_NS1_11comp_targetILNS1_3genE9ELNS1_11target_archE1100ELNS1_3gpuE3ELNS1_3repE0EEENS1_30default_config_static_selectorELNS0_4arch9wavefront6targetE0EEEvT1_.uses_vcc, 0
	.set _ZN7rocprim17ROCPRIM_400000_NS6detail17trampoline_kernelINS0_14default_configENS1_25partition_config_selectorILNS1_17partition_subalgoE8ElNS0_10empty_typeEbEEZZNS1_14partition_implILS5_8ELb0ES3_jPlPS6_PKS6_NS0_5tupleIJS9_S6_EEENSD_IJSA_SA_EEENS0_18inequality_wrapperIZN2at6native12_GLOBAL__N_124unique_dim_cuda_templateIN3c104HalfEEESt5tupleIJNSH_6TensorESO_SO_EERKSO_lbbbEUlllE0_EEPmJS6_EEE10hipError_tPvRmT3_T4_T5_T6_T7_T9_mT8_P12ihipStream_tbDpT10_ENKUlT_T0_E_clISt17integral_constantIbLb1EES1D_IbLb0EEEEDaS19_S1A_EUlS19_E_NS1_11comp_targetILNS1_3genE9ELNS1_11target_archE1100ELNS1_3gpuE3ELNS1_3repE0EEENS1_30default_config_static_selectorELNS0_4arch9wavefront6targetE0EEEvT1_.uses_flat_scratch, 0
	.set _ZN7rocprim17ROCPRIM_400000_NS6detail17trampoline_kernelINS0_14default_configENS1_25partition_config_selectorILNS1_17partition_subalgoE8ElNS0_10empty_typeEbEEZZNS1_14partition_implILS5_8ELb0ES3_jPlPS6_PKS6_NS0_5tupleIJS9_S6_EEENSD_IJSA_SA_EEENS0_18inequality_wrapperIZN2at6native12_GLOBAL__N_124unique_dim_cuda_templateIN3c104HalfEEESt5tupleIJNSH_6TensorESO_SO_EERKSO_lbbbEUlllE0_EEPmJS6_EEE10hipError_tPvRmT3_T4_T5_T6_T7_T9_mT8_P12ihipStream_tbDpT10_ENKUlT_T0_E_clISt17integral_constantIbLb1EES1D_IbLb0EEEEDaS19_S1A_EUlS19_E_NS1_11comp_targetILNS1_3genE9ELNS1_11target_archE1100ELNS1_3gpuE3ELNS1_3repE0EEENS1_30default_config_static_selectorELNS0_4arch9wavefront6targetE0EEEvT1_.has_dyn_sized_stack, 0
	.set _ZN7rocprim17ROCPRIM_400000_NS6detail17trampoline_kernelINS0_14default_configENS1_25partition_config_selectorILNS1_17partition_subalgoE8ElNS0_10empty_typeEbEEZZNS1_14partition_implILS5_8ELb0ES3_jPlPS6_PKS6_NS0_5tupleIJS9_S6_EEENSD_IJSA_SA_EEENS0_18inequality_wrapperIZN2at6native12_GLOBAL__N_124unique_dim_cuda_templateIN3c104HalfEEESt5tupleIJNSH_6TensorESO_SO_EERKSO_lbbbEUlllE0_EEPmJS6_EEE10hipError_tPvRmT3_T4_T5_T6_T7_T9_mT8_P12ihipStream_tbDpT10_ENKUlT_T0_E_clISt17integral_constantIbLb1EES1D_IbLb0EEEEDaS19_S1A_EUlS19_E_NS1_11comp_targetILNS1_3genE9ELNS1_11target_archE1100ELNS1_3gpuE3ELNS1_3repE0EEENS1_30default_config_static_selectorELNS0_4arch9wavefront6targetE0EEEvT1_.has_recursion, 0
	.set _ZN7rocprim17ROCPRIM_400000_NS6detail17trampoline_kernelINS0_14default_configENS1_25partition_config_selectorILNS1_17partition_subalgoE8ElNS0_10empty_typeEbEEZZNS1_14partition_implILS5_8ELb0ES3_jPlPS6_PKS6_NS0_5tupleIJS9_S6_EEENSD_IJSA_SA_EEENS0_18inequality_wrapperIZN2at6native12_GLOBAL__N_124unique_dim_cuda_templateIN3c104HalfEEESt5tupleIJNSH_6TensorESO_SO_EERKSO_lbbbEUlllE0_EEPmJS6_EEE10hipError_tPvRmT3_T4_T5_T6_T7_T9_mT8_P12ihipStream_tbDpT10_ENKUlT_T0_E_clISt17integral_constantIbLb1EES1D_IbLb0EEEEDaS19_S1A_EUlS19_E_NS1_11comp_targetILNS1_3genE9ELNS1_11target_archE1100ELNS1_3gpuE3ELNS1_3repE0EEENS1_30default_config_static_selectorELNS0_4arch9wavefront6targetE0EEEvT1_.has_indirect_call, 0
	.section	.AMDGPU.csdata,"",@progbits
; Kernel info:
; codeLenInByte = 0
; TotalNumSgprs: 0
; NumVgprs: 0
; ScratchSize: 0
; MemoryBound: 0
; FloatMode: 240
; IeeeMode: 1
; LDSByteSize: 0 bytes/workgroup (compile time only)
; SGPRBlocks: 0
; VGPRBlocks: 0
; NumSGPRsForWavesPerEU: 1
; NumVGPRsForWavesPerEU: 1
; NamedBarCnt: 0
; Occupancy: 16
; WaveLimiterHint : 0
; COMPUTE_PGM_RSRC2:SCRATCH_EN: 0
; COMPUTE_PGM_RSRC2:USER_SGPR: 2
; COMPUTE_PGM_RSRC2:TRAP_HANDLER: 0
; COMPUTE_PGM_RSRC2:TGID_X_EN: 1
; COMPUTE_PGM_RSRC2:TGID_Y_EN: 0
; COMPUTE_PGM_RSRC2:TGID_Z_EN: 0
; COMPUTE_PGM_RSRC2:TIDIG_COMP_CNT: 0
	.section	.text._ZN7rocprim17ROCPRIM_400000_NS6detail17trampoline_kernelINS0_14default_configENS1_25partition_config_selectorILNS1_17partition_subalgoE8ElNS0_10empty_typeEbEEZZNS1_14partition_implILS5_8ELb0ES3_jPlPS6_PKS6_NS0_5tupleIJS9_S6_EEENSD_IJSA_SA_EEENS0_18inequality_wrapperIZN2at6native12_GLOBAL__N_124unique_dim_cuda_templateIN3c104HalfEEESt5tupleIJNSH_6TensorESO_SO_EERKSO_lbbbEUlllE0_EEPmJS6_EEE10hipError_tPvRmT3_T4_T5_T6_T7_T9_mT8_P12ihipStream_tbDpT10_ENKUlT_T0_E_clISt17integral_constantIbLb1EES1D_IbLb0EEEEDaS19_S1A_EUlS19_E_NS1_11comp_targetILNS1_3genE8ELNS1_11target_archE1030ELNS1_3gpuE2ELNS1_3repE0EEENS1_30default_config_static_selectorELNS0_4arch9wavefront6targetE0EEEvT1_,"axG",@progbits,_ZN7rocprim17ROCPRIM_400000_NS6detail17trampoline_kernelINS0_14default_configENS1_25partition_config_selectorILNS1_17partition_subalgoE8ElNS0_10empty_typeEbEEZZNS1_14partition_implILS5_8ELb0ES3_jPlPS6_PKS6_NS0_5tupleIJS9_S6_EEENSD_IJSA_SA_EEENS0_18inequality_wrapperIZN2at6native12_GLOBAL__N_124unique_dim_cuda_templateIN3c104HalfEEESt5tupleIJNSH_6TensorESO_SO_EERKSO_lbbbEUlllE0_EEPmJS6_EEE10hipError_tPvRmT3_T4_T5_T6_T7_T9_mT8_P12ihipStream_tbDpT10_ENKUlT_T0_E_clISt17integral_constantIbLb1EES1D_IbLb0EEEEDaS19_S1A_EUlS19_E_NS1_11comp_targetILNS1_3genE8ELNS1_11target_archE1030ELNS1_3gpuE2ELNS1_3repE0EEENS1_30default_config_static_selectorELNS0_4arch9wavefront6targetE0EEEvT1_,comdat
	.globl	_ZN7rocprim17ROCPRIM_400000_NS6detail17trampoline_kernelINS0_14default_configENS1_25partition_config_selectorILNS1_17partition_subalgoE8ElNS0_10empty_typeEbEEZZNS1_14partition_implILS5_8ELb0ES3_jPlPS6_PKS6_NS0_5tupleIJS9_S6_EEENSD_IJSA_SA_EEENS0_18inequality_wrapperIZN2at6native12_GLOBAL__N_124unique_dim_cuda_templateIN3c104HalfEEESt5tupleIJNSH_6TensorESO_SO_EERKSO_lbbbEUlllE0_EEPmJS6_EEE10hipError_tPvRmT3_T4_T5_T6_T7_T9_mT8_P12ihipStream_tbDpT10_ENKUlT_T0_E_clISt17integral_constantIbLb1EES1D_IbLb0EEEEDaS19_S1A_EUlS19_E_NS1_11comp_targetILNS1_3genE8ELNS1_11target_archE1030ELNS1_3gpuE2ELNS1_3repE0EEENS1_30default_config_static_selectorELNS0_4arch9wavefront6targetE0EEEvT1_ ; -- Begin function _ZN7rocprim17ROCPRIM_400000_NS6detail17trampoline_kernelINS0_14default_configENS1_25partition_config_selectorILNS1_17partition_subalgoE8ElNS0_10empty_typeEbEEZZNS1_14partition_implILS5_8ELb0ES3_jPlPS6_PKS6_NS0_5tupleIJS9_S6_EEENSD_IJSA_SA_EEENS0_18inequality_wrapperIZN2at6native12_GLOBAL__N_124unique_dim_cuda_templateIN3c104HalfEEESt5tupleIJNSH_6TensorESO_SO_EERKSO_lbbbEUlllE0_EEPmJS6_EEE10hipError_tPvRmT3_T4_T5_T6_T7_T9_mT8_P12ihipStream_tbDpT10_ENKUlT_T0_E_clISt17integral_constantIbLb1EES1D_IbLb0EEEEDaS19_S1A_EUlS19_E_NS1_11comp_targetILNS1_3genE8ELNS1_11target_archE1030ELNS1_3gpuE2ELNS1_3repE0EEENS1_30default_config_static_selectorELNS0_4arch9wavefront6targetE0EEEvT1_
	.p2align	8
	.type	_ZN7rocprim17ROCPRIM_400000_NS6detail17trampoline_kernelINS0_14default_configENS1_25partition_config_selectorILNS1_17partition_subalgoE8ElNS0_10empty_typeEbEEZZNS1_14partition_implILS5_8ELb0ES3_jPlPS6_PKS6_NS0_5tupleIJS9_S6_EEENSD_IJSA_SA_EEENS0_18inequality_wrapperIZN2at6native12_GLOBAL__N_124unique_dim_cuda_templateIN3c104HalfEEESt5tupleIJNSH_6TensorESO_SO_EERKSO_lbbbEUlllE0_EEPmJS6_EEE10hipError_tPvRmT3_T4_T5_T6_T7_T9_mT8_P12ihipStream_tbDpT10_ENKUlT_T0_E_clISt17integral_constantIbLb1EES1D_IbLb0EEEEDaS19_S1A_EUlS19_E_NS1_11comp_targetILNS1_3genE8ELNS1_11target_archE1030ELNS1_3gpuE2ELNS1_3repE0EEENS1_30default_config_static_selectorELNS0_4arch9wavefront6targetE0EEEvT1_,@function
_ZN7rocprim17ROCPRIM_400000_NS6detail17trampoline_kernelINS0_14default_configENS1_25partition_config_selectorILNS1_17partition_subalgoE8ElNS0_10empty_typeEbEEZZNS1_14partition_implILS5_8ELb0ES3_jPlPS6_PKS6_NS0_5tupleIJS9_S6_EEENSD_IJSA_SA_EEENS0_18inequality_wrapperIZN2at6native12_GLOBAL__N_124unique_dim_cuda_templateIN3c104HalfEEESt5tupleIJNSH_6TensorESO_SO_EERKSO_lbbbEUlllE0_EEPmJS6_EEE10hipError_tPvRmT3_T4_T5_T6_T7_T9_mT8_P12ihipStream_tbDpT10_ENKUlT_T0_E_clISt17integral_constantIbLb1EES1D_IbLb0EEEEDaS19_S1A_EUlS19_E_NS1_11comp_targetILNS1_3genE8ELNS1_11target_archE1030ELNS1_3gpuE2ELNS1_3repE0EEENS1_30default_config_static_selectorELNS0_4arch9wavefront6targetE0EEEvT1_: ; @_ZN7rocprim17ROCPRIM_400000_NS6detail17trampoline_kernelINS0_14default_configENS1_25partition_config_selectorILNS1_17partition_subalgoE8ElNS0_10empty_typeEbEEZZNS1_14partition_implILS5_8ELb0ES3_jPlPS6_PKS6_NS0_5tupleIJS9_S6_EEENSD_IJSA_SA_EEENS0_18inequality_wrapperIZN2at6native12_GLOBAL__N_124unique_dim_cuda_templateIN3c104HalfEEESt5tupleIJNSH_6TensorESO_SO_EERKSO_lbbbEUlllE0_EEPmJS6_EEE10hipError_tPvRmT3_T4_T5_T6_T7_T9_mT8_P12ihipStream_tbDpT10_ENKUlT_T0_E_clISt17integral_constantIbLb1EES1D_IbLb0EEEEDaS19_S1A_EUlS19_E_NS1_11comp_targetILNS1_3genE8ELNS1_11target_archE1030ELNS1_3gpuE2ELNS1_3repE0EEENS1_30default_config_static_selectorELNS0_4arch9wavefront6targetE0EEEvT1_
; %bb.0:
	.section	.rodata,"a",@progbits
	.p2align	6, 0x0
	.amdhsa_kernel _ZN7rocprim17ROCPRIM_400000_NS6detail17trampoline_kernelINS0_14default_configENS1_25partition_config_selectorILNS1_17partition_subalgoE8ElNS0_10empty_typeEbEEZZNS1_14partition_implILS5_8ELb0ES3_jPlPS6_PKS6_NS0_5tupleIJS9_S6_EEENSD_IJSA_SA_EEENS0_18inequality_wrapperIZN2at6native12_GLOBAL__N_124unique_dim_cuda_templateIN3c104HalfEEESt5tupleIJNSH_6TensorESO_SO_EERKSO_lbbbEUlllE0_EEPmJS6_EEE10hipError_tPvRmT3_T4_T5_T6_T7_T9_mT8_P12ihipStream_tbDpT10_ENKUlT_T0_E_clISt17integral_constantIbLb1EES1D_IbLb0EEEEDaS19_S1A_EUlS19_E_NS1_11comp_targetILNS1_3genE8ELNS1_11target_archE1030ELNS1_3gpuE2ELNS1_3repE0EEENS1_30default_config_static_selectorELNS0_4arch9wavefront6targetE0EEEvT1_
		.amdhsa_group_segment_fixed_size 0
		.amdhsa_private_segment_fixed_size 0
		.amdhsa_kernarg_size 120
		.amdhsa_user_sgpr_count 2
		.amdhsa_user_sgpr_dispatch_ptr 0
		.amdhsa_user_sgpr_queue_ptr 0
		.amdhsa_user_sgpr_kernarg_segment_ptr 1
		.amdhsa_user_sgpr_dispatch_id 0
		.amdhsa_user_sgpr_kernarg_preload_length 0
		.amdhsa_user_sgpr_kernarg_preload_offset 0
		.amdhsa_user_sgpr_private_segment_size 0
		.amdhsa_wavefront_size32 1
		.amdhsa_uses_dynamic_stack 0
		.amdhsa_enable_private_segment 0
		.amdhsa_system_sgpr_workgroup_id_x 1
		.amdhsa_system_sgpr_workgroup_id_y 0
		.amdhsa_system_sgpr_workgroup_id_z 0
		.amdhsa_system_sgpr_workgroup_info 0
		.amdhsa_system_vgpr_workitem_id 0
		.amdhsa_next_free_vgpr 1
		.amdhsa_next_free_sgpr 1
		.amdhsa_named_barrier_count 0
		.amdhsa_reserve_vcc 0
		.amdhsa_float_round_mode_32 0
		.amdhsa_float_round_mode_16_64 0
		.amdhsa_float_denorm_mode_32 3
		.amdhsa_float_denorm_mode_16_64 3
		.amdhsa_fp16_overflow 0
		.amdhsa_memory_ordered 1
		.amdhsa_forward_progress 1
		.amdhsa_inst_pref_size 0
		.amdhsa_round_robin_scheduling 0
		.amdhsa_exception_fp_ieee_invalid_op 0
		.amdhsa_exception_fp_denorm_src 0
		.amdhsa_exception_fp_ieee_div_zero 0
		.amdhsa_exception_fp_ieee_overflow 0
		.amdhsa_exception_fp_ieee_underflow 0
		.amdhsa_exception_fp_ieee_inexact 0
		.amdhsa_exception_int_div_zero 0
	.end_amdhsa_kernel
	.section	.text._ZN7rocprim17ROCPRIM_400000_NS6detail17trampoline_kernelINS0_14default_configENS1_25partition_config_selectorILNS1_17partition_subalgoE8ElNS0_10empty_typeEbEEZZNS1_14partition_implILS5_8ELb0ES3_jPlPS6_PKS6_NS0_5tupleIJS9_S6_EEENSD_IJSA_SA_EEENS0_18inequality_wrapperIZN2at6native12_GLOBAL__N_124unique_dim_cuda_templateIN3c104HalfEEESt5tupleIJNSH_6TensorESO_SO_EERKSO_lbbbEUlllE0_EEPmJS6_EEE10hipError_tPvRmT3_T4_T5_T6_T7_T9_mT8_P12ihipStream_tbDpT10_ENKUlT_T0_E_clISt17integral_constantIbLb1EES1D_IbLb0EEEEDaS19_S1A_EUlS19_E_NS1_11comp_targetILNS1_3genE8ELNS1_11target_archE1030ELNS1_3gpuE2ELNS1_3repE0EEENS1_30default_config_static_selectorELNS0_4arch9wavefront6targetE0EEEvT1_,"axG",@progbits,_ZN7rocprim17ROCPRIM_400000_NS6detail17trampoline_kernelINS0_14default_configENS1_25partition_config_selectorILNS1_17partition_subalgoE8ElNS0_10empty_typeEbEEZZNS1_14partition_implILS5_8ELb0ES3_jPlPS6_PKS6_NS0_5tupleIJS9_S6_EEENSD_IJSA_SA_EEENS0_18inequality_wrapperIZN2at6native12_GLOBAL__N_124unique_dim_cuda_templateIN3c104HalfEEESt5tupleIJNSH_6TensorESO_SO_EERKSO_lbbbEUlllE0_EEPmJS6_EEE10hipError_tPvRmT3_T4_T5_T6_T7_T9_mT8_P12ihipStream_tbDpT10_ENKUlT_T0_E_clISt17integral_constantIbLb1EES1D_IbLb0EEEEDaS19_S1A_EUlS19_E_NS1_11comp_targetILNS1_3genE8ELNS1_11target_archE1030ELNS1_3gpuE2ELNS1_3repE0EEENS1_30default_config_static_selectorELNS0_4arch9wavefront6targetE0EEEvT1_,comdat
.Lfunc_end1320:
	.size	_ZN7rocprim17ROCPRIM_400000_NS6detail17trampoline_kernelINS0_14default_configENS1_25partition_config_selectorILNS1_17partition_subalgoE8ElNS0_10empty_typeEbEEZZNS1_14partition_implILS5_8ELb0ES3_jPlPS6_PKS6_NS0_5tupleIJS9_S6_EEENSD_IJSA_SA_EEENS0_18inequality_wrapperIZN2at6native12_GLOBAL__N_124unique_dim_cuda_templateIN3c104HalfEEESt5tupleIJNSH_6TensorESO_SO_EERKSO_lbbbEUlllE0_EEPmJS6_EEE10hipError_tPvRmT3_T4_T5_T6_T7_T9_mT8_P12ihipStream_tbDpT10_ENKUlT_T0_E_clISt17integral_constantIbLb1EES1D_IbLb0EEEEDaS19_S1A_EUlS19_E_NS1_11comp_targetILNS1_3genE8ELNS1_11target_archE1030ELNS1_3gpuE2ELNS1_3repE0EEENS1_30default_config_static_selectorELNS0_4arch9wavefront6targetE0EEEvT1_, .Lfunc_end1320-_ZN7rocprim17ROCPRIM_400000_NS6detail17trampoline_kernelINS0_14default_configENS1_25partition_config_selectorILNS1_17partition_subalgoE8ElNS0_10empty_typeEbEEZZNS1_14partition_implILS5_8ELb0ES3_jPlPS6_PKS6_NS0_5tupleIJS9_S6_EEENSD_IJSA_SA_EEENS0_18inequality_wrapperIZN2at6native12_GLOBAL__N_124unique_dim_cuda_templateIN3c104HalfEEESt5tupleIJNSH_6TensorESO_SO_EERKSO_lbbbEUlllE0_EEPmJS6_EEE10hipError_tPvRmT3_T4_T5_T6_T7_T9_mT8_P12ihipStream_tbDpT10_ENKUlT_T0_E_clISt17integral_constantIbLb1EES1D_IbLb0EEEEDaS19_S1A_EUlS19_E_NS1_11comp_targetILNS1_3genE8ELNS1_11target_archE1030ELNS1_3gpuE2ELNS1_3repE0EEENS1_30default_config_static_selectorELNS0_4arch9wavefront6targetE0EEEvT1_
                                        ; -- End function
	.set _ZN7rocprim17ROCPRIM_400000_NS6detail17trampoline_kernelINS0_14default_configENS1_25partition_config_selectorILNS1_17partition_subalgoE8ElNS0_10empty_typeEbEEZZNS1_14partition_implILS5_8ELb0ES3_jPlPS6_PKS6_NS0_5tupleIJS9_S6_EEENSD_IJSA_SA_EEENS0_18inequality_wrapperIZN2at6native12_GLOBAL__N_124unique_dim_cuda_templateIN3c104HalfEEESt5tupleIJNSH_6TensorESO_SO_EERKSO_lbbbEUlllE0_EEPmJS6_EEE10hipError_tPvRmT3_T4_T5_T6_T7_T9_mT8_P12ihipStream_tbDpT10_ENKUlT_T0_E_clISt17integral_constantIbLb1EES1D_IbLb0EEEEDaS19_S1A_EUlS19_E_NS1_11comp_targetILNS1_3genE8ELNS1_11target_archE1030ELNS1_3gpuE2ELNS1_3repE0EEENS1_30default_config_static_selectorELNS0_4arch9wavefront6targetE0EEEvT1_.num_vgpr, 0
	.set _ZN7rocprim17ROCPRIM_400000_NS6detail17trampoline_kernelINS0_14default_configENS1_25partition_config_selectorILNS1_17partition_subalgoE8ElNS0_10empty_typeEbEEZZNS1_14partition_implILS5_8ELb0ES3_jPlPS6_PKS6_NS0_5tupleIJS9_S6_EEENSD_IJSA_SA_EEENS0_18inequality_wrapperIZN2at6native12_GLOBAL__N_124unique_dim_cuda_templateIN3c104HalfEEESt5tupleIJNSH_6TensorESO_SO_EERKSO_lbbbEUlllE0_EEPmJS6_EEE10hipError_tPvRmT3_T4_T5_T6_T7_T9_mT8_P12ihipStream_tbDpT10_ENKUlT_T0_E_clISt17integral_constantIbLb1EES1D_IbLb0EEEEDaS19_S1A_EUlS19_E_NS1_11comp_targetILNS1_3genE8ELNS1_11target_archE1030ELNS1_3gpuE2ELNS1_3repE0EEENS1_30default_config_static_selectorELNS0_4arch9wavefront6targetE0EEEvT1_.num_agpr, 0
	.set _ZN7rocprim17ROCPRIM_400000_NS6detail17trampoline_kernelINS0_14default_configENS1_25partition_config_selectorILNS1_17partition_subalgoE8ElNS0_10empty_typeEbEEZZNS1_14partition_implILS5_8ELb0ES3_jPlPS6_PKS6_NS0_5tupleIJS9_S6_EEENSD_IJSA_SA_EEENS0_18inequality_wrapperIZN2at6native12_GLOBAL__N_124unique_dim_cuda_templateIN3c104HalfEEESt5tupleIJNSH_6TensorESO_SO_EERKSO_lbbbEUlllE0_EEPmJS6_EEE10hipError_tPvRmT3_T4_T5_T6_T7_T9_mT8_P12ihipStream_tbDpT10_ENKUlT_T0_E_clISt17integral_constantIbLb1EES1D_IbLb0EEEEDaS19_S1A_EUlS19_E_NS1_11comp_targetILNS1_3genE8ELNS1_11target_archE1030ELNS1_3gpuE2ELNS1_3repE0EEENS1_30default_config_static_selectorELNS0_4arch9wavefront6targetE0EEEvT1_.numbered_sgpr, 0
	.set _ZN7rocprim17ROCPRIM_400000_NS6detail17trampoline_kernelINS0_14default_configENS1_25partition_config_selectorILNS1_17partition_subalgoE8ElNS0_10empty_typeEbEEZZNS1_14partition_implILS5_8ELb0ES3_jPlPS6_PKS6_NS0_5tupleIJS9_S6_EEENSD_IJSA_SA_EEENS0_18inequality_wrapperIZN2at6native12_GLOBAL__N_124unique_dim_cuda_templateIN3c104HalfEEESt5tupleIJNSH_6TensorESO_SO_EERKSO_lbbbEUlllE0_EEPmJS6_EEE10hipError_tPvRmT3_T4_T5_T6_T7_T9_mT8_P12ihipStream_tbDpT10_ENKUlT_T0_E_clISt17integral_constantIbLb1EES1D_IbLb0EEEEDaS19_S1A_EUlS19_E_NS1_11comp_targetILNS1_3genE8ELNS1_11target_archE1030ELNS1_3gpuE2ELNS1_3repE0EEENS1_30default_config_static_selectorELNS0_4arch9wavefront6targetE0EEEvT1_.num_named_barrier, 0
	.set _ZN7rocprim17ROCPRIM_400000_NS6detail17trampoline_kernelINS0_14default_configENS1_25partition_config_selectorILNS1_17partition_subalgoE8ElNS0_10empty_typeEbEEZZNS1_14partition_implILS5_8ELb0ES3_jPlPS6_PKS6_NS0_5tupleIJS9_S6_EEENSD_IJSA_SA_EEENS0_18inequality_wrapperIZN2at6native12_GLOBAL__N_124unique_dim_cuda_templateIN3c104HalfEEESt5tupleIJNSH_6TensorESO_SO_EERKSO_lbbbEUlllE0_EEPmJS6_EEE10hipError_tPvRmT3_T4_T5_T6_T7_T9_mT8_P12ihipStream_tbDpT10_ENKUlT_T0_E_clISt17integral_constantIbLb1EES1D_IbLb0EEEEDaS19_S1A_EUlS19_E_NS1_11comp_targetILNS1_3genE8ELNS1_11target_archE1030ELNS1_3gpuE2ELNS1_3repE0EEENS1_30default_config_static_selectorELNS0_4arch9wavefront6targetE0EEEvT1_.private_seg_size, 0
	.set _ZN7rocprim17ROCPRIM_400000_NS6detail17trampoline_kernelINS0_14default_configENS1_25partition_config_selectorILNS1_17partition_subalgoE8ElNS0_10empty_typeEbEEZZNS1_14partition_implILS5_8ELb0ES3_jPlPS6_PKS6_NS0_5tupleIJS9_S6_EEENSD_IJSA_SA_EEENS0_18inequality_wrapperIZN2at6native12_GLOBAL__N_124unique_dim_cuda_templateIN3c104HalfEEESt5tupleIJNSH_6TensorESO_SO_EERKSO_lbbbEUlllE0_EEPmJS6_EEE10hipError_tPvRmT3_T4_T5_T6_T7_T9_mT8_P12ihipStream_tbDpT10_ENKUlT_T0_E_clISt17integral_constantIbLb1EES1D_IbLb0EEEEDaS19_S1A_EUlS19_E_NS1_11comp_targetILNS1_3genE8ELNS1_11target_archE1030ELNS1_3gpuE2ELNS1_3repE0EEENS1_30default_config_static_selectorELNS0_4arch9wavefront6targetE0EEEvT1_.uses_vcc, 0
	.set _ZN7rocprim17ROCPRIM_400000_NS6detail17trampoline_kernelINS0_14default_configENS1_25partition_config_selectorILNS1_17partition_subalgoE8ElNS0_10empty_typeEbEEZZNS1_14partition_implILS5_8ELb0ES3_jPlPS6_PKS6_NS0_5tupleIJS9_S6_EEENSD_IJSA_SA_EEENS0_18inequality_wrapperIZN2at6native12_GLOBAL__N_124unique_dim_cuda_templateIN3c104HalfEEESt5tupleIJNSH_6TensorESO_SO_EERKSO_lbbbEUlllE0_EEPmJS6_EEE10hipError_tPvRmT3_T4_T5_T6_T7_T9_mT8_P12ihipStream_tbDpT10_ENKUlT_T0_E_clISt17integral_constantIbLb1EES1D_IbLb0EEEEDaS19_S1A_EUlS19_E_NS1_11comp_targetILNS1_3genE8ELNS1_11target_archE1030ELNS1_3gpuE2ELNS1_3repE0EEENS1_30default_config_static_selectorELNS0_4arch9wavefront6targetE0EEEvT1_.uses_flat_scratch, 0
	.set _ZN7rocprim17ROCPRIM_400000_NS6detail17trampoline_kernelINS0_14default_configENS1_25partition_config_selectorILNS1_17partition_subalgoE8ElNS0_10empty_typeEbEEZZNS1_14partition_implILS5_8ELb0ES3_jPlPS6_PKS6_NS0_5tupleIJS9_S6_EEENSD_IJSA_SA_EEENS0_18inequality_wrapperIZN2at6native12_GLOBAL__N_124unique_dim_cuda_templateIN3c104HalfEEESt5tupleIJNSH_6TensorESO_SO_EERKSO_lbbbEUlllE0_EEPmJS6_EEE10hipError_tPvRmT3_T4_T5_T6_T7_T9_mT8_P12ihipStream_tbDpT10_ENKUlT_T0_E_clISt17integral_constantIbLb1EES1D_IbLb0EEEEDaS19_S1A_EUlS19_E_NS1_11comp_targetILNS1_3genE8ELNS1_11target_archE1030ELNS1_3gpuE2ELNS1_3repE0EEENS1_30default_config_static_selectorELNS0_4arch9wavefront6targetE0EEEvT1_.has_dyn_sized_stack, 0
	.set _ZN7rocprim17ROCPRIM_400000_NS6detail17trampoline_kernelINS0_14default_configENS1_25partition_config_selectorILNS1_17partition_subalgoE8ElNS0_10empty_typeEbEEZZNS1_14partition_implILS5_8ELb0ES3_jPlPS6_PKS6_NS0_5tupleIJS9_S6_EEENSD_IJSA_SA_EEENS0_18inequality_wrapperIZN2at6native12_GLOBAL__N_124unique_dim_cuda_templateIN3c104HalfEEESt5tupleIJNSH_6TensorESO_SO_EERKSO_lbbbEUlllE0_EEPmJS6_EEE10hipError_tPvRmT3_T4_T5_T6_T7_T9_mT8_P12ihipStream_tbDpT10_ENKUlT_T0_E_clISt17integral_constantIbLb1EES1D_IbLb0EEEEDaS19_S1A_EUlS19_E_NS1_11comp_targetILNS1_3genE8ELNS1_11target_archE1030ELNS1_3gpuE2ELNS1_3repE0EEENS1_30default_config_static_selectorELNS0_4arch9wavefront6targetE0EEEvT1_.has_recursion, 0
	.set _ZN7rocprim17ROCPRIM_400000_NS6detail17trampoline_kernelINS0_14default_configENS1_25partition_config_selectorILNS1_17partition_subalgoE8ElNS0_10empty_typeEbEEZZNS1_14partition_implILS5_8ELb0ES3_jPlPS6_PKS6_NS0_5tupleIJS9_S6_EEENSD_IJSA_SA_EEENS0_18inequality_wrapperIZN2at6native12_GLOBAL__N_124unique_dim_cuda_templateIN3c104HalfEEESt5tupleIJNSH_6TensorESO_SO_EERKSO_lbbbEUlllE0_EEPmJS6_EEE10hipError_tPvRmT3_T4_T5_T6_T7_T9_mT8_P12ihipStream_tbDpT10_ENKUlT_T0_E_clISt17integral_constantIbLb1EES1D_IbLb0EEEEDaS19_S1A_EUlS19_E_NS1_11comp_targetILNS1_3genE8ELNS1_11target_archE1030ELNS1_3gpuE2ELNS1_3repE0EEENS1_30default_config_static_selectorELNS0_4arch9wavefront6targetE0EEEvT1_.has_indirect_call, 0
	.section	.AMDGPU.csdata,"",@progbits
; Kernel info:
; codeLenInByte = 0
; TotalNumSgprs: 0
; NumVgprs: 0
; ScratchSize: 0
; MemoryBound: 0
; FloatMode: 240
; IeeeMode: 1
; LDSByteSize: 0 bytes/workgroup (compile time only)
; SGPRBlocks: 0
; VGPRBlocks: 0
; NumSGPRsForWavesPerEU: 1
; NumVGPRsForWavesPerEU: 1
; NamedBarCnt: 0
; Occupancy: 16
; WaveLimiterHint : 0
; COMPUTE_PGM_RSRC2:SCRATCH_EN: 0
; COMPUTE_PGM_RSRC2:USER_SGPR: 2
; COMPUTE_PGM_RSRC2:TRAP_HANDLER: 0
; COMPUTE_PGM_RSRC2:TGID_X_EN: 1
; COMPUTE_PGM_RSRC2:TGID_Y_EN: 0
; COMPUTE_PGM_RSRC2:TGID_Z_EN: 0
; COMPUTE_PGM_RSRC2:TIDIG_COMP_CNT: 0
	.section	.text._ZN7rocprim17ROCPRIM_400000_NS6detail17trampoline_kernelINS0_14default_configENS1_25partition_config_selectorILNS1_17partition_subalgoE8ElNS0_10empty_typeEbEEZZNS1_14partition_implILS5_8ELb0ES3_jPlPS6_PKS6_NS0_5tupleIJS9_S6_EEENSD_IJSA_SA_EEENS0_18inequality_wrapperIZN2at6native12_GLOBAL__N_124unique_dim_cuda_templateIN3c104HalfEEESt5tupleIJNSH_6TensorESO_SO_EERKSO_lbbbEUlllE0_EEPmJS6_EEE10hipError_tPvRmT3_T4_T5_T6_T7_T9_mT8_P12ihipStream_tbDpT10_ENKUlT_T0_E_clISt17integral_constantIbLb0EES1D_IbLb1EEEEDaS19_S1A_EUlS19_E_NS1_11comp_targetILNS1_3genE0ELNS1_11target_archE4294967295ELNS1_3gpuE0ELNS1_3repE0EEENS1_30default_config_static_selectorELNS0_4arch9wavefront6targetE0EEEvT1_,"axG",@progbits,_ZN7rocprim17ROCPRIM_400000_NS6detail17trampoline_kernelINS0_14default_configENS1_25partition_config_selectorILNS1_17partition_subalgoE8ElNS0_10empty_typeEbEEZZNS1_14partition_implILS5_8ELb0ES3_jPlPS6_PKS6_NS0_5tupleIJS9_S6_EEENSD_IJSA_SA_EEENS0_18inequality_wrapperIZN2at6native12_GLOBAL__N_124unique_dim_cuda_templateIN3c104HalfEEESt5tupleIJNSH_6TensorESO_SO_EERKSO_lbbbEUlllE0_EEPmJS6_EEE10hipError_tPvRmT3_T4_T5_T6_T7_T9_mT8_P12ihipStream_tbDpT10_ENKUlT_T0_E_clISt17integral_constantIbLb0EES1D_IbLb1EEEEDaS19_S1A_EUlS19_E_NS1_11comp_targetILNS1_3genE0ELNS1_11target_archE4294967295ELNS1_3gpuE0ELNS1_3repE0EEENS1_30default_config_static_selectorELNS0_4arch9wavefront6targetE0EEEvT1_,comdat
	.globl	_ZN7rocprim17ROCPRIM_400000_NS6detail17trampoline_kernelINS0_14default_configENS1_25partition_config_selectorILNS1_17partition_subalgoE8ElNS0_10empty_typeEbEEZZNS1_14partition_implILS5_8ELb0ES3_jPlPS6_PKS6_NS0_5tupleIJS9_S6_EEENSD_IJSA_SA_EEENS0_18inequality_wrapperIZN2at6native12_GLOBAL__N_124unique_dim_cuda_templateIN3c104HalfEEESt5tupleIJNSH_6TensorESO_SO_EERKSO_lbbbEUlllE0_EEPmJS6_EEE10hipError_tPvRmT3_T4_T5_T6_T7_T9_mT8_P12ihipStream_tbDpT10_ENKUlT_T0_E_clISt17integral_constantIbLb0EES1D_IbLb1EEEEDaS19_S1A_EUlS19_E_NS1_11comp_targetILNS1_3genE0ELNS1_11target_archE4294967295ELNS1_3gpuE0ELNS1_3repE0EEENS1_30default_config_static_selectorELNS0_4arch9wavefront6targetE0EEEvT1_ ; -- Begin function _ZN7rocprim17ROCPRIM_400000_NS6detail17trampoline_kernelINS0_14default_configENS1_25partition_config_selectorILNS1_17partition_subalgoE8ElNS0_10empty_typeEbEEZZNS1_14partition_implILS5_8ELb0ES3_jPlPS6_PKS6_NS0_5tupleIJS9_S6_EEENSD_IJSA_SA_EEENS0_18inequality_wrapperIZN2at6native12_GLOBAL__N_124unique_dim_cuda_templateIN3c104HalfEEESt5tupleIJNSH_6TensorESO_SO_EERKSO_lbbbEUlllE0_EEPmJS6_EEE10hipError_tPvRmT3_T4_T5_T6_T7_T9_mT8_P12ihipStream_tbDpT10_ENKUlT_T0_E_clISt17integral_constantIbLb0EES1D_IbLb1EEEEDaS19_S1A_EUlS19_E_NS1_11comp_targetILNS1_3genE0ELNS1_11target_archE4294967295ELNS1_3gpuE0ELNS1_3repE0EEENS1_30default_config_static_selectorELNS0_4arch9wavefront6targetE0EEEvT1_
	.p2align	8
	.type	_ZN7rocprim17ROCPRIM_400000_NS6detail17trampoline_kernelINS0_14default_configENS1_25partition_config_selectorILNS1_17partition_subalgoE8ElNS0_10empty_typeEbEEZZNS1_14partition_implILS5_8ELb0ES3_jPlPS6_PKS6_NS0_5tupleIJS9_S6_EEENSD_IJSA_SA_EEENS0_18inequality_wrapperIZN2at6native12_GLOBAL__N_124unique_dim_cuda_templateIN3c104HalfEEESt5tupleIJNSH_6TensorESO_SO_EERKSO_lbbbEUlllE0_EEPmJS6_EEE10hipError_tPvRmT3_T4_T5_T6_T7_T9_mT8_P12ihipStream_tbDpT10_ENKUlT_T0_E_clISt17integral_constantIbLb0EES1D_IbLb1EEEEDaS19_S1A_EUlS19_E_NS1_11comp_targetILNS1_3genE0ELNS1_11target_archE4294967295ELNS1_3gpuE0ELNS1_3repE0EEENS1_30default_config_static_selectorELNS0_4arch9wavefront6targetE0EEEvT1_,@function
_ZN7rocprim17ROCPRIM_400000_NS6detail17trampoline_kernelINS0_14default_configENS1_25partition_config_selectorILNS1_17partition_subalgoE8ElNS0_10empty_typeEbEEZZNS1_14partition_implILS5_8ELb0ES3_jPlPS6_PKS6_NS0_5tupleIJS9_S6_EEENSD_IJSA_SA_EEENS0_18inequality_wrapperIZN2at6native12_GLOBAL__N_124unique_dim_cuda_templateIN3c104HalfEEESt5tupleIJNSH_6TensorESO_SO_EERKSO_lbbbEUlllE0_EEPmJS6_EEE10hipError_tPvRmT3_T4_T5_T6_T7_T9_mT8_P12ihipStream_tbDpT10_ENKUlT_T0_E_clISt17integral_constantIbLb0EES1D_IbLb1EEEEDaS19_S1A_EUlS19_E_NS1_11comp_targetILNS1_3genE0ELNS1_11target_archE4294967295ELNS1_3gpuE0ELNS1_3repE0EEENS1_30default_config_static_selectorELNS0_4arch9wavefront6targetE0EEEvT1_: ; @_ZN7rocprim17ROCPRIM_400000_NS6detail17trampoline_kernelINS0_14default_configENS1_25partition_config_selectorILNS1_17partition_subalgoE8ElNS0_10empty_typeEbEEZZNS1_14partition_implILS5_8ELb0ES3_jPlPS6_PKS6_NS0_5tupleIJS9_S6_EEENSD_IJSA_SA_EEENS0_18inequality_wrapperIZN2at6native12_GLOBAL__N_124unique_dim_cuda_templateIN3c104HalfEEESt5tupleIJNSH_6TensorESO_SO_EERKSO_lbbbEUlllE0_EEPmJS6_EEE10hipError_tPvRmT3_T4_T5_T6_T7_T9_mT8_P12ihipStream_tbDpT10_ENKUlT_T0_E_clISt17integral_constantIbLb0EES1D_IbLb1EEEEDaS19_S1A_EUlS19_E_NS1_11comp_targetILNS1_3genE0ELNS1_11target_archE4294967295ELNS1_3gpuE0ELNS1_3repE0EEENS1_30default_config_static_selectorELNS0_4arch9wavefront6targetE0EEEvT1_
; %bb.0:
	s_clause 0x1
	s_load_b256 s[12:19], s[0:1], 0x40
	s_load_b128 s[8:11], s[0:1], 0x60
	v_cmp_ne_u32_e64 s3, 0, v0
	v_cmp_eq_u32_e64 s2, 0, v0
	s_and_saveexec_b32 s4, s2
	s_cbranch_execz .LBB1321_4
; %bb.1:
	s_mov_b32 s6, exec_lo
	s_mov_b32 s5, exec_lo
	v_mbcnt_lo_u32_b32 v1, s6, 0
                                        ; implicit-def: $vgpr2
	s_delay_alu instid0(VALU_DEP_1)
	v_cmpx_eq_u32_e32 0, v1
	s_cbranch_execz .LBB1321_3
; %bb.2:
	s_load_b64 s[20:21], s[0:1], 0x78
	s_bcnt1_i32_b32 s6, s6
	s_delay_alu instid0(SALU_CYCLE_1)
	v_dual_mov_b32 v2, 0 :: v_dual_mov_b32 v3, s6
	s_wait_xcnt 0x0
	s_wait_kmcnt 0x0
	global_atomic_add_u32 v2, v2, v3, s[20:21] th:TH_ATOMIC_RETURN scope:SCOPE_DEV
.LBB1321_3:
	s_wait_xcnt 0x0
	s_or_b32 exec_lo, exec_lo, s5
	s_wait_loadcnt 0x0
	v_readfirstlane_b32 s5, v2
	s_delay_alu instid0(VALU_DEP_1)
	v_dual_mov_b32 v2, 0 :: v_dual_add_nc_u32 v1, s5, v1
	ds_store_b32 v2, v1
.LBB1321_4:
	s_or_b32 exec_lo, exec_lo, s4
	v_dual_mov_b32 v3, 0 :: v_dual_lshlrev_b32 v18, 3, v0
	s_clause 0x2
	s_load_b128 s[4:7], s[0:1], 0x8
	s_load_b64 s[20:21], s[0:1], 0x28
	s_load_b32 s22, s[0:1], 0x70
	s_wait_dscnt 0x0
	s_barrier_signal -1
	s_barrier_wait -1
	ds_load_b32 v1, v3
	s_wait_dscnt 0x0
	s_barrier_signal -1
	s_barrier_wait -1
	s_wait_kmcnt 0x0
	global_load_b64 v[4:5], v3, s[14:15]
	s_wait_xcnt 0x0
	s_mov_b32 s15, 0
	s_lshl_b64 s[0:1], s[6:7], 3
	s_mul_i32 s14, s22, 0xe00
	s_add_co_i32 s26, s22, -1
	s_add_nc_u64 s[24:25], s[6:7], s[14:15]
	s_add_co_i32 s14, s14, s6
	v_cmp_le_u64_e64 s15, s[16:17], s[24:25]
	v_mul_lo_u32 v2, 0xe00, v1
	v_readfirstlane_b32 s22, v1
	s_sub_co_i32 s23, s16, s14
	s_add_nc_u64 s[0:1], s[4:5], s[0:1]
	s_cmp_eq_u32 s22, s26
	s_cselect_b32 s16, -1, 0
	s_delay_alu instid0(SALU_CYCLE_1) | instskip(SKIP_2) | instid1(SALU_CYCLE_1)
	s_and_b32 s24, s15, s16
	v_lshlrev_b64_e32 v[2:3], 3, v[2:3]
	s_xor_b32 s17, s24, -1
	s_and_b32 vcc_lo, exec_lo, s17
	s_delay_alu instid0(VALU_DEP_1)
	v_add_nc_u64_e32 v[20:21], s[0:1], v[2:3]
	s_mov_b32 s0, -1
	s_wait_loadcnt 0x0
	v_readfirstlane_b32 s14, v4
	v_readfirstlane_b32 s15, v5
	s_cbranch_vccz .LBB1321_6
; %bb.5:
	v_readfirstlane_b32 s0, v20
	v_readfirstlane_b32 s1, v21
	v_lshlrev_b32_e32 v1, 3, v0
	s_clause 0x6
	global_load_b64 v[2:3], v0, s[0:1] scale_offset
	global_load_b64 v[4:5], v0, s[0:1] offset:4096 scale_offset
	global_load_b64 v[6:7], v0, s[0:1] offset:8192 scale_offset
	;; [unrolled: 1-line block ×6, first 2 shown]
	s_wait_xcnt 0x0
	s_mov_b32 s0, 0
	s_wait_loadcnt 0x5
	ds_store_2addr_stride64_b64 v1, v[2:3], v[4:5] offset1:8
	s_wait_loadcnt 0x3
	ds_store_2addr_stride64_b64 v1, v[6:7], v[8:9] offset0:16 offset1:24
	s_wait_loadcnt 0x1
	ds_store_2addr_stride64_b64 v1, v[10:11], v[12:13] offset0:32 offset1:40
	s_wait_loadcnt 0x0
	ds_store_b64 v1, v[14:15] offset:24576
	s_wait_dscnt 0x0
	s_barrier_signal -1
	s_barrier_wait -1
.LBB1321_6:
	s_and_not1_b32 vcc_lo, exec_lo, s0
	s_addk_co_i32 s23, 0xe00
	s_cbranch_vccnz .LBB1321_22
; %bb.7:
	v_mov_b32_e32 v2, 0
	s_mov_b32 s0, exec_lo
	s_delay_alu instid0(VALU_DEP_1)
	v_dual_mov_b32 v3, v2 :: v_dual_mov_b32 v4, v2
	v_dual_mov_b32 v5, v2 :: v_dual_mov_b32 v6, v2
	;; [unrolled: 1-line block ×6, first 2 shown]
	v_mov_b32_e32 v15, v2
	v_cmpx_gt_u32_e64 s23, v0
	s_cbranch_execz .LBB1321_9
; %bb.8:
	v_readfirstlane_b32 s4, v20
	v_readfirstlane_b32 s5, v21
	v_dual_mov_b32 v6, v2 :: v_dual_mov_b32 v7, v2
	v_dual_mov_b32 v8, v2 :: v_dual_mov_b32 v9, v2
	global_load_b64 v[4:5], v0, s[4:5] scale_offset
	v_dual_mov_b32 v10, v2 :: v_dual_mov_b32 v11, v2
	v_dual_mov_b32 v12, v2 :: v_dual_mov_b32 v13, v2
	;; [unrolled: 1-line block ×4, first 2 shown]
	s_wait_loadcnt 0x0
	v_mov_b64_e32 v[2:3], v[4:5]
	v_mov_b64_e32 v[4:5], v[6:7]
	;; [unrolled: 1-line block ×8, first 2 shown]
.LBB1321_9:
	s_or_b32 exec_lo, exec_lo, s0
	v_or_b32_e32 v1, 0x200, v0
	s_mov_b32 s0, exec_lo
	s_delay_alu instid0(VALU_DEP_1)
	v_cmpx_gt_u32_e64 s23, v1
	s_cbranch_execz .LBB1321_11
; %bb.10:
	v_readfirstlane_b32 s4, v20
	v_readfirstlane_b32 s5, v21
	global_load_b64 v[4:5], v0, s[4:5] offset:4096 scale_offset
.LBB1321_11:
	s_wait_xcnt 0x0
	s_or_b32 exec_lo, exec_lo, s0
	v_or_b32_e32 v1, 0x400, v0
	s_mov_b32 s0, exec_lo
	s_delay_alu instid0(VALU_DEP_1)
	v_cmpx_gt_u32_e64 s23, v1
	s_cbranch_execz .LBB1321_13
; %bb.12:
	v_readfirstlane_b32 s4, v20
	v_readfirstlane_b32 s5, v21
	global_load_b64 v[6:7], v0, s[4:5] offset:8192 scale_offset
.LBB1321_13:
	s_wait_xcnt 0x0
	;; [unrolled: 12-line block ×6, first 2 shown]
	s_or_b32 exec_lo, exec_lo, s0
	v_lshlrev_b32_e32 v1, 3, v0
	s_wait_loadcnt 0x0
	ds_store_2addr_stride64_b64 v1, v[2:3], v[4:5] offset1:8
	ds_store_2addr_stride64_b64 v1, v[6:7], v[8:9] offset0:16 offset1:24
	ds_store_2addr_stride64_b64 v1, v[10:11], v[12:13] offset0:32 offset1:40
	ds_store_b64 v1, v[14:15] offset:24576
	s_wait_dscnt 0x0
	s_barrier_signal -1
	s_barrier_wait -1
.LBB1321_22:
	v_mul_u32_u24_e32 v1, 7, v0
	s_cmp_lg_u32 s22, 0
	s_cselect_b32 s25, -1, 0
	s_delay_alu instid0(VALU_DEP_1)
	v_lshlrev_b32_e32 v26, 3, v1
	s_cmp_lg_u64 s[6:7], 0
	v_cmp_gt_i64_e64 s7, s[18:19], 0
	s_cselect_b32 s0, -1, 0
	s_mov_b32 s6, 0
	ds_load_2addr_b64 v[10:13], v26 offset1:1
	ds_load_2addr_b64 v[6:9], v26 offset0:2 offset1:3
	ds_load_2addr_b64 v[2:5], v26 offset0:4 offset1:5
	ds_load_b64 v[14:15], v26 offset:48
	s_or_b32 s0, s0, s25
	s_wait_dscnt 0x0
	s_and_b32 vcc_lo, exec_lo, s0
	s_barrier_signal -1
	s_barrier_wait -1
	s_cbranch_vccz .LBB1321_38
; %bb.23:
	global_load_b64 v[20:21], v[20:21], off offset:-8
	v_cndmask_b32_e64 v27, 0, 1, s7
	v_lshlrev_b32_e32 v28, 3, v0
	s_and_b32 vcc_lo, exec_lo, s17
	s_delay_alu instid0(VALU_DEP_2)
	v_cmp_ne_u32_e64 s0, 1, v27
	ds_store_b64 v28, v[14:15]
	s_cbranch_vccz .LBB1321_40
; %bb.24:
	s_and_b32 vcc_lo, exec_lo, s0
	s_cbranch_vccnz .LBB1321_41
; %bb.25:
	v_mul_u64_e32 v[16:17], s[18:19], v[4:5]
	v_mul_u64_e32 v[22:23], s[18:19], v[14:15]
	s_add_nc_u64 s[4:5], s[18:19], -1
	s_mov_b32 s26, 0
	s_mov_b64 s[0:1], s[4:5]
                                        ; implicit-def: $sgpr6
	s_delay_alu instid0(VALU_DEP_2) | instskip(NEXT) | instid1(VALU_DEP_2)
	v_lshl_add_u64 v[16:17], v[16:17], 1, s[8:9]
	v_lshl_add_u64 v[22:23], v[22:23], 1, s[8:9]
	s_delay_alu instid0(VALU_DEP_2)
	v_mov_b64_e32 v[24:25], v[16:17]
.LBB1321_26:                            ; =>This Inner Loop Header: Depth=1
	global_load_u16 v19, v[24:25], off
	global_load_u16 v29, v[22:23], off
	s_cmp_eq_u64 s[0:1], 0
	s_add_nc_u64 s[28:29], s[0:1], -1
	s_cselect_b32 s1, -1, 0
	s_wait_xcnt 0x1
	v_add_nc_u64_e32 v[24:25], 2, v[24:25]
	s_wait_xcnt 0x0
	v_add_nc_u64_e32 v[22:23], 2, v[22:23]
	s_wait_loadcnt 0x0
	v_cmp_neq_f16_e32 vcc_lo, v19, v29
	v_cmp_eq_f16_e64 s0, v19, v29
	s_or_b32 s1, vcc_lo, s1
	s_delay_alu instid0(SALU_CYCLE_1) | instskip(NEXT) | instid1(SALU_CYCLE_1)
	s_and_b32 s1, exec_lo, s1
	s_or_b32 s26, s1, s26
	s_and_not1_b32 s6, s6, exec_lo
	s_and_b32 s27, s0, exec_lo
	s_mov_b64 s[0:1], s[28:29]
	s_or_b32 s6, s6, s27
	s_and_not1_b32 exec_lo, exec_lo, s26
	s_cbranch_execnz .LBB1321_26
; %bb.27:
	s_or_b32 exec_lo, exec_lo, s26
	v_mul_u64_e32 v[22:23], s[18:19], v[2:3]
	s_mov_b32 s27, 0
	s_mov_b64 s[0:1], s[4:5]
                                        ; implicit-def: $sgpr26
	s_delay_alu instid0(VALU_DEP_1) | instskip(NEXT) | instid1(VALU_DEP_1)
	v_lshl_add_u64 v[22:23], v[22:23], 1, s[8:9]
	v_mov_b64_e32 v[24:25], v[22:23]
.LBB1321_28:                            ; =>This Inner Loop Header: Depth=1
	global_load_u16 v19, v[24:25], off
	global_load_u16 v29, v[16:17], off
	s_cmp_eq_u64 s[0:1], 0
	s_add_nc_u64 s[28:29], s[0:1], -1
	s_cselect_b32 s1, -1, 0
	s_wait_xcnt 0x1
	v_add_nc_u64_e32 v[24:25], 2, v[24:25]
	s_wait_xcnt 0x0
	v_add_nc_u64_e32 v[16:17], 2, v[16:17]
	s_wait_loadcnt 0x0
	v_cmp_neq_f16_e32 vcc_lo, v19, v29
	v_cmp_eq_f16_e64 s0, v19, v29
	s_or_b32 s1, vcc_lo, s1
	s_delay_alu instid0(SALU_CYCLE_1) | instskip(NEXT) | instid1(SALU_CYCLE_1)
	s_and_b32 s1, exec_lo, s1
	s_or_b32 s27, s1, s27
	s_and_not1_b32 s26, s26, exec_lo
	s_and_b32 s30, s0, exec_lo
	s_mov_b64 s[0:1], s[28:29]
	s_or_b32 s26, s26, s30
	s_and_not1_b32 exec_lo, exec_lo, s27
	s_cbranch_execnz .LBB1321_28
; %bb.29:
	s_or_b32 exec_lo, exec_lo, s27
	v_mul_u64_e32 v[16:17], s[18:19], v[8:9]
	s_mov_b32 s28, 0
	s_mov_b64 s[0:1], s[4:5]
                                        ; implicit-def: $sgpr27
	s_delay_alu instid0(VALU_DEP_1) | instskip(NEXT) | instid1(VALU_DEP_1)
	v_lshl_add_u64 v[16:17], v[16:17], 1, s[8:9]
	v_mov_b64_e32 v[24:25], v[16:17]
.LBB1321_30:                            ; =>This Inner Loop Header: Depth=1
	global_load_u16 v19, v[24:25], off
	global_load_u16 v29, v[22:23], off
	s_cmp_eq_u64 s[0:1], 0
	s_add_nc_u64 s[30:31], s[0:1], -1
	s_cselect_b32 s1, -1, 0
	s_wait_xcnt 0x1
	v_add_nc_u64_e32 v[24:25], 2, v[24:25]
	s_wait_xcnt 0x0
	v_add_nc_u64_e32 v[22:23], 2, v[22:23]
	s_wait_loadcnt 0x0
	v_cmp_neq_f16_e32 vcc_lo, v19, v29
	v_cmp_eq_f16_e64 s0, v19, v29
	s_or_b32 s1, vcc_lo, s1
	s_delay_alu instid0(SALU_CYCLE_1) | instskip(NEXT) | instid1(SALU_CYCLE_1)
	s_and_b32 s1, exec_lo, s1
	s_or_b32 s28, s1, s28
	s_and_not1_b32 s27, s27, exec_lo
	s_and_b32 s29, s0, exec_lo
	s_mov_b64 s[0:1], s[30:31]
	s_or_b32 s27, s27, s29
	s_and_not1_b32 exec_lo, exec_lo, s28
	s_cbranch_execnz .LBB1321_30
; %bb.31:
	s_or_b32 exec_lo, exec_lo, s28
	v_mul_u64_e32 v[22:23], s[18:19], v[6:7]
	s_mov_b32 s29, 0
	s_mov_b64 s[0:1], s[4:5]
                                        ; implicit-def: $sgpr28
	s_delay_alu instid0(VALU_DEP_1) | instskip(NEXT) | instid1(VALU_DEP_1)
	v_lshl_add_u64 v[22:23], v[22:23], 1, s[8:9]
	v_mov_b64_e32 v[24:25], v[22:23]
.LBB1321_32:                            ; =>This Inner Loop Header: Depth=1
	global_load_u16 v19, v[24:25], off
	global_load_u16 v29, v[16:17], off
	s_cmp_eq_u64 s[0:1], 0
	s_add_nc_u64 s[30:31], s[0:1], -1
	s_cselect_b32 s1, -1, 0
	s_wait_xcnt 0x1
	v_add_nc_u64_e32 v[24:25], 2, v[24:25]
	s_wait_xcnt 0x0
	v_add_nc_u64_e32 v[16:17], 2, v[16:17]
	s_wait_loadcnt 0x0
	v_cmp_neq_f16_e32 vcc_lo, v19, v29
	v_cmp_eq_f16_e64 s0, v19, v29
	s_or_b32 s1, vcc_lo, s1
	s_delay_alu instid0(SALU_CYCLE_1) | instskip(NEXT) | instid1(SALU_CYCLE_1)
	s_and_b32 s1, exec_lo, s1
	s_or_b32 s29, s1, s29
	s_and_not1_b32 s28, s28, exec_lo
	s_and_b32 s33, s0, exec_lo
	s_mov_b64 s[0:1], s[30:31]
	s_or_b32 s28, s28, s33
	s_and_not1_b32 exec_lo, exec_lo, s29
	s_cbranch_execnz .LBB1321_32
; %bb.33:
	s_or_b32 exec_lo, exec_lo, s29
	v_mul_u64_e32 v[16:17], s[18:19], v[12:13]
	s_mov_b32 s30, 0
	s_mov_b64 s[0:1], s[4:5]
                                        ; implicit-def: $sgpr29
	s_delay_alu instid0(VALU_DEP_1) | instskip(NEXT) | instid1(VALU_DEP_1)
	v_lshl_add_u64 v[16:17], v[16:17], 1, s[8:9]
	v_mov_b64_e32 v[24:25], v[16:17]
.LBB1321_34:                            ; =>This Inner Loop Header: Depth=1
	global_load_u16 v19, v[24:25], off
	global_load_u16 v29, v[22:23], off
	s_cmp_eq_u64 s[0:1], 0
	s_add_nc_u64 s[34:35], s[0:1], -1
	s_cselect_b32 s1, -1, 0
	s_wait_xcnt 0x1
	v_add_nc_u64_e32 v[24:25], 2, v[24:25]
	s_wait_xcnt 0x0
	v_add_nc_u64_e32 v[22:23], 2, v[22:23]
	s_wait_loadcnt 0x0
	v_cmp_neq_f16_e32 vcc_lo, v19, v29
	v_cmp_eq_f16_e64 s0, v19, v29
	s_or_b32 s1, vcc_lo, s1
	s_delay_alu instid0(SALU_CYCLE_1) | instskip(NEXT) | instid1(SALU_CYCLE_1)
	s_and_b32 s1, exec_lo, s1
	s_or_b32 s30, s1, s30
	s_and_not1_b32 s29, s29, exec_lo
	s_and_b32 s31, s0, exec_lo
	s_mov_b64 s[0:1], s[34:35]
	s_or_b32 s29, s29, s31
	s_and_not1_b32 exec_lo, exec_lo, s30
	s_cbranch_execnz .LBB1321_34
; %bb.35:
	s_or_b32 exec_lo, exec_lo, s30
	v_mul_u64_e32 v[22:23], s[18:19], v[10:11]
	s_mov_b32 s30, 0
                                        ; implicit-def: $sgpr1
	s_delay_alu instid0(VALU_DEP_1)
	v_lshl_add_u64 v[22:23], v[22:23], 1, s[8:9]
.LBB1321_36:                            ; =>This Inner Loop Header: Depth=1
	global_load_u16 v19, v[22:23], off
	global_load_u16 v24, v[16:17], off
	s_cmp_eq_u64 s[4:5], 0
	s_add_nc_u64 s[34:35], s[4:5], -1
	s_cselect_b32 s4, -1, 0
	s_wait_xcnt 0x1
	v_add_nc_u64_e32 v[22:23], 2, v[22:23]
	s_wait_xcnt 0x0
	v_add_nc_u64_e32 v[16:17], 2, v[16:17]
	s_wait_loadcnt 0x0
	v_cmp_neq_f16_e32 vcc_lo, v19, v24
	v_cmp_eq_f16_e64 s0, v19, v24
	s_or_b32 s4, vcc_lo, s4
	s_delay_alu instid0(SALU_CYCLE_1) | instskip(NEXT) | instid1(SALU_CYCLE_1)
	s_and_b32 s4, exec_lo, s4
	s_or_b32 s30, s4, s30
	s_and_not1_b32 s1, s1, exec_lo
	s_and_b32 s0, s0, exec_lo
	s_mov_b64 s[4:5], s[34:35]
	s_or_b32 s1, s1, s0
	s_and_not1_b32 exec_lo, exec_lo, s30
	s_cbranch_execnz .LBB1321_36
; %bb.37:
	s_or_b32 exec_lo, exec_lo, s30
	s_xor_b32 s0, s28, -1
	s_delay_alu instid0(SALU_CYCLE_1) | instskip(SKIP_1) | instid1(SALU_CYCLE_1)
	v_cndmask_b32_e64 v16, 0, 1, s0
	s_xor_b32 s0, s29, -1
	v_cndmask_b32_e64 v17, 0, 1, s0
	s_xor_b32 s0, s26, -1
	s_delay_alu instid0(VALU_DEP_2) | instskip(SKIP_2) | instid1(SALU_CYCLE_1)
	v_lshlrev_b16 v16, 8, v16
	v_cndmask_b32_e64 v30, 0, 1, s0
	s_xor_b32 s0, s6, -1
	v_cndmask_b32_e64 v19, 0, 1, s0
	s_delay_alu instid0(VALU_DEP_3) | instskip(SKIP_1) | instid1(VALU_DEP_1)
	v_lshrrev_b32_e32 v16, 8, v16
	s_xor_b32 s0, s27, -1
	v_and_b32_e32 v16, 1, v16
	s_delay_alu instid0(VALU_DEP_1) | instskip(NEXT) | instid1(VALU_DEP_1)
	v_lshlrev_b16 v16, 8, v16
	v_or_b32_e32 v16, v17, v16
	v_cndmask_b32_e64 v17, 0, 1, s0
	s_xor_b32 s0, s1, -1
	s_delay_alu instid0(VALU_DEP_2)
	v_lshlrev_b32_e32 v16, 16, v16
	s_branch .LBB1321_42
.LBB1321_38:
                                        ; implicit-def: $sgpr0
                                        ; implicit-def: $vgpr19
                                        ; implicit-def: $vgpr30
                                        ; implicit-def: $vgpr17
                                        ; implicit-def: $vgpr22
	s_branch .LBB1321_95
.LBB1321_39:
                                        ; implicit-def: $vgpr32
                                        ; implicit-def: $vgpr31
                                        ; implicit-def: $vgpr20
	s_branch .LBB1321_164
.LBB1321_40:
                                        ; implicit-def: $sgpr0
                                        ; implicit-def: $vgpr19
                                        ; implicit-def: $vgpr30
                                        ; implicit-def: $vgpr17
                                        ; implicit-def: $vgpr22
	s_cbranch_execnz .LBB1321_49
	s_branch .LBB1321_94
.LBB1321_41:
	v_dual_mov_b32 v16, 0 :: v_dual_mov_b32 v19, 0
	v_dual_mov_b32 v30, 0 :: v_dual_mov_b32 v17, 0
	s_mov_b32 s0, 0
.LBB1321_42:
	s_wait_loadcnt 0x0
	v_mov_b64_e32 v[22:23], v[20:21]
	s_wait_dscnt 0x0
	s_barrier_signal -1
	s_barrier_wait -1
	s_and_saveexec_b32 s1, s3
; %bb.43:
	v_add_nc_u32_e32 v22, -8, v28
	ds_load_b64 v[22:23], v22
; %bb.44:
	s_or_b32 exec_lo, exec_lo, s1
	v_cndmask_b32_e64 v24, 0, 1, s0
	v_lshrrev_b32_e32 v25, 16, v16
	s_mov_b32 s4, 0
	s_and_not1_b32 vcc_lo, exec_lo, s7
	s_mov_b32 s0, 0
	v_lshlrev_b16 v24, 8, v24
	s_delay_alu instid0(VALU_DEP_1) | instskip(SKIP_1) | instid1(VALU_DEP_2)
	v_bitop3_b16 v24, v16, v24, 0xff bitop3:0xec
	v_perm_b32 v16, v25, v16, 0xc0c0304
	v_and_b32_e32 v29, 0xffff, v24
	s_cbranch_vccnz .LBB1321_48
; %bb.45:
	s_wait_dscnt 0x0
	v_mul_u64_e32 v[22:23], s[18:19], v[22:23]
	v_mul_u64_e32 v[24:25], s[18:19], v[10:11]
	s_add_nc_u64 s[0:1], s[18:19], -1
	s_mov_b32 s5, 0
                                        ; implicit-def: $sgpr6
	s_delay_alu instid0(VALU_DEP_2) | instskip(NEXT) | instid1(VALU_DEP_2)
	v_lshl_add_u64 v[22:23], v[22:23], 1, s[8:9]
	v_lshl_add_u64 v[24:25], v[24:25], 1, s[8:9]
.LBB1321_46:                            ; =>This Inner Loop Header: Depth=1
	global_load_u16 v31, v[22:23], off
	global_load_u16 v32, v[24:25], off
	s_cmp_eq_u64 s[0:1], 0
	s_add_nc_u64 s[26:27], s[0:1], -1
	s_cselect_b32 s1, -1, 0
	s_wait_xcnt 0x1
	v_add_nc_u64_e32 v[22:23], 2, v[22:23]
	s_wait_xcnt 0x0
	v_add_nc_u64_e32 v[24:25], 2, v[24:25]
	s_wait_loadcnt 0x0
	v_cmp_neq_f16_e32 vcc_lo, v31, v32
	v_cmp_eq_f16_e64 s0, v31, v32
	s_or_b32 s1, vcc_lo, s1
	s_delay_alu instid0(SALU_CYCLE_1) | instskip(NEXT) | instid1(SALU_CYCLE_1)
	s_and_b32 s1, exec_lo, s1
	s_or_b32 s5, s1, s5
	s_and_not1_b32 s6, s6, exec_lo
	s_and_b32 s28, s0, exec_lo
	s_mov_b64 s[0:1], s[26:27]
	s_or_b32 s6, s6, s28
	s_and_not1_b32 exec_lo, exec_lo, s5
	s_cbranch_execnz .LBB1321_46
; %bb.47:
	s_or_b32 exec_lo, exec_lo, s5
	s_xor_b32 s0, s6, -1
.LBB1321_48:
	s_wait_dscnt 0x0
	s_delay_alu instid0(VALU_DEP_1)
	v_lshl_or_b32 v22, v16, 16, v29
	s_and_b32 vcc_lo, exec_lo, s4
	s_cbranch_vccz .LBB1321_94
.LBB1321_49:
	v_add_nc_u32_e32 v16, 6, v1
	s_mov_b32 s5, 0
	s_mov_b32 s4, 0
	s_mov_b32 s6, exec_lo
	s_wait_xcnt 0x0
	v_cmpx_gt_u32_e64 s23, v16
	s_cbranch_execz .LBB1321_55
; %bb.50:
	s_and_not1_b32 vcc_lo, exec_lo, s7
	s_mov_b32 s0, 0
	s_cbranch_vccnz .LBB1321_54
; %bb.51:
	v_mul_u64_e32 v[16:17], s[18:19], v[4:5]
	v_mul_u64_e32 v[22:23], s[18:19], v[14:15]
	s_add_nc_u64 s[0:1], s[18:19], -1
                                        ; implicit-def: $sgpr7
	s_delay_alu instid0(VALU_DEP_2) | instskip(NEXT) | instid1(VALU_DEP_2)
	v_lshl_add_u64 v[16:17], v[16:17], 1, s[8:9]
	v_lshl_add_u64 v[22:23], v[22:23], 1, s[8:9]
.LBB1321_52:                            ; =>This Inner Loop Header: Depth=1
	global_load_u16 v19, v[16:17], off
	global_load_u16 v24, v[22:23], off
	s_cmp_eq_u64 s[0:1], 0
	s_add_nc_u64 s[26:27], s[0:1], -1
	s_cselect_b32 s1, -1, 0
	s_wait_xcnt 0x1
	v_add_nc_u64_e32 v[16:17], 2, v[16:17]
	s_wait_xcnt 0x0
	v_add_nc_u64_e32 v[22:23], 2, v[22:23]
	s_wait_loadcnt 0x0
	v_cmp_neq_f16_e32 vcc_lo, v19, v24
	v_cmp_eq_f16_e64 s0, v19, v24
	s_or_b32 s1, vcc_lo, s1
	s_delay_alu instid0(SALU_CYCLE_1) | instskip(NEXT) | instid1(SALU_CYCLE_1)
	s_and_b32 s1, exec_lo, s1
	s_or_b32 s4, s1, s4
	s_and_not1_b32 s7, s7, exec_lo
	s_and_b32 s28, s0, exec_lo
	s_mov_b64 s[0:1], s[26:27]
	s_or_b32 s7, s7, s28
	s_and_not1_b32 exec_lo, exec_lo, s4
	s_cbranch_execnz .LBB1321_52
; %bb.53:
	s_or_b32 exec_lo, exec_lo, s4
	s_xor_b32 s0, s7, -1
.LBB1321_54:
	s_delay_alu instid0(SALU_CYCLE_1)
	s_and_b32 s4, s0, exec_lo
.LBB1321_55:
	s_or_b32 exec_lo, exec_lo, s6
	v_add_nc_u32_e32 v16, 5, v1
	s_mov_b32 s6, exec_lo
	s_delay_alu instid0(VALU_DEP_1)
	v_cmpx_gt_u32_e64 s23, v16
	s_cbranch_execz .LBB1321_61
; %bb.56:
	v_cmp_ne_u32_e32 vcc_lo, 1, v27
	s_mov_b32 s0, 0
	s_cbranch_vccnz .LBB1321_60
; %bb.57:
	v_mul_u64_e32 v[16:17], s[18:19], v[2:3]
	v_mul_u64_e32 v[22:23], s[18:19], v[4:5]
	s_add_nc_u64 s[0:1], s[18:19], -1
	s_mov_b32 s5, 0
                                        ; implicit-def: $sgpr7
	s_delay_alu instid0(VALU_DEP_2) | instskip(NEXT) | instid1(VALU_DEP_2)
	v_lshl_add_u64 v[16:17], v[16:17], 1, s[8:9]
	v_lshl_add_u64 v[22:23], v[22:23], 1, s[8:9]
.LBB1321_58:                            ; =>This Inner Loop Header: Depth=1
	global_load_u16 v19, v[16:17], off
	global_load_u16 v24, v[22:23], off
	s_cmp_eq_u64 s[0:1], 0
	s_add_nc_u64 s[26:27], s[0:1], -1
	s_cselect_b32 s1, -1, 0
	s_wait_xcnt 0x1
	v_add_nc_u64_e32 v[16:17], 2, v[16:17]
	s_wait_xcnt 0x0
	v_add_nc_u64_e32 v[22:23], 2, v[22:23]
	s_wait_loadcnt 0x0
	v_cmp_neq_f16_e32 vcc_lo, v19, v24
	v_cmp_eq_f16_e64 s0, v19, v24
	s_or_b32 s1, vcc_lo, s1
	s_delay_alu instid0(SALU_CYCLE_1) | instskip(NEXT) | instid1(SALU_CYCLE_1)
	s_and_b32 s1, exec_lo, s1
	s_or_b32 s5, s1, s5
	s_and_not1_b32 s7, s7, exec_lo
	s_and_b32 s28, s0, exec_lo
	s_mov_b64 s[0:1], s[26:27]
	s_or_b32 s7, s7, s28
	s_and_not1_b32 exec_lo, exec_lo, s5
	s_cbranch_execnz .LBB1321_58
; %bb.59:
	s_or_b32 exec_lo, exec_lo, s5
	s_xor_b32 s0, s7, -1
.LBB1321_60:
	s_delay_alu instid0(SALU_CYCLE_1)
	s_and_b32 s5, s0, exec_lo
.LBB1321_61:
	s_or_b32 exec_lo, exec_lo, s6
	v_add_nc_u32_e32 v16, 4, v1
	s_mov_b32 s7, 0
	s_mov_b32 s6, 0
	s_mov_b32 s26, exec_lo
	s_delay_alu instid0(VALU_DEP_1)
	v_cmpx_gt_u32_e64 s23, v16
	s_cbranch_execz .LBB1321_67
; %bb.62:
	v_cmp_ne_u32_e32 vcc_lo, 1, v27
	s_mov_b32 s0, 0
	s_cbranch_vccnz .LBB1321_66
; %bb.63:
	v_mul_u64_e32 v[16:17], s[18:19], v[8:9]
	v_mul_u64_e32 v[22:23], s[18:19], v[2:3]
	s_add_nc_u64 s[0:1], s[18:19], -1
                                        ; implicit-def: $sgpr27
	s_delay_alu instid0(VALU_DEP_2) | instskip(NEXT) | instid1(VALU_DEP_2)
	v_lshl_add_u64 v[16:17], v[16:17], 1, s[8:9]
	v_lshl_add_u64 v[22:23], v[22:23], 1, s[8:9]
.LBB1321_64:                            ; =>This Inner Loop Header: Depth=1
	global_load_u16 v19, v[16:17], off
	global_load_u16 v24, v[22:23], off
	s_cmp_eq_u64 s[0:1], 0
	s_add_nc_u64 s[28:29], s[0:1], -1
	s_cselect_b32 s1, -1, 0
	s_wait_xcnt 0x1
	v_add_nc_u64_e32 v[16:17], 2, v[16:17]
	s_wait_xcnt 0x0
	v_add_nc_u64_e32 v[22:23], 2, v[22:23]
	s_wait_loadcnt 0x0
	v_cmp_neq_f16_e32 vcc_lo, v19, v24
	v_cmp_eq_f16_e64 s0, v19, v24
	s_or_b32 s1, vcc_lo, s1
	s_delay_alu instid0(SALU_CYCLE_1) | instskip(NEXT) | instid1(SALU_CYCLE_1)
	s_and_b32 s1, exec_lo, s1
	s_or_b32 s6, s1, s6
	s_and_not1_b32 s27, s27, exec_lo
	s_and_b32 s30, s0, exec_lo
	s_mov_b64 s[0:1], s[28:29]
	s_or_b32 s27, s27, s30
	s_and_not1_b32 exec_lo, exec_lo, s6
	s_cbranch_execnz .LBB1321_64
; %bb.65:
	s_or_b32 exec_lo, exec_lo, s6
	s_xor_b32 s0, s27, -1
.LBB1321_66:
	s_delay_alu instid0(SALU_CYCLE_1)
	s_and_b32 s6, s0, exec_lo
.LBB1321_67:
	s_or_b32 exec_lo, exec_lo, s26
	v_add_nc_u32_e32 v16, 3, v1
	s_mov_b32 s26, exec_lo
	s_delay_alu instid0(VALU_DEP_1)
	v_cmpx_gt_u32_e64 s23, v16
	s_cbranch_execz .LBB1321_73
; %bb.68:
	v_cmp_ne_u32_e32 vcc_lo, 1, v27
	s_mov_b32 s0, 0
	s_cbranch_vccnz .LBB1321_72
; %bb.69:
	v_mul_u64_e32 v[16:17], s[18:19], v[6:7]
	v_mul_u64_e32 v[22:23], s[18:19], v[8:9]
	s_add_nc_u64 s[0:1], s[18:19], -1
	s_mov_b32 s7, 0
                                        ; implicit-def: $sgpr27
	s_delay_alu instid0(VALU_DEP_2) | instskip(NEXT) | instid1(VALU_DEP_2)
	v_lshl_add_u64 v[16:17], v[16:17], 1, s[8:9]
	v_lshl_add_u64 v[22:23], v[22:23], 1, s[8:9]
.LBB1321_70:                            ; =>This Inner Loop Header: Depth=1
	global_load_u16 v19, v[16:17], off
	global_load_u16 v24, v[22:23], off
	s_cmp_eq_u64 s[0:1], 0
	s_add_nc_u64 s[28:29], s[0:1], -1
	s_cselect_b32 s1, -1, 0
	s_wait_xcnt 0x1
	v_add_nc_u64_e32 v[16:17], 2, v[16:17]
	s_wait_xcnt 0x0
	v_add_nc_u64_e32 v[22:23], 2, v[22:23]
	s_wait_loadcnt 0x0
	v_cmp_neq_f16_e32 vcc_lo, v19, v24
	v_cmp_eq_f16_e64 s0, v19, v24
	s_or_b32 s1, vcc_lo, s1
	s_delay_alu instid0(SALU_CYCLE_1) | instskip(NEXT) | instid1(SALU_CYCLE_1)
	s_and_b32 s1, exec_lo, s1
	s_or_b32 s7, s1, s7
	s_and_not1_b32 s27, s27, exec_lo
	s_and_b32 s30, s0, exec_lo
	s_mov_b64 s[0:1], s[28:29]
	s_or_b32 s27, s27, s30
	s_and_not1_b32 exec_lo, exec_lo, s7
	s_cbranch_execnz .LBB1321_70
; %bb.71:
	s_or_b32 exec_lo, exec_lo, s7
	s_xor_b32 s0, s27, -1
.LBB1321_72:
	s_delay_alu instid0(SALU_CYCLE_1)
	s_and_b32 s7, s0, exec_lo
.LBB1321_73:
	s_or_b32 exec_lo, exec_lo, s26
	v_add_nc_u32_e32 v16, 2, v1
	s_mov_b32 s26, 0
	s_mov_b32 s27, 0
	s_mov_b32 s28, exec_lo
	s_delay_alu instid0(VALU_DEP_1)
	v_cmpx_gt_u32_e64 s23, v16
	s_cbranch_execz .LBB1321_79
; %bb.74:
	v_cmp_ne_u32_e32 vcc_lo, 1, v27
	s_mov_b32 s0, 0
	s_cbranch_vccnz .LBB1321_78
; %bb.75:
	v_mul_u64_e32 v[16:17], s[18:19], v[12:13]
	v_mul_u64_e32 v[22:23], s[18:19], v[6:7]
	s_add_nc_u64 s[0:1], s[18:19], -1
                                        ; implicit-def: $sgpr29
	s_delay_alu instid0(VALU_DEP_2) | instskip(NEXT) | instid1(VALU_DEP_2)
	v_lshl_add_u64 v[16:17], v[16:17], 1, s[8:9]
	v_lshl_add_u64 v[22:23], v[22:23], 1, s[8:9]
.LBB1321_76:                            ; =>This Inner Loop Header: Depth=1
	global_load_u16 v19, v[16:17], off
	global_load_u16 v24, v[22:23], off
	s_cmp_eq_u64 s[0:1], 0
	s_add_nc_u64 s[30:31], s[0:1], -1
	s_cselect_b32 s1, -1, 0
	s_wait_xcnt 0x1
	v_add_nc_u64_e32 v[16:17], 2, v[16:17]
	s_wait_xcnt 0x0
	v_add_nc_u64_e32 v[22:23], 2, v[22:23]
	s_wait_loadcnt 0x0
	v_cmp_neq_f16_e32 vcc_lo, v19, v24
	v_cmp_eq_f16_e64 s0, v19, v24
	s_or_b32 s1, vcc_lo, s1
	s_delay_alu instid0(SALU_CYCLE_1) | instskip(NEXT) | instid1(SALU_CYCLE_1)
	s_and_b32 s1, exec_lo, s1
	s_or_b32 s27, s1, s27
	s_and_not1_b32 s29, s29, exec_lo
	s_and_b32 s33, s0, exec_lo
	s_mov_b64 s[0:1], s[30:31]
	s_or_b32 s29, s29, s33
	s_and_not1_b32 exec_lo, exec_lo, s27
	s_cbranch_execnz .LBB1321_76
; %bb.77:
	s_or_b32 exec_lo, exec_lo, s27
	s_xor_b32 s0, s29, -1
.LBB1321_78:
	s_delay_alu instid0(SALU_CYCLE_1)
	s_and_b32 s27, s0, exec_lo
.LBB1321_79:
	s_or_b32 exec_lo, exec_lo, s28
	v_add_nc_u32_e32 v16, 1, v1
	s_mov_b32 s28, exec_lo
	s_delay_alu instid0(VALU_DEP_1)
	v_cmpx_gt_u32_e64 s23, v16
	s_cbranch_execz .LBB1321_85
; %bb.80:
	v_cmp_ne_u32_e32 vcc_lo, 1, v27
	s_mov_b32 s0, 0
	s_cbranch_vccnz .LBB1321_84
; %bb.81:
	v_mul_u64_e32 v[16:17], s[18:19], v[10:11]
	v_mul_u64_e32 v[22:23], s[18:19], v[12:13]
	s_add_nc_u64 s[0:1], s[18:19], -1
	s_mov_b32 s26, 0
                                        ; implicit-def: $sgpr29
	s_delay_alu instid0(VALU_DEP_2) | instskip(NEXT) | instid1(VALU_DEP_2)
	v_lshl_add_u64 v[16:17], v[16:17], 1, s[8:9]
	v_lshl_add_u64 v[22:23], v[22:23], 1, s[8:9]
.LBB1321_82:                            ; =>This Inner Loop Header: Depth=1
	global_load_u16 v19, v[16:17], off
	global_load_u16 v24, v[22:23], off
	s_cmp_eq_u64 s[0:1], 0
	s_add_nc_u64 s[30:31], s[0:1], -1
	s_cselect_b32 s1, -1, 0
	s_wait_xcnt 0x1
	v_add_nc_u64_e32 v[16:17], 2, v[16:17]
	s_wait_xcnt 0x0
	v_add_nc_u64_e32 v[22:23], 2, v[22:23]
	s_wait_loadcnt 0x0
	v_cmp_neq_f16_e32 vcc_lo, v19, v24
	v_cmp_eq_f16_e64 s0, v19, v24
	s_or_b32 s1, vcc_lo, s1
	s_delay_alu instid0(SALU_CYCLE_1) | instskip(NEXT) | instid1(SALU_CYCLE_1)
	s_and_b32 s1, exec_lo, s1
	s_or_b32 s26, s1, s26
	s_and_not1_b32 s29, s29, exec_lo
	s_and_b32 s33, s0, exec_lo
	s_mov_b64 s[0:1], s[30:31]
	s_or_b32 s29, s29, s33
	s_and_not1_b32 exec_lo, exec_lo, s26
	s_cbranch_execnz .LBB1321_82
; %bb.83:
	s_or_b32 exec_lo, exec_lo, s26
	s_xor_b32 s0, s29, -1
.LBB1321_84:
	s_delay_alu instid0(SALU_CYCLE_1)
	s_and_b32 s26, s0, exec_lo
.LBB1321_85:
	s_or_b32 exec_lo, exec_lo, s28
	s_wait_loadcnt_dscnt 0x0
	s_barrier_signal -1
	s_barrier_wait -1
	s_and_saveexec_b32 s0, s3
; %bb.86:
	v_add_nc_u32_e32 v16, -8, v28
	ds_load_b64 v[20:21], v16
; %bb.87:
	s_or_b32 exec_lo, exec_lo, s0
	v_cndmask_b32_e64 v16, 0, 1, s7
	v_cndmask_b32_e64 v17, 0, 1, s27
	;; [unrolled: 1-line block ×3, first 2 shown]
	s_mov_b32 s0, 0
	s_mov_b32 s7, exec_lo
	v_lshlrev_b16 v16, 8, v16
	s_delay_alu instid0(VALU_DEP_2) | instskip(NEXT) | instid1(VALU_DEP_2)
	v_lshlrev_b16 v19, 8, v19
	v_or_b32_e32 v16, v17, v16
	s_delay_alu instid0(VALU_DEP_2) | instskip(NEXT) | instid1(VALU_DEP_2)
	v_and_b32_e32 v22, 0xffff, v19
	v_lshlrev_b32_e32 v23, 16, v16
	v_cmpx_gt_u32_e64 s23, v1
	s_cbranch_execz .LBB1321_93
; %bb.88:
	v_cmp_ne_u32_e32 vcc_lo, 1, v27
	s_cbranch_vccnz .LBB1321_92
; %bb.89:
	s_wait_dscnt 0x0
	v_mul_u64_e32 v[16:17], s[18:19], v[20:21]
	v_mul_u64_e32 v[20:21], s[18:19], v[10:11]
	s_add_nc_u64 s[0:1], s[18:19], -1
	s_mov_b32 s26, 0
                                        ; implicit-def: $sgpr27
	s_delay_alu instid0(VALU_DEP_2) | instskip(NEXT) | instid1(VALU_DEP_2)
	v_lshl_add_u64 v[16:17], v[16:17], 1, s[8:9]
	v_lshl_add_u64 v[20:21], v[20:21], 1, s[8:9]
.LBB1321_90:                            ; =>This Inner Loop Header: Depth=1
	global_load_u16 v19, v[16:17], off
	global_load_u16 v24, v[20:21], off
	s_cmp_eq_u64 s[0:1], 0
	s_add_nc_u64 s[28:29], s[0:1], -1
	s_cselect_b32 s1, -1, 0
	s_wait_xcnt 0x1
	v_add_nc_u64_e32 v[16:17], 2, v[16:17]
	s_wait_xcnt 0x0
	v_add_nc_u64_e32 v[20:21], 2, v[20:21]
	s_wait_loadcnt 0x0
	v_cmp_neq_f16_e32 vcc_lo, v19, v24
	v_cmp_eq_f16_e64 s0, v19, v24
	s_or_b32 s1, vcc_lo, s1
	s_delay_alu instid0(SALU_CYCLE_1) | instskip(NEXT) | instid1(SALU_CYCLE_1)
	s_and_b32 s1, exec_lo, s1
	s_or_b32 s26, s1, s26
	s_and_not1_b32 s27, s27, exec_lo
	s_and_b32 s30, s0, exec_lo
	s_mov_b64 s[0:1], s[28:29]
	s_or_b32 s27, s27, s30
	s_and_not1_b32 exec_lo, exec_lo, s26
	s_cbranch_execnz .LBB1321_90
; %bb.91:
	s_or_b32 exec_lo, exec_lo, s26
	s_xor_b32 s0, s27, -1
.LBB1321_92:
	s_delay_alu instid0(SALU_CYCLE_1)
	s_and_b32 s0, s0, exec_lo
.LBB1321_93:
	s_or_b32 exec_lo, exec_lo, s7
	v_cndmask_b32_e64 v17, 0, 1, s6
	v_cndmask_b32_e64 v30, 0, 1, s5
	;; [unrolled: 1-line block ×3, first 2 shown]
	v_or_b32_e32 v22, v22, v23
.LBB1321_94:
	s_mov_b32 s6, -1
	s_cbranch_execnz .LBB1321_39
.LBB1321_95:
	v_cmp_gt_i64_e64 s7, s[18:19], 0
	v_mad_i32_i24 v26, 0xffffffd0, v0, v26
	s_and_b32 vcc_lo, exec_lo, s17
	ds_store_b64 v26, v[14:15]
	s_cbranch_vccz .LBB1321_110
; %bb.96:
	s_and_not1_b32 vcc_lo, exec_lo, s7
	s_cbranch_vccnz .LBB1321_111
; %bb.97:
	v_mul_u64_e32 v[16:17], s[18:19], v[4:5]
	s_wait_loadcnt_dscnt 0x1
	v_mul_u64_e32 v[20:21], s[18:19], v[14:15]
	s_add_nc_u64 s[4:5], s[18:19], -1
	s_mov_b32 s27, 0
	s_mov_b64 s[0:1], s[4:5]
                                        ; implicit-def: $sgpr26
	s_delay_alu instid0(VALU_DEP_2) | instskip(NEXT) | instid1(VALU_DEP_2)
	v_lshl_add_u64 v[16:17], v[16:17], 1, s[8:9]
	v_lshl_add_u64 v[20:21], v[20:21], 1, s[8:9]
	s_delay_alu instid0(VALU_DEP_2)
	v_mov_b64_e32 v[22:23], v[16:17]
.LBB1321_98:                            ; =>This Inner Loop Header: Depth=1
	global_load_u16 v19, v[22:23], off
	global_load_u16 v24, v[20:21], off
	s_cmp_eq_u64 s[0:1], 0
	s_add_nc_u64 s[28:29], s[0:1], -1
	s_cselect_b32 s1, -1, 0
	s_wait_xcnt 0x1
	v_add_nc_u64_e32 v[22:23], 2, v[22:23]
	s_wait_xcnt 0x0
	v_add_nc_u64_e32 v[20:21], 2, v[20:21]
	s_wait_loadcnt 0x0
	v_cmp_neq_f16_e32 vcc_lo, v19, v24
	v_cmp_eq_f16_e64 s0, v19, v24
	s_or_b32 s1, vcc_lo, s1
	s_delay_alu instid0(SALU_CYCLE_1) | instskip(NEXT) | instid1(SALU_CYCLE_1)
	s_and_b32 s1, exec_lo, s1
	s_or_b32 s27, s1, s27
	s_and_not1_b32 s26, s26, exec_lo
	s_and_b32 s30, s0, exec_lo
	s_mov_b64 s[0:1], s[28:29]
	s_or_b32 s26, s26, s30
	s_and_not1_b32 exec_lo, exec_lo, s27
	s_cbranch_execnz .LBB1321_98
; %bb.99:
	s_or_b32 exec_lo, exec_lo, s27
	v_mul_u64_e32 v[20:21], s[18:19], v[2:3]
	s_mov_b32 s28, 0
	s_mov_b64 s[0:1], s[4:5]
                                        ; implicit-def: $sgpr27
	s_delay_alu instid0(VALU_DEP_1) | instskip(NEXT) | instid1(VALU_DEP_1)
	v_lshl_add_u64 v[20:21], v[20:21], 1, s[8:9]
	v_mov_b64_e32 v[22:23], v[20:21]
.LBB1321_100:                           ; =>This Inner Loop Header: Depth=1
	global_load_u16 v19, v[22:23], off
	global_load_u16 v24, v[16:17], off
	s_cmp_eq_u64 s[0:1], 0
	s_add_nc_u64 s[30:31], s[0:1], -1
	s_cselect_b32 s1, -1, 0
	s_wait_xcnt 0x1
	v_add_nc_u64_e32 v[22:23], 2, v[22:23]
	s_wait_xcnt 0x0
	v_add_nc_u64_e32 v[16:17], 2, v[16:17]
	s_wait_loadcnt 0x0
	v_cmp_neq_f16_e32 vcc_lo, v19, v24
	v_cmp_eq_f16_e64 s0, v19, v24
	s_or_b32 s1, vcc_lo, s1
	s_delay_alu instid0(SALU_CYCLE_1) | instskip(NEXT) | instid1(SALU_CYCLE_1)
	s_and_b32 s1, exec_lo, s1
	s_or_b32 s28, s1, s28
	s_and_not1_b32 s27, s27, exec_lo
	s_and_b32 s29, s0, exec_lo
	s_mov_b64 s[0:1], s[30:31]
	s_or_b32 s27, s27, s29
	s_and_not1_b32 exec_lo, exec_lo, s28
	s_cbranch_execnz .LBB1321_100
; %bb.101:
	s_or_b32 exec_lo, exec_lo, s28
	v_mul_u64_e32 v[16:17], s[18:19], v[8:9]
	s_mov_b32 s29, 0
	s_mov_b64 s[0:1], s[4:5]
                                        ; implicit-def: $sgpr28
	s_delay_alu instid0(VALU_DEP_1) | instskip(NEXT) | instid1(VALU_DEP_1)
	v_lshl_add_u64 v[16:17], v[16:17], 1, s[8:9]
	v_mov_b64_e32 v[22:23], v[16:17]
.LBB1321_102:                           ; =>This Inner Loop Header: Depth=1
	global_load_u16 v19, v[22:23], off
	global_load_u16 v24, v[20:21], off
	s_cmp_eq_u64 s[0:1], 0
	s_add_nc_u64 s[30:31], s[0:1], -1
	s_cselect_b32 s1, -1, 0
	s_wait_xcnt 0x1
	v_add_nc_u64_e32 v[22:23], 2, v[22:23]
	s_wait_xcnt 0x0
	v_add_nc_u64_e32 v[20:21], 2, v[20:21]
	s_wait_loadcnt 0x0
	v_cmp_neq_f16_e32 vcc_lo, v19, v24
	v_cmp_eq_f16_e64 s0, v19, v24
	s_or_b32 s1, vcc_lo, s1
	s_delay_alu instid0(SALU_CYCLE_1) | instskip(NEXT) | instid1(SALU_CYCLE_1)
	s_and_b32 s1, exec_lo, s1
	s_or_b32 s29, s1, s29
	s_and_not1_b32 s28, s28, exec_lo
	s_and_b32 s33, s0, exec_lo
	s_mov_b64 s[0:1], s[30:31]
	s_or_b32 s28, s28, s33
	s_and_not1_b32 exec_lo, exec_lo, s29
	s_cbranch_execnz .LBB1321_102
; %bb.103:
	s_or_b32 exec_lo, exec_lo, s29
	v_mul_u64_e32 v[20:21], s[18:19], v[6:7]
	s_mov_b32 s30, 0
	s_mov_b64 s[0:1], s[4:5]
                                        ; implicit-def: $sgpr29
	s_delay_alu instid0(VALU_DEP_1) | instskip(NEXT) | instid1(VALU_DEP_1)
	v_lshl_add_u64 v[20:21], v[20:21], 1, s[8:9]
	v_mov_b64_e32 v[22:23], v[20:21]
.LBB1321_104:                           ; =>This Inner Loop Header: Depth=1
	global_load_u16 v19, v[22:23], off
	global_load_u16 v24, v[16:17], off
	s_cmp_eq_u64 s[0:1], 0
	s_add_nc_u64 s[34:35], s[0:1], -1
	s_cselect_b32 s1, -1, 0
	s_wait_xcnt 0x1
	v_add_nc_u64_e32 v[22:23], 2, v[22:23]
	s_wait_xcnt 0x0
	v_add_nc_u64_e32 v[16:17], 2, v[16:17]
	s_wait_loadcnt 0x0
	v_cmp_neq_f16_e32 vcc_lo, v19, v24
	v_cmp_eq_f16_e64 s0, v19, v24
	s_or_b32 s1, vcc_lo, s1
	s_delay_alu instid0(SALU_CYCLE_1) | instskip(NEXT) | instid1(SALU_CYCLE_1)
	s_and_b32 s1, exec_lo, s1
	s_or_b32 s30, s1, s30
	s_and_not1_b32 s29, s29, exec_lo
	s_and_b32 s31, s0, exec_lo
	s_mov_b64 s[0:1], s[34:35]
	s_or_b32 s29, s29, s31
	s_and_not1_b32 exec_lo, exec_lo, s30
	s_cbranch_execnz .LBB1321_104
; %bb.105:
	s_or_b32 exec_lo, exec_lo, s30
	v_mul_u64_e32 v[16:17], s[18:19], v[12:13]
	s_mov_b32 s31, 0
	s_mov_b64 s[0:1], s[4:5]
                                        ; implicit-def: $sgpr30
	s_delay_alu instid0(VALU_DEP_1) | instskip(NEXT) | instid1(VALU_DEP_1)
	v_lshl_add_u64 v[16:17], v[16:17], 1, s[8:9]
	v_mov_b64_e32 v[22:23], v[16:17]
.LBB1321_106:                           ; =>This Inner Loop Header: Depth=1
	global_load_u16 v19, v[22:23], off
	global_load_u16 v24, v[20:21], off
	s_cmp_eq_u64 s[0:1], 0
	s_add_nc_u64 s[34:35], s[0:1], -1
	s_cselect_b32 s1, -1, 0
	s_wait_xcnt 0x1
	v_add_nc_u64_e32 v[22:23], 2, v[22:23]
	s_wait_xcnt 0x0
	v_add_nc_u64_e32 v[20:21], 2, v[20:21]
	s_wait_loadcnt 0x0
	v_cmp_neq_f16_e32 vcc_lo, v19, v24
	v_cmp_eq_f16_e64 s0, v19, v24
	s_or_b32 s1, vcc_lo, s1
	s_delay_alu instid0(SALU_CYCLE_1) | instskip(NEXT) | instid1(SALU_CYCLE_1)
	s_and_b32 s1, exec_lo, s1
	s_or_b32 s31, s1, s31
	s_and_not1_b32 s30, s30, exec_lo
	s_and_b32 s33, s0, exec_lo
	s_mov_b64 s[0:1], s[34:35]
	s_or_b32 s30, s30, s33
	s_and_not1_b32 exec_lo, exec_lo, s31
	s_cbranch_execnz .LBB1321_106
; %bb.107:
	s_or_b32 exec_lo, exec_lo, s31
	v_mul_u64_e32 v[20:21], s[18:19], v[10:11]
	s_mov_b32 s31, 0
                                        ; implicit-def: $sgpr1
	s_delay_alu instid0(VALU_DEP_1)
	v_lshl_add_u64 v[20:21], v[20:21], 1, s[8:9]
.LBB1321_108:                           ; =>This Inner Loop Header: Depth=1
	global_load_u16 v19, v[20:21], off
	global_load_u16 v22, v[16:17], off
	s_cmp_eq_u64 s[4:5], 0
	s_add_nc_u64 s[34:35], s[4:5], -1
	s_cselect_b32 s4, -1, 0
	s_wait_xcnt 0x1
	v_add_nc_u64_e32 v[20:21], 2, v[20:21]
	s_wait_xcnt 0x0
	v_add_nc_u64_e32 v[16:17], 2, v[16:17]
	s_wait_loadcnt 0x0
	v_cmp_neq_f16_e32 vcc_lo, v19, v22
	v_cmp_eq_f16_e64 s0, v19, v22
	s_or_b32 s4, vcc_lo, s4
	s_delay_alu instid0(SALU_CYCLE_1) | instskip(NEXT) | instid1(SALU_CYCLE_1)
	s_and_b32 s4, exec_lo, s4
	s_or_b32 s31, s4, s31
	s_and_not1_b32 s1, s1, exec_lo
	s_and_b32 s0, s0, exec_lo
	s_mov_b64 s[4:5], s[34:35]
	s_or_b32 s1, s1, s0
	s_and_not1_b32 exec_lo, exec_lo, s31
	s_cbranch_execnz .LBB1321_108
; %bb.109:
	s_or_b32 exec_lo, exec_lo, s31
	s_xor_b32 s0, s29, -1
	s_delay_alu instid0(SALU_CYCLE_1) | instskip(SKIP_1) | instid1(SALU_CYCLE_1)
	v_cndmask_b32_e64 v16, 0, 1, s0
	s_xor_b32 s0, s30, -1
	v_cndmask_b32_e64 v17, 0, 1, s0
	s_xor_b32 s0, s27, -1
	s_delay_alu instid0(VALU_DEP_2) | instskip(SKIP_2) | instid1(SALU_CYCLE_1)
	v_lshlrev_b16 v16, 8, v16
	v_cndmask_b32_e64 v30, 0, 1, s0
	s_xor_b32 s0, s26, -1
	v_cndmask_b32_e64 v19, 0, 1, s0
	s_delay_alu instid0(VALU_DEP_3) | instskip(SKIP_1) | instid1(VALU_DEP_1)
	v_lshrrev_b32_e32 v16, 8, v16
	s_xor_b32 s0, s28, -1
	v_and_b32_e32 v16, 1, v16
	s_delay_alu instid0(VALU_DEP_1) | instskip(NEXT) | instid1(VALU_DEP_1)
	v_lshlrev_b16 v16, 8, v16
	v_or_b32_e32 v16, v17, v16
	v_cndmask_b32_e64 v17, 0, 1, s0
	s_xor_b32 s0, s1, -1
	s_delay_alu instid0(VALU_DEP_2)
	v_lshlrev_b32_e32 v16, 16, v16
	s_branch .LBB1321_112
.LBB1321_110:
                                        ; implicit-def: $sgpr0
                                        ; implicit-def: $vgpr19
                                        ; implicit-def: $vgpr30
                                        ; implicit-def: $vgpr17
                                        ; implicit-def: $vgpr22
                                        ; implicit-def: $vgpr32
                                        ; implicit-def: $vgpr31
                                        ; implicit-def: $vgpr20
	s_cbranch_execnz .LBB1321_119
	s_branch .LBB1321_164
.LBB1321_111:
	v_dual_mov_b32 v16, 0 :: v_dual_mov_b32 v19, 0
	v_dual_mov_b32 v30, 0 :: v_dual_mov_b32 v17, 0
	s_mov_b32 s0, 0
.LBB1321_112:
	s_wait_loadcnt_dscnt 0x1
	s_delay_alu instid0(VALU_DEP_1)
	v_dual_lshrrev_b32 v31, 16, v16 :: v_dual_lshrrev_b32 v20, 24, v16
	v_cndmask_b32_e64 v32, 0, 1, s0
	v_mov_b32_e32 v16, 1
	s_wait_dscnt 0x0
	s_barrier_signal -1
	s_barrier_wait -1
                                        ; implicit-def: $sgpr0
                                        ; implicit-def: $vgpr22
	s_and_saveexec_b32 s1, s3
	s_delay_alu instid0(SALU_CYCLE_1)
	s_xor_b32 s4, exec_lo, s1
	s_cbranch_execz .LBB1321_118
; %bb.113:
	v_lshlrev_b16 v21, 8, v20
	v_lshlrev_b16 v22, 8, v32
	s_and_not1_b32 vcc_lo, exec_lo, s7
	s_mov_b32 s0, 0
	s_delay_alu instid0(VALU_DEP_2) | instskip(NEXT) | instid1(VALU_DEP_1)
	v_bitop3_b16 v21, v31, v21, 0xff bitop3:0xec
	v_dual_lshlrev_b32 v21, 16, v21 :: v_dual_bitop2_b32 v22, 1, v22 bitop3:0x54
	s_delay_alu instid0(VALU_DEP_1) | instskip(NEXT) | instid1(VALU_DEP_1)
	v_and_b32_e32 v22, 0xffff, v22
	v_or_b32_e32 v21, v22, v21
	s_cbranch_vccnz .LBB1321_117
; %bb.114:
	v_add_nc_u32_e32 v22, -8, v26
	v_mul_u64_e32 v[24:25], s[18:19], v[10:11]
	s_add_nc_u64 s[0:1], s[18:19], -1
	s_mov_b32 s5, 0
                                        ; implicit-def: $sgpr26
	ds_load_b64 v[22:23], v22
	s_wait_dscnt 0x0
	v_mul_u64_e32 v[22:23], s[18:19], v[22:23]
	v_lshl_add_u64 v[24:25], v[24:25], 1, s[8:9]
	s_delay_alu instid0(VALU_DEP_2)
	v_lshl_add_u64 v[22:23], v[22:23], 1, s[8:9]
.LBB1321_115:                           ; =>This Inner Loop Header: Depth=1
	global_load_u16 v27, v[22:23], off
	global_load_u16 v28, v[24:25], off
	s_cmp_eq_u64 s[0:1], 0
	s_add_nc_u64 s[28:29], s[0:1], -1
	s_cselect_b32 s1, -1, 0
	s_wait_xcnt 0x1
	v_add_nc_u64_e32 v[22:23], 2, v[22:23]
	s_wait_xcnt 0x0
	v_add_nc_u64_e32 v[24:25], 2, v[24:25]
	s_wait_loadcnt 0x0
	v_cmp_neq_f16_e32 vcc_lo, v27, v28
	v_cmp_eq_f16_e64 s0, v27, v28
	s_or_b32 s1, vcc_lo, s1
	s_delay_alu instid0(SALU_CYCLE_1) | instskip(NEXT) | instid1(SALU_CYCLE_1)
	s_and_b32 s1, exec_lo, s1
	s_or_b32 s5, s1, s5
	s_and_not1_b32 s26, s26, exec_lo
	s_and_b32 s27, s0, exec_lo
	s_mov_b64 s[0:1], s[28:29]
	s_or_b32 s26, s26, s27
	s_and_not1_b32 exec_lo, exec_lo, s5
	s_cbranch_execnz .LBB1321_115
; %bb.116:
	s_or_b32 exec_lo, exec_lo, s5
	s_xor_b32 s0, s26, -1
.LBB1321_117:
	s_delay_alu instid0(VALU_DEP_1)
	v_perm_b32 v22, v21, v21, 0x3020104
	s_or_b32 s6, s6, exec_lo
.LBB1321_118:
	s_or_b32 exec_lo, exec_lo, s4
	s_branch .LBB1321_164
.LBB1321_119:
	v_add_nc_u32_e32 v16, 6, v1
	s_mov_b32 s5, 0
	s_mov_b32 s4, 0
	s_mov_b32 s26, exec_lo
	s_wait_xcnt 0x0
	v_cmpx_gt_u32_e64 s23, v16
	s_cbranch_execz .LBB1321_125
; %bb.120:
	s_and_not1_b32 vcc_lo, exec_lo, s7
	s_mov_b32 s0, 0
	s_cbranch_vccnz .LBB1321_124
; %bb.121:
	v_mul_u64_e32 v[16:17], s[18:19], v[4:5]
	s_wait_loadcnt_dscnt 0x1
	v_mul_u64_e32 v[20:21], s[18:19], v[14:15]
	s_add_nc_u64 s[0:1], s[18:19], -1
                                        ; implicit-def: $sgpr27
	s_delay_alu instid0(VALU_DEP_2) | instskip(NEXT) | instid1(VALU_DEP_2)
	v_lshl_add_u64 v[16:17], v[16:17], 1, s[8:9]
	v_lshl_add_u64 v[20:21], v[20:21], 1, s[8:9]
.LBB1321_122:                           ; =>This Inner Loop Header: Depth=1
	global_load_u16 v19, v[16:17], off
	global_load_u16 v22, v[20:21], off
	s_cmp_eq_u64 s[0:1], 0
	s_add_nc_u64 s[28:29], s[0:1], -1
	s_cselect_b32 s1, -1, 0
	s_wait_xcnt 0x1
	v_add_nc_u64_e32 v[16:17], 2, v[16:17]
	s_wait_xcnt 0x0
	v_add_nc_u64_e32 v[20:21], 2, v[20:21]
	s_wait_loadcnt 0x0
	v_cmp_neq_f16_e32 vcc_lo, v19, v22
	v_cmp_eq_f16_e64 s0, v19, v22
	s_or_b32 s1, vcc_lo, s1
	s_delay_alu instid0(SALU_CYCLE_1) | instskip(NEXT) | instid1(SALU_CYCLE_1)
	s_and_b32 s1, exec_lo, s1
	s_or_b32 s4, s1, s4
	s_and_not1_b32 s27, s27, exec_lo
	s_and_b32 s30, s0, exec_lo
	s_mov_b64 s[0:1], s[28:29]
	s_or_b32 s27, s27, s30
	s_and_not1_b32 exec_lo, exec_lo, s4
	s_cbranch_execnz .LBB1321_122
; %bb.123:
	s_or_b32 exec_lo, exec_lo, s4
	s_xor_b32 s0, s27, -1
.LBB1321_124:
	s_delay_alu instid0(SALU_CYCLE_1)
	s_and_b32 s4, s0, exec_lo
.LBB1321_125:
	s_or_b32 exec_lo, exec_lo, s26
	v_add_nc_u32_e32 v16, 5, v1
	s_mov_b32 s26, exec_lo
	s_delay_alu instid0(VALU_DEP_1)
	v_cmpx_gt_u32_e64 s23, v16
	s_cbranch_execz .LBB1321_131
; %bb.126:
	s_and_not1_b32 vcc_lo, exec_lo, s7
	s_mov_b32 s0, 0
	s_cbranch_vccnz .LBB1321_130
; %bb.127:
	v_mul_u64_e32 v[16:17], s[18:19], v[2:3]
	s_wait_loadcnt_dscnt 0x1
	v_mul_u64_e32 v[20:21], s[18:19], v[4:5]
	s_add_nc_u64 s[0:1], s[18:19], -1
	s_mov_b32 s5, 0
                                        ; implicit-def: $sgpr27
	s_delay_alu instid0(VALU_DEP_2) | instskip(NEXT) | instid1(VALU_DEP_2)
	v_lshl_add_u64 v[16:17], v[16:17], 1, s[8:9]
	v_lshl_add_u64 v[20:21], v[20:21], 1, s[8:9]
.LBB1321_128:                           ; =>This Inner Loop Header: Depth=1
	global_load_u16 v19, v[16:17], off
	global_load_u16 v22, v[20:21], off
	s_cmp_eq_u64 s[0:1], 0
	s_add_nc_u64 s[28:29], s[0:1], -1
	s_cselect_b32 s1, -1, 0
	s_wait_xcnt 0x1
	v_add_nc_u64_e32 v[16:17], 2, v[16:17]
	s_wait_xcnt 0x0
	v_add_nc_u64_e32 v[20:21], 2, v[20:21]
	s_wait_loadcnt 0x0
	v_cmp_neq_f16_e32 vcc_lo, v19, v22
	v_cmp_eq_f16_e64 s0, v19, v22
	s_or_b32 s1, vcc_lo, s1
	s_delay_alu instid0(SALU_CYCLE_1) | instskip(NEXT) | instid1(SALU_CYCLE_1)
	s_and_b32 s1, exec_lo, s1
	s_or_b32 s5, s1, s5
	s_and_not1_b32 s27, s27, exec_lo
	s_and_b32 s30, s0, exec_lo
	s_mov_b64 s[0:1], s[28:29]
	s_or_b32 s27, s27, s30
	s_and_not1_b32 exec_lo, exec_lo, s5
	s_cbranch_execnz .LBB1321_128
; %bb.129:
	s_or_b32 exec_lo, exec_lo, s5
	s_xor_b32 s0, s27, -1
.LBB1321_130:
	s_delay_alu instid0(SALU_CYCLE_1)
	s_and_b32 s5, s0, exec_lo
.LBB1321_131:
	s_or_b32 exec_lo, exec_lo, s26
	v_add_nc_u32_e32 v16, 4, v1
	s_mov_b32 s26, 0
	s_mov_b32 s27, 0
	s_mov_b32 s28, exec_lo
	s_delay_alu instid0(VALU_DEP_1)
	v_cmpx_gt_u32_e64 s23, v16
	s_cbranch_execz .LBB1321_137
; %bb.132:
	s_and_not1_b32 vcc_lo, exec_lo, s7
	s_mov_b32 s0, 0
	s_cbranch_vccnz .LBB1321_136
; %bb.133:
	v_mul_u64_e32 v[16:17], s[18:19], v[8:9]
	s_wait_loadcnt_dscnt 0x1
	v_mul_u64_e32 v[20:21], s[18:19], v[2:3]
	s_add_nc_u64 s[0:1], s[18:19], -1
                                        ; implicit-def: $sgpr29
	s_delay_alu instid0(VALU_DEP_2) | instskip(NEXT) | instid1(VALU_DEP_2)
	v_lshl_add_u64 v[16:17], v[16:17], 1, s[8:9]
	v_lshl_add_u64 v[20:21], v[20:21], 1, s[8:9]
.LBB1321_134:                           ; =>This Inner Loop Header: Depth=1
	global_load_u16 v19, v[16:17], off
	global_load_u16 v22, v[20:21], off
	s_cmp_eq_u64 s[0:1], 0
	s_add_nc_u64 s[30:31], s[0:1], -1
	s_cselect_b32 s1, -1, 0
	s_wait_xcnt 0x1
	v_add_nc_u64_e32 v[16:17], 2, v[16:17]
	s_wait_xcnt 0x0
	v_add_nc_u64_e32 v[20:21], 2, v[20:21]
	s_wait_loadcnt 0x0
	v_cmp_neq_f16_e32 vcc_lo, v19, v22
	v_cmp_eq_f16_e64 s0, v19, v22
	s_or_b32 s1, vcc_lo, s1
	s_delay_alu instid0(SALU_CYCLE_1) | instskip(NEXT) | instid1(SALU_CYCLE_1)
	s_and_b32 s1, exec_lo, s1
	s_or_b32 s27, s1, s27
	s_and_not1_b32 s29, s29, exec_lo
	s_and_b32 s33, s0, exec_lo
	s_mov_b64 s[0:1], s[30:31]
	s_or_b32 s29, s29, s33
	s_and_not1_b32 exec_lo, exec_lo, s27
	s_cbranch_execnz .LBB1321_134
; %bb.135:
	s_or_b32 exec_lo, exec_lo, s27
	s_xor_b32 s0, s29, -1
.LBB1321_136:
	s_delay_alu instid0(SALU_CYCLE_1)
	s_and_b32 s27, s0, exec_lo
.LBB1321_137:
	s_or_b32 exec_lo, exec_lo, s28
	v_add_nc_u32_e32 v16, 3, v1
	s_mov_b32 s28, exec_lo
	s_delay_alu instid0(VALU_DEP_1)
	v_cmpx_gt_u32_e64 s23, v16
	s_cbranch_execz .LBB1321_143
; %bb.138:
	s_and_not1_b32 vcc_lo, exec_lo, s7
	s_mov_b32 s0, 0
	s_cbranch_vccnz .LBB1321_142
; %bb.139:
	v_mul_u64_e32 v[16:17], s[18:19], v[6:7]
	s_wait_loadcnt_dscnt 0x1
	v_mul_u64_e32 v[20:21], s[18:19], v[8:9]
	s_add_nc_u64 s[0:1], s[18:19], -1
	s_mov_b32 s26, 0
                                        ; implicit-def: $sgpr29
	s_delay_alu instid0(VALU_DEP_2) | instskip(NEXT) | instid1(VALU_DEP_2)
	v_lshl_add_u64 v[16:17], v[16:17], 1, s[8:9]
	v_lshl_add_u64 v[20:21], v[20:21], 1, s[8:9]
.LBB1321_140:                           ; =>This Inner Loop Header: Depth=1
	global_load_u16 v19, v[16:17], off
	global_load_u16 v22, v[20:21], off
	s_cmp_eq_u64 s[0:1], 0
	s_add_nc_u64 s[30:31], s[0:1], -1
	s_cselect_b32 s1, -1, 0
	s_wait_xcnt 0x1
	v_add_nc_u64_e32 v[16:17], 2, v[16:17]
	s_wait_xcnt 0x0
	v_add_nc_u64_e32 v[20:21], 2, v[20:21]
	s_wait_loadcnt 0x0
	v_cmp_neq_f16_e32 vcc_lo, v19, v22
	v_cmp_eq_f16_e64 s0, v19, v22
	s_or_b32 s1, vcc_lo, s1
	s_delay_alu instid0(SALU_CYCLE_1) | instskip(NEXT) | instid1(SALU_CYCLE_1)
	s_and_b32 s1, exec_lo, s1
	s_or_b32 s26, s1, s26
	s_and_not1_b32 s29, s29, exec_lo
	s_and_b32 s33, s0, exec_lo
	s_mov_b64 s[0:1], s[30:31]
	s_or_b32 s29, s29, s33
	s_and_not1_b32 exec_lo, exec_lo, s26
	s_cbranch_execnz .LBB1321_140
; %bb.141:
	s_or_b32 exec_lo, exec_lo, s26
	s_xor_b32 s0, s29, -1
.LBB1321_142:
	s_delay_alu instid0(SALU_CYCLE_1)
	s_and_b32 s26, s0, exec_lo
.LBB1321_143:
	s_or_b32 exec_lo, exec_lo, s28
	v_add_nc_u32_e32 v16, 2, v1
	s_mov_b32 s28, 0
	s_mov_b32 s29, 0
	s_mov_b32 s30, exec_lo
	s_delay_alu instid0(VALU_DEP_1)
	v_cmpx_gt_u32_e64 s23, v16
	s_cbranch_execz .LBB1321_149
; %bb.144:
	s_and_not1_b32 vcc_lo, exec_lo, s7
	s_mov_b32 s0, 0
	s_cbranch_vccnz .LBB1321_148
; %bb.145:
	v_mul_u64_e32 v[16:17], s[18:19], v[12:13]
	s_wait_loadcnt_dscnt 0x1
	v_mul_u64_e32 v[20:21], s[18:19], v[6:7]
	s_add_nc_u64 s[0:1], s[18:19], -1
                                        ; implicit-def: $sgpr31
	s_delay_alu instid0(VALU_DEP_2) | instskip(NEXT) | instid1(VALU_DEP_2)
	v_lshl_add_u64 v[16:17], v[16:17], 1, s[8:9]
	v_lshl_add_u64 v[20:21], v[20:21], 1, s[8:9]
.LBB1321_146:                           ; =>This Inner Loop Header: Depth=1
	global_load_u16 v19, v[16:17], off
	global_load_u16 v22, v[20:21], off
	s_cmp_eq_u64 s[0:1], 0
	s_add_nc_u64 s[34:35], s[0:1], -1
	s_cselect_b32 s1, -1, 0
	s_wait_xcnt 0x1
	v_add_nc_u64_e32 v[16:17], 2, v[16:17]
	s_wait_xcnt 0x0
	v_add_nc_u64_e32 v[20:21], 2, v[20:21]
	s_wait_loadcnt 0x0
	v_cmp_neq_f16_e32 vcc_lo, v19, v22
	v_cmp_eq_f16_e64 s0, v19, v22
	s_or_b32 s1, vcc_lo, s1
	s_delay_alu instid0(SALU_CYCLE_1) | instskip(NEXT) | instid1(SALU_CYCLE_1)
	s_and_b32 s1, exec_lo, s1
	s_or_b32 s29, s1, s29
	s_and_not1_b32 s31, s31, exec_lo
	s_and_b32 s33, s0, exec_lo
	s_mov_b64 s[0:1], s[34:35]
	s_or_b32 s31, s31, s33
	s_and_not1_b32 exec_lo, exec_lo, s29
	s_cbranch_execnz .LBB1321_146
; %bb.147:
	s_or_b32 exec_lo, exec_lo, s29
	s_xor_b32 s0, s31, -1
.LBB1321_148:
	s_delay_alu instid0(SALU_CYCLE_1)
	s_and_b32 s29, s0, exec_lo
.LBB1321_149:
	s_or_b32 exec_lo, exec_lo, s30
	v_add_nc_u32_e32 v16, 1, v1
	s_mov_b32 s30, exec_lo
	s_delay_alu instid0(VALU_DEP_1)
	v_cmpx_gt_u32_e64 s23, v16
	s_cbranch_execz .LBB1321_155
; %bb.150:
	s_and_not1_b32 vcc_lo, exec_lo, s7
	s_mov_b32 s0, 0
	s_cbranch_vccnz .LBB1321_154
; %bb.151:
	v_mul_u64_e32 v[16:17], s[18:19], v[10:11]
	s_wait_loadcnt_dscnt 0x1
	v_mul_u64_e32 v[20:21], s[18:19], v[12:13]
	s_add_nc_u64 s[0:1], s[18:19], -1
	s_mov_b32 s28, 0
                                        ; implicit-def: $sgpr31
	s_delay_alu instid0(VALU_DEP_2) | instskip(NEXT) | instid1(VALU_DEP_2)
	v_lshl_add_u64 v[16:17], v[16:17], 1, s[8:9]
	v_lshl_add_u64 v[20:21], v[20:21], 1, s[8:9]
.LBB1321_152:                           ; =>This Inner Loop Header: Depth=1
	global_load_u16 v19, v[16:17], off
	global_load_u16 v22, v[20:21], off
	s_cmp_eq_u64 s[0:1], 0
	s_add_nc_u64 s[34:35], s[0:1], -1
	s_cselect_b32 s1, -1, 0
	s_wait_xcnt 0x1
	v_add_nc_u64_e32 v[16:17], 2, v[16:17]
	s_wait_xcnt 0x0
	v_add_nc_u64_e32 v[20:21], 2, v[20:21]
	s_wait_loadcnt 0x0
	v_cmp_neq_f16_e32 vcc_lo, v19, v22
	v_cmp_eq_f16_e64 s0, v19, v22
	s_or_b32 s1, vcc_lo, s1
	s_delay_alu instid0(SALU_CYCLE_1) | instskip(NEXT) | instid1(SALU_CYCLE_1)
	s_and_b32 s1, exec_lo, s1
	s_or_b32 s28, s1, s28
	s_and_not1_b32 s31, s31, exec_lo
	s_and_b32 s33, s0, exec_lo
	s_mov_b64 s[0:1], s[34:35]
	s_or_b32 s31, s31, s33
	s_and_not1_b32 exec_lo, exec_lo, s28
	s_cbranch_execnz .LBB1321_152
; %bb.153:
	s_or_b32 exec_lo, exec_lo, s28
	s_xor_b32 s0, s31, -1
.LBB1321_154:
	s_delay_alu instid0(SALU_CYCLE_1)
	s_and_b32 s28, s0, exec_lo
.LBB1321_155:
	s_or_b32 exec_lo, exec_lo, s30
	v_cndmask_b32_e64 v17, 0, 1, s27
	v_cndmask_b32_e64 v30, 0, 1, s5
	;; [unrolled: 1-line block ×4, first 2 shown]
	s_wait_loadcnt_dscnt 0x1
	v_cndmask_b32_e64 v20, 0, 1, s26
	v_cndmask_b32_e64 v32, 0, 1, s28
	v_mov_b32_e32 v16, 1
	s_wait_dscnt 0x0
	s_barrier_signal -1
	s_barrier_wait -1
                                        ; implicit-def: $sgpr0
                                        ; implicit-def: $vgpr22
	s_and_saveexec_b32 s4, s3
	s_cbranch_execz .LBB1321_163
; %bb.156:
	v_lshlrev_b16 v21, 8, v32
	v_lshlrev_b16 v22, 8, v20
	s_mov_b32 s0, 0
	s_mov_b32 s3, exec_lo
	s_delay_alu instid0(VALU_DEP_1) | instskip(NEXT) | instid1(VALU_DEP_1)
	v_or_b32_e32 v22, v31, v22
	v_dual_lshlrev_b32 v22, 16, v22 :: v_dual_bitop2_b32 v21, 1, v21 bitop3:0x54
	s_delay_alu instid0(VALU_DEP_1) | instskip(NEXT) | instid1(VALU_DEP_1)
	v_and_b32_e32 v21, 0xffff, v21
	v_or_b32_e32 v21, v21, v22
	v_cmpx_gt_u32_e64 s23, v1
	s_cbranch_execz .LBB1321_162
; %bb.157:
	s_and_not1_b32 vcc_lo, exec_lo, s7
	s_cbranch_vccnz .LBB1321_161
; %bb.158:
	v_add_nc_u32_e32 v22, -8, v26
	v_mul_u64_e32 v[24:25], s[18:19], v[10:11]
	s_add_nc_u64 s[0:1], s[18:19], -1
	s_mov_b32 s5, 0
                                        ; implicit-def: $sgpr7
	ds_load_b64 v[22:23], v22
	s_wait_dscnt 0x0
	v_mul_u64_e32 v[22:23], s[18:19], v[22:23]
	v_lshl_add_u64 v[24:25], v[24:25], 1, s[8:9]
	s_delay_alu instid0(VALU_DEP_2)
	v_lshl_add_u64 v[22:23], v[22:23], 1, s[8:9]
.LBB1321_159:                           ; =>This Inner Loop Header: Depth=1
	global_load_u16 v26, v[22:23], off
	global_load_u16 v27, v[24:25], off
	s_cmp_eq_u64 s[0:1], 0
	s_add_nc_u64 s[8:9], s[0:1], -1
	s_cselect_b32 s1, -1, 0
	s_wait_xcnt 0x1
	v_add_nc_u64_e32 v[22:23], 2, v[22:23]
	s_wait_xcnt 0x0
	v_add_nc_u64_e32 v[24:25], 2, v[24:25]
	s_wait_loadcnt 0x0
	v_cmp_neq_f16_e32 vcc_lo, v26, v27
	v_cmp_eq_f16_e64 s0, v26, v27
	s_or_b32 s1, vcc_lo, s1
	s_delay_alu instid0(SALU_CYCLE_1) | instskip(NEXT) | instid1(SALU_CYCLE_1)
	s_and_b32 s1, exec_lo, s1
	s_or_b32 s5, s1, s5
	s_and_not1_b32 s7, s7, exec_lo
	s_and_b32 s18, s0, exec_lo
	s_mov_b64 s[0:1], s[8:9]
	s_or_b32 s7, s7, s18
	s_and_not1_b32 exec_lo, exec_lo, s5
	s_cbranch_execnz .LBB1321_159
; %bb.160:
	s_or_b32 exec_lo, exec_lo, s5
	s_xor_b32 s0, s7, -1
.LBB1321_161:
	s_delay_alu instid0(SALU_CYCLE_1)
	s_and_b32 s0, s0, exec_lo
.LBB1321_162:
	s_or_b32 exec_lo, exec_lo, s3
	s_delay_alu instid0(VALU_DEP_2)
	v_perm_b32 v22, v21, v21, 0x3020104
	s_or_b32 s6, s6, exec_lo
.LBB1321_163:
	s_or_b32 exec_lo, exec_lo, s4
.LBB1321_164:
	s_wait_xcnt 0x0
	s_and_saveexec_b32 s1, s6
	s_cbranch_execz .LBB1321_166
; %bb.165:
	s_wait_loadcnt_dscnt 0x0
	v_dual_lshrrev_b32 v20, 24, v22 :: v_dual_lshrrev_b32 v31, 16, v22
	v_lshrrev_b32_e32 v32, 8, v22
	v_cndmask_b32_e64 v16, 0, 1, s0
.LBB1321_166:
	s_or_b32 exec_lo, exec_lo, s1
	s_delay_alu instid0(SALU_CYCLE_1)
	s_and_not1_b32 vcc_lo, exec_lo, s24
	s_cbranch_vccnz .LBB1321_170
; %bb.167:
	s_delay_alu instid0(VALU_DEP_1)
	v_perm_b32 v16, v16, v32, 0xc0c0004
	s_wait_loadcnt_dscnt 0x0
	v_perm_b32 v20, v31, v20, 0xc0c0004
	v_cmp_gt_u32_e32 vcc_lo, s23, v1
	v_and_b32_e32 v19, 0xff, v19
	v_perm_b32 v17, v17, v30, 0xc0c0004
	v_add_nc_u32_e32 v21, 1, v1
	v_lshl_or_b32 v16, v20, 16, v16
	s_delay_alu instid0(VALU_DEP_4) | instskip(NEXT) | instid1(VALU_DEP_2)
	v_dual_add_nc_u32 v22, 4, v1 :: v_dual_lshlrev_b32 v19, 16, v19
	v_cndmask_b32_e32 v20, 0, v16, vcc_lo
	s_delay_alu instid0(VALU_DEP_4) | instskip(SKIP_1) | instid1(VALU_DEP_3)
	v_cmp_gt_u32_e32 vcc_lo, s23, v21
	v_add_nc_u32_e32 v21, 2, v1
	v_and_b32_e32 v20, 0xff, v20
	s_delay_alu instid0(VALU_DEP_1) | instskip(NEXT) | instid1(VALU_DEP_3)
	v_cndmask_b32_e32 v20, v20, v16, vcc_lo
	v_cmp_gt_u32_e32 vcc_lo, s23, v21
	s_delay_alu instid0(VALU_DEP_2) | instskip(SKIP_2) | instid1(VALU_DEP_3)
	v_and_b32_e32 v20, 0xffff, v20
	v_or_b32_e32 v23, v17, v19
	v_bitop3_b32 v17, v17, 0xffff00, v19 bitop3:0xc8
	v_cndmask_b32_e32 v19, v20, v16, vcc_lo
	v_cmp_gt_u32_e32 vcc_lo, s23, v22
	v_add_nc_u32_e32 v20, 5, v1
	s_delay_alu instid0(VALU_DEP_3) | instskip(SKIP_1) | instid1(VALU_DEP_3)
	v_and_b32_e32 v19, 0xffffff, v19
	v_dual_add_nc_u32 v21, 3, v1 :: v_dual_cndmask_b32 v17, v17, v23, vcc_lo
	v_cmp_gt_u32_e64 s0, s23, v20
	s_delay_alu instid0(VALU_DEP_2) | instskip(NEXT) | instid1(VALU_DEP_3)
	v_cmp_gt_u32_e64 s1, s23, v21
	v_and_b32_e32 v17, 0xffff00ff, v17
	s_or_b32 vcc_lo, s0, vcc_lo
	s_delay_alu instid0(VALU_DEP_1) | instskip(SKIP_1) | instid1(VALU_DEP_1)
	v_dual_cndmask_b32 v19, v19, v16, s1 :: v_dual_cndmask_b32 v17, v17, v23, s0
	s_mov_b32 s0, exec_lo
	v_dual_cndmask_b32 v16, v19, v16 :: v_dual_add_nc_u32 v1, 6, v1
	s_delay_alu instid0(VALU_DEP_2) | instskip(NEXT) | instid1(VALU_DEP_2)
	v_dual_lshrrev_b32 v30, 8, v17 :: v_dual_lshrrev_b32 v19, 16, v17
	v_lshrrev_b32_e32 v32, 8, v16
	v_lshrrev_b64 v[20:21], 24, v[16:17]
	v_lshrrev_b32_e32 v31, 16, v16
	v_cmpx_le_u32_e64 s23, v1
; %bb.168:
	v_mov_b32_e32 v19, 0
; %bb.169:
	s_or_b32 exec_lo, exec_lo, s0
.LBB1321_170:
	s_delay_alu instid0(VALU_DEP_1)
	v_and_b32_e32 v1, 0xff, v16
	s_wait_loadcnt_dscnt 0x0
	v_and_b32_e32 v21, 0xff, v32
	v_and_b32_e32 v33, 0xff, v31
	;; [unrolled: 1-line block ×4, first 2 shown]
	v_mbcnt_lo_u32_b32 v37, -1, 0
	v_and_b32_e32 v36, 0xff, v30
	v_add3_u32 v22, v21, v1, v33
	v_and_b32_e32 v23, 0xff, v19
	s_delay_alu instid0(VALU_DEP_4) | instskip(SKIP_1) | instid1(VALU_DEP_3)
	v_dual_lshrrev_b32 v38, 5, v0 :: v_dual_bitop2_b32 v24, 15, v37 bitop3:0x40
	s_and_b32 vcc_lo, exec_lo, s25
	v_add3_u32 v22, v22, v34, v35
	s_mov_b32 s7, -1
	s_delay_alu instid0(VALU_DEP_2) | instskip(SKIP_1) | instid1(VALU_DEP_3)
	v_cmp_eq_u32_e64 s0, 0, v24
	v_cmp_lt_u32_e64 s3, 1, v24
	v_add3_u32 v39, v22, v36, v23
	v_and_b32_e32 v22, 16, v37
	v_or_b32_e32 v23, 31, v0
	v_cmp_lt_u32_e64 s4, 3, v24
	v_cmp_lt_u32_e64 s1, 7, v24
	s_barrier_signal -1
	v_cmp_eq_u32_e64 s6, 0, v22
	v_cmp_eq_u32_e64 s5, v0, v23
	s_barrier_wait -1
                                        ; implicit-def: $vgpr25
                                        ; implicit-def: $vgpr26
                                        ; implicit-def: $vgpr27
                                        ; implicit-def: $vgpr28
                                        ; implicit-def: $vgpr29
                                        ; implicit-def: $vgpr40
                                        ; implicit-def: $vgpr41
                                        ; implicit-def: $vgpr24
                                        ; implicit-def: $vgpr22
	s_cbranch_vccz .LBB1321_197
; %bb.171:
	v_mov_b32_dpp v22, v39 row_shr:1 row_mask:0xf bank_mask:0xf
	s_delay_alu instid0(VALU_DEP_1) | instskip(NEXT) | instid1(VALU_DEP_1)
	v_cndmask_b32_e64 v22, v22, 0, s0
	v_add_nc_u32_e32 v22, v22, v39
	s_delay_alu instid0(VALU_DEP_1) | instskip(NEXT) | instid1(VALU_DEP_1)
	v_mov_b32_dpp v23, v22 row_shr:2 row_mask:0xf bank_mask:0xf
	v_cndmask_b32_e64 v23, 0, v23, s3
	s_delay_alu instid0(VALU_DEP_1) | instskip(NEXT) | instid1(VALU_DEP_1)
	v_add_nc_u32_e32 v22, v22, v23
	v_mov_b32_dpp v23, v22 row_shr:4 row_mask:0xf bank_mask:0xf
	s_delay_alu instid0(VALU_DEP_1) | instskip(NEXT) | instid1(VALU_DEP_1)
	v_cndmask_b32_e64 v23, 0, v23, s4
	v_add_nc_u32_e32 v22, v22, v23
	s_delay_alu instid0(VALU_DEP_1) | instskip(NEXT) | instid1(VALU_DEP_1)
	v_mov_b32_dpp v23, v22 row_shr:8 row_mask:0xf bank_mask:0xf
	v_cndmask_b32_e64 v23, 0, v23, s1
	s_delay_alu instid0(VALU_DEP_1) | instskip(SKIP_3) | instid1(VALU_DEP_1)
	v_add_nc_u32_e32 v22, v22, v23
	ds_swizzle_b32 v23, v22 offset:swizzle(BROADCAST,32,15)
	s_wait_dscnt 0x0
	v_cndmask_b32_e64 v23, v23, 0, s6
	v_add_nc_u32_e32 v22, v22, v23
	s_and_saveexec_b32 s7, s5
; %bb.172:
	v_lshlrev_b32_e32 v23, 2, v38
	ds_store_b32 v23, v22
; %bb.173:
	s_or_b32 exec_lo, exec_lo, s7
	s_delay_alu instid0(SALU_CYCLE_1)
	s_mov_b32 s7, exec_lo
	s_wait_dscnt 0x0
	s_barrier_signal -1
	s_barrier_wait -1
	v_cmpx_gt_u32_e32 16, v0
	s_cbranch_execz .LBB1321_175
; %bb.174:
	v_lshlrev_b32_e32 v23, 2, v0
	ds_load_b32 v24, v23
	s_wait_dscnt 0x0
	v_mov_b32_dpp v25, v24 row_shr:1 row_mask:0xf bank_mask:0xf
	s_delay_alu instid0(VALU_DEP_1) | instskip(NEXT) | instid1(VALU_DEP_1)
	v_cndmask_b32_e64 v25, v25, 0, s0
	v_add_nc_u32_e32 v24, v25, v24
	s_delay_alu instid0(VALU_DEP_1) | instskip(NEXT) | instid1(VALU_DEP_1)
	v_mov_b32_dpp v25, v24 row_shr:2 row_mask:0xf bank_mask:0xf
	v_cndmask_b32_e64 v25, 0, v25, s3
	s_delay_alu instid0(VALU_DEP_1) | instskip(NEXT) | instid1(VALU_DEP_1)
	v_add_nc_u32_e32 v24, v24, v25
	v_mov_b32_dpp v25, v24 row_shr:4 row_mask:0xf bank_mask:0xf
	s_delay_alu instid0(VALU_DEP_1) | instskip(NEXT) | instid1(VALU_DEP_1)
	v_cndmask_b32_e64 v25, 0, v25, s4
	v_add_nc_u32_e32 v24, v24, v25
	s_delay_alu instid0(VALU_DEP_1) | instskip(NEXT) | instid1(VALU_DEP_1)
	v_mov_b32_dpp v25, v24 row_shr:8 row_mask:0xf bank_mask:0xf
	v_cndmask_b32_e64 v25, 0, v25, s1
	s_delay_alu instid0(VALU_DEP_1)
	v_add_nc_u32_e32 v24, v24, v25
	ds_store_b32 v23, v24
.LBB1321_175:
	s_or_b32 exec_lo, exec_lo, s7
	s_delay_alu instid0(SALU_CYCLE_1)
	s_mov_b32 s8, exec_lo
	v_cmp_gt_u32_e32 vcc_lo, 32, v0
	s_wait_dscnt 0x0
	s_barrier_signal -1
	s_barrier_wait -1
                                        ; implicit-def: $vgpr40
	v_cmpx_lt_u32_e32 31, v0
	s_cbranch_execz .LBB1321_177
; %bb.176:
	v_lshl_add_u32 v23, v38, 2, -4
	ds_load_b32 v40, v23
	s_wait_dscnt 0x0
	v_add_nc_u32_e32 v22, v40, v22
.LBB1321_177:
	s_or_b32 exec_lo, exec_lo, s8
	v_sub_co_u32 v23, s7, v37, 1
	s_delay_alu instid0(VALU_DEP_1) | instskip(NEXT) | instid1(VALU_DEP_1)
	v_cmp_gt_i32_e64 s8, 0, v23
	v_cndmask_b32_e64 v23, v23, v37, s8
	s_delay_alu instid0(VALU_DEP_1)
	v_lshlrev_b32_e32 v23, 2, v23
	ds_bpermute_b32 v41, v23, v22
	s_and_saveexec_b32 s8, vcc_lo
	s_cbranch_execz .LBB1321_196
; %bb.178:
	v_mov_b32_e32 v29, 0
	ds_load_b32 v22, v29 offset:60
	s_and_saveexec_b32 s9, s7
	s_cbranch_execz .LBB1321_180
; %bb.179:
	s_add_co_i32 s18, s22, 32
	s_delay_alu instid0(SALU_CYCLE_1)
	v_dual_mov_b32 v23, 1 :: v_dual_mov_b32 v24, s18
	s_wait_dscnt 0x0
	global_store_b64 v24, v[22:23], s[10:11] scale_offset scope:SCOPE_DEV
.LBB1321_180:
	s_wait_xcnt 0x0
	s_or_b32 exec_lo, exec_lo, s9
	v_xad_u32 v24, v37, -1, s22
	s_mov_b32 s18, 0
	s_mov_b32 s9, exec_lo
	s_delay_alu instid0(VALU_DEP_1) | instskip(SKIP_4) | instid1(VALU_DEP_1)
	v_add_nc_u32_e32 v28, 32, v24
	global_load_b64 v[26:27], v28, s[10:11] scale_offset scope:SCOPE_DEV
	s_wait_loadcnt 0x0
	v_and_b32_e32 v23, 0xff, v27
	s_wait_xcnt 0x0
	v_cmpx_eq_u16_e32 0, v23
	s_cbranch_execz .LBB1321_184
; %bb.181:
	v_lshl_add_u64 v[28:29], v[28:29], 3, s[10:11]
.LBB1321_182:                           ; =>This Inner Loop Header: Depth=1
	global_load_b64 v[26:27], v[28:29], off scope:SCOPE_DEV
	s_wait_loadcnt 0x0
	v_and_b32_e32 v23, 0xff, v27
	s_delay_alu instid0(VALU_DEP_1)
	v_cmp_ne_u16_e32 vcc_lo, 0, v23
	s_or_b32 s18, vcc_lo, s18
	s_wait_xcnt 0x0
	s_and_not1_b32 exec_lo, exec_lo, s18
	s_cbranch_execnz .LBB1321_182
; %bb.183:
	s_or_b32 exec_lo, exec_lo, s18
.LBB1321_184:
	s_delay_alu instid0(SALU_CYCLE_1)
	s_or_b32 exec_lo, exec_lo, s9
	v_cmp_ne_u32_e32 vcc_lo, 31, v37
	v_lshlrev_b32_e64 v43, v37, -1
	v_lshl_or_b32 v50, v37, 2, 64
	v_dual_add_nc_u32 v45, 2, v37 :: v_dual_add_nc_u32 v47, 4, v37
	v_add_co_ci_u32_e64 v23, null, 0, v37, vcc_lo
	v_dual_add_nc_u32 v49, 8, v37 :: v_dual_add_nc_u32 v51, 16, v37
	s_delay_alu instid0(VALU_DEP_2)
	v_lshlrev_b32_e32 v42, 2, v23
	v_and_b32_e32 v23, 0xff, v27
	ds_bpermute_b32 v25, v42, v26
	v_cmp_eq_u16_e32 vcc_lo, 2, v23
	v_and_or_b32 v23, vcc_lo, v43, 0x80000000
	v_cmp_gt_u32_e32 vcc_lo, 30, v37
	s_delay_alu instid0(VALU_DEP_2) | instskip(SKIP_1) | instid1(VALU_DEP_2)
	v_ctz_i32_b32_e32 v23, v23
	v_cndmask_b32_e64 v28, 0, 2, vcc_lo
	v_cmp_lt_u32_e32 vcc_lo, v37, v23
	s_delay_alu instid0(VALU_DEP_2) | instskip(SKIP_3) | instid1(VALU_DEP_2)
	v_add_lshl_u32 v44, v28, v37, 2
	s_wait_dscnt 0x0
	v_cndmask_b32_e32 v25, 0, v25, vcc_lo
	v_cmp_gt_u32_e32 vcc_lo, 28, v37
	v_add_nc_u32_e32 v25, v25, v26
	v_cndmask_b32_e64 v28, 0, 4, vcc_lo
	v_cmp_le_u32_e32 vcc_lo, v45, v23
	ds_bpermute_b32 v26, v44, v25
	v_add_lshl_u32 v46, v28, v37, 2
	s_wait_dscnt 0x0
	v_cndmask_b32_e32 v26, 0, v26, vcc_lo
	v_cmp_gt_u32_e32 vcc_lo, 24, v37
	v_cndmask_b32_e64 v28, 0, 8, vcc_lo
	v_cmp_le_u32_e32 vcc_lo, v47, v23
	s_delay_alu instid0(VALU_DEP_4) | instskip(NEXT) | instid1(VALU_DEP_3)
	v_add_nc_u32_e32 v25, v25, v26
	v_add_lshl_u32 v48, v28, v37, 2
	ds_bpermute_b32 v26, v46, v25
	s_wait_dscnt 0x0
	v_cndmask_b32_e32 v26, 0, v26, vcc_lo
	v_cmp_le_u32_e32 vcc_lo, v49, v23
	s_delay_alu instid0(VALU_DEP_2) | instskip(SKIP_4) | instid1(VALU_DEP_2)
	v_add_nc_u32_e32 v25, v25, v26
	ds_bpermute_b32 v26, v48, v25
	s_wait_dscnt 0x0
	v_cndmask_b32_e32 v26, 0, v26, vcc_lo
	v_cmp_le_u32_e32 vcc_lo, v51, v23
	v_add_nc_u32_e32 v25, v25, v26
	ds_bpermute_b32 v26, v50, v25
	s_wait_dscnt 0x0
	v_cndmask_b32_e32 v23, 0, v26, vcc_lo
	s_delay_alu instid0(VALU_DEP_1)
	v_dual_mov_b32 v25, 0 :: v_dual_add_nc_u32 v26, v25, v23
	s_branch .LBB1321_187
.LBB1321_185:                           ;   in Loop: Header=BB1321_187 Depth=1
	s_or_b32 exec_lo, exec_lo, s9
	v_and_b32_e32 v28, 0xff, v27
	ds_bpermute_b32 v29, v42, v26
	v_subrev_nc_u32_e32 v24, 32, v24
	s_mov_b32 s9, 0
	v_cmp_eq_u16_e32 vcc_lo, 2, v28
	v_and_or_b32 v28, vcc_lo, v43, 0x80000000
	s_delay_alu instid0(VALU_DEP_1) | instskip(NEXT) | instid1(VALU_DEP_1)
	v_ctz_i32_b32_e32 v28, v28
	v_cmp_lt_u32_e32 vcc_lo, v37, v28
	s_wait_dscnt 0x0
	v_cndmask_b32_e32 v29, 0, v29, vcc_lo
	v_cmp_le_u32_e32 vcc_lo, v45, v28
	s_delay_alu instid0(VALU_DEP_2) | instskip(SKIP_4) | instid1(VALU_DEP_2)
	v_add_nc_u32_e32 v26, v29, v26
	ds_bpermute_b32 v29, v44, v26
	s_wait_dscnt 0x0
	v_cndmask_b32_e32 v29, 0, v29, vcc_lo
	v_cmp_le_u32_e32 vcc_lo, v47, v28
	v_add_nc_u32_e32 v26, v26, v29
	ds_bpermute_b32 v29, v46, v26
	s_wait_dscnt 0x0
	v_cndmask_b32_e32 v29, 0, v29, vcc_lo
	v_cmp_le_u32_e32 vcc_lo, v49, v28
	s_delay_alu instid0(VALU_DEP_2) | instskip(SKIP_4) | instid1(VALU_DEP_2)
	v_add_nc_u32_e32 v26, v26, v29
	ds_bpermute_b32 v29, v48, v26
	s_wait_dscnt 0x0
	v_cndmask_b32_e32 v29, 0, v29, vcc_lo
	v_cmp_le_u32_e32 vcc_lo, v51, v28
	v_add_nc_u32_e32 v26, v26, v29
	ds_bpermute_b32 v29, v50, v26
	s_wait_dscnt 0x0
	v_cndmask_b32_e32 v28, 0, v29, vcc_lo
	s_delay_alu instid0(VALU_DEP_1)
	v_add3_u32 v26, v28, v23, v26
.LBB1321_186:                           ;   in Loop: Header=BB1321_187 Depth=1
	s_and_b32 vcc_lo, exec_lo, s9
	s_cbranch_vccnz .LBB1321_192
.LBB1321_187:                           ; =>This Loop Header: Depth=1
                                        ;     Child Loop BB1321_190 Depth 2
	v_and_b32_e32 v23, 0xff, v27
	s_mov_b32 s9, -1
                                        ; implicit-def: $vgpr27
	s_delay_alu instid0(VALU_DEP_1)
	v_cmp_ne_u16_e32 vcc_lo, 2, v23
	v_mov_b32_e32 v23, v26
                                        ; implicit-def: $vgpr26
	s_cmp_lg_u32 vcc_lo, exec_lo
	s_cbranch_scc1 .LBB1321_186
; %bb.188:                              ;   in Loop: Header=BB1321_187 Depth=1
	global_load_b64 v[26:27], v24, s[10:11] scale_offset scope:SCOPE_DEV
	s_mov_b32 s9, exec_lo
	s_wait_loadcnt 0x0
	v_and_b32_e32 v28, 0xff, v27
	s_wait_xcnt 0x0
	s_delay_alu instid0(VALU_DEP_1)
	v_cmpx_eq_u16_e32 0, v28
	s_cbranch_execz .LBB1321_185
; %bb.189:                              ;   in Loop: Header=BB1321_187 Depth=1
	v_lshl_add_u64 v[28:29], v[24:25], 3, s[10:11]
	s_mov_b32 s18, 0
.LBB1321_190:                           ;   Parent Loop BB1321_187 Depth=1
                                        ; =>  This Inner Loop Header: Depth=2
	global_load_b64 v[26:27], v[28:29], off scope:SCOPE_DEV
	s_wait_loadcnt 0x0
	v_and_b32_e32 v52, 0xff, v27
	s_delay_alu instid0(VALU_DEP_1)
	v_cmp_ne_u16_e32 vcc_lo, 0, v52
	s_or_b32 s18, vcc_lo, s18
	s_wait_xcnt 0x0
	s_and_not1_b32 exec_lo, exec_lo, s18
	s_cbranch_execnz .LBB1321_190
; %bb.191:                              ;   in Loop: Header=BB1321_187 Depth=1
	s_or_b32 exec_lo, exec_lo, s18
	s_branch .LBB1321_185
.LBB1321_192:
	s_and_saveexec_b32 s9, s7
	s_cbranch_execz .LBB1321_194
; %bb.193:
	s_add_co_i32 s18, s22, 32
	v_dual_mov_b32 v25, 2 :: v_dual_add_nc_u32 v24, v23, v22
	v_dual_mov_b32 v26, s18 :: v_dual_mov_b32 v27, 0
	global_store_b64 v26, v[24:25], s[10:11] scale_offset scope:SCOPE_DEV
	ds_store_b64 v27, v[22:23] offset:28672
.LBB1321_194:
	s_wait_xcnt 0x0
	s_or_b32 exec_lo, exec_lo, s9
	s_delay_alu instid0(SALU_CYCLE_1)
	s_and_b32 exec_lo, exec_lo, s2
; %bb.195:
	v_mov_b32_e32 v22, 0
	ds_store_b32 v22, v23 offset:60
.LBB1321_196:
	s_or_b32 exec_lo, exec_lo, s8
	s_wait_dscnt 0x0
	v_dual_mov_b32 v22, 0 :: v_dual_cndmask_b32 v24, v41, v40, s7
	s_wait_storecnt 0x0
	s_barrier_signal -1
	s_barrier_wait -1
	ds_load_b32 v23, v22 offset:60
	v_cndmask_b32_e64 v24, v24, 0, s2
	s_wait_dscnt 0x0
	s_barrier_signal -1
	s_barrier_wait -1
	s_mov_b32 s7, 0
	v_add_nc_u32_e32 v41, v23, v24
	ds_load_b64 v[22:23], v22 offset:28672
	v_add_nc_u32_e32 v40, v41, v1
	s_delay_alu instid0(VALU_DEP_1) | instskip(NEXT) | instid1(VALU_DEP_1)
	v_add_nc_u32_e32 v29, v40, v21
	v_add_nc_u32_e32 v28, v29, v33
	s_wait_dscnt 0x0
	s_delay_alu instid0(VALU_DEP_1) | instskip(NEXT) | instid1(VALU_DEP_1)
	v_dual_mov_b32 v24, v23 :: v_dual_add_nc_u32 v27, v28, v34
	v_add_nc_u32_e32 v26, v27, v35
	s_delay_alu instid0(VALU_DEP_1)
	v_add_nc_u32_e32 v25, v26, v36
.LBB1321_197:
	s_and_b32 vcc_lo, exec_lo, s7
	s_cbranch_vccz .LBB1321_207
; %bb.198:
	v_mov_b32_dpp v22, v39 row_shr:1 row_mask:0xf bank_mask:0xf
	s_delay_alu instid0(VALU_DEP_1) | instskip(NEXT) | instid1(VALU_DEP_1)
	v_cndmask_b32_e64 v22, v22, 0, s0
	v_add_nc_u32_e32 v22, v22, v39
	s_delay_alu instid0(VALU_DEP_1) | instskip(NEXT) | instid1(VALU_DEP_1)
	v_mov_b32_dpp v23, v22 row_shr:2 row_mask:0xf bank_mask:0xf
	v_cndmask_b32_e64 v23, 0, v23, s3
	s_delay_alu instid0(VALU_DEP_1) | instskip(NEXT) | instid1(VALU_DEP_1)
	v_add_nc_u32_e32 v22, v22, v23
	v_mov_b32_dpp v23, v22 row_shr:4 row_mask:0xf bank_mask:0xf
	s_delay_alu instid0(VALU_DEP_1) | instskip(NEXT) | instid1(VALU_DEP_1)
	v_cndmask_b32_e64 v23, 0, v23, s4
	v_add_nc_u32_e32 v22, v22, v23
	s_delay_alu instid0(VALU_DEP_1) | instskip(NEXT) | instid1(VALU_DEP_1)
	v_mov_b32_dpp v23, v22 row_shr:8 row_mask:0xf bank_mask:0xf
	v_cndmask_b32_e64 v23, 0, v23, s1
	s_delay_alu instid0(VALU_DEP_1) | instskip(SKIP_3) | instid1(VALU_DEP_1)
	v_add_nc_u32_e32 v22, v22, v23
	ds_swizzle_b32 v23, v22 offset:swizzle(BROADCAST,32,15)
	s_wait_dscnt 0x0
	v_cndmask_b32_e64 v23, v23, 0, s6
	v_add_nc_u32_e32 v22, v22, v23
	s_and_saveexec_b32 s6, s5
; %bb.199:
	v_lshlrev_b32_e32 v23, 2, v38
	ds_store_b32 v23, v22
; %bb.200:
	s_or_b32 exec_lo, exec_lo, s6
	s_delay_alu instid0(SALU_CYCLE_1)
	s_mov_b32 s5, exec_lo
	s_wait_dscnt 0x0
	s_barrier_signal -1
	s_barrier_wait -1
	v_cmpx_gt_u32_e32 16, v0
	s_cbranch_execz .LBB1321_202
; %bb.201:
	v_lshlrev_b32_e32 v23, 2, v0
	ds_load_b32 v24, v23
	s_wait_dscnt 0x0
	v_mov_b32_dpp v25, v24 row_shr:1 row_mask:0xf bank_mask:0xf
	s_delay_alu instid0(VALU_DEP_1) | instskip(NEXT) | instid1(VALU_DEP_1)
	v_cndmask_b32_e64 v25, v25, 0, s0
	v_add_nc_u32_e32 v24, v25, v24
	s_delay_alu instid0(VALU_DEP_1) | instskip(NEXT) | instid1(VALU_DEP_1)
	v_mov_b32_dpp v25, v24 row_shr:2 row_mask:0xf bank_mask:0xf
	v_cndmask_b32_e64 v25, 0, v25, s3
	s_delay_alu instid0(VALU_DEP_1) | instskip(NEXT) | instid1(VALU_DEP_1)
	v_add_nc_u32_e32 v24, v24, v25
	v_mov_b32_dpp v25, v24 row_shr:4 row_mask:0xf bank_mask:0xf
	s_delay_alu instid0(VALU_DEP_1) | instskip(NEXT) | instid1(VALU_DEP_1)
	v_cndmask_b32_e64 v25, 0, v25, s4
	v_add_nc_u32_e32 v24, v24, v25
	s_delay_alu instid0(VALU_DEP_1) | instskip(NEXT) | instid1(VALU_DEP_1)
	v_mov_b32_dpp v25, v24 row_shr:8 row_mask:0xf bank_mask:0xf
	v_cndmask_b32_e64 v25, 0, v25, s1
	s_delay_alu instid0(VALU_DEP_1)
	v_add_nc_u32_e32 v24, v24, v25
	ds_store_b32 v23, v24
.LBB1321_202:
	s_or_b32 exec_lo, exec_lo, s5
	v_dual_mov_b32 v23, 0 :: v_dual_mov_b32 v24, 0
	s_mov_b32 s0, exec_lo
	s_wait_dscnt 0x0
	s_barrier_signal -1
	s_barrier_wait -1
	v_cmpx_lt_u32_e32 31, v0
; %bb.203:
	v_lshl_add_u32 v24, v38, 2, -4
	ds_load_b32 v24, v24
; %bb.204:
	s_or_b32 exec_lo, exec_lo, s0
	v_sub_co_u32 v25, vcc_lo, v37, 1
	s_wait_dscnt 0x0
	v_add_nc_u32_e32 v22, v24, v22
	s_delay_alu instid0(VALU_DEP_2) | instskip(NEXT) | instid1(VALU_DEP_1)
	v_cmp_gt_i32_e64 s0, 0, v25
	v_cndmask_b32_e64 v25, v25, v37, s0
	s_delay_alu instid0(VALU_DEP_1)
	v_lshlrev_b32_e32 v25, 2, v25
	ds_bpermute_b32 v25, v25, v22
	ds_load_b32 v22, v23 offset:60
	s_and_saveexec_b32 s0, s2
	s_cbranch_execz .LBB1321_206
; %bb.205:
	v_dual_mov_b32 v26, 0 :: v_dual_mov_b32 v23, 2
	s_wait_dscnt 0x0
	global_store_b64 v26, v[22:23], s[10:11] offset:256 scope:SCOPE_DEV
.LBB1321_206:
	s_wait_xcnt 0x0
	s_or_b32 exec_lo, exec_lo, s0
	s_wait_dscnt 0x1
	v_cndmask_b32_e32 v23, v25, v24, vcc_lo
	s_wait_storecnt_dscnt 0x0
	s_barrier_signal -1
	s_barrier_wait -1
	s_delay_alu instid0(VALU_DEP_1) | instskip(NEXT) | instid1(VALU_DEP_1)
	v_cndmask_b32_e64 v41, v23, 0, s2
	v_dual_mov_b32 v24, 0 :: v_dual_add_nc_u32 v40, v41, v1
	s_delay_alu instid0(VALU_DEP_1) | instskip(NEXT) | instid1(VALU_DEP_1)
	v_add_nc_u32_e32 v29, v40, v21
	v_add_nc_u32_e32 v28, v29, v33
	s_delay_alu instid0(VALU_DEP_1) | instskip(NEXT) | instid1(VALU_DEP_1)
	v_add_nc_u32_e32 v27, v28, v34
	v_add_nc_u32_e32 v26, v27, v35
	s_delay_alu instid0(VALU_DEP_1)
	v_add_nc_u32_e32 v25, v26, v36
.LBB1321_207:
	v_and_b32_e32 v1, 1, v16
	v_cmp_gt_u32_e32 vcc_lo, 0x201, v22
	s_mov_b32 s1, -1
	s_delay_alu instid0(VALU_DEP_2)
	v_cmp_eq_u32_e64 s0, 1, v1
	s_cbranch_vccnz .LBB1321_211
; %bb.208:
	s_and_b32 vcc_lo, exec_lo, s1
	s_cbranch_vccnz .LBB1321_226
.LBB1321_209:
	s_and_b32 s0, s2, s16
	s_delay_alu instid0(SALU_CYCLE_1)
	s_and_saveexec_b32 s1, s0
	s_cbranch_execnz .LBB1321_243
.LBB1321_210:
	s_endpgm
.LBB1321_211:
	v_add_nc_u32_e32 v16, v24, v22
	s_delay_alu instid0(VALU_DEP_1) | instskip(SKIP_1) | instid1(SALU_CYCLE_1)
	v_cmp_lt_u32_e32 vcc_lo, v41, v16
	s_or_b32 s1, s17, vcc_lo
	s_and_b32 s1, s1, s0
	s_delay_alu instid0(SALU_CYCLE_1)
	s_and_saveexec_b32 s0, s1
	s_cbranch_execz .LBB1321_213
; %bb.212:
	s_lshl_b64 s[4:5], s[14:15], 3
	s_delay_alu instid0(SALU_CYCLE_1)
	s_add_nc_u64 s[4:5], s[20:21], s[4:5]
	global_store_b64 v41, v[10:11], s[4:5] scale_offset
.LBB1321_213:
	s_wait_xcnt 0x0
	s_or_b32 exec_lo, exec_lo, s0
	v_and_b32_e32 v21, 1, v32
	v_cmp_lt_u32_e32 vcc_lo, v40, v16
	s_delay_alu instid0(VALU_DEP_2) | instskip(SKIP_1) | instid1(SALU_CYCLE_1)
	v_cmp_eq_u32_e64 s0, 1, v21
	s_or_b32 s1, s17, vcc_lo
	s_and_b32 s1, s1, s0
	s_delay_alu instid0(SALU_CYCLE_1)
	s_and_saveexec_b32 s0, s1
	s_cbranch_execz .LBB1321_215
; %bb.214:
	s_lshl_b64 s[4:5], s[14:15], 3
	s_delay_alu instid0(SALU_CYCLE_1)
	s_add_nc_u64 s[4:5], s[20:21], s[4:5]
	global_store_b64 v40, v[12:13], s[4:5] scale_offset
.LBB1321_215:
	s_wait_xcnt 0x0
	s_or_b32 exec_lo, exec_lo, s0
	v_and_b32_e32 v21, 1, v31
	v_cmp_lt_u32_e32 vcc_lo, v29, v16
	s_delay_alu instid0(VALU_DEP_2) | instskip(SKIP_1) | instid1(SALU_CYCLE_1)
	v_cmp_eq_u32_e64 s0, 1, v21
	;; [unrolled: 17-line block ×6, first 2 shown]
	s_or_b32 s1, s17, vcc_lo
	s_and_b32 s1, s1, s0
	s_delay_alu instid0(SALU_CYCLE_1)
	s_and_saveexec_b32 s0, s1
	s_cbranch_execz .LBB1321_225
; %bb.224:
	s_lshl_b64 s[4:5], s[14:15], 3
	s_delay_alu instid0(SALU_CYCLE_1)
	s_add_nc_u64 s[4:5], s[20:21], s[4:5]
	global_store_b64 v25, v[14:15], s[4:5] scale_offset
.LBB1321_225:
	s_wait_xcnt 0x0
	s_or_b32 exec_lo, exec_lo, s0
	s_branch .LBB1321_209
.LBB1321_226:
	s_mov_b32 s0, exec_lo
	v_cmpx_eq_u32_e32 1, v1
; %bb.227:
	v_sub_nc_u32_e32 v1, v41, v24
	s_delay_alu instid0(VALU_DEP_1)
	v_lshlrev_b32_e32 v1, 3, v1
	ds_store_b64 v1, v[10:11]
; %bb.228:
	s_or_b32 exec_lo, exec_lo, s0
	v_and_b32_e32 v1, 1, v32
	s_mov_b32 s0, exec_lo
	s_delay_alu instid0(VALU_DEP_1)
	v_cmpx_eq_u32_e32 1, v1
; %bb.229:
	v_sub_nc_u32_e32 v1, v40, v24
	s_delay_alu instid0(VALU_DEP_1)
	v_lshlrev_b32_e32 v1, 3, v1
	ds_store_b64 v1, v[12:13]
; %bb.230:
	s_or_b32 exec_lo, exec_lo, s0
	v_and_b32_e32 v1, 1, v31
	s_mov_b32 s0, exec_lo
	s_delay_alu instid0(VALU_DEP_1)
	;; [unrolled: 11-line block ×6, first 2 shown]
	v_cmpx_eq_u32_e32 1, v1
; %bb.239:
	v_sub_nc_u32_e32 v1, v25, v24
	s_delay_alu instid0(VALU_DEP_1)
	v_lshlrev_b32_e32 v1, 3, v1
	ds_store_b64 v1, v[14:15]
; %bb.240:
	s_or_b32 exec_lo, exec_lo, s0
	v_mov_b32_e32 v25, 0
	s_lshl_b64 s[0:1], s[14:15], 3
	s_wait_storecnt_dscnt 0x0
	s_barrier_signal -1
	s_barrier_wait -1
	v_lshlrev_b64_e32 v[2:3], 3, v[24:25]
	v_mov_b32_e32 v19, v25
	s_delay_alu instid0(VALU_DEP_2) | instskip(SKIP_1) | instid1(VALU_DEP_1)
	v_add_nc_u64_e32 v[2:3], s[0:1], v[2:3]
	s_mov_b32 s0, 0
	v_add_nc_u64_e32 v[2:3], s[20:21], v[2:3]
	s_delay_alu instid0(VALU_DEP_1)
	v_add_nc_u64_e32 v[2:3], v[2:3], v[18:19]
.LBB1321_241:                           ; =>This Inner Loop Header: Depth=1
	ds_load_b64 v[4:5], v18
	v_add_nc_u32_e32 v0, 0x200, v0
	v_add_nc_u32_e32 v18, 0x1000, v18
	s_delay_alu instid0(VALU_DEP_2)
	v_cmp_ge_u32_e32 vcc_lo, v0, v22
	s_or_b32 s0, vcc_lo, s0
	s_wait_dscnt 0x0
	global_store_b64 v[2:3], v[4:5], off
	s_wait_xcnt 0x0
	v_add_nc_u64_e32 v[2:3], 0x1000, v[2:3]
	s_and_not1_b32 exec_lo, exec_lo, s0
	s_cbranch_execnz .LBB1321_241
; %bb.242:
	s_or_b32 exec_lo, exec_lo, s0
	s_and_b32 s0, s2, s16
	s_delay_alu instid0(SALU_CYCLE_1)
	s_and_saveexec_b32 s1, s0
	s_cbranch_execz .LBB1321_210
.LBB1321_243:
	v_mov_b32_e32 v23, 0
	s_delay_alu instid0(VALU_DEP_1) | instskip(SKIP_1) | instid1(VALU_DEP_1)
	v_add_nc_u64_e32 v[0:1], s[14:15], v[22:23]
	v_mov_b32_e32 v25, v23
	v_add_nc_u64_e32 v[0:1], v[0:1], v[24:25]
	global_store_b64 v23, v[0:1], s[12:13]
	s_endpgm
	.section	.rodata,"a",@progbits
	.p2align	6, 0x0
	.amdhsa_kernel _ZN7rocprim17ROCPRIM_400000_NS6detail17trampoline_kernelINS0_14default_configENS1_25partition_config_selectorILNS1_17partition_subalgoE8ElNS0_10empty_typeEbEEZZNS1_14partition_implILS5_8ELb0ES3_jPlPS6_PKS6_NS0_5tupleIJS9_S6_EEENSD_IJSA_SA_EEENS0_18inequality_wrapperIZN2at6native12_GLOBAL__N_124unique_dim_cuda_templateIN3c104HalfEEESt5tupleIJNSH_6TensorESO_SO_EERKSO_lbbbEUlllE0_EEPmJS6_EEE10hipError_tPvRmT3_T4_T5_T6_T7_T9_mT8_P12ihipStream_tbDpT10_ENKUlT_T0_E_clISt17integral_constantIbLb0EES1D_IbLb1EEEEDaS19_S1A_EUlS19_E_NS1_11comp_targetILNS1_3genE0ELNS1_11target_archE4294967295ELNS1_3gpuE0ELNS1_3repE0EEENS1_30default_config_static_selectorELNS0_4arch9wavefront6targetE0EEEvT1_
		.amdhsa_group_segment_fixed_size 28680
		.amdhsa_private_segment_fixed_size 0
		.amdhsa_kernarg_size 136
		.amdhsa_user_sgpr_count 2
		.amdhsa_user_sgpr_dispatch_ptr 0
		.amdhsa_user_sgpr_queue_ptr 0
		.amdhsa_user_sgpr_kernarg_segment_ptr 1
		.amdhsa_user_sgpr_dispatch_id 0
		.amdhsa_user_sgpr_kernarg_preload_length 0
		.amdhsa_user_sgpr_kernarg_preload_offset 0
		.amdhsa_user_sgpr_private_segment_size 0
		.amdhsa_wavefront_size32 1
		.amdhsa_uses_dynamic_stack 0
		.amdhsa_enable_private_segment 0
		.amdhsa_system_sgpr_workgroup_id_x 1
		.amdhsa_system_sgpr_workgroup_id_y 0
		.amdhsa_system_sgpr_workgroup_id_z 0
		.amdhsa_system_sgpr_workgroup_info 0
		.amdhsa_system_vgpr_workitem_id 0
		.amdhsa_next_free_vgpr 53
		.amdhsa_next_free_sgpr 36
		.amdhsa_named_barrier_count 0
		.amdhsa_reserve_vcc 1
		.amdhsa_float_round_mode_32 0
		.amdhsa_float_round_mode_16_64 0
		.amdhsa_float_denorm_mode_32 3
		.amdhsa_float_denorm_mode_16_64 3
		.amdhsa_fp16_overflow 0
		.amdhsa_memory_ordered 1
		.amdhsa_forward_progress 1
		.amdhsa_inst_pref_size 83
		.amdhsa_round_robin_scheduling 0
		.amdhsa_exception_fp_ieee_invalid_op 0
		.amdhsa_exception_fp_denorm_src 0
		.amdhsa_exception_fp_ieee_div_zero 0
		.amdhsa_exception_fp_ieee_overflow 0
		.amdhsa_exception_fp_ieee_underflow 0
		.amdhsa_exception_fp_ieee_inexact 0
		.amdhsa_exception_int_div_zero 0
	.end_amdhsa_kernel
	.section	.text._ZN7rocprim17ROCPRIM_400000_NS6detail17trampoline_kernelINS0_14default_configENS1_25partition_config_selectorILNS1_17partition_subalgoE8ElNS0_10empty_typeEbEEZZNS1_14partition_implILS5_8ELb0ES3_jPlPS6_PKS6_NS0_5tupleIJS9_S6_EEENSD_IJSA_SA_EEENS0_18inequality_wrapperIZN2at6native12_GLOBAL__N_124unique_dim_cuda_templateIN3c104HalfEEESt5tupleIJNSH_6TensorESO_SO_EERKSO_lbbbEUlllE0_EEPmJS6_EEE10hipError_tPvRmT3_T4_T5_T6_T7_T9_mT8_P12ihipStream_tbDpT10_ENKUlT_T0_E_clISt17integral_constantIbLb0EES1D_IbLb1EEEEDaS19_S1A_EUlS19_E_NS1_11comp_targetILNS1_3genE0ELNS1_11target_archE4294967295ELNS1_3gpuE0ELNS1_3repE0EEENS1_30default_config_static_selectorELNS0_4arch9wavefront6targetE0EEEvT1_,"axG",@progbits,_ZN7rocprim17ROCPRIM_400000_NS6detail17trampoline_kernelINS0_14default_configENS1_25partition_config_selectorILNS1_17partition_subalgoE8ElNS0_10empty_typeEbEEZZNS1_14partition_implILS5_8ELb0ES3_jPlPS6_PKS6_NS0_5tupleIJS9_S6_EEENSD_IJSA_SA_EEENS0_18inequality_wrapperIZN2at6native12_GLOBAL__N_124unique_dim_cuda_templateIN3c104HalfEEESt5tupleIJNSH_6TensorESO_SO_EERKSO_lbbbEUlllE0_EEPmJS6_EEE10hipError_tPvRmT3_T4_T5_T6_T7_T9_mT8_P12ihipStream_tbDpT10_ENKUlT_T0_E_clISt17integral_constantIbLb0EES1D_IbLb1EEEEDaS19_S1A_EUlS19_E_NS1_11comp_targetILNS1_3genE0ELNS1_11target_archE4294967295ELNS1_3gpuE0ELNS1_3repE0EEENS1_30default_config_static_selectorELNS0_4arch9wavefront6targetE0EEEvT1_,comdat
.Lfunc_end1321:
	.size	_ZN7rocprim17ROCPRIM_400000_NS6detail17trampoline_kernelINS0_14default_configENS1_25partition_config_selectorILNS1_17partition_subalgoE8ElNS0_10empty_typeEbEEZZNS1_14partition_implILS5_8ELb0ES3_jPlPS6_PKS6_NS0_5tupleIJS9_S6_EEENSD_IJSA_SA_EEENS0_18inequality_wrapperIZN2at6native12_GLOBAL__N_124unique_dim_cuda_templateIN3c104HalfEEESt5tupleIJNSH_6TensorESO_SO_EERKSO_lbbbEUlllE0_EEPmJS6_EEE10hipError_tPvRmT3_T4_T5_T6_T7_T9_mT8_P12ihipStream_tbDpT10_ENKUlT_T0_E_clISt17integral_constantIbLb0EES1D_IbLb1EEEEDaS19_S1A_EUlS19_E_NS1_11comp_targetILNS1_3genE0ELNS1_11target_archE4294967295ELNS1_3gpuE0ELNS1_3repE0EEENS1_30default_config_static_selectorELNS0_4arch9wavefront6targetE0EEEvT1_, .Lfunc_end1321-_ZN7rocprim17ROCPRIM_400000_NS6detail17trampoline_kernelINS0_14default_configENS1_25partition_config_selectorILNS1_17partition_subalgoE8ElNS0_10empty_typeEbEEZZNS1_14partition_implILS5_8ELb0ES3_jPlPS6_PKS6_NS0_5tupleIJS9_S6_EEENSD_IJSA_SA_EEENS0_18inequality_wrapperIZN2at6native12_GLOBAL__N_124unique_dim_cuda_templateIN3c104HalfEEESt5tupleIJNSH_6TensorESO_SO_EERKSO_lbbbEUlllE0_EEPmJS6_EEE10hipError_tPvRmT3_T4_T5_T6_T7_T9_mT8_P12ihipStream_tbDpT10_ENKUlT_T0_E_clISt17integral_constantIbLb0EES1D_IbLb1EEEEDaS19_S1A_EUlS19_E_NS1_11comp_targetILNS1_3genE0ELNS1_11target_archE4294967295ELNS1_3gpuE0ELNS1_3repE0EEENS1_30default_config_static_selectorELNS0_4arch9wavefront6targetE0EEEvT1_
                                        ; -- End function
	.set _ZN7rocprim17ROCPRIM_400000_NS6detail17trampoline_kernelINS0_14default_configENS1_25partition_config_selectorILNS1_17partition_subalgoE8ElNS0_10empty_typeEbEEZZNS1_14partition_implILS5_8ELb0ES3_jPlPS6_PKS6_NS0_5tupleIJS9_S6_EEENSD_IJSA_SA_EEENS0_18inequality_wrapperIZN2at6native12_GLOBAL__N_124unique_dim_cuda_templateIN3c104HalfEEESt5tupleIJNSH_6TensorESO_SO_EERKSO_lbbbEUlllE0_EEPmJS6_EEE10hipError_tPvRmT3_T4_T5_T6_T7_T9_mT8_P12ihipStream_tbDpT10_ENKUlT_T0_E_clISt17integral_constantIbLb0EES1D_IbLb1EEEEDaS19_S1A_EUlS19_E_NS1_11comp_targetILNS1_3genE0ELNS1_11target_archE4294967295ELNS1_3gpuE0ELNS1_3repE0EEENS1_30default_config_static_selectorELNS0_4arch9wavefront6targetE0EEEvT1_.num_vgpr, 53
	.set _ZN7rocprim17ROCPRIM_400000_NS6detail17trampoline_kernelINS0_14default_configENS1_25partition_config_selectorILNS1_17partition_subalgoE8ElNS0_10empty_typeEbEEZZNS1_14partition_implILS5_8ELb0ES3_jPlPS6_PKS6_NS0_5tupleIJS9_S6_EEENSD_IJSA_SA_EEENS0_18inequality_wrapperIZN2at6native12_GLOBAL__N_124unique_dim_cuda_templateIN3c104HalfEEESt5tupleIJNSH_6TensorESO_SO_EERKSO_lbbbEUlllE0_EEPmJS6_EEE10hipError_tPvRmT3_T4_T5_T6_T7_T9_mT8_P12ihipStream_tbDpT10_ENKUlT_T0_E_clISt17integral_constantIbLb0EES1D_IbLb1EEEEDaS19_S1A_EUlS19_E_NS1_11comp_targetILNS1_3genE0ELNS1_11target_archE4294967295ELNS1_3gpuE0ELNS1_3repE0EEENS1_30default_config_static_selectorELNS0_4arch9wavefront6targetE0EEEvT1_.num_agpr, 0
	.set _ZN7rocprim17ROCPRIM_400000_NS6detail17trampoline_kernelINS0_14default_configENS1_25partition_config_selectorILNS1_17partition_subalgoE8ElNS0_10empty_typeEbEEZZNS1_14partition_implILS5_8ELb0ES3_jPlPS6_PKS6_NS0_5tupleIJS9_S6_EEENSD_IJSA_SA_EEENS0_18inequality_wrapperIZN2at6native12_GLOBAL__N_124unique_dim_cuda_templateIN3c104HalfEEESt5tupleIJNSH_6TensorESO_SO_EERKSO_lbbbEUlllE0_EEPmJS6_EEE10hipError_tPvRmT3_T4_T5_T6_T7_T9_mT8_P12ihipStream_tbDpT10_ENKUlT_T0_E_clISt17integral_constantIbLb0EES1D_IbLb1EEEEDaS19_S1A_EUlS19_E_NS1_11comp_targetILNS1_3genE0ELNS1_11target_archE4294967295ELNS1_3gpuE0ELNS1_3repE0EEENS1_30default_config_static_selectorELNS0_4arch9wavefront6targetE0EEEvT1_.numbered_sgpr, 36
	.set _ZN7rocprim17ROCPRIM_400000_NS6detail17trampoline_kernelINS0_14default_configENS1_25partition_config_selectorILNS1_17partition_subalgoE8ElNS0_10empty_typeEbEEZZNS1_14partition_implILS5_8ELb0ES3_jPlPS6_PKS6_NS0_5tupleIJS9_S6_EEENSD_IJSA_SA_EEENS0_18inequality_wrapperIZN2at6native12_GLOBAL__N_124unique_dim_cuda_templateIN3c104HalfEEESt5tupleIJNSH_6TensorESO_SO_EERKSO_lbbbEUlllE0_EEPmJS6_EEE10hipError_tPvRmT3_T4_T5_T6_T7_T9_mT8_P12ihipStream_tbDpT10_ENKUlT_T0_E_clISt17integral_constantIbLb0EES1D_IbLb1EEEEDaS19_S1A_EUlS19_E_NS1_11comp_targetILNS1_3genE0ELNS1_11target_archE4294967295ELNS1_3gpuE0ELNS1_3repE0EEENS1_30default_config_static_selectorELNS0_4arch9wavefront6targetE0EEEvT1_.num_named_barrier, 0
	.set _ZN7rocprim17ROCPRIM_400000_NS6detail17trampoline_kernelINS0_14default_configENS1_25partition_config_selectorILNS1_17partition_subalgoE8ElNS0_10empty_typeEbEEZZNS1_14partition_implILS5_8ELb0ES3_jPlPS6_PKS6_NS0_5tupleIJS9_S6_EEENSD_IJSA_SA_EEENS0_18inequality_wrapperIZN2at6native12_GLOBAL__N_124unique_dim_cuda_templateIN3c104HalfEEESt5tupleIJNSH_6TensorESO_SO_EERKSO_lbbbEUlllE0_EEPmJS6_EEE10hipError_tPvRmT3_T4_T5_T6_T7_T9_mT8_P12ihipStream_tbDpT10_ENKUlT_T0_E_clISt17integral_constantIbLb0EES1D_IbLb1EEEEDaS19_S1A_EUlS19_E_NS1_11comp_targetILNS1_3genE0ELNS1_11target_archE4294967295ELNS1_3gpuE0ELNS1_3repE0EEENS1_30default_config_static_selectorELNS0_4arch9wavefront6targetE0EEEvT1_.private_seg_size, 0
	.set _ZN7rocprim17ROCPRIM_400000_NS6detail17trampoline_kernelINS0_14default_configENS1_25partition_config_selectorILNS1_17partition_subalgoE8ElNS0_10empty_typeEbEEZZNS1_14partition_implILS5_8ELb0ES3_jPlPS6_PKS6_NS0_5tupleIJS9_S6_EEENSD_IJSA_SA_EEENS0_18inequality_wrapperIZN2at6native12_GLOBAL__N_124unique_dim_cuda_templateIN3c104HalfEEESt5tupleIJNSH_6TensorESO_SO_EERKSO_lbbbEUlllE0_EEPmJS6_EEE10hipError_tPvRmT3_T4_T5_T6_T7_T9_mT8_P12ihipStream_tbDpT10_ENKUlT_T0_E_clISt17integral_constantIbLb0EES1D_IbLb1EEEEDaS19_S1A_EUlS19_E_NS1_11comp_targetILNS1_3genE0ELNS1_11target_archE4294967295ELNS1_3gpuE0ELNS1_3repE0EEENS1_30default_config_static_selectorELNS0_4arch9wavefront6targetE0EEEvT1_.uses_vcc, 1
	.set _ZN7rocprim17ROCPRIM_400000_NS6detail17trampoline_kernelINS0_14default_configENS1_25partition_config_selectorILNS1_17partition_subalgoE8ElNS0_10empty_typeEbEEZZNS1_14partition_implILS5_8ELb0ES3_jPlPS6_PKS6_NS0_5tupleIJS9_S6_EEENSD_IJSA_SA_EEENS0_18inequality_wrapperIZN2at6native12_GLOBAL__N_124unique_dim_cuda_templateIN3c104HalfEEESt5tupleIJNSH_6TensorESO_SO_EERKSO_lbbbEUlllE0_EEPmJS6_EEE10hipError_tPvRmT3_T4_T5_T6_T7_T9_mT8_P12ihipStream_tbDpT10_ENKUlT_T0_E_clISt17integral_constantIbLb0EES1D_IbLb1EEEEDaS19_S1A_EUlS19_E_NS1_11comp_targetILNS1_3genE0ELNS1_11target_archE4294967295ELNS1_3gpuE0ELNS1_3repE0EEENS1_30default_config_static_selectorELNS0_4arch9wavefront6targetE0EEEvT1_.uses_flat_scratch, 0
	.set _ZN7rocprim17ROCPRIM_400000_NS6detail17trampoline_kernelINS0_14default_configENS1_25partition_config_selectorILNS1_17partition_subalgoE8ElNS0_10empty_typeEbEEZZNS1_14partition_implILS5_8ELb0ES3_jPlPS6_PKS6_NS0_5tupleIJS9_S6_EEENSD_IJSA_SA_EEENS0_18inequality_wrapperIZN2at6native12_GLOBAL__N_124unique_dim_cuda_templateIN3c104HalfEEESt5tupleIJNSH_6TensorESO_SO_EERKSO_lbbbEUlllE0_EEPmJS6_EEE10hipError_tPvRmT3_T4_T5_T6_T7_T9_mT8_P12ihipStream_tbDpT10_ENKUlT_T0_E_clISt17integral_constantIbLb0EES1D_IbLb1EEEEDaS19_S1A_EUlS19_E_NS1_11comp_targetILNS1_3genE0ELNS1_11target_archE4294967295ELNS1_3gpuE0ELNS1_3repE0EEENS1_30default_config_static_selectorELNS0_4arch9wavefront6targetE0EEEvT1_.has_dyn_sized_stack, 0
	.set _ZN7rocprim17ROCPRIM_400000_NS6detail17trampoline_kernelINS0_14default_configENS1_25partition_config_selectorILNS1_17partition_subalgoE8ElNS0_10empty_typeEbEEZZNS1_14partition_implILS5_8ELb0ES3_jPlPS6_PKS6_NS0_5tupleIJS9_S6_EEENSD_IJSA_SA_EEENS0_18inequality_wrapperIZN2at6native12_GLOBAL__N_124unique_dim_cuda_templateIN3c104HalfEEESt5tupleIJNSH_6TensorESO_SO_EERKSO_lbbbEUlllE0_EEPmJS6_EEE10hipError_tPvRmT3_T4_T5_T6_T7_T9_mT8_P12ihipStream_tbDpT10_ENKUlT_T0_E_clISt17integral_constantIbLb0EES1D_IbLb1EEEEDaS19_S1A_EUlS19_E_NS1_11comp_targetILNS1_3genE0ELNS1_11target_archE4294967295ELNS1_3gpuE0ELNS1_3repE0EEENS1_30default_config_static_selectorELNS0_4arch9wavefront6targetE0EEEvT1_.has_recursion, 0
	.set _ZN7rocprim17ROCPRIM_400000_NS6detail17trampoline_kernelINS0_14default_configENS1_25partition_config_selectorILNS1_17partition_subalgoE8ElNS0_10empty_typeEbEEZZNS1_14partition_implILS5_8ELb0ES3_jPlPS6_PKS6_NS0_5tupleIJS9_S6_EEENSD_IJSA_SA_EEENS0_18inequality_wrapperIZN2at6native12_GLOBAL__N_124unique_dim_cuda_templateIN3c104HalfEEESt5tupleIJNSH_6TensorESO_SO_EERKSO_lbbbEUlllE0_EEPmJS6_EEE10hipError_tPvRmT3_T4_T5_T6_T7_T9_mT8_P12ihipStream_tbDpT10_ENKUlT_T0_E_clISt17integral_constantIbLb0EES1D_IbLb1EEEEDaS19_S1A_EUlS19_E_NS1_11comp_targetILNS1_3genE0ELNS1_11target_archE4294967295ELNS1_3gpuE0ELNS1_3repE0EEENS1_30default_config_static_selectorELNS0_4arch9wavefront6targetE0EEEvT1_.has_indirect_call, 0
	.section	.AMDGPU.csdata,"",@progbits
; Kernel info:
; codeLenInByte = 10604
; TotalNumSgprs: 38
; NumVgprs: 53
; ScratchSize: 0
; MemoryBound: 0
; FloatMode: 240
; IeeeMode: 1
; LDSByteSize: 28680 bytes/workgroup (compile time only)
; SGPRBlocks: 0
; VGPRBlocks: 3
; NumSGPRsForWavesPerEU: 38
; NumVGPRsForWavesPerEU: 53
; NamedBarCnt: 0
; Occupancy: 16
; WaveLimiterHint : 1
; COMPUTE_PGM_RSRC2:SCRATCH_EN: 0
; COMPUTE_PGM_RSRC2:USER_SGPR: 2
; COMPUTE_PGM_RSRC2:TRAP_HANDLER: 0
; COMPUTE_PGM_RSRC2:TGID_X_EN: 1
; COMPUTE_PGM_RSRC2:TGID_Y_EN: 0
; COMPUTE_PGM_RSRC2:TGID_Z_EN: 0
; COMPUTE_PGM_RSRC2:TIDIG_COMP_CNT: 0
	.section	.text._ZN7rocprim17ROCPRIM_400000_NS6detail17trampoline_kernelINS0_14default_configENS1_25partition_config_selectorILNS1_17partition_subalgoE8ElNS0_10empty_typeEbEEZZNS1_14partition_implILS5_8ELb0ES3_jPlPS6_PKS6_NS0_5tupleIJS9_S6_EEENSD_IJSA_SA_EEENS0_18inequality_wrapperIZN2at6native12_GLOBAL__N_124unique_dim_cuda_templateIN3c104HalfEEESt5tupleIJNSH_6TensorESO_SO_EERKSO_lbbbEUlllE0_EEPmJS6_EEE10hipError_tPvRmT3_T4_T5_T6_T7_T9_mT8_P12ihipStream_tbDpT10_ENKUlT_T0_E_clISt17integral_constantIbLb0EES1D_IbLb1EEEEDaS19_S1A_EUlS19_E_NS1_11comp_targetILNS1_3genE5ELNS1_11target_archE942ELNS1_3gpuE9ELNS1_3repE0EEENS1_30default_config_static_selectorELNS0_4arch9wavefront6targetE0EEEvT1_,"axG",@progbits,_ZN7rocprim17ROCPRIM_400000_NS6detail17trampoline_kernelINS0_14default_configENS1_25partition_config_selectorILNS1_17partition_subalgoE8ElNS0_10empty_typeEbEEZZNS1_14partition_implILS5_8ELb0ES3_jPlPS6_PKS6_NS0_5tupleIJS9_S6_EEENSD_IJSA_SA_EEENS0_18inequality_wrapperIZN2at6native12_GLOBAL__N_124unique_dim_cuda_templateIN3c104HalfEEESt5tupleIJNSH_6TensorESO_SO_EERKSO_lbbbEUlllE0_EEPmJS6_EEE10hipError_tPvRmT3_T4_T5_T6_T7_T9_mT8_P12ihipStream_tbDpT10_ENKUlT_T0_E_clISt17integral_constantIbLb0EES1D_IbLb1EEEEDaS19_S1A_EUlS19_E_NS1_11comp_targetILNS1_3genE5ELNS1_11target_archE942ELNS1_3gpuE9ELNS1_3repE0EEENS1_30default_config_static_selectorELNS0_4arch9wavefront6targetE0EEEvT1_,comdat
	.globl	_ZN7rocprim17ROCPRIM_400000_NS6detail17trampoline_kernelINS0_14default_configENS1_25partition_config_selectorILNS1_17partition_subalgoE8ElNS0_10empty_typeEbEEZZNS1_14partition_implILS5_8ELb0ES3_jPlPS6_PKS6_NS0_5tupleIJS9_S6_EEENSD_IJSA_SA_EEENS0_18inequality_wrapperIZN2at6native12_GLOBAL__N_124unique_dim_cuda_templateIN3c104HalfEEESt5tupleIJNSH_6TensorESO_SO_EERKSO_lbbbEUlllE0_EEPmJS6_EEE10hipError_tPvRmT3_T4_T5_T6_T7_T9_mT8_P12ihipStream_tbDpT10_ENKUlT_T0_E_clISt17integral_constantIbLb0EES1D_IbLb1EEEEDaS19_S1A_EUlS19_E_NS1_11comp_targetILNS1_3genE5ELNS1_11target_archE942ELNS1_3gpuE9ELNS1_3repE0EEENS1_30default_config_static_selectorELNS0_4arch9wavefront6targetE0EEEvT1_ ; -- Begin function _ZN7rocprim17ROCPRIM_400000_NS6detail17trampoline_kernelINS0_14default_configENS1_25partition_config_selectorILNS1_17partition_subalgoE8ElNS0_10empty_typeEbEEZZNS1_14partition_implILS5_8ELb0ES3_jPlPS6_PKS6_NS0_5tupleIJS9_S6_EEENSD_IJSA_SA_EEENS0_18inequality_wrapperIZN2at6native12_GLOBAL__N_124unique_dim_cuda_templateIN3c104HalfEEESt5tupleIJNSH_6TensorESO_SO_EERKSO_lbbbEUlllE0_EEPmJS6_EEE10hipError_tPvRmT3_T4_T5_T6_T7_T9_mT8_P12ihipStream_tbDpT10_ENKUlT_T0_E_clISt17integral_constantIbLb0EES1D_IbLb1EEEEDaS19_S1A_EUlS19_E_NS1_11comp_targetILNS1_3genE5ELNS1_11target_archE942ELNS1_3gpuE9ELNS1_3repE0EEENS1_30default_config_static_selectorELNS0_4arch9wavefront6targetE0EEEvT1_
	.p2align	8
	.type	_ZN7rocprim17ROCPRIM_400000_NS6detail17trampoline_kernelINS0_14default_configENS1_25partition_config_selectorILNS1_17partition_subalgoE8ElNS0_10empty_typeEbEEZZNS1_14partition_implILS5_8ELb0ES3_jPlPS6_PKS6_NS0_5tupleIJS9_S6_EEENSD_IJSA_SA_EEENS0_18inequality_wrapperIZN2at6native12_GLOBAL__N_124unique_dim_cuda_templateIN3c104HalfEEESt5tupleIJNSH_6TensorESO_SO_EERKSO_lbbbEUlllE0_EEPmJS6_EEE10hipError_tPvRmT3_T4_T5_T6_T7_T9_mT8_P12ihipStream_tbDpT10_ENKUlT_T0_E_clISt17integral_constantIbLb0EES1D_IbLb1EEEEDaS19_S1A_EUlS19_E_NS1_11comp_targetILNS1_3genE5ELNS1_11target_archE942ELNS1_3gpuE9ELNS1_3repE0EEENS1_30default_config_static_selectorELNS0_4arch9wavefront6targetE0EEEvT1_,@function
_ZN7rocprim17ROCPRIM_400000_NS6detail17trampoline_kernelINS0_14default_configENS1_25partition_config_selectorILNS1_17partition_subalgoE8ElNS0_10empty_typeEbEEZZNS1_14partition_implILS5_8ELb0ES3_jPlPS6_PKS6_NS0_5tupleIJS9_S6_EEENSD_IJSA_SA_EEENS0_18inequality_wrapperIZN2at6native12_GLOBAL__N_124unique_dim_cuda_templateIN3c104HalfEEESt5tupleIJNSH_6TensorESO_SO_EERKSO_lbbbEUlllE0_EEPmJS6_EEE10hipError_tPvRmT3_T4_T5_T6_T7_T9_mT8_P12ihipStream_tbDpT10_ENKUlT_T0_E_clISt17integral_constantIbLb0EES1D_IbLb1EEEEDaS19_S1A_EUlS19_E_NS1_11comp_targetILNS1_3genE5ELNS1_11target_archE942ELNS1_3gpuE9ELNS1_3repE0EEENS1_30default_config_static_selectorELNS0_4arch9wavefront6targetE0EEEvT1_: ; @_ZN7rocprim17ROCPRIM_400000_NS6detail17trampoline_kernelINS0_14default_configENS1_25partition_config_selectorILNS1_17partition_subalgoE8ElNS0_10empty_typeEbEEZZNS1_14partition_implILS5_8ELb0ES3_jPlPS6_PKS6_NS0_5tupleIJS9_S6_EEENSD_IJSA_SA_EEENS0_18inequality_wrapperIZN2at6native12_GLOBAL__N_124unique_dim_cuda_templateIN3c104HalfEEESt5tupleIJNSH_6TensorESO_SO_EERKSO_lbbbEUlllE0_EEPmJS6_EEE10hipError_tPvRmT3_T4_T5_T6_T7_T9_mT8_P12ihipStream_tbDpT10_ENKUlT_T0_E_clISt17integral_constantIbLb0EES1D_IbLb1EEEEDaS19_S1A_EUlS19_E_NS1_11comp_targetILNS1_3genE5ELNS1_11target_archE942ELNS1_3gpuE9ELNS1_3repE0EEENS1_30default_config_static_selectorELNS0_4arch9wavefront6targetE0EEEvT1_
; %bb.0:
	.section	.rodata,"a",@progbits
	.p2align	6, 0x0
	.amdhsa_kernel _ZN7rocprim17ROCPRIM_400000_NS6detail17trampoline_kernelINS0_14default_configENS1_25partition_config_selectorILNS1_17partition_subalgoE8ElNS0_10empty_typeEbEEZZNS1_14partition_implILS5_8ELb0ES3_jPlPS6_PKS6_NS0_5tupleIJS9_S6_EEENSD_IJSA_SA_EEENS0_18inequality_wrapperIZN2at6native12_GLOBAL__N_124unique_dim_cuda_templateIN3c104HalfEEESt5tupleIJNSH_6TensorESO_SO_EERKSO_lbbbEUlllE0_EEPmJS6_EEE10hipError_tPvRmT3_T4_T5_T6_T7_T9_mT8_P12ihipStream_tbDpT10_ENKUlT_T0_E_clISt17integral_constantIbLb0EES1D_IbLb1EEEEDaS19_S1A_EUlS19_E_NS1_11comp_targetILNS1_3genE5ELNS1_11target_archE942ELNS1_3gpuE9ELNS1_3repE0EEENS1_30default_config_static_selectorELNS0_4arch9wavefront6targetE0EEEvT1_
		.amdhsa_group_segment_fixed_size 0
		.amdhsa_private_segment_fixed_size 0
		.amdhsa_kernarg_size 136
		.amdhsa_user_sgpr_count 2
		.amdhsa_user_sgpr_dispatch_ptr 0
		.amdhsa_user_sgpr_queue_ptr 0
		.amdhsa_user_sgpr_kernarg_segment_ptr 1
		.amdhsa_user_sgpr_dispatch_id 0
		.amdhsa_user_sgpr_kernarg_preload_length 0
		.amdhsa_user_sgpr_kernarg_preload_offset 0
		.amdhsa_user_sgpr_private_segment_size 0
		.amdhsa_wavefront_size32 1
		.amdhsa_uses_dynamic_stack 0
		.amdhsa_enable_private_segment 0
		.amdhsa_system_sgpr_workgroup_id_x 1
		.amdhsa_system_sgpr_workgroup_id_y 0
		.amdhsa_system_sgpr_workgroup_id_z 0
		.amdhsa_system_sgpr_workgroup_info 0
		.amdhsa_system_vgpr_workitem_id 0
		.amdhsa_next_free_vgpr 1
		.amdhsa_next_free_sgpr 1
		.amdhsa_named_barrier_count 0
		.amdhsa_reserve_vcc 0
		.amdhsa_float_round_mode_32 0
		.amdhsa_float_round_mode_16_64 0
		.amdhsa_float_denorm_mode_32 3
		.amdhsa_float_denorm_mode_16_64 3
		.amdhsa_fp16_overflow 0
		.amdhsa_memory_ordered 1
		.amdhsa_forward_progress 1
		.amdhsa_inst_pref_size 0
		.amdhsa_round_robin_scheduling 0
		.amdhsa_exception_fp_ieee_invalid_op 0
		.amdhsa_exception_fp_denorm_src 0
		.amdhsa_exception_fp_ieee_div_zero 0
		.amdhsa_exception_fp_ieee_overflow 0
		.amdhsa_exception_fp_ieee_underflow 0
		.amdhsa_exception_fp_ieee_inexact 0
		.amdhsa_exception_int_div_zero 0
	.end_amdhsa_kernel
	.section	.text._ZN7rocprim17ROCPRIM_400000_NS6detail17trampoline_kernelINS0_14default_configENS1_25partition_config_selectorILNS1_17partition_subalgoE8ElNS0_10empty_typeEbEEZZNS1_14partition_implILS5_8ELb0ES3_jPlPS6_PKS6_NS0_5tupleIJS9_S6_EEENSD_IJSA_SA_EEENS0_18inequality_wrapperIZN2at6native12_GLOBAL__N_124unique_dim_cuda_templateIN3c104HalfEEESt5tupleIJNSH_6TensorESO_SO_EERKSO_lbbbEUlllE0_EEPmJS6_EEE10hipError_tPvRmT3_T4_T5_T6_T7_T9_mT8_P12ihipStream_tbDpT10_ENKUlT_T0_E_clISt17integral_constantIbLb0EES1D_IbLb1EEEEDaS19_S1A_EUlS19_E_NS1_11comp_targetILNS1_3genE5ELNS1_11target_archE942ELNS1_3gpuE9ELNS1_3repE0EEENS1_30default_config_static_selectorELNS0_4arch9wavefront6targetE0EEEvT1_,"axG",@progbits,_ZN7rocprim17ROCPRIM_400000_NS6detail17trampoline_kernelINS0_14default_configENS1_25partition_config_selectorILNS1_17partition_subalgoE8ElNS0_10empty_typeEbEEZZNS1_14partition_implILS5_8ELb0ES3_jPlPS6_PKS6_NS0_5tupleIJS9_S6_EEENSD_IJSA_SA_EEENS0_18inequality_wrapperIZN2at6native12_GLOBAL__N_124unique_dim_cuda_templateIN3c104HalfEEESt5tupleIJNSH_6TensorESO_SO_EERKSO_lbbbEUlllE0_EEPmJS6_EEE10hipError_tPvRmT3_T4_T5_T6_T7_T9_mT8_P12ihipStream_tbDpT10_ENKUlT_T0_E_clISt17integral_constantIbLb0EES1D_IbLb1EEEEDaS19_S1A_EUlS19_E_NS1_11comp_targetILNS1_3genE5ELNS1_11target_archE942ELNS1_3gpuE9ELNS1_3repE0EEENS1_30default_config_static_selectorELNS0_4arch9wavefront6targetE0EEEvT1_,comdat
.Lfunc_end1322:
	.size	_ZN7rocprim17ROCPRIM_400000_NS6detail17trampoline_kernelINS0_14default_configENS1_25partition_config_selectorILNS1_17partition_subalgoE8ElNS0_10empty_typeEbEEZZNS1_14partition_implILS5_8ELb0ES3_jPlPS6_PKS6_NS0_5tupleIJS9_S6_EEENSD_IJSA_SA_EEENS0_18inequality_wrapperIZN2at6native12_GLOBAL__N_124unique_dim_cuda_templateIN3c104HalfEEESt5tupleIJNSH_6TensorESO_SO_EERKSO_lbbbEUlllE0_EEPmJS6_EEE10hipError_tPvRmT3_T4_T5_T6_T7_T9_mT8_P12ihipStream_tbDpT10_ENKUlT_T0_E_clISt17integral_constantIbLb0EES1D_IbLb1EEEEDaS19_S1A_EUlS19_E_NS1_11comp_targetILNS1_3genE5ELNS1_11target_archE942ELNS1_3gpuE9ELNS1_3repE0EEENS1_30default_config_static_selectorELNS0_4arch9wavefront6targetE0EEEvT1_, .Lfunc_end1322-_ZN7rocprim17ROCPRIM_400000_NS6detail17trampoline_kernelINS0_14default_configENS1_25partition_config_selectorILNS1_17partition_subalgoE8ElNS0_10empty_typeEbEEZZNS1_14partition_implILS5_8ELb0ES3_jPlPS6_PKS6_NS0_5tupleIJS9_S6_EEENSD_IJSA_SA_EEENS0_18inequality_wrapperIZN2at6native12_GLOBAL__N_124unique_dim_cuda_templateIN3c104HalfEEESt5tupleIJNSH_6TensorESO_SO_EERKSO_lbbbEUlllE0_EEPmJS6_EEE10hipError_tPvRmT3_T4_T5_T6_T7_T9_mT8_P12ihipStream_tbDpT10_ENKUlT_T0_E_clISt17integral_constantIbLb0EES1D_IbLb1EEEEDaS19_S1A_EUlS19_E_NS1_11comp_targetILNS1_3genE5ELNS1_11target_archE942ELNS1_3gpuE9ELNS1_3repE0EEENS1_30default_config_static_selectorELNS0_4arch9wavefront6targetE0EEEvT1_
                                        ; -- End function
	.set _ZN7rocprim17ROCPRIM_400000_NS6detail17trampoline_kernelINS0_14default_configENS1_25partition_config_selectorILNS1_17partition_subalgoE8ElNS0_10empty_typeEbEEZZNS1_14partition_implILS5_8ELb0ES3_jPlPS6_PKS6_NS0_5tupleIJS9_S6_EEENSD_IJSA_SA_EEENS0_18inequality_wrapperIZN2at6native12_GLOBAL__N_124unique_dim_cuda_templateIN3c104HalfEEESt5tupleIJNSH_6TensorESO_SO_EERKSO_lbbbEUlllE0_EEPmJS6_EEE10hipError_tPvRmT3_T4_T5_T6_T7_T9_mT8_P12ihipStream_tbDpT10_ENKUlT_T0_E_clISt17integral_constantIbLb0EES1D_IbLb1EEEEDaS19_S1A_EUlS19_E_NS1_11comp_targetILNS1_3genE5ELNS1_11target_archE942ELNS1_3gpuE9ELNS1_3repE0EEENS1_30default_config_static_selectorELNS0_4arch9wavefront6targetE0EEEvT1_.num_vgpr, 0
	.set _ZN7rocprim17ROCPRIM_400000_NS6detail17trampoline_kernelINS0_14default_configENS1_25partition_config_selectorILNS1_17partition_subalgoE8ElNS0_10empty_typeEbEEZZNS1_14partition_implILS5_8ELb0ES3_jPlPS6_PKS6_NS0_5tupleIJS9_S6_EEENSD_IJSA_SA_EEENS0_18inequality_wrapperIZN2at6native12_GLOBAL__N_124unique_dim_cuda_templateIN3c104HalfEEESt5tupleIJNSH_6TensorESO_SO_EERKSO_lbbbEUlllE0_EEPmJS6_EEE10hipError_tPvRmT3_T4_T5_T6_T7_T9_mT8_P12ihipStream_tbDpT10_ENKUlT_T0_E_clISt17integral_constantIbLb0EES1D_IbLb1EEEEDaS19_S1A_EUlS19_E_NS1_11comp_targetILNS1_3genE5ELNS1_11target_archE942ELNS1_3gpuE9ELNS1_3repE0EEENS1_30default_config_static_selectorELNS0_4arch9wavefront6targetE0EEEvT1_.num_agpr, 0
	.set _ZN7rocprim17ROCPRIM_400000_NS6detail17trampoline_kernelINS0_14default_configENS1_25partition_config_selectorILNS1_17partition_subalgoE8ElNS0_10empty_typeEbEEZZNS1_14partition_implILS5_8ELb0ES3_jPlPS6_PKS6_NS0_5tupleIJS9_S6_EEENSD_IJSA_SA_EEENS0_18inequality_wrapperIZN2at6native12_GLOBAL__N_124unique_dim_cuda_templateIN3c104HalfEEESt5tupleIJNSH_6TensorESO_SO_EERKSO_lbbbEUlllE0_EEPmJS6_EEE10hipError_tPvRmT3_T4_T5_T6_T7_T9_mT8_P12ihipStream_tbDpT10_ENKUlT_T0_E_clISt17integral_constantIbLb0EES1D_IbLb1EEEEDaS19_S1A_EUlS19_E_NS1_11comp_targetILNS1_3genE5ELNS1_11target_archE942ELNS1_3gpuE9ELNS1_3repE0EEENS1_30default_config_static_selectorELNS0_4arch9wavefront6targetE0EEEvT1_.numbered_sgpr, 0
	.set _ZN7rocprim17ROCPRIM_400000_NS6detail17trampoline_kernelINS0_14default_configENS1_25partition_config_selectorILNS1_17partition_subalgoE8ElNS0_10empty_typeEbEEZZNS1_14partition_implILS5_8ELb0ES3_jPlPS6_PKS6_NS0_5tupleIJS9_S6_EEENSD_IJSA_SA_EEENS0_18inequality_wrapperIZN2at6native12_GLOBAL__N_124unique_dim_cuda_templateIN3c104HalfEEESt5tupleIJNSH_6TensorESO_SO_EERKSO_lbbbEUlllE0_EEPmJS6_EEE10hipError_tPvRmT3_T4_T5_T6_T7_T9_mT8_P12ihipStream_tbDpT10_ENKUlT_T0_E_clISt17integral_constantIbLb0EES1D_IbLb1EEEEDaS19_S1A_EUlS19_E_NS1_11comp_targetILNS1_3genE5ELNS1_11target_archE942ELNS1_3gpuE9ELNS1_3repE0EEENS1_30default_config_static_selectorELNS0_4arch9wavefront6targetE0EEEvT1_.num_named_barrier, 0
	.set _ZN7rocprim17ROCPRIM_400000_NS6detail17trampoline_kernelINS0_14default_configENS1_25partition_config_selectorILNS1_17partition_subalgoE8ElNS0_10empty_typeEbEEZZNS1_14partition_implILS5_8ELb0ES3_jPlPS6_PKS6_NS0_5tupleIJS9_S6_EEENSD_IJSA_SA_EEENS0_18inequality_wrapperIZN2at6native12_GLOBAL__N_124unique_dim_cuda_templateIN3c104HalfEEESt5tupleIJNSH_6TensorESO_SO_EERKSO_lbbbEUlllE0_EEPmJS6_EEE10hipError_tPvRmT3_T4_T5_T6_T7_T9_mT8_P12ihipStream_tbDpT10_ENKUlT_T0_E_clISt17integral_constantIbLb0EES1D_IbLb1EEEEDaS19_S1A_EUlS19_E_NS1_11comp_targetILNS1_3genE5ELNS1_11target_archE942ELNS1_3gpuE9ELNS1_3repE0EEENS1_30default_config_static_selectorELNS0_4arch9wavefront6targetE0EEEvT1_.private_seg_size, 0
	.set _ZN7rocprim17ROCPRIM_400000_NS6detail17trampoline_kernelINS0_14default_configENS1_25partition_config_selectorILNS1_17partition_subalgoE8ElNS0_10empty_typeEbEEZZNS1_14partition_implILS5_8ELb0ES3_jPlPS6_PKS6_NS0_5tupleIJS9_S6_EEENSD_IJSA_SA_EEENS0_18inequality_wrapperIZN2at6native12_GLOBAL__N_124unique_dim_cuda_templateIN3c104HalfEEESt5tupleIJNSH_6TensorESO_SO_EERKSO_lbbbEUlllE0_EEPmJS6_EEE10hipError_tPvRmT3_T4_T5_T6_T7_T9_mT8_P12ihipStream_tbDpT10_ENKUlT_T0_E_clISt17integral_constantIbLb0EES1D_IbLb1EEEEDaS19_S1A_EUlS19_E_NS1_11comp_targetILNS1_3genE5ELNS1_11target_archE942ELNS1_3gpuE9ELNS1_3repE0EEENS1_30default_config_static_selectorELNS0_4arch9wavefront6targetE0EEEvT1_.uses_vcc, 0
	.set _ZN7rocprim17ROCPRIM_400000_NS6detail17trampoline_kernelINS0_14default_configENS1_25partition_config_selectorILNS1_17partition_subalgoE8ElNS0_10empty_typeEbEEZZNS1_14partition_implILS5_8ELb0ES3_jPlPS6_PKS6_NS0_5tupleIJS9_S6_EEENSD_IJSA_SA_EEENS0_18inequality_wrapperIZN2at6native12_GLOBAL__N_124unique_dim_cuda_templateIN3c104HalfEEESt5tupleIJNSH_6TensorESO_SO_EERKSO_lbbbEUlllE0_EEPmJS6_EEE10hipError_tPvRmT3_T4_T5_T6_T7_T9_mT8_P12ihipStream_tbDpT10_ENKUlT_T0_E_clISt17integral_constantIbLb0EES1D_IbLb1EEEEDaS19_S1A_EUlS19_E_NS1_11comp_targetILNS1_3genE5ELNS1_11target_archE942ELNS1_3gpuE9ELNS1_3repE0EEENS1_30default_config_static_selectorELNS0_4arch9wavefront6targetE0EEEvT1_.uses_flat_scratch, 0
	.set _ZN7rocprim17ROCPRIM_400000_NS6detail17trampoline_kernelINS0_14default_configENS1_25partition_config_selectorILNS1_17partition_subalgoE8ElNS0_10empty_typeEbEEZZNS1_14partition_implILS5_8ELb0ES3_jPlPS6_PKS6_NS0_5tupleIJS9_S6_EEENSD_IJSA_SA_EEENS0_18inequality_wrapperIZN2at6native12_GLOBAL__N_124unique_dim_cuda_templateIN3c104HalfEEESt5tupleIJNSH_6TensorESO_SO_EERKSO_lbbbEUlllE0_EEPmJS6_EEE10hipError_tPvRmT3_T4_T5_T6_T7_T9_mT8_P12ihipStream_tbDpT10_ENKUlT_T0_E_clISt17integral_constantIbLb0EES1D_IbLb1EEEEDaS19_S1A_EUlS19_E_NS1_11comp_targetILNS1_3genE5ELNS1_11target_archE942ELNS1_3gpuE9ELNS1_3repE0EEENS1_30default_config_static_selectorELNS0_4arch9wavefront6targetE0EEEvT1_.has_dyn_sized_stack, 0
	.set _ZN7rocprim17ROCPRIM_400000_NS6detail17trampoline_kernelINS0_14default_configENS1_25partition_config_selectorILNS1_17partition_subalgoE8ElNS0_10empty_typeEbEEZZNS1_14partition_implILS5_8ELb0ES3_jPlPS6_PKS6_NS0_5tupleIJS9_S6_EEENSD_IJSA_SA_EEENS0_18inequality_wrapperIZN2at6native12_GLOBAL__N_124unique_dim_cuda_templateIN3c104HalfEEESt5tupleIJNSH_6TensorESO_SO_EERKSO_lbbbEUlllE0_EEPmJS6_EEE10hipError_tPvRmT3_T4_T5_T6_T7_T9_mT8_P12ihipStream_tbDpT10_ENKUlT_T0_E_clISt17integral_constantIbLb0EES1D_IbLb1EEEEDaS19_S1A_EUlS19_E_NS1_11comp_targetILNS1_3genE5ELNS1_11target_archE942ELNS1_3gpuE9ELNS1_3repE0EEENS1_30default_config_static_selectorELNS0_4arch9wavefront6targetE0EEEvT1_.has_recursion, 0
	.set _ZN7rocprim17ROCPRIM_400000_NS6detail17trampoline_kernelINS0_14default_configENS1_25partition_config_selectorILNS1_17partition_subalgoE8ElNS0_10empty_typeEbEEZZNS1_14partition_implILS5_8ELb0ES3_jPlPS6_PKS6_NS0_5tupleIJS9_S6_EEENSD_IJSA_SA_EEENS0_18inequality_wrapperIZN2at6native12_GLOBAL__N_124unique_dim_cuda_templateIN3c104HalfEEESt5tupleIJNSH_6TensorESO_SO_EERKSO_lbbbEUlllE0_EEPmJS6_EEE10hipError_tPvRmT3_T4_T5_T6_T7_T9_mT8_P12ihipStream_tbDpT10_ENKUlT_T0_E_clISt17integral_constantIbLb0EES1D_IbLb1EEEEDaS19_S1A_EUlS19_E_NS1_11comp_targetILNS1_3genE5ELNS1_11target_archE942ELNS1_3gpuE9ELNS1_3repE0EEENS1_30default_config_static_selectorELNS0_4arch9wavefront6targetE0EEEvT1_.has_indirect_call, 0
	.section	.AMDGPU.csdata,"",@progbits
; Kernel info:
; codeLenInByte = 0
; TotalNumSgprs: 0
; NumVgprs: 0
; ScratchSize: 0
; MemoryBound: 0
; FloatMode: 240
; IeeeMode: 1
; LDSByteSize: 0 bytes/workgroup (compile time only)
; SGPRBlocks: 0
; VGPRBlocks: 0
; NumSGPRsForWavesPerEU: 1
; NumVGPRsForWavesPerEU: 1
; NamedBarCnt: 0
; Occupancy: 16
; WaveLimiterHint : 0
; COMPUTE_PGM_RSRC2:SCRATCH_EN: 0
; COMPUTE_PGM_RSRC2:USER_SGPR: 2
; COMPUTE_PGM_RSRC2:TRAP_HANDLER: 0
; COMPUTE_PGM_RSRC2:TGID_X_EN: 1
; COMPUTE_PGM_RSRC2:TGID_Y_EN: 0
; COMPUTE_PGM_RSRC2:TGID_Z_EN: 0
; COMPUTE_PGM_RSRC2:TIDIG_COMP_CNT: 0
	.section	.text._ZN7rocprim17ROCPRIM_400000_NS6detail17trampoline_kernelINS0_14default_configENS1_25partition_config_selectorILNS1_17partition_subalgoE8ElNS0_10empty_typeEbEEZZNS1_14partition_implILS5_8ELb0ES3_jPlPS6_PKS6_NS0_5tupleIJS9_S6_EEENSD_IJSA_SA_EEENS0_18inequality_wrapperIZN2at6native12_GLOBAL__N_124unique_dim_cuda_templateIN3c104HalfEEESt5tupleIJNSH_6TensorESO_SO_EERKSO_lbbbEUlllE0_EEPmJS6_EEE10hipError_tPvRmT3_T4_T5_T6_T7_T9_mT8_P12ihipStream_tbDpT10_ENKUlT_T0_E_clISt17integral_constantIbLb0EES1D_IbLb1EEEEDaS19_S1A_EUlS19_E_NS1_11comp_targetILNS1_3genE4ELNS1_11target_archE910ELNS1_3gpuE8ELNS1_3repE0EEENS1_30default_config_static_selectorELNS0_4arch9wavefront6targetE0EEEvT1_,"axG",@progbits,_ZN7rocprim17ROCPRIM_400000_NS6detail17trampoline_kernelINS0_14default_configENS1_25partition_config_selectorILNS1_17partition_subalgoE8ElNS0_10empty_typeEbEEZZNS1_14partition_implILS5_8ELb0ES3_jPlPS6_PKS6_NS0_5tupleIJS9_S6_EEENSD_IJSA_SA_EEENS0_18inequality_wrapperIZN2at6native12_GLOBAL__N_124unique_dim_cuda_templateIN3c104HalfEEESt5tupleIJNSH_6TensorESO_SO_EERKSO_lbbbEUlllE0_EEPmJS6_EEE10hipError_tPvRmT3_T4_T5_T6_T7_T9_mT8_P12ihipStream_tbDpT10_ENKUlT_T0_E_clISt17integral_constantIbLb0EES1D_IbLb1EEEEDaS19_S1A_EUlS19_E_NS1_11comp_targetILNS1_3genE4ELNS1_11target_archE910ELNS1_3gpuE8ELNS1_3repE0EEENS1_30default_config_static_selectorELNS0_4arch9wavefront6targetE0EEEvT1_,comdat
	.globl	_ZN7rocprim17ROCPRIM_400000_NS6detail17trampoline_kernelINS0_14default_configENS1_25partition_config_selectorILNS1_17partition_subalgoE8ElNS0_10empty_typeEbEEZZNS1_14partition_implILS5_8ELb0ES3_jPlPS6_PKS6_NS0_5tupleIJS9_S6_EEENSD_IJSA_SA_EEENS0_18inequality_wrapperIZN2at6native12_GLOBAL__N_124unique_dim_cuda_templateIN3c104HalfEEESt5tupleIJNSH_6TensorESO_SO_EERKSO_lbbbEUlllE0_EEPmJS6_EEE10hipError_tPvRmT3_T4_T5_T6_T7_T9_mT8_P12ihipStream_tbDpT10_ENKUlT_T0_E_clISt17integral_constantIbLb0EES1D_IbLb1EEEEDaS19_S1A_EUlS19_E_NS1_11comp_targetILNS1_3genE4ELNS1_11target_archE910ELNS1_3gpuE8ELNS1_3repE0EEENS1_30default_config_static_selectorELNS0_4arch9wavefront6targetE0EEEvT1_ ; -- Begin function _ZN7rocprim17ROCPRIM_400000_NS6detail17trampoline_kernelINS0_14default_configENS1_25partition_config_selectorILNS1_17partition_subalgoE8ElNS0_10empty_typeEbEEZZNS1_14partition_implILS5_8ELb0ES3_jPlPS6_PKS6_NS0_5tupleIJS9_S6_EEENSD_IJSA_SA_EEENS0_18inequality_wrapperIZN2at6native12_GLOBAL__N_124unique_dim_cuda_templateIN3c104HalfEEESt5tupleIJNSH_6TensorESO_SO_EERKSO_lbbbEUlllE0_EEPmJS6_EEE10hipError_tPvRmT3_T4_T5_T6_T7_T9_mT8_P12ihipStream_tbDpT10_ENKUlT_T0_E_clISt17integral_constantIbLb0EES1D_IbLb1EEEEDaS19_S1A_EUlS19_E_NS1_11comp_targetILNS1_3genE4ELNS1_11target_archE910ELNS1_3gpuE8ELNS1_3repE0EEENS1_30default_config_static_selectorELNS0_4arch9wavefront6targetE0EEEvT1_
	.p2align	8
	.type	_ZN7rocprim17ROCPRIM_400000_NS6detail17trampoline_kernelINS0_14default_configENS1_25partition_config_selectorILNS1_17partition_subalgoE8ElNS0_10empty_typeEbEEZZNS1_14partition_implILS5_8ELb0ES3_jPlPS6_PKS6_NS0_5tupleIJS9_S6_EEENSD_IJSA_SA_EEENS0_18inequality_wrapperIZN2at6native12_GLOBAL__N_124unique_dim_cuda_templateIN3c104HalfEEESt5tupleIJNSH_6TensorESO_SO_EERKSO_lbbbEUlllE0_EEPmJS6_EEE10hipError_tPvRmT3_T4_T5_T6_T7_T9_mT8_P12ihipStream_tbDpT10_ENKUlT_T0_E_clISt17integral_constantIbLb0EES1D_IbLb1EEEEDaS19_S1A_EUlS19_E_NS1_11comp_targetILNS1_3genE4ELNS1_11target_archE910ELNS1_3gpuE8ELNS1_3repE0EEENS1_30default_config_static_selectorELNS0_4arch9wavefront6targetE0EEEvT1_,@function
_ZN7rocprim17ROCPRIM_400000_NS6detail17trampoline_kernelINS0_14default_configENS1_25partition_config_selectorILNS1_17partition_subalgoE8ElNS0_10empty_typeEbEEZZNS1_14partition_implILS5_8ELb0ES3_jPlPS6_PKS6_NS0_5tupleIJS9_S6_EEENSD_IJSA_SA_EEENS0_18inequality_wrapperIZN2at6native12_GLOBAL__N_124unique_dim_cuda_templateIN3c104HalfEEESt5tupleIJNSH_6TensorESO_SO_EERKSO_lbbbEUlllE0_EEPmJS6_EEE10hipError_tPvRmT3_T4_T5_T6_T7_T9_mT8_P12ihipStream_tbDpT10_ENKUlT_T0_E_clISt17integral_constantIbLb0EES1D_IbLb1EEEEDaS19_S1A_EUlS19_E_NS1_11comp_targetILNS1_3genE4ELNS1_11target_archE910ELNS1_3gpuE8ELNS1_3repE0EEENS1_30default_config_static_selectorELNS0_4arch9wavefront6targetE0EEEvT1_: ; @_ZN7rocprim17ROCPRIM_400000_NS6detail17trampoline_kernelINS0_14default_configENS1_25partition_config_selectorILNS1_17partition_subalgoE8ElNS0_10empty_typeEbEEZZNS1_14partition_implILS5_8ELb0ES3_jPlPS6_PKS6_NS0_5tupleIJS9_S6_EEENSD_IJSA_SA_EEENS0_18inequality_wrapperIZN2at6native12_GLOBAL__N_124unique_dim_cuda_templateIN3c104HalfEEESt5tupleIJNSH_6TensorESO_SO_EERKSO_lbbbEUlllE0_EEPmJS6_EEE10hipError_tPvRmT3_T4_T5_T6_T7_T9_mT8_P12ihipStream_tbDpT10_ENKUlT_T0_E_clISt17integral_constantIbLb0EES1D_IbLb1EEEEDaS19_S1A_EUlS19_E_NS1_11comp_targetILNS1_3genE4ELNS1_11target_archE910ELNS1_3gpuE8ELNS1_3repE0EEENS1_30default_config_static_selectorELNS0_4arch9wavefront6targetE0EEEvT1_
; %bb.0:
	.section	.rodata,"a",@progbits
	.p2align	6, 0x0
	.amdhsa_kernel _ZN7rocprim17ROCPRIM_400000_NS6detail17trampoline_kernelINS0_14default_configENS1_25partition_config_selectorILNS1_17partition_subalgoE8ElNS0_10empty_typeEbEEZZNS1_14partition_implILS5_8ELb0ES3_jPlPS6_PKS6_NS0_5tupleIJS9_S6_EEENSD_IJSA_SA_EEENS0_18inequality_wrapperIZN2at6native12_GLOBAL__N_124unique_dim_cuda_templateIN3c104HalfEEESt5tupleIJNSH_6TensorESO_SO_EERKSO_lbbbEUlllE0_EEPmJS6_EEE10hipError_tPvRmT3_T4_T5_T6_T7_T9_mT8_P12ihipStream_tbDpT10_ENKUlT_T0_E_clISt17integral_constantIbLb0EES1D_IbLb1EEEEDaS19_S1A_EUlS19_E_NS1_11comp_targetILNS1_3genE4ELNS1_11target_archE910ELNS1_3gpuE8ELNS1_3repE0EEENS1_30default_config_static_selectorELNS0_4arch9wavefront6targetE0EEEvT1_
		.amdhsa_group_segment_fixed_size 0
		.amdhsa_private_segment_fixed_size 0
		.amdhsa_kernarg_size 136
		.amdhsa_user_sgpr_count 2
		.amdhsa_user_sgpr_dispatch_ptr 0
		.amdhsa_user_sgpr_queue_ptr 0
		.amdhsa_user_sgpr_kernarg_segment_ptr 1
		.amdhsa_user_sgpr_dispatch_id 0
		.amdhsa_user_sgpr_kernarg_preload_length 0
		.amdhsa_user_sgpr_kernarg_preload_offset 0
		.amdhsa_user_sgpr_private_segment_size 0
		.amdhsa_wavefront_size32 1
		.amdhsa_uses_dynamic_stack 0
		.amdhsa_enable_private_segment 0
		.amdhsa_system_sgpr_workgroup_id_x 1
		.amdhsa_system_sgpr_workgroup_id_y 0
		.amdhsa_system_sgpr_workgroup_id_z 0
		.amdhsa_system_sgpr_workgroup_info 0
		.amdhsa_system_vgpr_workitem_id 0
		.amdhsa_next_free_vgpr 1
		.amdhsa_next_free_sgpr 1
		.amdhsa_named_barrier_count 0
		.amdhsa_reserve_vcc 0
		.amdhsa_float_round_mode_32 0
		.amdhsa_float_round_mode_16_64 0
		.amdhsa_float_denorm_mode_32 3
		.amdhsa_float_denorm_mode_16_64 3
		.amdhsa_fp16_overflow 0
		.amdhsa_memory_ordered 1
		.amdhsa_forward_progress 1
		.amdhsa_inst_pref_size 0
		.amdhsa_round_robin_scheduling 0
		.amdhsa_exception_fp_ieee_invalid_op 0
		.amdhsa_exception_fp_denorm_src 0
		.amdhsa_exception_fp_ieee_div_zero 0
		.amdhsa_exception_fp_ieee_overflow 0
		.amdhsa_exception_fp_ieee_underflow 0
		.amdhsa_exception_fp_ieee_inexact 0
		.amdhsa_exception_int_div_zero 0
	.end_amdhsa_kernel
	.section	.text._ZN7rocprim17ROCPRIM_400000_NS6detail17trampoline_kernelINS0_14default_configENS1_25partition_config_selectorILNS1_17partition_subalgoE8ElNS0_10empty_typeEbEEZZNS1_14partition_implILS5_8ELb0ES3_jPlPS6_PKS6_NS0_5tupleIJS9_S6_EEENSD_IJSA_SA_EEENS0_18inequality_wrapperIZN2at6native12_GLOBAL__N_124unique_dim_cuda_templateIN3c104HalfEEESt5tupleIJNSH_6TensorESO_SO_EERKSO_lbbbEUlllE0_EEPmJS6_EEE10hipError_tPvRmT3_T4_T5_T6_T7_T9_mT8_P12ihipStream_tbDpT10_ENKUlT_T0_E_clISt17integral_constantIbLb0EES1D_IbLb1EEEEDaS19_S1A_EUlS19_E_NS1_11comp_targetILNS1_3genE4ELNS1_11target_archE910ELNS1_3gpuE8ELNS1_3repE0EEENS1_30default_config_static_selectorELNS0_4arch9wavefront6targetE0EEEvT1_,"axG",@progbits,_ZN7rocprim17ROCPRIM_400000_NS6detail17trampoline_kernelINS0_14default_configENS1_25partition_config_selectorILNS1_17partition_subalgoE8ElNS0_10empty_typeEbEEZZNS1_14partition_implILS5_8ELb0ES3_jPlPS6_PKS6_NS0_5tupleIJS9_S6_EEENSD_IJSA_SA_EEENS0_18inequality_wrapperIZN2at6native12_GLOBAL__N_124unique_dim_cuda_templateIN3c104HalfEEESt5tupleIJNSH_6TensorESO_SO_EERKSO_lbbbEUlllE0_EEPmJS6_EEE10hipError_tPvRmT3_T4_T5_T6_T7_T9_mT8_P12ihipStream_tbDpT10_ENKUlT_T0_E_clISt17integral_constantIbLb0EES1D_IbLb1EEEEDaS19_S1A_EUlS19_E_NS1_11comp_targetILNS1_3genE4ELNS1_11target_archE910ELNS1_3gpuE8ELNS1_3repE0EEENS1_30default_config_static_selectorELNS0_4arch9wavefront6targetE0EEEvT1_,comdat
.Lfunc_end1323:
	.size	_ZN7rocprim17ROCPRIM_400000_NS6detail17trampoline_kernelINS0_14default_configENS1_25partition_config_selectorILNS1_17partition_subalgoE8ElNS0_10empty_typeEbEEZZNS1_14partition_implILS5_8ELb0ES3_jPlPS6_PKS6_NS0_5tupleIJS9_S6_EEENSD_IJSA_SA_EEENS0_18inequality_wrapperIZN2at6native12_GLOBAL__N_124unique_dim_cuda_templateIN3c104HalfEEESt5tupleIJNSH_6TensorESO_SO_EERKSO_lbbbEUlllE0_EEPmJS6_EEE10hipError_tPvRmT3_T4_T5_T6_T7_T9_mT8_P12ihipStream_tbDpT10_ENKUlT_T0_E_clISt17integral_constantIbLb0EES1D_IbLb1EEEEDaS19_S1A_EUlS19_E_NS1_11comp_targetILNS1_3genE4ELNS1_11target_archE910ELNS1_3gpuE8ELNS1_3repE0EEENS1_30default_config_static_selectorELNS0_4arch9wavefront6targetE0EEEvT1_, .Lfunc_end1323-_ZN7rocprim17ROCPRIM_400000_NS6detail17trampoline_kernelINS0_14default_configENS1_25partition_config_selectorILNS1_17partition_subalgoE8ElNS0_10empty_typeEbEEZZNS1_14partition_implILS5_8ELb0ES3_jPlPS6_PKS6_NS0_5tupleIJS9_S6_EEENSD_IJSA_SA_EEENS0_18inequality_wrapperIZN2at6native12_GLOBAL__N_124unique_dim_cuda_templateIN3c104HalfEEESt5tupleIJNSH_6TensorESO_SO_EERKSO_lbbbEUlllE0_EEPmJS6_EEE10hipError_tPvRmT3_T4_T5_T6_T7_T9_mT8_P12ihipStream_tbDpT10_ENKUlT_T0_E_clISt17integral_constantIbLb0EES1D_IbLb1EEEEDaS19_S1A_EUlS19_E_NS1_11comp_targetILNS1_3genE4ELNS1_11target_archE910ELNS1_3gpuE8ELNS1_3repE0EEENS1_30default_config_static_selectorELNS0_4arch9wavefront6targetE0EEEvT1_
                                        ; -- End function
	.set _ZN7rocprim17ROCPRIM_400000_NS6detail17trampoline_kernelINS0_14default_configENS1_25partition_config_selectorILNS1_17partition_subalgoE8ElNS0_10empty_typeEbEEZZNS1_14partition_implILS5_8ELb0ES3_jPlPS6_PKS6_NS0_5tupleIJS9_S6_EEENSD_IJSA_SA_EEENS0_18inequality_wrapperIZN2at6native12_GLOBAL__N_124unique_dim_cuda_templateIN3c104HalfEEESt5tupleIJNSH_6TensorESO_SO_EERKSO_lbbbEUlllE0_EEPmJS6_EEE10hipError_tPvRmT3_T4_T5_T6_T7_T9_mT8_P12ihipStream_tbDpT10_ENKUlT_T0_E_clISt17integral_constantIbLb0EES1D_IbLb1EEEEDaS19_S1A_EUlS19_E_NS1_11comp_targetILNS1_3genE4ELNS1_11target_archE910ELNS1_3gpuE8ELNS1_3repE0EEENS1_30default_config_static_selectorELNS0_4arch9wavefront6targetE0EEEvT1_.num_vgpr, 0
	.set _ZN7rocprim17ROCPRIM_400000_NS6detail17trampoline_kernelINS0_14default_configENS1_25partition_config_selectorILNS1_17partition_subalgoE8ElNS0_10empty_typeEbEEZZNS1_14partition_implILS5_8ELb0ES3_jPlPS6_PKS6_NS0_5tupleIJS9_S6_EEENSD_IJSA_SA_EEENS0_18inequality_wrapperIZN2at6native12_GLOBAL__N_124unique_dim_cuda_templateIN3c104HalfEEESt5tupleIJNSH_6TensorESO_SO_EERKSO_lbbbEUlllE0_EEPmJS6_EEE10hipError_tPvRmT3_T4_T5_T6_T7_T9_mT8_P12ihipStream_tbDpT10_ENKUlT_T0_E_clISt17integral_constantIbLb0EES1D_IbLb1EEEEDaS19_S1A_EUlS19_E_NS1_11comp_targetILNS1_3genE4ELNS1_11target_archE910ELNS1_3gpuE8ELNS1_3repE0EEENS1_30default_config_static_selectorELNS0_4arch9wavefront6targetE0EEEvT1_.num_agpr, 0
	.set _ZN7rocprim17ROCPRIM_400000_NS6detail17trampoline_kernelINS0_14default_configENS1_25partition_config_selectorILNS1_17partition_subalgoE8ElNS0_10empty_typeEbEEZZNS1_14partition_implILS5_8ELb0ES3_jPlPS6_PKS6_NS0_5tupleIJS9_S6_EEENSD_IJSA_SA_EEENS0_18inequality_wrapperIZN2at6native12_GLOBAL__N_124unique_dim_cuda_templateIN3c104HalfEEESt5tupleIJNSH_6TensorESO_SO_EERKSO_lbbbEUlllE0_EEPmJS6_EEE10hipError_tPvRmT3_T4_T5_T6_T7_T9_mT8_P12ihipStream_tbDpT10_ENKUlT_T0_E_clISt17integral_constantIbLb0EES1D_IbLb1EEEEDaS19_S1A_EUlS19_E_NS1_11comp_targetILNS1_3genE4ELNS1_11target_archE910ELNS1_3gpuE8ELNS1_3repE0EEENS1_30default_config_static_selectorELNS0_4arch9wavefront6targetE0EEEvT1_.numbered_sgpr, 0
	.set _ZN7rocprim17ROCPRIM_400000_NS6detail17trampoline_kernelINS0_14default_configENS1_25partition_config_selectorILNS1_17partition_subalgoE8ElNS0_10empty_typeEbEEZZNS1_14partition_implILS5_8ELb0ES3_jPlPS6_PKS6_NS0_5tupleIJS9_S6_EEENSD_IJSA_SA_EEENS0_18inequality_wrapperIZN2at6native12_GLOBAL__N_124unique_dim_cuda_templateIN3c104HalfEEESt5tupleIJNSH_6TensorESO_SO_EERKSO_lbbbEUlllE0_EEPmJS6_EEE10hipError_tPvRmT3_T4_T5_T6_T7_T9_mT8_P12ihipStream_tbDpT10_ENKUlT_T0_E_clISt17integral_constantIbLb0EES1D_IbLb1EEEEDaS19_S1A_EUlS19_E_NS1_11comp_targetILNS1_3genE4ELNS1_11target_archE910ELNS1_3gpuE8ELNS1_3repE0EEENS1_30default_config_static_selectorELNS0_4arch9wavefront6targetE0EEEvT1_.num_named_barrier, 0
	.set _ZN7rocprim17ROCPRIM_400000_NS6detail17trampoline_kernelINS0_14default_configENS1_25partition_config_selectorILNS1_17partition_subalgoE8ElNS0_10empty_typeEbEEZZNS1_14partition_implILS5_8ELb0ES3_jPlPS6_PKS6_NS0_5tupleIJS9_S6_EEENSD_IJSA_SA_EEENS0_18inequality_wrapperIZN2at6native12_GLOBAL__N_124unique_dim_cuda_templateIN3c104HalfEEESt5tupleIJNSH_6TensorESO_SO_EERKSO_lbbbEUlllE0_EEPmJS6_EEE10hipError_tPvRmT3_T4_T5_T6_T7_T9_mT8_P12ihipStream_tbDpT10_ENKUlT_T0_E_clISt17integral_constantIbLb0EES1D_IbLb1EEEEDaS19_S1A_EUlS19_E_NS1_11comp_targetILNS1_3genE4ELNS1_11target_archE910ELNS1_3gpuE8ELNS1_3repE0EEENS1_30default_config_static_selectorELNS0_4arch9wavefront6targetE0EEEvT1_.private_seg_size, 0
	.set _ZN7rocprim17ROCPRIM_400000_NS6detail17trampoline_kernelINS0_14default_configENS1_25partition_config_selectorILNS1_17partition_subalgoE8ElNS0_10empty_typeEbEEZZNS1_14partition_implILS5_8ELb0ES3_jPlPS6_PKS6_NS0_5tupleIJS9_S6_EEENSD_IJSA_SA_EEENS0_18inequality_wrapperIZN2at6native12_GLOBAL__N_124unique_dim_cuda_templateIN3c104HalfEEESt5tupleIJNSH_6TensorESO_SO_EERKSO_lbbbEUlllE0_EEPmJS6_EEE10hipError_tPvRmT3_T4_T5_T6_T7_T9_mT8_P12ihipStream_tbDpT10_ENKUlT_T0_E_clISt17integral_constantIbLb0EES1D_IbLb1EEEEDaS19_S1A_EUlS19_E_NS1_11comp_targetILNS1_3genE4ELNS1_11target_archE910ELNS1_3gpuE8ELNS1_3repE0EEENS1_30default_config_static_selectorELNS0_4arch9wavefront6targetE0EEEvT1_.uses_vcc, 0
	.set _ZN7rocprim17ROCPRIM_400000_NS6detail17trampoline_kernelINS0_14default_configENS1_25partition_config_selectorILNS1_17partition_subalgoE8ElNS0_10empty_typeEbEEZZNS1_14partition_implILS5_8ELb0ES3_jPlPS6_PKS6_NS0_5tupleIJS9_S6_EEENSD_IJSA_SA_EEENS0_18inequality_wrapperIZN2at6native12_GLOBAL__N_124unique_dim_cuda_templateIN3c104HalfEEESt5tupleIJNSH_6TensorESO_SO_EERKSO_lbbbEUlllE0_EEPmJS6_EEE10hipError_tPvRmT3_T4_T5_T6_T7_T9_mT8_P12ihipStream_tbDpT10_ENKUlT_T0_E_clISt17integral_constantIbLb0EES1D_IbLb1EEEEDaS19_S1A_EUlS19_E_NS1_11comp_targetILNS1_3genE4ELNS1_11target_archE910ELNS1_3gpuE8ELNS1_3repE0EEENS1_30default_config_static_selectorELNS0_4arch9wavefront6targetE0EEEvT1_.uses_flat_scratch, 0
	.set _ZN7rocprim17ROCPRIM_400000_NS6detail17trampoline_kernelINS0_14default_configENS1_25partition_config_selectorILNS1_17partition_subalgoE8ElNS0_10empty_typeEbEEZZNS1_14partition_implILS5_8ELb0ES3_jPlPS6_PKS6_NS0_5tupleIJS9_S6_EEENSD_IJSA_SA_EEENS0_18inequality_wrapperIZN2at6native12_GLOBAL__N_124unique_dim_cuda_templateIN3c104HalfEEESt5tupleIJNSH_6TensorESO_SO_EERKSO_lbbbEUlllE0_EEPmJS6_EEE10hipError_tPvRmT3_T4_T5_T6_T7_T9_mT8_P12ihipStream_tbDpT10_ENKUlT_T0_E_clISt17integral_constantIbLb0EES1D_IbLb1EEEEDaS19_S1A_EUlS19_E_NS1_11comp_targetILNS1_3genE4ELNS1_11target_archE910ELNS1_3gpuE8ELNS1_3repE0EEENS1_30default_config_static_selectorELNS0_4arch9wavefront6targetE0EEEvT1_.has_dyn_sized_stack, 0
	.set _ZN7rocprim17ROCPRIM_400000_NS6detail17trampoline_kernelINS0_14default_configENS1_25partition_config_selectorILNS1_17partition_subalgoE8ElNS0_10empty_typeEbEEZZNS1_14partition_implILS5_8ELb0ES3_jPlPS6_PKS6_NS0_5tupleIJS9_S6_EEENSD_IJSA_SA_EEENS0_18inequality_wrapperIZN2at6native12_GLOBAL__N_124unique_dim_cuda_templateIN3c104HalfEEESt5tupleIJNSH_6TensorESO_SO_EERKSO_lbbbEUlllE0_EEPmJS6_EEE10hipError_tPvRmT3_T4_T5_T6_T7_T9_mT8_P12ihipStream_tbDpT10_ENKUlT_T0_E_clISt17integral_constantIbLb0EES1D_IbLb1EEEEDaS19_S1A_EUlS19_E_NS1_11comp_targetILNS1_3genE4ELNS1_11target_archE910ELNS1_3gpuE8ELNS1_3repE0EEENS1_30default_config_static_selectorELNS0_4arch9wavefront6targetE0EEEvT1_.has_recursion, 0
	.set _ZN7rocprim17ROCPRIM_400000_NS6detail17trampoline_kernelINS0_14default_configENS1_25partition_config_selectorILNS1_17partition_subalgoE8ElNS0_10empty_typeEbEEZZNS1_14partition_implILS5_8ELb0ES3_jPlPS6_PKS6_NS0_5tupleIJS9_S6_EEENSD_IJSA_SA_EEENS0_18inequality_wrapperIZN2at6native12_GLOBAL__N_124unique_dim_cuda_templateIN3c104HalfEEESt5tupleIJNSH_6TensorESO_SO_EERKSO_lbbbEUlllE0_EEPmJS6_EEE10hipError_tPvRmT3_T4_T5_T6_T7_T9_mT8_P12ihipStream_tbDpT10_ENKUlT_T0_E_clISt17integral_constantIbLb0EES1D_IbLb1EEEEDaS19_S1A_EUlS19_E_NS1_11comp_targetILNS1_3genE4ELNS1_11target_archE910ELNS1_3gpuE8ELNS1_3repE0EEENS1_30default_config_static_selectorELNS0_4arch9wavefront6targetE0EEEvT1_.has_indirect_call, 0
	.section	.AMDGPU.csdata,"",@progbits
; Kernel info:
; codeLenInByte = 0
; TotalNumSgprs: 0
; NumVgprs: 0
; ScratchSize: 0
; MemoryBound: 0
; FloatMode: 240
; IeeeMode: 1
; LDSByteSize: 0 bytes/workgroup (compile time only)
; SGPRBlocks: 0
; VGPRBlocks: 0
; NumSGPRsForWavesPerEU: 1
; NumVGPRsForWavesPerEU: 1
; NamedBarCnt: 0
; Occupancy: 16
; WaveLimiterHint : 0
; COMPUTE_PGM_RSRC2:SCRATCH_EN: 0
; COMPUTE_PGM_RSRC2:USER_SGPR: 2
; COMPUTE_PGM_RSRC2:TRAP_HANDLER: 0
; COMPUTE_PGM_RSRC2:TGID_X_EN: 1
; COMPUTE_PGM_RSRC2:TGID_Y_EN: 0
; COMPUTE_PGM_RSRC2:TGID_Z_EN: 0
; COMPUTE_PGM_RSRC2:TIDIG_COMP_CNT: 0
	.section	.text._ZN7rocprim17ROCPRIM_400000_NS6detail17trampoline_kernelINS0_14default_configENS1_25partition_config_selectorILNS1_17partition_subalgoE8ElNS0_10empty_typeEbEEZZNS1_14partition_implILS5_8ELb0ES3_jPlPS6_PKS6_NS0_5tupleIJS9_S6_EEENSD_IJSA_SA_EEENS0_18inequality_wrapperIZN2at6native12_GLOBAL__N_124unique_dim_cuda_templateIN3c104HalfEEESt5tupleIJNSH_6TensorESO_SO_EERKSO_lbbbEUlllE0_EEPmJS6_EEE10hipError_tPvRmT3_T4_T5_T6_T7_T9_mT8_P12ihipStream_tbDpT10_ENKUlT_T0_E_clISt17integral_constantIbLb0EES1D_IbLb1EEEEDaS19_S1A_EUlS19_E_NS1_11comp_targetILNS1_3genE3ELNS1_11target_archE908ELNS1_3gpuE7ELNS1_3repE0EEENS1_30default_config_static_selectorELNS0_4arch9wavefront6targetE0EEEvT1_,"axG",@progbits,_ZN7rocprim17ROCPRIM_400000_NS6detail17trampoline_kernelINS0_14default_configENS1_25partition_config_selectorILNS1_17partition_subalgoE8ElNS0_10empty_typeEbEEZZNS1_14partition_implILS5_8ELb0ES3_jPlPS6_PKS6_NS0_5tupleIJS9_S6_EEENSD_IJSA_SA_EEENS0_18inequality_wrapperIZN2at6native12_GLOBAL__N_124unique_dim_cuda_templateIN3c104HalfEEESt5tupleIJNSH_6TensorESO_SO_EERKSO_lbbbEUlllE0_EEPmJS6_EEE10hipError_tPvRmT3_T4_T5_T6_T7_T9_mT8_P12ihipStream_tbDpT10_ENKUlT_T0_E_clISt17integral_constantIbLb0EES1D_IbLb1EEEEDaS19_S1A_EUlS19_E_NS1_11comp_targetILNS1_3genE3ELNS1_11target_archE908ELNS1_3gpuE7ELNS1_3repE0EEENS1_30default_config_static_selectorELNS0_4arch9wavefront6targetE0EEEvT1_,comdat
	.globl	_ZN7rocprim17ROCPRIM_400000_NS6detail17trampoline_kernelINS0_14default_configENS1_25partition_config_selectorILNS1_17partition_subalgoE8ElNS0_10empty_typeEbEEZZNS1_14partition_implILS5_8ELb0ES3_jPlPS6_PKS6_NS0_5tupleIJS9_S6_EEENSD_IJSA_SA_EEENS0_18inequality_wrapperIZN2at6native12_GLOBAL__N_124unique_dim_cuda_templateIN3c104HalfEEESt5tupleIJNSH_6TensorESO_SO_EERKSO_lbbbEUlllE0_EEPmJS6_EEE10hipError_tPvRmT3_T4_T5_T6_T7_T9_mT8_P12ihipStream_tbDpT10_ENKUlT_T0_E_clISt17integral_constantIbLb0EES1D_IbLb1EEEEDaS19_S1A_EUlS19_E_NS1_11comp_targetILNS1_3genE3ELNS1_11target_archE908ELNS1_3gpuE7ELNS1_3repE0EEENS1_30default_config_static_selectorELNS0_4arch9wavefront6targetE0EEEvT1_ ; -- Begin function _ZN7rocprim17ROCPRIM_400000_NS6detail17trampoline_kernelINS0_14default_configENS1_25partition_config_selectorILNS1_17partition_subalgoE8ElNS0_10empty_typeEbEEZZNS1_14partition_implILS5_8ELb0ES3_jPlPS6_PKS6_NS0_5tupleIJS9_S6_EEENSD_IJSA_SA_EEENS0_18inequality_wrapperIZN2at6native12_GLOBAL__N_124unique_dim_cuda_templateIN3c104HalfEEESt5tupleIJNSH_6TensorESO_SO_EERKSO_lbbbEUlllE0_EEPmJS6_EEE10hipError_tPvRmT3_T4_T5_T6_T7_T9_mT8_P12ihipStream_tbDpT10_ENKUlT_T0_E_clISt17integral_constantIbLb0EES1D_IbLb1EEEEDaS19_S1A_EUlS19_E_NS1_11comp_targetILNS1_3genE3ELNS1_11target_archE908ELNS1_3gpuE7ELNS1_3repE0EEENS1_30default_config_static_selectorELNS0_4arch9wavefront6targetE0EEEvT1_
	.p2align	8
	.type	_ZN7rocprim17ROCPRIM_400000_NS6detail17trampoline_kernelINS0_14default_configENS1_25partition_config_selectorILNS1_17partition_subalgoE8ElNS0_10empty_typeEbEEZZNS1_14partition_implILS5_8ELb0ES3_jPlPS6_PKS6_NS0_5tupleIJS9_S6_EEENSD_IJSA_SA_EEENS0_18inequality_wrapperIZN2at6native12_GLOBAL__N_124unique_dim_cuda_templateIN3c104HalfEEESt5tupleIJNSH_6TensorESO_SO_EERKSO_lbbbEUlllE0_EEPmJS6_EEE10hipError_tPvRmT3_T4_T5_T6_T7_T9_mT8_P12ihipStream_tbDpT10_ENKUlT_T0_E_clISt17integral_constantIbLb0EES1D_IbLb1EEEEDaS19_S1A_EUlS19_E_NS1_11comp_targetILNS1_3genE3ELNS1_11target_archE908ELNS1_3gpuE7ELNS1_3repE0EEENS1_30default_config_static_selectorELNS0_4arch9wavefront6targetE0EEEvT1_,@function
_ZN7rocprim17ROCPRIM_400000_NS6detail17trampoline_kernelINS0_14default_configENS1_25partition_config_selectorILNS1_17partition_subalgoE8ElNS0_10empty_typeEbEEZZNS1_14partition_implILS5_8ELb0ES3_jPlPS6_PKS6_NS0_5tupleIJS9_S6_EEENSD_IJSA_SA_EEENS0_18inequality_wrapperIZN2at6native12_GLOBAL__N_124unique_dim_cuda_templateIN3c104HalfEEESt5tupleIJNSH_6TensorESO_SO_EERKSO_lbbbEUlllE0_EEPmJS6_EEE10hipError_tPvRmT3_T4_T5_T6_T7_T9_mT8_P12ihipStream_tbDpT10_ENKUlT_T0_E_clISt17integral_constantIbLb0EES1D_IbLb1EEEEDaS19_S1A_EUlS19_E_NS1_11comp_targetILNS1_3genE3ELNS1_11target_archE908ELNS1_3gpuE7ELNS1_3repE0EEENS1_30default_config_static_selectorELNS0_4arch9wavefront6targetE0EEEvT1_: ; @_ZN7rocprim17ROCPRIM_400000_NS6detail17trampoline_kernelINS0_14default_configENS1_25partition_config_selectorILNS1_17partition_subalgoE8ElNS0_10empty_typeEbEEZZNS1_14partition_implILS5_8ELb0ES3_jPlPS6_PKS6_NS0_5tupleIJS9_S6_EEENSD_IJSA_SA_EEENS0_18inequality_wrapperIZN2at6native12_GLOBAL__N_124unique_dim_cuda_templateIN3c104HalfEEESt5tupleIJNSH_6TensorESO_SO_EERKSO_lbbbEUlllE0_EEPmJS6_EEE10hipError_tPvRmT3_T4_T5_T6_T7_T9_mT8_P12ihipStream_tbDpT10_ENKUlT_T0_E_clISt17integral_constantIbLb0EES1D_IbLb1EEEEDaS19_S1A_EUlS19_E_NS1_11comp_targetILNS1_3genE3ELNS1_11target_archE908ELNS1_3gpuE7ELNS1_3repE0EEENS1_30default_config_static_selectorELNS0_4arch9wavefront6targetE0EEEvT1_
; %bb.0:
	.section	.rodata,"a",@progbits
	.p2align	6, 0x0
	.amdhsa_kernel _ZN7rocprim17ROCPRIM_400000_NS6detail17trampoline_kernelINS0_14default_configENS1_25partition_config_selectorILNS1_17partition_subalgoE8ElNS0_10empty_typeEbEEZZNS1_14partition_implILS5_8ELb0ES3_jPlPS6_PKS6_NS0_5tupleIJS9_S6_EEENSD_IJSA_SA_EEENS0_18inequality_wrapperIZN2at6native12_GLOBAL__N_124unique_dim_cuda_templateIN3c104HalfEEESt5tupleIJNSH_6TensorESO_SO_EERKSO_lbbbEUlllE0_EEPmJS6_EEE10hipError_tPvRmT3_T4_T5_T6_T7_T9_mT8_P12ihipStream_tbDpT10_ENKUlT_T0_E_clISt17integral_constantIbLb0EES1D_IbLb1EEEEDaS19_S1A_EUlS19_E_NS1_11comp_targetILNS1_3genE3ELNS1_11target_archE908ELNS1_3gpuE7ELNS1_3repE0EEENS1_30default_config_static_selectorELNS0_4arch9wavefront6targetE0EEEvT1_
		.amdhsa_group_segment_fixed_size 0
		.amdhsa_private_segment_fixed_size 0
		.amdhsa_kernarg_size 136
		.amdhsa_user_sgpr_count 2
		.amdhsa_user_sgpr_dispatch_ptr 0
		.amdhsa_user_sgpr_queue_ptr 0
		.amdhsa_user_sgpr_kernarg_segment_ptr 1
		.amdhsa_user_sgpr_dispatch_id 0
		.amdhsa_user_sgpr_kernarg_preload_length 0
		.amdhsa_user_sgpr_kernarg_preload_offset 0
		.amdhsa_user_sgpr_private_segment_size 0
		.amdhsa_wavefront_size32 1
		.amdhsa_uses_dynamic_stack 0
		.amdhsa_enable_private_segment 0
		.amdhsa_system_sgpr_workgroup_id_x 1
		.amdhsa_system_sgpr_workgroup_id_y 0
		.amdhsa_system_sgpr_workgroup_id_z 0
		.amdhsa_system_sgpr_workgroup_info 0
		.amdhsa_system_vgpr_workitem_id 0
		.amdhsa_next_free_vgpr 1
		.amdhsa_next_free_sgpr 1
		.amdhsa_named_barrier_count 0
		.amdhsa_reserve_vcc 0
		.amdhsa_float_round_mode_32 0
		.amdhsa_float_round_mode_16_64 0
		.amdhsa_float_denorm_mode_32 3
		.amdhsa_float_denorm_mode_16_64 3
		.amdhsa_fp16_overflow 0
		.amdhsa_memory_ordered 1
		.amdhsa_forward_progress 1
		.amdhsa_inst_pref_size 0
		.amdhsa_round_robin_scheduling 0
		.amdhsa_exception_fp_ieee_invalid_op 0
		.amdhsa_exception_fp_denorm_src 0
		.amdhsa_exception_fp_ieee_div_zero 0
		.amdhsa_exception_fp_ieee_overflow 0
		.amdhsa_exception_fp_ieee_underflow 0
		.amdhsa_exception_fp_ieee_inexact 0
		.amdhsa_exception_int_div_zero 0
	.end_amdhsa_kernel
	.section	.text._ZN7rocprim17ROCPRIM_400000_NS6detail17trampoline_kernelINS0_14default_configENS1_25partition_config_selectorILNS1_17partition_subalgoE8ElNS0_10empty_typeEbEEZZNS1_14partition_implILS5_8ELb0ES3_jPlPS6_PKS6_NS0_5tupleIJS9_S6_EEENSD_IJSA_SA_EEENS0_18inequality_wrapperIZN2at6native12_GLOBAL__N_124unique_dim_cuda_templateIN3c104HalfEEESt5tupleIJNSH_6TensorESO_SO_EERKSO_lbbbEUlllE0_EEPmJS6_EEE10hipError_tPvRmT3_T4_T5_T6_T7_T9_mT8_P12ihipStream_tbDpT10_ENKUlT_T0_E_clISt17integral_constantIbLb0EES1D_IbLb1EEEEDaS19_S1A_EUlS19_E_NS1_11comp_targetILNS1_3genE3ELNS1_11target_archE908ELNS1_3gpuE7ELNS1_3repE0EEENS1_30default_config_static_selectorELNS0_4arch9wavefront6targetE0EEEvT1_,"axG",@progbits,_ZN7rocprim17ROCPRIM_400000_NS6detail17trampoline_kernelINS0_14default_configENS1_25partition_config_selectorILNS1_17partition_subalgoE8ElNS0_10empty_typeEbEEZZNS1_14partition_implILS5_8ELb0ES3_jPlPS6_PKS6_NS0_5tupleIJS9_S6_EEENSD_IJSA_SA_EEENS0_18inequality_wrapperIZN2at6native12_GLOBAL__N_124unique_dim_cuda_templateIN3c104HalfEEESt5tupleIJNSH_6TensorESO_SO_EERKSO_lbbbEUlllE0_EEPmJS6_EEE10hipError_tPvRmT3_T4_T5_T6_T7_T9_mT8_P12ihipStream_tbDpT10_ENKUlT_T0_E_clISt17integral_constantIbLb0EES1D_IbLb1EEEEDaS19_S1A_EUlS19_E_NS1_11comp_targetILNS1_3genE3ELNS1_11target_archE908ELNS1_3gpuE7ELNS1_3repE0EEENS1_30default_config_static_selectorELNS0_4arch9wavefront6targetE0EEEvT1_,comdat
.Lfunc_end1324:
	.size	_ZN7rocprim17ROCPRIM_400000_NS6detail17trampoline_kernelINS0_14default_configENS1_25partition_config_selectorILNS1_17partition_subalgoE8ElNS0_10empty_typeEbEEZZNS1_14partition_implILS5_8ELb0ES3_jPlPS6_PKS6_NS0_5tupleIJS9_S6_EEENSD_IJSA_SA_EEENS0_18inequality_wrapperIZN2at6native12_GLOBAL__N_124unique_dim_cuda_templateIN3c104HalfEEESt5tupleIJNSH_6TensorESO_SO_EERKSO_lbbbEUlllE0_EEPmJS6_EEE10hipError_tPvRmT3_T4_T5_T6_T7_T9_mT8_P12ihipStream_tbDpT10_ENKUlT_T0_E_clISt17integral_constantIbLb0EES1D_IbLb1EEEEDaS19_S1A_EUlS19_E_NS1_11comp_targetILNS1_3genE3ELNS1_11target_archE908ELNS1_3gpuE7ELNS1_3repE0EEENS1_30default_config_static_selectorELNS0_4arch9wavefront6targetE0EEEvT1_, .Lfunc_end1324-_ZN7rocprim17ROCPRIM_400000_NS6detail17trampoline_kernelINS0_14default_configENS1_25partition_config_selectorILNS1_17partition_subalgoE8ElNS0_10empty_typeEbEEZZNS1_14partition_implILS5_8ELb0ES3_jPlPS6_PKS6_NS0_5tupleIJS9_S6_EEENSD_IJSA_SA_EEENS0_18inequality_wrapperIZN2at6native12_GLOBAL__N_124unique_dim_cuda_templateIN3c104HalfEEESt5tupleIJNSH_6TensorESO_SO_EERKSO_lbbbEUlllE0_EEPmJS6_EEE10hipError_tPvRmT3_T4_T5_T6_T7_T9_mT8_P12ihipStream_tbDpT10_ENKUlT_T0_E_clISt17integral_constantIbLb0EES1D_IbLb1EEEEDaS19_S1A_EUlS19_E_NS1_11comp_targetILNS1_3genE3ELNS1_11target_archE908ELNS1_3gpuE7ELNS1_3repE0EEENS1_30default_config_static_selectorELNS0_4arch9wavefront6targetE0EEEvT1_
                                        ; -- End function
	.set _ZN7rocprim17ROCPRIM_400000_NS6detail17trampoline_kernelINS0_14default_configENS1_25partition_config_selectorILNS1_17partition_subalgoE8ElNS0_10empty_typeEbEEZZNS1_14partition_implILS5_8ELb0ES3_jPlPS6_PKS6_NS0_5tupleIJS9_S6_EEENSD_IJSA_SA_EEENS0_18inequality_wrapperIZN2at6native12_GLOBAL__N_124unique_dim_cuda_templateIN3c104HalfEEESt5tupleIJNSH_6TensorESO_SO_EERKSO_lbbbEUlllE0_EEPmJS6_EEE10hipError_tPvRmT3_T4_T5_T6_T7_T9_mT8_P12ihipStream_tbDpT10_ENKUlT_T0_E_clISt17integral_constantIbLb0EES1D_IbLb1EEEEDaS19_S1A_EUlS19_E_NS1_11comp_targetILNS1_3genE3ELNS1_11target_archE908ELNS1_3gpuE7ELNS1_3repE0EEENS1_30default_config_static_selectorELNS0_4arch9wavefront6targetE0EEEvT1_.num_vgpr, 0
	.set _ZN7rocprim17ROCPRIM_400000_NS6detail17trampoline_kernelINS0_14default_configENS1_25partition_config_selectorILNS1_17partition_subalgoE8ElNS0_10empty_typeEbEEZZNS1_14partition_implILS5_8ELb0ES3_jPlPS6_PKS6_NS0_5tupleIJS9_S6_EEENSD_IJSA_SA_EEENS0_18inequality_wrapperIZN2at6native12_GLOBAL__N_124unique_dim_cuda_templateIN3c104HalfEEESt5tupleIJNSH_6TensorESO_SO_EERKSO_lbbbEUlllE0_EEPmJS6_EEE10hipError_tPvRmT3_T4_T5_T6_T7_T9_mT8_P12ihipStream_tbDpT10_ENKUlT_T0_E_clISt17integral_constantIbLb0EES1D_IbLb1EEEEDaS19_S1A_EUlS19_E_NS1_11comp_targetILNS1_3genE3ELNS1_11target_archE908ELNS1_3gpuE7ELNS1_3repE0EEENS1_30default_config_static_selectorELNS0_4arch9wavefront6targetE0EEEvT1_.num_agpr, 0
	.set _ZN7rocprim17ROCPRIM_400000_NS6detail17trampoline_kernelINS0_14default_configENS1_25partition_config_selectorILNS1_17partition_subalgoE8ElNS0_10empty_typeEbEEZZNS1_14partition_implILS5_8ELb0ES3_jPlPS6_PKS6_NS0_5tupleIJS9_S6_EEENSD_IJSA_SA_EEENS0_18inequality_wrapperIZN2at6native12_GLOBAL__N_124unique_dim_cuda_templateIN3c104HalfEEESt5tupleIJNSH_6TensorESO_SO_EERKSO_lbbbEUlllE0_EEPmJS6_EEE10hipError_tPvRmT3_T4_T5_T6_T7_T9_mT8_P12ihipStream_tbDpT10_ENKUlT_T0_E_clISt17integral_constantIbLb0EES1D_IbLb1EEEEDaS19_S1A_EUlS19_E_NS1_11comp_targetILNS1_3genE3ELNS1_11target_archE908ELNS1_3gpuE7ELNS1_3repE0EEENS1_30default_config_static_selectorELNS0_4arch9wavefront6targetE0EEEvT1_.numbered_sgpr, 0
	.set _ZN7rocprim17ROCPRIM_400000_NS6detail17trampoline_kernelINS0_14default_configENS1_25partition_config_selectorILNS1_17partition_subalgoE8ElNS0_10empty_typeEbEEZZNS1_14partition_implILS5_8ELb0ES3_jPlPS6_PKS6_NS0_5tupleIJS9_S6_EEENSD_IJSA_SA_EEENS0_18inequality_wrapperIZN2at6native12_GLOBAL__N_124unique_dim_cuda_templateIN3c104HalfEEESt5tupleIJNSH_6TensorESO_SO_EERKSO_lbbbEUlllE0_EEPmJS6_EEE10hipError_tPvRmT3_T4_T5_T6_T7_T9_mT8_P12ihipStream_tbDpT10_ENKUlT_T0_E_clISt17integral_constantIbLb0EES1D_IbLb1EEEEDaS19_S1A_EUlS19_E_NS1_11comp_targetILNS1_3genE3ELNS1_11target_archE908ELNS1_3gpuE7ELNS1_3repE0EEENS1_30default_config_static_selectorELNS0_4arch9wavefront6targetE0EEEvT1_.num_named_barrier, 0
	.set _ZN7rocprim17ROCPRIM_400000_NS6detail17trampoline_kernelINS0_14default_configENS1_25partition_config_selectorILNS1_17partition_subalgoE8ElNS0_10empty_typeEbEEZZNS1_14partition_implILS5_8ELb0ES3_jPlPS6_PKS6_NS0_5tupleIJS9_S6_EEENSD_IJSA_SA_EEENS0_18inequality_wrapperIZN2at6native12_GLOBAL__N_124unique_dim_cuda_templateIN3c104HalfEEESt5tupleIJNSH_6TensorESO_SO_EERKSO_lbbbEUlllE0_EEPmJS6_EEE10hipError_tPvRmT3_T4_T5_T6_T7_T9_mT8_P12ihipStream_tbDpT10_ENKUlT_T0_E_clISt17integral_constantIbLb0EES1D_IbLb1EEEEDaS19_S1A_EUlS19_E_NS1_11comp_targetILNS1_3genE3ELNS1_11target_archE908ELNS1_3gpuE7ELNS1_3repE0EEENS1_30default_config_static_selectorELNS0_4arch9wavefront6targetE0EEEvT1_.private_seg_size, 0
	.set _ZN7rocprim17ROCPRIM_400000_NS6detail17trampoline_kernelINS0_14default_configENS1_25partition_config_selectorILNS1_17partition_subalgoE8ElNS0_10empty_typeEbEEZZNS1_14partition_implILS5_8ELb0ES3_jPlPS6_PKS6_NS0_5tupleIJS9_S6_EEENSD_IJSA_SA_EEENS0_18inequality_wrapperIZN2at6native12_GLOBAL__N_124unique_dim_cuda_templateIN3c104HalfEEESt5tupleIJNSH_6TensorESO_SO_EERKSO_lbbbEUlllE0_EEPmJS6_EEE10hipError_tPvRmT3_T4_T5_T6_T7_T9_mT8_P12ihipStream_tbDpT10_ENKUlT_T0_E_clISt17integral_constantIbLb0EES1D_IbLb1EEEEDaS19_S1A_EUlS19_E_NS1_11comp_targetILNS1_3genE3ELNS1_11target_archE908ELNS1_3gpuE7ELNS1_3repE0EEENS1_30default_config_static_selectorELNS0_4arch9wavefront6targetE0EEEvT1_.uses_vcc, 0
	.set _ZN7rocprim17ROCPRIM_400000_NS6detail17trampoline_kernelINS0_14default_configENS1_25partition_config_selectorILNS1_17partition_subalgoE8ElNS0_10empty_typeEbEEZZNS1_14partition_implILS5_8ELb0ES3_jPlPS6_PKS6_NS0_5tupleIJS9_S6_EEENSD_IJSA_SA_EEENS0_18inequality_wrapperIZN2at6native12_GLOBAL__N_124unique_dim_cuda_templateIN3c104HalfEEESt5tupleIJNSH_6TensorESO_SO_EERKSO_lbbbEUlllE0_EEPmJS6_EEE10hipError_tPvRmT3_T4_T5_T6_T7_T9_mT8_P12ihipStream_tbDpT10_ENKUlT_T0_E_clISt17integral_constantIbLb0EES1D_IbLb1EEEEDaS19_S1A_EUlS19_E_NS1_11comp_targetILNS1_3genE3ELNS1_11target_archE908ELNS1_3gpuE7ELNS1_3repE0EEENS1_30default_config_static_selectorELNS0_4arch9wavefront6targetE0EEEvT1_.uses_flat_scratch, 0
	.set _ZN7rocprim17ROCPRIM_400000_NS6detail17trampoline_kernelINS0_14default_configENS1_25partition_config_selectorILNS1_17partition_subalgoE8ElNS0_10empty_typeEbEEZZNS1_14partition_implILS5_8ELb0ES3_jPlPS6_PKS6_NS0_5tupleIJS9_S6_EEENSD_IJSA_SA_EEENS0_18inequality_wrapperIZN2at6native12_GLOBAL__N_124unique_dim_cuda_templateIN3c104HalfEEESt5tupleIJNSH_6TensorESO_SO_EERKSO_lbbbEUlllE0_EEPmJS6_EEE10hipError_tPvRmT3_T4_T5_T6_T7_T9_mT8_P12ihipStream_tbDpT10_ENKUlT_T0_E_clISt17integral_constantIbLb0EES1D_IbLb1EEEEDaS19_S1A_EUlS19_E_NS1_11comp_targetILNS1_3genE3ELNS1_11target_archE908ELNS1_3gpuE7ELNS1_3repE0EEENS1_30default_config_static_selectorELNS0_4arch9wavefront6targetE0EEEvT1_.has_dyn_sized_stack, 0
	.set _ZN7rocprim17ROCPRIM_400000_NS6detail17trampoline_kernelINS0_14default_configENS1_25partition_config_selectorILNS1_17partition_subalgoE8ElNS0_10empty_typeEbEEZZNS1_14partition_implILS5_8ELb0ES3_jPlPS6_PKS6_NS0_5tupleIJS9_S6_EEENSD_IJSA_SA_EEENS0_18inequality_wrapperIZN2at6native12_GLOBAL__N_124unique_dim_cuda_templateIN3c104HalfEEESt5tupleIJNSH_6TensorESO_SO_EERKSO_lbbbEUlllE0_EEPmJS6_EEE10hipError_tPvRmT3_T4_T5_T6_T7_T9_mT8_P12ihipStream_tbDpT10_ENKUlT_T0_E_clISt17integral_constantIbLb0EES1D_IbLb1EEEEDaS19_S1A_EUlS19_E_NS1_11comp_targetILNS1_3genE3ELNS1_11target_archE908ELNS1_3gpuE7ELNS1_3repE0EEENS1_30default_config_static_selectorELNS0_4arch9wavefront6targetE0EEEvT1_.has_recursion, 0
	.set _ZN7rocprim17ROCPRIM_400000_NS6detail17trampoline_kernelINS0_14default_configENS1_25partition_config_selectorILNS1_17partition_subalgoE8ElNS0_10empty_typeEbEEZZNS1_14partition_implILS5_8ELb0ES3_jPlPS6_PKS6_NS0_5tupleIJS9_S6_EEENSD_IJSA_SA_EEENS0_18inequality_wrapperIZN2at6native12_GLOBAL__N_124unique_dim_cuda_templateIN3c104HalfEEESt5tupleIJNSH_6TensorESO_SO_EERKSO_lbbbEUlllE0_EEPmJS6_EEE10hipError_tPvRmT3_T4_T5_T6_T7_T9_mT8_P12ihipStream_tbDpT10_ENKUlT_T0_E_clISt17integral_constantIbLb0EES1D_IbLb1EEEEDaS19_S1A_EUlS19_E_NS1_11comp_targetILNS1_3genE3ELNS1_11target_archE908ELNS1_3gpuE7ELNS1_3repE0EEENS1_30default_config_static_selectorELNS0_4arch9wavefront6targetE0EEEvT1_.has_indirect_call, 0
	.section	.AMDGPU.csdata,"",@progbits
; Kernel info:
; codeLenInByte = 0
; TotalNumSgprs: 0
; NumVgprs: 0
; ScratchSize: 0
; MemoryBound: 0
; FloatMode: 240
; IeeeMode: 1
; LDSByteSize: 0 bytes/workgroup (compile time only)
; SGPRBlocks: 0
; VGPRBlocks: 0
; NumSGPRsForWavesPerEU: 1
; NumVGPRsForWavesPerEU: 1
; NamedBarCnt: 0
; Occupancy: 16
; WaveLimiterHint : 0
; COMPUTE_PGM_RSRC2:SCRATCH_EN: 0
; COMPUTE_PGM_RSRC2:USER_SGPR: 2
; COMPUTE_PGM_RSRC2:TRAP_HANDLER: 0
; COMPUTE_PGM_RSRC2:TGID_X_EN: 1
; COMPUTE_PGM_RSRC2:TGID_Y_EN: 0
; COMPUTE_PGM_RSRC2:TGID_Z_EN: 0
; COMPUTE_PGM_RSRC2:TIDIG_COMP_CNT: 0
	.section	.text._ZN7rocprim17ROCPRIM_400000_NS6detail17trampoline_kernelINS0_14default_configENS1_25partition_config_selectorILNS1_17partition_subalgoE8ElNS0_10empty_typeEbEEZZNS1_14partition_implILS5_8ELb0ES3_jPlPS6_PKS6_NS0_5tupleIJS9_S6_EEENSD_IJSA_SA_EEENS0_18inequality_wrapperIZN2at6native12_GLOBAL__N_124unique_dim_cuda_templateIN3c104HalfEEESt5tupleIJNSH_6TensorESO_SO_EERKSO_lbbbEUlllE0_EEPmJS6_EEE10hipError_tPvRmT3_T4_T5_T6_T7_T9_mT8_P12ihipStream_tbDpT10_ENKUlT_T0_E_clISt17integral_constantIbLb0EES1D_IbLb1EEEEDaS19_S1A_EUlS19_E_NS1_11comp_targetILNS1_3genE2ELNS1_11target_archE906ELNS1_3gpuE6ELNS1_3repE0EEENS1_30default_config_static_selectorELNS0_4arch9wavefront6targetE0EEEvT1_,"axG",@progbits,_ZN7rocprim17ROCPRIM_400000_NS6detail17trampoline_kernelINS0_14default_configENS1_25partition_config_selectorILNS1_17partition_subalgoE8ElNS0_10empty_typeEbEEZZNS1_14partition_implILS5_8ELb0ES3_jPlPS6_PKS6_NS0_5tupleIJS9_S6_EEENSD_IJSA_SA_EEENS0_18inequality_wrapperIZN2at6native12_GLOBAL__N_124unique_dim_cuda_templateIN3c104HalfEEESt5tupleIJNSH_6TensorESO_SO_EERKSO_lbbbEUlllE0_EEPmJS6_EEE10hipError_tPvRmT3_T4_T5_T6_T7_T9_mT8_P12ihipStream_tbDpT10_ENKUlT_T0_E_clISt17integral_constantIbLb0EES1D_IbLb1EEEEDaS19_S1A_EUlS19_E_NS1_11comp_targetILNS1_3genE2ELNS1_11target_archE906ELNS1_3gpuE6ELNS1_3repE0EEENS1_30default_config_static_selectorELNS0_4arch9wavefront6targetE0EEEvT1_,comdat
	.globl	_ZN7rocprim17ROCPRIM_400000_NS6detail17trampoline_kernelINS0_14default_configENS1_25partition_config_selectorILNS1_17partition_subalgoE8ElNS0_10empty_typeEbEEZZNS1_14partition_implILS5_8ELb0ES3_jPlPS6_PKS6_NS0_5tupleIJS9_S6_EEENSD_IJSA_SA_EEENS0_18inequality_wrapperIZN2at6native12_GLOBAL__N_124unique_dim_cuda_templateIN3c104HalfEEESt5tupleIJNSH_6TensorESO_SO_EERKSO_lbbbEUlllE0_EEPmJS6_EEE10hipError_tPvRmT3_T4_T5_T6_T7_T9_mT8_P12ihipStream_tbDpT10_ENKUlT_T0_E_clISt17integral_constantIbLb0EES1D_IbLb1EEEEDaS19_S1A_EUlS19_E_NS1_11comp_targetILNS1_3genE2ELNS1_11target_archE906ELNS1_3gpuE6ELNS1_3repE0EEENS1_30default_config_static_selectorELNS0_4arch9wavefront6targetE0EEEvT1_ ; -- Begin function _ZN7rocprim17ROCPRIM_400000_NS6detail17trampoline_kernelINS0_14default_configENS1_25partition_config_selectorILNS1_17partition_subalgoE8ElNS0_10empty_typeEbEEZZNS1_14partition_implILS5_8ELb0ES3_jPlPS6_PKS6_NS0_5tupleIJS9_S6_EEENSD_IJSA_SA_EEENS0_18inequality_wrapperIZN2at6native12_GLOBAL__N_124unique_dim_cuda_templateIN3c104HalfEEESt5tupleIJNSH_6TensorESO_SO_EERKSO_lbbbEUlllE0_EEPmJS6_EEE10hipError_tPvRmT3_T4_T5_T6_T7_T9_mT8_P12ihipStream_tbDpT10_ENKUlT_T0_E_clISt17integral_constantIbLb0EES1D_IbLb1EEEEDaS19_S1A_EUlS19_E_NS1_11comp_targetILNS1_3genE2ELNS1_11target_archE906ELNS1_3gpuE6ELNS1_3repE0EEENS1_30default_config_static_selectorELNS0_4arch9wavefront6targetE0EEEvT1_
	.p2align	8
	.type	_ZN7rocprim17ROCPRIM_400000_NS6detail17trampoline_kernelINS0_14default_configENS1_25partition_config_selectorILNS1_17partition_subalgoE8ElNS0_10empty_typeEbEEZZNS1_14partition_implILS5_8ELb0ES3_jPlPS6_PKS6_NS0_5tupleIJS9_S6_EEENSD_IJSA_SA_EEENS0_18inequality_wrapperIZN2at6native12_GLOBAL__N_124unique_dim_cuda_templateIN3c104HalfEEESt5tupleIJNSH_6TensorESO_SO_EERKSO_lbbbEUlllE0_EEPmJS6_EEE10hipError_tPvRmT3_T4_T5_T6_T7_T9_mT8_P12ihipStream_tbDpT10_ENKUlT_T0_E_clISt17integral_constantIbLb0EES1D_IbLb1EEEEDaS19_S1A_EUlS19_E_NS1_11comp_targetILNS1_3genE2ELNS1_11target_archE906ELNS1_3gpuE6ELNS1_3repE0EEENS1_30default_config_static_selectorELNS0_4arch9wavefront6targetE0EEEvT1_,@function
_ZN7rocprim17ROCPRIM_400000_NS6detail17trampoline_kernelINS0_14default_configENS1_25partition_config_selectorILNS1_17partition_subalgoE8ElNS0_10empty_typeEbEEZZNS1_14partition_implILS5_8ELb0ES3_jPlPS6_PKS6_NS0_5tupleIJS9_S6_EEENSD_IJSA_SA_EEENS0_18inequality_wrapperIZN2at6native12_GLOBAL__N_124unique_dim_cuda_templateIN3c104HalfEEESt5tupleIJNSH_6TensorESO_SO_EERKSO_lbbbEUlllE0_EEPmJS6_EEE10hipError_tPvRmT3_T4_T5_T6_T7_T9_mT8_P12ihipStream_tbDpT10_ENKUlT_T0_E_clISt17integral_constantIbLb0EES1D_IbLb1EEEEDaS19_S1A_EUlS19_E_NS1_11comp_targetILNS1_3genE2ELNS1_11target_archE906ELNS1_3gpuE6ELNS1_3repE0EEENS1_30default_config_static_selectorELNS0_4arch9wavefront6targetE0EEEvT1_: ; @_ZN7rocprim17ROCPRIM_400000_NS6detail17trampoline_kernelINS0_14default_configENS1_25partition_config_selectorILNS1_17partition_subalgoE8ElNS0_10empty_typeEbEEZZNS1_14partition_implILS5_8ELb0ES3_jPlPS6_PKS6_NS0_5tupleIJS9_S6_EEENSD_IJSA_SA_EEENS0_18inequality_wrapperIZN2at6native12_GLOBAL__N_124unique_dim_cuda_templateIN3c104HalfEEESt5tupleIJNSH_6TensorESO_SO_EERKSO_lbbbEUlllE0_EEPmJS6_EEE10hipError_tPvRmT3_T4_T5_T6_T7_T9_mT8_P12ihipStream_tbDpT10_ENKUlT_T0_E_clISt17integral_constantIbLb0EES1D_IbLb1EEEEDaS19_S1A_EUlS19_E_NS1_11comp_targetILNS1_3genE2ELNS1_11target_archE906ELNS1_3gpuE6ELNS1_3repE0EEENS1_30default_config_static_selectorELNS0_4arch9wavefront6targetE0EEEvT1_
; %bb.0:
	.section	.rodata,"a",@progbits
	.p2align	6, 0x0
	.amdhsa_kernel _ZN7rocprim17ROCPRIM_400000_NS6detail17trampoline_kernelINS0_14default_configENS1_25partition_config_selectorILNS1_17partition_subalgoE8ElNS0_10empty_typeEbEEZZNS1_14partition_implILS5_8ELb0ES3_jPlPS6_PKS6_NS0_5tupleIJS9_S6_EEENSD_IJSA_SA_EEENS0_18inequality_wrapperIZN2at6native12_GLOBAL__N_124unique_dim_cuda_templateIN3c104HalfEEESt5tupleIJNSH_6TensorESO_SO_EERKSO_lbbbEUlllE0_EEPmJS6_EEE10hipError_tPvRmT3_T4_T5_T6_T7_T9_mT8_P12ihipStream_tbDpT10_ENKUlT_T0_E_clISt17integral_constantIbLb0EES1D_IbLb1EEEEDaS19_S1A_EUlS19_E_NS1_11comp_targetILNS1_3genE2ELNS1_11target_archE906ELNS1_3gpuE6ELNS1_3repE0EEENS1_30default_config_static_selectorELNS0_4arch9wavefront6targetE0EEEvT1_
		.amdhsa_group_segment_fixed_size 0
		.amdhsa_private_segment_fixed_size 0
		.amdhsa_kernarg_size 136
		.amdhsa_user_sgpr_count 2
		.amdhsa_user_sgpr_dispatch_ptr 0
		.amdhsa_user_sgpr_queue_ptr 0
		.amdhsa_user_sgpr_kernarg_segment_ptr 1
		.amdhsa_user_sgpr_dispatch_id 0
		.amdhsa_user_sgpr_kernarg_preload_length 0
		.amdhsa_user_sgpr_kernarg_preload_offset 0
		.amdhsa_user_sgpr_private_segment_size 0
		.amdhsa_wavefront_size32 1
		.amdhsa_uses_dynamic_stack 0
		.amdhsa_enable_private_segment 0
		.amdhsa_system_sgpr_workgroup_id_x 1
		.amdhsa_system_sgpr_workgroup_id_y 0
		.amdhsa_system_sgpr_workgroup_id_z 0
		.amdhsa_system_sgpr_workgroup_info 0
		.amdhsa_system_vgpr_workitem_id 0
		.amdhsa_next_free_vgpr 1
		.amdhsa_next_free_sgpr 1
		.amdhsa_named_barrier_count 0
		.amdhsa_reserve_vcc 0
		.amdhsa_float_round_mode_32 0
		.amdhsa_float_round_mode_16_64 0
		.amdhsa_float_denorm_mode_32 3
		.amdhsa_float_denorm_mode_16_64 3
		.amdhsa_fp16_overflow 0
		.amdhsa_memory_ordered 1
		.amdhsa_forward_progress 1
		.amdhsa_inst_pref_size 0
		.amdhsa_round_robin_scheduling 0
		.amdhsa_exception_fp_ieee_invalid_op 0
		.amdhsa_exception_fp_denorm_src 0
		.amdhsa_exception_fp_ieee_div_zero 0
		.amdhsa_exception_fp_ieee_overflow 0
		.amdhsa_exception_fp_ieee_underflow 0
		.amdhsa_exception_fp_ieee_inexact 0
		.amdhsa_exception_int_div_zero 0
	.end_amdhsa_kernel
	.section	.text._ZN7rocprim17ROCPRIM_400000_NS6detail17trampoline_kernelINS0_14default_configENS1_25partition_config_selectorILNS1_17partition_subalgoE8ElNS0_10empty_typeEbEEZZNS1_14partition_implILS5_8ELb0ES3_jPlPS6_PKS6_NS0_5tupleIJS9_S6_EEENSD_IJSA_SA_EEENS0_18inequality_wrapperIZN2at6native12_GLOBAL__N_124unique_dim_cuda_templateIN3c104HalfEEESt5tupleIJNSH_6TensorESO_SO_EERKSO_lbbbEUlllE0_EEPmJS6_EEE10hipError_tPvRmT3_T4_T5_T6_T7_T9_mT8_P12ihipStream_tbDpT10_ENKUlT_T0_E_clISt17integral_constantIbLb0EES1D_IbLb1EEEEDaS19_S1A_EUlS19_E_NS1_11comp_targetILNS1_3genE2ELNS1_11target_archE906ELNS1_3gpuE6ELNS1_3repE0EEENS1_30default_config_static_selectorELNS0_4arch9wavefront6targetE0EEEvT1_,"axG",@progbits,_ZN7rocprim17ROCPRIM_400000_NS6detail17trampoline_kernelINS0_14default_configENS1_25partition_config_selectorILNS1_17partition_subalgoE8ElNS0_10empty_typeEbEEZZNS1_14partition_implILS5_8ELb0ES3_jPlPS6_PKS6_NS0_5tupleIJS9_S6_EEENSD_IJSA_SA_EEENS0_18inequality_wrapperIZN2at6native12_GLOBAL__N_124unique_dim_cuda_templateIN3c104HalfEEESt5tupleIJNSH_6TensorESO_SO_EERKSO_lbbbEUlllE0_EEPmJS6_EEE10hipError_tPvRmT3_T4_T5_T6_T7_T9_mT8_P12ihipStream_tbDpT10_ENKUlT_T0_E_clISt17integral_constantIbLb0EES1D_IbLb1EEEEDaS19_S1A_EUlS19_E_NS1_11comp_targetILNS1_3genE2ELNS1_11target_archE906ELNS1_3gpuE6ELNS1_3repE0EEENS1_30default_config_static_selectorELNS0_4arch9wavefront6targetE0EEEvT1_,comdat
.Lfunc_end1325:
	.size	_ZN7rocprim17ROCPRIM_400000_NS6detail17trampoline_kernelINS0_14default_configENS1_25partition_config_selectorILNS1_17partition_subalgoE8ElNS0_10empty_typeEbEEZZNS1_14partition_implILS5_8ELb0ES3_jPlPS6_PKS6_NS0_5tupleIJS9_S6_EEENSD_IJSA_SA_EEENS0_18inequality_wrapperIZN2at6native12_GLOBAL__N_124unique_dim_cuda_templateIN3c104HalfEEESt5tupleIJNSH_6TensorESO_SO_EERKSO_lbbbEUlllE0_EEPmJS6_EEE10hipError_tPvRmT3_T4_T5_T6_T7_T9_mT8_P12ihipStream_tbDpT10_ENKUlT_T0_E_clISt17integral_constantIbLb0EES1D_IbLb1EEEEDaS19_S1A_EUlS19_E_NS1_11comp_targetILNS1_3genE2ELNS1_11target_archE906ELNS1_3gpuE6ELNS1_3repE0EEENS1_30default_config_static_selectorELNS0_4arch9wavefront6targetE0EEEvT1_, .Lfunc_end1325-_ZN7rocprim17ROCPRIM_400000_NS6detail17trampoline_kernelINS0_14default_configENS1_25partition_config_selectorILNS1_17partition_subalgoE8ElNS0_10empty_typeEbEEZZNS1_14partition_implILS5_8ELb0ES3_jPlPS6_PKS6_NS0_5tupleIJS9_S6_EEENSD_IJSA_SA_EEENS0_18inequality_wrapperIZN2at6native12_GLOBAL__N_124unique_dim_cuda_templateIN3c104HalfEEESt5tupleIJNSH_6TensorESO_SO_EERKSO_lbbbEUlllE0_EEPmJS6_EEE10hipError_tPvRmT3_T4_T5_T6_T7_T9_mT8_P12ihipStream_tbDpT10_ENKUlT_T0_E_clISt17integral_constantIbLb0EES1D_IbLb1EEEEDaS19_S1A_EUlS19_E_NS1_11comp_targetILNS1_3genE2ELNS1_11target_archE906ELNS1_3gpuE6ELNS1_3repE0EEENS1_30default_config_static_selectorELNS0_4arch9wavefront6targetE0EEEvT1_
                                        ; -- End function
	.set _ZN7rocprim17ROCPRIM_400000_NS6detail17trampoline_kernelINS0_14default_configENS1_25partition_config_selectorILNS1_17partition_subalgoE8ElNS0_10empty_typeEbEEZZNS1_14partition_implILS5_8ELb0ES3_jPlPS6_PKS6_NS0_5tupleIJS9_S6_EEENSD_IJSA_SA_EEENS0_18inequality_wrapperIZN2at6native12_GLOBAL__N_124unique_dim_cuda_templateIN3c104HalfEEESt5tupleIJNSH_6TensorESO_SO_EERKSO_lbbbEUlllE0_EEPmJS6_EEE10hipError_tPvRmT3_T4_T5_T6_T7_T9_mT8_P12ihipStream_tbDpT10_ENKUlT_T0_E_clISt17integral_constantIbLb0EES1D_IbLb1EEEEDaS19_S1A_EUlS19_E_NS1_11comp_targetILNS1_3genE2ELNS1_11target_archE906ELNS1_3gpuE6ELNS1_3repE0EEENS1_30default_config_static_selectorELNS0_4arch9wavefront6targetE0EEEvT1_.num_vgpr, 0
	.set _ZN7rocprim17ROCPRIM_400000_NS6detail17trampoline_kernelINS0_14default_configENS1_25partition_config_selectorILNS1_17partition_subalgoE8ElNS0_10empty_typeEbEEZZNS1_14partition_implILS5_8ELb0ES3_jPlPS6_PKS6_NS0_5tupleIJS9_S6_EEENSD_IJSA_SA_EEENS0_18inequality_wrapperIZN2at6native12_GLOBAL__N_124unique_dim_cuda_templateIN3c104HalfEEESt5tupleIJNSH_6TensorESO_SO_EERKSO_lbbbEUlllE0_EEPmJS6_EEE10hipError_tPvRmT3_T4_T5_T6_T7_T9_mT8_P12ihipStream_tbDpT10_ENKUlT_T0_E_clISt17integral_constantIbLb0EES1D_IbLb1EEEEDaS19_S1A_EUlS19_E_NS1_11comp_targetILNS1_3genE2ELNS1_11target_archE906ELNS1_3gpuE6ELNS1_3repE0EEENS1_30default_config_static_selectorELNS0_4arch9wavefront6targetE0EEEvT1_.num_agpr, 0
	.set _ZN7rocprim17ROCPRIM_400000_NS6detail17trampoline_kernelINS0_14default_configENS1_25partition_config_selectorILNS1_17partition_subalgoE8ElNS0_10empty_typeEbEEZZNS1_14partition_implILS5_8ELb0ES3_jPlPS6_PKS6_NS0_5tupleIJS9_S6_EEENSD_IJSA_SA_EEENS0_18inequality_wrapperIZN2at6native12_GLOBAL__N_124unique_dim_cuda_templateIN3c104HalfEEESt5tupleIJNSH_6TensorESO_SO_EERKSO_lbbbEUlllE0_EEPmJS6_EEE10hipError_tPvRmT3_T4_T5_T6_T7_T9_mT8_P12ihipStream_tbDpT10_ENKUlT_T0_E_clISt17integral_constantIbLb0EES1D_IbLb1EEEEDaS19_S1A_EUlS19_E_NS1_11comp_targetILNS1_3genE2ELNS1_11target_archE906ELNS1_3gpuE6ELNS1_3repE0EEENS1_30default_config_static_selectorELNS0_4arch9wavefront6targetE0EEEvT1_.numbered_sgpr, 0
	.set _ZN7rocprim17ROCPRIM_400000_NS6detail17trampoline_kernelINS0_14default_configENS1_25partition_config_selectorILNS1_17partition_subalgoE8ElNS0_10empty_typeEbEEZZNS1_14partition_implILS5_8ELb0ES3_jPlPS6_PKS6_NS0_5tupleIJS9_S6_EEENSD_IJSA_SA_EEENS0_18inequality_wrapperIZN2at6native12_GLOBAL__N_124unique_dim_cuda_templateIN3c104HalfEEESt5tupleIJNSH_6TensorESO_SO_EERKSO_lbbbEUlllE0_EEPmJS6_EEE10hipError_tPvRmT3_T4_T5_T6_T7_T9_mT8_P12ihipStream_tbDpT10_ENKUlT_T0_E_clISt17integral_constantIbLb0EES1D_IbLb1EEEEDaS19_S1A_EUlS19_E_NS1_11comp_targetILNS1_3genE2ELNS1_11target_archE906ELNS1_3gpuE6ELNS1_3repE0EEENS1_30default_config_static_selectorELNS0_4arch9wavefront6targetE0EEEvT1_.num_named_barrier, 0
	.set _ZN7rocprim17ROCPRIM_400000_NS6detail17trampoline_kernelINS0_14default_configENS1_25partition_config_selectorILNS1_17partition_subalgoE8ElNS0_10empty_typeEbEEZZNS1_14partition_implILS5_8ELb0ES3_jPlPS6_PKS6_NS0_5tupleIJS9_S6_EEENSD_IJSA_SA_EEENS0_18inequality_wrapperIZN2at6native12_GLOBAL__N_124unique_dim_cuda_templateIN3c104HalfEEESt5tupleIJNSH_6TensorESO_SO_EERKSO_lbbbEUlllE0_EEPmJS6_EEE10hipError_tPvRmT3_T4_T5_T6_T7_T9_mT8_P12ihipStream_tbDpT10_ENKUlT_T0_E_clISt17integral_constantIbLb0EES1D_IbLb1EEEEDaS19_S1A_EUlS19_E_NS1_11comp_targetILNS1_3genE2ELNS1_11target_archE906ELNS1_3gpuE6ELNS1_3repE0EEENS1_30default_config_static_selectorELNS0_4arch9wavefront6targetE0EEEvT1_.private_seg_size, 0
	.set _ZN7rocprim17ROCPRIM_400000_NS6detail17trampoline_kernelINS0_14default_configENS1_25partition_config_selectorILNS1_17partition_subalgoE8ElNS0_10empty_typeEbEEZZNS1_14partition_implILS5_8ELb0ES3_jPlPS6_PKS6_NS0_5tupleIJS9_S6_EEENSD_IJSA_SA_EEENS0_18inequality_wrapperIZN2at6native12_GLOBAL__N_124unique_dim_cuda_templateIN3c104HalfEEESt5tupleIJNSH_6TensorESO_SO_EERKSO_lbbbEUlllE0_EEPmJS6_EEE10hipError_tPvRmT3_T4_T5_T6_T7_T9_mT8_P12ihipStream_tbDpT10_ENKUlT_T0_E_clISt17integral_constantIbLb0EES1D_IbLb1EEEEDaS19_S1A_EUlS19_E_NS1_11comp_targetILNS1_3genE2ELNS1_11target_archE906ELNS1_3gpuE6ELNS1_3repE0EEENS1_30default_config_static_selectorELNS0_4arch9wavefront6targetE0EEEvT1_.uses_vcc, 0
	.set _ZN7rocprim17ROCPRIM_400000_NS6detail17trampoline_kernelINS0_14default_configENS1_25partition_config_selectorILNS1_17partition_subalgoE8ElNS0_10empty_typeEbEEZZNS1_14partition_implILS5_8ELb0ES3_jPlPS6_PKS6_NS0_5tupleIJS9_S6_EEENSD_IJSA_SA_EEENS0_18inequality_wrapperIZN2at6native12_GLOBAL__N_124unique_dim_cuda_templateIN3c104HalfEEESt5tupleIJNSH_6TensorESO_SO_EERKSO_lbbbEUlllE0_EEPmJS6_EEE10hipError_tPvRmT3_T4_T5_T6_T7_T9_mT8_P12ihipStream_tbDpT10_ENKUlT_T0_E_clISt17integral_constantIbLb0EES1D_IbLb1EEEEDaS19_S1A_EUlS19_E_NS1_11comp_targetILNS1_3genE2ELNS1_11target_archE906ELNS1_3gpuE6ELNS1_3repE0EEENS1_30default_config_static_selectorELNS0_4arch9wavefront6targetE0EEEvT1_.uses_flat_scratch, 0
	.set _ZN7rocprim17ROCPRIM_400000_NS6detail17trampoline_kernelINS0_14default_configENS1_25partition_config_selectorILNS1_17partition_subalgoE8ElNS0_10empty_typeEbEEZZNS1_14partition_implILS5_8ELb0ES3_jPlPS6_PKS6_NS0_5tupleIJS9_S6_EEENSD_IJSA_SA_EEENS0_18inequality_wrapperIZN2at6native12_GLOBAL__N_124unique_dim_cuda_templateIN3c104HalfEEESt5tupleIJNSH_6TensorESO_SO_EERKSO_lbbbEUlllE0_EEPmJS6_EEE10hipError_tPvRmT3_T4_T5_T6_T7_T9_mT8_P12ihipStream_tbDpT10_ENKUlT_T0_E_clISt17integral_constantIbLb0EES1D_IbLb1EEEEDaS19_S1A_EUlS19_E_NS1_11comp_targetILNS1_3genE2ELNS1_11target_archE906ELNS1_3gpuE6ELNS1_3repE0EEENS1_30default_config_static_selectorELNS0_4arch9wavefront6targetE0EEEvT1_.has_dyn_sized_stack, 0
	.set _ZN7rocprim17ROCPRIM_400000_NS6detail17trampoline_kernelINS0_14default_configENS1_25partition_config_selectorILNS1_17partition_subalgoE8ElNS0_10empty_typeEbEEZZNS1_14partition_implILS5_8ELb0ES3_jPlPS6_PKS6_NS0_5tupleIJS9_S6_EEENSD_IJSA_SA_EEENS0_18inequality_wrapperIZN2at6native12_GLOBAL__N_124unique_dim_cuda_templateIN3c104HalfEEESt5tupleIJNSH_6TensorESO_SO_EERKSO_lbbbEUlllE0_EEPmJS6_EEE10hipError_tPvRmT3_T4_T5_T6_T7_T9_mT8_P12ihipStream_tbDpT10_ENKUlT_T0_E_clISt17integral_constantIbLb0EES1D_IbLb1EEEEDaS19_S1A_EUlS19_E_NS1_11comp_targetILNS1_3genE2ELNS1_11target_archE906ELNS1_3gpuE6ELNS1_3repE0EEENS1_30default_config_static_selectorELNS0_4arch9wavefront6targetE0EEEvT1_.has_recursion, 0
	.set _ZN7rocprim17ROCPRIM_400000_NS6detail17trampoline_kernelINS0_14default_configENS1_25partition_config_selectorILNS1_17partition_subalgoE8ElNS0_10empty_typeEbEEZZNS1_14partition_implILS5_8ELb0ES3_jPlPS6_PKS6_NS0_5tupleIJS9_S6_EEENSD_IJSA_SA_EEENS0_18inequality_wrapperIZN2at6native12_GLOBAL__N_124unique_dim_cuda_templateIN3c104HalfEEESt5tupleIJNSH_6TensorESO_SO_EERKSO_lbbbEUlllE0_EEPmJS6_EEE10hipError_tPvRmT3_T4_T5_T6_T7_T9_mT8_P12ihipStream_tbDpT10_ENKUlT_T0_E_clISt17integral_constantIbLb0EES1D_IbLb1EEEEDaS19_S1A_EUlS19_E_NS1_11comp_targetILNS1_3genE2ELNS1_11target_archE906ELNS1_3gpuE6ELNS1_3repE0EEENS1_30default_config_static_selectorELNS0_4arch9wavefront6targetE0EEEvT1_.has_indirect_call, 0
	.section	.AMDGPU.csdata,"",@progbits
; Kernel info:
; codeLenInByte = 0
; TotalNumSgprs: 0
; NumVgprs: 0
; ScratchSize: 0
; MemoryBound: 0
; FloatMode: 240
; IeeeMode: 1
; LDSByteSize: 0 bytes/workgroup (compile time only)
; SGPRBlocks: 0
; VGPRBlocks: 0
; NumSGPRsForWavesPerEU: 1
; NumVGPRsForWavesPerEU: 1
; NamedBarCnt: 0
; Occupancy: 16
; WaveLimiterHint : 0
; COMPUTE_PGM_RSRC2:SCRATCH_EN: 0
; COMPUTE_PGM_RSRC2:USER_SGPR: 2
; COMPUTE_PGM_RSRC2:TRAP_HANDLER: 0
; COMPUTE_PGM_RSRC2:TGID_X_EN: 1
; COMPUTE_PGM_RSRC2:TGID_Y_EN: 0
; COMPUTE_PGM_RSRC2:TGID_Z_EN: 0
; COMPUTE_PGM_RSRC2:TIDIG_COMP_CNT: 0
	.section	.text._ZN7rocprim17ROCPRIM_400000_NS6detail17trampoline_kernelINS0_14default_configENS1_25partition_config_selectorILNS1_17partition_subalgoE8ElNS0_10empty_typeEbEEZZNS1_14partition_implILS5_8ELb0ES3_jPlPS6_PKS6_NS0_5tupleIJS9_S6_EEENSD_IJSA_SA_EEENS0_18inequality_wrapperIZN2at6native12_GLOBAL__N_124unique_dim_cuda_templateIN3c104HalfEEESt5tupleIJNSH_6TensorESO_SO_EERKSO_lbbbEUlllE0_EEPmJS6_EEE10hipError_tPvRmT3_T4_T5_T6_T7_T9_mT8_P12ihipStream_tbDpT10_ENKUlT_T0_E_clISt17integral_constantIbLb0EES1D_IbLb1EEEEDaS19_S1A_EUlS19_E_NS1_11comp_targetILNS1_3genE10ELNS1_11target_archE1200ELNS1_3gpuE4ELNS1_3repE0EEENS1_30default_config_static_selectorELNS0_4arch9wavefront6targetE0EEEvT1_,"axG",@progbits,_ZN7rocprim17ROCPRIM_400000_NS6detail17trampoline_kernelINS0_14default_configENS1_25partition_config_selectorILNS1_17partition_subalgoE8ElNS0_10empty_typeEbEEZZNS1_14partition_implILS5_8ELb0ES3_jPlPS6_PKS6_NS0_5tupleIJS9_S6_EEENSD_IJSA_SA_EEENS0_18inequality_wrapperIZN2at6native12_GLOBAL__N_124unique_dim_cuda_templateIN3c104HalfEEESt5tupleIJNSH_6TensorESO_SO_EERKSO_lbbbEUlllE0_EEPmJS6_EEE10hipError_tPvRmT3_T4_T5_T6_T7_T9_mT8_P12ihipStream_tbDpT10_ENKUlT_T0_E_clISt17integral_constantIbLb0EES1D_IbLb1EEEEDaS19_S1A_EUlS19_E_NS1_11comp_targetILNS1_3genE10ELNS1_11target_archE1200ELNS1_3gpuE4ELNS1_3repE0EEENS1_30default_config_static_selectorELNS0_4arch9wavefront6targetE0EEEvT1_,comdat
	.globl	_ZN7rocprim17ROCPRIM_400000_NS6detail17trampoline_kernelINS0_14default_configENS1_25partition_config_selectorILNS1_17partition_subalgoE8ElNS0_10empty_typeEbEEZZNS1_14partition_implILS5_8ELb0ES3_jPlPS6_PKS6_NS0_5tupleIJS9_S6_EEENSD_IJSA_SA_EEENS0_18inequality_wrapperIZN2at6native12_GLOBAL__N_124unique_dim_cuda_templateIN3c104HalfEEESt5tupleIJNSH_6TensorESO_SO_EERKSO_lbbbEUlllE0_EEPmJS6_EEE10hipError_tPvRmT3_T4_T5_T6_T7_T9_mT8_P12ihipStream_tbDpT10_ENKUlT_T0_E_clISt17integral_constantIbLb0EES1D_IbLb1EEEEDaS19_S1A_EUlS19_E_NS1_11comp_targetILNS1_3genE10ELNS1_11target_archE1200ELNS1_3gpuE4ELNS1_3repE0EEENS1_30default_config_static_selectorELNS0_4arch9wavefront6targetE0EEEvT1_ ; -- Begin function _ZN7rocprim17ROCPRIM_400000_NS6detail17trampoline_kernelINS0_14default_configENS1_25partition_config_selectorILNS1_17partition_subalgoE8ElNS0_10empty_typeEbEEZZNS1_14partition_implILS5_8ELb0ES3_jPlPS6_PKS6_NS0_5tupleIJS9_S6_EEENSD_IJSA_SA_EEENS0_18inequality_wrapperIZN2at6native12_GLOBAL__N_124unique_dim_cuda_templateIN3c104HalfEEESt5tupleIJNSH_6TensorESO_SO_EERKSO_lbbbEUlllE0_EEPmJS6_EEE10hipError_tPvRmT3_T4_T5_T6_T7_T9_mT8_P12ihipStream_tbDpT10_ENKUlT_T0_E_clISt17integral_constantIbLb0EES1D_IbLb1EEEEDaS19_S1A_EUlS19_E_NS1_11comp_targetILNS1_3genE10ELNS1_11target_archE1200ELNS1_3gpuE4ELNS1_3repE0EEENS1_30default_config_static_selectorELNS0_4arch9wavefront6targetE0EEEvT1_
	.p2align	8
	.type	_ZN7rocprim17ROCPRIM_400000_NS6detail17trampoline_kernelINS0_14default_configENS1_25partition_config_selectorILNS1_17partition_subalgoE8ElNS0_10empty_typeEbEEZZNS1_14partition_implILS5_8ELb0ES3_jPlPS6_PKS6_NS0_5tupleIJS9_S6_EEENSD_IJSA_SA_EEENS0_18inequality_wrapperIZN2at6native12_GLOBAL__N_124unique_dim_cuda_templateIN3c104HalfEEESt5tupleIJNSH_6TensorESO_SO_EERKSO_lbbbEUlllE0_EEPmJS6_EEE10hipError_tPvRmT3_T4_T5_T6_T7_T9_mT8_P12ihipStream_tbDpT10_ENKUlT_T0_E_clISt17integral_constantIbLb0EES1D_IbLb1EEEEDaS19_S1A_EUlS19_E_NS1_11comp_targetILNS1_3genE10ELNS1_11target_archE1200ELNS1_3gpuE4ELNS1_3repE0EEENS1_30default_config_static_selectorELNS0_4arch9wavefront6targetE0EEEvT1_,@function
_ZN7rocprim17ROCPRIM_400000_NS6detail17trampoline_kernelINS0_14default_configENS1_25partition_config_selectorILNS1_17partition_subalgoE8ElNS0_10empty_typeEbEEZZNS1_14partition_implILS5_8ELb0ES3_jPlPS6_PKS6_NS0_5tupleIJS9_S6_EEENSD_IJSA_SA_EEENS0_18inequality_wrapperIZN2at6native12_GLOBAL__N_124unique_dim_cuda_templateIN3c104HalfEEESt5tupleIJNSH_6TensorESO_SO_EERKSO_lbbbEUlllE0_EEPmJS6_EEE10hipError_tPvRmT3_T4_T5_T6_T7_T9_mT8_P12ihipStream_tbDpT10_ENKUlT_T0_E_clISt17integral_constantIbLb0EES1D_IbLb1EEEEDaS19_S1A_EUlS19_E_NS1_11comp_targetILNS1_3genE10ELNS1_11target_archE1200ELNS1_3gpuE4ELNS1_3repE0EEENS1_30default_config_static_selectorELNS0_4arch9wavefront6targetE0EEEvT1_: ; @_ZN7rocprim17ROCPRIM_400000_NS6detail17trampoline_kernelINS0_14default_configENS1_25partition_config_selectorILNS1_17partition_subalgoE8ElNS0_10empty_typeEbEEZZNS1_14partition_implILS5_8ELb0ES3_jPlPS6_PKS6_NS0_5tupleIJS9_S6_EEENSD_IJSA_SA_EEENS0_18inequality_wrapperIZN2at6native12_GLOBAL__N_124unique_dim_cuda_templateIN3c104HalfEEESt5tupleIJNSH_6TensorESO_SO_EERKSO_lbbbEUlllE0_EEPmJS6_EEE10hipError_tPvRmT3_T4_T5_T6_T7_T9_mT8_P12ihipStream_tbDpT10_ENKUlT_T0_E_clISt17integral_constantIbLb0EES1D_IbLb1EEEEDaS19_S1A_EUlS19_E_NS1_11comp_targetILNS1_3genE10ELNS1_11target_archE1200ELNS1_3gpuE4ELNS1_3repE0EEENS1_30default_config_static_selectorELNS0_4arch9wavefront6targetE0EEEvT1_
; %bb.0:
	.section	.rodata,"a",@progbits
	.p2align	6, 0x0
	.amdhsa_kernel _ZN7rocprim17ROCPRIM_400000_NS6detail17trampoline_kernelINS0_14default_configENS1_25partition_config_selectorILNS1_17partition_subalgoE8ElNS0_10empty_typeEbEEZZNS1_14partition_implILS5_8ELb0ES3_jPlPS6_PKS6_NS0_5tupleIJS9_S6_EEENSD_IJSA_SA_EEENS0_18inequality_wrapperIZN2at6native12_GLOBAL__N_124unique_dim_cuda_templateIN3c104HalfEEESt5tupleIJNSH_6TensorESO_SO_EERKSO_lbbbEUlllE0_EEPmJS6_EEE10hipError_tPvRmT3_T4_T5_T6_T7_T9_mT8_P12ihipStream_tbDpT10_ENKUlT_T0_E_clISt17integral_constantIbLb0EES1D_IbLb1EEEEDaS19_S1A_EUlS19_E_NS1_11comp_targetILNS1_3genE10ELNS1_11target_archE1200ELNS1_3gpuE4ELNS1_3repE0EEENS1_30default_config_static_selectorELNS0_4arch9wavefront6targetE0EEEvT1_
		.amdhsa_group_segment_fixed_size 0
		.amdhsa_private_segment_fixed_size 0
		.amdhsa_kernarg_size 136
		.amdhsa_user_sgpr_count 2
		.amdhsa_user_sgpr_dispatch_ptr 0
		.amdhsa_user_sgpr_queue_ptr 0
		.amdhsa_user_sgpr_kernarg_segment_ptr 1
		.amdhsa_user_sgpr_dispatch_id 0
		.amdhsa_user_sgpr_kernarg_preload_length 0
		.amdhsa_user_sgpr_kernarg_preload_offset 0
		.amdhsa_user_sgpr_private_segment_size 0
		.amdhsa_wavefront_size32 1
		.amdhsa_uses_dynamic_stack 0
		.amdhsa_enable_private_segment 0
		.amdhsa_system_sgpr_workgroup_id_x 1
		.amdhsa_system_sgpr_workgroup_id_y 0
		.amdhsa_system_sgpr_workgroup_id_z 0
		.amdhsa_system_sgpr_workgroup_info 0
		.amdhsa_system_vgpr_workitem_id 0
		.amdhsa_next_free_vgpr 1
		.amdhsa_next_free_sgpr 1
		.amdhsa_named_barrier_count 0
		.amdhsa_reserve_vcc 0
		.amdhsa_float_round_mode_32 0
		.amdhsa_float_round_mode_16_64 0
		.amdhsa_float_denorm_mode_32 3
		.amdhsa_float_denorm_mode_16_64 3
		.amdhsa_fp16_overflow 0
		.amdhsa_memory_ordered 1
		.amdhsa_forward_progress 1
		.amdhsa_inst_pref_size 0
		.amdhsa_round_robin_scheduling 0
		.amdhsa_exception_fp_ieee_invalid_op 0
		.amdhsa_exception_fp_denorm_src 0
		.amdhsa_exception_fp_ieee_div_zero 0
		.amdhsa_exception_fp_ieee_overflow 0
		.amdhsa_exception_fp_ieee_underflow 0
		.amdhsa_exception_fp_ieee_inexact 0
		.amdhsa_exception_int_div_zero 0
	.end_amdhsa_kernel
	.section	.text._ZN7rocprim17ROCPRIM_400000_NS6detail17trampoline_kernelINS0_14default_configENS1_25partition_config_selectorILNS1_17partition_subalgoE8ElNS0_10empty_typeEbEEZZNS1_14partition_implILS5_8ELb0ES3_jPlPS6_PKS6_NS0_5tupleIJS9_S6_EEENSD_IJSA_SA_EEENS0_18inequality_wrapperIZN2at6native12_GLOBAL__N_124unique_dim_cuda_templateIN3c104HalfEEESt5tupleIJNSH_6TensorESO_SO_EERKSO_lbbbEUlllE0_EEPmJS6_EEE10hipError_tPvRmT3_T4_T5_T6_T7_T9_mT8_P12ihipStream_tbDpT10_ENKUlT_T0_E_clISt17integral_constantIbLb0EES1D_IbLb1EEEEDaS19_S1A_EUlS19_E_NS1_11comp_targetILNS1_3genE10ELNS1_11target_archE1200ELNS1_3gpuE4ELNS1_3repE0EEENS1_30default_config_static_selectorELNS0_4arch9wavefront6targetE0EEEvT1_,"axG",@progbits,_ZN7rocprim17ROCPRIM_400000_NS6detail17trampoline_kernelINS0_14default_configENS1_25partition_config_selectorILNS1_17partition_subalgoE8ElNS0_10empty_typeEbEEZZNS1_14partition_implILS5_8ELb0ES3_jPlPS6_PKS6_NS0_5tupleIJS9_S6_EEENSD_IJSA_SA_EEENS0_18inequality_wrapperIZN2at6native12_GLOBAL__N_124unique_dim_cuda_templateIN3c104HalfEEESt5tupleIJNSH_6TensorESO_SO_EERKSO_lbbbEUlllE0_EEPmJS6_EEE10hipError_tPvRmT3_T4_T5_T6_T7_T9_mT8_P12ihipStream_tbDpT10_ENKUlT_T0_E_clISt17integral_constantIbLb0EES1D_IbLb1EEEEDaS19_S1A_EUlS19_E_NS1_11comp_targetILNS1_3genE10ELNS1_11target_archE1200ELNS1_3gpuE4ELNS1_3repE0EEENS1_30default_config_static_selectorELNS0_4arch9wavefront6targetE0EEEvT1_,comdat
.Lfunc_end1326:
	.size	_ZN7rocprim17ROCPRIM_400000_NS6detail17trampoline_kernelINS0_14default_configENS1_25partition_config_selectorILNS1_17partition_subalgoE8ElNS0_10empty_typeEbEEZZNS1_14partition_implILS5_8ELb0ES3_jPlPS6_PKS6_NS0_5tupleIJS9_S6_EEENSD_IJSA_SA_EEENS0_18inequality_wrapperIZN2at6native12_GLOBAL__N_124unique_dim_cuda_templateIN3c104HalfEEESt5tupleIJNSH_6TensorESO_SO_EERKSO_lbbbEUlllE0_EEPmJS6_EEE10hipError_tPvRmT3_T4_T5_T6_T7_T9_mT8_P12ihipStream_tbDpT10_ENKUlT_T0_E_clISt17integral_constantIbLb0EES1D_IbLb1EEEEDaS19_S1A_EUlS19_E_NS1_11comp_targetILNS1_3genE10ELNS1_11target_archE1200ELNS1_3gpuE4ELNS1_3repE0EEENS1_30default_config_static_selectorELNS0_4arch9wavefront6targetE0EEEvT1_, .Lfunc_end1326-_ZN7rocprim17ROCPRIM_400000_NS6detail17trampoline_kernelINS0_14default_configENS1_25partition_config_selectorILNS1_17partition_subalgoE8ElNS0_10empty_typeEbEEZZNS1_14partition_implILS5_8ELb0ES3_jPlPS6_PKS6_NS0_5tupleIJS9_S6_EEENSD_IJSA_SA_EEENS0_18inequality_wrapperIZN2at6native12_GLOBAL__N_124unique_dim_cuda_templateIN3c104HalfEEESt5tupleIJNSH_6TensorESO_SO_EERKSO_lbbbEUlllE0_EEPmJS6_EEE10hipError_tPvRmT3_T4_T5_T6_T7_T9_mT8_P12ihipStream_tbDpT10_ENKUlT_T0_E_clISt17integral_constantIbLb0EES1D_IbLb1EEEEDaS19_S1A_EUlS19_E_NS1_11comp_targetILNS1_3genE10ELNS1_11target_archE1200ELNS1_3gpuE4ELNS1_3repE0EEENS1_30default_config_static_selectorELNS0_4arch9wavefront6targetE0EEEvT1_
                                        ; -- End function
	.set _ZN7rocprim17ROCPRIM_400000_NS6detail17trampoline_kernelINS0_14default_configENS1_25partition_config_selectorILNS1_17partition_subalgoE8ElNS0_10empty_typeEbEEZZNS1_14partition_implILS5_8ELb0ES3_jPlPS6_PKS6_NS0_5tupleIJS9_S6_EEENSD_IJSA_SA_EEENS0_18inequality_wrapperIZN2at6native12_GLOBAL__N_124unique_dim_cuda_templateIN3c104HalfEEESt5tupleIJNSH_6TensorESO_SO_EERKSO_lbbbEUlllE0_EEPmJS6_EEE10hipError_tPvRmT3_T4_T5_T6_T7_T9_mT8_P12ihipStream_tbDpT10_ENKUlT_T0_E_clISt17integral_constantIbLb0EES1D_IbLb1EEEEDaS19_S1A_EUlS19_E_NS1_11comp_targetILNS1_3genE10ELNS1_11target_archE1200ELNS1_3gpuE4ELNS1_3repE0EEENS1_30default_config_static_selectorELNS0_4arch9wavefront6targetE0EEEvT1_.num_vgpr, 0
	.set _ZN7rocprim17ROCPRIM_400000_NS6detail17trampoline_kernelINS0_14default_configENS1_25partition_config_selectorILNS1_17partition_subalgoE8ElNS0_10empty_typeEbEEZZNS1_14partition_implILS5_8ELb0ES3_jPlPS6_PKS6_NS0_5tupleIJS9_S6_EEENSD_IJSA_SA_EEENS0_18inequality_wrapperIZN2at6native12_GLOBAL__N_124unique_dim_cuda_templateIN3c104HalfEEESt5tupleIJNSH_6TensorESO_SO_EERKSO_lbbbEUlllE0_EEPmJS6_EEE10hipError_tPvRmT3_T4_T5_T6_T7_T9_mT8_P12ihipStream_tbDpT10_ENKUlT_T0_E_clISt17integral_constantIbLb0EES1D_IbLb1EEEEDaS19_S1A_EUlS19_E_NS1_11comp_targetILNS1_3genE10ELNS1_11target_archE1200ELNS1_3gpuE4ELNS1_3repE0EEENS1_30default_config_static_selectorELNS0_4arch9wavefront6targetE0EEEvT1_.num_agpr, 0
	.set _ZN7rocprim17ROCPRIM_400000_NS6detail17trampoline_kernelINS0_14default_configENS1_25partition_config_selectorILNS1_17partition_subalgoE8ElNS0_10empty_typeEbEEZZNS1_14partition_implILS5_8ELb0ES3_jPlPS6_PKS6_NS0_5tupleIJS9_S6_EEENSD_IJSA_SA_EEENS0_18inequality_wrapperIZN2at6native12_GLOBAL__N_124unique_dim_cuda_templateIN3c104HalfEEESt5tupleIJNSH_6TensorESO_SO_EERKSO_lbbbEUlllE0_EEPmJS6_EEE10hipError_tPvRmT3_T4_T5_T6_T7_T9_mT8_P12ihipStream_tbDpT10_ENKUlT_T0_E_clISt17integral_constantIbLb0EES1D_IbLb1EEEEDaS19_S1A_EUlS19_E_NS1_11comp_targetILNS1_3genE10ELNS1_11target_archE1200ELNS1_3gpuE4ELNS1_3repE0EEENS1_30default_config_static_selectorELNS0_4arch9wavefront6targetE0EEEvT1_.numbered_sgpr, 0
	.set _ZN7rocprim17ROCPRIM_400000_NS6detail17trampoline_kernelINS0_14default_configENS1_25partition_config_selectorILNS1_17partition_subalgoE8ElNS0_10empty_typeEbEEZZNS1_14partition_implILS5_8ELb0ES3_jPlPS6_PKS6_NS0_5tupleIJS9_S6_EEENSD_IJSA_SA_EEENS0_18inequality_wrapperIZN2at6native12_GLOBAL__N_124unique_dim_cuda_templateIN3c104HalfEEESt5tupleIJNSH_6TensorESO_SO_EERKSO_lbbbEUlllE0_EEPmJS6_EEE10hipError_tPvRmT3_T4_T5_T6_T7_T9_mT8_P12ihipStream_tbDpT10_ENKUlT_T0_E_clISt17integral_constantIbLb0EES1D_IbLb1EEEEDaS19_S1A_EUlS19_E_NS1_11comp_targetILNS1_3genE10ELNS1_11target_archE1200ELNS1_3gpuE4ELNS1_3repE0EEENS1_30default_config_static_selectorELNS0_4arch9wavefront6targetE0EEEvT1_.num_named_barrier, 0
	.set _ZN7rocprim17ROCPRIM_400000_NS6detail17trampoline_kernelINS0_14default_configENS1_25partition_config_selectorILNS1_17partition_subalgoE8ElNS0_10empty_typeEbEEZZNS1_14partition_implILS5_8ELb0ES3_jPlPS6_PKS6_NS0_5tupleIJS9_S6_EEENSD_IJSA_SA_EEENS0_18inequality_wrapperIZN2at6native12_GLOBAL__N_124unique_dim_cuda_templateIN3c104HalfEEESt5tupleIJNSH_6TensorESO_SO_EERKSO_lbbbEUlllE0_EEPmJS6_EEE10hipError_tPvRmT3_T4_T5_T6_T7_T9_mT8_P12ihipStream_tbDpT10_ENKUlT_T0_E_clISt17integral_constantIbLb0EES1D_IbLb1EEEEDaS19_S1A_EUlS19_E_NS1_11comp_targetILNS1_3genE10ELNS1_11target_archE1200ELNS1_3gpuE4ELNS1_3repE0EEENS1_30default_config_static_selectorELNS0_4arch9wavefront6targetE0EEEvT1_.private_seg_size, 0
	.set _ZN7rocprim17ROCPRIM_400000_NS6detail17trampoline_kernelINS0_14default_configENS1_25partition_config_selectorILNS1_17partition_subalgoE8ElNS0_10empty_typeEbEEZZNS1_14partition_implILS5_8ELb0ES3_jPlPS6_PKS6_NS0_5tupleIJS9_S6_EEENSD_IJSA_SA_EEENS0_18inequality_wrapperIZN2at6native12_GLOBAL__N_124unique_dim_cuda_templateIN3c104HalfEEESt5tupleIJNSH_6TensorESO_SO_EERKSO_lbbbEUlllE0_EEPmJS6_EEE10hipError_tPvRmT3_T4_T5_T6_T7_T9_mT8_P12ihipStream_tbDpT10_ENKUlT_T0_E_clISt17integral_constantIbLb0EES1D_IbLb1EEEEDaS19_S1A_EUlS19_E_NS1_11comp_targetILNS1_3genE10ELNS1_11target_archE1200ELNS1_3gpuE4ELNS1_3repE0EEENS1_30default_config_static_selectorELNS0_4arch9wavefront6targetE0EEEvT1_.uses_vcc, 0
	.set _ZN7rocprim17ROCPRIM_400000_NS6detail17trampoline_kernelINS0_14default_configENS1_25partition_config_selectorILNS1_17partition_subalgoE8ElNS0_10empty_typeEbEEZZNS1_14partition_implILS5_8ELb0ES3_jPlPS6_PKS6_NS0_5tupleIJS9_S6_EEENSD_IJSA_SA_EEENS0_18inequality_wrapperIZN2at6native12_GLOBAL__N_124unique_dim_cuda_templateIN3c104HalfEEESt5tupleIJNSH_6TensorESO_SO_EERKSO_lbbbEUlllE0_EEPmJS6_EEE10hipError_tPvRmT3_T4_T5_T6_T7_T9_mT8_P12ihipStream_tbDpT10_ENKUlT_T0_E_clISt17integral_constantIbLb0EES1D_IbLb1EEEEDaS19_S1A_EUlS19_E_NS1_11comp_targetILNS1_3genE10ELNS1_11target_archE1200ELNS1_3gpuE4ELNS1_3repE0EEENS1_30default_config_static_selectorELNS0_4arch9wavefront6targetE0EEEvT1_.uses_flat_scratch, 0
	.set _ZN7rocprim17ROCPRIM_400000_NS6detail17trampoline_kernelINS0_14default_configENS1_25partition_config_selectorILNS1_17partition_subalgoE8ElNS0_10empty_typeEbEEZZNS1_14partition_implILS5_8ELb0ES3_jPlPS6_PKS6_NS0_5tupleIJS9_S6_EEENSD_IJSA_SA_EEENS0_18inequality_wrapperIZN2at6native12_GLOBAL__N_124unique_dim_cuda_templateIN3c104HalfEEESt5tupleIJNSH_6TensorESO_SO_EERKSO_lbbbEUlllE0_EEPmJS6_EEE10hipError_tPvRmT3_T4_T5_T6_T7_T9_mT8_P12ihipStream_tbDpT10_ENKUlT_T0_E_clISt17integral_constantIbLb0EES1D_IbLb1EEEEDaS19_S1A_EUlS19_E_NS1_11comp_targetILNS1_3genE10ELNS1_11target_archE1200ELNS1_3gpuE4ELNS1_3repE0EEENS1_30default_config_static_selectorELNS0_4arch9wavefront6targetE0EEEvT1_.has_dyn_sized_stack, 0
	.set _ZN7rocprim17ROCPRIM_400000_NS6detail17trampoline_kernelINS0_14default_configENS1_25partition_config_selectorILNS1_17partition_subalgoE8ElNS0_10empty_typeEbEEZZNS1_14partition_implILS5_8ELb0ES3_jPlPS6_PKS6_NS0_5tupleIJS9_S6_EEENSD_IJSA_SA_EEENS0_18inequality_wrapperIZN2at6native12_GLOBAL__N_124unique_dim_cuda_templateIN3c104HalfEEESt5tupleIJNSH_6TensorESO_SO_EERKSO_lbbbEUlllE0_EEPmJS6_EEE10hipError_tPvRmT3_T4_T5_T6_T7_T9_mT8_P12ihipStream_tbDpT10_ENKUlT_T0_E_clISt17integral_constantIbLb0EES1D_IbLb1EEEEDaS19_S1A_EUlS19_E_NS1_11comp_targetILNS1_3genE10ELNS1_11target_archE1200ELNS1_3gpuE4ELNS1_3repE0EEENS1_30default_config_static_selectorELNS0_4arch9wavefront6targetE0EEEvT1_.has_recursion, 0
	.set _ZN7rocprim17ROCPRIM_400000_NS6detail17trampoline_kernelINS0_14default_configENS1_25partition_config_selectorILNS1_17partition_subalgoE8ElNS0_10empty_typeEbEEZZNS1_14partition_implILS5_8ELb0ES3_jPlPS6_PKS6_NS0_5tupleIJS9_S6_EEENSD_IJSA_SA_EEENS0_18inequality_wrapperIZN2at6native12_GLOBAL__N_124unique_dim_cuda_templateIN3c104HalfEEESt5tupleIJNSH_6TensorESO_SO_EERKSO_lbbbEUlllE0_EEPmJS6_EEE10hipError_tPvRmT3_T4_T5_T6_T7_T9_mT8_P12ihipStream_tbDpT10_ENKUlT_T0_E_clISt17integral_constantIbLb0EES1D_IbLb1EEEEDaS19_S1A_EUlS19_E_NS1_11comp_targetILNS1_3genE10ELNS1_11target_archE1200ELNS1_3gpuE4ELNS1_3repE0EEENS1_30default_config_static_selectorELNS0_4arch9wavefront6targetE0EEEvT1_.has_indirect_call, 0
	.section	.AMDGPU.csdata,"",@progbits
; Kernel info:
; codeLenInByte = 0
; TotalNumSgprs: 0
; NumVgprs: 0
; ScratchSize: 0
; MemoryBound: 0
; FloatMode: 240
; IeeeMode: 1
; LDSByteSize: 0 bytes/workgroup (compile time only)
; SGPRBlocks: 0
; VGPRBlocks: 0
; NumSGPRsForWavesPerEU: 1
; NumVGPRsForWavesPerEU: 1
; NamedBarCnt: 0
; Occupancy: 16
; WaveLimiterHint : 0
; COMPUTE_PGM_RSRC2:SCRATCH_EN: 0
; COMPUTE_PGM_RSRC2:USER_SGPR: 2
; COMPUTE_PGM_RSRC2:TRAP_HANDLER: 0
; COMPUTE_PGM_RSRC2:TGID_X_EN: 1
; COMPUTE_PGM_RSRC2:TGID_Y_EN: 0
; COMPUTE_PGM_RSRC2:TGID_Z_EN: 0
; COMPUTE_PGM_RSRC2:TIDIG_COMP_CNT: 0
	.section	.text._ZN7rocprim17ROCPRIM_400000_NS6detail17trampoline_kernelINS0_14default_configENS1_25partition_config_selectorILNS1_17partition_subalgoE8ElNS0_10empty_typeEbEEZZNS1_14partition_implILS5_8ELb0ES3_jPlPS6_PKS6_NS0_5tupleIJS9_S6_EEENSD_IJSA_SA_EEENS0_18inequality_wrapperIZN2at6native12_GLOBAL__N_124unique_dim_cuda_templateIN3c104HalfEEESt5tupleIJNSH_6TensorESO_SO_EERKSO_lbbbEUlllE0_EEPmJS6_EEE10hipError_tPvRmT3_T4_T5_T6_T7_T9_mT8_P12ihipStream_tbDpT10_ENKUlT_T0_E_clISt17integral_constantIbLb0EES1D_IbLb1EEEEDaS19_S1A_EUlS19_E_NS1_11comp_targetILNS1_3genE9ELNS1_11target_archE1100ELNS1_3gpuE3ELNS1_3repE0EEENS1_30default_config_static_selectorELNS0_4arch9wavefront6targetE0EEEvT1_,"axG",@progbits,_ZN7rocprim17ROCPRIM_400000_NS6detail17trampoline_kernelINS0_14default_configENS1_25partition_config_selectorILNS1_17partition_subalgoE8ElNS0_10empty_typeEbEEZZNS1_14partition_implILS5_8ELb0ES3_jPlPS6_PKS6_NS0_5tupleIJS9_S6_EEENSD_IJSA_SA_EEENS0_18inequality_wrapperIZN2at6native12_GLOBAL__N_124unique_dim_cuda_templateIN3c104HalfEEESt5tupleIJNSH_6TensorESO_SO_EERKSO_lbbbEUlllE0_EEPmJS6_EEE10hipError_tPvRmT3_T4_T5_T6_T7_T9_mT8_P12ihipStream_tbDpT10_ENKUlT_T0_E_clISt17integral_constantIbLb0EES1D_IbLb1EEEEDaS19_S1A_EUlS19_E_NS1_11comp_targetILNS1_3genE9ELNS1_11target_archE1100ELNS1_3gpuE3ELNS1_3repE0EEENS1_30default_config_static_selectorELNS0_4arch9wavefront6targetE0EEEvT1_,comdat
	.globl	_ZN7rocprim17ROCPRIM_400000_NS6detail17trampoline_kernelINS0_14default_configENS1_25partition_config_selectorILNS1_17partition_subalgoE8ElNS0_10empty_typeEbEEZZNS1_14partition_implILS5_8ELb0ES3_jPlPS6_PKS6_NS0_5tupleIJS9_S6_EEENSD_IJSA_SA_EEENS0_18inequality_wrapperIZN2at6native12_GLOBAL__N_124unique_dim_cuda_templateIN3c104HalfEEESt5tupleIJNSH_6TensorESO_SO_EERKSO_lbbbEUlllE0_EEPmJS6_EEE10hipError_tPvRmT3_T4_T5_T6_T7_T9_mT8_P12ihipStream_tbDpT10_ENKUlT_T0_E_clISt17integral_constantIbLb0EES1D_IbLb1EEEEDaS19_S1A_EUlS19_E_NS1_11comp_targetILNS1_3genE9ELNS1_11target_archE1100ELNS1_3gpuE3ELNS1_3repE0EEENS1_30default_config_static_selectorELNS0_4arch9wavefront6targetE0EEEvT1_ ; -- Begin function _ZN7rocprim17ROCPRIM_400000_NS6detail17trampoline_kernelINS0_14default_configENS1_25partition_config_selectorILNS1_17partition_subalgoE8ElNS0_10empty_typeEbEEZZNS1_14partition_implILS5_8ELb0ES3_jPlPS6_PKS6_NS0_5tupleIJS9_S6_EEENSD_IJSA_SA_EEENS0_18inequality_wrapperIZN2at6native12_GLOBAL__N_124unique_dim_cuda_templateIN3c104HalfEEESt5tupleIJNSH_6TensorESO_SO_EERKSO_lbbbEUlllE0_EEPmJS6_EEE10hipError_tPvRmT3_T4_T5_T6_T7_T9_mT8_P12ihipStream_tbDpT10_ENKUlT_T0_E_clISt17integral_constantIbLb0EES1D_IbLb1EEEEDaS19_S1A_EUlS19_E_NS1_11comp_targetILNS1_3genE9ELNS1_11target_archE1100ELNS1_3gpuE3ELNS1_3repE0EEENS1_30default_config_static_selectorELNS0_4arch9wavefront6targetE0EEEvT1_
	.p2align	8
	.type	_ZN7rocprim17ROCPRIM_400000_NS6detail17trampoline_kernelINS0_14default_configENS1_25partition_config_selectorILNS1_17partition_subalgoE8ElNS0_10empty_typeEbEEZZNS1_14partition_implILS5_8ELb0ES3_jPlPS6_PKS6_NS0_5tupleIJS9_S6_EEENSD_IJSA_SA_EEENS0_18inequality_wrapperIZN2at6native12_GLOBAL__N_124unique_dim_cuda_templateIN3c104HalfEEESt5tupleIJNSH_6TensorESO_SO_EERKSO_lbbbEUlllE0_EEPmJS6_EEE10hipError_tPvRmT3_T4_T5_T6_T7_T9_mT8_P12ihipStream_tbDpT10_ENKUlT_T0_E_clISt17integral_constantIbLb0EES1D_IbLb1EEEEDaS19_S1A_EUlS19_E_NS1_11comp_targetILNS1_3genE9ELNS1_11target_archE1100ELNS1_3gpuE3ELNS1_3repE0EEENS1_30default_config_static_selectorELNS0_4arch9wavefront6targetE0EEEvT1_,@function
_ZN7rocprim17ROCPRIM_400000_NS6detail17trampoline_kernelINS0_14default_configENS1_25partition_config_selectorILNS1_17partition_subalgoE8ElNS0_10empty_typeEbEEZZNS1_14partition_implILS5_8ELb0ES3_jPlPS6_PKS6_NS0_5tupleIJS9_S6_EEENSD_IJSA_SA_EEENS0_18inequality_wrapperIZN2at6native12_GLOBAL__N_124unique_dim_cuda_templateIN3c104HalfEEESt5tupleIJNSH_6TensorESO_SO_EERKSO_lbbbEUlllE0_EEPmJS6_EEE10hipError_tPvRmT3_T4_T5_T6_T7_T9_mT8_P12ihipStream_tbDpT10_ENKUlT_T0_E_clISt17integral_constantIbLb0EES1D_IbLb1EEEEDaS19_S1A_EUlS19_E_NS1_11comp_targetILNS1_3genE9ELNS1_11target_archE1100ELNS1_3gpuE3ELNS1_3repE0EEENS1_30default_config_static_selectorELNS0_4arch9wavefront6targetE0EEEvT1_: ; @_ZN7rocprim17ROCPRIM_400000_NS6detail17trampoline_kernelINS0_14default_configENS1_25partition_config_selectorILNS1_17partition_subalgoE8ElNS0_10empty_typeEbEEZZNS1_14partition_implILS5_8ELb0ES3_jPlPS6_PKS6_NS0_5tupleIJS9_S6_EEENSD_IJSA_SA_EEENS0_18inequality_wrapperIZN2at6native12_GLOBAL__N_124unique_dim_cuda_templateIN3c104HalfEEESt5tupleIJNSH_6TensorESO_SO_EERKSO_lbbbEUlllE0_EEPmJS6_EEE10hipError_tPvRmT3_T4_T5_T6_T7_T9_mT8_P12ihipStream_tbDpT10_ENKUlT_T0_E_clISt17integral_constantIbLb0EES1D_IbLb1EEEEDaS19_S1A_EUlS19_E_NS1_11comp_targetILNS1_3genE9ELNS1_11target_archE1100ELNS1_3gpuE3ELNS1_3repE0EEENS1_30default_config_static_selectorELNS0_4arch9wavefront6targetE0EEEvT1_
; %bb.0:
	.section	.rodata,"a",@progbits
	.p2align	6, 0x0
	.amdhsa_kernel _ZN7rocprim17ROCPRIM_400000_NS6detail17trampoline_kernelINS0_14default_configENS1_25partition_config_selectorILNS1_17partition_subalgoE8ElNS0_10empty_typeEbEEZZNS1_14partition_implILS5_8ELb0ES3_jPlPS6_PKS6_NS0_5tupleIJS9_S6_EEENSD_IJSA_SA_EEENS0_18inequality_wrapperIZN2at6native12_GLOBAL__N_124unique_dim_cuda_templateIN3c104HalfEEESt5tupleIJNSH_6TensorESO_SO_EERKSO_lbbbEUlllE0_EEPmJS6_EEE10hipError_tPvRmT3_T4_T5_T6_T7_T9_mT8_P12ihipStream_tbDpT10_ENKUlT_T0_E_clISt17integral_constantIbLb0EES1D_IbLb1EEEEDaS19_S1A_EUlS19_E_NS1_11comp_targetILNS1_3genE9ELNS1_11target_archE1100ELNS1_3gpuE3ELNS1_3repE0EEENS1_30default_config_static_selectorELNS0_4arch9wavefront6targetE0EEEvT1_
		.amdhsa_group_segment_fixed_size 0
		.amdhsa_private_segment_fixed_size 0
		.amdhsa_kernarg_size 136
		.amdhsa_user_sgpr_count 2
		.amdhsa_user_sgpr_dispatch_ptr 0
		.amdhsa_user_sgpr_queue_ptr 0
		.amdhsa_user_sgpr_kernarg_segment_ptr 1
		.amdhsa_user_sgpr_dispatch_id 0
		.amdhsa_user_sgpr_kernarg_preload_length 0
		.amdhsa_user_sgpr_kernarg_preload_offset 0
		.amdhsa_user_sgpr_private_segment_size 0
		.amdhsa_wavefront_size32 1
		.amdhsa_uses_dynamic_stack 0
		.amdhsa_enable_private_segment 0
		.amdhsa_system_sgpr_workgroup_id_x 1
		.amdhsa_system_sgpr_workgroup_id_y 0
		.amdhsa_system_sgpr_workgroup_id_z 0
		.amdhsa_system_sgpr_workgroup_info 0
		.amdhsa_system_vgpr_workitem_id 0
		.amdhsa_next_free_vgpr 1
		.amdhsa_next_free_sgpr 1
		.amdhsa_named_barrier_count 0
		.amdhsa_reserve_vcc 0
		.amdhsa_float_round_mode_32 0
		.amdhsa_float_round_mode_16_64 0
		.amdhsa_float_denorm_mode_32 3
		.amdhsa_float_denorm_mode_16_64 3
		.amdhsa_fp16_overflow 0
		.amdhsa_memory_ordered 1
		.amdhsa_forward_progress 1
		.amdhsa_inst_pref_size 0
		.amdhsa_round_robin_scheduling 0
		.amdhsa_exception_fp_ieee_invalid_op 0
		.amdhsa_exception_fp_denorm_src 0
		.amdhsa_exception_fp_ieee_div_zero 0
		.amdhsa_exception_fp_ieee_overflow 0
		.amdhsa_exception_fp_ieee_underflow 0
		.amdhsa_exception_fp_ieee_inexact 0
		.amdhsa_exception_int_div_zero 0
	.end_amdhsa_kernel
	.section	.text._ZN7rocprim17ROCPRIM_400000_NS6detail17trampoline_kernelINS0_14default_configENS1_25partition_config_selectorILNS1_17partition_subalgoE8ElNS0_10empty_typeEbEEZZNS1_14partition_implILS5_8ELb0ES3_jPlPS6_PKS6_NS0_5tupleIJS9_S6_EEENSD_IJSA_SA_EEENS0_18inequality_wrapperIZN2at6native12_GLOBAL__N_124unique_dim_cuda_templateIN3c104HalfEEESt5tupleIJNSH_6TensorESO_SO_EERKSO_lbbbEUlllE0_EEPmJS6_EEE10hipError_tPvRmT3_T4_T5_T6_T7_T9_mT8_P12ihipStream_tbDpT10_ENKUlT_T0_E_clISt17integral_constantIbLb0EES1D_IbLb1EEEEDaS19_S1A_EUlS19_E_NS1_11comp_targetILNS1_3genE9ELNS1_11target_archE1100ELNS1_3gpuE3ELNS1_3repE0EEENS1_30default_config_static_selectorELNS0_4arch9wavefront6targetE0EEEvT1_,"axG",@progbits,_ZN7rocprim17ROCPRIM_400000_NS6detail17trampoline_kernelINS0_14default_configENS1_25partition_config_selectorILNS1_17partition_subalgoE8ElNS0_10empty_typeEbEEZZNS1_14partition_implILS5_8ELb0ES3_jPlPS6_PKS6_NS0_5tupleIJS9_S6_EEENSD_IJSA_SA_EEENS0_18inequality_wrapperIZN2at6native12_GLOBAL__N_124unique_dim_cuda_templateIN3c104HalfEEESt5tupleIJNSH_6TensorESO_SO_EERKSO_lbbbEUlllE0_EEPmJS6_EEE10hipError_tPvRmT3_T4_T5_T6_T7_T9_mT8_P12ihipStream_tbDpT10_ENKUlT_T0_E_clISt17integral_constantIbLb0EES1D_IbLb1EEEEDaS19_S1A_EUlS19_E_NS1_11comp_targetILNS1_3genE9ELNS1_11target_archE1100ELNS1_3gpuE3ELNS1_3repE0EEENS1_30default_config_static_selectorELNS0_4arch9wavefront6targetE0EEEvT1_,comdat
.Lfunc_end1327:
	.size	_ZN7rocprim17ROCPRIM_400000_NS6detail17trampoline_kernelINS0_14default_configENS1_25partition_config_selectorILNS1_17partition_subalgoE8ElNS0_10empty_typeEbEEZZNS1_14partition_implILS5_8ELb0ES3_jPlPS6_PKS6_NS0_5tupleIJS9_S6_EEENSD_IJSA_SA_EEENS0_18inequality_wrapperIZN2at6native12_GLOBAL__N_124unique_dim_cuda_templateIN3c104HalfEEESt5tupleIJNSH_6TensorESO_SO_EERKSO_lbbbEUlllE0_EEPmJS6_EEE10hipError_tPvRmT3_T4_T5_T6_T7_T9_mT8_P12ihipStream_tbDpT10_ENKUlT_T0_E_clISt17integral_constantIbLb0EES1D_IbLb1EEEEDaS19_S1A_EUlS19_E_NS1_11comp_targetILNS1_3genE9ELNS1_11target_archE1100ELNS1_3gpuE3ELNS1_3repE0EEENS1_30default_config_static_selectorELNS0_4arch9wavefront6targetE0EEEvT1_, .Lfunc_end1327-_ZN7rocprim17ROCPRIM_400000_NS6detail17trampoline_kernelINS0_14default_configENS1_25partition_config_selectorILNS1_17partition_subalgoE8ElNS0_10empty_typeEbEEZZNS1_14partition_implILS5_8ELb0ES3_jPlPS6_PKS6_NS0_5tupleIJS9_S6_EEENSD_IJSA_SA_EEENS0_18inequality_wrapperIZN2at6native12_GLOBAL__N_124unique_dim_cuda_templateIN3c104HalfEEESt5tupleIJNSH_6TensorESO_SO_EERKSO_lbbbEUlllE0_EEPmJS6_EEE10hipError_tPvRmT3_T4_T5_T6_T7_T9_mT8_P12ihipStream_tbDpT10_ENKUlT_T0_E_clISt17integral_constantIbLb0EES1D_IbLb1EEEEDaS19_S1A_EUlS19_E_NS1_11comp_targetILNS1_3genE9ELNS1_11target_archE1100ELNS1_3gpuE3ELNS1_3repE0EEENS1_30default_config_static_selectorELNS0_4arch9wavefront6targetE0EEEvT1_
                                        ; -- End function
	.set _ZN7rocprim17ROCPRIM_400000_NS6detail17trampoline_kernelINS0_14default_configENS1_25partition_config_selectorILNS1_17partition_subalgoE8ElNS0_10empty_typeEbEEZZNS1_14partition_implILS5_8ELb0ES3_jPlPS6_PKS6_NS0_5tupleIJS9_S6_EEENSD_IJSA_SA_EEENS0_18inequality_wrapperIZN2at6native12_GLOBAL__N_124unique_dim_cuda_templateIN3c104HalfEEESt5tupleIJNSH_6TensorESO_SO_EERKSO_lbbbEUlllE0_EEPmJS6_EEE10hipError_tPvRmT3_T4_T5_T6_T7_T9_mT8_P12ihipStream_tbDpT10_ENKUlT_T0_E_clISt17integral_constantIbLb0EES1D_IbLb1EEEEDaS19_S1A_EUlS19_E_NS1_11comp_targetILNS1_3genE9ELNS1_11target_archE1100ELNS1_3gpuE3ELNS1_3repE0EEENS1_30default_config_static_selectorELNS0_4arch9wavefront6targetE0EEEvT1_.num_vgpr, 0
	.set _ZN7rocprim17ROCPRIM_400000_NS6detail17trampoline_kernelINS0_14default_configENS1_25partition_config_selectorILNS1_17partition_subalgoE8ElNS0_10empty_typeEbEEZZNS1_14partition_implILS5_8ELb0ES3_jPlPS6_PKS6_NS0_5tupleIJS9_S6_EEENSD_IJSA_SA_EEENS0_18inequality_wrapperIZN2at6native12_GLOBAL__N_124unique_dim_cuda_templateIN3c104HalfEEESt5tupleIJNSH_6TensorESO_SO_EERKSO_lbbbEUlllE0_EEPmJS6_EEE10hipError_tPvRmT3_T4_T5_T6_T7_T9_mT8_P12ihipStream_tbDpT10_ENKUlT_T0_E_clISt17integral_constantIbLb0EES1D_IbLb1EEEEDaS19_S1A_EUlS19_E_NS1_11comp_targetILNS1_3genE9ELNS1_11target_archE1100ELNS1_3gpuE3ELNS1_3repE0EEENS1_30default_config_static_selectorELNS0_4arch9wavefront6targetE0EEEvT1_.num_agpr, 0
	.set _ZN7rocprim17ROCPRIM_400000_NS6detail17trampoline_kernelINS0_14default_configENS1_25partition_config_selectorILNS1_17partition_subalgoE8ElNS0_10empty_typeEbEEZZNS1_14partition_implILS5_8ELb0ES3_jPlPS6_PKS6_NS0_5tupleIJS9_S6_EEENSD_IJSA_SA_EEENS0_18inequality_wrapperIZN2at6native12_GLOBAL__N_124unique_dim_cuda_templateIN3c104HalfEEESt5tupleIJNSH_6TensorESO_SO_EERKSO_lbbbEUlllE0_EEPmJS6_EEE10hipError_tPvRmT3_T4_T5_T6_T7_T9_mT8_P12ihipStream_tbDpT10_ENKUlT_T0_E_clISt17integral_constantIbLb0EES1D_IbLb1EEEEDaS19_S1A_EUlS19_E_NS1_11comp_targetILNS1_3genE9ELNS1_11target_archE1100ELNS1_3gpuE3ELNS1_3repE0EEENS1_30default_config_static_selectorELNS0_4arch9wavefront6targetE0EEEvT1_.numbered_sgpr, 0
	.set _ZN7rocprim17ROCPRIM_400000_NS6detail17trampoline_kernelINS0_14default_configENS1_25partition_config_selectorILNS1_17partition_subalgoE8ElNS0_10empty_typeEbEEZZNS1_14partition_implILS5_8ELb0ES3_jPlPS6_PKS6_NS0_5tupleIJS9_S6_EEENSD_IJSA_SA_EEENS0_18inequality_wrapperIZN2at6native12_GLOBAL__N_124unique_dim_cuda_templateIN3c104HalfEEESt5tupleIJNSH_6TensorESO_SO_EERKSO_lbbbEUlllE0_EEPmJS6_EEE10hipError_tPvRmT3_T4_T5_T6_T7_T9_mT8_P12ihipStream_tbDpT10_ENKUlT_T0_E_clISt17integral_constantIbLb0EES1D_IbLb1EEEEDaS19_S1A_EUlS19_E_NS1_11comp_targetILNS1_3genE9ELNS1_11target_archE1100ELNS1_3gpuE3ELNS1_3repE0EEENS1_30default_config_static_selectorELNS0_4arch9wavefront6targetE0EEEvT1_.num_named_barrier, 0
	.set _ZN7rocprim17ROCPRIM_400000_NS6detail17trampoline_kernelINS0_14default_configENS1_25partition_config_selectorILNS1_17partition_subalgoE8ElNS0_10empty_typeEbEEZZNS1_14partition_implILS5_8ELb0ES3_jPlPS6_PKS6_NS0_5tupleIJS9_S6_EEENSD_IJSA_SA_EEENS0_18inequality_wrapperIZN2at6native12_GLOBAL__N_124unique_dim_cuda_templateIN3c104HalfEEESt5tupleIJNSH_6TensorESO_SO_EERKSO_lbbbEUlllE0_EEPmJS6_EEE10hipError_tPvRmT3_T4_T5_T6_T7_T9_mT8_P12ihipStream_tbDpT10_ENKUlT_T0_E_clISt17integral_constantIbLb0EES1D_IbLb1EEEEDaS19_S1A_EUlS19_E_NS1_11comp_targetILNS1_3genE9ELNS1_11target_archE1100ELNS1_3gpuE3ELNS1_3repE0EEENS1_30default_config_static_selectorELNS0_4arch9wavefront6targetE0EEEvT1_.private_seg_size, 0
	.set _ZN7rocprim17ROCPRIM_400000_NS6detail17trampoline_kernelINS0_14default_configENS1_25partition_config_selectorILNS1_17partition_subalgoE8ElNS0_10empty_typeEbEEZZNS1_14partition_implILS5_8ELb0ES3_jPlPS6_PKS6_NS0_5tupleIJS9_S6_EEENSD_IJSA_SA_EEENS0_18inequality_wrapperIZN2at6native12_GLOBAL__N_124unique_dim_cuda_templateIN3c104HalfEEESt5tupleIJNSH_6TensorESO_SO_EERKSO_lbbbEUlllE0_EEPmJS6_EEE10hipError_tPvRmT3_T4_T5_T6_T7_T9_mT8_P12ihipStream_tbDpT10_ENKUlT_T0_E_clISt17integral_constantIbLb0EES1D_IbLb1EEEEDaS19_S1A_EUlS19_E_NS1_11comp_targetILNS1_3genE9ELNS1_11target_archE1100ELNS1_3gpuE3ELNS1_3repE0EEENS1_30default_config_static_selectorELNS0_4arch9wavefront6targetE0EEEvT1_.uses_vcc, 0
	.set _ZN7rocprim17ROCPRIM_400000_NS6detail17trampoline_kernelINS0_14default_configENS1_25partition_config_selectorILNS1_17partition_subalgoE8ElNS0_10empty_typeEbEEZZNS1_14partition_implILS5_8ELb0ES3_jPlPS6_PKS6_NS0_5tupleIJS9_S6_EEENSD_IJSA_SA_EEENS0_18inequality_wrapperIZN2at6native12_GLOBAL__N_124unique_dim_cuda_templateIN3c104HalfEEESt5tupleIJNSH_6TensorESO_SO_EERKSO_lbbbEUlllE0_EEPmJS6_EEE10hipError_tPvRmT3_T4_T5_T6_T7_T9_mT8_P12ihipStream_tbDpT10_ENKUlT_T0_E_clISt17integral_constantIbLb0EES1D_IbLb1EEEEDaS19_S1A_EUlS19_E_NS1_11comp_targetILNS1_3genE9ELNS1_11target_archE1100ELNS1_3gpuE3ELNS1_3repE0EEENS1_30default_config_static_selectorELNS0_4arch9wavefront6targetE0EEEvT1_.uses_flat_scratch, 0
	.set _ZN7rocprim17ROCPRIM_400000_NS6detail17trampoline_kernelINS0_14default_configENS1_25partition_config_selectorILNS1_17partition_subalgoE8ElNS0_10empty_typeEbEEZZNS1_14partition_implILS5_8ELb0ES3_jPlPS6_PKS6_NS0_5tupleIJS9_S6_EEENSD_IJSA_SA_EEENS0_18inequality_wrapperIZN2at6native12_GLOBAL__N_124unique_dim_cuda_templateIN3c104HalfEEESt5tupleIJNSH_6TensorESO_SO_EERKSO_lbbbEUlllE0_EEPmJS6_EEE10hipError_tPvRmT3_T4_T5_T6_T7_T9_mT8_P12ihipStream_tbDpT10_ENKUlT_T0_E_clISt17integral_constantIbLb0EES1D_IbLb1EEEEDaS19_S1A_EUlS19_E_NS1_11comp_targetILNS1_3genE9ELNS1_11target_archE1100ELNS1_3gpuE3ELNS1_3repE0EEENS1_30default_config_static_selectorELNS0_4arch9wavefront6targetE0EEEvT1_.has_dyn_sized_stack, 0
	.set _ZN7rocprim17ROCPRIM_400000_NS6detail17trampoline_kernelINS0_14default_configENS1_25partition_config_selectorILNS1_17partition_subalgoE8ElNS0_10empty_typeEbEEZZNS1_14partition_implILS5_8ELb0ES3_jPlPS6_PKS6_NS0_5tupleIJS9_S6_EEENSD_IJSA_SA_EEENS0_18inequality_wrapperIZN2at6native12_GLOBAL__N_124unique_dim_cuda_templateIN3c104HalfEEESt5tupleIJNSH_6TensorESO_SO_EERKSO_lbbbEUlllE0_EEPmJS6_EEE10hipError_tPvRmT3_T4_T5_T6_T7_T9_mT8_P12ihipStream_tbDpT10_ENKUlT_T0_E_clISt17integral_constantIbLb0EES1D_IbLb1EEEEDaS19_S1A_EUlS19_E_NS1_11comp_targetILNS1_3genE9ELNS1_11target_archE1100ELNS1_3gpuE3ELNS1_3repE0EEENS1_30default_config_static_selectorELNS0_4arch9wavefront6targetE0EEEvT1_.has_recursion, 0
	.set _ZN7rocprim17ROCPRIM_400000_NS6detail17trampoline_kernelINS0_14default_configENS1_25partition_config_selectorILNS1_17partition_subalgoE8ElNS0_10empty_typeEbEEZZNS1_14partition_implILS5_8ELb0ES3_jPlPS6_PKS6_NS0_5tupleIJS9_S6_EEENSD_IJSA_SA_EEENS0_18inequality_wrapperIZN2at6native12_GLOBAL__N_124unique_dim_cuda_templateIN3c104HalfEEESt5tupleIJNSH_6TensorESO_SO_EERKSO_lbbbEUlllE0_EEPmJS6_EEE10hipError_tPvRmT3_T4_T5_T6_T7_T9_mT8_P12ihipStream_tbDpT10_ENKUlT_T0_E_clISt17integral_constantIbLb0EES1D_IbLb1EEEEDaS19_S1A_EUlS19_E_NS1_11comp_targetILNS1_3genE9ELNS1_11target_archE1100ELNS1_3gpuE3ELNS1_3repE0EEENS1_30default_config_static_selectorELNS0_4arch9wavefront6targetE0EEEvT1_.has_indirect_call, 0
	.section	.AMDGPU.csdata,"",@progbits
; Kernel info:
; codeLenInByte = 0
; TotalNumSgprs: 0
; NumVgprs: 0
; ScratchSize: 0
; MemoryBound: 0
; FloatMode: 240
; IeeeMode: 1
; LDSByteSize: 0 bytes/workgroup (compile time only)
; SGPRBlocks: 0
; VGPRBlocks: 0
; NumSGPRsForWavesPerEU: 1
; NumVGPRsForWavesPerEU: 1
; NamedBarCnt: 0
; Occupancy: 16
; WaveLimiterHint : 0
; COMPUTE_PGM_RSRC2:SCRATCH_EN: 0
; COMPUTE_PGM_RSRC2:USER_SGPR: 2
; COMPUTE_PGM_RSRC2:TRAP_HANDLER: 0
; COMPUTE_PGM_RSRC2:TGID_X_EN: 1
; COMPUTE_PGM_RSRC2:TGID_Y_EN: 0
; COMPUTE_PGM_RSRC2:TGID_Z_EN: 0
; COMPUTE_PGM_RSRC2:TIDIG_COMP_CNT: 0
	.section	.text._ZN7rocprim17ROCPRIM_400000_NS6detail17trampoline_kernelINS0_14default_configENS1_25partition_config_selectorILNS1_17partition_subalgoE8ElNS0_10empty_typeEbEEZZNS1_14partition_implILS5_8ELb0ES3_jPlPS6_PKS6_NS0_5tupleIJS9_S6_EEENSD_IJSA_SA_EEENS0_18inequality_wrapperIZN2at6native12_GLOBAL__N_124unique_dim_cuda_templateIN3c104HalfEEESt5tupleIJNSH_6TensorESO_SO_EERKSO_lbbbEUlllE0_EEPmJS6_EEE10hipError_tPvRmT3_T4_T5_T6_T7_T9_mT8_P12ihipStream_tbDpT10_ENKUlT_T0_E_clISt17integral_constantIbLb0EES1D_IbLb1EEEEDaS19_S1A_EUlS19_E_NS1_11comp_targetILNS1_3genE8ELNS1_11target_archE1030ELNS1_3gpuE2ELNS1_3repE0EEENS1_30default_config_static_selectorELNS0_4arch9wavefront6targetE0EEEvT1_,"axG",@progbits,_ZN7rocprim17ROCPRIM_400000_NS6detail17trampoline_kernelINS0_14default_configENS1_25partition_config_selectorILNS1_17partition_subalgoE8ElNS0_10empty_typeEbEEZZNS1_14partition_implILS5_8ELb0ES3_jPlPS6_PKS6_NS0_5tupleIJS9_S6_EEENSD_IJSA_SA_EEENS0_18inequality_wrapperIZN2at6native12_GLOBAL__N_124unique_dim_cuda_templateIN3c104HalfEEESt5tupleIJNSH_6TensorESO_SO_EERKSO_lbbbEUlllE0_EEPmJS6_EEE10hipError_tPvRmT3_T4_T5_T6_T7_T9_mT8_P12ihipStream_tbDpT10_ENKUlT_T0_E_clISt17integral_constantIbLb0EES1D_IbLb1EEEEDaS19_S1A_EUlS19_E_NS1_11comp_targetILNS1_3genE8ELNS1_11target_archE1030ELNS1_3gpuE2ELNS1_3repE0EEENS1_30default_config_static_selectorELNS0_4arch9wavefront6targetE0EEEvT1_,comdat
	.globl	_ZN7rocprim17ROCPRIM_400000_NS6detail17trampoline_kernelINS0_14default_configENS1_25partition_config_selectorILNS1_17partition_subalgoE8ElNS0_10empty_typeEbEEZZNS1_14partition_implILS5_8ELb0ES3_jPlPS6_PKS6_NS0_5tupleIJS9_S6_EEENSD_IJSA_SA_EEENS0_18inequality_wrapperIZN2at6native12_GLOBAL__N_124unique_dim_cuda_templateIN3c104HalfEEESt5tupleIJNSH_6TensorESO_SO_EERKSO_lbbbEUlllE0_EEPmJS6_EEE10hipError_tPvRmT3_T4_T5_T6_T7_T9_mT8_P12ihipStream_tbDpT10_ENKUlT_T0_E_clISt17integral_constantIbLb0EES1D_IbLb1EEEEDaS19_S1A_EUlS19_E_NS1_11comp_targetILNS1_3genE8ELNS1_11target_archE1030ELNS1_3gpuE2ELNS1_3repE0EEENS1_30default_config_static_selectorELNS0_4arch9wavefront6targetE0EEEvT1_ ; -- Begin function _ZN7rocprim17ROCPRIM_400000_NS6detail17trampoline_kernelINS0_14default_configENS1_25partition_config_selectorILNS1_17partition_subalgoE8ElNS0_10empty_typeEbEEZZNS1_14partition_implILS5_8ELb0ES3_jPlPS6_PKS6_NS0_5tupleIJS9_S6_EEENSD_IJSA_SA_EEENS0_18inequality_wrapperIZN2at6native12_GLOBAL__N_124unique_dim_cuda_templateIN3c104HalfEEESt5tupleIJNSH_6TensorESO_SO_EERKSO_lbbbEUlllE0_EEPmJS6_EEE10hipError_tPvRmT3_T4_T5_T6_T7_T9_mT8_P12ihipStream_tbDpT10_ENKUlT_T0_E_clISt17integral_constantIbLb0EES1D_IbLb1EEEEDaS19_S1A_EUlS19_E_NS1_11comp_targetILNS1_3genE8ELNS1_11target_archE1030ELNS1_3gpuE2ELNS1_3repE0EEENS1_30default_config_static_selectorELNS0_4arch9wavefront6targetE0EEEvT1_
	.p2align	8
	.type	_ZN7rocprim17ROCPRIM_400000_NS6detail17trampoline_kernelINS0_14default_configENS1_25partition_config_selectorILNS1_17partition_subalgoE8ElNS0_10empty_typeEbEEZZNS1_14partition_implILS5_8ELb0ES3_jPlPS6_PKS6_NS0_5tupleIJS9_S6_EEENSD_IJSA_SA_EEENS0_18inequality_wrapperIZN2at6native12_GLOBAL__N_124unique_dim_cuda_templateIN3c104HalfEEESt5tupleIJNSH_6TensorESO_SO_EERKSO_lbbbEUlllE0_EEPmJS6_EEE10hipError_tPvRmT3_T4_T5_T6_T7_T9_mT8_P12ihipStream_tbDpT10_ENKUlT_T0_E_clISt17integral_constantIbLb0EES1D_IbLb1EEEEDaS19_S1A_EUlS19_E_NS1_11comp_targetILNS1_3genE8ELNS1_11target_archE1030ELNS1_3gpuE2ELNS1_3repE0EEENS1_30default_config_static_selectorELNS0_4arch9wavefront6targetE0EEEvT1_,@function
_ZN7rocprim17ROCPRIM_400000_NS6detail17trampoline_kernelINS0_14default_configENS1_25partition_config_selectorILNS1_17partition_subalgoE8ElNS0_10empty_typeEbEEZZNS1_14partition_implILS5_8ELb0ES3_jPlPS6_PKS6_NS0_5tupleIJS9_S6_EEENSD_IJSA_SA_EEENS0_18inequality_wrapperIZN2at6native12_GLOBAL__N_124unique_dim_cuda_templateIN3c104HalfEEESt5tupleIJNSH_6TensorESO_SO_EERKSO_lbbbEUlllE0_EEPmJS6_EEE10hipError_tPvRmT3_T4_T5_T6_T7_T9_mT8_P12ihipStream_tbDpT10_ENKUlT_T0_E_clISt17integral_constantIbLb0EES1D_IbLb1EEEEDaS19_S1A_EUlS19_E_NS1_11comp_targetILNS1_3genE8ELNS1_11target_archE1030ELNS1_3gpuE2ELNS1_3repE0EEENS1_30default_config_static_selectorELNS0_4arch9wavefront6targetE0EEEvT1_: ; @_ZN7rocprim17ROCPRIM_400000_NS6detail17trampoline_kernelINS0_14default_configENS1_25partition_config_selectorILNS1_17partition_subalgoE8ElNS0_10empty_typeEbEEZZNS1_14partition_implILS5_8ELb0ES3_jPlPS6_PKS6_NS0_5tupleIJS9_S6_EEENSD_IJSA_SA_EEENS0_18inequality_wrapperIZN2at6native12_GLOBAL__N_124unique_dim_cuda_templateIN3c104HalfEEESt5tupleIJNSH_6TensorESO_SO_EERKSO_lbbbEUlllE0_EEPmJS6_EEE10hipError_tPvRmT3_T4_T5_T6_T7_T9_mT8_P12ihipStream_tbDpT10_ENKUlT_T0_E_clISt17integral_constantIbLb0EES1D_IbLb1EEEEDaS19_S1A_EUlS19_E_NS1_11comp_targetILNS1_3genE8ELNS1_11target_archE1030ELNS1_3gpuE2ELNS1_3repE0EEENS1_30default_config_static_selectorELNS0_4arch9wavefront6targetE0EEEvT1_
; %bb.0:
	.section	.rodata,"a",@progbits
	.p2align	6, 0x0
	.amdhsa_kernel _ZN7rocprim17ROCPRIM_400000_NS6detail17trampoline_kernelINS0_14default_configENS1_25partition_config_selectorILNS1_17partition_subalgoE8ElNS0_10empty_typeEbEEZZNS1_14partition_implILS5_8ELb0ES3_jPlPS6_PKS6_NS0_5tupleIJS9_S6_EEENSD_IJSA_SA_EEENS0_18inequality_wrapperIZN2at6native12_GLOBAL__N_124unique_dim_cuda_templateIN3c104HalfEEESt5tupleIJNSH_6TensorESO_SO_EERKSO_lbbbEUlllE0_EEPmJS6_EEE10hipError_tPvRmT3_T4_T5_T6_T7_T9_mT8_P12ihipStream_tbDpT10_ENKUlT_T0_E_clISt17integral_constantIbLb0EES1D_IbLb1EEEEDaS19_S1A_EUlS19_E_NS1_11comp_targetILNS1_3genE8ELNS1_11target_archE1030ELNS1_3gpuE2ELNS1_3repE0EEENS1_30default_config_static_selectorELNS0_4arch9wavefront6targetE0EEEvT1_
		.amdhsa_group_segment_fixed_size 0
		.amdhsa_private_segment_fixed_size 0
		.amdhsa_kernarg_size 136
		.amdhsa_user_sgpr_count 2
		.amdhsa_user_sgpr_dispatch_ptr 0
		.amdhsa_user_sgpr_queue_ptr 0
		.amdhsa_user_sgpr_kernarg_segment_ptr 1
		.amdhsa_user_sgpr_dispatch_id 0
		.amdhsa_user_sgpr_kernarg_preload_length 0
		.amdhsa_user_sgpr_kernarg_preload_offset 0
		.amdhsa_user_sgpr_private_segment_size 0
		.amdhsa_wavefront_size32 1
		.amdhsa_uses_dynamic_stack 0
		.amdhsa_enable_private_segment 0
		.amdhsa_system_sgpr_workgroup_id_x 1
		.amdhsa_system_sgpr_workgroup_id_y 0
		.amdhsa_system_sgpr_workgroup_id_z 0
		.amdhsa_system_sgpr_workgroup_info 0
		.amdhsa_system_vgpr_workitem_id 0
		.amdhsa_next_free_vgpr 1
		.amdhsa_next_free_sgpr 1
		.amdhsa_named_barrier_count 0
		.amdhsa_reserve_vcc 0
		.amdhsa_float_round_mode_32 0
		.amdhsa_float_round_mode_16_64 0
		.amdhsa_float_denorm_mode_32 3
		.amdhsa_float_denorm_mode_16_64 3
		.amdhsa_fp16_overflow 0
		.amdhsa_memory_ordered 1
		.amdhsa_forward_progress 1
		.amdhsa_inst_pref_size 0
		.amdhsa_round_robin_scheduling 0
		.amdhsa_exception_fp_ieee_invalid_op 0
		.amdhsa_exception_fp_denorm_src 0
		.amdhsa_exception_fp_ieee_div_zero 0
		.amdhsa_exception_fp_ieee_overflow 0
		.amdhsa_exception_fp_ieee_underflow 0
		.amdhsa_exception_fp_ieee_inexact 0
		.amdhsa_exception_int_div_zero 0
	.end_amdhsa_kernel
	.section	.text._ZN7rocprim17ROCPRIM_400000_NS6detail17trampoline_kernelINS0_14default_configENS1_25partition_config_selectorILNS1_17partition_subalgoE8ElNS0_10empty_typeEbEEZZNS1_14partition_implILS5_8ELb0ES3_jPlPS6_PKS6_NS0_5tupleIJS9_S6_EEENSD_IJSA_SA_EEENS0_18inequality_wrapperIZN2at6native12_GLOBAL__N_124unique_dim_cuda_templateIN3c104HalfEEESt5tupleIJNSH_6TensorESO_SO_EERKSO_lbbbEUlllE0_EEPmJS6_EEE10hipError_tPvRmT3_T4_T5_T6_T7_T9_mT8_P12ihipStream_tbDpT10_ENKUlT_T0_E_clISt17integral_constantIbLb0EES1D_IbLb1EEEEDaS19_S1A_EUlS19_E_NS1_11comp_targetILNS1_3genE8ELNS1_11target_archE1030ELNS1_3gpuE2ELNS1_3repE0EEENS1_30default_config_static_selectorELNS0_4arch9wavefront6targetE0EEEvT1_,"axG",@progbits,_ZN7rocprim17ROCPRIM_400000_NS6detail17trampoline_kernelINS0_14default_configENS1_25partition_config_selectorILNS1_17partition_subalgoE8ElNS0_10empty_typeEbEEZZNS1_14partition_implILS5_8ELb0ES3_jPlPS6_PKS6_NS0_5tupleIJS9_S6_EEENSD_IJSA_SA_EEENS0_18inequality_wrapperIZN2at6native12_GLOBAL__N_124unique_dim_cuda_templateIN3c104HalfEEESt5tupleIJNSH_6TensorESO_SO_EERKSO_lbbbEUlllE0_EEPmJS6_EEE10hipError_tPvRmT3_T4_T5_T6_T7_T9_mT8_P12ihipStream_tbDpT10_ENKUlT_T0_E_clISt17integral_constantIbLb0EES1D_IbLb1EEEEDaS19_S1A_EUlS19_E_NS1_11comp_targetILNS1_3genE8ELNS1_11target_archE1030ELNS1_3gpuE2ELNS1_3repE0EEENS1_30default_config_static_selectorELNS0_4arch9wavefront6targetE0EEEvT1_,comdat
.Lfunc_end1328:
	.size	_ZN7rocprim17ROCPRIM_400000_NS6detail17trampoline_kernelINS0_14default_configENS1_25partition_config_selectorILNS1_17partition_subalgoE8ElNS0_10empty_typeEbEEZZNS1_14partition_implILS5_8ELb0ES3_jPlPS6_PKS6_NS0_5tupleIJS9_S6_EEENSD_IJSA_SA_EEENS0_18inequality_wrapperIZN2at6native12_GLOBAL__N_124unique_dim_cuda_templateIN3c104HalfEEESt5tupleIJNSH_6TensorESO_SO_EERKSO_lbbbEUlllE0_EEPmJS6_EEE10hipError_tPvRmT3_T4_T5_T6_T7_T9_mT8_P12ihipStream_tbDpT10_ENKUlT_T0_E_clISt17integral_constantIbLb0EES1D_IbLb1EEEEDaS19_S1A_EUlS19_E_NS1_11comp_targetILNS1_3genE8ELNS1_11target_archE1030ELNS1_3gpuE2ELNS1_3repE0EEENS1_30default_config_static_selectorELNS0_4arch9wavefront6targetE0EEEvT1_, .Lfunc_end1328-_ZN7rocprim17ROCPRIM_400000_NS6detail17trampoline_kernelINS0_14default_configENS1_25partition_config_selectorILNS1_17partition_subalgoE8ElNS0_10empty_typeEbEEZZNS1_14partition_implILS5_8ELb0ES3_jPlPS6_PKS6_NS0_5tupleIJS9_S6_EEENSD_IJSA_SA_EEENS0_18inequality_wrapperIZN2at6native12_GLOBAL__N_124unique_dim_cuda_templateIN3c104HalfEEESt5tupleIJNSH_6TensorESO_SO_EERKSO_lbbbEUlllE0_EEPmJS6_EEE10hipError_tPvRmT3_T4_T5_T6_T7_T9_mT8_P12ihipStream_tbDpT10_ENKUlT_T0_E_clISt17integral_constantIbLb0EES1D_IbLb1EEEEDaS19_S1A_EUlS19_E_NS1_11comp_targetILNS1_3genE8ELNS1_11target_archE1030ELNS1_3gpuE2ELNS1_3repE0EEENS1_30default_config_static_selectorELNS0_4arch9wavefront6targetE0EEEvT1_
                                        ; -- End function
	.set _ZN7rocprim17ROCPRIM_400000_NS6detail17trampoline_kernelINS0_14default_configENS1_25partition_config_selectorILNS1_17partition_subalgoE8ElNS0_10empty_typeEbEEZZNS1_14partition_implILS5_8ELb0ES3_jPlPS6_PKS6_NS0_5tupleIJS9_S6_EEENSD_IJSA_SA_EEENS0_18inequality_wrapperIZN2at6native12_GLOBAL__N_124unique_dim_cuda_templateIN3c104HalfEEESt5tupleIJNSH_6TensorESO_SO_EERKSO_lbbbEUlllE0_EEPmJS6_EEE10hipError_tPvRmT3_T4_T5_T6_T7_T9_mT8_P12ihipStream_tbDpT10_ENKUlT_T0_E_clISt17integral_constantIbLb0EES1D_IbLb1EEEEDaS19_S1A_EUlS19_E_NS1_11comp_targetILNS1_3genE8ELNS1_11target_archE1030ELNS1_3gpuE2ELNS1_3repE0EEENS1_30default_config_static_selectorELNS0_4arch9wavefront6targetE0EEEvT1_.num_vgpr, 0
	.set _ZN7rocprim17ROCPRIM_400000_NS6detail17trampoline_kernelINS0_14default_configENS1_25partition_config_selectorILNS1_17partition_subalgoE8ElNS0_10empty_typeEbEEZZNS1_14partition_implILS5_8ELb0ES3_jPlPS6_PKS6_NS0_5tupleIJS9_S6_EEENSD_IJSA_SA_EEENS0_18inequality_wrapperIZN2at6native12_GLOBAL__N_124unique_dim_cuda_templateIN3c104HalfEEESt5tupleIJNSH_6TensorESO_SO_EERKSO_lbbbEUlllE0_EEPmJS6_EEE10hipError_tPvRmT3_T4_T5_T6_T7_T9_mT8_P12ihipStream_tbDpT10_ENKUlT_T0_E_clISt17integral_constantIbLb0EES1D_IbLb1EEEEDaS19_S1A_EUlS19_E_NS1_11comp_targetILNS1_3genE8ELNS1_11target_archE1030ELNS1_3gpuE2ELNS1_3repE0EEENS1_30default_config_static_selectorELNS0_4arch9wavefront6targetE0EEEvT1_.num_agpr, 0
	.set _ZN7rocprim17ROCPRIM_400000_NS6detail17trampoline_kernelINS0_14default_configENS1_25partition_config_selectorILNS1_17partition_subalgoE8ElNS0_10empty_typeEbEEZZNS1_14partition_implILS5_8ELb0ES3_jPlPS6_PKS6_NS0_5tupleIJS9_S6_EEENSD_IJSA_SA_EEENS0_18inequality_wrapperIZN2at6native12_GLOBAL__N_124unique_dim_cuda_templateIN3c104HalfEEESt5tupleIJNSH_6TensorESO_SO_EERKSO_lbbbEUlllE0_EEPmJS6_EEE10hipError_tPvRmT3_T4_T5_T6_T7_T9_mT8_P12ihipStream_tbDpT10_ENKUlT_T0_E_clISt17integral_constantIbLb0EES1D_IbLb1EEEEDaS19_S1A_EUlS19_E_NS1_11comp_targetILNS1_3genE8ELNS1_11target_archE1030ELNS1_3gpuE2ELNS1_3repE0EEENS1_30default_config_static_selectorELNS0_4arch9wavefront6targetE0EEEvT1_.numbered_sgpr, 0
	.set _ZN7rocprim17ROCPRIM_400000_NS6detail17trampoline_kernelINS0_14default_configENS1_25partition_config_selectorILNS1_17partition_subalgoE8ElNS0_10empty_typeEbEEZZNS1_14partition_implILS5_8ELb0ES3_jPlPS6_PKS6_NS0_5tupleIJS9_S6_EEENSD_IJSA_SA_EEENS0_18inequality_wrapperIZN2at6native12_GLOBAL__N_124unique_dim_cuda_templateIN3c104HalfEEESt5tupleIJNSH_6TensorESO_SO_EERKSO_lbbbEUlllE0_EEPmJS6_EEE10hipError_tPvRmT3_T4_T5_T6_T7_T9_mT8_P12ihipStream_tbDpT10_ENKUlT_T0_E_clISt17integral_constantIbLb0EES1D_IbLb1EEEEDaS19_S1A_EUlS19_E_NS1_11comp_targetILNS1_3genE8ELNS1_11target_archE1030ELNS1_3gpuE2ELNS1_3repE0EEENS1_30default_config_static_selectorELNS0_4arch9wavefront6targetE0EEEvT1_.num_named_barrier, 0
	.set _ZN7rocprim17ROCPRIM_400000_NS6detail17trampoline_kernelINS0_14default_configENS1_25partition_config_selectorILNS1_17partition_subalgoE8ElNS0_10empty_typeEbEEZZNS1_14partition_implILS5_8ELb0ES3_jPlPS6_PKS6_NS0_5tupleIJS9_S6_EEENSD_IJSA_SA_EEENS0_18inequality_wrapperIZN2at6native12_GLOBAL__N_124unique_dim_cuda_templateIN3c104HalfEEESt5tupleIJNSH_6TensorESO_SO_EERKSO_lbbbEUlllE0_EEPmJS6_EEE10hipError_tPvRmT3_T4_T5_T6_T7_T9_mT8_P12ihipStream_tbDpT10_ENKUlT_T0_E_clISt17integral_constantIbLb0EES1D_IbLb1EEEEDaS19_S1A_EUlS19_E_NS1_11comp_targetILNS1_3genE8ELNS1_11target_archE1030ELNS1_3gpuE2ELNS1_3repE0EEENS1_30default_config_static_selectorELNS0_4arch9wavefront6targetE0EEEvT1_.private_seg_size, 0
	.set _ZN7rocprim17ROCPRIM_400000_NS6detail17trampoline_kernelINS0_14default_configENS1_25partition_config_selectorILNS1_17partition_subalgoE8ElNS0_10empty_typeEbEEZZNS1_14partition_implILS5_8ELb0ES3_jPlPS6_PKS6_NS0_5tupleIJS9_S6_EEENSD_IJSA_SA_EEENS0_18inequality_wrapperIZN2at6native12_GLOBAL__N_124unique_dim_cuda_templateIN3c104HalfEEESt5tupleIJNSH_6TensorESO_SO_EERKSO_lbbbEUlllE0_EEPmJS6_EEE10hipError_tPvRmT3_T4_T5_T6_T7_T9_mT8_P12ihipStream_tbDpT10_ENKUlT_T0_E_clISt17integral_constantIbLb0EES1D_IbLb1EEEEDaS19_S1A_EUlS19_E_NS1_11comp_targetILNS1_3genE8ELNS1_11target_archE1030ELNS1_3gpuE2ELNS1_3repE0EEENS1_30default_config_static_selectorELNS0_4arch9wavefront6targetE0EEEvT1_.uses_vcc, 0
	.set _ZN7rocprim17ROCPRIM_400000_NS6detail17trampoline_kernelINS0_14default_configENS1_25partition_config_selectorILNS1_17partition_subalgoE8ElNS0_10empty_typeEbEEZZNS1_14partition_implILS5_8ELb0ES3_jPlPS6_PKS6_NS0_5tupleIJS9_S6_EEENSD_IJSA_SA_EEENS0_18inequality_wrapperIZN2at6native12_GLOBAL__N_124unique_dim_cuda_templateIN3c104HalfEEESt5tupleIJNSH_6TensorESO_SO_EERKSO_lbbbEUlllE0_EEPmJS6_EEE10hipError_tPvRmT3_T4_T5_T6_T7_T9_mT8_P12ihipStream_tbDpT10_ENKUlT_T0_E_clISt17integral_constantIbLb0EES1D_IbLb1EEEEDaS19_S1A_EUlS19_E_NS1_11comp_targetILNS1_3genE8ELNS1_11target_archE1030ELNS1_3gpuE2ELNS1_3repE0EEENS1_30default_config_static_selectorELNS0_4arch9wavefront6targetE0EEEvT1_.uses_flat_scratch, 0
	.set _ZN7rocprim17ROCPRIM_400000_NS6detail17trampoline_kernelINS0_14default_configENS1_25partition_config_selectorILNS1_17partition_subalgoE8ElNS0_10empty_typeEbEEZZNS1_14partition_implILS5_8ELb0ES3_jPlPS6_PKS6_NS0_5tupleIJS9_S6_EEENSD_IJSA_SA_EEENS0_18inequality_wrapperIZN2at6native12_GLOBAL__N_124unique_dim_cuda_templateIN3c104HalfEEESt5tupleIJNSH_6TensorESO_SO_EERKSO_lbbbEUlllE0_EEPmJS6_EEE10hipError_tPvRmT3_T4_T5_T6_T7_T9_mT8_P12ihipStream_tbDpT10_ENKUlT_T0_E_clISt17integral_constantIbLb0EES1D_IbLb1EEEEDaS19_S1A_EUlS19_E_NS1_11comp_targetILNS1_3genE8ELNS1_11target_archE1030ELNS1_3gpuE2ELNS1_3repE0EEENS1_30default_config_static_selectorELNS0_4arch9wavefront6targetE0EEEvT1_.has_dyn_sized_stack, 0
	.set _ZN7rocprim17ROCPRIM_400000_NS6detail17trampoline_kernelINS0_14default_configENS1_25partition_config_selectorILNS1_17partition_subalgoE8ElNS0_10empty_typeEbEEZZNS1_14partition_implILS5_8ELb0ES3_jPlPS6_PKS6_NS0_5tupleIJS9_S6_EEENSD_IJSA_SA_EEENS0_18inequality_wrapperIZN2at6native12_GLOBAL__N_124unique_dim_cuda_templateIN3c104HalfEEESt5tupleIJNSH_6TensorESO_SO_EERKSO_lbbbEUlllE0_EEPmJS6_EEE10hipError_tPvRmT3_T4_T5_T6_T7_T9_mT8_P12ihipStream_tbDpT10_ENKUlT_T0_E_clISt17integral_constantIbLb0EES1D_IbLb1EEEEDaS19_S1A_EUlS19_E_NS1_11comp_targetILNS1_3genE8ELNS1_11target_archE1030ELNS1_3gpuE2ELNS1_3repE0EEENS1_30default_config_static_selectorELNS0_4arch9wavefront6targetE0EEEvT1_.has_recursion, 0
	.set _ZN7rocprim17ROCPRIM_400000_NS6detail17trampoline_kernelINS0_14default_configENS1_25partition_config_selectorILNS1_17partition_subalgoE8ElNS0_10empty_typeEbEEZZNS1_14partition_implILS5_8ELb0ES3_jPlPS6_PKS6_NS0_5tupleIJS9_S6_EEENSD_IJSA_SA_EEENS0_18inequality_wrapperIZN2at6native12_GLOBAL__N_124unique_dim_cuda_templateIN3c104HalfEEESt5tupleIJNSH_6TensorESO_SO_EERKSO_lbbbEUlllE0_EEPmJS6_EEE10hipError_tPvRmT3_T4_T5_T6_T7_T9_mT8_P12ihipStream_tbDpT10_ENKUlT_T0_E_clISt17integral_constantIbLb0EES1D_IbLb1EEEEDaS19_S1A_EUlS19_E_NS1_11comp_targetILNS1_3genE8ELNS1_11target_archE1030ELNS1_3gpuE2ELNS1_3repE0EEENS1_30default_config_static_selectorELNS0_4arch9wavefront6targetE0EEEvT1_.has_indirect_call, 0
	.section	.AMDGPU.csdata,"",@progbits
; Kernel info:
; codeLenInByte = 0
; TotalNumSgprs: 0
; NumVgprs: 0
; ScratchSize: 0
; MemoryBound: 0
; FloatMode: 240
; IeeeMode: 1
; LDSByteSize: 0 bytes/workgroup (compile time only)
; SGPRBlocks: 0
; VGPRBlocks: 0
; NumSGPRsForWavesPerEU: 1
; NumVGPRsForWavesPerEU: 1
; NamedBarCnt: 0
; Occupancy: 16
; WaveLimiterHint : 0
; COMPUTE_PGM_RSRC2:SCRATCH_EN: 0
; COMPUTE_PGM_RSRC2:USER_SGPR: 2
; COMPUTE_PGM_RSRC2:TRAP_HANDLER: 0
; COMPUTE_PGM_RSRC2:TGID_X_EN: 1
; COMPUTE_PGM_RSRC2:TGID_Y_EN: 0
; COMPUTE_PGM_RSRC2:TGID_Z_EN: 0
; COMPUTE_PGM_RSRC2:TIDIG_COMP_CNT: 0
	.section	.text._ZN7rocprim17ROCPRIM_400000_NS6detail17trampoline_kernelINS0_14default_configENS1_25partition_config_selectorILNS1_17partition_subalgoE9EllbEEZZNS1_14partition_implILS5_9ELb0ES3_jPlS8_PNS0_10empty_typeENS0_5tupleIJS8_S9_EEENSB_IJS8_SA_EEENS0_18inequality_wrapperIZN2at6native12_GLOBAL__N_124unique_dim_cuda_templateIN3c104HalfEEESt5tupleIJNSF_6TensorESM_SM_EERKSM_lbbbEUlllE0_EEPmJS9_EEE10hipError_tPvRmT3_T4_T5_T6_T7_T9_mT8_P12ihipStream_tbDpT10_ENKUlT_T0_E_clISt17integral_constantIbLb0EES1C_EEDaS17_S18_EUlS17_E_NS1_11comp_targetILNS1_3genE0ELNS1_11target_archE4294967295ELNS1_3gpuE0ELNS1_3repE0EEENS1_30default_config_static_selectorELNS0_4arch9wavefront6targetE0EEEvT1_,"axG",@progbits,_ZN7rocprim17ROCPRIM_400000_NS6detail17trampoline_kernelINS0_14default_configENS1_25partition_config_selectorILNS1_17partition_subalgoE9EllbEEZZNS1_14partition_implILS5_9ELb0ES3_jPlS8_PNS0_10empty_typeENS0_5tupleIJS8_S9_EEENSB_IJS8_SA_EEENS0_18inequality_wrapperIZN2at6native12_GLOBAL__N_124unique_dim_cuda_templateIN3c104HalfEEESt5tupleIJNSF_6TensorESM_SM_EERKSM_lbbbEUlllE0_EEPmJS9_EEE10hipError_tPvRmT3_T4_T5_T6_T7_T9_mT8_P12ihipStream_tbDpT10_ENKUlT_T0_E_clISt17integral_constantIbLb0EES1C_EEDaS17_S18_EUlS17_E_NS1_11comp_targetILNS1_3genE0ELNS1_11target_archE4294967295ELNS1_3gpuE0ELNS1_3repE0EEENS1_30default_config_static_selectorELNS0_4arch9wavefront6targetE0EEEvT1_,comdat
	.globl	_ZN7rocprim17ROCPRIM_400000_NS6detail17trampoline_kernelINS0_14default_configENS1_25partition_config_selectorILNS1_17partition_subalgoE9EllbEEZZNS1_14partition_implILS5_9ELb0ES3_jPlS8_PNS0_10empty_typeENS0_5tupleIJS8_S9_EEENSB_IJS8_SA_EEENS0_18inequality_wrapperIZN2at6native12_GLOBAL__N_124unique_dim_cuda_templateIN3c104HalfEEESt5tupleIJNSF_6TensorESM_SM_EERKSM_lbbbEUlllE0_EEPmJS9_EEE10hipError_tPvRmT3_T4_T5_T6_T7_T9_mT8_P12ihipStream_tbDpT10_ENKUlT_T0_E_clISt17integral_constantIbLb0EES1C_EEDaS17_S18_EUlS17_E_NS1_11comp_targetILNS1_3genE0ELNS1_11target_archE4294967295ELNS1_3gpuE0ELNS1_3repE0EEENS1_30default_config_static_selectorELNS0_4arch9wavefront6targetE0EEEvT1_ ; -- Begin function _ZN7rocprim17ROCPRIM_400000_NS6detail17trampoline_kernelINS0_14default_configENS1_25partition_config_selectorILNS1_17partition_subalgoE9EllbEEZZNS1_14partition_implILS5_9ELb0ES3_jPlS8_PNS0_10empty_typeENS0_5tupleIJS8_S9_EEENSB_IJS8_SA_EEENS0_18inequality_wrapperIZN2at6native12_GLOBAL__N_124unique_dim_cuda_templateIN3c104HalfEEESt5tupleIJNSF_6TensorESM_SM_EERKSM_lbbbEUlllE0_EEPmJS9_EEE10hipError_tPvRmT3_T4_T5_T6_T7_T9_mT8_P12ihipStream_tbDpT10_ENKUlT_T0_E_clISt17integral_constantIbLb0EES1C_EEDaS17_S18_EUlS17_E_NS1_11comp_targetILNS1_3genE0ELNS1_11target_archE4294967295ELNS1_3gpuE0ELNS1_3repE0EEENS1_30default_config_static_selectorELNS0_4arch9wavefront6targetE0EEEvT1_
	.p2align	8
	.type	_ZN7rocprim17ROCPRIM_400000_NS6detail17trampoline_kernelINS0_14default_configENS1_25partition_config_selectorILNS1_17partition_subalgoE9EllbEEZZNS1_14partition_implILS5_9ELb0ES3_jPlS8_PNS0_10empty_typeENS0_5tupleIJS8_S9_EEENSB_IJS8_SA_EEENS0_18inequality_wrapperIZN2at6native12_GLOBAL__N_124unique_dim_cuda_templateIN3c104HalfEEESt5tupleIJNSF_6TensorESM_SM_EERKSM_lbbbEUlllE0_EEPmJS9_EEE10hipError_tPvRmT3_T4_T5_T6_T7_T9_mT8_P12ihipStream_tbDpT10_ENKUlT_T0_E_clISt17integral_constantIbLb0EES1C_EEDaS17_S18_EUlS17_E_NS1_11comp_targetILNS1_3genE0ELNS1_11target_archE4294967295ELNS1_3gpuE0ELNS1_3repE0EEENS1_30default_config_static_selectorELNS0_4arch9wavefront6targetE0EEEvT1_,@function
_ZN7rocprim17ROCPRIM_400000_NS6detail17trampoline_kernelINS0_14default_configENS1_25partition_config_selectorILNS1_17partition_subalgoE9EllbEEZZNS1_14partition_implILS5_9ELb0ES3_jPlS8_PNS0_10empty_typeENS0_5tupleIJS8_S9_EEENSB_IJS8_SA_EEENS0_18inequality_wrapperIZN2at6native12_GLOBAL__N_124unique_dim_cuda_templateIN3c104HalfEEESt5tupleIJNSF_6TensorESM_SM_EERKSM_lbbbEUlllE0_EEPmJS9_EEE10hipError_tPvRmT3_T4_T5_T6_T7_T9_mT8_P12ihipStream_tbDpT10_ENKUlT_T0_E_clISt17integral_constantIbLb0EES1C_EEDaS17_S18_EUlS17_E_NS1_11comp_targetILNS1_3genE0ELNS1_11target_archE4294967295ELNS1_3gpuE0ELNS1_3repE0EEENS1_30default_config_static_selectorELNS0_4arch9wavefront6targetE0EEEvT1_: ; @_ZN7rocprim17ROCPRIM_400000_NS6detail17trampoline_kernelINS0_14default_configENS1_25partition_config_selectorILNS1_17partition_subalgoE9EllbEEZZNS1_14partition_implILS5_9ELb0ES3_jPlS8_PNS0_10empty_typeENS0_5tupleIJS8_S9_EEENSB_IJS8_SA_EEENS0_18inequality_wrapperIZN2at6native12_GLOBAL__N_124unique_dim_cuda_templateIN3c104HalfEEESt5tupleIJNSF_6TensorESM_SM_EERKSM_lbbbEUlllE0_EEPmJS9_EEE10hipError_tPvRmT3_T4_T5_T6_T7_T9_mT8_P12ihipStream_tbDpT10_ENKUlT_T0_E_clISt17integral_constantIbLb0EES1C_EEDaS17_S18_EUlS17_E_NS1_11comp_targetILNS1_3genE0ELNS1_11target_archE4294967295ELNS1_3gpuE0ELNS1_3repE0EEENS1_30default_config_static_selectorELNS0_4arch9wavefront6targetE0EEEvT1_
; %bb.0:
	s_clause 0x2
	s_load_b128 s[4:7], s[0:1], 0x8
	s_load_b256 s[12:19], s[0:1], 0x40
	s_load_b32 s2, s[0:1], 0x70
	s_bfe_u32 s10, ttmp6, 0x4000c
	s_and_b32 s8, ttmp6, 15
	s_add_co_i32 s10, s10, 1
	s_load_b64 s[20:21], s[0:1], 0x18
	s_mul_i32 s10, ttmp9, s10
	s_getreg_b32 s24, hwreg(HW_REG_IB_STS2, 6, 4)
	s_add_co_i32 s10, s8, s10
	s_mov_b32 s9, 0
	v_dual_mov_b32 v1, v0 :: v_dual_lshlrev_b32 v34, 3, v0
	s_mov_b32 s11, s9
	s_mov_b32 s3, -1
	s_wait_kmcnt 0x0
	s_lshl_b64 s[22:23], s[6:7], 3
	s_load_b64 s[14:15], s[14:15], 0x0
	s_mul_i32 s8, s2, 0x280
	s_cmp_eq_u32 s24, 0
	s_add_nc_u64 s[24:25], s[6:7], s[8:9]
	s_cselect_b32 s26, ttmp9, s10
	s_add_co_i32 s8, s8, s6
	v_cmp_le_u64_e64 s9, s[16:17], s[24:25]
	s_sub_co_i32 s27, s16, s8
	s_add_co_i32 s2, s2, -1
	s_addk_co_i32 s27, 0x280
	s_cmp_eq_u32 s26, s2
	s_mul_i32 s10, s26, 0x280
	s_cselect_b32 s24, -1, 0
	s_add_nc_u64 s[4:5], s[4:5], s[22:23]
	s_and_b32 s28, s24, s9
	s_lshl_b64 s[16:17], s[10:11], 3
	s_xor_b32 s25, s28, -1
	s_add_nc_u64 s[4:5], s[4:5], s[16:17]
	s_and_b32 vcc_lo, exec_lo, s25
	s_cbranch_vccz .LBB1329_2
; %bb.1:
	s_clause 0x4
	global_load_b64 v[2:3], v0, s[4:5] scale_offset
	global_load_b64 v[4:5], v0, s[4:5] offset:1024 scale_offset
	global_load_b64 v[6:7], v0, s[4:5] offset:2048 scale_offset
	;; [unrolled: 1-line block ×4, first 2 shown]
	v_lshlrev_b32_e32 v12, 3, v0
	s_mov_b32 s3, 0
	s_wait_loadcnt 0x3
	ds_store_2addr_stride64_b64 v12, v[2:3], v[4:5] offset1:2
	s_wait_loadcnt 0x1
	ds_store_2addr_stride64_b64 v12, v[6:7], v[8:9] offset0:4 offset1:6
	s_wait_loadcnt 0x0
	ds_store_b64 v12, v[10:11] offset:4096
	s_wait_dscnt 0x0
	s_barrier_signal -1
	s_barrier_wait -1
.LBB1329_2:
	s_load_b128 s[8:11], s[0:1], 0x60
	v_cmp_gt_u32_e64 s2, s27, v0
	s_and_not1_b32 vcc_lo, exec_lo, s3
	s_cbranch_vccnz .LBB1329_14
; %bb.3:
	v_mov_b32_e32 v2, 0
	s_delay_alu instid0(VALU_DEP_1)
	v_dual_mov_b32 v3, v2 :: v_dual_mov_b32 v4, v2
	v_dual_mov_b32 v5, v2 :: v_dual_mov_b32 v6, v2
	v_dual_mov_b32 v7, v2 :: v_dual_mov_b32 v8, v2
	v_dual_mov_b32 v9, v2 :: v_dual_mov_b32 v10, v2
	v_mov_b32_e32 v11, v2
	s_and_saveexec_b32 s3, s2
	s_cbranch_execz .LBB1329_5
; %bb.4:
	global_load_b64 v[4:5], v0, s[4:5] scale_offset
	v_dual_mov_b32 v6, v2 :: v_dual_mov_b32 v7, v2
	v_dual_mov_b32 v8, v2 :: v_dual_mov_b32 v9, v2
	;; [unrolled: 1-line block ×4, first 2 shown]
	s_wait_loadcnt 0x0
	v_mov_b64_e32 v[2:3], v[4:5]
	v_mov_b64_e32 v[4:5], v[6:7]
	;; [unrolled: 1-line block ×8, first 2 shown]
.LBB1329_5:
	s_or_b32 exec_lo, exec_lo, s3
	v_or_b32_e32 v12, 0x80, v0
	s_mov_b32 s2, exec_lo
	s_delay_alu instid0(VALU_DEP_1)
	v_cmpx_gt_u32_e64 s27, v12
	s_cbranch_execz .LBB1329_7
; %bb.6:
	global_load_b64 v[4:5], v0, s[4:5] offset:1024 scale_offset
.LBB1329_7:
	s_wait_xcnt 0x0
	s_or_b32 exec_lo, exec_lo, s2
	v_or_b32_e32 v12, 0x100, v0
	s_mov_b32 s2, exec_lo
	s_delay_alu instid0(VALU_DEP_1)
	v_cmpx_gt_u32_e64 s27, v12
	s_cbranch_execz .LBB1329_9
; %bb.8:
	global_load_b64 v[6:7], v0, s[4:5] offset:2048 scale_offset
.LBB1329_9:
	s_wait_xcnt 0x0
	;; [unrolled: 10-line block ×4, first 2 shown]
	s_or_b32 exec_lo, exec_lo, s2
	v_lshlrev_b32_e32 v12, 3, v0
	s_wait_loadcnt 0x0
	ds_store_2addr_stride64_b64 v12, v[2:3], v[4:5] offset1:2
	ds_store_2addr_stride64_b64 v12, v[6:7], v[8:9] offset0:4 offset1:6
	ds_store_b64 v12, v[10:11] offset:4096
	s_wait_dscnt 0x0
	s_barrier_signal -1
	s_barrier_wait -1
.LBB1329_14:
	v_mul_u32_u24_e32 v30, 5, v0
	s_add_nc_u64 s[2:3], s[20:21], s[22:23]
	s_and_b32 vcc_lo, exec_lo, s25
	s_add_nc_u64 s[2:3], s[2:3], s[16:17]
	s_delay_alu instid0(VALU_DEP_1)
	v_lshlrev_b32_e32 v28, 3, v30
	s_mov_b32 s16, -1
	ds_load_2addr_b64 v[14:17], v28 offset1:1
	ds_load_2addr_b64 v[10:13], v28 offset0:2 offset1:3
	ds_load_b64 v[20:21], v28 offset:32
	s_wait_dscnt 0x0
	s_barrier_signal -1
	s_barrier_wait -1
	s_cbranch_vccz .LBB1329_16
; %bb.15:
	s_clause 0x4
	global_load_b64 v[2:3], v0, s[2:3] scale_offset
	global_load_b64 v[4:5], v0, s[2:3] offset:1024 scale_offset
	global_load_b64 v[6:7], v0, s[2:3] offset:2048 scale_offset
	;; [unrolled: 1-line block ×4, first 2 shown]
	v_lshlrev_b32_e32 v22, 3, v0
	s_mov_b32 s16, 0
	s_wait_loadcnt 0x3
	ds_store_2addr_stride64_b64 v22, v[2:3], v[4:5] offset1:2
	s_wait_loadcnt 0x1
	ds_store_2addr_stride64_b64 v22, v[6:7], v[8:9] offset0:4 offset1:6
	s_wait_loadcnt 0x0
	ds_store_b64 v22, v[18:19] offset:4096
	s_wait_dscnt 0x0
	s_barrier_signal -1
	s_barrier_wait -1
.LBB1329_16:
	s_and_not1_b32 vcc_lo, exec_lo, s16
	s_cbranch_vccnz .LBB1329_28
; %bb.17:
	s_mov_b32 s16, exec_lo
                                        ; implicit-def: $vgpr2_vgpr3
	v_cmpx_gt_u32_e64 s27, v0
	s_cbranch_execz .LBB1329_19
; %bb.18:
	global_load_b64 v[2:3], v0, s[2:3] scale_offset
.LBB1329_19:
	s_wait_xcnt 0x0
	s_or_b32 exec_lo, exec_lo, s16
	v_or_b32_e32 v4, 0x80, v0
	s_delay_alu instid0(VALU_DEP_1)
	v_cmp_gt_u32_e32 vcc_lo, s27, v4
                                        ; implicit-def: $vgpr4_vgpr5
	s_and_saveexec_b32 s16, vcc_lo
	s_cbranch_execz .LBB1329_21
; %bb.20:
	global_load_b64 v[4:5], v0, s[2:3] offset:1024 scale_offset
.LBB1329_21:
	s_wait_xcnt 0x0
	s_or_b32 exec_lo, exec_lo, s16
	v_or_b32_e32 v6, 0x100, v0
	s_delay_alu instid0(VALU_DEP_1)
	v_cmp_gt_u32_e32 vcc_lo, s27, v6
                                        ; implicit-def: $vgpr6_vgpr7
	s_and_saveexec_b32 s16, vcc_lo
	s_cbranch_execz .LBB1329_23
; %bb.22:
	global_load_b64 v[6:7], v0, s[2:3] offset:2048 scale_offset
.LBB1329_23:
	s_wait_xcnt 0x0
	s_or_b32 exec_lo, exec_lo, s16
	v_or_b32_e32 v8, 0x180, v0
	s_delay_alu instid0(VALU_DEP_1)
	v_cmp_gt_u32_e32 vcc_lo, s27, v8
                                        ; implicit-def: $vgpr8_vgpr9
	s_and_saveexec_b32 s16, vcc_lo
	s_cbranch_execz .LBB1329_25
; %bb.24:
	global_load_b64 v[8:9], v0, s[2:3] offset:3072 scale_offset
.LBB1329_25:
	s_wait_xcnt 0x0
	s_or_b32 exec_lo, exec_lo, s16
	v_or_b32_e32 v18, 0x200, v0
	s_delay_alu instid0(VALU_DEP_1)
	v_cmp_gt_u32_e32 vcc_lo, s27, v18
                                        ; implicit-def: $vgpr18_vgpr19
	s_and_saveexec_b32 s16, vcc_lo
	s_cbranch_execz .LBB1329_27
; %bb.26:
	global_load_b64 v[18:19], v0, s[2:3] offset:4096 scale_offset
.LBB1329_27:
	s_wait_xcnt 0x0
	s_or_b32 exec_lo, exec_lo, s16
	v_lshlrev_b32_e32 v22, 5, v0
	s_delay_alu instid0(VALU_DEP_1)
	v_sub_nc_u32_e32 v22, v28, v22
	s_wait_loadcnt 0x0
	ds_store_2addr_stride64_b64 v22, v[2:3], v[4:5] offset1:2
	ds_store_2addr_stride64_b64 v22, v[6:7], v[8:9] offset0:4 offset1:6
	ds_store_b64 v22, v[18:19] offset:4096
	s_wait_dscnt 0x0
	s_barrier_signal -1
	s_barrier_wait -1
.LBB1329_28:
	ds_load_b64 v[18:19], v28 offset:32
	ds_load_2addr_b64 v[2:5], v28 offset0:2 offset1:3
	ds_load_2addr_b64 v[6:9], v28 offset1:1
	s_cmp_lg_u32 s26, 0
	v_cmp_gt_i64_e64 s17, s[18:19], 0
	s_cselect_b32 s16, -1, 0
	s_cmp_lg_u64 s[6:7], 0
	s_mov_b32 s6, 0
	s_cselect_b32 s2, -1, 0
	s_wait_dscnt 0x0
	s_or_b32 s2, s16, s2
	s_barrier_signal -1
	s_and_b32 vcc_lo, exec_lo, s2
	s_barrier_wait -1
	s_cbranch_vccz .LBB1329_40
; %bb.29:
	s_add_nc_u64 s[2:3], s[4:5], -8
	v_cndmask_b32_e64 v29, 0, 1, s17
	s_load_b64 s[4:5], s[2:3], 0x0
	v_lshlrev_b32_e32 v31, 3, v0
	s_and_b32 vcc_lo, exec_lo, s25
	s_wait_xcnt 0x0
	v_cmp_ne_u32_e64 s2, 1, v29
	ds_store_b64 v31, v[20:21]
	s_cbranch_vccz .LBB1329_42
; %bb.30:
	s_and_b32 vcc_lo, exec_lo, s2
	s_cbranch_vccnz .LBB1329_43
; %bb.31:
	v_mul_u64_e32 v[22:23], s[18:19], v[12:13]
	v_mul_u64_e32 v[24:25], s[18:19], v[20:21]
	s_add_nc_u64 s[6:7], s[18:19], -1
	s_mov_b32 s21, 0
	s_mov_b64 s[2:3], s[6:7]
                                        ; implicit-def: $sgpr20
	s_wait_kmcnt 0x0
	s_delay_alu instid0(VALU_DEP_2) | instskip(NEXT) | instid1(VALU_DEP_2)
	v_lshl_add_u64 v[22:23], v[22:23], 1, s[8:9]
	v_lshl_add_u64 v[24:25], v[24:25], 1, s[8:9]
	s_delay_alu instid0(VALU_DEP_2)
	v_mov_b64_e32 v[26:27], v[22:23]
.LBB1329_32:                            ; =>This Inner Loop Header: Depth=1
	global_load_u16 v32, v[26:27], off
	global_load_u16 v33, v[24:25], off
	s_cmp_eq_u64 s[2:3], 0
	s_add_nc_u64 s[22:23], s[2:3], -1
	s_cselect_b32 s3, -1, 0
	s_wait_xcnt 0x1
	v_add_nc_u64_e32 v[26:27], 2, v[26:27]
	s_wait_xcnt 0x0
	v_add_nc_u64_e32 v[24:25], 2, v[24:25]
	s_wait_loadcnt 0x0
	v_cmp_neq_f16_e32 vcc_lo, v32, v33
	v_cmp_eq_f16_e64 s2, v32, v33
	s_or_b32 s3, vcc_lo, s3
	s_delay_alu instid0(SALU_CYCLE_1) | instskip(NEXT) | instid1(SALU_CYCLE_1)
	s_and_b32 s3, exec_lo, s3
	s_or_b32 s21, s3, s21
	s_and_not1_b32 s20, s20, exec_lo
	s_and_b32 s29, s2, exec_lo
	s_mov_b64 s[2:3], s[22:23]
	s_or_b32 s20, s20, s29
	s_and_not1_b32 exec_lo, exec_lo, s21
	s_cbranch_execnz .LBB1329_32
; %bb.33:
	s_or_b32 exec_lo, exec_lo, s21
	v_mul_u64_e32 v[24:25], s[18:19], v[10:11]
	s_mov_b32 s22, 0
	s_mov_b64 s[2:3], s[6:7]
                                        ; implicit-def: $sgpr21
	s_delay_alu instid0(VALU_DEP_1) | instskip(NEXT) | instid1(VALU_DEP_1)
	v_lshl_add_u64 v[24:25], v[24:25], 1, s[8:9]
	v_mov_b64_e32 v[26:27], v[24:25]
.LBB1329_34:                            ; =>This Inner Loop Header: Depth=1
	global_load_u16 v32, v[26:27], off
	global_load_u16 v33, v[22:23], off
	s_cmp_eq_u64 s[2:3], 0
	s_add_nc_u64 s[30:31], s[2:3], -1
	s_cselect_b32 s3, -1, 0
	s_wait_xcnt 0x1
	v_add_nc_u64_e32 v[26:27], 2, v[26:27]
	s_wait_xcnt 0x0
	v_add_nc_u64_e32 v[22:23], 2, v[22:23]
	s_wait_loadcnt 0x0
	v_cmp_neq_f16_e32 vcc_lo, v32, v33
	v_cmp_eq_f16_e64 s2, v32, v33
	s_or_b32 s3, vcc_lo, s3
	s_delay_alu instid0(SALU_CYCLE_1) | instskip(NEXT) | instid1(SALU_CYCLE_1)
	s_and_b32 s3, exec_lo, s3
	s_or_b32 s22, s3, s22
	s_and_not1_b32 s21, s21, exec_lo
	s_and_b32 s23, s2, exec_lo
	s_mov_b64 s[2:3], s[30:31]
	s_or_b32 s21, s21, s23
	s_and_not1_b32 exec_lo, exec_lo, s22
	s_cbranch_execnz .LBB1329_34
; %bb.35:
	s_or_b32 exec_lo, exec_lo, s22
	v_mul_u64_e32 v[22:23], s[18:19], v[16:17]
	s_mov_b32 s23, 0
	s_mov_b64 s[2:3], s[6:7]
                                        ; implicit-def: $sgpr22
	s_delay_alu instid0(VALU_DEP_1) | instskip(NEXT) | instid1(VALU_DEP_1)
	v_lshl_add_u64 v[22:23], v[22:23], 1, s[8:9]
	v_mov_b64_e32 v[26:27], v[22:23]
.LBB1329_36:                            ; =>This Inner Loop Header: Depth=1
	global_load_u16 v32, v[26:27], off
	global_load_u16 v33, v[24:25], off
	s_cmp_eq_u64 s[2:3], 0
	s_add_nc_u64 s[30:31], s[2:3], -1
	s_cselect_b32 s3, -1, 0
	s_wait_xcnt 0x1
	v_add_nc_u64_e32 v[26:27], 2, v[26:27]
	s_wait_xcnt 0x0
	v_add_nc_u64_e32 v[24:25], 2, v[24:25]
	s_wait_loadcnt 0x0
	v_cmp_neq_f16_e32 vcc_lo, v32, v33
	v_cmp_eq_f16_e64 s2, v32, v33
	s_or_b32 s3, vcc_lo, s3
	s_delay_alu instid0(SALU_CYCLE_1) | instskip(NEXT) | instid1(SALU_CYCLE_1)
	s_and_b32 s3, exec_lo, s3
	s_or_b32 s23, s3, s23
	s_and_not1_b32 s22, s22, exec_lo
	s_and_b32 s29, s2, exec_lo
	s_mov_b64 s[2:3], s[30:31]
	s_or_b32 s22, s22, s29
	s_and_not1_b32 exec_lo, exec_lo, s23
	s_cbranch_execnz .LBB1329_36
; %bb.37:
	s_or_b32 exec_lo, exec_lo, s23
	v_mul_u64_e32 v[24:25], s[18:19], v[14:15]
	s_mov_b32 s23, 0
                                        ; implicit-def: $sgpr3
	s_delay_alu instid0(VALU_DEP_1)
	v_lshl_add_u64 v[24:25], v[24:25], 1, s[8:9]
.LBB1329_38:                            ; =>This Inner Loop Header: Depth=1
	global_load_u16 v26, v[24:25], off
	global_load_u16 v27, v[22:23], off
	s_cmp_eq_u64 s[6:7], 0
	s_add_nc_u64 s[30:31], s[6:7], -1
	s_cselect_b32 s6, -1, 0
	s_wait_xcnt 0x1
	v_add_nc_u64_e32 v[24:25], 2, v[24:25]
	s_wait_xcnt 0x0
	v_add_nc_u64_e32 v[22:23], 2, v[22:23]
	s_wait_loadcnt 0x0
	v_cmp_neq_f16_e32 vcc_lo, v26, v27
	v_cmp_eq_f16_e64 s2, v26, v27
	s_or_b32 s6, vcc_lo, s6
	s_delay_alu instid0(SALU_CYCLE_1) | instskip(NEXT) | instid1(SALU_CYCLE_1)
	s_and_b32 s6, exec_lo, s6
	s_or_b32 s23, s6, s23
	s_and_not1_b32 s3, s3, exec_lo
	s_and_b32 s2, s2, exec_lo
	s_mov_b64 s[6:7], s[30:31]
	s_or_b32 s3, s3, s2
	s_and_not1_b32 exec_lo, exec_lo, s23
	s_cbranch_execnz .LBB1329_38
; %bb.39:
	s_or_b32 exec_lo, exec_lo, s23
	s_xor_b32 s2, s21, -1
	s_xor_b32 s3, s3, -1
	v_cndmask_b32_e64 v22, 0, 1, s2
	s_xor_b32 s2, s22, -1
	s_delay_alu instid0(SALU_CYCLE_1) | instskip(SKIP_1) | instid1(VALU_DEP_2)
	v_cndmask_b32_e64 v23, 0, 1, s2
	s_xor_b32 s2, s20, -1
	v_lshlrev_b16 v22, 8, v22
	v_cndmask_b32_e64 v35, 0, 1, s2
	s_delay_alu instid0(VALU_DEP_2) | instskip(NEXT) | instid1(VALU_DEP_1)
	v_lshrrev_b32_e32 v22, 8, v22
	v_lshlrev_b16 v22, 8, v22
	s_delay_alu instid0(VALU_DEP_1) | instskip(NEXT) | instid1(VALU_DEP_1)
	v_or_b32_e32 v22, v23, v22
	v_lshlrev_b32_e32 v24, 16, v22
	s_branch .LBB1329_44
.LBB1329_40:
                                        ; implicit-def: $sgpr2
                                        ; implicit-def: $vgpr35
                                        ; implicit-def: $vgpr25
	s_branch .LBB1329_85
.LBB1329_41:
                                        ; implicit-def: $vgpr24
                                        ; implicit-def: $vgpr23
                                        ; implicit-def: $vgpr36
                                        ; implicit-def: $vgpr22
	s_branch .LBB1329_138
.LBB1329_42:
                                        ; implicit-def: $sgpr2
                                        ; implicit-def: $vgpr35
                                        ; implicit-def: $vgpr25
	s_cbranch_execnz .LBB1329_51
	s_branch .LBB1329_84
.LBB1329_43:
	v_dual_mov_b32 v24, 0 :: v_dual_mov_b32 v35, 0
	s_mov_b32 s3, 0
.LBB1329_44:
	s_wait_kmcnt 0x0
	v_mov_b64_e32 v[22:23], s[4:5]
	s_mov_b32 s2, 0
	s_mov_b32 s6, exec_lo
	s_wait_dscnt 0x0
	s_barrier_signal -1
	s_barrier_wait -1
	v_cmpx_ne_u32_e32 0, v0
; %bb.45:
	v_add_nc_u32_e32 v22, -8, v31
	ds_load_b64 v[22:23], v22
; %bb.46:
	s_or_b32 exec_lo, exec_lo, s6
	v_cndmask_b32_e64 v25, 0, 1, s3
	v_lshrrev_b32_e32 v26, 16, v24
	s_and_not1_b32 vcc_lo, exec_lo, s17
	s_delay_alu instid0(VALU_DEP_2) | instskip(NEXT) | instid1(VALU_DEP_2)
	v_lshlrev_b16 v25, 8, v25
	v_perm_b32 v26, v26, v24, 0xc0c0304
	s_delay_alu instid0(VALU_DEP_2) | instskip(NEXT) | instid1(VALU_DEP_1)
	v_bitop3_b16 v25, v24, v25, 0xff bitop3:0xec
	v_and_b32_e32 v27, 0xffff, v25
	s_cbranch_vccnz .LBB1329_50
; %bb.47:
	s_wait_dscnt 0x0
	v_mul_u64_e32 v[22:23], s[18:19], v[22:23]
	v_mul_u64_e32 v[24:25], s[18:19], v[14:15]
	s_add_nc_u64 s[2:3], s[18:19], -1
	s_mov_b32 s6, 0
                                        ; implicit-def: $sgpr7
	s_delay_alu instid0(VALU_DEP_2) | instskip(NEXT) | instid1(VALU_DEP_2)
	v_lshl_add_u64 v[22:23], v[22:23], 1, s[8:9]
	v_lshl_add_u64 v[24:25], v[24:25], 1, s[8:9]
.LBB1329_48:                            ; =>This Inner Loop Header: Depth=1
	global_load_u16 v32, v[22:23], off
	global_load_u16 v33, v[24:25], off
	s_cmp_eq_u64 s[2:3], 0
	s_add_nc_u64 s[20:21], s[2:3], -1
	s_cselect_b32 s3, -1, 0
	s_wait_xcnt 0x1
	v_add_nc_u64_e32 v[22:23], 2, v[22:23]
	s_wait_xcnt 0x0
	v_add_nc_u64_e32 v[24:25], 2, v[24:25]
	s_wait_loadcnt 0x0
	v_cmp_neq_f16_e32 vcc_lo, v32, v33
	v_cmp_eq_f16_e64 s2, v32, v33
	s_or_b32 s3, vcc_lo, s3
	s_delay_alu instid0(SALU_CYCLE_1) | instskip(NEXT) | instid1(SALU_CYCLE_1)
	s_and_b32 s3, exec_lo, s3
	s_or_b32 s6, s3, s6
	s_and_not1_b32 s7, s7, exec_lo
	s_and_b32 s22, s2, exec_lo
	s_mov_b64 s[2:3], s[20:21]
	s_or_b32 s7, s7, s22
	s_and_not1_b32 exec_lo, exec_lo, s6
	s_cbranch_execnz .LBB1329_48
; %bb.49:
	s_or_b32 exec_lo, exec_lo, s6
	s_xor_b32 s2, s7, -1
.LBB1329_50:
	s_delay_alu instid0(VALU_DEP_1)
	v_lshl_or_b32 v25, v26, 16, v27
	s_branch .LBB1329_84
.LBB1329_51:
	s_wait_dscnt 0x0
	v_add_nc_u32_e32 v22, 4, v30
	s_mov_b32 s7, 0
	s_mov_b32 s6, 0
	s_mov_b32 s20, exec_lo
	s_delay_alu instid0(VALU_DEP_1)
	v_cmpx_gt_u32_e64 s27, v22
	s_cbranch_execz .LBB1329_57
; %bb.52:
	s_and_not1_b32 vcc_lo, exec_lo, s17
	s_mov_b32 s2, 0
	s_cbranch_vccnz .LBB1329_56
; %bb.53:
	v_mul_u64_e32 v[22:23], s[18:19], v[12:13]
	v_mul_u64_e32 v[24:25], s[18:19], v[20:21]
	s_add_nc_u64 s[2:3], s[18:19], -1
                                        ; implicit-def: $sgpr17
	s_wait_kmcnt 0x0
	s_delay_alu instid0(VALU_DEP_2) | instskip(NEXT) | instid1(VALU_DEP_2)
	v_lshl_add_u64 v[22:23], v[22:23], 1, s[8:9]
	v_lshl_add_u64 v[24:25], v[24:25], 1, s[8:9]
.LBB1329_54:                            ; =>This Inner Loop Header: Depth=1
	global_load_u16 v26, v[22:23], off
	global_load_u16 v27, v[24:25], off
	s_cmp_eq_u64 s[2:3], 0
	s_add_nc_u64 s[22:23], s[2:3], -1
	s_cselect_b32 s3, -1, 0
	s_wait_xcnt 0x1
	v_add_nc_u64_e32 v[22:23], 2, v[22:23]
	s_wait_xcnt 0x0
	v_add_nc_u64_e32 v[24:25], 2, v[24:25]
	s_wait_loadcnt 0x0
	v_cmp_neq_f16_e32 vcc_lo, v26, v27
	v_cmp_eq_f16_e64 s2, v26, v27
	s_or_b32 s3, vcc_lo, s3
	s_delay_alu instid0(SALU_CYCLE_1) | instskip(NEXT) | instid1(SALU_CYCLE_1)
	s_and_b32 s3, exec_lo, s3
	s_or_b32 s6, s3, s6
	s_and_not1_b32 s17, s17, exec_lo
	s_and_b32 s21, s2, exec_lo
	s_mov_b64 s[2:3], s[22:23]
	s_or_b32 s17, s17, s21
	s_and_not1_b32 exec_lo, exec_lo, s6
	s_cbranch_execnz .LBB1329_54
; %bb.55:
	s_or_b32 exec_lo, exec_lo, s6
	s_xor_b32 s2, s17, -1
.LBB1329_56:
	s_delay_alu instid0(SALU_CYCLE_1)
	s_and_b32 s6, s2, exec_lo
.LBB1329_57:
	s_or_b32 exec_lo, exec_lo, s20
	v_add_nc_u32_e32 v22, 3, v30
	s_mov_b32 s17, exec_lo
	s_delay_alu instid0(VALU_DEP_1)
	v_cmpx_gt_u32_e64 s27, v22
	s_cbranch_execz .LBB1329_63
; %bb.58:
	v_cmp_ne_u32_e32 vcc_lo, 1, v29
	s_mov_b32 s2, 0
	s_cbranch_vccnz .LBB1329_62
; %bb.59:
	v_mul_u64_e32 v[22:23], s[18:19], v[10:11]
	v_mul_u64_e32 v[24:25], s[18:19], v[12:13]
	s_add_nc_u64 s[2:3], s[18:19], -1
	s_mov_b32 s7, 0
                                        ; implicit-def: $sgpr20
	s_wait_kmcnt 0x0
	s_delay_alu instid0(VALU_DEP_2) | instskip(NEXT) | instid1(VALU_DEP_2)
	v_lshl_add_u64 v[22:23], v[22:23], 1, s[8:9]
	v_lshl_add_u64 v[24:25], v[24:25], 1, s[8:9]
.LBB1329_60:                            ; =>This Inner Loop Header: Depth=1
	global_load_u16 v26, v[22:23], off
	global_load_u16 v27, v[24:25], off
	s_cmp_eq_u64 s[2:3], 0
	s_add_nc_u64 s[22:23], s[2:3], -1
	s_cselect_b32 s3, -1, 0
	s_wait_xcnt 0x1
	v_add_nc_u64_e32 v[22:23], 2, v[22:23]
	s_wait_xcnt 0x0
	v_add_nc_u64_e32 v[24:25], 2, v[24:25]
	s_wait_loadcnt 0x0
	v_cmp_neq_f16_e32 vcc_lo, v26, v27
	v_cmp_eq_f16_e64 s2, v26, v27
	s_or_b32 s3, vcc_lo, s3
	s_delay_alu instid0(SALU_CYCLE_1) | instskip(NEXT) | instid1(SALU_CYCLE_1)
	s_and_b32 s3, exec_lo, s3
	s_or_b32 s7, s3, s7
	s_and_not1_b32 s20, s20, exec_lo
	s_and_b32 s21, s2, exec_lo
	s_mov_b64 s[2:3], s[22:23]
	s_or_b32 s20, s20, s21
	s_and_not1_b32 exec_lo, exec_lo, s7
	s_cbranch_execnz .LBB1329_60
; %bb.61:
	s_or_b32 exec_lo, exec_lo, s7
	s_xor_b32 s2, s20, -1
.LBB1329_62:
	s_delay_alu instid0(SALU_CYCLE_1)
	s_and_b32 s7, s2, exec_lo
.LBB1329_63:
	s_or_b32 exec_lo, exec_lo, s17
	v_add_nc_u32_e32 v22, 2, v30
	s_mov_b32 s17, 0
	s_mov_b32 s20, 0
	s_mov_b32 s21, exec_lo
	s_delay_alu instid0(VALU_DEP_1)
	v_cmpx_gt_u32_e64 s27, v22
	s_cbranch_execz .LBB1329_69
; %bb.64:
	v_cmp_ne_u32_e32 vcc_lo, 1, v29
	s_mov_b32 s2, 0
	s_cbranch_vccnz .LBB1329_68
; %bb.65:
	v_mul_u64_e32 v[22:23], s[18:19], v[16:17]
	v_mul_u64_e32 v[24:25], s[18:19], v[10:11]
	s_add_nc_u64 s[2:3], s[18:19], -1
                                        ; implicit-def: $sgpr22
	s_wait_kmcnt 0x0
	s_delay_alu instid0(VALU_DEP_2) | instskip(NEXT) | instid1(VALU_DEP_2)
	v_lshl_add_u64 v[22:23], v[22:23], 1, s[8:9]
	v_lshl_add_u64 v[24:25], v[24:25], 1, s[8:9]
.LBB1329_66:                            ; =>This Inner Loop Header: Depth=1
	global_load_u16 v26, v[22:23], off
	global_load_u16 v27, v[24:25], off
	s_cmp_eq_u64 s[2:3], 0
	s_add_nc_u64 s[30:31], s[2:3], -1
	s_cselect_b32 s3, -1, 0
	s_wait_xcnt 0x1
	v_add_nc_u64_e32 v[22:23], 2, v[22:23]
	s_wait_xcnt 0x0
	v_add_nc_u64_e32 v[24:25], 2, v[24:25]
	s_wait_loadcnt 0x0
	v_cmp_neq_f16_e32 vcc_lo, v26, v27
	v_cmp_eq_f16_e64 s2, v26, v27
	s_or_b32 s3, vcc_lo, s3
	s_delay_alu instid0(SALU_CYCLE_1) | instskip(NEXT) | instid1(SALU_CYCLE_1)
	s_and_b32 s3, exec_lo, s3
	s_or_b32 s20, s3, s20
	s_and_not1_b32 s22, s22, exec_lo
	s_and_b32 s23, s2, exec_lo
	s_mov_b64 s[2:3], s[30:31]
	s_or_b32 s22, s22, s23
	s_and_not1_b32 exec_lo, exec_lo, s20
	s_cbranch_execnz .LBB1329_66
; %bb.67:
	s_or_b32 exec_lo, exec_lo, s20
	s_xor_b32 s2, s22, -1
.LBB1329_68:
	s_delay_alu instid0(SALU_CYCLE_1)
	s_and_b32 s20, s2, exec_lo
.LBB1329_69:
	s_or_b32 exec_lo, exec_lo, s21
	v_add_nc_u32_e32 v22, 1, v30
	s_mov_b32 s21, exec_lo
	s_delay_alu instid0(VALU_DEP_1)
	v_cmpx_gt_u32_e64 s27, v22
	s_cbranch_execz .LBB1329_75
; %bb.70:
	v_cmp_ne_u32_e32 vcc_lo, 1, v29
	s_mov_b32 s2, 0
	s_cbranch_vccnz .LBB1329_74
; %bb.71:
	v_mul_u64_e32 v[22:23], s[18:19], v[14:15]
	v_mul_u64_e32 v[24:25], s[18:19], v[16:17]
	s_add_nc_u64 s[2:3], s[18:19], -1
	s_mov_b32 s17, 0
                                        ; implicit-def: $sgpr22
	s_wait_kmcnt 0x0
	s_delay_alu instid0(VALU_DEP_2) | instskip(NEXT) | instid1(VALU_DEP_2)
	v_lshl_add_u64 v[22:23], v[22:23], 1, s[8:9]
	v_lshl_add_u64 v[24:25], v[24:25], 1, s[8:9]
.LBB1329_72:                            ; =>This Inner Loop Header: Depth=1
	global_load_u16 v26, v[22:23], off
	global_load_u16 v27, v[24:25], off
	s_cmp_eq_u64 s[2:3], 0
	s_add_nc_u64 s[30:31], s[2:3], -1
	s_cselect_b32 s3, -1, 0
	s_wait_xcnt 0x1
	v_add_nc_u64_e32 v[22:23], 2, v[22:23]
	s_wait_xcnt 0x0
	v_add_nc_u64_e32 v[24:25], 2, v[24:25]
	s_wait_loadcnt 0x0
	v_cmp_neq_f16_e32 vcc_lo, v26, v27
	v_cmp_eq_f16_e64 s2, v26, v27
	s_or_b32 s3, vcc_lo, s3
	s_delay_alu instid0(SALU_CYCLE_1) | instskip(NEXT) | instid1(SALU_CYCLE_1)
	s_and_b32 s3, exec_lo, s3
	s_or_b32 s17, s3, s17
	s_and_not1_b32 s22, s22, exec_lo
	s_and_b32 s23, s2, exec_lo
	s_mov_b64 s[2:3], s[30:31]
	s_or_b32 s22, s22, s23
	s_and_not1_b32 exec_lo, exec_lo, s17
	s_cbranch_execnz .LBB1329_72
; %bb.73:
	s_or_b32 exec_lo, exec_lo, s17
	s_xor_b32 s2, s22, -1
.LBB1329_74:
	s_delay_alu instid0(SALU_CYCLE_1)
	s_and_b32 s17, s2, exec_lo
.LBB1329_75:
	s_or_b32 exec_lo, exec_lo, s21
	s_wait_kmcnt 0x0
	v_mov_b64_e32 v[22:23], s[4:5]
	s_mov_b32 s2, 0
	s_mov_b32 s3, exec_lo
	s_barrier_signal -1
	s_barrier_wait -1
	v_cmpx_ne_u32_e32 0, v0
; %bb.76:
	v_add_nc_u32_e32 v22, -8, v31
	ds_load_b64 v[22:23], v22
; %bb.77:
	s_or_b32 exec_lo, exec_lo, s3
	v_cndmask_b32_e64 v24, 0, 1, s7
	v_cndmask_b32_e64 v25, 0, 1, s20
	;; [unrolled: 1-line block ×3, first 2 shown]
	s_mov_b32 s4, exec_lo
	s_delay_alu instid0(VALU_DEP_3) | instskip(NEXT) | instid1(VALU_DEP_2)
	v_lshlrev_b16 v24, 8, v24
	v_lshlrev_b16 v26, 8, v26
	s_delay_alu instid0(VALU_DEP_2) | instskip(NEXT) | instid1(VALU_DEP_2)
	v_or_b32_e32 v24, v25, v24
	v_and_b32_e32 v26, 0xffff, v26
	s_delay_alu instid0(VALU_DEP_2)
	v_lshlrev_b32_e32 v27, 16, v24
	v_cmpx_gt_u32_e64 s27, v30
	s_cbranch_execz .LBB1329_83
; %bb.78:
	v_cmp_ne_u32_e32 vcc_lo, 1, v29
	s_cbranch_vccnz .LBB1329_82
; %bb.79:
	s_wait_dscnt 0x0
	v_mul_u64_e32 v[22:23], s[18:19], v[22:23]
	v_mul_u64_e32 v[24:25], s[18:19], v[14:15]
	s_add_nc_u64 s[2:3], s[18:19], -1
	s_mov_b32 s5, 0
                                        ; implicit-def: $sgpr7
	s_delay_alu instid0(VALU_DEP_2) | instskip(NEXT) | instid1(VALU_DEP_2)
	v_lshl_add_u64 v[22:23], v[22:23], 1, s[8:9]
	v_lshl_add_u64 v[24:25], v[24:25], 1, s[8:9]
.LBB1329_80:                            ; =>This Inner Loop Header: Depth=1
	global_load_u16 v29, v[22:23], off
	global_load_u16 v31, v[24:25], off
	s_cmp_eq_u64 s[2:3], 0
	s_add_nc_u64 s[20:21], s[2:3], -1
	s_cselect_b32 s3, -1, 0
	s_wait_xcnt 0x1
	v_add_nc_u64_e32 v[22:23], 2, v[22:23]
	s_wait_xcnt 0x0
	v_add_nc_u64_e32 v[24:25], 2, v[24:25]
	s_wait_loadcnt 0x0
	v_cmp_neq_f16_e32 vcc_lo, v29, v31
	v_cmp_eq_f16_e64 s2, v29, v31
	s_or_b32 s3, vcc_lo, s3
	s_delay_alu instid0(SALU_CYCLE_1) | instskip(NEXT) | instid1(SALU_CYCLE_1)
	s_and_b32 s3, exec_lo, s3
	s_or_b32 s5, s3, s5
	s_and_not1_b32 s7, s7, exec_lo
	s_and_b32 s17, s2, exec_lo
	s_mov_b64 s[2:3], s[20:21]
	s_or_b32 s7, s7, s17
	s_and_not1_b32 exec_lo, exec_lo, s5
	s_cbranch_execnz .LBB1329_80
; %bb.81:
	s_or_b32 exec_lo, exec_lo, s5
	s_xor_b32 s2, s7, -1
.LBB1329_82:
	s_delay_alu instid0(SALU_CYCLE_1)
	s_and_b32 s2, s2, exec_lo
.LBB1329_83:
	s_or_b32 exec_lo, exec_lo, s4
	v_cndmask_b32_e64 v35, 0, 1, s6
	v_or_b32_e32 v25, v26, v27
.LBB1329_84:
	s_mov_b32 s6, -1
	s_cbranch_execnz .LBB1329_41
.LBB1329_85:
	s_wait_dscnt 0x0
	v_lshlrev_b32_e32 v22, 5, v0
	v_cmp_gt_i64_e64 s7, s[18:19], 0
	s_and_b32 vcc_lo, exec_lo, s25
	v_sub_nc_u32_e32 v31, v28, v22
	ds_store_b64 v31, v[20:21]
	s_cbranch_vccz .LBB1329_96
; %bb.86:
	s_and_not1_b32 vcc_lo, exec_lo, s7
	s_cbranch_vccnz .LBB1329_97
; %bb.87:
	v_mul_u64_e32 v[22:23], s[18:19], v[12:13]
	v_mul_u64_e32 v[24:25], s[18:19], v[20:21]
	s_wait_kmcnt 0x0
	s_add_nc_u64 s[4:5], s[18:19], -1
	s_mov_b32 s20, 0
	s_mov_b64 s[2:3], s[4:5]
                                        ; implicit-def: $sgpr17
	s_delay_alu instid0(VALU_DEP_2) | instskip(NEXT) | instid1(VALU_DEP_2)
	v_lshl_add_u64 v[22:23], v[22:23], 1, s[8:9]
	v_lshl_add_u64 v[24:25], v[24:25], 1, s[8:9]
	s_delay_alu instid0(VALU_DEP_2)
	v_mov_b64_e32 v[26:27], v[22:23]
.LBB1329_88:                            ; =>This Inner Loop Header: Depth=1
	global_load_u16 v28, v[26:27], off
	global_load_u16 v29, v[24:25], off
	s_cmp_eq_u64 s[2:3], 0
	s_add_nc_u64 s[22:23], s[2:3], -1
	s_cselect_b32 s3, -1, 0
	s_wait_xcnt 0x1
	v_add_nc_u64_e32 v[26:27], 2, v[26:27]
	s_wait_xcnt 0x0
	v_add_nc_u64_e32 v[24:25], 2, v[24:25]
	s_wait_loadcnt 0x0
	v_cmp_neq_f16_e32 vcc_lo, v28, v29
	v_cmp_eq_f16_e64 s2, v28, v29
	s_or_b32 s3, vcc_lo, s3
	s_delay_alu instid0(SALU_CYCLE_1) | instskip(NEXT) | instid1(SALU_CYCLE_1)
	s_and_b32 s3, exec_lo, s3
	s_or_b32 s20, s3, s20
	s_and_not1_b32 s17, s17, exec_lo
	s_and_b32 s21, s2, exec_lo
	s_mov_b64 s[2:3], s[22:23]
	s_or_b32 s17, s17, s21
	s_and_not1_b32 exec_lo, exec_lo, s20
	s_cbranch_execnz .LBB1329_88
; %bb.89:
	s_or_b32 exec_lo, exec_lo, s20
	v_mul_u64_e32 v[24:25], s[18:19], v[10:11]
	s_mov_b32 s21, 0
	s_mov_b64 s[2:3], s[4:5]
                                        ; implicit-def: $sgpr20
	s_delay_alu instid0(VALU_DEP_1) | instskip(NEXT) | instid1(VALU_DEP_1)
	v_lshl_add_u64 v[24:25], v[24:25], 1, s[8:9]
	v_mov_b64_e32 v[26:27], v[24:25]
.LBB1329_90:                            ; =>This Inner Loop Header: Depth=1
	global_load_u16 v28, v[26:27], off
	global_load_u16 v29, v[22:23], off
	s_cmp_eq_u64 s[2:3], 0
	s_add_nc_u64 s[22:23], s[2:3], -1
	s_cselect_b32 s3, -1, 0
	s_wait_xcnt 0x1
	v_add_nc_u64_e32 v[26:27], 2, v[26:27]
	s_wait_xcnt 0x0
	v_add_nc_u64_e32 v[22:23], 2, v[22:23]
	s_wait_loadcnt 0x0
	v_cmp_neq_f16_e32 vcc_lo, v28, v29
	v_cmp_eq_f16_e64 s2, v28, v29
	s_or_b32 s3, vcc_lo, s3
	s_delay_alu instid0(SALU_CYCLE_1) | instskip(NEXT) | instid1(SALU_CYCLE_1)
	s_and_b32 s3, exec_lo, s3
	s_or_b32 s21, s3, s21
	s_and_not1_b32 s20, s20, exec_lo
	s_and_b32 s29, s2, exec_lo
	s_mov_b64 s[2:3], s[22:23]
	s_or_b32 s20, s20, s29
	s_and_not1_b32 exec_lo, exec_lo, s21
	s_cbranch_execnz .LBB1329_90
; %bb.91:
	s_or_b32 exec_lo, exec_lo, s21
	v_mul_u64_e32 v[22:23], s[18:19], v[16:17]
	s_mov_b32 s22, 0
	s_mov_b64 s[2:3], s[4:5]
                                        ; implicit-def: $sgpr21
	s_delay_alu instid0(VALU_DEP_1) | instskip(NEXT) | instid1(VALU_DEP_1)
	v_lshl_add_u64 v[22:23], v[22:23], 1, s[8:9]
	v_mov_b64_e32 v[26:27], v[22:23]
.LBB1329_92:                            ; =>This Inner Loop Header: Depth=1
	global_load_u16 v28, v[26:27], off
	global_load_u16 v29, v[24:25], off
	s_cmp_eq_u64 s[2:3], 0
	s_add_nc_u64 s[30:31], s[2:3], -1
	s_cselect_b32 s3, -1, 0
	s_wait_xcnt 0x1
	v_add_nc_u64_e32 v[26:27], 2, v[26:27]
	s_wait_xcnt 0x0
	v_add_nc_u64_e32 v[24:25], 2, v[24:25]
	s_wait_loadcnt 0x0
	v_cmp_neq_f16_e32 vcc_lo, v28, v29
	v_cmp_eq_f16_e64 s2, v28, v29
	s_or_b32 s3, vcc_lo, s3
	s_delay_alu instid0(SALU_CYCLE_1) | instskip(NEXT) | instid1(SALU_CYCLE_1)
	s_and_b32 s3, exec_lo, s3
	s_or_b32 s22, s3, s22
	s_and_not1_b32 s21, s21, exec_lo
	s_and_b32 s23, s2, exec_lo
	s_mov_b64 s[2:3], s[30:31]
	s_or_b32 s21, s21, s23
	s_and_not1_b32 exec_lo, exec_lo, s22
	s_cbranch_execnz .LBB1329_92
; %bb.93:
	s_or_b32 exec_lo, exec_lo, s22
	v_mul_u64_e32 v[24:25], s[18:19], v[14:15]
	s_mov_b32 s22, 0
                                        ; implicit-def: $sgpr3
	s_delay_alu instid0(VALU_DEP_1)
	v_lshl_add_u64 v[24:25], v[24:25], 1, s[8:9]
.LBB1329_94:                            ; =>This Inner Loop Header: Depth=1
	global_load_u16 v26, v[24:25], off
	global_load_u16 v27, v[22:23], off
	s_cmp_eq_u64 s[4:5], 0
	s_add_nc_u64 s[30:31], s[4:5], -1
	s_cselect_b32 s4, -1, 0
	s_wait_xcnt 0x1
	v_add_nc_u64_e32 v[24:25], 2, v[24:25]
	s_wait_xcnt 0x0
	v_add_nc_u64_e32 v[22:23], 2, v[22:23]
	s_wait_loadcnt 0x0
	v_cmp_neq_f16_e32 vcc_lo, v26, v27
	v_cmp_eq_f16_e64 s2, v26, v27
	s_or_b32 s4, vcc_lo, s4
	s_delay_alu instid0(SALU_CYCLE_1) | instskip(NEXT) | instid1(SALU_CYCLE_1)
	s_and_b32 s4, exec_lo, s4
	s_or_b32 s22, s4, s22
	s_and_not1_b32 s3, s3, exec_lo
	s_and_b32 s2, s2, exec_lo
	s_mov_b64 s[4:5], s[30:31]
	s_or_b32 s3, s3, s2
	s_and_not1_b32 exec_lo, exec_lo, s22
	s_cbranch_execnz .LBB1329_94
; %bb.95:
	s_or_b32 exec_lo, exec_lo, s22
	s_xor_b32 s2, s20, -1
	s_delay_alu instid0(SALU_CYCLE_1) | instskip(SKIP_1) | instid1(SALU_CYCLE_1)
	v_cndmask_b32_e64 v22, 0, 1, s2
	s_xor_b32 s2, s21, -1
	v_cndmask_b32_e64 v23, 0, 1, s2
	s_xor_b32 s2, s17, -1
	s_delay_alu instid0(VALU_DEP_2) | instskip(SKIP_2) | instid1(VALU_DEP_2)
	v_lshlrev_b16 v22, 8, v22
	v_cndmask_b32_e64 v35, 0, 1, s2
	s_xor_b32 s2, s3, -1
	v_lshrrev_b32_e32 v22, 8, v22
	s_delay_alu instid0(VALU_DEP_1) | instskip(NEXT) | instid1(VALU_DEP_1)
	v_lshlrev_b16 v22, 8, v22
	v_or_b32_e32 v22, v23, v22
	s_delay_alu instid0(VALU_DEP_1)
	v_lshlrev_b32_e32 v22, 16, v22
	s_branch .LBB1329_98
.LBB1329_96:
	s_wait_kmcnt 0x0
                                        ; implicit-def: $sgpr2
                                        ; implicit-def: $vgpr35
                                        ; implicit-def: $vgpr25
                                        ; implicit-def: $vgpr24
                                        ; implicit-def: $vgpr23
                                        ; implicit-def: $vgpr36
                                        ; implicit-def: $vgpr22
	s_cbranch_execnz .LBB1329_105
	s_branch .LBB1329_138
.LBB1329_97:
	v_dual_mov_b32 v22, 0 :: v_dual_mov_b32 v35, 0
	s_mov_b32 s2, 0
.LBB1329_98:
	s_delay_alu instid0(VALU_DEP_1)
	v_dual_lshrrev_b32 v36, 16, v22 :: v_dual_lshrrev_b32 v22, 24, v22
	v_cndmask_b32_e64 v23, 0, 1, s2
	v_mov_b32_e32 v24, 1
	s_wait_kmcnt 0x0
	s_mov_b32 s4, 0
	s_wait_dscnt 0x0
	s_barrier_signal -1
	s_barrier_wait -1
                                        ; implicit-def: $sgpr2
                                        ; implicit-def: $vgpr25
	s_mov_b32 s3, exec_lo
	v_cmpx_ne_u32_e32 0, v0
	s_xor_b32 s5, exec_lo, s3
	s_cbranch_execz .LBB1329_104
; %bb.99:
	v_lshlrev_b16 v25, 8, v22
	v_lshlrev_b16 v26, 8, v23
	s_and_not1_b32 vcc_lo, exec_lo, s7
	s_mov_b32 s2, 0
	s_delay_alu instid0(VALU_DEP_2) | instskip(NEXT) | instid1(VALU_DEP_1)
	v_bitop3_b16 v25, v36, v25, 0xff bitop3:0xec
	v_dual_lshlrev_b32 v25, 16, v25 :: v_dual_bitop2_b32 v26, 1, v26 bitop3:0x54
	s_delay_alu instid0(VALU_DEP_1) | instskip(NEXT) | instid1(VALU_DEP_1)
	v_and_b32_e32 v26, 0xffff, v26
	v_or_b32_e32 v25, v26, v25
	s_cbranch_vccnz .LBB1329_103
; %bb.100:
	v_add_nc_u32_e32 v26, -8, v31
	v_mul_u64_e32 v[28:29], s[18:19], v[14:15]
	s_add_nc_u64 s[2:3], s[18:19], -1
	s_mov_b32 s17, 0
                                        ; implicit-def: $sgpr20
	ds_load_b64 v[26:27], v26
	s_wait_dscnt 0x0
	v_mul_u64_e32 v[26:27], s[18:19], v[26:27]
	v_lshl_add_u64 v[28:29], v[28:29], 1, s[8:9]
	s_delay_alu instid0(VALU_DEP_2)
	v_lshl_add_u64 v[26:27], v[26:27], 1, s[8:9]
.LBB1329_101:                           ; =>This Inner Loop Header: Depth=1
	global_load_u16 v32, v[26:27], off
	global_load_u16 v33, v[28:29], off
	s_cmp_eq_u64 s[2:3], 0
	s_add_nc_u64 s[22:23], s[2:3], -1
	s_cselect_b32 s3, -1, 0
	s_wait_xcnt 0x1
	v_add_nc_u64_e32 v[26:27], 2, v[26:27]
	s_wait_xcnt 0x0
	v_add_nc_u64_e32 v[28:29], 2, v[28:29]
	s_wait_loadcnt 0x0
	v_cmp_neq_f16_e32 vcc_lo, v32, v33
	v_cmp_eq_f16_e64 s2, v32, v33
	s_or_b32 s3, vcc_lo, s3
	s_delay_alu instid0(SALU_CYCLE_1) | instskip(NEXT) | instid1(SALU_CYCLE_1)
	s_and_b32 s3, exec_lo, s3
	s_or_b32 s17, s3, s17
	s_and_not1_b32 s20, s20, exec_lo
	s_and_b32 s21, s2, exec_lo
	s_mov_b64 s[2:3], s[22:23]
	s_or_b32 s20, s20, s21
	s_and_not1_b32 exec_lo, exec_lo, s17
	s_cbranch_execnz .LBB1329_101
; %bb.102:
	s_or_b32 exec_lo, exec_lo, s17
	s_xor_b32 s2, s20, -1
.LBB1329_103:
	s_delay_alu instid0(VALU_DEP_1)
	v_perm_b32 v25, v25, v25, 0x3020104
	s_or_b32 s6, s6, exec_lo
.LBB1329_104:
	s_or_b32 exec_lo, exec_lo, s5
	s_delay_alu instid0(SALU_CYCLE_1)
	s_and_b32 vcc_lo, exec_lo, s4
	s_cbranch_vccz .LBB1329_138
.LBB1329_105:
	v_add_nc_u32_e32 v22, 4, v30
	s_mov_b32 s4, 0
	s_mov_b32 s5, 0
	s_mov_b32 s17, exec_lo
	s_delay_alu instid0(VALU_DEP_1)
	v_cmpx_gt_u32_e64 s27, v22
	s_cbranch_execz .LBB1329_111
; %bb.106:
	s_and_not1_b32 vcc_lo, exec_lo, s7
	s_mov_b32 s2, 0
	s_cbranch_vccnz .LBB1329_110
; %bb.107:
	v_mul_u64_e32 v[22:23], s[18:19], v[12:13]
	v_mul_u64_e32 v[24:25], s[18:19], v[20:21]
	s_add_nc_u64 s[2:3], s[18:19], -1
                                        ; implicit-def: $sgpr20
	s_delay_alu instid0(VALU_DEP_2) | instskip(NEXT) | instid1(VALU_DEP_2)
	v_lshl_add_u64 v[22:23], v[22:23], 1, s[8:9]
	v_lshl_add_u64 v[24:25], v[24:25], 1, s[8:9]
.LBB1329_108:                           ; =>This Inner Loop Header: Depth=1
	global_load_u16 v26, v[22:23], off
	global_load_u16 v27, v[24:25], off
	s_cmp_eq_u64 s[2:3], 0
	s_add_nc_u64 s[22:23], s[2:3], -1
	s_cselect_b32 s3, -1, 0
	s_wait_xcnt 0x1
	v_add_nc_u64_e32 v[22:23], 2, v[22:23]
	s_wait_xcnt 0x0
	v_add_nc_u64_e32 v[24:25], 2, v[24:25]
	s_wait_loadcnt 0x0
	v_cmp_neq_f16_e32 vcc_lo, v26, v27
	v_cmp_eq_f16_e64 s2, v26, v27
	s_or_b32 s3, vcc_lo, s3
	s_delay_alu instid0(SALU_CYCLE_1) | instskip(NEXT) | instid1(SALU_CYCLE_1)
	s_and_b32 s3, exec_lo, s3
	s_or_b32 s5, s3, s5
	s_and_not1_b32 s20, s20, exec_lo
	s_and_b32 s21, s2, exec_lo
	s_mov_b64 s[2:3], s[22:23]
	s_or_b32 s20, s20, s21
	s_and_not1_b32 exec_lo, exec_lo, s5
	s_cbranch_execnz .LBB1329_108
; %bb.109:
	s_or_b32 exec_lo, exec_lo, s5
	s_xor_b32 s2, s20, -1
.LBB1329_110:
	s_delay_alu instid0(SALU_CYCLE_1)
	s_and_b32 s5, s2, exec_lo
.LBB1329_111:
	s_or_b32 exec_lo, exec_lo, s17
	v_add_nc_u32_e32 v22, 3, v30
	s_mov_b32 s17, exec_lo
	s_delay_alu instid0(VALU_DEP_1)
	v_cmpx_gt_u32_e64 s27, v22
	s_cbranch_execz .LBB1329_117
; %bb.112:
	s_and_not1_b32 vcc_lo, exec_lo, s7
	s_mov_b32 s2, 0
	s_cbranch_vccnz .LBB1329_116
; %bb.113:
	v_mul_u64_e32 v[22:23], s[18:19], v[10:11]
	v_mul_u64_e32 v[24:25], s[18:19], v[12:13]
	s_add_nc_u64 s[2:3], s[18:19], -1
	s_mov_b32 s4, 0
                                        ; implicit-def: $sgpr20
	s_delay_alu instid0(VALU_DEP_2) | instskip(NEXT) | instid1(VALU_DEP_2)
	v_lshl_add_u64 v[22:23], v[22:23], 1, s[8:9]
	v_lshl_add_u64 v[24:25], v[24:25], 1, s[8:9]
.LBB1329_114:                           ; =>This Inner Loop Header: Depth=1
	global_load_u16 v26, v[22:23], off
	global_load_u16 v27, v[24:25], off
	s_cmp_eq_u64 s[2:3], 0
	s_add_nc_u64 s[22:23], s[2:3], -1
	s_cselect_b32 s3, -1, 0
	s_wait_xcnt 0x1
	v_add_nc_u64_e32 v[22:23], 2, v[22:23]
	s_wait_xcnt 0x0
	v_add_nc_u64_e32 v[24:25], 2, v[24:25]
	s_wait_loadcnt 0x0
	v_cmp_neq_f16_e32 vcc_lo, v26, v27
	v_cmp_eq_f16_e64 s2, v26, v27
	s_or_b32 s3, vcc_lo, s3
	s_delay_alu instid0(SALU_CYCLE_1) | instskip(NEXT) | instid1(SALU_CYCLE_1)
	s_and_b32 s3, exec_lo, s3
	s_or_b32 s4, s3, s4
	s_and_not1_b32 s20, s20, exec_lo
	s_and_b32 s21, s2, exec_lo
	s_mov_b64 s[2:3], s[22:23]
	s_or_b32 s20, s20, s21
	s_and_not1_b32 exec_lo, exec_lo, s4
	s_cbranch_execnz .LBB1329_114
; %bb.115:
	s_or_b32 exec_lo, exec_lo, s4
	s_xor_b32 s2, s20, -1
.LBB1329_116:
	s_delay_alu instid0(SALU_CYCLE_1)
	s_and_b32 s4, s2, exec_lo
.LBB1329_117:
	s_or_b32 exec_lo, exec_lo, s17
	v_add_nc_u32_e32 v22, 2, v30
	s_mov_b32 s17, 0
	s_mov_b32 s20, 0
	s_mov_b32 s21, exec_lo
	s_delay_alu instid0(VALU_DEP_1)
	v_cmpx_gt_u32_e64 s27, v22
	s_cbranch_execz .LBB1329_123
; %bb.118:
	s_and_not1_b32 vcc_lo, exec_lo, s7
	s_mov_b32 s2, 0
	s_cbranch_vccnz .LBB1329_122
; %bb.119:
	v_mul_u64_e32 v[22:23], s[18:19], v[16:17]
	v_mul_u64_e32 v[24:25], s[18:19], v[10:11]
	s_add_nc_u64 s[2:3], s[18:19], -1
                                        ; implicit-def: $sgpr22
	s_delay_alu instid0(VALU_DEP_2) | instskip(NEXT) | instid1(VALU_DEP_2)
	v_lshl_add_u64 v[22:23], v[22:23], 1, s[8:9]
	v_lshl_add_u64 v[24:25], v[24:25], 1, s[8:9]
.LBB1329_120:                           ; =>This Inner Loop Header: Depth=1
	global_load_u16 v26, v[22:23], off
	global_load_u16 v27, v[24:25], off
	s_cmp_eq_u64 s[2:3], 0
	s_add_nc_u64 s[30:31], s[2:3], -1
	s_cselect_b32 s3, -1, 0
	s_wait_xcnt 0x1
	v_add_nc_u64_e32 v[22:23], 2, v[22:23]
	s_wait_xcnt 0x0
	v_add_nc_u64_e32 v[24:25], 2, v[24:25]
	s_wait_loadcnt 0x0
	v_cmp_neq_f16_e32 vcc_lo, v26, v27
	v_cmp_eq_f16_e64 s2, v26, v27
	s_or_b32 s3, vcc_lo, s3
	s_delay_alu instid0(SALU_CYCLE_1) | instskip(NEXT) | instid1(SALU_CYCLE_1)
	s_and_b32 s3, exec_lo, s3
	s_or_b32 s20, s3, s20
	s_and_not1_b32 s22, s22, exec_lo
	s_and_b32 s23, s2, exec_lo
	s_mov_b64 s[2:3], s[30:31]
	s_or_b32 s22, s22, s23
	s_and_not1_b32 exec_lo, exec_lo, s20
	s_cbranch_execnz .LBB1329_120
; %bb.121:
	s_or_b32 exec_lo, exec_lo, s20
	s_xor_b32 s2, s22, -1
.LBB1329_122:
	s_delay_alu instid0(SALU_CYCLE_1)
	s_and_b32 s20, s2, exec_lo
.LBB1329_123:
	s_or_b32 exec_lo, exec_lo, s21
	v_add_nc_u32_e32 v22, 1, v30
	s_mov_b32 s21, exec_lo
	s_delay_alu instid0(VALU_DEP_1)
	v_cmpx_gt_u32_e64 s27, v22
	s_cbranch_execz .LBB1329_129
; %bb.124:
	s_and_not1_b32 vcc_lo, exec_lo, s7
	s_mov_b32 s2, 0
	s_cbranch_vccnz .LBB1329_128
; %bb.125:
	v_mul_u64_e32 v[22:23], s[18:19], v[14:15]
	v_mul_u64_e32 v[24:25], s[18:19], v[16:17]
	s_add_nc_u64 s[2:3], s[18:19], -1
	s_mov_b32 s17, 0
                                        ; implicit-def: $sgpr22
	s_delay_alu instid0(VALU_DEP_2) | instskip(NEXT) | instid1(VALU_DEP_2)
	v_lshl_add_u64 v[22:23], v[22:23], 1, s[8:9]
	v_lshl_add_u64 v[24:25], v[24:25], 1, s[8:9]
.LBB1329_126:                           ; =>This Inner Loop Header: Depth=1
	global_load_u16 v26, v[22:23], off
	global_load_u16 v27, v[24:25], off
	s_cmp_eq_u64 s[2:3], 0
	s_add_nc_u64 s[30:31], s[2:3], -1
	s_cselect_b32 s3, -1, 0
	s_wait_xcnt 0x1
	v_add_nc_u64_e32 v[22:23], 2, v[22:23]
	s_wait_xcnt 0x0
	v_add_nc_u64_e32 v[24:25], 2, v[24:25]
	s_wait_loadcnt 0x0
	v_cmp_neq_f16_e32 vcc_lo, v26, v27
	v_cmp_eq_f16_e64 s2, v26, v27
	s_or_b32 s3, vcc_lo, s3
	s_delay_alu instid0(SALU_CYCLE_1) | instskip(NEXT) | instid1(SALU_CYCLE_1)
	s_and_b32 s3, exec_lo, s3
	s_or_b32 s17, s3, s17
	s_and_not1_b32 s22, s22, exec_lo
	s_and_b32 s23, s2, exec_lo
	s_mov_b64 s[2:3], s[30:31]
	s_or_b32 s22, s22, s23
	s_and_not1_b32 exec_lo, exec_lo, s17
	s_cbranch_execnz .LBB1329_126
; %bb.127:
	s_or_b32 exec_lo, exec_lo, s17
	s_xor_b32 s2, s22, -1
.LBB1329_128:
	s_delay_alu instid0(SALU_CYCLE_1)
	s_and_b32 s17, s2, exec_lo
.LBB1329_129:
	s_or_b32 exec_lo, exec_lo, s21
	v_cndmask_b32_e64 v35, 0, 1, s5
	v_cndmask_b32_e64 v36, 0, 1, s20
	;; [unrolled: 1-line block ×4, first 2 shown]
	v_mov_b32_e32 v24, 1
	s_mov_b32 s2, 0
	s_mov_b32 s4, exec_lo
	s_wait_dscnt 0x0
	s_barrier_signal -1
	s_barrier_wait -1
                                        ; implicit-def: $vgpr25
	v_cmpx_ne_u32_e32 0, v0
	s_cbranch_execz .LBB1329_137
; %bb.130:
	v_lshlrev_b16 v25, 8, v23
	v_lshlrev_b16 v26, 8, v22
	s_mov_b32 s5, exec_lo
	s_delay_alu instid0(VALU_DEP_1) | instskip(NEXT) | instid1(VALU_DEP_1)
	v_or_b32_e32 v26, v36, v26
	v_dual_lshlrev_b32 v26, 16, v26 :: v_dual_bitop2_b32 v25, 1, v25 bitop3:0x54
	s_delay_alu instid0(VALU_DEP_1) | instskip(NEXT) | instid1(VALU_DEP_1)
	v_and_b32_e32 v25, 0xffff, v25
	v_or_b32_e32 v25, v25, v26
	v_cmpx_gt_u32_e64 s27, v30
	s_cbranch_execz .LBB1329_136
; %bb.131:
	s_and_not1_b32 vcc_lo, exec_lo, s7
	s_cbranch_vccnz .LBB1329_135
; %bb.132:
	v_add_nc_u32_e32 v26, -8, v31
	v_mul_u64_e32 v[28:29], s[18:19], v[14:15]
	s_add_nc_u64 s[2:3], s[18:19], -1
	s_mov_b32 s7, 0
	ds_load_b64 v[26:27], v26
	s_wait_dscnt 0x0
	v_mul_u64_e32 v[26:27], s[18:19], v[26:27]
	v_lshl_add_u64 v[28:29], v[28:29], 1, s[8:9]
	s_delay_alu instid0(VALU_DEP_2)
	v_lshl_add_u64 v[26:27], v[26:27], 1, s[8:9]
                                        ; implicit-def: $sgpr8
.LBB1329_133:                           ; =>This Inner Loop Header: Depth=1
	global_load_u16 v31, v[26:27], off
	global_load_u16 v32, v[28:29], off
	s_cmp_eq_u64 s[2:3], 0
	s_add_nc_u64 s[18:19], s[2:3], -1
	s_cselect_b32 s3, -1, 0
	s_wait_xcnt 0x1
	v_add_nc_u64_e32 v[26:27], 2, v[26:27]
	s_wait_xcnt 0x0
	v_add_nc_u64_e32 v[28:29], 2, v[28:29]
	s_wait_loadcnt 0x0
	v_cmp_neq_f16_e32 vcc_lo, v31, v32
	v_cmp_eq_f16_e64 s2, v31, v32
	s_or_b32 s3, vcc_lo, s3
	s_delay_alu instid0(SALU_CYCLE_1) | instskip(NEXT) | instid1(SALU_CYCLE_1)
	s_and_b32 s3, exec_lo, s3
	s_or_b32 s7, s3, s7
	s_and_not1_b32 s8, s8, exec_lo
	s_and_b32 s9, s2, exec_lo
	s_mov_b64 s[2:3], s[18:19]
	s_or_b32 s8, s8, s9
	s_and_not1_b32 exec_lo, exec_lo, s7
	s_cbranch_execnz .LBB1329_133
; %bb.134:
	s_or_b32 exec_lo, exec_lo, s7
	s_xor_b32 s2, s8, -1
.LBB1329_135:
	s_delay_alu instid0(SALU_CYCLE_1)
	s_and_b32 s2, s2, exec_lo
.LBB1329_136:
	s_or_b32 exec_lo, exec_lo, s5
	s_delay_alu instid0(VALU_DEP_2)
	v_perm_b32 v25, v25, v25, 0x3020104
	s_or_b32 s6, s6, exec_lo
.LBB1329_137:
	s_or_b32 exec_lo, exec_lo, s4
.LBB1329_138:
	s_and_saveexec_b32 s3, s6
	s_cbranch_execz .LBB1329_140
; %bb.139:
	s_wait_dscnt 0x0
	v_dual_lshrrev_b32 v22, 24, v25 :: v_dual_lshrrev_b32 v36, 16, v25
	v_lshrrev_b32_e32 v23, 8, v25
	v_cndmask_b32_e64 v24, 0, 1, s2
.LBB1329_140:
	s_or_b32 exec_lo, exec_lo, s3
	s_delay_alu instid0(SALU_CYCLE_1)
	s_and_not1_b32 vcc_lo, exec_lo, s28
	s_cbranch_vccnz .LBB1329_144
; %bb.141:
	s_wait_dscnt 0x0
	v_perm_b32 v23, v24, v23, 0xc0c0004
	v_perm_b32 v22, v36, v22, 0xc0c0004
	v_cmp_gt_u32_e32 vcc_lo, s27, v30
	v_dual_add_nc_u32 v24, 1, v30 :: v_dual_add_nc_u32 v26, 4, v30
	v_and_b32_e32 v35, 0xff, v35
	s_delay_alu instid0(VALU_DEP_4) | instskip(SKIP_1) | instid1(VALU_DEP_2)
	v_lshl_or_b32 v22, v22, 16, v23
	s_mov_b32 s2, exec_lo
	v_and_b32_e32 v25, 0xffff, v35
	s_delay_alu instid0(VALU_DEP_2) | instskip(SKIP_2) | instid1(VALU_DEP_3)
	v_cndmask_b32_e32 v23, 0, v22, vcc_lo
	v_cmp_gt_u32_e32 vcc_lo, s27, v24
	v_add_nc_u32_e32 v24, 2, v30
	v_and_b32_e32 v23, 0xff, v23
	s_delay_alu instid0(VALU_DEP_1) | instskip(NEXT) | instid1(VALU_DEP_3)
	v_cndmask_b32_e32 v23, v23, v22, vcc_lo
	v_cmp_gt_u32_e32 vcc_lo, s27, v24
	v_add_nc_u32_e32 v24, 3, v30
	s_delay_alu instid0(VALU_DEP_3) | instskip(NEXT) | instid1(VALU_DEP_1)
	v_and_b32_e32 v23, 0xffff, v23
	v_cndmask_b32_e32 v23, v23, v22, vcc_lo
	s_delay_alu instid0(VALU_DEP_3) | instskip(NEXT) | instid1(VALU_DEP_2)
	v_cmp_gt_u32_e32 vcc_lo, s27, v24
	v_and_b32_e32 v23, 0xffffff, v23
	s_delay_alu instid0(VALU_DEP_1) | instskip(NEXT) | instid1(VALU_DEP_1)
	v_cndmask_b32_e32 v24, v23, v22, vcc_lo
	v_lshrrev_b64 v[22:23], 24, v[24:25]
	v_dual_lshrrev_b32 v36, 16, v24 :: v_dual_lshrrev_b32 v23, 8, v24
	v_cmpx_le_u32_e64 s27, v26
; %bb.142:
	v_mov_b32_e32 v35, 0
; %bb.143:
	s_or_b32 exec_lo, exec_lo, s2
.LBB1329_144:
	s_delay_alu instid0(VALU_DEP_1)
	v_and_b32_e32 v25, 0xff, v24
	s_wait_dscnt 0x0
	v_and_b32_e32 v37, 0xff, v23
	v_and_b32_e32 v38, 0xff, v36
	v_mbcnt_lo_u32_b32 v40, -1, 0
	v_and_b32_e32 v39, 0xff, v22
	v_and_b32_e32 v26, 0xff, v35
	s_wait_kmcnt 0x0
	v_readfirstlane_b32 s8, v0
	v_add3_u32 v27, v37, v25, v38
	v_and_b32_e32 v28, 15, v40
	s_and_b32 vcc_lo, exec_lo, s16
	v_lshrrev_b32_e32 v41, 5, v0
	s_mov_b32 s9, -1
	v_add3_u32 v42, v27, v39, v26
	v_and_b32_e32 v26, 16, v40
	v_or_b32_e32 v27, 31, v0
	v_cmp_eq_u32_e64 s4, 0, v28
	v_cmp_lt_u32_e64 s6, 1, v28
	v_cmp_lt_u32_e64 s7, 3, v28
	;; [unrolled: 1-line block ×3, first 2 shown]
	v_cmp_eq_u32_e64 s3, 0, v26
	v_cmp_eq_u32_e64 s2, v0, v27
	s_barrier_signal -1
	s_barrier_wait -1
                                        ; implicit-def: $vgpr28
                                        ; implicit-def: $vgpr29
                                        ; implicit-def: $vgpr30
                                        ; implicit-def: $vgpr31
                                        ; implicit-def: $vgpr32
                                        ; implicit-def: $vgpr26
	s_cbranch_vccz .LBB1329_171
; %bb.145:
	v_mov_b32_dpp v26, v42 row_shr:1 row_mask:0xf bank_mask:0xf
	s_delay_alu instid0(VALU_DEP_1) | instskip(NEXT) | instid1(VALU_DEP_1)
	v_cndmask_b32_e64 v26, v26, 0, s4
	v_add_nc_u32_e32 v26, v26, v42
	s_delay_alu instid0(VALU_DEP_1) | instskip(NEXT) | instid1(VALU_DEP_1)
	v_mov_b32_dpp v27, v26 row_shr:2 row_mask:0xf bank_mask:0xf
	v_cndmask_b32_e64 v27, 0, v27, s6
	s_delay_alu instid0(VALU_DEP_1) | instskip(NEXT) | instid1(VALU_DEP_1)
	v_add_nc_u32_e32 v26, v26, v27
	v_mov_b32_dpp v27, v26 row_shr:4 row_mask:0xf bank_mask:0xf
	s_delay_alu instid0(VALU_DEP_1) | instskip(NEXT) | instid1(VALU_DEP_1)
	v_cndmask_b32_e64 v27, 0, v27, s7
	v_add_nc_u32_e32 v26, v26, v27
	s_delay_alu instid0(VALU_DEP_1) | instskip(NEXT) | instid1(VALU_DEP_1)
	v_mov_b32_dpp v27, v26 row_shr:8 row_mask:0xf bank_mask:0xf
	v_cndmask_b32_e64 v27, 0, v27, s5
	s_delay_alu instid0(VALU_DEP_1) | instskip(SKIP_3) | instid1(VALU_DEP_1)
	v_add_nc_u32_e32 v26, v26, v27
	ds_swizzle_b32 v27, v26 offset:swizzle(BROADCAST,32,15)
	s_wait_dscnt 0x0
	v_cndmask_b32_e64 v27, v27, 0, s3
	v_add_nc_u32_e32 v26, v26, v27
	s_and_saveexec_b32 s8, s2
; %bb.146:
	v_lshlrev_b32_e32 v27, 2, v41
	ds_store_b32 v27, v26
; %bb.147:
	s_or_b32 exec_lo, exec_lo, s8
	s_delay_alu instid0(SALU_CYCLE_1)
	s_mov_b32 s8, exec_lo
	s_wait_dscnt 0x0
	s_barrier_signal -1
	s_barrier_wait -1
	v_cmpx_gt_u32_e32 4, v0
	s_cbranch_execz .LBB1329_149
; %bb.148:
	v_and_b32_e32 v29, 3, v40
	s_delay_alu instid0(VALU_DEP_1) | instskip(SKIP_4) | instid1(VALU_DEP_1)
	v_cmp_ne_u32_e32 vcc_lo, 0, v29
	v_lshlrev_b32_e32 v27, 2, v0
	ds_load_b32 v28, v27
	s_wait_dscnt 0x0
	v_mov_b32_dpp v30, v28 row_shr:1 row_mask:0xf bank_mask:0xf
	v_cndmask_b32_e32 v30, 0, v30, vcc_lo
	v_cmp_lt_u32_e32 vcc_lo, 1, v29
	s_delay_alu instid0(VALU_DEP_2) | instskip(NEXT) | instid1(VALU_DEP_1)
	v_add_nc_u32_e32 v28, v30, v28
	v_mov_b32_dpp v30, v28 row_shr:2 row_mask:0xf bank_mask:0xf
	s_delay_alu instid0(VALU_DEP_1) | instskip(NEXT) | instid1(VALU_DEP_1)
	v_cndmask_b32_e32 v29, 0, v30, vcc_lo
	v_add_nc_u32_e32 v28, v28, v29
	ds_store_b32 v27, v28
.LBB1329_149:
	s_or_b32 exec_lo, exec_lo, s8
	s_delay_alu instid0(SALU_CYCLE_1)
	s_mov_b32 s9, exec_lo
	v_cmp_gt_u32_e32 vcc_lo, 32, v0
	s_wait_dscnt 0x0
	s_barrier_signal -1
	s_barrier_wait -1
                                        ; implicit-def: $vgpr43
	v_cmpx_lt_u32_e32 31, v0
	s_cbranch_execz .LBB1329_151
; %bb.150:
	v_lshl_add_u32 v27, v41, 2, -4
	ds_load_b32 v43, v27
	s_wait_dscnt 0x0
	v_add_nc_u32_e32 v26, v43, v26
.LBB1329_151:
	s_or_b32 exec_lo, exec_lo, s9
	v_sub_co_u32 v27, s8, v40, 1
	s_delay_alu instid0(VALU_DEP_1) | instskip(NEXT) | instid1(VALU_DEP_1)
	v_cmp_gt_i32_e64 s9, 0, v27
	v_cndmask_b32_e64 v27, v27, v40, s9
	s_delay_alu instid0(VALU_DEP_1)
	v_lshlrev_b32_e32 v27, 2, v27
	ds_bpermute_b32 v44, v27, v26
	s_and_saveexec_b32 s9, vcc_lo
	s_cbranch_execz .LBB1329_170
; %bb.152:
	v_mov_b32_e32 v33, 0
	ds_load_b32 v26, v33 offset:12
	s_and_saveexec_b32 s16, s8
	s_cbranch_execz .LBB1329_154
; %bb.153:
	s_add_co_i32 s17, s26, 32
	s_delay_alu instid0(SALU_CYCLE_1)
	v_dual_mov_b32 v27, 1 :: v_dual_mov_b32 v28, s17
	s_wait_dscnt 0x0
	global_store_b64 v28, v[26:27], s[10:11] scale_offset scope:SCOPE_DEV
.LBB1329_154:
	s_wait_xcnt 0x0
	s_or_b32 exec_lo, exec_lo, s16
	v_xad_u32 v28, v40, -1, s26
	s_mov_b32 s17, 0
	s_mov_b32 s16, exec_lo
	s_delay_alu instid0(VALU_DEP_1) | instskip(SKIP_4) | instid1(VALU_DEP_1)
	v_add_nc_u32_e32 v32, 32, v28
	global_load_b64 v[30:31], v32, s[10:11] scale_offset scope:SCOPE_DEV
	s_wait_loadcnt 0x0
	v_and_b32_e32 v27, 0xff, v31
	s_wait_xcnt 0x0
	v_cmpx_eq_u16_e32 0, v27
	s_cbranch_execz .LBB1329_158
; %bb.155:
	v_lshl_add_u64 v[32:33], v[32:33], 3, s[10:11]
.LBB1329_156:                           ; =>This Inner Loop Header: Depth=1
	global_load_b64 v[30:31], v[32:33], off scope:SCOPE_DEV
	s_wait_loadcnt 0x0
	v_and_b32_e32 v27, 0xff, v31
	s_delay_alu instid0(VALU_DEP_1)
	v_cmp_ne_u16_e32 vcc_lo, 0, v27
	s_or_b32 s17, vcc_lo, s17
	s_wait_xcnt 0x0
	s_and_not1_b32 exec_lo, exec_lo, s17
	s_cbranch_execnz .LBB1329_156
; %bb.157:
	s_or_b32 exec_lo, exec_lo, s17
.LBB1329_158:
	s_delay_alu instid0(SALU_CYCLE_1)
	s_or_b32 exec_lo, exec_lo, s16
	v_cmp_ne_u32_e32 vcc_lo, 31, v40
	v_lshlrev_b32_e64 v46, v40, -1
	v_lshl_or_b32 v53, v40, 2, 64
	v_dual_add_nc_u32 v48, 2, v40 :: v_dual_add_nc_u32 v50, 4, v40
	v_add_co_ci_u32_e64 v27, null, 0, v40, vcc_lo
	v_dual_add_nc_u32 v52, 8, v40 :: v_dual_add_nc_u32 v54, 16, v40
	s_delay_alu instid0(VALU_DEP_2)
	v_lshlrev_b32_e32 v45, 2, v27
	v_and_b32_e32 v27, 0xff, v31
	ds_bpermute_b32 v29, v45, v30
	v_cmp_eq_u16_e32 vcc_lo, 2, v27
	v_and_or_b32 v27, vcc_lo, v46, 0x80000000
	v_cmp_gt_u32_e32 vcc_lo, 30, v40
	s_delay_alu instid0(VALU_DEP_2) | instskip(SKIP_1) | instid1(VALU_DEP_2)
	v_ctz_i32_b32_e32 v27, v27
	v_cndmask_b32_e64 v32, 0, 2, vcc_lo
	v_cmp_lt_u32_e32 vcc_lo, v40, v27
	s_delay_alu instid0(VALU_DEP_2) | instskip(SKIP_3) | instid1(VALU_DEP_2)
	v_add_lshl_u32 v47, v32, v40, 2
	s_wait_dscnt 0x0
	v_cndmask_b32_e32 v29, 0, v29, vcc_lo
	v_cmp_gt_u32_e32 vcc_lo, 28, v40
	v_add_nc_u32_e32 v29, v29, v30
	v_cndmask_b32_e64 v32, 0, 4, vcc_lo
	v_cmp_le_u32_e32 vcc_lo, v48, v27
	ds_bpermute_b32 v30, v47, v29
	v_add_lshl_u32 v49, v32, v40, 2
	s_wait_dscnt 0x0
	v_cndmask_b32_e32 v30, 0, v30, vcc_lo
	v_cmp_gt_u32_e32 vcc_lo, 24, v40
	v_cndmask_b32_e64 v32, 0, 8, vcc_lo
	v_cmp_le_u32_e32 vcc_lo, v50, v27
	s_delay_alu instid0(VALU_DEP_4) | instskip(NEXT) | instid1(VALU_DEP_3)
	v_add_nc_u32_e32 v29, v29, v30
	v_add_lshl_u32 v51, v32, v40, 2
	ds_bpermute_b32 v30, v49, v29
	s_wait_dscnt 0x0
	v_cndmask_b32_e32 v30, 0, v30, vcc_lo
	v_cmp_le_u32_e32 vcc_lo, v52, v27
	s_delay_alu instid0(VALU_DEP_2) | instskip(SKIP_4) | instid1(VALU_DEP_2)
	v_add_nc_u32_e32 v29, v29, v30
	ds_bpermute_b32 v30, v51, v29
	s_wait_dscnt 0x0
	v_cndmask_b32_e32 v30, 0, v30, vcc_lo
	v_cmp_le_u32_e32 vcc_lo, v54, v27
	v_add_nc_u32_e32 v29, v29, v30
	ds_bpermute_b32 v30, v53, v29
	s_wait_dscnt 0x0
	v_cndmask_b32_e32 v27, 0, v30, vcc_lo
	s_delay_alu instid0(VALU_DEP_1)
	v_dual_mov_b32 v29, 0 :: v_dual_add_nc_u32 v30, v29, v27
	s_branch .LBB1329_161
.LBB1329_159:                           ;   in Loop: Header=BB1329_161 Depth=1
	s_or_b32 exec_lo, exec_lo, s16
	v_and_b32_e32 v32, 0xff, v31
	ds_bpermute_b32 v33, v45, v30
	v_subrev_nc_u32_e32 v28, 32, v28
	s_mov_b32 s16, 0
	v_cmp_eq_u16_e32 vcc_lo, 2, v32
	v_and_or_b32 v32, vcc_lo, v46, 0x80000000
	s_delay_alu instid0(VALU_DEP_1) | instskip(NEXT) | instid1(VALU_DEP_1)
	v_ctz_i32_b32_e32 v32, v32
	v_cmp_lt_u32_e32 vcc_lo, v40, v32
	s_wait_dscnt 0x0
	v_cndmask_b32_e32 v33, 0, v33, vcc_lo
	v_cmp_le_u32_e32 vcc_lo, v48, v32
	s_delay_alu instid0(VALU_DEP_2) | instskip(SKIP_4) | instid1(VALU_DEP_2)
	v_add_nc_u32_e32 v30, v33, v30
	ds_bpermute_b32 v33, v47, v30
	s_wait_dscnt 0x0
	v_cndmask_b32_e32 v33, 0, v33, vcc_lo
	v_cmp_le_u32_e32 vcc_lo, v50, v32
	v_add_nc_u32_e32 v30, v30, v33
	ds_bpermute_b32 v33, v49, v30
	s_wait_dscnt 0x0
	v_cndmask_b32_e32 v33, 0, v33, vcc_lo
	v_cmp_le_u32_e32 vcc_lo, v52, v32
	s_delay_alu instid0(VALU_DEP_2) | instskip(SKIP_4) | instid1(VALU_DEP_2)
	v_add_nc_u32_e32 v30, v30, v33
	ds_bpermute_b32 v33, v51, v30
	s_wait_dscnt 0x0
	v_cndmask_b32_e32 v33, 0, v33, vcc_lo
	v_cmp_le_u32_e32 vcc_lo, v54, v32
	v_add_nc_u32_e32 v30, v30, v33
	ds_bpermute_b32 v33, v53, v30
	s_wait_dscnt 0x0
	v_cndmask_b32_e32 v32, 0, v33, vcc_lo
	s_delay_alu instid0(VALU_DEP_1)
	v_add3_u32 v30, v32, v27, v30
.LBB1329_160:                           ;   in Loop: Header=BB1329_161 Depth=1
	s_and_b32 vcc_lo, exec_lo, s16
	s_cbranch_vccnz .LBB1329_166
.LBB1329_161:                           ; =>This Loop Header: Depth=1
                                        ;     Child Loop BB1329_164 Depth 2
	v_and_b32_e32 v27, 0xff, v31
	s_mov_b32 s16, -1
                                        ; implicit-def: $vgpr31
	s_delay_alu instid0(VALU_DEP_1)
	v_cmp_ne_u16_e32 vcc_lo, 2, v27
	v_mov_b32_e32 v27, v30
                                        ; implicit-def: $vgpr30
	s_cmp_lg_u32 vcc_lo, exec_lo
	s_cbranch_scc1 .LBB1329_160
; %bb.162:                              ;   in Loop: Header=BB1329_161 Depth=1
	global_load_b64 v[30:31], v28, s[10:11] scale_offset scope:SCOPE_DEV
	s_mov_b32 s16, exec_lo
	s_wait_loadcnt 0x0
	v_and_b32_e32 v32, 0xff, v31
	s_wait_xcnt 0x0
	s_delay_alu instid0(VALU_DEP_1)
	v_cmpx_eq_u16_e32 0, v32
	s_cbranch_execz .LBB1329_159
; %bb.163:                              ;   in Loop: Header=BB1329_161 Depth=1
	v_lshl_add_u64 v[32:33], v[28:29], 3, s[10:11]
	s_mov_b32 s17, 0
.LBB1329_164:                           ;   Parent Loop BB1329_161 Depth=1
                                        ; =>  This Inner Loop Header: Depth=2
	global_load_b64 v[30:31], v[32:33], off scope:SCOPE_DEV
	s_wait_loadcnt 0x0
	v_and_b32_e32 v55, 0xff, v31
	s_delay_alu instid0(VALU_DEP_1)
	v_cmp_ne_u16_e32 vcc_lo, 0, v55
	s_or_b32 s17, vcc_lo, s17
	s_wait_xcnt 0x0
	s_and_not1_b32 exec_lo, exec_lo, s17
	s_cbranch_execnz .LBB1329_164
; %bb.165:                              ;   in Loop: Header=BB1329_161 Depth=1
	s_or_b32 exec_lo, exec_lo, s17
	s_branch .LBB1329_159
.LBB1329_166:
	s_and_saveexec_b32 s16, s8
	s_cbranch_execz .LBB1329_168
; %bb.167:
	s_add_co_i32 s17, s26, 32
	v_dual_mov_b32 v29, 2 :: v_dual_add_nc_u32 v28, v27, v26
	v_dual_mov_b32 v30, s17 :: v_dual_mov_b32 v31, 0
	global_store_b64 v30, v[28:29], s[10:11] scale_offset scope:SCOPE_DEV
	ds_store_b64 v31, v[26:27] offset:5120
.LBB1329_168:
	s_wait_xcnt 0x0
	s_or_b32 exec_lo, exec_lo, s16
	v_cmp_eq_u32_e32 vcc_lo, 0, v0
	s_and_b32 exec_lo, exec_lo, vcc_lo
; %bb.169:
	v_mov_b32_e32 v26, 0
	ds_store_b32 v26, v27 offset:12
.LBB1329_170:
	s_or_b32 exec_lo, exec_lo, s9
	s_wait_dscnt 0x0
	v_dual_mov_b32 v26, 0 :: v_dual_cndmask_b32 v28, v44, v43, s8
	s_wait_storecnt 0x0
	s_barrier_signal -1
	s_barrier_wait -1
	ds_load_b32 v27, v26 offset:12
	v_cmp_ne_u32_e32 vcc_lo, 0, v0
	s_wait_dscnt 0x0
	s_barrier_signal -1
	s_barrier_wait -1
	v_cndmask_b32_e32 v28, 0, v28, vcc_lo
	s_mov_b32 s9, 0
	s_delay_alu instid0(VALU_DEP_1) | instskip(SKIP_2) | instid1(VALU_DEP_1)
	v_add_nc_u32_e32 v32, v27, v28
	ds_load_b64 v[26:27], v26 offset:5120
	v_add_nc_u32_e32 v31, v32, v25
	v_add_nc_u32_e32 v30, v31, v37
	s_delay_alu instid0(VALU_DEP_1) | instskip(NEXT) | instid1(VALU_DEP_1)
	v_add_nc_u32_e32 v29, v30, v38
	v_add_nc_u32_e32 v28, v29, v39
	s_wait_dscnt 0x0
	v_readfirstlane_b32 s8, v27
.LBB1329_171:
	s_and_b32 vcc_lo, exec_lo, s9
	s_cbranch_vccz .LBB1329_181
; %bb.172:
	v_mov_b32_dpp v26, v42 row_shr:1 row_mask:0xf bank_mask:0xf
	s_delay_alu instid0(VALU_DEP_1) | instskip(NEXT) | instid1(VALU_DEP_1)
	v_cndmask_b32_e64 v26, v26, 0, s4
	v_add_nc_u32_e32 v26, v26, v42
	s_delay_alu instid0(VALU_DEP_1) | instskip(NEXT) | instid1(VALU_DEP_1)
	v_mov_b32_dpp v27, v26 row_shr:2 row_mask:0xf bank_mask:0xf
	v_cndmask_b32_e64 v27, 0, v27, s6
	s_delay_alu instid0(VALU_DEP_1) | instskip(NEXT) | instid1(VALU_DEP_1)
	v_add_nc_u32_e32 v26, v26, v27
	v_mov_b32_dpp v27, v26 row_shr:4 row_mask:0xf bank_mask:0xf
	s_delay_alu instid0(VALU_DEP_1) | instskip(NEXT) | instid1(VALU_DEP_1)
	v_cndmask_b32_e64 v27, 0, v27, s7
	v_add_nc_u32_e32 v26, v26, v27
	s_delay_alu instid0(VALU_DEP_1) | instskip(NEXT) | instid1(VALU_DEP_1)
	v_mov_b32_dpp v27, v26 row_shr:8 row_mask:0xf bank_mask:0xf
	v_cndmask_b32_e64 v27, 0, v27, s5
	s_delay_alu instid0(VALU_DEP_1) | instskip(SKIP_3) | instid1(VALU_DEP_1)
	v_add_nc_u32_e32 v26, v26, v27
	ds_swizzle_b32 v27, v26 offset:swizzle(BROADCAST,32,15)
	s_wait_dscnt 0x0
	v_cndmask_b32_e64 v27, v27, 0, s3
	v_add_nc_u32_e32 v26, v26, v27
	s_and_saveexec_b32 s3, s2
; %bb.173:
	v_lshlrev_b32_e32 v27, 2, v41
	ds_store_b32 v27, v26
; %bb.174:
	s_or_b32 exec_lo, exec_lo, s3
	s_delay_alu instid0(SALU_CYCLE_1)
	s_mov_b32 s2, exec_lo
	s_wait_dscnt 0x0
	s_barrier_signal -1
	s_barrier_wait -1
	v_cmpx_gt_u32_e32 4, v0
	s_cbranch_execz .LBB1329_176
; %bb.175:
	v_and_b32_e32 v29, 3, v40
	s_delay_alu instid0(VALU_DEP_1) | instskip(SKIP_4) | instid1(VALU_DEP_1)
	v_cmp_ne_u32_e32 vcc_lo, 0, v29
	v_lshlrev_b32_e32 v27, 2, v0
	ds_load_b32 v28, v27
	s_wait_dscnt 0x0
	v_mov_b32_dpp v30, v28 row_shr:1 row_mask:0xf bank_mask:0xf
	v_cndmask_b32_e32 v30, 0, v30, vcc_lo
	v_cmp_lt_u32_e32 vcc_lo, 1, v29
	s_delay_alu instid0(VALU_DEP_2) | instskip(NEXT) | instid1(VALU_DEP_1)
	v_add_nc_u32_e32 v28, v30, v28
	v_mov_b32_dpp v30, v28 row_shr:2 row_mask:0xf bank_mask:0xf
	s_delay_alu instid0(VALU_DEP_1) | instskip(NEXT) | instid1(VALU_DEP_1)
	v_cndmask_b32_e32 v29, 0, v30, vcc_lo
	v_add_nc_u32_e32 v28, v28, v29
	ds_store_b32 v27, v28
.LBB1329_176:
	s_or_b32 exec_lo, exec_lo, s2
	v_dual_mov_b32 v27, 0 :: v_dual_mov_b32 v28, 0
	s_mov_b32 s2, exec_lo
	s_wait_dscnt 0x0
	s_barrier_signal -1
	s_barrier_wait -1
	v_cmpx_lt_u32_e32 31, v0
; %bb.177:
	v_lshl_add_u32 v28, v41, 2, -4
	ds_load_b32 v28, v28
; %bb.178:
	s_or_b32 exec_lo, exec_lo, s2
	v_sub_co_u32 v29, vcc_lo, v40, 1
	s_mov_b32 s8, 0
	s_wait_dscnt 0x0
	v_add_nc_u32_e32 v26, v28, v26
	v_cmp_gt_i32_e64 s2, 0, v29
	s_delay_alu instid0(VALU_DEP_1) | instskip(SKIP_1) | instid1(VALU_DEP_2)
	v_cndmask_b32_e64 v29, v29, v40, s2
	v_cmp_eq_u32_e64 s2, 0, v0
	v_lshlrev_b32_e32 v29, 2, v29
	ds_bpermute_b32 v29, v29, v26
	ds_load_b32 v26, v27 offset:12
	s_and_saveexec_b32 s3, s2
	s_cbranch_execz .LBB1329_180
; %bb.179:
	v_dual_mov_b32 v30, 0 :: v_dual_mov_b32 v27, 2
	s_wait_dscnt 0x0
	global_store_b64 v30, v[26:27], s[10:11] offset:256 scope:SCOPE_DEV
.LBB1329_180:
	s_wait_xcnt 0x0
	s_or_b32 exec_lo, exec_lo, s3
	s_wait_dscnt 0x1
	v_cndmask_b32_e32 v27, v29, v28, vcc_lo
	s_wait_storecnt_dscnt 0x0
	s_barrier_signal -1
	s_barrier_wait -1
	s_delay_alu instid0(VALU_DEP_1) | instskip(NEXT) | instid1(VALU_DEP_1)
	v_cndmask_b32_e64 v32, v27, 0, s2
	v_add_nc_u32_e32 v31, v32, v25
	s_delay_alu instid0(VALU_DEP_1) | instskip(NEXT) | instid1(VALU_DEP_1)
	v_add_nc_u32_e32 v30, v31, v37
	v_add_nc_u32_e32 v29, v30, v38
	s_delay_alu instid0(VALU_DEP_1)
	v_add_nc_u32_e32 v28, v29, v39
.LBB1329_181:
	s_load_b128 s[4:7], s[0:1], 0x28
	s_delay_alu instid0(VALU_DEP_1)
	v_dual_add_nc_u32 v25, s8, v26 :: v_dual_bitop2_b32 v24, 1, v24 bitop3:0x40
	s_wait_xcnt 0x0
	v_cmp_gt_u32_e64 s0, 0x81, v26
	s_mov_b32 s3, -1
	v_cmp_lt_u32_e64 s1, v32, v25
	v_cmp_eq_u32_e64 s2, 1, v24
	s_and_b32 vcc_lo, exec_lo, s0
	s_cbranch_vccz .LBB1329_193
; %bb.182:
	s_or_b32 s1, s25, s1
	s_delay_alu instid0(SALU_CYCLE_1) | instskip(NEXT) | instid1(SALU_CYCLE_1)
	s_and_b32 s2, s1, s2
	s_and_saveexec_b32 s1, s2
	s_cbranch_execz .LBB1329_184
; %bb.183:
	s_lshl_b64 s[2:3], s[14:15], 3
	s_wait_kmcnt 0x0
	s_add_nc_u64 s[2:3], s[4:5], s[2:3]
	global_store_b64 v32, v[14:15], s[2:3] scale_offset
.LBB1329_184:
	s_wait_xcnt 0x0
	s_or_b32 exec_lo, exec_lo, s1
	v_and_b32_e32 v27, 1, v23
	v_cmp_lt_u32_e32 vcc_lo, v31, v25
	s_delay_alu instid0(VALU_DEP_2) | instskip(SKIP_1) | instid1(SALU_CYCLE_1)
	v_cmp_eq_u32_e64 s1, 1, v27
	s_or_b32 s2, s25, vcc_lo
	s_and_b32 s2, s2, s1
	s_delay_alu instid0(SALU_CYCLE_1)
	s_and_saveexec_b32 s1, s2
	s_cbranch_execz .LBB1329_186
; %bb.185:
	s_lshl_b64 s[2:3], s[14:15], 3
	s_wait_kmcnt 0x0
	s_add_nc_u64 s[2:3], s[4:5], s[2:3]
	global_store_b64 v31, v[16:17], s[2:3] scale_offset
.LBB1329_186:
	s_wait_xcnt 0x0
	s_or_b32 exec_lo, exec_lo, s1
	v_and_b32_e32 v27, 1, v36
	v_cmp_lt_u32_e32 vcc_lo, v30, v25
	s_delay_alu instid0(VALU_DEP_2) | instskip(SKIP_1) | instid1(SALU_CYCLE_1)
	v_cmp_eq_u32_e64 s1, 1, v27
	s_or_b32 s2, s25, vcc_lo
	s_and_b32 s2, s2, s1
	s_delay_alu instid0(SALU_CYCLE_1)
	;; [unrolled: 17-line block ×4, first 2 shown]
	s_and_saveexec_b32 s1, s2
	s_cbranch_execz .LBB1329_192
; %bb.191:
	s_lshl_b64 s[2:3], s[14:15], 3
	s_wait_kmcnt 0x0
	s_add_nc_u64 s[2:3], s[4:5], s[2:3]
	global_store_b64 v28, v[20:21], s[2:3] scale_offset
.LBB1329_192:
	s_wait_xcnt 0x0
	s_or_b32 exec_lo, exec_lo, s1
	s_mov_b32 s3, 0
.LBB1329_193:
	s_delay_alu instid0(SALU_CYCLE_1)
	s_and_b32 vcc_lo, exec_lo, s3
	s_cbranch_vccz .LBB1329_207
; %bb.194:
	s_mov_b32 s1, exec_lo
	v_cmpx_eq_u32_e32 1, v24
; %bb.195:
	v_subrev_nc_u32_e32 v27, s8, v32
	s_delay_alu instid0(VALU_DEP_1)
	v_lshlrev_b32_e32 v27, 3, v27
	ds_store_b64 v27, v[14:15]
; %bb.196:
	s_or_b32 exec_lo, exec_lo, s1
	v_and_b32_e32 v14, 1, v23
	s_mov_b32 s1, exec_lo
	s_delay_alu instid0(VALU_DEP_1)
	v_cmpx_eq_u32_e32 1, v14
; %bb.197:
	v_subrev_nc_u32_e32 v14, s8, v31
	s_delay_alu instid0(VALU_DEP_1)
	v_lshlrev_b32_e32 v14, 3, v14
	ds_store_b64 v14, v[16:17]
; %bb.198:
	s_or_b32 exec_lo, exec_lo, s1
	v_and_b32_e32 v14, 1, v36
	s_mov_b32 s1, exec_lo
	s_delay_alu instid0(VALU_DEP_1)
	;; [unrolled: 11-line block ×4, first 2 shown]
	v_cmpx_eq_u32_e32 1, v10
; %bb.203:
	v_subrev_nc_u32_e32 v10, s8, v28
	s_delay_alu instid0(VALU_DEP_1)
	v_lshlrev_b32_e32 v10, 3, v10
	ds_store_b64 v10, v[20:21]
; %bb.204:
	s_or_b32 exec_lo, exec_lo, s1
	s_mov_b32 s9, 0
	v_dual_mov_b32 v11, v1 :: v_dual_lshlrev_b32 v10, 3, v0
	s_lshl_b64 s[2:3], s[8:9], 3
	s_wait_storecnt_dscnt 0x0
	s_wait_kmcnt 0x0
	s_add_nc_u64 s[2:3], s[4:5], s[2:3]
	s_lshl_b64 s[4:5], s[14:15], 3
	s_barrier_signal -1
	s_add_nc_u64 s[2:3], s[2:3], s[4:5]
	s_barrier_wait -1
.LBB1329_205:                           ; =>This Inner Loop Header: Depth=1
	ds_load_b64 v[12:13], v10
	v_add_nc_u32_e32 v10, 0x400, v10
	s_wait_dscnt 0x0
	global_store_b64 v11, v[12:13], s[2:3] scale_offset
	s_wait_xcnt 0x0
	v_add_nc_u32_e32 v11, 0x80, v11
	s_delay_alu instid0(VALU_DEP_1) | instskip(SKIP_1) | instid1(SALU_CYCLE_1)
	v_cmp_ge_u32_e32 vcc_lo, v11, v26
	s_or_b32 s9, vcc_lo, s9
	s_and_not1_b32 exec_lo, exec_lo, s9
	s_cbranch_execnz .LBB1329_205
; %bb.206:
	s_or_b32 exec_lo, exec_lo, s9
.LBB1329_207:
	s_delay_alu instid0(SALU_CYCLE_1)
	s_and_b32 vcc_lo, exec_lo, s0
	s_mov_b32 s0, -1
	s_wait_storecnt 0x0
	s_barrier_signal -1
	s_barrier_wait -1
	s_cbranch_vccz .LBB1329_219
; %bb.208:
	v_cmp_lt_u32_e32 vcc_lo, v32, v25
	v_cmp_eq_u32_e64 s0, 1, v24
	s_or_b32 s1, s25, vcc_lo
	s_delay_alu instid0(SALU_CYCLE_1) | instskip(NEXT) | instid1(SALU_CYCLE_1)
	s_and_b32 s1, s1, s0
	s_and_saveexec_b32 s0, s1
	s_cbranch_execz .LBB1329_210
; %bb.209:
	s_lshl_b64 s[2:3], s[14:15], 3
	s_wait_kmcnt 0x0
	s_add_nc_u64 s[2:3], s[6:7], s[2:3]
	global_store_b64 v32, v[6:7], s[2:3] scale_offset
.LBB1329_210:
	s_wait_xcnt 0x0
	s_or_b32 exec_lo, exec_lo, s0
	v_and_b32_e32 v10, 1, v23
	v_cmp_lt_u32_e32 vcc_lo, v31, v25
	s_delay_alu instid0(VALU_DEP_2) | instskip(SKIP_1) | instid1(SALU_CYCLE_1)
	v_cmp_eq_u32_e64 s0, 1, v10
	s_or_b32 s1, s25, vcc_lo
	s_and_b32 s1, s1, s0
	s_delay_alu instid0(SALU_CYCLE_1)
	s_and_saveexec_b32 s0, s1
	s_cbranch_execz .LBB1329_212
; %bb.211:
	s_lshl_b64 s[2:3], s[14:15], 3
	s_wait_kmcnt 0x0
	s_add_nc_u64 s[2:3], s[6:7], s[2:3]
	global_store_b64 v31, v[8:9], s[2:3] scale_offset
.LBB1329_212:
	s_wait_xcnt 0x0
	s_or_b32 exec_lo, exec_lo, s0
	v_and_b32_e32 v10, 1, v36
	v_cmp_lt_u32_e32 vcc_lo, v30, v25
	s_delay_alu instid0(VALU_DEP_2) | instskip(SKIP_1) | instid1(SALU_CYCLE_1)
	v_cmp_eq_u32_e64 s0, 1, v10
	s_or_b32 s1, s25, vcc_lo
	s_and_b32 s1, s1, s0
	s_delay_alu instid0(SALU_CYCLE_1)
	;; [unrolled: 17-line block ×4, first 2 shown]
	s_and_saveexec_b32 s0, s1
	s_cbranch_execz .LBB1329_218
; %bb.217:
	s_lshl_b64 s[2:3], s[14:15], 3
	s_wait_kmcnt 0x0
	s_add_nc_u64 s[2:3], s[6:7], s[2:3]
	global_store_b64 v28, v[18:19], s[2:3] scale_offset
.LBB1329_218:
	s_wait_xcnt 0x0
	s_or_b32 exec_lo, exec_lo, s0
	s_mov_b32 s0, 0
.LBB1329_219:
	s_delay_alu instid0(SALU_CYCLE_1)
	s_and_b32 vcc_lo, exec_lo, s0
	s_cbranch_vccz .LBB1329_233
; %bb.220:
	s_mov_b32 s0, exec_lo
	v_cmpx_eq_u32_e32 1, v24
; %bb.221:
	v_subrev_nc_u32_e32 v10, s8, v32
	s_delay_alu instid0(VALU_DEP_1)
	v_lshlrev_b32_e32 v10, 3, v10
	ds_store_b64 v10, v[6:7]
; %bb.222:
	s_or_b32 exec_lo, exec_lo, s0
	v_and_b32_e32 v6, 1, v23
	s_mov_b32 s0, exec_lo
	s_delay_alu instid0(VALU_DEP_1)
	v_cmpx_eq_u32_e32 1, v6
; %bb.223:
	v_subrev_nc_u32_e32 v6, s8, v31
	s_delay_alu instid0(VALU_DEP_1)
	v_lshlrev_b32_e32 v6, 3, v6
	ds_store_b64 v6, v[8:9]
; %bb.224:
	s_or_b32 exec_lo, exec_lo, s0
	v_and_b32_e32 v6, 1, v36
	s_mov_b32 s0, exec_lo
	s_delay_alu instid0(VALU_DEP_1)
	;; [unrolled: 11-line block ×4, first 2 shown]
	v_cmpx_eq_u32_e32 1, v2
; %bb.229:
	v_subrev_nc_u32_e32 v2, s8, v28
	s_delay_alu instid0(VALU_DEP_1)
	v_lshlrev_b32_e32 v2, 3, v2
	ds_store_b64 v2, v[18:19]
; %bb.230:
	s_or_b32 exec_lo, exec_lo, s0
	s_mov_b32 s9, 0
	s_lshl_b64 s[2:3], s[14:15], 3
	s_lshl_b64 s[0:1], s[8:9], 3
	s_wait_storecnt_dscnt 0x0
	s_wait_kmcnt 0x0
	s_add_nc_u64 s[0:1], s[6:7], s[0:1]
	s_barrier_signal -1
	s_add_nc_u64 s[0:1], s[0:1], s[2:3]
	s_barrier_wait -1
.LBB1329_231:                           ; =>This Inner Loop Header: Depth=1
	ds_load_b64 v[2:3], v34
	v_add_nc_u32_e32 v34, 0x400, v34
	s_wait_dscnt 0x0
	global_store_b64 v1, v[2:3], s[0:1] scale_offset
	s_wait_xcnt 0x0
	v_add_nc_u32_e32 v1, 0x80, v1
	s_delay_alu instid0(VALU_DEP_1) | instskip(SKIP_1) | instid1(SALU_CYCLE_1)
	v_cmp_ge_u32_e32 vcc_lo, v1, v26
	s_or_b32 s9, vcc_lo, s9
	s_and_not1_b32 exec_lo, exec_lo, s9
	s_cbranch_execnz .LBB1329_231
; %bb.232:
	s_or_b32 exec_lo, exec_lo, s9
.LBB1329_233:
	v_cmp_eq_u32_e32 vcc_lo, 0, v0
	s_mov_b32 s9, 0
	s_and_b32 s0, vcc_lo, s24
	s_delay_alu instid0(SALU_CYCLE_1)
	s_and_saveexec_b32 s1, s0
	s_cbranch_execz .LBB1329_235
; %bb.234:
	v_mov_b32_e32 v27, 0
	s_delay_alu instid0(VALU_DEP_1) | instskip(NEXT) | instid1(VALU_DEP_1)
	v_add_nc_u64_e32 v[0:1], s[14:15], v[26:27]
	v_add_nc_u64_e32 v[0:1], s[8:9], v[0:1]
	global_store_b64 v27, v[0:1], s[12:13]
.LBB1329_235:
	s_endpgm
	.section	.rodata,"a",@progbits
	.p2align	6, 0x0
	.amdhsa_kernel _ZN7rocprim17ROCPRIM_400000_NS6detail17trampoline_kernelINS0_14default_configENS1_25partition_config_selectorILNS1_17partition_subalgoE9EllbEEZZNS1_14partition_implILS5_9ELb0ES3_jPlS8_PNS0_10empty_typeENS0_5tupleIJS8_S9_EEENSB_IJS8_SA_EEENS0_18inequality_wrapperIZN2at6native12_GLOBAL__N_124unique_dim_cuda_templateIN3c104HalfEEESt5tupleIJNSF_6TensorESM_SM_EERKSM_lbbbEUlllE0_EEPmJS9_EEE10hipError_tPvRmT3_T4_T5_T6_T7_T9_mT8_P12ihipStream_tbDpT10_ENKUlT_T0_E_clISt17integral_constantIbLb0EES1C_EEDaS17_S18_EUlS17_E_NS1_11comp_targetILNS1_3genE0ELNS1_11target_archE4294967295ELNS1_3gpuE0ELNS1_3repE0EEENS1_30default_config_static_selectorELNS0_4arch9wavefront6targetE0EEEvT1_
		.amdhsa_group_segment_fixed_size 5128
		.amdhsa_private_segment_fixed_size 0
		.amdhsa_kernarg_size 120
		.amdhsa_user_sgpr_count 2
		.amdhsa_user_sgpr_dispatch_ptr 0
		.amdhsa_user_sgpr_queue_ptr 0
		.amdhsa_user_sgpr_kernarg_segment_ptr 1
		.amdhsa_user_sgpr_dispatch_id 0
		.amdhsa_user_sgpr_kernarg_preload_length 0
		.amdhsa_user_sgpr_kernarg_preload_offset 0
		.amdhsa_user_sgpr_private_segment_size 0
		.amdhsa_wavefront_size32 1
		.amdhsa_uses_dynamic_stack 0
		.amdhsa_enable_private_segment 0
		.amdhsa_system_sgpr_workgroup_id_x 1
		.amdhsa_system_sgpr_workgroup_id_y 0
		.amdhsa_system_sgpr_workgroup_id_z 0
		.amdhsa_system_sgpr_workgroup_info 0
		.amdhsa_system_vgpr_workitem_id 0
		.amdhsa_next_free_vgpr 56
		.amdhsa_next_free_sgpr 32
		.amdhsa_named_barrier_count 0
		.amdhsa_reserve_vcc 1
		.amdhsa_float_round_mode_32 0
		.amdhsa_float_round_mode_16_64 0
		.amdhsa_float_denorm_mode_32 3
		.amdhsa_float_denorm_mode_16_64 3
		.amdhsa_fp16_overflow 0
		.amdhsa_memory_ordered 1
		.amdhsa_forward_progress 1
		.amdhsa_inst_pref_size 74
		.amdhsa_round_robin_scheduling 0
		.amdhsa_exception_fp_ieee_invalid_op 0
		.amdhsa_exception_fp_denorm_src 0
		.amdhsa_exception_fp_ieee_div_zero 0
		.amdhsa_exception_fp_ieee_overflow 0
		.amdhsa_exception_fp_ieee_underflow 0
		.amdhsa_exception_fp_ieee_inexact 0
		.amdhsa_exception_int_div_zero 0
	.end_amdhsa_kernel
	.section	.text._ZN7rocprim17ROCPRIM_400000_NS6detail17trampoline_kernelINS0_14default_configENS1_25partition_config_selectorILNS1_17partition_subalgoE9EllbEEZZNS1_14partition_implILS5_9ELb0ES3_jPlS8_PNS0_10empty_typeENS0_5tupleIJS8_S9_EEENSB_IJS8_SA_EEENS0_18inequality_wrapperIZN2at6native12_GLOBAL__N_124unique_dim_cuda_templateIN3c104HalfEEESt5tupleIJNSF_6TensorESM_SM_EERKSM_lbbbEUlllE0_EEPmJS9_EEE10hipError_tPvRmT3_T4_T5_T6_T7_T9_mT8_P12ihipStream_tbDpT10_ENKUlT_T0_E_clISt17integral_constantIbLb0EES1C_EEDaS17_S18_EUlS17_E_NS1_11comp_targetILNS1_3genE0ELNS1_11target_archE4294967295ELNS1_3gpuE0ELNS1_3repE0EEENS1_30default_config_static_selectorELNS0_4arch9wavefront6targetE0EEEvT1_,"axG",@progbits,_ZN7rocprim17ROCPRIM_400000_NS6detail17trampoline_kernelINS0_14default_configENS1_25partition_config_selectorILNS1_17partition_subalgoE9EllbEEZZNS1_14partition_implILS5_9ELb0ES3_jPlS8_PNS0_10empty_typeENS0_5tupleIJS8_S9_EEENSB_IJS8_SA_EEENS0_18inequality_wrapperIZN2at6native12_GLOBAL__N_124unique_dim_cuda_templateIN3c104HalfEEESt5tupleIJNSF_6TensorESM_SM_EERKSM_lbbbEUlllE0_EEPmJS9_EEE10hipError_tPvRmT3_T4_T5_T6_T7_T9_mT8_P12ihipStream_tbDpT10_ENKUlT_T0_E_clISt17integral_constantIbLb0EES1C_EEDaS17_S18_EUlS17_E_NS1_11comp_targetILNS1_3genE0ELNS1_11target_archE4294967295ELNS1_3gpuE0ELNS1_3repE0EEENS1_30default_config_static_selectorELNS0_4arch9wavefront6targetE0EEEvT1_,comdat
.Lfunc_end1329:
	.size	_ZN7rocprim17ROCPRIM_400000_NS6detail17trampoline_kernelINS0_14default_configENS1_25partition_config_selectorILNS1_17partition_subalgoE9EllbEEZZNS1_14partition_implILS5_9ELb0ES3_jPlS8_PNS0_10empty_typeENS0_5tupleIJS8_S9_EEENSB_IJS8_SA_EEENS0_18inequality_wrapperIZN2at6native12_GLOBAL__N_124unique_dim_cuda_templateIN3c104HalfEEESt5tupleIJNSF_6TensorESM_SM_EERKSM_lbbbEUlllE0_EEPmJS9_EEE10hipError_tPvRmT3_T4_T5_T6_T7_T9_mT8_P12ihipStream_tbDpT10_ENKUlT_T0_E_clISt17integral_constantIbLb0EES1C_EEDaS17_S18_EUlS17_E_NS1_11comp_targetILNS1_3genE0ELNS1_11target_archE4294967295ELNS1_3gpuE0ELNS1_3repE0EEENS1_30default_config_static_selectorELNS0_4arch9wavefront6targetE0EEEvT1_, .Lfunc_end1329-_ZN7rocprim17ROCPRIM_400000_NS6detail17trampoline_kernelINS0_14default_configENS1_25partition_config_selectorILNS1_17partition_subalgoE9EllbEEZZNS1_14partition_implILS5_9ELb0ES3_jPlS8_PNS0_10empty_typeENS0_5tupleIJS8_S9_EEENSB_IJS8_SA_EEENS0_18inequality_wrapperIZN2at6native12_GLOBAL__N_124unique_dim_cuda_templateIN3c104HalfEEESt5tupleIJNSF_6TensorESM_SM_EERKSM_lbbbEUlllE0_EEPmJS9_EEE10hipError_tPvRmT3_T4_T5_T6_T7_T9_mT8_P12ihipStream_tbDpT10_ENKUlT_T0_E_clISt17integral_constantIbLb0EES1C_EEDaS17_S18_EUlS17_E_NS1_11comp_targetILNS1_3genE0ELNS1_11target_archE4294967295ELNS1_3gpuE0ELNS1_3repE0EEENS1_30default_config_static_selectorELNS0_4arch9wavefront6targetE0EEEvT1_
                                        ; -- End function
	.set _ZN7rocprim17ROCPRIM_400000_NS6detail17trampoline_kernelINS0_14default_configENS1_25partition_config_selectorILNS1_17partition_subalgoE9EllbEEZZNS1_14partition_implILS5_9ELb0ES3_jPlS8_PNS0_10empty_typeENS0_5tupleIJS8_S9_EEENSB_IJS8_SA_EEENS0_18inequality_wrapperIZN2at6native12_GLOBAL__N_124unique_dim_cuda_templateIN3c104HalfEEESt5tupleIJNSF_6TensorESM_SM_EERKSM_lbbbEUlllE0_EEPmJS9_EEE10hipError_tPvRmT3_T4_T5_T6_T7_T9_mT8_P12ihipStream_tbDpT10_ENKUlT_T0_E_clISt17integral_constantIbLb0EES1C_EEDaS17_S18_EUlS17_E_NS1_11comp_targetILNS1_3genE0ELNS1_11target_archE4294967295ELNS1_3gpuE0ELNS1_3repE0EEENS1_30default_config_static_selectorELNS0_4arch9wavefront6targetE0EEEvT1_.num_vgpr, 56
	.set _ZN7rocprim17ROCPRIM_400000_NS6detail17trampoline_kernelINS0_14default_configENS1_25partition_config_selectorILNS1_17partition_subalgoE9EllbEEZZNS1_14partition_implILS5_9ELb0ES3_jPlS8_PNS0_10empty_typeENS0_5tupleIJS8_S9_EEENSB_IJS8_SA_EEENS0_18inequality_wrapperIZN2at6native12_GLOBAL__N_124unique_dim_cuda_templateIN3c104HalfEEESt5tupleIJNSF_6TensorESM_SM_EERKSM_lbbbEUlllE0_EEPmJS9_EEE10hipError_tPvRmT3_T4_T5_T6_T7_T9_mT8_P12ihipStream_tbDpT10_ENKUlT_T0_E_clISt17integral_constantIbLb0EES1C_EEDaS17_S18_EUlS17_E_NS1_11comp_targetILNS1_3genE0ELNS1_11target_archE4294967295ELNS1_3gpuE0ELNS1_3repE0EEENS1_30default_config_static_selectorELNS0_4arch9wavefront6targetE0EEEvT1_.num_agpr, 0
	.set _ZN7rocprim17ROCPRIM_400000_NS6detail17trampoline_kernelINS0_14default_configENS1_25partition_config_selectorILNS1_17partition_subalgoE9EllbEEZZNS1_14partition_implILS5_9ELb0ES3_jPlS8_PNS0_10empty_typeENS0_5tupleIJS8_S9_EEENSB_IJS8_SA_EEENS0_18inequality_wrapperIZN2at6native12_GLOBAL__N_124unique_dim_cuda_templateIN3c104HalfEEESt5tupleIJNSF_6TensorESM_SM_EERKSM_lbbbEUlllE0_EEPmJS9_EEE10hipError_tPvRmT3_T4_T5_T6_T7_T9_mT8_P12ihipStream_tbDpT10_ENKUlT_T0_E_clISt17integral_constantIbLb0EES1C_EEDaS17_S18_EUlS17_E_NS1_11comp_targetILNS1_3genE0ELNS1_11target_archE4294967295ELNS1_3gpuE0ELNS1_3repE0EEENS1_30default_config_static_selectorELNS0_4arch9wavefront6targetE0EEEvT1_.numbered_sgpr, 32
	.set _ZN7rocprim17ROCPRIM_400000_NS6detail17trampoline_kernelINS0_14default_configENS1_25partition_config_selectorILNS1_17partition_subalgoE9EllbEEZZNS1_14partition_implILS5_9ELb0ES3_jPlS8_PNS0_10empty_typeENS0_5tupleIJS8_S9_EEENSB_IJS8_SA_EEENS0_18inequality_wrapperIZN2at6native12_GLOBAL__N_124unique_dim_cuda_templateIN3c104HalfEEESt5tupleIJNSF_6TensorESM_SM_EERKSM_lbbbEUlllE0_EEPmJS9_EEE10hipError_tPvRmT3_T4_T5_T6_T7_T9_mT8_P12ihipStream_tbDpT10_ENKUlT_T0_E_clISt17integral_constantIbLb0EES1C_EEDaS17_S18_EUlS17_E_NS1_11comp_targetILNS1_3genE0ELNS1_11target_archE4294967295ELNS1_3gpuE0ELNS1_3repE0EEENS1_30default_config_static_selectorELNS0_4arch9wavefront6targetE0EEEvT1_.num_named_barrier, 0
	.set _ZN7rocprim17ROCPRIM_400000_NS6detail17trampoline_kernelINS0_14default_configENS1_25partition_config_selectorILNS1_17partition_subalgoE9EllbEEZZNS1_14partition_implILS5_9ELb0ES3_jPlS8_PNS0_10empty_typeENS0_5tupleIJS8_S9_EEENSB_IJS8_SA_EEENS0_18inequality_wrapperIZN2at6native12_GLOBAL__N_124unique_dim_cuda_templateIN3c104HalfEEESt5tupleIJNSF_6TensorESM_SM_EERKSM_lbbbEUlllE0_EEPmJS9_EEE10hipError_tPvRmT3_T4_T5_T6_T7_T9_mT8_P12ihipStream_tbDpT10_ENKUlT_T0_E_clISt17integral_constantIbLb0EES1C_EEDaS17_S18_EUlS17_E_NS1_11comp_targetILNS1_3genE0ELNS1_11target_archE4294967295ELNS1_3gpuE0ELNS1_3repE0EEENS1_30default_config_static_selectorELNS0_4arch9wavefront6targetE0EEEvT1_.private_seg_size, 0
	.set _ZN7rocprim17ROCPRIM_400000_NS6detail17trampoline_kernelINS0_14default_configENS1_25partition_config_selectorILNS1_17partition_subalgoE9EllbEEZZNS1_14partition_implILS5_9ELb0ES3_jPlS8_PNS0_10empty_typeENS0_5tupleIJS8_S9_EEENSB_IJS8_SA_EEENS0_18inequality_wrapperIZN2at6native12_GLOBAL__N_124unique_dim_cuda_templateIN3c104HalfEEESt5tupleIJNSF_6TensorESM_SM_EERKSM_lbbbEUlllE0_EEPmJS9_EEE10hipError_tPvRmT3_T4_T5_T6_T7_T9_mT8_P12ihipStream_tbDpT10_ENKUlT_T0_E_clISt17integral_constantIbLb0EES1C_EEDaS17_S18_EUlS17_E_NS1_11comp_targetILNS1_3genE0ELNS1_11target_archE4294967295ELNS1_3gpuE0ELNS1_3repE0EEENS1_30default_config_static_selectorELNS0_4arch9wavefront6targetE0EEEvT1_.uses_vcc, 1
	.set _ZN7rocprim17ROCPRIM_400000_NS6detail17trampoline_kernelINS0_14default_configENS1_25partition_config_selectorILNS1_17partition_subalgoE9EllbEEZZNS1_14partition_implILS5_9ELb0ES3_jPlS8_PNS0_10empty_typeENS0_5tupleIJS8_S9_EEENSB_IJS8_SA_EEENS0_18inequality_wrapperIZN2at6native12_GLOBAL__N_124unique_dim_cuda_templateIN3c104HalfEEESt5tupleIJNSF_6TensorESM_SM_EERKSM_lbbbEUlllE0_EEPmJS9_EEE10hipError_tPvRmT3_T4_T5_T6_T7_T9_mT8_P12ihipStream_tbDpT10_ENKUlT_T0_E_clISt17integral_constantIbLb0EES1C_EEDaS17_S18_EUlS17_E_NS1_11comp_targetILNS1_3genE0ELNS1_11target_archE4294967295ELNS1_3gpuE0ELNS1_3repE0EEENS1_30default_config_static_selectorELNS0_4arch9wavefront6targetE0EEEvT1_.uses_flat_scratch, 0
	.set _ZN7rocprim17ROCPRIM_400000_NS6detail17trampoline_kernelINS0_14default_configENS1_25partition_config_selectorILNS1_17partition_subalgoE9EllbEEZZNS1_14partition_implILS5_9ELb0ES3_jPlS8_PNS0_10empty_typeENS0_5tupleIJS8_S9_EEENSB_IJS8_SA_EEENS0_18inequality_wrapperIZN2at6native12_GLOBAL__N_124unique_dim_cuda_templateIN3c104HalfEEESt5tupleIJNSF_6TensorESM_SM_EERKSM_lbbbEUlllE0_EEPmJS9_EEE10hipError_tPvRmT3_T4_T5_T6_T7_T9_mT8_P12ihipStream_tbDpT10_ENKUlT_T0_E_clISt17integral_constantIbLb0EES1C_EEDaS17_S18_EUlS17_E_NS1_11comp_targetILNS1_3genE0ELNS1_11target_archE4294967295ELNS1_3gpuE0ELNS1_3repE0EEENS1_30default_config_static_selectorELNS0_4arch9wavefront6targetE0EEEvT1_.has_dyn_sized_stack, 0
	.set _ZN7rocprim17ROCPRIM_400000_NS6detail17trampoline_kernelINS0_14default_configENS1_25partition_config_selectorILNS1_17partition_subalgoE9EllbEEZZNS1_14partition_implILS5_9ELb0ES3_jPlS8_PNS0_10empty_typeENS0_5tupleIJS8_S9_EEENSB_IJS8_SA_EEENS0_18inequality_wrapperIZN2at6native12_GLOBAL__N_124unique_dim_cuda_templateIN3c104HalfEEESt5tupleIJNSF_6TensorESM_SM_EERKSM_lbbbEUlllE0_EEPmJS9_EEE10hipError_tPvRmT3_T4_T5_T6_T7_T9_mT8_P12ihipStream_tbDpT10_ENKUlT_T0_E_clISt17integral_constantIbLb0EES1C_EEDaS17_S18_EUlS17_E_NS1_11comp_targetILNS1_3genE0ELNS1_11target_archE4294967295ELNS1_3gpuE0ELNS1_3repE0EEENS1_30default_config_static_selectorELNS0_4arch9wavefront6targetE0EEEvT1_.has_recursion, 0
	.set _ZN7rocprim17ROCPRIM_400000_NS6detail17trampoline_kernelINS0_14default_configENS1_25partition_config_selectorILNS1_17partition_subalgoE9EllbEEZZNS1_14partition_implILS5_9ELb0ES3_jPlS8_PNS0_10empty_typeENS0_5tupleIJS8_S9_EEENSB_IJS8_SA_EEENS0_18inequality_wrapperIZN2at6native12_GLOBAL__N_124unique_dim_cuda_templateIN3c104HalfEEESt5tupleIJNSF_6TensorESM_SM_EERKSM_lbbbEUlllE0_EEPmJS9_EEE10hipError_tPvRmT3_T4_T5_T6_T7_T9_mT8_P12ihipStream_tbDpT10_ENKUlT_T0_E_clISt17integral_constantIbLb0EES1C_EEDaS17_S18_EUlS17_E_NS1_11comp_targetILNS1_3genE0ELNS1_11target_archE4294967295ELNS1_3gpuE0ELNS1_3repE0EEENS1_30default_config_static_selectorELNS0_4arch9wavefront6targetE0EEEvT1_.has_indirect_call, 0
	.section	.AMDGPU.csdata,"",@progbits
; Kernel info:
; codeLenInByte = 9388
; TotalNumSgprs: 34
; NumVgprs: 56
; ScratchSize: 0
; MemoryBound: 0
; FloatMode: 240
; IeeeMode: 1
; LDSByteSize: 5128 bytes/workgroup (compile time only)
; SGPRBlocks: 0
; VGPRBlocks: 3
; NumSGPRsForWavesPerEU: 34
; NumVGPRsForWavesPerEU: 56
; NamedBarCnt: 0
; Occupancy: 16
; WaveLimiterHint : 1
; COMPUTE_PGM_RSRC2:SCRATCH_EN: 0
; COMPUTE_PGM_RSRC2:USER_SGPR: 2
; COMPUTE_PGM_RSRC2:TRAP_HANDLER: 0
; COMPUTE_PGM_RSRC2:TGID_X_EN: 1
; COMPUTE_PGM_RSRC2:TGID_Y_EN: 0
; COMPUTE_PGM_RSRC2:TGID_Z_EN: 0
; COMPUTE_PGM_RSRC2:TIDIG_COMP_CNT: 0
	.section	.text._ZN7rocprim17ROCPRIM_400000_NS6detail17trampoline_kernelINS0_14default_configENS1_25partition_config_selectorILNS1_17partition_subalgoE9EllbEEZZNS1_14partition_implILS5_9ELb0ES3_jPlS8_PNS0_10empty_typeENS0_5tupleIJS8_S9_EEENSB_IJS8_SA_EEENS0_18inequality_wrapperIZN2at6native12_GLOBAL__N_124unique_dim_cuda_templateIN3c104HalfEEESt5tupleIJNSF_6TensorESM_SM_EERKSM_lbbbEUlllE0_EEPmJS9_EEE10hipError_tPvRmT3_T4_T5_T6_T7_T9_mT8_P12ihipStream_tbDpT10_ENKUlT_T0_E_clISt17integral_constantIbLb0EES1C_EEDaS17_S18_EUlS17_E_NS1_11comp_targetILNS1_3genE5ELNS1_11target_archE942ELNS1_3gpuE9ELNS1_3repE0EEENS1_30default_config_static_selectorELNS0_4arch9wavefront6targetE0EEEvT1_,"axG",@progbits,_ZN7rocprim17ROCPRIM_400000_NS6detail17trampoline_kernelINS0_14default_configENS1_25partition_config_selectorILNS1_17partition_subalgoE9EllbEEZZNS1_14partition_implILS5_9ELb0ES3_jPlS8_PNS0_10empty_typeENS0_5tupleIJS8_S9_EEENSB_IJS8_SA_EEENS0_18inequality_wrapperIZN2at6native12_GLOBAL__N_124unique_dim_cuda_templateIN3c104HalfEEESt5tupleIJNSF_6TensorESM_SM_EERKSM_lbbbEUlllE0_EEPmJS9_EEE10hipError_tPvRmT3_T4_T5_T6_T7_T9_mT8_P12ihipStream_tbDpT10_ENKUlT_T0_E_clISt17integral_constantIbLb0EES1C_EEDaS17_S18_EUlS17_E_NS1_11comp_targetILNS1_3genE5ELNS1_11target_archE942ELNS1_3gpuE9ELNS1_3repE0EEENS1_30default_config_static_selectorELNS0_4arch9wavefront6targetE0EEEvT1_,comdat
	.globl	_ZN7rocprim17ROCPRIM_400000_NS6detail17trampoline_kernelINS0_14default_configENS1_25partition_config_selectorILNS1_17partition_subalgoE9EllbEEZZNS1_14partition_implILS5_9ELb0ES3_jPlS8_PNS0_10empty_typeENS0_5tupleIJS8_S9_EEENSB_IJS8_SA_EEENS0_18inequality_wrapperIZN2at6native12_GLOBAL__N_124unique_dim_cuda_templateIN3c104HalfEEESt5tupleIJNSF_6TensorESM_SM_EERKSM_lbbbEUlllE0_EEPmJS9_EEE10hipError_tPvRmT3_T4_T5_T6_T7_T9_mT8_P12ihipStream_tbDpT10_ENKUlT_T0_E_clISt17integral_constantIbLb0EES1C_EEDaS17_S18_EUlS17_E_NS1_11comp_targetILNS1_3genE5ELNS1_11target_archE942ELNS1_3gpuE9ELNS1_3repE0EEENS1_30default_config_static_selectorELNS0_4arch9wavefront6targetE0EEEvT1_ ; -- Begin function _ZN7rocprim17ROCPRIM_400000_NS6detail17trampoline_kernelINS0_14default_configENS1_25partition_config_selectorILNS1_17partition_subalgoE9EllbEEZZNS1_14partition_implILS5_9ELb0ES3_jPlS8_PNS0_10empty_typeENS0_5tupleIJS8_S9_EEENSB_IJS8_SA_EEENS0_18inequality_wrapperIZN2at6native12_GLOBAL__N_124unique_dim_cuda_templateIN3c104HalfEEESt5tupleIJNSF_6TensorESM_SM_EERKSM_lbbbEUlllE0_EEPmJS9_EEE10hipError_tPvRmT3_T4_T5_T6_T7_T9_mT8_P12ihipStream_tbDpT10_ENKUlT_T0_E_clISt17integral_constantIbLb0EES1C_EEDaS17_S18_EUlS17_E_NS1_11comp_targetILNS1_3genE5ELNS1_11target_archE942ELNS1_3gpuE9ELNS1_3repE0EEENS1_30default_config_static_selectorELNS0_4arch9wavefront6targetE0EEEvT1_
	.p2align	8
	.type	_ZN7rocprim17ROCPRIM_400000_NS6detail17trampoline_kernelINS0_14default_configENS1_25partition_config_selectorILNS1_17partition_subalgoE9EllbEEZZNS1_14partition_implILS5_9ELb0ES3_jPlS8_PNS0_10empty_typeENS0_5tupleIJS8_S9_EEENSB_IJS8_SA_EEENS0_18inequality_wrapperIZN2at6native12_GLOBAL__N_124unique_dim_cuda_templateIN3c104HalfEEESt5tupleIJNSF_6TensorESM_SM_EERKSM_lbbbEUlllE0_EEPmJS9_EEE10hipError_tPvRmT3_T4_T5_T6_T7_T9_mT8_P12ihipStream_tbDpT10_ENKUlT_T0_E_clISt17integral_constantIbLb0EES1C_EEDaS17_S18_EUlS17_E_NS1_11comp_targetILNS1_3genE5ELNS1_11target_archE942ELNS1_3gpuE9ELNS1_3repE0EEENS1_30default_config_static_selectorELNS0_4arch9wavefront6targetE0EEEvT1_,@function
_ZN7rocprim17ROCPRIM_400000_NS6detail17trampoline_kernelINS0_14default_configENS1_25partition_config_selectorILNS1_17partition_subalgoE9EllbEEZZNS1_14partition_implILS5_9ELb0ES3_jPlS8_PNS0_10empty_typeENS0_5tupleIJS8_S9_EEENSB_IJS8_SA_EEENS0_18inequality_wrapperIZN2at6native12_GLOBAL__N_124unique_dim_cuda_templateIN3c104HalfEEESt5tupleIJNSF_6TensorESM_SM_EERKSM_lbbbEUlllE0_EEPmJS9_EEE10hipError_tPvRmT3_T4_T5_T6_T7_T9_mT8_P12ihipStream_tbDpT10_ENKUlT_T0_E_clISt17integral_constantIbLb0EES1C_EEDaS17_S18_EUlS17_E_NS1_11comp_targetILNS1_3genE5ELNS1_11target_archE942ELNS1_3gpuE9ELNS1_3repE0EEENS1_30default_config_static_selectorELNS0_4arch9wavefront6targetE0EEEvT1_: ; @_ZN7rocprim17ROCPRIM_400000_NS6detail17trampoline_kernelINS0_14default_configENS1_25partition_config_selectorILNS1_17partition_subalgoE9EllbEEZZNS1_14partition_implILS5_9ELb0ES3_jPlS8_PNS0_10empty_typeENS0_5tupleIJS8_S9_EEENSB_IJS8_SA_EEENS0_18inequality_wrapperIZN2at6native12_GLOBAL__N_124unique_dim_cuda_templateIN3c104HalfEEESt5tupleIJNSF_6TensorESM_SM_EERKSM_lbbbEUlllE0_EEPmJS9_EEE10hipError_tPvRmT3_T4_T5_T6_T7_T9_mT8_P12ihipStream_tbDpT10_ENKUlT_T0_E_clISt17integral_constantIbLb0EES1C_EEDaS17_S18_EUlS17_E_NS1_11comp_targetILNS1_3genE5ELNS1_11target_archE942ELNS1_3gpuE9ELNS1_3repE0EEENS1_30default_config_static_selectorELNS0_4arch9wavefront6targetE0EEEvT1_
; %bb.0:
	.section	.rodata,"a",@progbits
	.p2align	6, 0x0
	.amdhsa_kernel _ZN7rocprim17ROCPRIM_400000_NS6detail17trampoline_kernelINS0_14default_configENS1_25partition_config_selectorILNS1_17partition_subalgoE9EllbEEZZNS1_14partition_implILS5_9ELb0ES3_jPlS8_PNS0_10empty_typeENS0_5tupleIJS8_S9_EEENSB_IJS8_SA_EEENS0_18inequality_wrapperIZN2at6native12_GLOBAL__N_124unique_dim_cuda_templateIN3c104HalfEEESt5tupleIJNSF_6TensorESM_SM_EERKSM_lbbbEUlllE0_EEPmJS9_EEE10hipError_tPvRmT3_T4_T5_T6_T7_T9_mT8_P12ihipStream_tbDpT10_ENKUlT_T0_E_clISt17integral_constantIbLb0EES1C_EEDaS17_S18_EUlS17_E_NS1_11comp_targetILNS1_3genE5ELNS1_11target_archE942ELNS1_3gpuE9ELNS1_3repE0EEENS1_30default_config_static_selectorELNS0_4arch9wavefront6targetE0EEEvT1_
		.amdhsa_group_segment_fixed_size 0
		.amdhsa_private_segment_fixed_size 0
		.amdhsa_kernarg_size 120
		.amdhsa_user_sgpr_count 2
		.amdhsa_user_sgpr_dispatch_ptr 0
		.amdhsa_user_sgpr_queue_ptr 0
		.amdhsa_user_sgpr_kernarg_segment_ptr 1
		.amdhsa_user_sgpr_dispatch_id 0
		.amdhsa_user_sgpr_kernarg_preload_length 0
		.amdhsa_user_sgpr_kernarg_preload_offset 0
		.amdhsa_user_sgpr_private_segment_size 0
		.amdhsa_wavefront_size32 1
		.amdhsa_uses_dynamic_stack 0
		.amdhsa_enable_private_segment 0
		.amdhsa_system_sgpr_workgroup_id_x 1
		.amdhsa_system_sgpr_workgroup_id_y 0
		.amdhsa_system_sgpr_workgroup_id_z 0
		.amdhsa_system_sgpr_workgroup_info 0
		.amdhsa_system_vgpr_workitem_id 0
		.amdhsa_next_free_vgpr 1
		.amdhsa_next_free_sgpr 1
		.amdhsa_named_barrier_count 0
		.amdhsa_reserve_vcc 0
		.amdhsa_float_round_mode_32 0
		.amdhsa_float_round_mode_16_64 0
		.amdhsa_float_denorm_mode_32 3
		.amdhsa_float_denorm_mode_16_64 3
		.amdhsa_fp16_overflow 0
		.amdhsa_memory_ordered 1
		.amdhsa_forward_progress 1
		.amdhsa_inst_pref_size 0
		.amdhsa_round_robin_scheduling 0
		.amdhsa_exception_fp_ieee_invalid_op 0
		.amdhsa_exception_fp_denorm_src 0
		.amdhsa_exception_fp_ieee_div_zero 0
		.amdhsa_exception_fp_ieee_overflow 0
		.amdhsa_exception_fp_ieee_underflow 0
		.amdhsa_exception_fp_ieee_inexact 0
		.amdhsa_exception_int_div_zero 0
	.end_amdhsa_kernel
	.section	.text._ZN7rocprim17ROCPRIM_400000_NS6detail17trampoline_kernelINS0_14default_configENS1_25partition_config_selectorILNS1_17partition_subalgoE9EllbEEZZNS1_14partition_implILS5_9ELb0ES3_jPlS8_PNS0_10empty_typeENS0_5tupleIJS8_S9_EEENSB_IJS8_SA_EEENS0_18inequality_wrapperIZN2at6native12_GLOBAL__N_124unique_dim_cuda_templateIN3c104HalfEEESt5tupleIJNSF_6TensorESM_SM_EERKSM_lbbbEUlllE0_EEPmJS9_EEE10hipError_tPvRmT3_T4_T5_T6_T7_T9_mT8_P12ihipStream_tbDpT10_ENKUlT_T0_E_clISt17integral_constantIbLb0EES1C_EEDaS17_S18_EUlS17_E_NS1_11comp_targetILNS1_3genE5ELNS1_11target_archE942ELNS1_3gpuE9ELNS1_3repE0EEENS1_30default_config_static_selectorELNS0_4arch9wavefront6targetE0EEEvT1_,"axG",@progbits,_ZN7rocprim17ROCPRIM_400000_NS6detail17trampoline_kernelINS0_14default_configENS1_25partition_config_selectorILNS1_17partition_subalgoE9EllbEEZZNS1_14partition_implILS5_9ELb0ES3_jPlS8_PNS0_10empty_typeENS0_5tupleIJS8_S9_EEENSB_IJS8_SA_EEENS0_18inequality_wrapperIZN2at6native12_GLOBAL__N_124unique_dim_cuda_templateIN3c104HalfEEESt5tupleIJNSF_6TensorESM_SM_EERKSM_lbbbEUlllE0_EEPmJS9_EEE10hipError_tPvRmT3_T4_T5_T6_T7_T9_mT8_P12ihipStream_tbDpT10_ENKUlT_T0_E_clISt17integral_constantIbLb0EES1C_EEDaS17_S18_EUlS17_E_NS1_11comp_targetILNS1_3genE5ELNS1_11target_archE942ELNS1_3gpuE9ELNS1_3repE0EEENS1_30default_config_static_selectorELNS0_4arch9wavefront6targetE0EEEvT1_,comdat
.Lfunc_end1330:
	.size	_ZN7rocprim17ROCPRIM_400000_NS6detail17trampoline_kernelINS0_14default_configENS1_25partition_config_selectorILNS1_17partition_subalgoE9EllbEEZZNS1_14partition_implILS5_9ELb0ES3_jPlS8_PNS0_10empty_typeENS0_5tupleIJS8_S9_EEENSB_IJS8_SA_EEENS0_18inequality_wrapperIZN2at6native12_GLOBAL__N_124unique_dim_cuda_templateIN3c104HalfEEESt5tupleIJNSF_6TensorESM_SM_EERKSM_lbbbEUlllE0_EEPmJS9_EEE10hipError_tPvRmT3_T4_T5_T6_T7_T9_mT8_P12ihipStream_tbDpT10_ENKUlT_T0_E_clISt17integral_constantIbLb0EES1C_EEDaS17_S18_EUlS17_E_NS1_11comp_targetILNS1_3genE5ELNS1_11target_archE942ELNS1_3gpuE9ELNS1_3repE0EEENS1_30default_config_static_selectorELNS0_4arch9wavefront6targetE0EEEvT1_, .Lfunc_end1330-_ZN7rocprim17ROCPRIM_400000_NS6detail17trampoline_kernelINS0_14default_configENS1_25partition_config_selectorILNS1_17partition_subalgoE9EllbEEZZNS1_14partition_implILS5_9ELb0ES3_jPlS8_PNS0_10empty_typeENS0_5tupleIJS8_S9_EEENSB_IJS8_SA_EEENS0_18inequality_wrapperIZN2at6native12_GLOBAL__N_124unique_dim_cuda_templateIN3c104HalfEEESt5tupleIJNSF_6TensorESM_SM_EERKSM_lbbbEUlllE0_EEPmJS9_EEE10hipError_tPvRmT3_T4_T5_T6_T7_T9_mT8_P12ihipStream_tbDpT10_ENKUlT_T0_E_clISt17integral_constantIbLb0EES1C_EEDaS17_S18_EUlS17_E_NS1_11comp_targetILNS1_3genE5ELNS1_11target_archE942ELNS1_3gpuE9ELNS1_3repE0EEENS1_30default_config_static_selectorELNS0_4arch9wavefront6targetE0EEEvT1_
                                        ; -- End function
	.set _ZN7rocprim17ROCPRIM_400000_NS6detail17trampoline_kernelINS0_14default_configENS1_25partition_config_selectorILNS1_17partition_subalgoE9EllbEEZZNS1_14partition_implILS5_9ELb0ES3_jPlS8_PNS0_10empty_typeENS0_5tupleIJS8_S9_EEENSB_IJS8_SA_EEENS0_18inequality_wrapperIZN2at6native12_GLOBAL__N_124unique_dim_cuda_templateIN3c104HalfEEESt5tupleIJNSF_6TensorESM_SM_EERKSM_lbbbEUlllE0_EEPmJS9_EEE10hipError_tPvRmT3_T4_T5_T6_T7_T9_mT8_P12ihipStream_tbDpT10_ENKUlT_T0_E_clISt17integral_constantIbLb0EES1C_EEDaS17_S18_EUlS17_E_NS1_11comp_targetILNS1_3genE5ELNS1_11target_archE942ELNS1_3gpuE9ELNS1_3repE0EEENS1_30default_config_static_selectorELNS0_4arch9wavefront6targetE0EEEvT1_.num_vgpr, 0
	.set _ZN7rocprim17ROCPRIM_400000_NS6detail17trampoline_kernelINS0_14default_configENS1_25partition_config_selectorILNS1_17partition_subalgoE9EllbEEZZNS1_14partition_implILS5_9ELb0ES3_jPlS8_PNS0_10empty_typeENS0_5tupleIJS8_S9_EEENSB_IJS8_SA_EEENS0_18inequality_wrapperIZN2at6native12_GLOBAL__N_124unique_dim_cuda_templateIN3c104HalfEEESt5tupleIJNSF_6TensorESM_SM_EERKSM_lbbbEUlllE0_EEPmJS9_EEE10hipError_tPvRmT3_T4_T5_T6_T7_T9_mT8_P12ihipStream_tbDpT10_ENKUlT_T0_E_clISt17integral_constantIbLb0EES1C_EEDaS17_S18_EUlS17_E_NS1_11comp_targetILNS1_3genE5ELNS1_11target_archE942ELNS1_3gpuE9ELNS1_3repE0EEENS1_30default_config_static_selectorELNS0_4arch9wavefront6targetE0EEEvT1_.num_agpr, 0
	.set _ZN7rocprim17ROCPRIM_400000_NS6detail17trampoline_kernelINS0_14default_configENS1_25partition_config_selectorILNS1_17partition_subalgoE9EllbEEZZNS1_14partition_implILS5_9ELb0ES3_jPlS8_PNS0_10empty_typeENS0_5tupleIJS8_S9_EEENSB_IJS8_SA_EEENS0_18inequality_wrapperIZN2at6native12_GLOBAL__N_124unique_dim_cuda_templateIN3c104HalfEEESt5tupleIJNSF_6TensorESM_SM_EERKSM_lbbbEUlllE0_EEPmJS9_EEE10hipError_tPvRmT3_T4_T5_T6_T7_T9_mT8_P12ihipStream_tbDpT10_ENKUlT_T0_E_clISt17integral_constantIbLb0EES1C_EEDaS17_S18_EUlS17_E_NS1_11comp_targetILNS1_3genE5ELNS1_11target_archE942ELNS1_3gpuE9ELNS1_3repE0EEENS1_30default_config_static_selectorELNS0_4arch9wavefront6targetE0EEEvT1_.numbered_sgpr, 0
	.set _ZN7rocprim17ROCPRIM_400000_NS6detail17trampoline_kernelINS0_14default_configENS1_25partition_config_selectorILNS1_17partition_subalgoE9EllbEEZZNS1_14partition_implILS5_9ELb0ES3_jPlS8_PNS0_10empty_typeENS0_5tupleIJS8_S9_EEENSB_IJS8_SA_EEENS0_18inequality_wrapperIZN2at6native12_GLOBAL__N_124unique_dim_cuda_templateIN3c104HalfEEESt5tupleIJNSF_6TensorESM_SM_EERKSM_lbbbEUlllE0_EEPmJS9_EEE10hipError_tPvRmT3_T4_T5_T6_T7_T9_mT8_P12ihipStream_tbDpT10_ENKUlT_T0_E_clISt17integral_constantIbLb0EES1C_EEDaS17_S18_EUlS17_E_NS1_11comp_targetILNS1_3genE5ELNS1_11target_archE942ELNS1_3gpuE9ELNS1_3repE0EEENS1_30default_config_static_selectorELNS0_4arch9wavefront6targetE0EEEvT1_.num_named_barrier, 0
	.set _ZN7rocprim17ROCPRIM_400000_NS6detail17trampoline_kernelINS0_14default_configENS1_25partition_config_selectorILNS1_17partition_subalgoE9EllbEEZZNS1_14partition_implILS5_9ELb0ES3_jPlS8_PNS0_10empty_typeENS0_5tupleIJS8_S9_EEENSB_IJS8_SA_EEENS0_18inequality_wrapperIZN2at6native12_GLOBAL__N_124unique_dim_cuda_templateIN3c104HalfEEESt5tupleIJNSF_6TensorESM_SM_EERKSM_lbbbEUlllE0_EEPmJS9_EEE10hipError_tPvRmT3_T4_T5_T6_T7_T9_mT8_P12ihipStream_tbDpT10_ENKUlT_T0_E_clISt17integral_constantIbLb0EES1C_EEDaS17_S18_EUlS17_E_NS1_11comp_targetILNS1_3genE5ELNS1_11target_archE942ELNS1_3gpuE9ELNS1_3repE0EEENS1_30default_config_static_selectorELNS0_4arch9wavefront6targetE0EEEvT1_.private_seg_size, 0
	.set _ZN7rocprim17ROCPRIM_400000_NS6detail17trampoline_kernelINS0_14default_configENS1_25partition_config_selectorILNS1_17partition_subalgoE9EllbEEZZNS1_14partition_implILS5_9ELb0ES3_jPlS8_PNS0_10empty_typeENS0_5tupleIJS8_S9_EEENSB_IJS8_SA_EEENS0_18inequality_wrapperIZN2at6native12_GLOBAL__N_124unique_dim_cuda_templateIN3c104HalfEEESt5tupleIJNSF_6TensorESM_SM_EERKSM_lbbbEUlllE0_EEPmJS9_EEE10hipError_tPvRmT3_T4_T5_T6_T7_T9_mT8_P12ihipStream_tbDpT10_ENKUlT_T0_E_clISt17integral_constantIbLb0EES1C_EEDaS17_S18_EUlS17_E_NS1_11comp_targetILNS1_3genE5ELNS1_11target_archE942ELNS1_3gpuE9ELNS1_3repE0EEENS1_30default_config_static_selectorELNS0_4arch9wavefront6targetE0EEEvT1_.uses_vcc, 0
	.set _ZN7rocprim17ROCPRIM_400000_NS6detail17trampoline_kernelINS0_14default_configENS1_25partition_config_selectorILNS1_17partition_subalgoE9EllbEEZZNS1_14partition_implILS5_9ELb0ES3_jPlS8_PNS0_10empty_typeENS0_5tupleIJS8_S9_EEENSB_IJS8_SA_EEENS0_18inequality_wrapperIZN2at6native12_GLOBAL__N_124unique_dim_cuda_templateIN3c104HalfEEESt5tupleIJNSF_6TensorESM_SM_EERKSM_lbbbEUlllE0_EEPmJS9_EEE10hipError_tPvRmT3_T4_T5_T6_T7_T9_mT8_P12ihipStream_tbDpT10_ENKUlT_T0_E_clISt17integral_constantIbLb0EES1C_EEDaS17_S18_EUlS17_E_NS1_11comp_targetILNS1_3genE5ELNS1_11target_archE942ELNS1_3gpuE9ELNS1_3repE0EEENS1_30default_config_static_selectorELNS0_4arch9wavefront6targetE0EEEvT1_.uses_flat_scratch, 0
	.set _ZN7rocprim17ROCPRIM_400000_NS6detail17trampoline_kernelINS0_14default_configENS1_25partition_config_selectorILNS1_17partition_subalgoE9EllbEEZZNS1_14partition_implILS5_9ELb0ES3_jPlS8_PNS0_10empty_typeENS0_5tupleIJS8_S9_EEENSB_IJS8_SA_EEENS0_18inequality_wrapperIZN2at6native12_GLOBAL__N_124unique_dim_cuda_templateIN3c104HalfEEESt5tupleIJNSF_6TensorESM_SM_EERKSM_lbbbEUlllE0_EEPmJS9_EEE10hipError_tPvRmT3_T4_T5_T6_T7_T9_mT8_P12ihipStream_tbDpT10_ENKUlT_T0_E_clISt17integral_constantIbLb0EES1C_EEDaS17_S18_EUlS17_E_NS1_11comp_targetILNS1_3genE5ELNS1_11target_archE942ELNS1_3gpuE9ELNS1_3repE0EEENS1_30default_config_static_selectorELNS0_4arch9wavefront6targetE0EEEvT1_.has_dyn_sized_stack, 0
	.set _ZN7rocprim17ROCPRIM_400000_NS6detail17trampoline_kernelINS0_14default_configENS1_25partition_config_selectorILNS1_17partition_subalgoE9EllbEEZZNS1_14partition_implILS5_9ELb0ES3_jPlS8_PNS0_10empty_typeENS0_5tupleIJS8_S9_EEENSB_IJS8_SA_EEENS0_18inequality_wrapperIZN2at6native12_GLOBAL__N_124unique_dim_cuda_templateIN3c104HalfEEESt5tupleIJNSF_6TensorESM_SM_EERKSM_lbbbEUlllE0_EEPmJS9_EEE10hipError_tPvRmT3_T4_T5_T6_T7_T9_mT8_P12ihipStream_tbDpT10_ENKUlT_T0_E_clISt17integral_constantIbLb0EES1C_EEDaS17_S18_EUlS17_E_NS1_11comp_targetILNS1_3genE5ELNS1_11target_archE942ELNS1_3gpuE9ELNS1_3repE0EEENS1_30default_config_static_selectorELNS0_4arch9wavefront6targetE0EEEvT1_.has_recursion, 0
	.set _ZN7rocprim17ROCPRIM_400000_NS6detail17trampoline_kernelINS0_14default_configENS1_25partition_config_selectorILNS1_17partition_subalgoE9EllbEEZZNS1_14partition_implILS5_9ELb0ES3_jPlS8_PNS0_10empty_typeENS0_5tupleIJS8_S9_EEENSB_IJS8_SA_EEENS0_18inequality_wrapperIZN2at6native12_GLOBAL__N_124unique_dim_cuda_templateIN3c104HalfEEESt5tupleIJNSF_6TensorESM_SM_EERKSM_lbbbEUlllE0_EEPmJS9_EEE10hipError_tPvRmT3_T4_T5_T6_T7_T9_mT8_P12ihipStream_tbDpT10_ENKUlT_T0_E_clISt17integral_constantIbLb0EES1C_EEDaS17_S18_EUlS17_E_NS1_11comp_targetILNS1_3genE5ELNS1_11target_archE942ELNS1_3gpuE9ELNS1_3repE0EEENS1_30default_config_static_selectorELNS0_4arch9wavefront6targetE0EEEvT1_.has_indirect_call, 0
	.section	.AMDGPU.csdata,"",@progbits
; Kernel info:
; codeLenInByte = 0
; TotalNumSgprs: 0
; NumVgprs: 0
; ScratchSize: 0
; MemoryBound: 0
; FloatMode: 240
; IeeeMode: 1
; LDSByteSize: 0 bytes/workgroup (compile time only)
; SGPRBlocks: 0
; VGPRBlocks: 0
; NumSGPRsForWavesPerEU: 1
; NumVGPRsForWavesPerEU: 1
; NamedBarCnt: 0
; Occupancy: 16
; WaveLimiterHint : 0
; COMPUTE_PGM_RSRC2:SCRATCH_EN: 0
; COMPUTE_PGM_RSRC2:USER_SGPR: 2
; COMPUTE_PGM_RSRC2:TRAP_HANDLER: 0
; COMPUTE_PGM_RSRC2:TGID_X_EN: 1
; COMPUTE_PGM_RSRC2:TGID_Y_EN: 0
; COMPUTE_PGM_RSRC2:TGID_Z_EN: 0
; COMPUTE_PGM_RSRC2:TIDIG_COMP_CNT: 0
	.section	.text._ZN7rocprim17ROCPRIM_400000_NS6detail17trampoline_kernelINS0_14default_configENS1_25partition_config_selectorILNS1_17partition_subalgoE9EllbEEZZNS1_14partition_implILS5_9ELb0ES3_jPlS8_PNS0_10empty_typeENS0_5tupleIJS8_S9_EEENSB_IJS8_SA_EEENS0_18inequality_wrapperIZN2at6native12_GLOBAL__N_124unique_dim_cuda_templateIN3c104HalfEEESt5tupleIJNSF_6TensorESM_SM_EERKSM_lbbbEUlllE0_EEPmJS9_EEE10hipError_tPvRmT3_T4_T5_T6_T7_T9_mT8_P12ihipStream_tbDpT10_ENKUlT_T0_E_clISt17integral_constantIbLb0EES1C_EEDaS17_S18_EUlS17_E_NS1_11comp_targetILNS1_3genE4ELNS1_11target_archE910ELNS1_3gpuE8ELNS1_3repE0EEENS1_30default_config_static_selectorELNS0_4arch9wavefront6targetE0EEEvT1_,"axG",@progbits,_ZN7rocprim17ROCPRIM_400000_NS6detail17trampoline_kernelINS0_14default_configENS1_25partition_config_selectorILNS1_17partition_subalgoE9EllbEEZZNS1_14partition_implILS5_9ELb0ES3_jPlS8_PNS0_10empty_typeENS0_5tupleIJS8_S9_EEENSB_IJS8_SA_EEENS0_18inequality_wrapperIZN2at6native12_GLOBAL__N_124unique_dim_cuda_templateIN3c104HalfEEESt5tupleIJNSF_6TensorESM_SM_EERKSM_lbbbEUlllE0_EEPmJS9_EEE10hipError_tPvRmT3_T4_T5_T6_T7_T9_mT8_P12ihipStream_tbDpT10_ENKUlT_T0_E_clISt17integral_constantIbLb0EES1C_EEDaS17_S18_EUlS17_E_NS1_11comp_targetILNS1_3genE4ELNS1_11target_archE910ELNS1_3gpuE8ELNS1_3repE0EEENS1_30default_config_static_selectorELNS0_4arch9wavefront6targetE0EEEvT1_,comdat
	.globl	_ZN7rocprim17ROCPRIM_400000_NS6detail17trampoline_kernelINS0_14default_configENS1_25partition_config_selectorILNS1_17partition_subalgoE9EllbEEZZNS1_14partition_implILS5_9ELb0ES3_jPlS8_PNS0_10empty_typeENS0_5tupleIJS8_S9_EEENSB_IJS8_SA_EEENS0_18inequality_wrapperIZN2at6native12_GLOBAL__N_124unique_dim_cuda_templateIN3c104HalfEEESt5tupleIJNSF_6TensorESM_SM_EERKSM_lbbbEUlllE0_EEPmJS9_EEE10hipError_tPvRmT3_T4_T5_T6_T7_T9_mT8_P12ihipStream_tbDpT10_ENKUlT_T0_E_clISt17integral_constantIbLb0EES1C_EEDaS17_S18_EUlS17_E_NS1_11comp_targetILNS1_3genE4ELNS1_11target_archE910ELNS1_3gpuE8ELNS1_3repE0EEENS1_30default_config_static_selectorELNS0_4arch9wavefront6targetE0EEEvT1_ ; -- Begin function _ZN7rocprim17ROCPRIM_400000_NS6detail17trampoline_kernelINS0_14default_configENS1_25partition_config_selectorILNS1_17partition_subalgoE9EllbEEZZNS1_14partition_implILS5_9ELb0ES3_jPlS8_PNS0_10empty_typeENS0_5tupleIJS8_S9_EEENSB_IJS8_SA_EEENS0_18inequality_wrapperIZN2at6native12_GLOBAL__N_124unique_dim_cuda_templateIN3c104HalfEEESt5tupleIJNSF_6TensorESM_SM_EERKSM_lbbbEUlllE0_EEPmJS9_EEE10hipError_tPvRmT3_T4_T5_T6_T7_T9_mT8_P12ihipStream_tbDpT10_ENKUlT_T0_E_clISt17integral_constantIbLb0EES1C_EEDaS17_S18_EUlS17_E_NS1_11comp_targetILNS1_3genE4ELNS1_11target_archE910ELNS1_3gpuE8ELNS1_3repE0EEENS1_30default_config_static_selectorELNS0_4arch9wavefront6targetE0EEEvT1_
	.p2align	8
	.type	_ZN7rocprim17ROCPRIM_400000_NS6detail17trampoline_kernelINS0_14default_configENS1_25partition_config_selectorILNS1_17partition_subalgoE9EllbEEZZNS1_14partition_implILS5_9ELb0ES3_jPlS8_PNS0_10empty_typeENS0_5tupleIJS8_S9_EEENSB_IJS8_SA_EEENS0_18inequality_wrapperIZN2at6native12_GLOBAL__N_124unique_dim_cuda_templateIN3c104HalfEEESt5tupleIJNSF_6TensorESM_SM_EERKSM_lbbbEUlllE0_EEPmJS9_EEE10hipError_tPvRmT3_T4_T5_T6_T7_T9_mT8_P12ihipStream_tbDpT10_ENKUlT_T0_E_clISt17integral_constantIbLb0EES1C_EEDaS17_S18_EUlS17_E_NS1_11comp_targetILNS1_3genE4ELNS1_11target_archE910ELNS1_3gpuE8ELNS1_3repE0EEENS1_30default_config_static_selectorELNS0_4arch9wavefront6targetE0EEEvT1_,@function
_ZN7rocprim17ROCPRIM_400000_NS6detail17trampoline_kernelINS0_14default_configENS1_25partition_config_selectorILNS1_17partition_subalgoE9EllbEEZZNS1_14partition_implILS5_9ELb0ES3_jPlS8_PNS0_10empty_typeENS0_5tupleIJS8_S9_EEENSB_IJS8_SA_EEENS0_18inequality_wrapperIZN2at6native12_GLOBAL__N_124unique_dim_cuda_templateIN3c104HalfEEESt5tupleIJNSF_6TensorESM_SM_EERKSM_lbbbEUlllE0_EEPmJS9_EEE10hipError_tPvRmT3_T4_T5_T6_T7_T9_mT8_P12ihipStream_tbDpT10_ENKUlT_T0_E_clISt17integral_constantIbLb0EES1C_EEDaS17_S18_EUlS17_E_NS1_11comp_targetILNS1_3genE4ELNS1_11target_archE910ELNS1_3gpuE8ELNS1_3repE0EEENS1_30default_config_static_selectorELNS0_4arch9wavefront6targetE0EEEvT1_: ; @_ZN7rocprim17ROCPRIM_400000_NS6detail17trampoline_kernelINS0_14default_configENS1_25partition_config_selectorILNS1_17partition_subalgoE9EllbEEZZNS1_14partition_implILS5_9ELb0ES3_jPlS8_PNS0_10empty_typeENS0_5tupleIJS8_S9_EEENSB_IJS8_SA_EEENS0_18inequality_wrapperIZN2at6native12_GLOBAL__N_124unique_dim_cuda_templateIN3c104HalfEEESt5tupleIJNSF_6TensorESM_SM_EERKSM_lbbbEUlllE0_EEPmJS9_EEE10hipError_tPvRmT3_T4_T5_T6_T7_T9_mT8_P12ihipStream_tbDpT10_ENKUlT_T0_E_clISt17integral_constantIbLb0EES1C_EEDaS17_S18_EUlS17_E_NS1_11comp_targetILNS1_3genE4ELNS1_11target_archE910ELNS1_3gpuE8ELNS1_3repE0EEENS1_30default_config_static_selectorELNS0_4arch9wavefront6targetE0EEEvT1_
; %bb.0:
	.section	.rodata,"a",@progbits
	.p2align	6, 0x0
	.amdhsa_kernel _ZN7rocprim17ROCPRIM_400000_NS6detail17trampoline_kernelINS0_14default_configENS1_25partition_config_selectorILNS1_17partition_subalgoE9EllbEEZZNS1_14partition_implILS5_9ELb0ES3_jPlS8_PNS0_10empty_typeENS0_5tupleIJS8_S9_EEENSB_IJS8_SA_EEENS0_18inequality_wrapperIZN2at6native12_GLOBAL__N_124unique_dim_cuda_templateIN3c104HalfEEESt5tupleIJNSF_6TensorESM_SM_EERKSM_lbbbEUlllE0_EEPmJS9_EEE10hipError_tPvRmT3_T4_T5_T6_T7_T9_mT8_P12ihipStream_tbDpT10_ENKUlT_T0_E_clISt17integral_constantIbLb0EES1C_EEDaS17_S18_EUlS17_E_NS1_11comp_targetILNS1_3genE4ELNS1_11target_archE910ELNS1_3gpuE8ELNS1_3repE0EEENS1_30default_config_static_selectorELNS0_4arch9wavefront6targetE0EEEvT1_
		.amdhsa_group_segment_fixed_size 0
		.amdhsa_private_segment_fixed_size 0
		.amdhsa_kernarg_size 120
		.amdhsa_user_sgpr_count 2
		.amdhsa_user_sgpr_dispatch_ptr 0
		.amdhsa_user_sgpr_queue_ptr 0
		.amdhsa_user_sgpr_kernarg_segment_ptr 1
		.amdhsa_user_sgpr_dispatch_id 0
		.amdhsa_user_sgpr_kernarg_preload_length 0
		.amdhsa_user_sgpr_kernarg_preload_offset 0
		.amdhsa_user_sgpr_private_segment_size 0
		.amdhsa_wavefront_size32 1
		.amdhsa_uses_dynamic_stack 0
		.amdhsa_enable_private_segment 0
		.amdhsa_system_sgpr_workgroup_id_x 1
		.amdhsa_system_sgpr_workgroup_id_y 0
		.amdhsa_system_sgpr_workgroup_id_z 0
		.amdhsa_system_sgpr_workgroup_info 0
		.amdhsa_system_vgpr_workitem_id 0
		.amdhsa_next_free_vgpr 1
		.amdhsa_next_free_sgpr 1
		.amdhsa_named_barrier_count 0
		.amdhsa_reserve_vcc 0
		.amdhsa_float_round_mode_32 0
		.amdhsa_float_round_mode_16_64 0
		.amdhsa_float_denorm_mode_32 3
		.amdhsa_float_denorm_mode_16_64 3
		.amdhsa_fp16_overflow 0
		.amdhsa_memory_ordered 1
		.amdhsa_forward_progress 1
		.amdhsa_inst_pref_size 0
		.amdhsa_round_robin_scheduling 0
		.amdhsa_exception_fp_ieee_invalid_op 0
		.amdhsa_exception_fp_denorm_src 0
		.amdhsa_exception_fp_ieee_div_zero 0
		.amdhsa_exception_fp_ieee_overflow 0
		.amdhsa_exception_fp_ieee_underflow 0
		.amdhsa_exception_fp_ieee_inexact 0
		.amdhsa_exception_int_div_zero 0
	.end_amdhsa_kernel
	.section	.text._ZN7rocprim17ROCPRIM_400000_NS6detail17trampoline_kernelINS0_14default_configENS1_25partition_config_selectorILNS1_17partition_subalgoE9EllbEEZZNS1_14partition_implILS5_9ELb0ES3_jPlS8_PNS0_10empty_typeENS0_5tupleIJS8_S9_EEENSB_IJS8_SA_EEENS0_18inequality_wrapperIZN2at6native12_GLOBAL__N_124unique_dim_cuda_templateIN3c104HalfEEESt5tupleIJNSF_6TensorESM_SM_EERKSM_lbbbEUlllE0_EEPmJS9_EEE10hipError_tPvRmT3_T4_T5_T6_T7_T9_mT8_P12ihipStream_tbDpT10_ENKUlT_T0_E_clISt17integral_constantIbLb0EES1C_EEDaS17_S18_EUlS17_E_NS1_11comp_targetILNS1_3genE4ELNS1_11target_archE910ELNS1_3gpuE8ELNS1_3repE0EEENS1_30default_config_static_selectorELNS0_4arch9wavefront6targetE0EEEvT1_,"axG",@progbits,_ZN7rocprim17ROCPRIM_400000_NS6detail17trampoline_kernelINS0_14default_configENS1_25partition_config_selectorILNS1_17partition_subalgoE9EllbEEZZNS1_14partition_implILS5_9ELb0ES3_jPlS8_PNS0_10empty_typeENS0_5tupleIJS8_S9_EEENSB_IJS8_SA_EEENS0_18inequality_wrapperIZN2at6native12_GLOBAL__N_124unique_dim_cuda_templateIN3c104HalfEEESt5tupleIJNSF_6TensorESM_SM_EERKSM_lbbbEUlllE0_EEPmJS9_EEE10hipError_tPvRmT3_T4_T5_T6_T7_T9_mT8_P12ihipStream_tbDpT10_ENKUlT_T0_E_clISt17integral_constantIbLb0EES1C_EEDaS17_S18_EUlS17_E_NS1_11comp_targetILNS1_3genE4ELNS1_11target_archE910ELNS1_3gpuE8ELNS1_3repE0EEENS1_30default_config_static_selectorELNS0_4arch9wavefront6targetE0EEEvT1_,comdat
.Lfunc_end1331:
	.size	_ZN7rocprim17ROCPRIM_400000_NS6detail17trampoline_kernelINS0_14default_configENS1_25partition_config_selectorILNS1_17partition_subalgoE9EllbEEZZNS1_14partition_implILS5_9ELb0ES3_jPlS8_PNS0_10empty_typeENS0_5tupleIJS8_S9_EEENSB_IJS8_SA_EEENS0_18inequality_wrapperIZN2at6native12_GLOBAL__N_124unique_dim_cuda_templateIN3c104HalfEEESt5tupleIJNSF_6TensorESM_SM_EERKSM_lbbbEUlllE0_EEPmJS9_EEE10hipError_tPvRmT3_T4_T5_T6_T7_T9_mT8_P12ihipStream_tbDpT10_ENKUlT_T0_E_clISt17integral_constantIbLb0EES1C_EEDaS17_S18_EUlS17_E_NS1_11comp_targetILNS1_3genE4ELNS1_11target_archE910ELNS1_3gpuE8ELNS1_3repE0EEENS1_30default_config_static_selectorELNS0_4arch9wavefront6targetE0EEEvT1_, .Lfunc_end1331-_ZN7rocprim17ROCPRIM_400000_NS6detail17trampoline_kernelINS0_14default_configENS1_25partition_config_selectorILNS1_17partition_subalgoE9EllbEEZZNS1_14partition_implILS5_9ELb0ES3_jPlS8_PNS0_10empty_typeENS0_5tupleIJS8_S9_EEENSB_IJS8_SA_EEENS0_18inequality_wrapperIZN2at6native12_GLOBAL__N_124unique_dim_cuda_templateIN3c104HalfEEESt5tupleIJNSF_6TensorESM_SM_EERKSM_lbbbEUlllE0_EEPmJS9_EEE10hipError_tPvRmT3_T4_T5_T6_T7_T9_mT8_P12ihipStream_tbDpT10_ENKUlT_T0_E_clISt17integral_constantIbLb0EES1C_EEDaS17_S18_EUlS17_E_NS1_11comp_targetILNS1_3genE4ELNS1_11target_archE910ELNS1_3gpuE8ELNS1_3repE0EEENS1_30default_config_static_selectorELNS0_4arch9wavefront6targetE0EEEvT1_
                                        ; -- End function
	.set _ZN7rocprim17ROCPRIM_400000_NS6detail17trampoline_kernelINS0_14default_configENS1_25partition_config_selectorILNS1_17partition_subalgoE9EllbEEZZNS1_14partition_implILS5_9ELb0ES3_jPlS8_PNS0_10empty_typeENS0_5tupleIJS8_S9_EEENSB_IJS8_SA_EEENS0_18inequality_wrapperIZN2at6native12_GLOBAL__N_124unique_dim_cuda_templateIN3c104HalfEEESt5tupleIJNSF_6TensorESM_SM_EERKSM_lbbbEUlllE0_EEPmJS9_EEE10hipError_tPvRmT3_T4_T5_T6_T7_T9_mT8_P12ihipStream_tbDpT10_ENKUlT_T0_E_clISt17integral_constantIbLb0EES1C_EEDaS17_S18_EUlS17_E_NS1_11comp_targetILNS1_3genE4ELNS1_11target_archE910ELNS1_3gpuE8ELNS1_3repE0EEENS1_30default_config_static_selectorELNS0_4arch9wavefront6targetE0EEEvT1_.num_vgpr, 0
	.set _ZN7rocprim17ROCPRIM_400000_NS6detail17trampoline_kernelINS0_14default_configENS1_25partition_config_selectorILNS1_17partition_subalgoE9EllbEEZZNS1_14partition_implILS5_9ELb0ES3_jPlS8_PNS0_10empty_typeENS0_5tupleIJS8_S9_EEENSB_IJS8_SA_EEENS0_18inequality_wrapperIZN2at6native12_GLOBAL__N_124unique_dim_cuda_templateIN3c104HalfEEESt5tupleIJNSF_6TensorESM_SM_EERKSM_lbbbEUlllE0_EEPmJS9_EEE10hipError_tPvRmT3_T4_T5_T6_T7_T9_mT8_P12ihipStream_tbDpT10_ENKUlT_T0_E_clISt17integral_constantIbLb0EES1C_EEDaS17_S18_EUlS17_E_NS1_11comp_targetILNS1_3genE4ELNS1_11target_archE910ELNS1_3gpuE8ELNS1_3repE0EEENS1_30default_config_static_selectorELNS0_4arch9wavefront6targetE0EEEvT1_.num_agpr, 0
	.set _ZN7rocprim17ROCPRIM_400000_NS6detail17trampoline_kernelINS0_14default_configENS1_25partition_config_selectorILNS1_17partition_subalgoE9EllbEEZZNS1_14partition_implILS5_9ELb0ES3_jPlS8_PNS0_10empty_typeENS0_5tupleIJS8_S9_EEENSB_IJS8_SA_EEENS0_18inequality_wrapperIZN2at6native12_GLOBAL__N_124unique_dim_cuda_templateIN3c104HalfEEESt5tupleIJNSF_6TensorESM_SM_EERKSM_lbbbEUlllE0_EEPmJS9_EEE10hipError_tPvRmT3_T4_T5_T6_T7_T9_mT8_P12ihipStream_tbDpT10_ENKUlT_T0_E_clISt17integral_constantIbLb0EES1C_EEDaS17_S18_EUlS17_E_NS1_11comp_targetILNS1_3genE4ELNS1_11target_archE910ELNS1_3gpuE8ELNS1_3repE0EEENS1_30default_config_static_selectorELNS0_4arch9wavefront6targetE0EEEvT1_.numbered_sgpr, 0
	.set _ZN7rocprim17ROCPRIM_400000_NS6detail17trampoline_kernelINS0_14default_configENS1_25partition_config_selectorILNS1_17partition_subalgoE9EllbEEZZNS1_14partition_implILS5_9ELb0ES3_jPlS8_PNS0_10empty_typeENS0_5tupleIJS8_S9_EEENSB_IJS8_SA_EEENS0_18inequality_wrapperIZN2at6native12_GLOBAL__N_124unique_dim_cuda_templateIN3c104HalfEEESt5tupleIJNSF_6TensorESM_SM_EERKSM_lbbbEUlllE0_EEPmJS9_EEE10hipError_tPvRmT3_T4_T5_T6_T7_T9_mT8_P12ihipStream_tbDpT10_ENKUlT_T0_E_clISt17integral_constantIbLb0EES1C_EEDaS17_S18_EUlS17_E_NS1_11comp_targetILNS1_3genE4ELNS1_11target_archE910ELNS1_3gpuE8ELNS1_3repE0EEENS1_30default_config_static_selectorELNS0_4arch9wavefront6targetE0EEEvT1_.num_named_barrier, 0
	.set _ZN7rocprim17ROCPRIM_400000_NS6detail17trampoline_kernelINS0_14default_configENS1_25partition_config_selectorILNS1_17partition_subalgoE9EllbEEZZNS1_14partition_implILS5_9ELb0ES3_jPlS8_PNS0_10empty_typeENS0_5tupleIJS8_S9_EEENSB_IJS8_SA_EEENS0_18inequality_wrapperIZN2at6native12_GLOBAL__N_124unique_dim_cuda_templateIN3c104HalfEEESt5tupleIJNSF_6TensorESM_SM_EERKSM_lbbbEUlllE0_EEPmJS9_EEE10hipError_tPvRmT3_T4_T5_T6_T7_T9_mT8_P12ihipStream_tbDpT10_ENKUlT_T0_E_clISt17integral_constantIbLb0EES1C_EEDaS17_S18_EUlS17_E_NS1_11comp_targetILNS1_3genE4ELNS1_11target_archE910ELNS1_3gpuE8ELNS1_3repE0EEENS1_30default_config_static_selectorELNS0_4arch9wavefront6targetE0EEEvT1_.private_seg_size, 0
	.set _ZN7rocprim17ROCPRIM_400000_NS6detail17trampoline_kernelINS0_14default_configENS1_25partition_config_selectorILNS1_17partition_subalgoE9EllbEEZZNS1_14partition_implILS5_9ELb0ES3_jPlS8_PNS0_10empty_typeENS0_5tupleIJS8_S9_EEENSB_IJS8_SA_EEENS0_18inequality_wrapperIZN2at6native12_GLOBAL__N_124unique_dim_cuda_templateIN3c104HalfEEESt5tupleIJNSF_6TensorESM_SM_EERKSM_lbbbEUlllE0_EEPmJS9_EEE10hipError_tPvRmT3_T4_T5_T6_T7_T9_mT8_P12ihipStream_tbDpT10_ENKUlT_T0_E_clISt17integral_constantIbLb0EES1C_EEDaS17_S18_EUlS17_E_NS1_11comp_targetILNS1_3genE4ELNS1_11target_archE910ELNS1_3gpuE8ELNS1_3repE0EEENS1_30default_config_static_selectorELNS0_4arch9wavefront6targetE0EEEvT1_.uses_vcc, 0
	.set _ZN7rocprim17ROCPRIM_400000_NS6detail17trampoline_kernelINS0_14default_configENS1_25partition_config_selectorILNS1_17partition_subalgoE9EllbEEZZNS1_14partition_implILS5_9ELb0ES3_jPlS8_PNS0_10empty_typeENS0_5tupleIJS8_S9_EEENSB_IJS8_SA_EEENS0_18inequality_wrapperIZN2at6native12_GLOBAL__N_124unique_dim_cuda_templateIN3c104HalfEEESt5tupleIJNSF_6TensorESM_SM_EERKSM_lbbbEUlllE0_EEPmJS9_EEE10hipError_tPvRmT3_T4_T5_T6_T7_T9_mT8_P12ihipStream_tbDpT10_ENKUlT_T0_E_clISt17integral_constantIbLb0EES1C_EEDaS17_S18_EUlS17_E_NS1_11comp_targetILNS1_3genE4ELNS1_11target_archE910ELNS1_3gpuE8ELNS1_3repE0EEENS1_30default_config_static_selectorELNS0_4arch9wavefront6targetE0EEEvT1_.uses_flat_scratch, 0
	.set _ZN7rocprim17ROCPRIM_400000_NS6detail17trampoline_kernelINS0_14default_configENS1_25partition_config_selectorILNS1_17partition_subalgoE9EllbEEZZNS1_14partition_implILS5_9ELb0ES3_jPlS8_PNS0_10empty_typeENS0_5tupleIJS8_S9_EEENSB_IJS8_SA_EEENS0_18inequality_wrapperIZN2at6native12_GLOBAL__N_124unique_dim_cuda_templateIN3c104HalfEEESt5tupleIJNSF_6TensorESM_SM_EERKSM_lbbbEUlllE0_EEPmJS9_EEE10hipError_tPvRmT3_T4_T5_T6_T7_T9_mT8_P12ihipStream_tbDpT10_ENKUlT_T0_E_clISt17integral_constantIbLb0EES1C_EEDaS17_S18_EUlS17_E_NS1_11comp_targetILNS1_3genE4ELNS1_11target_archE910ELNS1_3gpuE8ELNS1_3repE0EEENS1_30default_config_static_selectorELNS0_4arch9wavefront6targetE0EEEvT1_.has_dyn_sized_stack, 0
	.set _ZN7rocprim17ROCPRIM_400000_NS6detail17trampoline_kernelINS0_14default_configENS1_25partition_config_selectorILNS1_17partition_subalgoE9EllbEEZZNS1_14partition_implILS5_9ELb0ES3_jPlS8_PNS0_10empty_typeENS0_5tupleIJS8_S9_EEENSB_IJS8_SA_EEENS0_18inequality_wrapperIZN2at6native12_GLOBAL__N_124unique_dim_cuda_templateIN3c104HalfEEESt5tupleIJNSF_6TensorESM_SM_EERKSM_lbbbEUlllE0_EEPmJS9_EEE10hipError_tPvRmT3_T4_T5_T6_T7_T9_mT8_P12ihipStream_tbDpT10_ENKUlT_T0_E_clISt17integral_constantIbLb0EES1C_EEDaS17_S18_EUlS17_E_NS1_11comp_targetILNS1_3genE4ELNS1_11target_archE910ELNS1_3gpuE8ELNS1_3repE0EEENS1_30default_config_static_selectorELNS0_4arch9wavefront6targetE0EEEvT1_.has_recursion, 0
	.set _ZN7rocprim17ROCPRIM_400000_NS6detail17trampoline_kernelINS0_14default_configENS1_25partition_config_selectorILNS1_17partition_subalgoE9EllbEEZZNS1_14partition_implILS5_9ELb0ES3_jPlS8_PNS0_10empty_typeENS0_5tupleIJS8_S9_EEENSB_IJS8_SA_EEENS0_18inequality_wrapperIZN2at6native12_GLOBAL__N_124unique_dim_cuda_templateIN3c104HalfEEESt5tupleIJNSF_6TensorESM_SM_EERKSM_lbbbEUlllE0_EEPmJS9_EEE10hipError_tPvRmT3_T4_T5_T6_T7_T9_mT8_P12ihipStream_tbDpT10_ENKUlT_T0_E_clISt17integral_constantIbLb0EES1C_EEDaS17_S18_EUlS17_E_NS1_11comp_targetILNS1_3genE4ELNS1_11target_archE910ELNS1_3gpuE8ELNS1_3repE0EEENS1_30default_config_static_selectorELNS0_4arch9wavefront6targetE0EEEvT1_.has_indirect_call, 0
	.section	.AMDGPU.csdata,"",@progbits
; Kernel info:
; codeLenInByte = 0
; TotalNumSgprs: 0
; NumVgprs: 0
; ScratchSize: 0
; MemoryBound: 0
; FloatMode: 240
; IeeeMode: 1
; LDSByteSize: 0 bytes/workgroup (compile time only)
; SGPRBlocks: 0
; VGPRBlocks: 0
; NumSGPRsForWavesPerEU: 1
; NumVGPRsForWavesPerEU: 1
; NamedBarCnt: 0
; Occupancy: 16
; WaveLimiterHint : 0
; COMPUTE_PGM_RSRC2:SCRATCH_EN: 0
; COMPUTE_PGM_RSRC2:USER_SGPR: 2
; COMPUTE_PGM_RSRC2:TRAP_HANDLER: 0
; COMPUTE_PGM_RSRC2:TGID_X_EN: 1
; COMPUTE_PGM_RSRC2:TGID_Y_EN: 0
; COMPUTE_PGM_RSRC2:TGID_Z_EN: 0
; COMPUTE_PGM_RSRC2:TIDIG_COMP_CNT: 0
	.section	.text._ZN7rocprim17ROCPRIM_400000_NS6detail17trampoline_kernelINS0_14default_configENS1_25partition_config_selectorILNS1_17partition_subalgoE9EllbEEZZNS1_14partition_implILS5_9ELb0ES3_jPlS8_PNS0_10empty_typeENS0_5tupleIJS8_S9_EEENSB_IJS8_SA_EEENS0_18inequality_wrapperIZN2at6native12_GLOBAL__N_124unique_dim_cuda_templateIN3c104HalfEEESt5tupleIJNSF_6TensorESM_SM_EERKSM_lbbbEUlllE0_EEPmJS9_EEE10hipError_tPvRmT3_T4_T5_T6_T7_T9_mT8_P12ihipStream_tbDpT10_ENKUlT_T0_E_clISt17integral_constantIbLb0EES1C_EEDaS17_S18_EUlS17_E_NS1_11comp_targetILNS1_3genE3ELNS1_11target_archE908ELNS1_3gpuE7ELNS1_3repE0EEENS1_30default_config_static_selectorELNS0_4arch9wavefront6targetE0EEEvT1_,"axG",@progbits,_ZN7rocprim17ROCPRIM_400000_NS6detail17trampoline_kernelINS0_14default_configENS1_25partition_config_selectorILNS1_17partition_subalgoE9EllbEEZZNS1_14partition_implILS5_9ELb0ES3_jPlS8_PNS0_10empty_typeENS0_5tupleIJS8_S9_EEENSB_IJS8_SA_EEENS0_18inequality_wrapperIZN2at6native12_GLOBAL__N_124unique_dim_cuda_templateIN3c104HalfEEESt5tupleIJNSF_6TensorESM_SM_EERKSM_lbbbEUlllE0_EEPmJS9_EEE10hipError_tPvRmT3_T4_T5_T6_T7_T9_mT8_P12ihipStream_tbDpT10_ENKUlT_T0_E_clISt17integral_constantIbLb0EES1C_EEDaS17_S18_EUlS17_E_NS1_11comp_targetILNS1_3genE3ELNS1_11target_archE908ELNS1_3gpuE7ELNS1_3repE0EEENS1_30default_config_static_selectorELNS0_4arch9wavefront6targetE0EEEvT1_,comdat
	.globl	_ZN7rocprim17ROCPRIM_400000_NS6detail17trampoline_kernelINS0_14default_configENS1_25partition_config_selectorILNS1_17partition_subalgoE9EllbEEZZNS1_14partition_implILS5_9ELb0ES3_jPlS8_PNS0_10empty_typeENS0_5tupleIJS8_S9_EEENSB_IJS8_SA_EEENS0_18inequality_wrapperIZN2at6native12_GLOBAL__N_124unique_dim_cuda_templateIN3c104HalfEEESt5tupleIJNSF_6TensorESM_SM_EERKSM_lbbbEUlllE0_EEPmJS9_EEE10hipError_tPvRmT3_T4_T5_T6_T7_T9_mT8_P12ihipStream_tbDpT10_ENKUlT_T0_E_clISt17integral_constantIbLb0EES1C_EEDaS17_S18_EUlS17_E_NS1_11comp_targetILNS1_3genE3ELNS1_11target_archE908ELNS1_3gpuE7ELNS1_3repE0EEENS1_30default_config_static_selectorELNS0_4arch9wavefront6targetE0EEEvT1_ ; -- Begin function _ZN7rocprim17ROCPRIM_400000_NS6detail17trampoline_kernelINS0_14default_configENS1_25partition_config_selectorILNS1_17partition_subalgoE9EllbEEZZNS1_14partition_implILS5_9ELb0ES3_jPlS8_PNS0_10empty_typeENS0_5tupleIJS8_S9_EEENSB_IJS8_SA_EEENS0_18inequality_wrapperIZN2at6native12_GLOBAL__N_124unique_dim_cuda_templateIN3c104HalfEEESt5tupleIJNSF_6TensorESM_SM_EERKSM_lbbbEUlllE0_EEPmJS9_EEE10hipError_tPvRmT3_T4_T5_T6_T7_T9_mT8_P12ihipStream_tbDpT10_ENKUlT_T0_E_clISt17integral_constantIbLb0EES1C_EEDaS17_S18_EUlS17_E_NS1_11comp_targetILNS1_3genE3ELNS1_11target_archE908ELNS1_3gpuE7ELNS1_3repE0EEENS1_30default_config_static_selectorELNS0_4arch9wavefront6targetE0EEEvT1_
	.p2align	8
	.type	_ZN7rocprim17ROCPRIM_400000_NS6detail17trampoline_kernelINS0_14default_configENS1_25partition_config_selectorILNS1_17partition_subalgoE9EllbEEZZNS1_14partition_implILS5_9ELb0ES3_jPlS8_PNS0_10empty_typeENS0_5tupleIJS8_S9_EEENSB_IJS8_SA_EEENS0_18inequality_wrapperIZN2at6native12_GLOBAL__N_124unique_dim_cuda_templateIN3c104HalfEEESt5tupleIJNSF_6TensorESM_SM_EERKSM_lbbbEUlllE0_EEPmJS9_EEE10hipError_tPvRmT3_T4_T5_T6_T7_T9_mT8_P12ihipStream_tbDpT10_ENKUlT_T0_E_clISt17integral_constantIbLb0EES1C_EEDaS17_S18_EUlS17_E_NS1_11comp_targetILNS1_3genE3ELNS1_11target_archE908ELNS1_3gpuE7ELNS1_3repE0EEENS1_30default_config_static_selectorELNS0_4arch9wavefront6targetE0EEEvT1_,@function
_ZN7rocprim17ROCPRIM_400000_NS6detail17trampoline_kernelINS0_14default_configENS1_25partition_config_selectorILNS1_17partition_subalgoE9EllbEEZZNS1_14partition_implILS5_9ELb0ES3_jPlS8_PNS0_10empty_typeENS0_5tupleIJS8_S9_EEENSB_IJS8_SA_EEENS0_18inequality_wrapperIZN2at6native12_GLOBAL__N_124unique_dim_cuda_templateIN3c104HalfEEESt5tupleIJNSF_6TensorESM_SM_EERKSM_lbbbEUlllE0_EEPmJS9_EEE10hipError_tPvRmT3_T4_T5_T6_T7_T9_mT8_P12ihipStream_tbDpT10_ENKUlT_T0_E_clISt17integral_constantIbLb0EES1C_EEDaS17_S18_EUlS17_E_NS1_11comp_targetILNS1_3genE3ELNS1_11target_archE908ELNS1_3gpuE7ELNS1_3repE0EEENS1_30default_config_static_selectorELNS0_4arch9wavefront6targetE0EEEvT1_: ; @_ZN7rocprim17ROCPRIM_400000_NS6detail17trampoline_kernelINS0_14default_configENS1_25partition_config_selectorILNS1_17partition_subalgoE9EllbEEZZNS1_14partition_implILS5_9ELb0ES3_jPlS8_PNS0_10empty_typeENS0_5tupleIJS8_S9_EEENSB_IJS8_SA_EEENS0_18inequality_wrapperIZN2at6native12_GLOBAL__N_124unique_dim_cuda_templateIN3c104HalfEEESt5tupleIJNSF_6TensorESM_SM_EERKSM_lbbbEUlllE0_EEPmJS9_EEE10hipError_tPvRmT3_T4_T5_T6_T7_T9_mT8_P12ihipStream_tbDpT10_ENKUlT_T0_E_clISt17integral_constantIbLb0EES1C_EEDaS17_S18_EUlS17_E_NS1_11comp_targetILNS1_3genE3ELNS1_11target_archE908ELNS1_3gpuE7ELNS1_3repE0EEENS1_30default_config_static_selectorELNS0_4arch9wavefront6targetE0EEEvT1_
; %bb.0:
	.section	.rodata,"a",@progbits
	.p2align	6, 0x0
	.amdhsa_kernel _ZN7rocprim17ROCPRIM_400000_NS6detail17trampoline_kernelINS0_14default_configENS1_25partition_config_selectorILNS1_17partition_subalgoE9EllbEEZZNS1_14partition_implILS5_9ELb0ES3_jPlS8_PNS0_10empty_typeENS0_5tupleIJS8_S9_EEENSB_IJS8_SA_EEENS0_18inequality_wrapperIZN2at6native12_GLOBAL__N_124unique_dim_cuda_templateIN3c104HalfEEESt5tupleIJNSF_6TensorESM_SM_EERKSM_lbbbEUlllE0_EEPmJS9_EEE10hipError_tPvRmT3_T4_T5_T6_T7_T9_mT8_P12ihipStream_tbDpT10_ENKUlT_T0_E_clISt17integral_constantIbLb0EES1C_EEDaS17_S18_EUlS17_E_NS1_11comp_targetILNS1_3genE3ELNS1_11target_archE908ELNS1_3gpuE7ELNS1_3repE0EEENS1_30default_config_static_selectorELNS0_4arch9wavefront6targetE0EEEvT1_
		.amdhsa_group_segment_fixed_size 0
		.amdhsa_private_segment_fixed_size 0
		.amdhsa_kernarg_size 120
		.amdhsa_user_sgpr_count 2
		.amdhsa_user_sgpr_dispatch_ptr 0
		.amdhsa_user_sgpr_queue_ptr 0
		.amdhsa_user_sgpr_kernarg_segment_ptr 1
		.amdhsa_user_sgpr_dispatch_id 0
		.amdhsa_user_sgpr_kernarg_preload_length 0
		.amdhsa_user_sgpr_kernarg_preload_offset 0
		.amdhsa_user_sgpr_private_segment_size 0
		.amdhsa_wavefront_size32 1
		.amdhsa_uses_dynamic_stack 0
		.amdhsa_enable_private_segment 0
		.amdhsa_system_sgpr_workgroup_id_x 1
		.amdhsa_system_sgpr_workgroup_id_y 0
		.amdhsa_system_sgpr_workgroup_id_z 0
		.amdhsa_system_sgpr_workgroup_info 0
		.amdhsa_system_vgpr_workitem_id 0
		.amdhsa_next_free_vgpr 1
		.amdhsa_next_free_sgpr 1
		.amdhsa_named_barrier_count 0
		.amdhsa_reserve_vcc 0
		.amdhsa_float_round_mode_32 0
		.amdhsa_float_round_mode_16_64 0
		.amdhsa_float_denorm_mode_32 3
		.amdhsa_float_denorm_mode_16_64 3
		.amdhsa_fp16_overflow 0
		.amdhsa_memory_ordered 1
		.amdhsa_forward_progress 1
		.amdhsa_inst_pref_size 0
		.amdhsa_round_robin_scheduling 0
		.amdhsa_exception_fp_ieee_invalid_op 0
		.amdhsa_exception_fp_denorm_src 0
		.amdhsa_exception_fp_ieee_div_zero 0
		.amdhsa_exception_fp_ieee_overflow 0
		.amdhsa_exception_fp_ieee_underflow 0
		.amdhsa_exception_fp_ieee_inexact 0
		.amdhsa_exception_int_div_zero 0
	.end_amdhsa_kernel
	.section	.text._ZN7rocprim17ROCPRIM_400000_NS6detail17trampoline_kernelINS0_14default_configENS1_25partition_config_selectorILNS1_17partition_subalgoE9EllbEEZZNS1_14partition_implILS5_9ELb0ES3_jPlS8_PNS0_10empty_typeENS0_5tupleIJS8_S9_EEENSB_IJS8_SA_EEENS0_18inequality_wrapperIZN2at6native12_GLOBAL__N_124unique_dim_cuda_templateIN3c104HalfEEESt5tupleIJNSF_6TensorESM_SM_EERKSM_lbbbEUlllE0_EEPmJS9_EEE10hipError_tPvRmT3_T4_T5_T6_T7_T9_mT8_P12ihipStream_tbDpT10_ENKUlT_T0_E_clISt17integral_constantIbLb0EES1C_EEDaS17_S18_EUlS17_E_NS1_11comp_targetILNS1_3genE3ELNS1_11target_archE908ELNS1_3gpuE7ELNS1_3repE0EEENS1_30default_config_static_selectorELNS0_4arch9wavefront6targetE0EEEvT1_,"axG",@progbits,_ZN7rocprim17ROCPRIM_400000_NS6detail17trampoline_kernelINS0_14default_configENS1_25partition_config_selectorILNS1_17partition_subalgoE9EllbEEZZNS1_14partition_implILS5_9ELb0ES3_jPlS8_PNS0_10empty_typeENS0_5tupleIJS8_S9_EEENSB_IJS8_SA_EEENS0_18inequality_wrapperIZN2at6native12_GLOBAL__N_124unique_dim_cuda_templateIN3c104HalfEEESt5tupleIJNSF_6TensorESM_SM_EERKSM_lbbbEUlllE0_EEPmJS9_EEE10hipError_tPvRmT3_T4_T5_T6_T7_T9_mT8_P12ihipStream_tbDpT10_ENKUlT_T0_E_clISt17integral_constantIbLb0EES1C_EEDaS17_S18_EUlS17_E_NS1_11comp_targetILNS1_3genE3ELNS1_11target_archE908ELNS1_3gpuE7ELNS1_3repE0EEENS1_30default_config_static_selectorELNS0_4arch9wavefront6targetE0EEEvT1_,comdat
.Lfunc_end1332:
	.size	_ZN7rocprim17ROCPRIM_400000_NS6detail17trampoline_kernelINS0_14default_configENS1_25partition_config_selectorILNS1_17partition_subalgoE9EllbEEZZNS1_14partition_implILS5_9ELb0ES3_jPlS8_PNS0_10empty_typeENS0_5tupleIJS8_S9_EEENSB_IJS8_SA_EEENS0_18inequality_wrapperIZN2at6native12_GLOBAL__N_124unique_dim_cuda_templateIN3c104HalfEEESt5tupleIJNSF_6TensorESM_SM_EERKSM_lbbbEUlllE0_EEPmJS9_EEE10hipError_tPvRmT3_T4_T5_T6_T7_T9_mT8_P12ihipStream_tbDpT10_ENKUlT_T0_E_clISt17integral_constantIbLb0EES1C_EEDaS17_S18_EUlS17_E_NS1_11comp_targetILNS1_3genE3ELNS1_11target_archE908ELNS1_3gpuE7ELNS1_3repE0EEENS1_30default_config_static_selectorELNS0_4arch9wavefront6targetE0EEEvT1_, .Lfunc_end1332-_ZN7rocprim17ROCPRIM_400000_NS6detail17trampoline_kernelINS0_14default_configENS1_25partition_config_selectorILNS1_17partition_subalgoE9EllbEEZZNS1_14partition_implILS5_9ELb0ES3_jPlS8_PNS0_10empty_typeENS0_5tupleIJS8_S9_EEENSB_IJS8_SA_EEENS0_18inequality_wrapperIZN2at6native12_GLOBAL__N_124unique_dim_cuda_templateIN3c104HalfEEESt5tupleIJNSF_6TensorESM_SM_EERKSM_lbbbEUlllE0_EEPmJS9_EEE10hipError_tPvRmT3_T4_T5_T6_T7_T9_mT8_P12ihipStream_tbDpT10_ENKUlT_T0_E_clISt17integral_constantIbLb0EES1C_EEDaS17_S18_EUlS17_E_NS1_11comp_targetILNS1_3genE3ELNS1_11target_archE908ELNS1_3gpuE7ELNS1_3repE0EEENS1_30default_config_static_selectorELNS0_4arch9wavefront6targetE0EEEvT1_
                                        ; -- End function
	.set _ZN7rocprim17ROCPRIM_400000_NS6detail17trampoline_kernelINS0_14default_configENS1_25partition_config_selectorILNS1_17partition_subalgoE9EllbEEZZNS1_14partition_implILS5_9ELb0ES3_jPlS8_PNS0_10empty_typeENS0_5tupleIJS8_S9_EEENSB_IJS8_SA_EEENS0_18inequality_wrapperIZN2at6native12_GLOBAL__N_124unique_dim_cuda_templateIN3c104HalfEEESt5tupleIJNSF_6TensorESM_SM_EERKSM_lbbbEUlllE0_EEPmJS9_EEE10hipError_tPvRmT3_T4_T5_T6_T7_T9_mT8_P12ihipStream_tbDpT10_ENKUlT_T0_E_clISt17integral_constantIbLb0EES1C_EEDaS17_S18_EUlS17_E_NS1_11comp_targetILNS1_3genE3ELNS1_11target_archE908ELNS1_3gpuE7ELNS1_3repE0EEENS1_30default_config_static_selectorELNS0_4arch9wavefront6targetE0EEEvT1_.num_vgpr, 0
	.set _ZN7rocprim17ROCPRIM_400000_NS6detail17trampoline_kernelINS0_14default_configENS1_25partition_config_selectorILNS1_17partition_subalgoE9EllbEEZZNS1_14partition_implILS5_9ELb0ES3_jPlS8_PNS0_10empty_typeENS0_5tupleIJS8_S9_EEENSB_IJS8_SA_EEENS0_18inequality_wrapperIZN2at6native12_GLOBAL__N_124unique_dim_cuda_templateIN3c104HalfEEESt5tupleIJNSF_6TensorESM_SM_EERKSM_lbbbEUlllE0_EEPmJS9_EEE10hipError_tPvRmT3_T4_T5_T6_T7_T9_mT8_P12ihipStream_tbDpT10_ENKUlT_T0_E_clISt17integral_constantIbLb0EES1C_EEDaS17_S18_EUlS17_E_NS1_11comp_targetILNS1_3genE3ELNS1_11target_archE908ELNS1_3gpuE7ELNS1_3repE0EEENS1_30default_config_static_selectorELNS0_4arch9wavefront6targetE0EEEvT1_.num_agpr, 0
	.set _ZN7rocprim17ROCPRIM_400000_NS6detail17trampoline_kernelINS0_14default_configENS1_25partition_config_selectorILNS1_17partition_subalgoE9EllbEEZZNS1_14partition_implILS5_9ELb0ES3_jPlS8_PNS0_10empty_typeENS0_5tupleIJS8_S9_EEENSB_IJS8_SA_EEENS0_18inequality_wrapperIZN2at6native12_GLOBAL__N_124unique_dim_cuda_templateIN3c104HalfEEESt5tupleIJNSF_6TensorESM_SM_EERKSM_lbbbEUlllE0_EEPmJS9_EEE10hipError_tPvRmT3_T4_T5_T6_T7_T9_mT8_P12ihipStream_tbDpT10_ENKUlT_T0_E_clISt17integral_constantIbLb0EES1C_EEDaS17_S18_EUlS17_E_NS1_11comp_targetILNS1_3genE3ELNS1_11target_archE908ELNS1_3gpuE7ELNS1_3repE0EEENS1_30default_config_static_selectorELNS0_4arch9wavefront6targetE0EEEvT1_.numbered_sgpr, 0
	.set _ZN7rocprim17ROCPRIM_400000_NS6detail17trampoline_kernelINS0_14default_configENS1_25partition_config_selectorILNS1_17partition_subalgoE9EllbEEZZNS1_14partition_implILS5_9ELb0ES3_jPlS8_PNS0_10empty_typeENS0_5tupleIJS8_S9_EEENSB_IJS8_SA_EEENS0_18inequality_wrapperIZN2at6native12_GLOBAL__N_124unique_dim_cuda_templateIN3c104HalfEEESt5tupleIJNSF_6TensorESM_SM_EERKSM_lbbbEUlllE0_EEPmJS9_EEE10hipError_tPvRmT3_T4_T5_T6_T7_T9_mT8_P12ihipStream_tbDpT10_ENKUlT_T0_E_clISt17integral_constantIbLb0EES1C_EEDaS17_S18_EUlS17_E_NS1_11comp_targetILNS1_3genE3ELNS1_11target_archE908ELNS1_3gpuE7ELNS1_3repE0EEENS1_30default_config_static_selectorELNS0_4arch9wavefront6targetE0EEEvT1_.num_named_barrier, 0
	.set _ZN7rocprim17ROCPRIM_400000_NS6detail17trampoline_kernelINS0_14default_configENS1_25partition_config_selectorILNS1_17partition_subalgoE9EllbEEZZNS1_14partition_implILS5_9ELb0ES3_jPlS8_PNS0_10empty_typeENS0_5tupleIJS8_S9_EEENSB_IJS8_SA_EEENS0_18inequality_wrapperIZN2at6native12_GLOBAL__N_124unique_dim_cuda_templateIN3c104HalfEEESt5tupleIJNSF_6TensorESM_SM_EERKSM_lbbbEUlllE0_EEPmJS9_EEE10hipError_tPvRmT3_T4_T5_T6_T7_T9_mT8_P12ihipStream_tbDpT10_ENKUlT_T0_E_clISt17integral_constantIbLb0EES1C_EEDaS17_S18_EUlS17_E_NS1_11comp_targetILNS1_3genE3ELNS1_11target_archE908ELNS1_3gpuE7ELNS1_3repE0EEENS1_30default_config_static_selectorELNS0_4arch9wavefront6targetE0EEEvT1_.private_seg_size, 0
	.set _ZN7rocprim17ROCPRIM_400000_NS6detail17trampoline_kernelINS0_14default_configENS1_25partition_config_selectorILNS1_17partition_subalgoE9EllbEEZZNS1_14partition_implILS5_9ELb0ES3_jPlS8_PNS0_10empty_typeENS0_5tupleIJS8_S9_EEENSB_IJS8_SA_EEENS0_18inequality_wrapperIZN2at6native12_GLOBAL__N_124unique_dim_cuda_templateIN3c104HalfEEESt5tupleIJNSF_6TensorESM_SM_EERKSM_lbbbEUlllE0_EEPmJS9_EEE10hipError_tPvRmT3_T4_T5_T6_T7_T9_mT8_P12ihipStream_tbDpT10_ENKUlT_T0_E_clISt17integral_constantIbLb0EES1C_EEDaS17_S18_EUlS17_E_NS1_11comp_targetILNS1_3genE3ELNS1_11target_archE908ELNS1_3gpuE7ELNS1_3repE0EEENS1_30default_config_static_selectorELNS0_4arch9wavefront6targetE0EEEvT1_.uses_vcc, 0
	.set _ZN7rocprim17ROCPRIM_400000_NS6detail17trampoline_kernelINS0_14default_configENS1_25partition_config_selectorILNS1_17partition_subalgoE9EllbEEZZNS1_14partition_implILS5_9ELb0ES3_jPlS8_PNS0_10empty_typeENS0_5tupleIJS8_S9_EEENSB_IJS8_SA_EEENS0_18inequality_wrapperIZN2at6native12_GLOBAL__N_124unique_dim_cuda_templateIN3c104HalfEEESt5tupleIJNSF_6TensorESM_SM_EERKSM_lbbbEUlllE0_EEPmJS9_EEE10hipError_tPvRmT3_T4_T5_T6_T7_T9_mT8_P12ihipStream_tbDpT10_ENKUlT_T0_E_clISt17integral_constantIbLb0EES1C_EEDaS17_S18_EUlS17_E_NS1_11comp_targetILNS1_3genE3ELNS1_11target_archE908ELNS1_3gpuE7ELNS1_3repE0EEENS1_30default_config_static_selectorELNS0_4arch9wavefront6targetE0EEEvT1_.uses_flat_scratch, 0
	.set _ZN7rocprim17ROCPRIM_400000_NS6detail17trampoline_kernelINS0_14default_configENS1_25partition_config_selectorILNS1_17partition_subalgoE9EllbEEZZNS1_14partition_implILS5_9ELb0ES3_jPlS8_PNS0_10empty_typeENS0_5tupleIJS8_S9_EEENSB_IJS8_SA_EEENS0_18inequality_wrapperIZN2at6native12_GLOBAL__N_124unique_dim_cuda_templateIN3c104HalfEEESt5tupleIJNSF_6TensorESM_SM_EERKSM_lbbbEUlllE0_EEPmJS9_EEE10hipError_tPvRmT3_T4_T5_T6_T7_T9_mT8_P12ihipStream_tbDpT10_ENKUlT_T0_E_clISt17integral_constantIbLb0EES1C_EEDaS17_S18_EUlS17_E_NS1_11comp_targetILNS1_3genE3ELNS1_11target_archE908ELNS1_3gpuE7ELNS1_3repE0EEENS1_30default_config_static_selectorELNS0_4arch9wavefront6targetE0EEEvT1_.has_dyn_sized_stack, 0
	.set _ZN7rocprim17ROCPRIM_400000_NS6detail17trampoline_kernelINS0_14default_configENS1_25partition_config_selectorILNS1_17partition_subalgoE9EllbEEZZNS1_14partition_implILS5_9ELb0ES3_jPlS8_PNS0_10empty_typeENS0_5tupleIJS8_S9_EEENSB_IJS8_SA_EEENS0_18inequality_wrapperIZN2at6native12_GLOBAL__N_124unique_dim_cuda_templateIN3c104HalfEEESt5tupleIJNSF_6TensorESM_SM_EERKSM_lbbbEUlllE0_EEPmJS9_EEE10hipError_tPvRmT3_T4_T5_T6_T7_T9_mT8_P12ihipStream_tbDpT10_ENKUlT_T0_E_clISt17integral_constantIbLb0EES1C_EEDaS17_S18_EUlS17_E_NS1_11comp_targetILNS1_3genE3ELNS1_11target_archE908ELNS1_3gpuE7ELNS1_3repE0EEENS1_30default_config_static_selectorELNS0_4arch9wavefront6targetE0EEEvT1_.has_recursion, 0
	.set _ZN7rocprim17ROCPRIM_400000_NS6detail17trampoline_kernelINS0_14default_configENS1_25partition_config_selectorILNS1_17partition_subalgoE9EllbEEZZNS1_14partition_implILS5_9ELb0ES3_jPlS8_PNS0_10empty_typeENS0_5tupleIJS8_S9_EEENSB_IJS8_SA_EEENS0_18inequality_wrapperIZN2at6native12_GLOBAL__N_124unique_dim_cuda_templateIN3c104HalfEEESt5tupleIJNSF_6TensorESM_SM_EERKSM_lbbbEUlllE0_EEPmJS9_EEE10hipError_tPvRmT3_T4_T5_T6_T7_T9_mT8_P12ihipStream_tbDpT10_ENKUlT_T0_E_clISt17integral_constantIbLb0EES1C_EEDaS17_S18_EUlS17_E_NS1_11comp_targetILNS1_3genE3ELNS1_11target_archE908ELNS1_3gpuE7ELNS1_3repE0EEENS1_30default_config_static_selectorELNS0_4arch9wavefront6targetE0EEEvT1_.has_indirect_call, 0
	.section	.AMDGPU.csdata,"",@progbits
; Kernel info:
; codeLenInByte = 0
; TotalNumSgprs: 0
; NumVgprs: 0
; ScratchSize: 0
; MemoryBound: 0
; FloatMode: 240
; IeeeMode: 1
; LDSByteSize: 0 bytes/workgroup (compile time only)
; SGPRBlocks: 0
; VGPRBlocks: 0
; NumSGPRsForWavesPerEU: 1
; NumVGPRsForWavesPerEU: 1
; NamedBarCnt: 0
; Occupancy: 16
; WaveLimiterHint : 0
; COMPUTE_PGM_RSRC2:SCRATCH_EN: 0
; COMPUTE_PGM_RSRC2:USER_SGPR: 2
; COMPUTE_PGM_RSRC2:TRAP_HANDLER: 0
; COMPUTE_PGM_RSRC2:TGID_X_EN: 1
; COMPUTE_PGM_RSRC2:TGID_Y_EN: 0
; COMPUTE_PGM_RSRC2:TGID_Z_EN: 0
; COMPUTE_PGM_RSRC2:TIDIG_COMP_CNT: 0
	.section	.text._ZN7rocprim17ROCPRIM_400000_NS6detail17trampoline_kernelINS0_14default_configENS1_25partition_config_selectorILNS1_17partition_subalgoE9EllbEEZZNS1_14partition_implILS5_9ELb0ES3_jPlS8_PNS0_10empty_typeENS0_5tupleIJS8_S9_EEENSB_IJS8_SA_EEENS0_18inequality_wrapperIZN2at6native12_GLOBAL__N_124unique_dim_cuda_templateIN3c104HalfEEESt5tupleIJNSF_6TensorESM_SM_EERKSM_lbbbEUlllE0_EEPmJS9_EEE10hipError_tPvRmT3_T4_T5_T6_T7_T9_mT8_P12ihipStream_tbDpT10_ENKUlT_T0_E_clISt17integral_constantIbLb0EES1C_EEDaS17_S18_EUlS17_E_NS1_11comp_targetILNS1_3genE2ELNS1_11target_archE906ELNS1_3gpuE6ELNS1_3repE0EEENS1_30default_config_static_selectorELNS0_4arch9wavefront6targetE0EEEvT1_,"axG",@progbits,_ZN7rocprim17ROCPRIM_400000_NS6detail17trampoline_kernelINS0_14default_configENS1_25partition_config_selectorILNS1_17partition_subalgoE9EllbEEZZNS1_14partition_implILS5_9ELb0ES3_jPlS8_PNS0_10empty_typeENS0_5tupleIJS8_S9_EEENSB_IJS8_SA_EEENS0_18inequality_wrapperIZN2at6native12_GLOBAL__N_124unique_dim_cuda_templateIN3c104HalfEEESt5tupleIJNSF_6TensorESM_SM_EERKSM_lbbbEUlllE0_EEPmJS9_EEE10hipError_tPvRmT3_T4_T5_T6_T7_T9_mT8_P12ihipStream_tbDpT10_ENKUlT_T0_E_clISt17integral_constantIbLb0EES1C_EEDaS17_S18_EUlS17_E_NS1_11comp_targetILNS1_3genE2ELNS1_11target_archE906ELNS1_3gpuE6ELNS1_3repE0EEENS1_30default_config_static_selectorELNS0_4arch9wavefront6targetE0EEEvT1_,comdat
	.globl	_ZN7rocprim17ROCPRIM_400000_NS6detail17trampoline_kernelINS0_14default_configENS1_25partition_config_selectorILNS1_17partition_subalgoE9EllbEEZZNS1_14partition_implILS5_9ELb0ES3_jPlS8_PNS0_10empty_typeENS0_5tupleIJS8_S9_EEENSB_IJS8_SA_EEENS0_18inequality_wrapperIZN2at6native12_GLOBAL__N_124unique_dim_cuda_templateIN3c104HalfEEESt5tupleIJNSF_6TensorESM_SM_EERKSM_lbbbEUlllE0_EEPmJS9_EEE10hipError_tPvRmT3_T4_T5_T6_T7_T9_mT8_P12ihipStream_tbDpT10_ENKUlT_T0_E_clISt17integral_constantIbLb0EES1C_EEDaS17_S18_EUlS17_E_NS1_11comp_targetILNS1_3genE2ELNS1_11target_archE906ELNS1_3gpuE6ELNS1_3repE0EEENS1_30default_config_static_selectorELNS0_4arch9wavefront6targetE0EEEvT1_ ; -- Begin function _ZN7rocprim17ROCPRIM_400000_NS6detail17trampoline_kernelINS0_14default_configENS1_25partition_config_selectorILNS1_17partition_subalgoE9EllbEEZZNS1_14partition_implILS5_9ELb0ES3_jPlS8_PNS0_10empty_typeENS0_5tupleIJS8_S9_EEENSB_IJS8_SA_EEENS0_18inequality_wrapperIZN2at6native12_GLOBAL__N_124unique_dim_cuda_templateIN3c104HalfEEESt5tupleIJNSF_6TensorESM_SM_EERKSM_lbbbEUlllE0_EEPmJS9_EEE10hipError_tPvRmT3_T4_T5_T6_T7_T9_mT8_P12ihipStream_tbDpT10_ENKUlT_T0_E_clISt17integral_constantIbLb0EES1C_EEDaS17_S18_EUlS17_E_NS1_11comp_targetILNS1_3genE2ELNS1_11target_archE906ELNS1_3gpuE6ELNS1_3repE0EEENS1_30default_config_static_selectorELNS0_4arch9wavefront6targetE0EEEvT1_
	.p2align	8
	.type	_ZN7rocprim17ROCPRIM_400000_NS6detail17trampoline_kernelINS0_14default_configENS1_25partition_config_selectorILNS1_17partition_subalgoE9EllbEEZZNS1_14partition_implILS5_9ELb0ES3_jPlS8_PNS0_10empty_typeENS0_5tupleIJS8_S9_EEENSB_IJS8_SA_EEENS0_18inequality_wrapperIZN2at6native12_GLOBAL__N_124unique_dim_cuda_templateIN3c104HalfEEESt5tupleIJNSF_6TensorESM_SM_EERKSM_lbbbEUlllE0_EEPmJS9_EEE10hipError_tPvRmT3_T4_T5_T6_T7_T9_mT8_P12ihipStream_tbDpT10_ENKUlT_T0_E_clISt17integral_constantIbLb0EES1C_EEDaS17_S18_EUlS17_E_NS1_11comp_targetILNS1_3genE2ELNS1_11target_archE906ELNS1_3gpuE6ELNS1_3repE0EEENS1_30default_config_static_selectorELNS0_4arch9wavefront6targetE0EEEvT1_,@function
_ZN7rocprim17ROCPRIM_400000_NS6detail17trampoline_kernelINS0_14default_configENS1_25partition_config_selectorILNS1_17partition_subalgoE9EllbEEZZNS1_14partition_implILS5_9ELb0ES3_jPlS8_PNS0_10empty_typeENS0_5tupleIJS8_S9_EEENSB_IJS8_SA_EEENS0_18inequality_wrapperIZN2at6native12_GLOBAL__N_124unique_dim_cuda_templateIN3c104HalfEEESt5tupleIJNSF_6TensorESM_SM_EERKSM_lbbbEUlllE0_EEPmJS9_EEE10hipError_tPvRmT3_T4_T5_T6_T7_T9_mT8_P12ihipStream_tbDpT10_ENKUlT_T0_E_clISt17integral_constantIbLb0EES1C_EEDaS17_S18_EUlS17_E_NS1_11comp_targetILNS1_3genE2ELNS1_11target_archE906ELNS1_3gpuE6ELNS1_3repE0EEENS1_30default_config_static_selectorELNS0_4arch9wavefront6targetE0EEEvT1_: ; @_ZN7rocprim17ROCPRIM_400000_NS6detail17trampoline_kernelINS0_14default_configENS1_25partition_config_selectorILNS1_17partition_subalgoE9EllbEEZZNS1_14partition_implILS5_9ELb0ES3_jPlS8_PNS0_10empty_typeENS0_5tupleIJS8_S9_EEENSB_IJS8_SA_EEENS0_18inequality_wrapperIZN2at6native12_GLOBAL__N_124unique_dim_cuda_templateIN3c104HalfEEESt5tupleIJNSF_6TensorESM_SM_EERKSM_lbbbEUlllE0_EEPmJS9_EEE10hipError_tPvRmT3_T4_T5_T6_T7_T9_mT8_P12ihipStream_tbDpT10_ENKUlT_T0_E_clISt17integral_constantIbLb0EES1C_EEDaS17_S18_EUlS17_E_NS1_11comp_targetILNS1_3genE2ELNS1_11target_archE906ELNS1_3gpuE6ELNS1_3repE0EEENS1_30default_config_static_selectorELNS0_4arch9wavefront6targetE0EEEvT1_
; %bb.0:
	.section	.rodata,"a",@progbits
	.p2align	6, 0x0
	.amdhsa_kernel _ZN7rocprim17ROCPRIM_400000_NS6detail17trampoline_kernelINS0_14default_configENS1_25partition_config_selectorILNS1_17partition_subalgoE9EllbEEZZNS1_14partition_implILS5_9ELb0ES3_jPlS8_PNS0_10empty_typeENS0_5tupleIJS8_S9_EEENSB_IJS8_SA_EEENS0_18inequality_wrapperIZN2at6native12_GLOBAL__N_124unique_dim_cuda_templateIN3c104HalfEEESt5tupleIJNSF_6TensorESM_SM_EERKSM_lbbbEUlllE0_EEPmJS9_EEE10hipError_tPvRmT3_T4_T5_T6_T7_T9_mT8_P12ihipStream_tbDpT10_ENKUlT_T0_E_clISt17integral_constantIbLb0EES1C_EEDaS17_S18_EUlS17_E_NS1_11comp_targetILNS1_3genE2ELNS1_11target_archE906ELNS1_3gpuE6ELNS1_3repE0EEENS1_30default_config_static_selectorELNS0_4arch9wavefront6targetE0EEEvT1_
		.amdhsa_group_segment_fixed_size 0
		.amdhsa_private_segment_fixed_size 0
		.amdhsa_kernarg_size 120
		.amdhsa_user_sgpr_count 2
		.amdhsa_user_sgpr_dispatch_ptr 0
		.amdhsa_user_sgpr_queue_ptr 0
		.amdhsa_user_sgpr_kernarg_segment_ptr 1
		.amdhsa_user_sgpr_dispatch_id 0
		.amdhsa_user_sgpr_kernarg_preload_length 0
		.amdhsa_user_sgpr_kernarg_preload_offset 0
		.amdhsa_user_sgpr_private_segment_size 0
		.amdhsa_wavefront_size32 1
		.amdhsa_uses_dynamic_stack 0
		.amdhsa_enable_private_segment 0
		.amdhsa_system_sgpr_workgroup_id_x 1
		.amdhsa_system_sgpr_workgroup_id_y 0
		.amdhsa_system_sgpr_workgroup_id_z 0
		.amdhsa_system_sgpr_workgroup_info 0
		.amdhsa_system_vgpr_workitem_id 0
		.amdhsa_next_free_vgpr 1
		.amdhsa_next_free_sgpr 1
		.amdhsa_named_barrier_count 0
		.amdhsa_reserve_vcc 0
		.amdhsa_float_round_mode_32 0
		.amdhsa_float_round_mode_16_64 0
		.amdhsa_float_denorm_mode_32 3
		.amdhsa_float_denorm_mode_16_64 3
		.amdhsa_fp16_overflow 0
		.amdhsa_memory_ordered 1
		.amdhsa_forward_progress 1
		.amdhsa_inst_pref_size 0
		.amdhsa_round_robin_scheduling 0
		.amdhsa_exception_fp_ieee_invalid_op 0
		.amdhsa_exception_fp_denorm_src 0
		.amdhsa_exception_fp_ieee_div_zero 0
		.amdhsa_exception_fp_ieee_overflow 0
		.amdhsa_exception_fp_ieee_underflow 0
		.amdhsa_exception_fp_ieee_inexact 0
		.amdhsa_exception_int_div_zero 0
	.end_amdhsa_kernel
	.section	.text._ZN7rocprim17ROCPRIM_400000_NS6detail17trampoline_kernelINS0_14default_configENS1_25partition_config_selectorILNS1_17partition_subalgoE9EllbEEZZNS1_14partition_implILS5_9ELb0ES3_jPlS8_PNS0_10empty_typeENS0_5tupleIJS8_S9_EEENSB_IJS8_SA_EEENS0_18inequality_wrapperIZN2at6native12_GLOBAL__N_124unique_dim_cuda_templateIN3c104HalfEEESt5tupleIJNSF_6TensorESM_SM_EERKSM_lbbbEUlllE0_EEPmJS9_EEE10hipError_tPvRmT3_T4_T5_T6_T7_T9_mT8_P12ihipStream_tbDpT10_ENKUlT_T0_E_clISt17integral_constantIbLb0EES1C_EEDaS17_S18_EUlS17_E_NS1_11comp_targetILNS1_3genE2ELNS1_11target_archE906ELNS1_3gpuE6ELNS1_3repE0EEENS1_30default_config_static_selectorELNS0_4arch9wavefront6targetE0EEEvT1_,"axG",@progbits,_ZN7rocprim17ROCPRIM_400000_NS6detail17trampoline_kernelINS0_14default_configENS1_25partition_config_selectorILNS1_17partition_subalgoE9EllbEEZZNS1_14partition_implILS5_9ELb0ES3_jPlS8_PNS0_10empty_typeENS0_5tupleIJS8_S9_EEENSB_IJS8_SA_EEENS0_18inequality_wrapperIZN2at6native12_GLOBAL__N_124unique_dim_cuda_templateIN3c104HalfEEESt5tupleIJNSF_6TensorESM_SM_EERKSM_lbbbEUlllE0_EEPmJS9_EEE10hipError_tPvRmT3_T4_T5_T6_T7_T9_mT8_P12ihipStream_tbDpT10_ENKUlT_T0_E_clISt17integral_constantIbLb0EES1C_EEDaS17_S18_EUlS17_E_NS1_11comp_targetILNS1_3genE2ELNS1_11target_archE906ELNS1_3gpuE6ELNS1_3repE0EEENS1_30default_config_static_selectorELNS0_4arch9wavefront6targetE0EEEvT1_,comdat
.Lfunc_end1333:
	.size	_ZN7rocprim17ROCPRIM_400000_NS6detail17trampoline_kernelINS0_14default_configENS1_25partition_config_selectorILNS1_17partition_subalgoE9EllbEEZZNS1_14partition_implILS5_9ELb0ES3_jPlS8_PNS0_10empty_typeENS0_5tupleIJS8_S9_EEENSB_IJS8_SA_EEENS0_18inequality_wrapperIZN2at6native12_GLOBAL__N_124unique_dim_cuda_templateIN3c104HalfEEESt5tupleIJNSF_6TensorESM_SM_EERKSM_lbbbEUlllE0_EEPmJS9_EEE10hipError_tPvRmT3_T4_T5_T6_T7_T9_mT8_P12ihipStream_tbDpT10_ENKUlT_T0_E_clISt17integral_constantIbLb0EES1C_EEDaS17_S18_EUlS17_E_NS1_11comp_targetILNS1_3genE2ELNS1_11target_archE906ELNS1_3gpuE6ELNS1_3repE0EEENS1_30default_config_static_selectorELNS0_4arch9wavefront6targetE0EEEvT1_, .Lfunc_end1333-_ZN7rocprim17ROCPRIM_400000_NS6detail17trampoline_kernelINS0_14default_configENS1_25partition_config_selectorILNS1_17partition_subalgoE9EllbEEZZNS1_14partition_implILS5_9ELb0ES3_jPlS8_PNS0_10empty_typeENS0_5tupleIJS8_S9_EEENSB_IJS8_SA_EEENS0_18inequality_wrapperIZN2at6native12_GLOBAL__N_124unique_dim_cuda_templateIN3c104HalfEEESt5tupleIJNSF_6TensorESM_SM_EERKSM_lbbbEUlllE0_EEPmJS9_EEE10hipError_tPvRmT3_T4_T5_T6_T7_T9_mT8_P12ihipStream_tbDpT10_ENKUlT_T0_E_clISt17integral_constantIbLb0EES1C_EEDaS17_S18_EUlS17_E_NS1_11comp_targetILNS1_3genE2ELNS1_11target_archE906ELNS1_3gpuE6ELNS1_3repE0EEENS1_30default_config_static_selectorELNS0_4arch9wavefront6targetE0EEEvT1_
                                        ; -- End function
	.set _ZN7rocprim17ROCPRIM_400000_NS6detail17trampoline_kernelINS0_14default_configENS1_25partition_config_selectorILNS1_17partition_subalgoE9EllbEEZZNS1_14partition_implILS5_9ELb0ES3_jPlS8_PNS0_10empty_typeENS0_5tupleIJS8_S9_EEENSB_IJS8_SA_EEENS0_18inequality_wrapperIZN2at6native12_GLOBAL__N_124unique_dim_cuda_templateIN3c104HalfEEESt5tupleIJNSF_6TensorESM_SM_EERKSM_lbbbEUlllE0_EEPmJS9_EEE10hipError_tPvRmT3_T4_T5_T6_T7_T9_mT8_P12ihipStream_tbDpT10_ENKUlT_T0_E_clISt17integral_constantIbLb0EES1C_EEDaS17_S18_EUlS17_E_NS1_11comp_targetILNS1_3genE2ELNS1_11target_archE906ELNS1_3gpuE6ELNS1_3repE0EEENS1_30default_config_static_selectorELNS0_4arch9wavefront6targetE0EEEvT1_.num_vgpr, 0
	.set _ZN7rocprim17ROCPRIM_400000_NS6detail17trampoline_kernelINS0_14default_configENS1_25partition_config_selectorILNS1_17partition_subalgoE9EllbEEZZNS1_14partition_implILS5_9ELb0ES3_jPlS8_PNS0_10empty_typeENS0_5tupleIJS8_S9_EEENSB_IJS8_SA_EEENS0_18inequality_wrapperIZN2at6native12_GLOBAL__N_124unique_dim_cuda_templateIN3c104HalfEEESt5tupleIJNSF_6TensorESM_SM_EERKSM_lbbbEUlllE0_EEPmJS9_EEE10hipError_tPvRmT3_T4_T5_T6_T7_T9_mT8_P12ihipStream_tbDpT10_ENKUlT_T0_E_clISt17integral_constantIbLb0EES1C_EEDaS17_S18_EUlS17_E_NS1_11comp_targetILNS1_3genE2ELNS1_11target_archE906ELNS1_3gpuE6ELNS1_3repE0EEENS1_30default_config_static_selectorELNS0_4arch9wavefront6targetE0EEEvT1_.num_agpr, 0
	.set _ZN7rocprim17ROCPRIM_400000_NS6detail17trampoline_kernelINS0_14default_configENS1_25partition_config_selectorILNS1_17partition_subalgoE9EllbEEZZNS1_14partition_implILS5_9ELb0ES3_jPlS8_PNS0_10empty_typeENS0_5tupleIJS8_S9_EEENSB_IJS8_SA_EEENS0_18inequality_wrapperIZN2at6native12_GLOBAL__N_124unique_dim_cuda_templateIN3c104HalfEEESt5tupleIJNSF_6TensorESM_SM_EERKSM_lbbbEUlllE0_EEPmJS9_EEE10hipError_tPvRmT3_T4_T5_T6_T7_T9_mT8_P12ihipStream_tbDpT10_ENKUlT_T0_E_clISt17integral_constantIbLb0EES1C_EEDaS17_S18_EUlS17_E_NS1_11comp_targetILNS1_3genE2ELNS1_11target_archE906ELNS1_3gpuE6ELNS1_3repE0EEENS1_30default_config_static_selectorELNS0_4arch9wavefront6targetE0EEEvT1_.numbered_sgpr, 0
	.set _ZN7rocprim17ROCPRIM_400000_NS6detail17trampoline_kernelINS0_14default_configENS1_25partition_config_selectorILNS1_17partition_subalgoE9EllbEEZZNS1_14partition_implILS5_9ELb0ES3_jPlS8_PNS0_10empty_typeENS0_5tupleIJS8_S9_EEENSB_IJS8_SA_EEENS0_18inequality_wrapperIZN2at6native12_GLOBAL__N_124unique_dim_cuda_templateIN3c104HalfEEESt5tupleIJNSF_6TensorESM_SM_EERKSM_lbbbEUlllE0_EEPmJS9_EEE10hipError_tPvRmT3_T4_T5_T6_T7_T9_mT8_P12ihipStream_tbDpT10_ENKUlT_T0_E_clISt17integral_constantIbLb0EES1C_EEDaS17_S18_EUlS17_E_NS1_11comp_targetILNS1_3genE2ELNS1_11target_archE906ELNS1_3gpuE6ELNS1_3repE0EEENS1_30default_config_static_selectorELNS0_4arch9wavefront6targetE0EEEvT1_.num_named_barrier, 0
	.set _ZN7rocprim17ROCPRIM_400000_NS6detail17trampoline_kernelINS0_14default_configENS1_25partition_config_selectorILNS1_17partition_subalgoE9EllbEEZZNS1_14partition_implILS5_9ELb0ES3_jPlS8_PNS0_10empty_typeENS0_5tupleIJS8_S9_EEENSB_IJS8_SA_EEENS0_18inequality_wrapperIZN2at6native12_GLOBAL__N_124unique_dim_cuda_templateIN3c104HalfEEESt5tupleIJNSF_6TensorESM_SM_EERKSM_lbbbEUlllE0_EEPmJS9_EEE10hipError_tPvRmT3_T4_T5_T6_T7_T9_mT8_P12ihipStream_tbDpT10_ENKUlT_T0_E_clISt17integral_constantIbLb0EES1C_EEDaS17_S18_EUlS17_E_NS1_11comp_targetILNS1_3genE2ELNS1_11target_archE906ELNS1_3gpuE6ELNS1_3repE0EEENS1_30default_config_static_selectorELNS0_4arch9wavefront6targetE0EEEvT1_.private_seg_size, 0
	.set _ZN7rocprim17ROCPRIM_400000_NS6detail17trampoline_kernelINS0_14default_configENS1_25partition_config_selectorILNS1_17partition_subalgoE9EllbEEZZNS1_14partition_implILS5_9ELb0ES3_jPlS8_PNS0_10empty_typeENS0_5tupleIJS8_S9_EEENSB_IJS8_SA_EEENS0_18inequality_wrapperIZN2at6native12_GLOBAL__N_124unique_dim_cuda_templateIN3c104HalfEEESt5tupleIJNSF_6TensorESM_SM_EERKSM_lbbbEUlllE0_EEPmJS9_EEE10hipError_tPvRmT3_T4_T5_T6_T7_T9_mT8_P12ihipStream_tbDpT10_ENKUlT_T0_E_clISt17integral_constantIbLb0EES1C_EEDaS17_S18_EUlS17_E_NS1_11comp_targetILNS1_3genE2ELNS1_11target_archE906ELNS1_3gpuE6ELNS1_3repE0EEENS1_30default_config_static_selectorELNS0_4arch9wavefront6targetE0EEEvT1_.uses_vcc, 0
	.set _ZN7rocprim17ROCPRIM_400000_NS6detail17trampoline_kernelINS0_14default_configENS1_25partition_config_selectorILNS1_17partition_subalgoE9EllbEEZZNS1_14partition_implILS5_9ELb0ES3_jPlS8_PNS0_10empty_typeENS0_5tupleIJS8_S9_EEENSB_IJS8_SA_EEENS0_18inequality_wrapperIZN2at6native12_GLOBAL__N_124unique_dim_cuda_templateIN3c104HalfEEESt5tupleIJNSF_6TensorESM_SM_EERKSM_lbbbEUlllE0_EEPmJS9_EEE10hipError_tPvRmT3_T4_T5_T6_T7_T9_mT8_P12ihipStream_tbDpT10_ENKUlT_T0_E_clISt17integral_constantIbLb0EES1C_EEDaS17_S18_EUlS17_E_NS1_11comp_targetILNS1_3genE2ELNS1_11target_archE906ELNS1_3gpuE6ELNS1_3repE0EEENS1_30default_config_static_selectorELNS0_4arch9wavefront6targetE0EEEvT1_.uses_flat_scratch, 0
	.set _ZN7rocprim17ROCPRIM_400000_NS6detail17trampoline_kernelINS0_14default_configENS1_25partition_config_selectorILNS1_17partition_subalgoE9EllbEEZZNS1_14partition_implILS5_9ELb0ES3_jPlS8_PNS0_10empty_typeENS0_5tupleIJS8_S9_EEENSB_IJS8_SA_EEENS0_18inequality_wrapperIZN2at6native12_GLOBAL__N_124unique_dim_cuda_templateIN3c104HalfEEESt5tupleIJNSF_6TensorESM_SM_EERKSM_lbbbEUlllE0_EEPmJS9_EEE10hipError_tPvRmT3_T4_T5_T6_T7_T9_mT8_P12ihipStream_tbDpT10_ENKUlT_T0_E_clISt17integral_constantIbLb0EES1C_EEDaS17_S18_EUlS17_E_NS1_11comp_targetILNS1_3genE2ELNS1_11target_archE906ELNS1_3gpuE6ELNS1_3repE0EEENS1_30default_config_static_selectorELNS0_4arch9wavefront6targetE0EEEvT1_.has_dyn_sized_stack, 0
	.set _ZN7rocprim17ROCPRIM_400000_NS6detail17trampoline_kernelINS0_14default_configENS1_25partition_config_selectorILNS1_17partition_subalgoE9EllbEEZZNS1_14partition_implILS5_9ELb0ES3_jPlS8_PNS0_10empty_typeENS0_5tupleIJS8_S9_EEENSB_IJS8_SA_EEENS0_18inequality_wrapperIZN2at6native12_GLOBAL__N_124unique_dim_cuda_templateIN3c104HalfEEESt5tupleIJNSF_6TensorESM_SM_EERKSM_lbbbEUlllE0_EEPmJS9_EEE10hipError_tPvRmT3_T4_T5_T6_T7_T9_mT8_P12ihipStream_tbDpT10_ENKUlT_T0_E_clISt17integral_constantIbLb0EES1C_EEDaS17_S18_EUlS17_E_NS1_11comp_targetILNS1_3genE2ELNS1_11target_archE906ELNS1_3gpuE6ELNS1_3repE0EEENS1_30default_config_static_selectorELNS0_4arch9wavefront6targetE0EEEvT1_.has_recursion, 0
	.set _ZN7rocprim17ROCPRIM_400000_NS6detail17trampoline_kernelINS0_14default_configENS1_25partition_config_selectorILNS1_17partition_subalgoE9EllbEEZZNS1_14partition_implILS5_9ELb0ES3_jPlS8_PNS0_10empty_typeENS0_5tupleIJS8_S9_EEENSB_IJS8_SA_EEENS0_18inequality_wrapperIZN2at6native12_GLOBAL__N_124unique_dim_cuda_templateIN3c104HalfEEESt5tupleIJNSF_6TensorESM_SM_EERKSM_lbbbEUlllE0_EEPmJS9_EEE10hipError_tPvRmT3_T4_T5_T6_T7_T9_mT8_P12ihipStream_tbDpT10_ENKUlT_T0_E_clISt17integral_constantIbLb0EES1C_EEDaS17_S18_EUlS17_E_NS1_11comp_targetILNS1_3genE2ELNS1_11target_archE906ELNS1_3gpuE6ELNS1_3repE0EEENS1_30default_config_static_selectorELNS0_4arch9wavefront6targetE0EEEvT1_.has_indirect_call, 0
	.section	.AMDGPU.csdata,"",@progbits
; Kernel info:
; codeLenInByte = 0
; TotalNumSgprs: 0
; NumVgprs: 0
; ScratchSize: 0
; MemoryBound: 0
; FloatMode: 240
; IeeeMode: 1
; LDSByteSize: 0 bytes/workgroup (compile time only)
; SGPRBlocks: 0
; VGPRBlocks: 0
; NumSGPRsForWavesPerEU: 1
; NumVGPRsForWavesPerEU: 1
; NamedBarCnt: 0
; Occupancy: 16
; WaveLimiterHint : 0
; COMPUTE_PGM_RSRC2:SCRATCH_EN: 0
; COMPUTE_PGM_RSRC2:USER_SGPR: 2
; COMPUTE_PGM_RSRC2:TRAP_HANDLER: 0
; COMPUTE_PGM_RSRC2:TGID_X_EN: 1
; COMPUTE_PGM_RSRC2:TGID_Y_EN: 0
; COMPUTE_PGM_RSRC2:TGID_Z_EN: 0
; COMPUTE_PGM_RSRC2:TIDIG_COMP_CNT: 0
	.section	.text._ZN7rocprim17ROCPRIM_400000_NS6detail17trampoline_kernelINS0_14default_configENS1_25partition_config_selectorILNS1_17partition_subalgoE9EllbEEZZNS1_14partition_implILS5_9ELb0ES3_jPlS8_PNS0_10empty_typeENS0_5tupleIJS8_S9_EEENSB_IJS8_SA_EEENS0_18inequality_wrapperIZN2at6native12_GLOBAL__N_124unique_dim_cuda_templateIN3c104HalfEEESt5tupleIJNSF_6TensorESM_SM_EERKSM_lbbbEUlllE0_EEPmJS9_EEE10hipError_tPvRmT3_T4_T5_T6_T7_T9_mT8_P12ihipStream_tbDpT10_ENKUlT_T0_E_clISt17integral_constantIbLb0EES1C_EEDaS17_S18_EUlS17_E_NS1_11comp_targetILNS1_3genE10ELNS1_11target_archE1200ELNS1_3gpuE4ELNS1_3repE0EEENS1_30default_config_static_selectorELNS0_4arch9wavefront6targetE0EEEvT1_,"axG",@progbits,_ZN7rocprim17ROCPRIM_400000_NS6detail17trampoline_kernelINS0_14default_configENS1_25partition_config_selectorILNS1_17partition_subalgoE9EllbEEZZNS1_14partition_implILS5_9ELb0ES3_jPlS8_PNS0_10empty_typeENS0_5tupleIJS8_S9_EEENSB_IJS8_SA_EEENS0_18inequality_wrapperIZN2at6native12_GLOBAL__N_124unique_dim_cuda_templateIN3c104HalfEEESt5tupleIJNSF_6TensorESM_SM_EERKSM_lbbbEUlllE0_EEPmJS9_EEE10hipError_tPvRmT3_T4_T5_T6_T7_T9_mT8_P12ihipStream_tbDpT10_ENKUlT_T0_E_clISt17integral_constantIbLb0EES1C_EEDaS17_S18_EUlS17_E_NS1_11comp_targetILNS1_3genE10ELNS1_11target_archE1200ELNS1_3gpuE4ELNS1_3repE0EEENS1_30default_config_static_selectorELNS0_4arch9wavefront6targetE0EEEvT1_,comdat
	.globl	_ZN7rocprim17ROCPRIM_400000_NS6detail17trampoline_kernelINS0_14default_configENS1_25partition_config_selectorILNS1_17partition_subalgoE9EllbEEZZNS1_14partition_implILS5_9ELb0ES3_jPlS8_PNS0_10empty_typeENS0_5tupleIJS8_S9_EEENSB_IJS8_SA_EEENS0_18inequality_wrapperIZN2at6native12_GLOBAL__N_124unique_dim_cuda_templateIN3c104HalfEEESt5tupleIJNSF_6TensorESM_SM_EERKSM_lbbbEUlllE0_EEPmJS9_EEE10hipError_tPvRmT3_T4_T5_T6_T7_T9_mT8_P12ihipStream_tbDpT10_ENKUlT_T0_E_clISt17integral_constantIbLb0EES1C_EEDaS17_S18_EUlS17_E_NS1_11comp_targetILNS1_3genE10ELNS1_11target_archE1200ELNS1_3gpuE4ELNS1_3repE0EEENS1_30default_config_static_selectorELNS0_4arch9wavefront6targetE0EEEvT1_ ; -- Begin function _ZN7rocprim17ROCPRIM_400000_NS6detail17trampoline_kernelINS0_14default_configENS1_25partition_config_selectorILNS1_17partition_subalgoE9EllbEEZZNS1_14partition_implILS5_9ELb0ES3_jPlS8_PNS0_10empty_typeENS0_5tupleIJS8_S9_EEENSB_IJS8_SA_EEENS0_18inequality_wrapperIZN2at6native12_GLOBAL__N_124unique_dim_cuda_templateIN3c104HalfEEESt5tupleIJNSF_6TensorESM_SM_EERKSM_lbbbEUlllE0_EEPmJS9_EEE10hipError_tPvRmT3_T4_T5_T6_T7_T9_mT8_P12ihipStream_tbDpT10_ENKUlT_T0_E_clISt17integral_constantIbLb0EES1C_EEDaS17_S18_EUlS17_E_NS1_11comp_targetILNS1_3genE10ELNS1_11target_archE1200ELNS1_3gpuE4ELNS1_3repE0EEENS1_30default_config_static_selectorELNS0_4arch9wavefront6targetE0EEEvT1_
	.p2align	8
	.type	_ZN7rocprim17ROCPRIM_400000_NS6detail17trampoline_kernelINS0_14default_configENS1_25partition_config_selectorILNS1_17partition_subalgoE9EllbEEZZNS1_14partition_implILS5_9ELb0ES3_jPlS8_PNS0_10empty_typeENS0_5tupleIJS8_S9_EEENSB_IJS8_SA_EEENS0_18inequality_wrapperIZN2at6native12_GLOBAL__N_124unique_dim_cuda_templateIN3c104HalfEEESt5tupleIJNSF_6TensorESM_SM_EERKSM_lbbbEUlllE0_EEPmJS9_EEE10hipError_tPvRmT3_T4_T5_T6_T7_T9_mT8_P12ihipStream_tbDpT10_ENKUlT_T0_E_clISt17integral_constantIbLb0EES1C_EEDaS17_S18_EUlS17_E_NS1_11comp_targetILNS1_3genE10ELNS1_11target_archE1200ELNS1_3gpuE4ELNS1_3repE0EEENS1_30default_config_static_selectorELNS0_4arch9wavefront6targetE0EEEvT1_,@function
_ZN7rocprim17ROCPRIM_400000_NS6detail17trampoline_kernelINS0_14default_configENS1_25partition_config_selectorILNS1_17partition_subalgoE9EllbEEZZNS1_14partition_implILS5_9ELb0ES3_jPlS8_PNS0_10empty_typeENS0_5tupleIJS8_S9_EEENSB_IJS8_SA_EEENS0_18inequality_wrapperIZN2at6native12_GLOBAL__N_124unique_dim_cuda_templateIN3c104HalfEEESt5tupleIJNSF_6TensorESM_SM_EERKSM_lbbbEUlllE0_EEPmJS9_EEE10hipError_tPvRmT3_T4_T5_T6_T7_T9_mT8_P12ihipStream_tbDpT10_ENKUlT_T0_E_clISt17integral_constantIbLb0EES1C_EEDaS17_S18_EUlS17_E_NS1_11comp_targetILNS1_3genE10ELNS1_11target_archE1200ELNS1_3gpuE4ELNS1_3repE0EEENS1_30default_config_static_selectorELNS0_4arch9wavefront6targetE0EEEvT1_: ; @_ZN7rocprim17ROCPRIM_400000_NS6detail17trampoline_kernelINS0_14default_configENS1_25partition_config_selectorILNS1_17partition_subalgoE9EllbEEZZNS1_14partition_implILS5_9ELb0ES3_jPlS8_PNS0_10empty_typeENS0_5tupleIJS8_S9_EEENSB_IJS8_SA_EEENS0_18inequality_wrapperIZN2at6native12_GLOBAL__N_124unique_dim_cuda_templateIN3c104HalfEEESt5tupleIJNSF_6TensorESM_SM_EERKSM_lbbbEUlllE0_EEPmJS9_EEE10hipError_tPvRmT3_T4_T5_T6_T7_T9_mT8_P12ihipStream_tbDpT10_ENKUlT_T0_E_clISt17integral_constantIbLb0EES1C_EEDaS17_S18_EUlS17_E_NS1_11comp_targetILNS1_3genE10ELNS1_11target_archE1200ELNS1_3gpuE4ELNS1_3repE0EEENS1_30default_config_static_selectorELNS0_4arch9wavefront6targetE0EEEvT1_
; %bb.0:
	.section	.rodata,"a",@progbits
	.p2align	6, 0x0
	.amdhsa_kernel _ZN7rocprim17ROCPRIM_400000_NS6detail17trampoline_kernelINS0_14default_configENS1_25partition_config_selectorILNS1_17partition_subalgoE9EllbEEZZNS1_14partition_implILS5_9ELb0ES3_jPlS8_PNS0_10empty_typeENS0_5tupleIJS8_S9_EEENSB_IJS8_SA_EEENS0_18inequality_wrapperIZN2at6native12_GLOBAL__N_124unique_dim_cuda_templateIN3c104HalfEEESt5tupleIJNSF_6TensorESM_SM_EERKSM_lbbbEUlllE0_EEPmJS9_EEE10hipError_tPvRmT3_T4_T5_T6_T7_T9_mT8_P12ihipStream_tbDpT10_ENKUlT_T0_E_clISt17integral_constantIbLb0EES1C_EEDaS17_S18_EUlS17_E_NS1_11comp_targetILNS1_3genE10ELNS1_11target_archE1200ELNS1_3gpuE4ELNS1_3repE0EEENS1_30default_config_static_selectorELNS0_4arch9wavefront6targetE0EEEvT1_
		.amdhsa_group_segment_fixed_size 0
		.amdhsa_private_segment_fixed_size 0
		.amdhsa_kernarg_size 120
		.amdhsa_user_sgpr_count 2
		.amdhsa_user_sgpr_dispatch_ptr 0
		.amdhsa_user_sgpr_queue_ptr 0
		.amdhsa_user_sgpr_kernarg_segment_ptr 1
		.amdhsa_user_sgpr_dispatch_id 0
		.amdhsa_user_sgpr_kernarg_preload_length 0
		.amdhsa_user_sgpr_kernarg_preload_offset 0
		.amdhsa_user_sgpr_private_segment_size 0
		.amdhsa_wavefront_size32 1
		.amdhsa_uses_dynamic_stack 0
		.amdhsa_enable_private_segment 0
		.amdhsa_system_sgpr_workgroup_id_x 1
		.amdhsa_system_sgpr_workgroup_id_y 0
		.amdhsa_system_sgpr_workgroup_id_z 0
		.amdhsa_system_sgpr_workgroup_info 0
		.amdhsa_system_vgpr_workitem_id 0
		.amdhsa_next_free_vgpr 1
		.amdhsa_next_free_sgpr 1
		.amdhsa_named_barrier_count 0
		.amdhsa_reserve_vcc 0
		.amdhsa_float_round_mode_32 0
		.amdhsa_float_round_mode_16_64 0
		.amdhsa_float_denorm_mode_32 3
		.amdhsa_float_denorm_mode_16_64 3
		.amdhsa_fp16_overflow 0
		.amdhsa_memory_ordered 1
		.amdhsa_forward_progress 1
		.amdhsa_inst_pref_size 0
		.amdhsa_round_robin_scheduling 0
		.amdhsa_exception_fp_ieee_invalid_op 0
		.amdhsa_exception_fp_denorm_src 0
		.amdhsa_exception_fp_ieee_div_zero 0
		.amdhsa_exception_fp_ieee_overflow 0
		.amdhsa_exception_fp_ieee_underflow 0
		.amdhsa_exception_fp_ieee_inexact 0
		.amdhsa_exception_int_div_zero 0
	.end_amdhsa_kernel
	.section	.text._ZN7rocprim17ROCPRIM_400000_NS6detail17trampoline_kernelINS0_14default_configENS1_25partition_config_selectorILNS1_17partition_subalgoE9EllbEEZZNS1_14partition_implILS5_9ELb0ES3_jPlS8_PNS0_10empty_typeENS0_5tupleIJS8_S9_EEENSB_IJS8_SA_EEENS0_18inequality_wrapperIZN2at6native12_GLOBAL__N_124unique_dim_cuda_templateIN3c104HalfEEESt5tupleIJNSF_6TensorESM_SM_EERKSM_lbbbEUlllE0_EEPmJS9_EEE10hipError_tPvRmT3_T4_T5_T6_T7_T9_mT8_P12ihipStream_tbDpT10_ENKUlT_T0_E_clISt17integral_constantIbLb0EES1C_EEDaS17_S18_EUlS17_E_NS1_11comp_targetILNS1_3genE10ELNS1_11target_archE1200ELNS1_3gpuE4ELNS1_3repE0EEENS1_30default_config_static_selectorELNS0_4arch9wavefront6targetE0EEEvT1_,"axG",@progbits,_ZN7rocprim17ROCPRIM_400000_NS6detail17trampoline_kernelINS0_14default_configENS1_25partition_config_selectorILNS1_17partition_subalgoE9EllbEEZZNS1_14partition_implILS5_9ELb0ES3_jPlS8_PNS0_10empty_typeENS0_5tupleIJS8_S9_EEENSB_IJS8_SA_EEENS0_18inequality_wrapperIZN2at6native12_GLOBAL__N_124unique_dim_cuda_templateIN3c104HalfEEESt5tupleIJNSF_6TensorESM_SM_EERKSM_lbbbEUlllE0_EEPmJS9_EEE10hipError_tPvRmT3_T4_T5_T6_T7_T9_mT8_P12ihipStream_tbDpT10_ENKUlT_T0_E_clISt17integral_constantIbLb0EES1C_EEDaS17_S18_EUlS17_E_NS1_11comp_targetILNS1_3genE10ELNS1_11target_archE1200ELNS1_3gpuE4ELNS1_3repE0EEENS1_30default_config_static_selectorELNS0_4arch9wavefront6targetE0EEEvT1_,comdat
.Lfunc_end1334:
	.size	_ZN7rocprim17ROCPRIM_400000_NS6detail17trampoline_kernelINS0_14default_configENS1_25partition_config_selectorILNS1_17partition_subalgoE9EllbEEZZNS1_14partition_implILS5_9ELb0ES3_jPlS8_PNS0_10empty_typeENS0_5tupleIJS8_S9_EEENSB_IJS8_SA_EEENS0_18inequality_wrapperIZN2at6native12_GLOBAL__N_124unique_dim_cuda_templateIN3c104HalfEEESt5tupleIJNSF_6TensorESM_SM_EERKSM_lbbbEUlllE0_EEPmJS9_EEE10hipError_tPvRmT3_T4_T5_T6_T7_T9_mT8_P12ihipStream_tbDpT10_ENKUlT_T0_E_clISt17integral_constantIbLb0EES1C_EEDaS17_S18_EUlS17_E_NS1_11comp_targetILNS1_3genE10ELNS1_11target_archE1200ELNS1_3gpuE4ELNS1_3repE0EEENS1_30default_config_static_selectorELNS0_4arch9wavefront6targetE0EEEvT1_, .Lfunc_end1334-_ZN7rocprim17ROCPRIM_400000_NS6detail17trampoline_kernelINS0_14default_configENS1_25partition_config_selectorILNS1_17partition_subalgoE9EllbEEZZNS1_14partition_implILS5_9ELb0ES3_jPlS8_PNS0_10empty_typeENS0_5tupleIJS8_S9_EEENSB_IJS8_SA_EEENS0_18inequality_wrapperIZN2at6native12_GLOBAL__N_124unique_dim_cuda_templateIN3c104HalfEEESt5tupleIJNSF_6TensorESM_SM_EERKSM_lbbbEUlllE0_EEPmJS9_EEE10hipError_tPvRmT3_T4_T5_T6_T7_T9_mT8_P12ihipStream_tbDpT10_ENKUlT_T0_E_clISt17integral_constantIbLb0EES1C_EEDaS17_S18_EUlS17_E_NS1_11comp_targetILNS1_3genE10ELNS1_11target_archE1200ELNS1_3gpuE4ELNS1_3repE0EEENS1_30default_config_static_selectorELNS0_4arch9wavefront6targetE0EEEvT1_
                                        ; -- End function
	.set _ZN7rocprim17ROCPRIM_400000_NS6detail17trampoline_kernelINS0_14default_configENS1_25partition_config_selectorILNS1_17partition_subalgoE9EllbEEZZNS1_14partition_implILS5_9ELb0ES3_jPlS8_PNS0_10empty_typeENS0_5tupleIJS8_S9_EEENSB_IJS8_SA_EEENS0_18inequality_wrapperIZN2at6native12_GLOBAL__N_124unique_dim_cuda_templateIN3c104HalfEEESt5tupleIJNSF_6TensorESM_SM_EERKSM_lbbbEUlllE0_EEPmJS9_EEE10hipError_tPvRmT3_T4_T5_T6_T7_T9_mT8_P12ihipStream_tbDpT10_ENKUlT_T0_E_clISt17integral_constantIbLb0EES1C_EEDaS17_S18_EUlS17_E_NS1_11comp_targetILNS1_3genE10ELNS1_11target_archE1200ELNS1_3gpuE4ELNS1_3repE0EEENS1_30default_config_static_selectorELNS0_4arch9wavefront6targetE0EEEvT1_.num_vgpr, 0
	.set _ZN7rocprim17ROCPRIM_400000_NS6detail17trampoline_kernelINS0_14default_configENS1_25partition_config_selectorILNS1_17partition_subalgoE9EllbEEZZNS1_14partition_implILS5_9ELb0ES3_jPlS8_PNS0_10empty_typeENS0_5tupleIJS8_S9_EEENSB_IJS8_SA_EEENS0_18inequality_wrapperIZN2at6native12_GLOBAL__N_124unique_dim_cuda_templateIN3c104HalfEEESt5tupleIJNSF_6TensorESM_SM_EERKSM_lbbbEUlllE0_EEPmJS9_EEE10hipError_tPvRmT3_T4_T5_T6_T7_T9_mT8_P12ihipStream_tbDpT10_ENKUlT_T0_E_clISt17integral_constantIbLb0EES1C_EEDaS17_S18_EUlS17_E_NS1_11comp_targetILNS1_3genE10ELNS1_11target_archE1200ELNS1_3gpuE4ELNS1_3repE0EEENS1_30default_config_static_selectorELNS0_4arch9wavefront6targetE0EEEvT1_.num_agpr, 0
	.set _ZN7rocprim17ROCPRIM_400000_NS6detail17trampoline_kernelINS0_14default_configENS1_25partition_config_selectorILNS1_17partition_subalgoE9EllbEEZZNS1_14partition_implILS5_9ELb0ES3_jPlS8_PNS0_10empty_typeENS0_5tupleIJS8_S9_EEENSB_IJS8_SA_EEENS0_18inequality_wrapperIZN2at6native12_GLOBAL__N_124unique_dim_cuda_templateIN3c104HalfEEESt5tupleIJNSF_6TensorESM_SM_EERKSM_lbbbEUlllE0_EEPmJS9_EEE10hipError_tPvRmT3_T4_T5_T6_T7_T9_mT8_P12ihipStream_tbDpT10_ENKUlT_T0_E_clISt17integral_constantIbLb0EES1C_EEDaS17_S18_EUlS17_E_NS1_11comp_targetILNS1_3genE10ELNS1_11target_archE1200ELNS1_3gpuE4ELNS1_3repE0EEENS1_30default_config_static_selectorELNS0_4arch9wavefront6targetE0EEEvT1_.numbered_sgpr, 0
	.set _ZN7rocprim17ROCPRIM_400000_NS6detail17trampoline_kernelINS0_14default_configENS1_25partition_config_selectorILNS1_17partition_subalgoE9EllbEEZZNS1_14partition_implILS5_9ELb0ES3_jPlS8_PNS0_10empty_typeENS0_5tupleIJS8_S9_EEENSB_IJS8_SA_EEENS0_18inequality_wrapperIZN2at6native12_GLOBAL__N_124unique_dim_cuda_templateIN3c104HalfEEESt5tupleIJNSF_6TensorESM_SM_EERKSM_lbbbEUlllE0_EEPmJS9_EEE10hipError_tPvRmT3_T4_T5_T6_T7_T9_mT8_P12ihipStream_tbDpT10_ENKUlT_T0_E_clISt17integral_constantIbLb0EES1C_EEDaS17_S18_EUlS17_E_NS1_11comp_targetILNS1_3genE10ELNS1_11target_archE1200ELNS1_3gpuE4ELNS1_3repE0EEENS1_30default_config_static_selectorELNS0_4arch9wavefront6targetE0EEEvT1_.num_named_barrier, 0
	.set _ZN7rocprim17ROCPRIM_400000_NS6detail17trampoline_kernelINS0_14default_configENS1_25partition_config_selectorILNS1_17partition_subalgoE9EllbEEZZNS1_14partition_implILS5_9ELb0ES3_jPlS8_PNS0_10empty_typeENS0_5tupleIJS8_S9_EEENSB_IJS8_SA_EEENS0_18inequality_wrapperIZN2at6native12_GLOBAL__N_124unique_dim_cuda_templateIN3c104HalfEEESt5tupleIJNSF_6TensorESM_SM_EERKSM_lbbbEUlllE0_EEPmJS9_EEE10hipError_tPvRmT3_T4_T5_T6_T7_T9_mT8_P12ihipStream_tbDpT10_ENKUlT_T0_E_clISt17integral_constantIbLb0EES1C_EEDaS17_S18_EUlS17_E_NS1_11comp_targetILNS1_3genE10ELNS1_11target_archE1200ELNS1_3gpuE4ELNS1_3repE0EEENS1_30default_config_static_selectorELNS0_4arch9wavefront6targetE0EEEvT1_.private_seg_size, 0
	.set _ZN7rocprim17ROCPRIM_400000_NS6detail17trampoline_kernelINS0_14default_configENS1_25partition_config_selectorILNS1_17partition_subalgoE9EllbEEZZNS1_14partition_implILS5_9ELb0ES3_jPlS8_PNS0_10empty_typeENS0_5tupleIJS8_S9_EEENSB_IJS8_SA_EEENS0_18inequality_wrapperIZN2at6native12_GLOBAL__N_124unique_dim_cuda_templateIN3c104HalfEEESt5tupleIJNSF_6TensorESM_SM_EERKSM_lbbbEUlllE0_EEPmJS9_EEE10hipError_tPvRmT3_T4_T5_T6_T7_T9_mT8_P12ihipStream_tbDpT10_ENKUlT_T0_E_clISt17integral_constantIbLb0EES1C_EEDaS17_S18_EUlS17_E_NS1_11comp_targetILNS1_3genE10ELNS1_11target_archE1200ELNS1_3gpuE4ELNS1_3repE0EEENS1_30default_config_static_selectorELNS0_4arch9wavefront6targetE0EEEvT1_.uses_vcc, 0
	.set _ZN7rocprim17ROCPRIM_400000_NS6detail17trampoline_kernelINS0_14default_configENS1_25partition_config_selectorILNS1_17partition_subalgoE9EllbEEZZNS1_14partition_implILS5_9ELb0ES3_jPlS8_PNS0_10empty_typeENS0_5tupleIJS8_S9_EEENSB_IJS8_SA_EEENS0_18inequality_wrapperIZN2at6native12_GLOBAL__N_124unique_dim_cuda_templateIN3c104HalfEEESt5tupleIJNSF_6TensorESM_SM_EERKSM_lbbbEUlllE0_EEPmJS9_EEE10hipError_tPvRmT3_T4_T5_T6_T7_T9_mT8_P12ihipStream_tbDpT10_ENKUlT_T0_E_clISt17integral_constantIbLb0EES1C_EEDaS17_S18_EUlS17_E_NS1_11comp_targetILNS1_3genE10ELNS1_11target_archE1200ELNS1_3gpuE4ELNS1_3repE0EEENS1_30default_config_static_selectorELNS0_4arch9wavefront6targetE0EEEvT1_.uses_flat_scratch, 0
	.set _ZN7rocprim17ROCPRIM_400000_NS6detail17trampoline_kernelINS0_14default_configENS1_25partition_config_selectorILNS1_17partition_subalgoE9EllbEEZZNS1_14partition_implILS5_9ELb0ES3_jPlS8_PNS0_10empty_typeENS0_5tupleIJS8_S9_EEENSB_IJS8_SA_EEENS0_18inequality_wrapperIZN2at6native12_GLOBAL__N_124unique_dim_cuda_templateIN3c104HalfEEESt5tupleIJNSF_6TensorESM_SM_EERKSM_lbbbEUlllE0_EEPmJS9_EEE10hipError_tPvRmT3_T4_T5_T6_T7_T9_mT8_P12ihipStream_tbDpT10_ENKUlT_T0_E_clISt17integral_constantIbLb0EES1C_EEDaS17_S18_EUlS17_E_NS1_11comp_targetILNS1_3genE10ELNS1_11target_archE1200ELNS1_3gpuE4ELNS1_3repE0EEENS1_30default_config_static_selectorELNS0_4arch9wavefront6targetE0EEEvT1_.has_dyn_sized_stack, 0
	.set _ZN7rocprim17ROCPRIM_400000_NS6detail17trampoline_kernelINS0_14default_configENS1_25partition_config_selectorILNS1_17partition_subalgoE9EllbEEZZNS1_14partition_implILS5_9ELb0ES3_jPlS8_PNS0_10empty_typeENS0_5tupleIJS8_S9_EEENSB_IJS8_SA_EEENS0_18inequality_wrapperIZN2at6native12_GLOBAL__N_124unique_dim_cuda_templateIN3c104HalfEEESt5tupleIJNSF_6TensorESM_SM_EERKSM_lbbbEUlllE0_EEPmJS9_EEE10hipError_tPvRmT3_T4_T5_T6_T7_T9_mT8_P12ihipStream_tbDpT10_ENKUlT_T0_E_clISt17integral_constantIbLb0EES1C_EEDaS17_S18_EUlS17_E_NS1_11comp_targetILNS1_3genE10ELNS1_11target_archE1200ELNS1_3gpuE4ELNS1_3repE0EEENS1_30default_config_static_selectorELNS0_4arch9wavefront6targetE0EEEvT1_.has_recursion, 0
	.set _ZN7rocprim17ROCPRIM_400000_NS6detail17trampoline_kernelINS0_14default_configENS1_25partition_config_selectorILNS1_17partition_subalgoE9EllbEEZZNS1_14partition_implILS5_9ELb0ES3_jPlS8_PNS0_10empty_typeENS0_5tupleIJS8_S9_EEENSB_IJS8_SA_EEENS0_18inequality_wrapperIZN2at6native12_GLOBAL__N_124unique_dim_cuda_templateIN3c104HalfEEESt5tupleIJNSF_6TensorESM_SM_EERKSM_lbbbEUlllE0_EEPmJS9_EEE10hipError_tPvRmT3_T4_T5_T6_T7_T9_mT8_P12ihipStream_tbDpT10_ENKUlT_T0_E_clISt17integral_constantIbLb0EES1C_EEDaS17_S18_EUlS17_E_NS1_11comp_targetILNS1_3genE10ELNS1_11target_archE1200ELNS1_3gpuE4ELNS1_3repE0EEENS1_30default_config_static_selectorELNS0_4arch9wavefront6targetE0EEEvT1_.has_indirect_call, 0
	.section	.AMDGPU.csdata,"",@progbits
; Kernel info:
; codeLenInByte = 0
; TotalNumSgprs: 0
; NumVgprs: 0
; ScratchSize: 0
; MemoryBound: 0
; FloatMode: 240
; IeeeMode: 1
; LDSByteSize: 0 bytes/workgroup (compile time only)
; SGPRBlocks: 0
; VGPRBlocks: 0
; NumSGPRsForWavesPerEU: 1
; NumVGPRsForWavesPerEU: 1
; NamedBarCnt: 0
; Occupancy: 16
; WaveLimiterHint : 0
; COMPUTE_PGM_RSRC2:SCRATCH_EN: 0
; COMPUTE_PGM_RSRC2:USER_SGPR: 2
; COMPUTE_PGM_RSRC2:TRAP_HANDLER: 0
; COMPUTE_PGM_RSRC2:TGID_X_EN: 1
; COMPUTE_PGM_RSRC2:TGID_Y_EN: 0
; COMPUTE_PGM_RSRC2:TGID_Z_EN: 0
; COMPUTE_PGM_RSRC2:TIDIG_COMP_CNT: 0
	.section	.text._ZN7rocprim17ROCPRIM_400000_NS6detail17trampoline_kernelINS0_14default_configENS1_25partition_config_selectorILNS1_17partition_subalgoE9EllbEEZZNS1_14partition_implILS5_9ELb0ES3_jPlS8_PNS0_10empty_typeENS0_5tupleIJS8_S9_EEENSB_IJS8_SA_EEENS0_18inequality_wrapperIZN2at6native12_GLOBAL__N_124unique_dim_cuda_templateIN3c104HalfEEESt5tupleIJNSF_6TensorESM_SM_EERKSM_lbbbEUlllE0_EEPmJS9_EEE10hipError_tPvRmT3_T4_T5_T6_T7_T9_mT8_P12ihipStream_tbDpT10_ENKUlT_T0_E_clISt17integral_constantIbLb0EES1C_EEDaS17_S18_EUlS17_E_NS1_11comp_targetILNS1_3genE9ELNS1_11target_archE1100ELNS1_3gpuE3ELNS1_3repE0EEENS1_30default_config_static_selectorELNS0_4arch9wavefront6targetE0EEEvT1_,"axG",@progbits,_ZN7rocprim17ROCPRIM_400000_NS6detail17trampoline_kernelINS0_14default_configENS1_25partition_config_selectorILNS1_17partition_subalgoE9EllbEEZZNS1_14partition_implILS5_9ELb0ES3_jPlS8_PNS0_10empty_typeENS0_5tupleIJS8_S9_EEENSB_IJS8_SA_EEENS0_18inequality_wrapperIZN2at6native12_GLOBAL__N_124unique_dim_cuda_templateIN3c104HalfEEESt5tupleIJNSF_6TensorESM_SM_EERKSM_lbbbEUlllE0_EEPmJS9_EEE10hipError_tPvRmT3_T4_T5_T6_T7_T9_mT8_P12ihipStream_tbDpT10_ENKUlT_T0_E_clISt17integral_constantIbLb0EES1C_EEDaS17_S18_EUlS17_E_NS1_11comp_targetILNS1_3genE9ELNS1_11target_archE1100ELNS1_3gpuE3ELNS1_3repE0EEENS1_30default_config_static_selectorELNS0_4arch9wavefront6targetE0EEEvT1_,comdat
	.globl	_ZN7rocprim17ROCPRIM_400000_NS6detail17trampoline_kernelINS0_14default_configENS1_25partition_config_selectorILNS1_17partition_subalgoE9EllbEEZZNS1_14partition_implILS5_9ELb0ES3_jPlS8_PNS0_10empty_typeENS0_5tupleIJS8_S9_EEENSB_IJS8_SA_EEENS0_18inequality_wrapperIZN2at6native12_GLOBAL__N_124unique_dim_cuda_templateIN3c104HalfEEESt5tupleIJNSF_6TensorESM_SM_EERKSM_lbbbEUlllE0_EEPmJS9_EEE10hipError_tPvRmT3_T4_T5_T6_T7_T9_mT8_P12ihipStream_tbDpT10_ENKUlT_T0_E_clISt17integral_constantIbLb0EES1C_EEDaS17_S18_EUlS17_E_NS1_11comp_targetILNS1_3genE9ELNS1_11target_archE1100ELNS1_3gpuE3ELNS1_3repE0EEENS1_30default_config_static_selectorELNS0_4arch9wavefront6targetE0EEEvT1_ ; -- Begin function _ZN7rocprim17ROCPRIM_400000_NS6detail17trampoline_kernelINS0_14default_configENS1_25partition_config_selectorILNS1_17partition_subalgoE9EllbEEZZNS1_14partition_implILS5_9ELb0ES3_jPlS8_PNS0_10empty_typeENS0_5tupleIJS8_S9_EEENSB_IJS8_SA_EEENS0_18inequality_wrapperIZN2at6native12_GLOBAL__N_124unique_dim_cuda_templateIN3c104HalfEEESt5tupleIJNSF_6TensorESM_SM_EERKSM_lbbbEUlllE0_EEPmJS9_EEE10hipError_tPvRmT3_T4_T5_T6_T7_T9_mT8_P12ihipStream_tbDpT10_ENKUlT_T0_E_clISt17integral_constantIbLb0EES1C_EEDaS17_S18_EUlS17_E_NS1_11comp_targetILNS1_3genE9ELNS1_11target_archE1100ELNS1_3gpuE3ELNS1_3repE0EEENS1_30default_config_static_selectorELNS0_4arch9wavefront6targetE0EEEvT1_
	.p2align	8
	.type	_ZN7rocprim17ROCPRIM_400000_NS6detail17trampoline_kernelINS0_14default_configENS1_25partition_config_selectorILNS1_17partition_subalgoE9EllbEEZZNS1_14partition_implILS5_9ELb0ES3_jPlS8_PNS0_10empty_typeENS0_5tupleIJS8_S9_EEENSB_IJS8_SA_EEENS0_18inequality_wrapperIZN2at6native12_GLOBAL__N_124unique_dim_cuda_templateIN3c104HalfEEESt5tupleIJNSF_6TensorESM_SM_EERKSM_lbbbEUlllE0_EEPmJS9_EEE10hipError_tPvRmT3_T4_T5_T6_T7_T9_mT8_P12ihipStream_tbDpT10_ENKUlT_T0_E_clISt17integral_constantIbLb0EES1C_EEDaS17_S18_EUlS17_E_NS1_11comp_targetILNS1_3genE9ELNS1_11target_archE1100ELNS1_3gpuE3ELNS1_3repE0EEENS1_30default_config_static_selectorELNS0_4arch9wavefront6targetE0EEEvT1_,@function
_ZN7rocprim17ROCPRIM_400000_NS6detail17trampoline_kernelINS0_14default_configENS1_25partition_config_selectorILNS1_17partition_subalgoE9EllbEEZZNS1_14partition_implILS5_9ELb0ES3_jPlS8_PNS0_10empty_typeENS0_5tupleIJS8_S9_EEENSB_IJS8_SA_EEENS0_18inequality_wrapperIZN2at6native12_GLOBAL__N_124unique_dim_cuda_templateIN3c104HalfEEESt5tupleIJNSF_6TensorESM_SM_EERKSM_lbbbEUlllE0_EEPmJS9_EEE10hipError_tPvRmT3_T4_T5_T6_T7_T9_mT8_P12ihipStream_tbDpT10_ENKUlT_T0_E_clISt17integral_constantIbLb0EES1C_EEDaS17_S18_EUlS17_E_NS1_11comp_targetILNS1_3genE9ELNS1_11target_archE1100ELNS1_3gpuE3ELNS1_3repE0EEENS1_30default_config_static_selectorELNS0_4arch9wavefront6targetE0EEEvT1_: ; @_ZN7rocprim17ROCPRIM_400000_NS6detail17trampoline_kernelINS0_14default_configENS1_25partition_config_selectorILNS1_17partition_subalgoE9EllbEEZZNS1_14partition_implILS5_9ELb0ES3_jPlS8_PNS0_10empty_typeENS0_5tupleIJS8_S9_EEENSB_IJS8_SA_EEENS0_18inequality_wrapperIZN2at6native12_GLOBAL__N_124unique_dim_cuda_templateIN3c104HalfEEESt5tupleIJNSF_6TensorESM_SM_EERKSM_lbbbEUlllE0_EEPmJS9_EEE10hipError_tPvRmT3_T4_T5_T6_T7_T9_mT8_P12ihipStream_tbDpT10_ENKUlT_T0_E_clISt17integral_constantIbLb0EES1C_EEDaS17_S18_EUlS17_E_NS1_11comp_targetILNS1_3genE9ELNS1_11target_archE1100ELNS1_3gpuE3ELNS1_3repE0EEENS1_30default_config_static_selectorELNS0_4arch9wavefront6targetE0EEEvT1_
; %bb.0:
	.section	.rodata,"a",@progbits
	.p2align	6, 0x0
	.amdhsa_kernel _ZN7rocprim17ROCPRIM_400000_NS6detail17trampoline_kernelINS0_14default_configENS1_25partition_config_selectorILNS1_17partition_subalgoE9EllbEEZZNS1_14partition_implILS5_9ELb0ES3_jPlS8_PNS0_10empty_typeENS0_5tupleIJS8_S9_EEENSB_IJS8_SA_EEENS0_18inequality_wrapperIZN2at6native12_GLOBAL__N_124unique_dim_cuda_templateIN3c104HalfEEESt5tupleIJNSF_6TensorESM_SM_EERKSM_lbbbEUlllE0_EEPmJS9_EEE10hipError_tPvRmT3_T4_T5_T6_T7_T9_mT8_P12ihipStream_tbDpT10_ENKUlT_T0_E_clISt17integral_constantIbLb0EES1C_EEDaS17_S18_EUlS17_E_NS1_11comp_targetILNS1_3genE9ELNS1_11target_archE1100ELNS1_3gpuE3ELNS1_3repE0EEENS1_30default_config_static_selectorELNS0_4arch9wavefront6targetE0EEEvT1_
		.amdhsa_group_segment_fixed_size 0
		.amdhsa_private_segment_fixed_size 0
		.amdhsa_kernarg_size 120
		.amdhsa_user_sgpr_count 2
		.amdhsa_user_sgpr_dispatch_ptr 0
		.amdhsa_user_sgpr_queue_ptr 0
		.amdhsa_user_sgpr_kernarg_segment_ptr 1
		.amdhsa_user_sgpr_dispatch_id 0
		.amdhsa_user_sgpr_kernarg_preload_length 0
		.amdhsa_user_sgpr_kernarg_preload_offset 0
		.amdhsa_user_sgpr_private_segment_size 0
		.amdhsa_wavefront_size32 1
		.amdhsa_uses_dynamic_stack 0
		.amdhsa_enable_private_segment 0
		.amdhsa_system_sgpr_workgroup_id_x 1
		.amdhsa_system_sgpr_workgroup_id_y 0
		.amdhsa_system_sgpr_workgroup_id_z 0
		.amdhsa_system_sgpr_workgroup_info 0
		.amdhsa_system_vgpr_workitem_id 0
		.amdhsa_next_free_vgpr 1
		.amdhsa_next_free_sgpr 1
		.amdhsa_named_barrier_count 0
		.amdhsa_reserve_vcc 0
		.amdhsa_float_round_mode_32 0
		.amdhsa_float_round_mode_16_64 0
		.amdhsa_float_denorm_mode_32 3
		.amdhsa_float_denorm_mode_16_64 3
		.amdhsa_fp16_overflow 0
		.amdhsa_memory_ordered 1
		.amdhsa_forward_progress 1
		.amdhsa_inst_pref_size 0
		.amdhsa_round_robin_scheduling 0
		.amdhsa_exception_fp_ieee_invalid_op 0
		.amdhsa_exception_fp_denorm_src 0
		.amdhsa_exception_fp_ieee_div_zero 0
		.amdhsa_exception_fp_ieee_overflow 0
		.amdhsa_exception_fp_ieee_underflow 0
		.amdhsa_exception_fp_ieee_inexact 0
		.amdhsa_exception_int_div_zero 0
	.end_amdhsa_kernel
	.section	.text._ZN7rocprim17ROCPRIM_400000_NS6detail17trampoline_kernelINS0_14default_configENS1_25partition_config_selectorILNS1_17partition_subalgoE9EllbEEZZNS1_14partition_implILS5_9ELb0ES3_jPlS8_PNS0_10empty_typeENS0_5tupleIJS8_S9_EEENSB_IJS8_SA_EEENS0_18inequality_wrapperIZN2at6native12_GLOBAL__N_124unique_dim_cuda_templateIN3c104HalfEEESt5tupleIJNSF_6TensorESM_SM_EERKSM_lbbbEUlllE0_EEPmJS9_EEE10hipError_tPvRmT3_T4_T5_T6_T7_T9_mT8_P12ihipStream_tbDpT10_ENKUlT_T0_E_clISt17integral_constantIbLb0EES1C_EEDaS17_S18_EUlS17_E_NS1_11comp_targetILNS1_3genE9ELNS1_11target_archE1100ELNS1_3gpuE3ELNS1_3repE0EEENS1_30default_config_static_selectorELNS0_4arch9wavefront6targetE0EEEvT1_,"axG",@progbits,_ZN7rocprim17ROCPRIM_400000_NS6detail17trampoline_kernelINS0_14default_configENS1_25partition_config_selectorILNS1_17partition_subalgoE9EllbEEZZNS1_14partition_implILS5_9ELb0ES3_jPlS8_PNS0_10empty_typeENS0_5tupleIJS8_S9_EEENSB_IJS8_SA_EEENS0_18inequality_wrapperIZN2at6native12_GLOBAL__N_124unique_dim_cuda_templateIN3c104HalfEEESt5tupleIJNSF_6TensorESM_SM_EERKSM_lbbbEUlllE0_EEPmJS9_EEE10hipError_tPvRmT3_T4_T5_T6_T7_T9_mT8_P12ihipStream_tbDpT10_ENKUlT_T0_E_clISt17integral_constantIbLb0EES1C_EEDaS17_S18_EUlS17_E_NS1_11comp_targetILNS1_3genE9ELNS1_11target_archE1100ELNS1_3gpuE3ELNS1_3repE0EEENS1_30default_config_static_selectorELNS0_4arch9wavefront6targetE0EEEvT1_,comdat
.Lfunc_end1335:
	.size	_ZN7rocprim17ROCPRIM_400000_NS6detail17trampoline_kernelINS0_14default_configENS1_25partition_config_selectorILNS1_17partition_subalgoE9EllbEEZZNS1_14partition_implILS5_9ELb0ES3_jPlS8_PNS0_10empty_typeENS0_5tupleIJS8_S9_EEENSB_IJS8_SA_EEENS0_18inequality_wrapperIZN2at6native12_GLOBAL__N_124unique_dim_cuda_templateIN3c104HalfEEESt5tupleIJNSF_6TensorESM_SM_EERKSM_lbbbEUlllE0_EEPmJS9_EEE10hipError_tPvRmT3_T4_T5_T6_T7_T9_mT8_P12ihipStream_tbDpT10_ENKUlT_T0_E_clISt17integral_constantIbLb0EES1C_EEDaS17_S18_EUlS17_E_NS1_11comp_targetILNS1_3genE9ELNS1_11target_archE1100ELNS1_3gpuE3ELNS1_3repE0EEENS1_30default_config_static_selectorELNS0_4arch9wavefront6targetE0EEEvT1_, .Lfunc_end1335-_ZN7rocprim17ROCPRIM_400000_NS6detail17trampoline_kernelINS0_14default_configENS1_25partition_config_selectorILNS1_17partition_subalgoE9EllbEEZZNS1_14partition_implILS5_9ELb0ES3_jPlS8_PNS0_10empty_typeENS0_5tupleIJS8_S9_EEENSB_IJS8_SA_EEENS0_18inequality_wrapperIZN2at6native12_GLOBAL__N_124unique_dim_cuda_templateIN3c104HalfEEESt5tupleIJNSF_6TensorESM_SM_EERKSM_lbbbEUlllE0_EEPmJS9_EEE10hipError_tPvRmT3_T4_T5_T6_T7_T9_mT8_P12ihipStream_tbDpT10_ENKUlT_T0_E_clISt17integral_constantIbLb0EES1C_EEDaS17_S18_EUlS17_E_NS1_11comp_targetILNS1_3genE9ELNS1_11target_archE1100ELNS1_3gpuE3ELNS1_3repE0EEENS1_30default_config_static_selectorELNS0_4arch9wavefront6targetE0EEEvT1_
                                        ; -- End function
	.set _ZN7rocprim17ROCPRIM_400000_NS6detail17trampoline_kernelINS0_14default_configENS1_25partition_config_selectorILNS1_17partition_subalgoE9EllbEEZZNS1_14partition_implILS5_9ELb0ES3_jPlS8_PNS0_10empty_typeENS0_5tupleIJS8_S9_EEENSB_IJS8_SA_EEENS0_18inequality_wrapperIZN2at6native12_GLOBAL__N_124unique_dim_cuda_templateIN3c104HalfEEESt5tupleIJNSF_6TensorESM_SM_EERKSM_lbbbEUlllE0_EEPmJS9_EEE10hipError_tPvRmT3_T4_T5_T6_T7_T9_mT8_P12ihipStream_tbDpT10_ENKUlT_T0_E_clISt17integral_constantIbLb0EES1C_EEDaS17_S18_EUlS17_E_NS1_11comp_targetILNS1_3genE9ELNS1_11target_archE1100ELNS1_3gpuE3ELNS1_3repE0EEENS1_30default_config_static_selectorELNS0_4arch9wavefront6targetE0EEEvT1_.num_vgpr, 0
	.set _ZN7rocprim17ROCPRIM_400000_NS6detail17trampoline_kernelINS0_14default_configENS1_25partition_config_selectorILNS1_17partition_subalgoE9EllbEEZZNS1_14partition_implILS5_9ELb0ES3_jPlS8_PNS0_10empty_typeENS0_5tupleIJS8_S9_EEENSB_IJS8_SA_EEENS0_18inequality_wrapperIZN2at6native12_GLOBAL__N_124unique_dim_cuda_templateIN3c104HalfEEESt5tupleIJNSF_6TensorESM_SM_EERKSM_lbbbEUlllE0_EEPmJS9_EEE10hipError_tPvRmT3_T4_T5_T6_T7_T9_mT8_P12ihipStream_tbDpT10_ENKUlT_T0_E_clISt17integral_constantIbLb0EES1C_EEDaS17_S18_EUlS17_E_NS1_11comp_targetILNS1_3genE9ELNS1_11target_archE1100ELNS1_3gpuE3ELNS1_3repE0EEENS1_30default_config_static_selectorELNS0_4arch9wavefront6targetE0EEEvT1_.num_agpr, 0
	.set _ZN7rocprim17ROCPRIM_400000_NS6detail17trampoline_kernelINS0_14default_configENS1_25partition_config_selectorILNS1_17partition_subalgoE9EllbEEZZNS1_14partition_implILS5_9ELb0ES3_jPlS8_PNS0_10empty_typeENS0_5tupleIJS8_S9_EEENSB_IJS8_SA_EEENS0_18inequality_wrapperIZN2at6native12_GLOBAL__N_124unique_dim_cuda_templateIN3c104HalfEEESt5tupleIJNSF_6TensorESM_SM_EERKSM_lbbbEUlllE0_EEPmJS9_EEE10hipError_tPvRmT3_T4_T5_T6_T7_T9_mT8_P12ihipStream_tbDpT10_ENKUlT_T0_E_clISt17integral_constantIbLb0EES1C_EEDaS17_S18_EUlS17_E_NS1_11comp_targetILNS1_3genE9ELNS1_11target_archE1100ELNS1_3gpuE3ELNS1_3repE0EEENS1_30default_config_static_selectorELNS0_4arch9wavefront6targetE0EEEvT1_.numbered_sgpr, 0
	.set _ZN7rocprim17ROCPRIM_400000_NS6detail17trampoline_kernelINS0_14default_configENS1_25partition_config_selectorILNS1_17partition_subalgoE9EllbEEZZNS1_14partition_implILS5_9ELb0ES3_jPlS8_PNS0_10empty_typeENS0_5tupleIJS8_S9_EEENSB_IJS8_SA_EEENS0_18inequality_wrapperIZN2at6native12_GLOBAL__N_124unique_dim_cuda_templateIN3c104HalfEEESt5tupleIJNSF_6TensorESM_SM_EERKSM_lbbbEUlllE0_EEPmJS9_EEE10hipError_tPvRmT3_T4_T5_T6_T7_T9_mT8_P12ihipStream_tbDpT10_ENKUlT_T0_E_clISt17integral_constantIbLb0EES1C_EEDaS17_S18_EUlS17_E_NS1_11comp_targetILNS1_3genE9ELNS1_11target_archE1100ELNS1_3gpuE3ELNS1_3repE0EEENS1_30default_config_static_selectorELNS0_4arch9wavefront6targetE0EEEvT1_.num_named_barrier, 0
	.set _ZN7rocprim17ROCPRIM_400000_NS6detail17trampoline_kernelINS0_14default_configENS1_25partition_config_selectorILNS1_17partition_subalgoE9EllbEEZZNS1_14partition_implILS5_9ELb0ES3_jPlS8_PNS0_10empty_typeENS0_5tupleIJS8_S9_EEENSB_IJS8_SA_EEENS0_18inequality_wrapperIZN2at6native12_GLOBAL__N_124unique_dim_cuda_templateIN3c104HalfEEESt5tupleIJNSF_6TensorESM_SM_EERKSM_lbbbEUlllE0_EEPmJS9_EEE10hipError_tPvRmT3_T4_T5_T6_T7_T9_mT8_P12ihipStream_tbDpT10_ENKUlT_T0_E_clISt17integral_constantIbLb0EES1C_EEDaS17_S18_EUlS17_E_NS1_11comp_targetILNS1_3genE9ELNS1_11target_archE1100ELNS1_3gpuE3ELNS1_3repE0EEENS1_30default_config_static_selectorELNS0_4arch9wavefront6targetE0EEEvT1_.private_seg_size, 0
	.set _ZN7rocprim17ROCPRIM_400000_NS6detail17trampoline_kernelINS0_14default_configENS1_25partition_config_selectorILNS1_17partition_subalgoE9EllbEEZZNS1_14partition_implILS5_9ELb0ES3_jPlS8_PNS0_10empty_typeENS0_5tupleIJS8_S9_EEENSB_IJS8_SA_EEENS0_18inequality_wrapperIZN2at6native12_GLOBAL__N_124unique_dim_cuda_templateIN3c104HalfEEESt5tupleIJNSF_6TensorESM_SM_EERKSM_lbbbEUlllE0_EEPmJS9_EEE10hipError_tPvRmT3_T4_T5_T6_T7_T9_mT8_P12ihipStream_tbDpT10_ENKUlT_T0_E_clISt17integral_constantIbLb0EES1C_EEDaS17_S18_EUlS17_E_NS1_11comp_targetILNS1_3genE9ELNS1_11target_archE1100ELNS1_3gpuE3ELNS1_3repE0EEENS1_30default_config_static_selectorELNS0_4arch9wavefront6targetE0EEEvT1_.uses_vcc, 0
	.set _ZN7rocprim17ROCPRIM_400000_NS6detail17trampoline_kernelINS0_14default_configENS1_25partition_config_selectorILNS1_17partition_subalgoE9EllbEEZZNS1_14partition_implILS5_9ELb0ES3_jPlS8_PNS0_10empty_typeENS0_5tupleIJS8_S9_EEENSB_IJS8_SA_EEENS0_18inequality_wrapperIZN2at6native12_GLOBAL__N_124unique_dim_cuda_templateIN3c104HalfEEESt5tupleIJNSF_6TensorESM_SM_EERKSM_lbbbEUlllE0_EEPmJS9_EEE10hipError_tPvRmT3_T4_T5_T6_T7_T9_mT8_P12ihipStream_tbDpT10_ENKUlT_T0_E_clISt17integral_constantIbLb0EES1C_EEDaS17_S18_EUlS17_E_NS1_11comp_targetILNS1_3genE9ELNS1_11target_archE1100ELNS1_3gpuE3ELNS1_3repE0EEENS1_30default_config_static_selectorELNS0_4arch9wavefront6targetE0EEEvT1_.uses_flat_scratch, 0
	.set _ZN7rocprim17ROCPRIM_400000_NS6detail17trampoline_kernelINS0_14default_configENS1_25partition_config_selectorILNS1_17partition_subalgoE9EllbEEZZNS1_14partition_implILS5_9ELb0ES3_jPlS8_PNS0_10empty_typeENS0_5tupleIJS8_S9_EEENSB_IJS8_SA_EEENS0_18inequality_wrapperIZN2at6native12_GLOBAL__N_124unique_dim_cuda_templateIN3c104HalfEEESt5tupleIJNSF_6TensorESM_SM_EERKSM_lbbbEUlllE0_EEPmJS9_EEE10hipError_tPvRmT3_T4_T5_T6_T7_T9_mT8_P12ihipStream_tbDpT10_ENKUlT_T0_E_clISt17integral_constantIbLb0EES1C_EEDaS17_S18_EUlS17_E_NS1_11comp_targetILNS1_3genE9ELNS1_11target_archE1100ELNS1_3gpuE3ELNS1_3repE0EEENS1_30default_config_static_selectorELNS0_4arch9wavefront6targetE0EEEvT1_.has_dyn_sized_stack, 0
	.set _ZN7rocprim17ROCPRIM_400000_NS6detail17trampoline_kernelINS0_14default_configENS1_25partition_config_selectorILNS1_17partition_subalgoE9EllbEEZZNS1_14partition_implILS5_9ELb0ES3_jPlS8_PNS0_10empty_typeENS0_5tupleIJS8_S9_EEENSB_IJS8_SA_EEENS0_18inequality_wrapperIZN2at6native12_GLOBAL__N_124unique_dim_cuda_templateIN3c104HalfEEESt5tupleIJNSF_6TensorESM_SM_EERKSM_lbbbEUlllE0_EEPmJS9_EEE10hipError_tPvRmT3_T4_T5_T6_T7_T9_mT8_P12ihipStream_tbDpT10_ENKUlT_T0_E_clISt17integral_constantIbLb0EES1C_EEDaS17_S18_EUlS17_E_NS1_11comp_targetILNS1_3genE9ELNS1_11target_archE1100ELNS1_3gpuE3ELNS1_3repE0EEENS1_30default_config_static_selectorELNS0_4arch9wavefront6targetE0EEEvT1_.has_recursion, 0
	.set _ZN7rocprim17ROCPRIM_400000_NS6detail17trampoline_kernelINS0_14default_configENS1_25partition_config_selectorILNS1_17partition_subalgoE9EllbEEZZNS1_14partition_implILS5_9ELb0ES3_jPlS8_PNS0_10empty_typeENS0_5tupleIJS8_S9_EEENSB_IJS8_SA_EEENS0_18inequality_wrapperIZN2at6native12_GLOBAL__N_124unique_dim_cuda_templateIN3c104HalfEEESt5tupleIJNSF_6TensorESM_SM_EERKSM_lbbbEUlllE0_EEPmJS9_EEE10hipError_tPvRmT3_T4_T5_T6_T7_T9_mT8_P12ihipStream_tbDpT10_ENKUlT_T0_E_clISt17integral_constantIbLb0EES1C_EEDaS17_S18_EUlS17_E_NS1_11comp_targetILNS1_3genE9ELNS1_11target_archE1100ELNS1_3gpuE3ELNS1_3repE0EEENS1_30default_config_static_selectorELNS0_4arch9wavefront6targetE0EEEvT1_.has_indirect_call, 0
	.section	.AMDGPU.csdata,"",@progbits
; Kernel info:
; codeLenInByte = 0
; TotalNumSgprs: 0
; NumVgprs: 0
; ScratchSize: 0
; MemoryBound: 0
; FloatMode: 240
; IeeeMode: 1
; LDSByteSize: 0 bytes/workgroup (compile time only)
; SGPRBlocks: 0
; VGPRBlocks: 0
; NumSGPRsForWavesPerEU: 1
; NumVGPRsForWavesPerEU: 1
; NamedBarCnt: 0
; Occupancy: 16
; WaveLimiterHint : 0
; COMPUTE_PGM_RSRC2:SCRATCH_EN: 0
; COMPUTE_PGM_RSRC2:USER_SGPR: 2
; COMPUTE_PGM_RSRC2:TRAP_HANDLER: 0
; COMPUTE_PGM_RSRC2:TGID_X_EN: 1
; COMPUTE_PGM_RSRC2:TGID_Y_EN: 0
; COMPUTE_PGM_RSRC2:TGID_Z_EN: 0
; COMPUTE_PGM_RSRC2:TIDIG_COMP_CNT: 0
	.section	.text._ZN7rocprim17ROCPRIM_400000_NS6detail17trampoline_kernelINS0_14default_configENS1_25partition_config_selectorILNS1_17partition_subalgoE9EllbEEZZNS1_14partition_implILS5_9ELb0ES3_jPlS8_PNS0_10empty_typeENS0_5tupleIJS8_S9_EEENSB_IJS8_SA_EEENS0_18inequality_wrapperIZN2at6native12_GLOBAL__N_124unique_dim_cuda_templateIN3c104HalfEEESt5tupleIJNSF_6TensorESM_SM_EERKSM_lbbbEUlllE0_EEPmJS9_EEE10hipError_tPvRmT3_T4_T5_T6_T7_T9_mT8_P12ihipStream_tbDpT10_ENKUlT_T0_E_clISt17integral_constantIbLb0EES1C_EEDaS17_S18_EUlS17_E_NS1_11comp_targetILNS1_3genE8ELNS1_11target_archE1030ELNS1_3gpuE2ELNS1_3repE0EEENS1_30default_config_static_selectorELNS0_4arch9wavefront6targetE0EEEvT1_,"axG",@progbits,_ZN7rocprim17ROCPRIM_400000_NS6detail17trampoline_kernelINS0_14default_configENS1_25partition_config_selectorILNS1_17partition_subalgoE9EllbEEZZNS1_14partition_implILS5_9ELb0ES3_jPlS8_PNS0_10empty_typeENS0_5tupleIJS8_S9_EEENSB_IJS8_SA_EEENS0_18inequality_wrapperIZN2at6native12_GLOBAL__N_124unique_dim_cuda_templateIN3c104HalfEEESt5tupleIJNSF_6TensorESM_SM_EERKSM_lbbbEUlllE0_EEPmJS9_EEE10hipError_tPvRmT3_T4_T5_T6_T7_T9_mT8_P12ihipStream_tbDpT10_ENKUlT_T0_E_clISt17integral_constantIbLb0EES1C_EEDaS17_S18_EUlS17_E_NS1_11comp_targetILNS1_3genE8ELNS1_11target_archE1030ELNS1_3gpuE2ELNS1_3repE0EEENS1_30default_config_static_selectorELNS0_4arch9wavefront6targetE0EEEvT1_,comdat
	.globl	_ZN7rocprim17ROCPRIM_400000_NS6detail17trampoline_kernelINS0_14default_configENS1_25partition_config_selectorILNS1_17partition_subalgoE9EllbEEZZNS1_14partition_implILS5_9ELb0ES3_jPlS8_PNS0_10empty_typeENS0_5tupleIJS8_S9_EEENSB_IJS8_SA_EEENS0_18inequality_wrapperIZN2at6native12_GLOBAL__N_124unique_dim_cuda_templateIN3c104HalfEEESt5tupleIJNSF_6TensorESM_SM_EERKSM_lbbbEUlllE0_EEPmJS9_EEE10hipError_tPvRmT3_T4_T5_T6_T7_T9_mT8_P12ihipStream_tbDpT10_ENKUlT_T0_E_clISt17integral_constantIbLb0EES1C_EEDaS17_S18_EUlS17_E_NS1_11comp_targetILNS1_3genE8ELNS1_11target_archE1030ELNS1_3gpuE2ELNS1_3repE0EEENS1_30default_config_static_selectorELNS0_4arch9wavefront6targetE0EEEvT1_ ; -- Begin function _ZN7rocprim17ROCPRIM_400000_NS6detail17trampoline_kernelINS0_14default_configENS1_25partition_config_selectorILNS1_17partition_subalgoE9EllbEEZZNS1_14partition_implILS5_9ELb0ES3_jPlS8_PNS0_10empty_typeENS0_5tupleIJS8_S9_EEENSB_IJS8_SA_EEENS0_18inequality_wrapperIZN2at6native12_GLOBAL__N_124unique_dim_cuda_templateIN3c104HalfEEESt5tupleIJNSF_6TensorESM_SM_EERKSM_lbbbEUlllE0_EEPmJS9_EEE10hipError_tPvRmT3_T4_T5_T6_T7_T9_mT8_P12ihipStream_tbDpT10_ENKUlT_T0_E_clISt17integral_constantIbLb0EES1C_EEDaS17_S18_EUlS17_E_NS1_11comp_targetILNS1_3genE8ELNS1_11target_archE1030ELNS1_3gpuE2ELNS1_3repE0EEENS1_30default_config_static_selectorELNS0_4arch9wavefront6targetE0EEEvT1_
	.p2align	8
	.type	_ZN7rocprim17ROCPRIM_400000_NS6detail17trampoline_kernelINS0_14default_configENS1_25partition_config_selectorILNS1_17partition_subalgoE9EllbEEZZNS1_14partition_implILS5_9ELb0ES3_jPlS8_PNS0_10empty_typeENS0_5tupleIJS8_S9_EEENSB_IJS8_SA_EEENS0_18inequality_wrapperIZN2at6native12_GLOBAL__N_124unique_dim_cuda_templateIN3c104HalfEEESt5tupleIJNSF_6TensorESM_SM_EERKSM_lbbbEUlllE0_EEPmJS9_EEE10hipError_tPvRmT3_T4_T5_T6_T7_T9_mT8_P12ihipStream_tbDpT10_ENKUlT_T0_E_clISt17integral_constantIbLb0EES1C_EEDaS17_S18_EUlS17_E_NS1_11comp_targetILNS1_3genE8ELNS1_11target_archE1030ELNS1_3gpuE2ELNS1_3repE0EEENS1_30default_config_static_selectorELNS0_4arch9wavefront6targetE0EEEvT1_,@function
_ZN7rocprim17ROCPRIM_400000_NS6detail17trampoline_kernelINS0_14default_configENS1_25partition_config_selectorILNS1_17partition_subalgoE9EllbEEZZNS1_14partition_implILS5_9ELb0ES3_jPlS8_PNS0_10empty_typeENS0_5tupleIJS8_S9_EEENSB_IJS8_SA_EEENS0_18inequality_wrapperIZN2at6native12_GLOBAL__N_124unique_dim_cuda_templateIN3c104HalfEEESt5tupleIJNSF_6TensorESM_SM_EERKSM_lbbbEUlllE0_EEPmJS9_EEE10hipError_tPvRmT3_T4_T5_T6_T7_T9_mT8_P12ihipStream_tbDpT10_ENKUlT_T0_E_clISt17integral_constantIbLb0EES1C_EEDaS17_S18_EUlS17_E_NS1_11comp_targetILNS1_3genE8ELNS1_11target_archE1030ELNS1_3gpuE2ELNS1_3repE0EEENS1_30default_config_static_selectorELNS0_4arch9wavefront6targetE0EEEvT1_: ; @_ZN7rocprim17ROCPRIM_400000_NS6detail17trampoline_kernelINS0_14default_configENS1_25partition_config_selectorILNS1_17partition_subalgoE9EllbEEZZNS1_14partition_implILS5_9ELb0ES3_jPlS8_PNS0_10empty_typeENS0_5tupleIJS8_S9_EEENSB_IJS8_SA_EEENS0_18inequality_wrapperIZN2at6native12_GLOBAL__N_124unique_dim_cuda_templateIN3c104HalfEEESt5tupleIJNSF_6TensorESM_SM_EERKSM_lbbbEUlllE0_EEPmJS9_EEE10hipError_tPvRmT3_T4_T5_T6_T7_T9_mT8_P12ihipStream_tbDpT10_ENKUlT_T0_E_clISt17integral_constantIbLb0EES1C_EEDaS17_S18_EUlS17_E_NS1_11comp_targetILNS1_3genE8ELNS1_11target_archE1030ELNS1_3gpuE2ELNS1_3repE0EEENS1_30default_config_static_selectorELNS0_4arch9wavefront6targetE0EEEvT1_
; %bb.0:
	.section	.rodata,"a",@progbits
	.p2align	6, 0x0
	.amdhsa_kernel _ZN7rocprim17ROCPRIM_400000_NS6detail17trampoline_kernelINS0_14default_configENS1_25partition_config_selectorILNS1_17partition_subalgoE9EllbEEZZNS1_14partition_implILS5_9ELb0ES3_jPlS8_PNS0_10empty_typeENS0_5tupleIJS8_S9_EEENSB_IJS8_SA_EEENS0_18inequality_wrapperIZN2at6native12_GLOBAL__N_124unique_dim_cuda_templateIN3c104HalfEEESt5tupleIJNSF_6TensorESM_SM_EERKSM_lbbbEUlllE0_EEPmJS9_EEE10hipError_tPvRmT3_T4_T5_T6_T7_T9_mT8_P12ihipStream_tbDpT10_ENKUlT_T0_E_clISt17integral_constantIbLb0EES1C_EEDaS17_S18_EUlS17_E_NS1_11comp_targetILNS1_3genE8ELNS1_11target_archE1030ELNS1_3gpuE2ELNS1_3repE0EEENS1_30default_config_static_selectorELNS0_4arch9wavefront6targetE0EEEvT1_
		.amdhsa_group_segment_fixed_size 0
		.amdhsa_private_segment_fixed_size 0
		.amdhsa_kernarg_size 120
		.amdhsa_user_sgpr_count 2
		.amdhsa_user_sgpr_dispatch_ptr 0
		.amdhsa_user_sgpr_queue_ptr 0
		.amdhsa_user_sgpr_kernarg_segment_ptr 1
		.amdhsa_user_sgpr_dispatch_id 0
		.amdhsa_user_sgpr_kernarg_preload_length 0
		.amdhsa_user_sgpr_kernarg_preload_offset 0
		.amdhsa_user_sgpr_private_segment_size 0
		.amdhsa_wavefront_size32 1
		.amdhsa_uses_dynamic_stack 0
		.amdhsa_enable_private_segment 0
		.amdhsa_system_sgpr_workgroup_id_x 1
		.amdhsa_system_sgpr_workgroup_id_y 0
		.amdhsa_system_sgpr_workgroup_id_z 0
		.amdhsa_system_sgpr_workgroup_info 0
		.amdhsa_system_vgpr_workitem_id 0
		.amdhsa_next_free_vgpr 1
		.amdhsa_next_free_sgpr 1
		.amdhsa_named_barrier_count 0
		.amdhsa_reserve_vcc 0
		.amdhsa_float_round_mode_32 0
		.amdhsa_float_round_mode_16_64 0
		.amdhsa_float_denorm_mode_32 3
		.amdhsa_float_denorm_mode_16_64 3
		.amdhsa_fp16_overflow 0
		.amdhsa_memory_ordered 1
		.amdhsa_forward_progress 1
		.amdhsa_inst_pref_size 0
		.amdhsa_round_robin_scheduling 0
		.amdhsa_exception_fp_ieee_invalid_op 0
		.amdhsa_exception_fp_denorm_src 0
		.amdhsa_exception_fp_ieee_div_zero 0
		.amdhsa_exception_fp_ieee_overflow 0
		.amdhsa_exception_fp_ieee_underflow 0
		.amdhsa_exception_fp_ieee_inexact 0
		.amdhsa_exception_int_div_zero 0
	.end_amdhsa_kernel
	.section	.text._ZN7rocprim17ROCPRIM_400000_NS6detail17trampoline_kernelINS0_14default_configENS1_25partition_config_selectorILNS1_17partition_subalgoE9EllbEEZZNS1_14partition_implILS5_9ELb0ES3_jPlS8_PNS0_10empty_typeENS0_5tupleIJS8_S9_EEENSB_IJS8_SA_EEENS0_18inequality_wrapperIZN2at6native12_GLOBAL__N_124unique_dim_cuda_templateIN3c104HalfEEESt5tupleIJNSF_6TensorESM_SM_EERKSM_lbbbEUlllE0_EEPmJS9_EEE10hipError_tPvRmT3_T4_T5_T6_T7_T9_mT8_P12ihipStream_tbDpT10_ENKUlT_T0_E_clISt17integral_constantIbLb0EES1C_EEDaS17_S18_EUlS17_E_NS1_11comp_targetILNS1_3genE8ELNS1_11target_archE1030ELNS1_3gpuE2ELNS1_3repE0EEENS1_30default_config_static_selectorELNS0_4arch9wavefront6targetE0EEEvT1_,"axG",@progbits,_ZN7rocprim17ROCPRIM_400000_NS6detail17trampoline_kernelINS0_14default_configENS1_25partition_config_selectorILNS1_17partition_subalgoE9EllbEEZZNS1_14partition_implILS5_9ELb0ES3_jPlS8_PNS0_10empty_typeENS0_5tupleIJS8_S9_EEENSB_IJS8_SA_EEENS0_18inequality_wrapperIZN2at6native12_GLOBAL__N_124unique_dim_cuda_templateIN3c104HalfEEESt5tupleIJNSF_6TensorESM_SM_EERKSM_lbbbEUlllE0_EEPmJS9_EEE10hipError_tPvRmT3_T4_T5_T6_T7_T9_mT8_P12ihipStream_tbDpT10_ENKUlT_T0_E_clISt17integral_constantIbLb0EES1C_EEDaS17_S18_EUlS17_E_NS1_11comp_targetILNS1_3genE8ELNS1_11target_archE1030ELNS1_3gpuE2ELNS1_3repE0EEENS1_30default_config_static_selectorELNS0_4arch9wavefront6targetE0EEEvT1_,comdat
.Lfunc_end1336:
	.size	_ZN7rocprim17ROCPRIM_400000_NS6detail17trampoline_kernelINS0_14default_configENS1_25partition_config_selectorILNS1_17partition_subalgoE9EllbEEZZNS1_14partition_implILS5_9ELb0ES3_jPlS8_PNS0_10empty_typeENS0_5tupleIJS8_S9_EEENSB_IJS8_SA_EEENS0_18inequality_wrapperIZN2at6native12_GLOBAL__N_124unique_dim_cuda_templateIN3c104HalfEEESt5tupleIJNSF_6TensorESM_SM_EERKSM_lbbbEUlllE0_EEPmJS9_EEE10hipError_tPvRmT3_T4_T5_T6_T7_T9_mT8_P12ihipStream_tbDpT10_ENKUlT_T0_E_clISt17integral_constantIbLb0EES1C_EEDaS17_S18_EUlS17_E_NS1_11comp_targetILNS1_3genE8ELNS1_11target_archE1030ELNS1_3gpuE2ELNS1_3repE0EEENS1_30default_config_static_selectorELNS0_4arch9wavefront6targetE0EEEvT1_, .Lfunc_end1336-_ZN7rocprim17ROCPRIM_400000_NS6detail17trampoline_kernelINS0_14default_configENS1_25partition_config_selectorILNS1_17partition_subalgoE9EllbEEZZNS1_14partition_implILS5_9ELb0ES3_jPlS8_PNS0_10empty_typeENS0_5tupleIJS8_S9_EEENSB_IJS8_SA_EEENS0_18inequality_wrapperIZN2at6native12_GLOBAL__N_124unique_dim_cuda_templateIN3c104HalfEEESt5tupleIJNSF_6TensorESM_SM_EERKSM_lbbbEUlllE0_EEPmJS9_EEE10hipError_tPvRmT3_T4_T5_T6_T7_T9_mT8_P12ihipStream_tbDpT10_ENKUlT_T0_E_clISt17integral_constantIbLb0EES1C_EEDaS17_S18_EUlS17_E_NS1_11comp_targetILNS1_3genE8ELNS1_11target_archE1030ELNS1_3gpuE2ELNS1_3repE0EEENS1_30default_config_static_selectorELNS0_4arch9wavefront6targetE0EEEvT1_
                                        ; -- End function
	.set _ZN7rocprim17ROCPRIM_400000_NS6detail17trampoline_kernelINS0_14default_configENS1_25partition_config_selectorILNS1_17partition_subalgoE9EllbEEZZNS1_14partition_implILS5_9ELb0ES3_jPlS8_PNS0_10empty_typeENS0_5tupleIJS8_S9_EEENSB_IJS8_SA_EEENS0_18inequality_wrapperIZN2at6native12_GLOBAL__N_124unique_dim_cuda_templateIN3c104HalfEEESt5tupleIJNSF_6TensorESM_SM_EERKSM_lbbbEUlllE0_EEPmJS9_EEE10hipError_tPvRmT3_T4_T5_T6_T7_T9_mT8_P12ihipStream_tbDpT10_ENKUlT_T0_E_clISt17integral_constantIbLb0EES1C_EEDaS17_S18_EUlS17_E_NS1_11comp_targetILNS1_3genE8ELNS1_11target_archE1030ELNS1_3gpuE2ELNS1_3repE0EEENS1_30default_config_static_selectorELNS0_4arch9wavefront6targetE0EEEvT1_.num_vgpr, 0
	.set _ZN7rocprim17ROCPRIM_400000_NS6detail17trampoline_kernelINS0_14default_configENS1_25partition_config_selectorILNS1_17partition_subalgoE9EllbEEZZNS1_14partition_implILS5_9ELb0ES3_jPlS8_PNS0_10empty_typeENS0_5tupleIJS8_S9_EEENSB_IJS8_SA_EEENS0_18inequality_wrapperIZN2at6native12_GLOBAL__N_124unique_dim_cuda_templateIN3c104HalfEEESt5tupleIJNSF_6TensorESM_SM_EERKSM_lbbbEUlllE0_EEPmJS9_EEE10hipError_tPvRmT3_T4_T5_T6_T7_T9_mT8_P12ihipStream_tbDpT10_ENKUlT_T0_E_clISt17integral_constantIbLb0EES1C_EEDaS17_S18_EUlS17_E_NS1_11comp_targetILNS1_3genE8ELNS1_11target_archE1030ELNS1_3gpuE2ELNS1_3repE0EEENS1_30default_config_static_selectorELNS0_4arch9wavefront6targetE0EEEvT1_.num_agpr, 0
	.set _ZN7rocprim17ROCPRIM_400000_NS6detail17trampoline_kernelINS0_14default_configENS1_25partition_config_selectorILNS1_17partition_subalgoE9EllbEEZZNS1_14partition_implILS5_9ELb0ES3_jPlS8_PNS0_10empty_typeENS0_5tupleIJS8_S9_EEENSB_IJS8_SA_EEENS0_18inequality_wrapperIZN2at6native12_GLOBAL__N_124unique_dim_cuda_templateIN3c104HalfEEESt5tupleIJNSF_6TensorESM_SM_EERKSM_lbbbEUlllE0_EEPmJS9_EEE10hipError_tPvRmT3_T4_T5_T6_T7_T9_mT8_P12ihipStream_tbDpT10_ENKUlT_T0_E_clISt17integral_constantIbLb0EES1C_EEDaS17_S18_EUlS17_E_NS1_11comp_targetILNS1_3genE8ELNS1_11target_archE1030ELNS1_3gpuE2ELNS1_3repE0EEENS1_30default_config_static_selectorELNS0_4arch9wavefront6targetE0EEEvT1_.numbered_sgpr, 0
	.set _ZN7rocprim17ROCPRIM_400000_NS6detail17trampoline_kernelINS0_14default_configENS1_25partition_config_selectorILNS1_17partition_subalgoE9EllbEEZZNS1_14partition_implILS5_9ELb0ES3_jPlS8_PNS0_10empty_typeENS0_5tupleIJS8_S9_EEENSB_IJS8_SA_EEENS0_18inequality_wrapperIZN2at6native12_GLOBAL__N_124unique_dim_cuda_templateIN3c104HalfEEESt5tupleIJNSF_6TensorESM_SM_EERKSM_lbbbEUlllE0_EEPmJS9_EEE10hipError_tPvRmT3_T4_T5_T6_T7_T9_mT8_P12ihipStream_tbDpT10_ENKUlT_T0_E_clISt17integral_constantIbLb0EES1C_EEDaS17_S18_EUlS17_E_NS1_11comp_targetILNS1_3genE8ELNS1_11target_archE1030ELNS1_3gpuE2ELNS1_3repE0EEENS1_30default_config_static_selectorELNS0_4arch9wavefront6targetE0EEEvT1_.num_named_barrier, 0
	.set _ZN7rocprim17ROCPRIM_400000_NS6detail17trampoline_kernelINS0_14default_configENS1_25partition_config_selectorILNS1_17partition_subalgoE9EllbEEZZNS1_14partition_implILS5_9ELb0ES3_jPlS8_PNS0_10empty_typeENS0_5tupleIJS8_S9_EEENSB_IJS8_SA_EEENS0_18inequality_wrapperIZN2at6native12_GLOBAL__N_124unique_dim_cuda_templateIN3c104HalfEEESt5tupleIJNSF_6TensorESM_SM_EERKSM_lbbbEUlllE0_EEPmJS9_EEE10hipError_tPvRmT3_T4_T5_T6_T7_T9_mT8_P12ihipStream_tbDpT10_ENKUlT_T0_E_clISt17integral_constantIbLb0EES1C_EEDaS17_S18_EUlS17_E_NS1_11comp_targetILNS1_3genE8ELNS1_11target_archE1030ELNS1_3gpuE2ELNS1_3repE0EEENS1_30default_config_static_selectorELNS0_4arch9wavefront6targetE0EEEvT1_.private_seg_size, 0
	.set _ZN7rocprim17ROCPRIM_400000_NS6detail17trampoline_kernelINS0_14default_configENS1_25partition_config_selectorILNS1_17partition_subalgoE9EllbEEZZNS1_14partition_implILS5_9ELb0ES3_jPlS8_PNS0_10empty_typeENS0_5tupleIJS8_S9_EEENSB_IJS8_SA_EEENS0_18inequality_wrapperIZN2at6native12_GLOBAL__N_124unique_dim_cuda_templateIN3c104HalfEEESt5tupleIJNSF_6TensorESM_SM_EERKSM_lbbbEUlllE0_EEPmJS9_EEE10hipError_tPvRmT3_T4_T5_T6_T7_T9_mT8_P12ihipStream_tbDpT10_ENKUlT_T0_E_clISt17integral_constantIbLb0EES1C_EEDaS17_S18_EUlS17_E_NS1_11comp_targetILNS1_3genE8ELNS1_11target_archE1030ELNS1_3gpuE2ELNS1_3repE0EEENS1_30default_config_static_selectorELNS0_4arch9wavefront6targetE0EEEvT1_.uses_vcc, 0
	.set _ZN7rocprim17ROCPRIM_400000_NS6detail17trampoline_kernelINS0_14default_configENS1_25partition_config_selectorILNS1_17partition_subalgoE9EllbEEZZNS1_14partition_implILS5_9ELb0ES3_jPlS8_PNS0_10empty_typeENS0_5tupleIJS8_S9_EEENSB_IJS8_SA_EEENS0_18inequality_wrapperIZN2at6native12_GLOBAL__N_124unique_dim_cuda_templateIN3c104HalfEEESt5tupleIJNSF_6TensorESM_SM_EERKSM_lbbbEUlllE0_EEPmJS9_EEE10hipError_tPvRmT3_T4_T5_T6_T7_T9_mT8_P12ihipStream_tbDpT10_ENKUlT_T0_E_clISt17integral_constantIbLb0EES1C_EEDaS17_S18_EUlS17_E_NS1_11comp_targetILNS1_3genE8ELNS1_11target_archE1030ELNS1_3gpuE2ELNS1_3repE0EEENS1_30default_config_static_selectorELNS0_4arch9wavefront6targetE0EEEvT1_.uses_flat_scratch, 0
	.set _ZN7rocprim17ROCPRIM_400000_NS6detail17trampoline_kernelINS0_14default_configENS1_25partition_config_selectorILNS1_17partition_subalgoE9EllbEEZZNS1_14partition_implILS5_9ELb0ES3_jPlS8_PNS0_10empty_typeENS0_5tupleIJS8_S9_EEENSB_IJS8_SA_EEENS0_18inequality_wrapperIZN2at6native12_GLOBAL__N_124unique_dim_cuda_templateIN3c104HalfEEESt5tupleIJNSF_6TensorESM_SM_EERKSM_lbbbEUlllE0_EEPmJS9_EEE10hipError_tPvRmT3_T4_T5_T6_T7_T9_mT8_P12ihipStream_tbDpT10_ENKUlT_T0_E_clISt17integral_constantIbLb0EES1C_EEDaS17_S18_EUlS17_E_NS1_11comp_targetILNS1_3genE8ELNS1_11target_archE1030ELNS1_3gpuE2ELNS1_3repE0EEENS1_30default_config_static_selectorELNS0_4arch9wavefront6targetE0EEEvT1_.has_dyn_sized_stack, 0
	.set _ZN7rocprim17ROCPRIM_400000_NS6detail17trampoline_kernelINS0_14default_configENS1_25partition_config_selectorILNS1_17partition_subalgoE9EllbEEZZNS1_14partition_implILS5_9ELb0ES3_jPlS8_PNS0_10empty_typeENS0_5tupleIJS8_S9_EEENSB_IJS8_SA_EEENS0_18inequality_wrapperIZN2at6native12_GLOBAL__N_124unique_dim_cuda_templateIN3c104HalfEEESt5tupleIJNSF_6TensorESM_SM_EERKSM_lbbbEUlllE0_EEPmJS9_EEE10hipError_tPvRmT3_T4_T5_T6_T7_T9_mT8_P12ihipStream_tbDpT10_ENKUlT_T0_E_clISt17integral_constantIbLb0EES1C_EEDaS17_S18_EUlS17_E_NS1_11comp_targetILNS1_3genE8ELNS1_11target_archE1030ELNS1_3gpuE2ELNS1_3repE0EEENS1_30default_config_static_selectorELNS0_4arch9wavefront6targetE0EEEvT1_.has_recursion, 0
	.set _ZN7rocprim17ROCPRIM_400000_NS6detail17trampoline_kernelINS0_14default_configENS1_25partition_config_selectorILNS1_17partition_subalgoE9EllbEEZZNS1_14partition_implILS5_9ELb0ES3_jPlS8_PNS0_10empty_typeENS0_5tupleIJS8_S9_EEENSB_IJS8_SA_EEENS0_18inequality_wrapperIZN2at6native12_GLOBAL__N_124unique_dim_cuda_templateIN3c104HalfEEESt5tupleIJNSF_6TensorESM_SM_EERKSM_lbbbEUlllE0_EEPmJS9_EEE10hipError_tPvRmT3_T4_T5_T6_T7_T9_mT8_P12ihipStream_tbDpT10_ENKUlT_T0_E_clISt17integral_constantIbLb0EES1C_EEDaS17_S18_EUlS17_E_NS1_11comp_targetILNS1_3genE8ELNS1_11target_archE1030ELNS1_3gpuE2ELNS1_3repE0EEENS1_30default_config_static_selectorELNS0_4arch9wavefront6targetE0EEEvT1_.has_indirect_call, 0
	.section	.AMDGPU.csdata,"",@progbits
; Kernel info:
; codeLenInByte = 0
; TotalNumSgprs: 0
; NumVgprs: 0
; ScratchSize: 0
; MemoryBound: 0
; FloatMode: 240
; IeeeMode: 1
; LDSByteSize: 0 bytes/workgroup (compile time only)
; SGPRBlocks: 0
; VGPRBlocks: 0
; NumSGPRsForWavesPerEU: 1
; NumVGPRsForWavesPerEU: 1
; NamedBarCnt: 0
; Occupancy: 16
; WaveLimiterHint : 0
; COMPUTE_PGM_RSRC2:SCRATCH_EN: 0
; COMPUTE_PGM_RSRC2:USER_SGPR: 2
; COMPUTE_PGM_RSRC2:TRAP_HANDLER: 0
; COMPUTE_PGM_RSRC2:TGID_X_EN: 1
; COMPUTE_PGM_RSRC2:TGID_Y_EN: 0
; COMPUTE_PGM_RSRC2:TGID_Z_EN: 0
; COMPUTE_PGM_RSRC2:TIDIG_COMP_CNT: 0
	.section	.text._ZN7rocprim17ROCPRIM_400000_NS6detail17trampoline_kernelINS0_14default_configENS1_25partition_config_selectorILNS1_17partition_subalgoE9EllbEEZZNS1_14partition_implILS5_9ELb0ES3_jPlS8_PNS0_10empty_typeENS0_5tupleIJS8_S9_EEENSB_IJS8_SA_EEENS0_18inequality_wrapperIZN2at6native12_GLOBAL__N_124unique_dim_cuda_templateIN3c104HalfEEESt5tupleIJNSF_6TensorESM_SM_EERKSM_lbbbEUlllE0_EEPmJS9_EEE10hipError_tPvRmT3_T4_T5_T6_T7_T9_mT8_P12ihipStream_tbDpT10_ENKUlT_T0_E_clISt17integral_constantIbLb1EES1C_EEDaS17_S18_EUlS17_E_NS1_11comp_targetILNS1_3genE0ELNS1_11target_archE4294967295ELNS1_3gpuE0ELNS1_3repE0EEENS1_30default_config_static_selectorELNS0_4arch9wavefront6targetE0EEEvT1_,"axG",@progbits,_ZN7rocprim17ROCPRIM_400000_NS6detail17trampoline_kernelINS0_14default_configENS1_25partition_config_selectorILNS1_17partition_subalgoE9EllbEEZZNS1_14partition_implILS5_9ELb0ES3_jPlS8_PNS0_10empty_typeENS0_5tupleIJS8_S9_EEENSB_IJS8_SA_EEENS0_18inequality_wrapperIZN2at6native12_GLOBAL__N_124unique_dim_cuda_templateIN3c104HalfEEESt5tupleIJNSF_6TensorESM_SM_EERKSM_lbbbEUlllE0_EEPmJS9_EEE10hipError_tPvRmT3_T4_T5_T6_T7_T9_mT8_P12ihipStream_tbDpT10_ENKUlT_T0_E_clISt17integral_constantIbLb1EES1C_EEDaS17_S18_EUlS17_E_NS1_11comp_targetILNS1_3genE0ELNS1_11target_archE4294967295ELNS1_3gpuE0ELNS1_3repE0EEENS1_30default_config_static_selectorELNS0_4arch9wavefront6targetE0EEEvT1_,comdat
	.globl	_ZN7rocprim17ROCPRIM_400000_NS6detail17trampoline_kernelINS0_14default_configENS1_25partition_config_selectorILNS1_17partition_subalgoE9EllbEEZZNS1_14partition_implILS5_9ELb0ES3_jPlS8_PNS0_10empty_typeENS0_5tupleIJS8_S9_EEENSB_IJS8_SA_EEENS0_18inequality_wrapperIZN2at6native12_GLOBAL__N_124unique_dim_cuda_templateIN3c104HalfEEESt5tupleIJNSF_6TensorESM_SM_EERKSM_lbbbEUlllE0_EEPmJS9_EEE10hipError_tPvRmT3_T4_T5_T6_T7_T9_mT8_P12ihipStream_tbDpT10_ENKUlT_T0_E_clISt17integral_constantIbLb1EES1C_EEDaS17_S18_EUlS17_E_NS1_11comp_targetILNS1_3genE0ELNS1_11target_archE4294967295ELNS1_3gpuE0ELNS1_3repE0EEENS1_30default_config_static_selectorELNS0_4arch9wavefront6targetE0EEEvT1_ ; -- Begin function _ZN7rocprim17ROCPRIM_400000_NS6detail17trampoline_kernelINS0_14default_configENS1_25partition_config_selectorILNS1_17partition_subalgoE9EllbEEZZNS1_14partition_implILS5_9ELb0ES3_jPlS8_PNS0_10empty_typeENS0_5tupleIJS8_S9_EEENSB_IJS8_SA_EEENS0_18inequality_wrapperIZN2at6native12_GLOBAL__N_124unique_dim_cuda_templateIN3c104HalfEEESt5tupleIJNSF_6TensorESM_SM_EERKSM_lbbbEUlllE0_EEPmJS9_EEE10hipError_tPvRmT3_T4_T5_T6_T7_T9_mT8_P12ihipStream_tbDpT10_ENKUlT_T0_E_clISt17integral_constantIbLb1EES1C_EEDaS17_S18_EUlS17_E_NS1_11comp_targetILNS1_3genE0ELNS1_11target_archE4294967295ELNS1_3gpuE0ELNS1_3repE0EEENS1_30default_config_static_selectorELNS0_4arch9wavefront6targetE0EEEvT1_
	.p2align	8
	.type	_ZN7rocprim17ROCPRIM_400000_NS6detail17trampoline_kernelINS0_14default_configENS1_25partition_config_selectorILNS1_17partition_subalgoE9EllbEEZZNS1_14partition_implILS5_9ELb0ES3_jPlS8_PNS0_10empty_typeENS0_5tupleIJS8_S9_EEENSB_IJS8_SA_EEENS0_18inequality_wrapperIZN2at6native12_GLOBAL__N_124unique_dim_cuda_templateIN3c104HalfEEESt5tupleIJNSF_6TensorESM_SM_EERKSM_lbbbEUlllE0_EEPmJS9_EEE10hipError_tPvRmT3_T4_T5_T6_T7_T9_mT8_P12ihipStream_tbDpT10_ENKUlT_T0_E_clISt17integral_constantIbLb1EES1C_EEDaS17_S18_EUlS17_E_NS1_11comp_targetILNS1_3genE0ELNS1_11target_archE4294967295ELNS1_3gpuE0ELNS1_3repE0EEENS1_30default_config_static_selectorELNS0_4arch9wavefront6targetE0EEEvT1_,@function
_ZN7rocprim17ROCPRIM_400000_NS6detail17trampoline_kernelINS0_14default_configENS1_25partition_config_selectorILNS1_17partition_subalgoE9EllbEEZZNS1_14partition_implILS5_9ELb0ES3_jPlS8_PNS0_10empty_typeENS0_5tupleIJS8_S9_EEENSB_IJS8_SA_EEENS0_18inequality_wrapperIZN2at6native12_GLOBAL__N_124unique_dim_cuda_templateIN3c104HalfEEESt5tupleIJNSF_6TensorESM_SM_EERKSM_lbbbEUlllE0_EEPmJS9_EEE10hipError_tPvRmT3_T4_T5_T6_T7_T9_mT8_P12ihipStream_tbDpT10_ENKUlT_T0_E_clISt17integral_constantIbLb1EES1C_EEDaS17_S18_EUlS17_E_NS1_11comp_targetILNS1_3genE0ELNS1_11target_archE4294967295ELNS1_3gpuE0ELNS1_3repE0EEENS1_30default_config_static_selectorELNS0_4arch9wavefront6targetE0EEEvT1_: ; @_ZN7rocprim17ROCPRIM_400000_NS6detail17trampoline_kernelINS0_14default_configENS1_25partition_config_selectorILNS1_17partition_subalgoE9EllbEEZZNS1_14partition_implILS5_9ELb0ES3_jPlS8_PNS0_10empty_typeENS0_5tupleIJS8_S9_EEENSB_IJS8_SA_EEENS0_18inequality_wrapperIZN2at6native12_GLOBAL__N_124unique_dim_cuda_templateIN3c104HalfEEESt5tupleIJNSF_6TensorESM_SM_EERKSM_lbbbEUlllE0_EEPmJS9_EEE10hipError_tPvRmT3_T4_T5_T6_T7_T9_mT8_P12ihipStream_tbDpT10_ENKUlT_T0_E_clISt17integral_constantIbLb1EES1C_EEDaS17_S18_EUlS17_E_NS1_11comp_targetILNS1_3genE0ELNS1_11target_archE4294967295ELNS1_3gpuE0ELNS1_3repE0EEENS1_30default_config_static_selectorELNS0_4arch9wavefront6targetE0EEEvT1_
; %bb.0:
	s_endpgm
	.section	.rodata,"a",@progbits
	.p2align	6, 0x0
	.amdhsa_kernel _ZN7rocprim17ROCPRIM_400000_NS6detail17trampoline_kernelINS0_14default_configENS1_25partition_config_selectorILNS1_17partition_subalgoE9EllbEEZZNS1_14partition_implILS5_9ELb0ES3_jPlS8_PNS0_10empty_typeENS0_5tupleIJS8_S9_EEENSB_IJS8_SA_EEENS0_18inequality_wrapperIZN2at6native12_GLOBAL__N_124unique_dim_cuda_templateIN3c104HalfEEESt5tupleIJNSF_6TensorESM_SM_EERKSM_lbbbEUlllE0_EEPmJS9_EEE10hipError_tPvRmT3_T4_T5_T6_T7_T9_mT8_P12ihipStream_tbDpT10_ENKUlT_T0_E_clISt17integral_constantIbLb1EES1C_EEDaS17_S18_EUlS17_E_NS1_11comp_targetILNS1_3genE0ELNS1_11target_archE4294967295ELNS1_3gpuE0ELNS1_3repE0EEENS1_30default_config_static_selectorELNS0_4arch9wavefront6targetE0EEEvT1_
		.amdhsa_group_segment_fixed_size 0
		.amdhsa_private_segment_fixed_size 0
		.amdhsa_kernarg_size 136
		.amdhsa_user_sgpr_count 2
		.amdhsa_user_sgpr_dispatch_ptr 0
		.amdhsa_user_sgpr_queue_ptr 0
		.amdhsa_user_sgpr_kernarg_segment_ptr 1
		.amdhsa_user_sgpr_dispatch_id 0
		.amdhsa_user_sgpr_kernarg_preload_length 0
		.amdhsa_user_sgpr_kernarg_preload_offset 0
		.amdhsa_user_sgpr_private_segment_size 0
		.amdhsa_wavefront_size32 1
		.amdhsa_uses_dynamic_stack 0
		.amdhsa_enable_private_segment 0
		.amdhsa_system_sgpr_workgroup_id_x 1
		.amdhsa_system_sgpr_workgroup_id_y 0
		.amdhsa_system_sgpr_workgroup_id_z 0
		.amdhsa_system_sgpr_workgroup_info 0
		.amdhsa_system_vgpr_workitem_id 0
		.amdhsa_next_free_vgpr 1
		.amdhsa_next_free_sgpr 1
		.amdhsa_named_barrier_count 0
		.amdhsa_reserve_vcc 0
		.amdhsa_float_round_mode_32 0
		.amdhsa_float_round_mode_16_64 0
		.amdhsa_float_denorm_mode_32 3
		.amdhsa_float_denorm_mode_16_64 3
		.amdhsa_fp16_overflow 0
		.amdhsa_memory_ordered 1
		.amdhsa_forward_progress 1
		.amdhsa_inst_pref_size 1
		.amdhsa_round_robin_scheduling 0
		.amdhsa_exception_fp_ieee_invalid_op 0
		.amdhsa_exception_fp_denorm_src 0
		.amdhsa_exception_fp_ieee_div_zero 0
		.amdhsa_exception_fp_ieee_overflow 0
		.amdhsa_exception_fp_ieee_underflow 0
		.amdhsa_exception_fp_ieee_inexact 0
		.amdhsa_exception_int_div_zero 0
	.end_amdhsa_kernel
	.section	.text._ZN7rocprim17ROCPRIM_400000_NS6detail17trampoline_kernelINS0_14default_configENS1_25partition_config_selectorILNS1_17partition_subalgoE9EllbEEZZNS1_14partition_implILS5_9ELb0ES3_jPlS8_PNS0_10empty_typeENS0_5tupleIJS8_S9_EEENSB_IJS8_SA_EEENS0_18inequality_wrapperIZN2at6native12_GLOBAL__N_124unique_dim_cuda_templateIN3c104HalfEEESt5tupleIJNSF_6TensorESM_SM_EERKSM_lbbbEUlllE0_EEPmJS9_EEE10hipError_tPvRmT3_T4_T5_T6_T7_T9_mT8_P12ihipStream_tbDpT10_ENKUlT_T0_E_clISt17integral_constantIbLb1EES1C_EEDaS17_S18_EUlS17_E_NS1_11comp_targetILNS1_3genE0ELNS1_11target_archE4294967295ELNS1_3gpuE0ELNS1_3repE0EEENS1_30default_config_static_selectorELNS0_4arch9wavefront6targetE0EEEvT1_,"axG",@progbits,_ZN7rocprim17ROCPRIM_400000_NS6detail17trampoline_kernelINS0_14default_configENS1_25partition_config_selectorILNS1_17partition_subalgoE9EllbEEZZNS1_14partition_implILS5_9ELb0ES3_jPlS8_PNS0_10empty_typeENS0_5tupleIJS8_S9_EEENSB_IJS8_SA_EEENS0_18inequality_wrapperIZN2at6native12_GLOBAL__N_124unique_dim_cuda_templateIN3c104HalfEEESt5tupleIJNSF_6TensorESM_SM_EERKSM_lbbbEUlllE0_EEPmJS9_EEE10hipError_tPvRmT3_T4_T5_T6_T7_T9_mT8_P12ihipStream_tbDpT10_ENKUlT_T0_E_clISt17integral_constantIbLb1EES1C_EEDaS17_S18_EUlS17_E_NS1_11comp_targetILNS1_3genE0ELNS1_11target_archE4294967295ELNS1_3gpuE0ELNS1_3repE0EEENS1_30default_config_static_selectorELNS0_4arch9wavefront6targetE0EEEvT1_,comdat
.Lfunc_end1337:
	.size	_ZN7rocprim17ROCPRIM_400000_NS6detail17trampoline_kernelINS0_14default_configENS1_25partition_config_selectorILNS1_17partition_subalgoE9EllbEEZZNS1_14partition_implILS5_9ELb0ES3_jPlS8_PNS0_10empty_typeENS0_5tupleIJS8_S9_EEENSB_IJS8_SA_EEENS0_18inequality_wrapperIZN2at6native12_GLOBAL__N_124unique_dim_cuda_templateIN3c104HalfEEESt5tupleIJNSF_6TensorESM_SM_EERKSM_lbbbEUlllE0_EEPmJS9_EEE10hipError_tPvRmT3_T4_T5_T6_T7_T9_mT8_P12ihipStream_tbDpT10_ENKUlT_T0_E_clISt17integral_constantIbLb1EES1C_EEDaS17_S18_EUlS17_E_NS1_11comp_targetILNS1_3genE0ELNS1_11target_archE4294967295ELNS1_3gpuE0ELNS1_3repE0EEENS1_30default_config_static_selectorELNS0_4arch9wavefront6targetE0EEEvT1_, .Lfunc_end1337-_ZN7rocprim17ROCPRIM_400000_NS6detail17trampoline_kernelINS0_14default_configENS1_25partition_config_selectorILNS1_17partition_subalgoE9EllbEEZZNS1_14partition_implILS5_9ELb0ES3_jPlS8_PNS0_10empty_typeENS0_5tupleIJS8_S9_EEENSB_IJS8_SA_EEENS0_18inequality_wrapperIZN2at6native12_GLOBAL__N_124unique_dim_cuda_templateIN3c104HalfEEESt5tupleIJNSF_6TensorESM_SM_EERKSM_lbbbEUlllE0_EEPmJS9_EEE10hipError_tPvRmT3_T4_T5_T6_T7_T9_mT8_P12ihipStream_tbDpT10_ENKUlT_T0_E_clISt17integral_constantIbLb1EES1C_EEDaS17_S18_EUlS17_E_NS1_11comp_targetILNS1_3genE0ELNS1_11target_archE4294967295ELNS1_3gpuE0ELNS1_3repE0EEENS1_30default_config_static_selectorELNS0_4arch9wavefront6targetE0EEEvT1_
                                        ; -- End function
	.set _ZN7rocprim17ROCPRIM_400000_NS6detail17trampoline_kernelINS0_14default_configENS1_25partition_config_selectorILNS1_17partition_subalgoE9EllbEEZZNS1_14partition_implILS5_9ELb0ES3_jPlS8_PNS0_10empty_typeENS0_5tupleIJS8_S9_EEENSB_IJS8_SA_EEENS0_18inequality_wrapperIZN2at6native12_GLOBAL__N_124unique_dim_cuda_templateIN3c104HalfEEESt5tupleIJNSF_6TensorESM_SM_EERKSM_lbbbEUlllE0_EEPmJS9_EEE10hipError_tPvRmT3_T4_T5_T6_T7_T9_mT8_P12ihipStream_tbDpT10_ENKUlT_T0_E_clISt17integral_constantIbLb1EES1C_EEDaS17_S18_EUlS17_E_NS1_11comp_targetILNS1_3genE0ELNS1_11target_archE4294967295ELNS1_3gpuE0ELNS1_3repE0EEENS1_30default_config_static_selectorELNS0_4arch9wavefront6targetE0EEEvT1_.num_vgpr, 0
	.set _ZN7rocprim17ROCPRIM_400000_NS6detail17trampoline_kernelINS0_14default_configENS1_25partition_config_selectorILNS1_17partition_subalgoE9EllbEEZZNS1_14partition_implILS5_9ELb0ES3_jPlS8_PNS0_10empty_typeENS0_5tupleIJS8_S9_EEENSB_IJS8_SA_EEENS0_18inequality_wrapperIZN2at6native12_GLOBAL__N_124unique_dim_cuda_templateIN3c104HalfEEESt5tupleIJNSF_6TensorESM_SM_EERKSM_lbbbEUlllE0_EEPmJS9_EEE10hipError_tPvRmT3_T4_T5_T6_T7_T9_mT8_P12ihipStream_tbDpT10_ENKUlT_T0_E_clISt17integral_constantIbLb1EES1C_EEDaS17_S18_EUlS17_E_NS1_11comp_targetILNS1_3genE0ELNS1_11target_archE4294967295ELNS1_3gpuE0ELNS1_3repE0EEENS1_30default_config_static_selectorELNS0_4arch9wavefront6targetE0EEEvT1_.num_agpr, 0
	.set _ZN7rocprim17ROCPRIM_400000_NS6detail17trampoline_kernelINS0_14default_configENS1_25partition_config_selectorILNS1_17partition_subalgoE9EllbEEZZNS1_14partition_implILS5_9ELb0ES3_jPlS8_PNS0_10empty_typeENS0_5tupleIJS8_S9_EEENSB_IJS8_SA_EEENS0_18inequality_wrapperIZN2at6native12_GLOBAL__N_124unique_dim_cuda_templateIN3c104HalfEEESt5tupleIJNSF_6TensorESM_SM_EERKSM_lbbbEUlllE0_EEPmJS9_EEE10hipError_tPvRmT3_T4_T5_T6_T7_T9_mT8_P12ihipStream_tbDpT10_ENKUlT_T0_E_clISt17integral_constantIbLb1EES1C_EEDaS17_S18_EUlS17_E_NS1_11comp_targetILNS1_3genE0ELNS1_11target_archE4294967295ELNS1_3gpuE0ELNS1_3repE0EEENS1_30default_config_static_selectorELNS0_4arch9wavefront6targetE0EEEvT1_.numbered_sgpr, 0
	.set _ZN7rocprim17ROCPRIM_400000_NS6detail17trampoline_kernelINS0_14default_configENS1_25partition_config_selectorILNS1_17partition_subalgoE9EllbEEZZNS1_14partition_implILS5_9ELb0ES3_jPlS8_PNS0_10empty_typeENS0_5tupleIJS8_S9_EEENSB_IJS8_SA_EEENS0_18inequality_wrapperIZN2at6native12_GLOBAL__N_124unique_dim_cuda_templateIN3c104HalfEEESt5tupleIJNSF_6TensorESM_SM_EERKSM_lbbbEUlllE0_EEPmJS9_EEE10hipError_tPvRmT3_T4_T5_T6_T7_T9_mT8_P12ihipStream_tbDpT10_ENKUlT_T0_E_clISt17integral_constantIbLb1EES1C_EEDaS17_S18_EUlS17_E_NS1_11comp_targetILNS1_3genE0ELNS1_11target_archE4294967295ELNS1_3gpuE0ELNS1_3repE0EEENS1_30default_config_static_selectorELNS0_4arch9wavefront6targetE0EEEvT1_.num_named_barrier, 0
	.set _ZN7rocprim17ROCPRIM_400000_NS6detail17trampoline_kernelINS0_14default_configENS1_25partition_config_selectorILNS1_17partition_subalgoE9EllbEEZZNS1_14partition_implILS5_9ELb0ES3_jPlS8_PNS0_10empty_typeENS0_5tupleIJS8_S9_EEENSB_IJS8_SA_EEENS0_18inequality_wrapperIZN2at6native12_GLOBAL__N_124unique_dim_cuda_templateIN3c104HalfEEESt5tupleIJNSF_6TensorESM_SM_EERKSM_lbbbEUlllE0_EEPmJS9_EEE10hipError_tPvRmT3_T4_T5_T6_T7_T9_mT8_P12ihipStream_tbDpT10_ENKUlT_T0_E_clISt17integral_constantIbLb1EES1C_EEDaS17_S18_EUlS17_E_NS1_11comp_targetILNS1_3genE0ELNS1_11target_archE4294967295ELNS1_3gpuE0ELNS1_3repE0EEENS1_30default_config_static_selectorELNS0_4arch9wavefront6targetE0EEEvT1_.private_seg_size, 0
	.set _ZN7rocprim17ROCPRIM_400000_NS6detail17trampoline_kernelINS0_14default_configENS1_25partition_config_selectorILNS1_17partition_subalgoE9EllbEEZZNS1_14partition_implILS5_9ELb0ES3_jPlS8_PNS0_10empty_typeENS0_5tupleIJS8_S9_EEENSB_IJS8_SA_EEENS0_18inequality_wrapperIZN2at6native12_GLOBAL__N_124unique_dim_cuda_templateIN3c104HalfEEESt5tupleIJNSF_6TensorESM_SM_EERKSM_lbbbEUlllE0_EEPmJS9_EEE10hipError_tPvRmT3_T4_T5_T6_T7_T9_mT8_P12ihipStream_tbDpT10_ENKUlT_T0_E_clISt17integral_constantIbLb1EES1C_EEDaS17_S18_EUlS17_E_NS1_11comp_targetILNS1_3genE0ELNS1_11target_archE4294967295ELNS1_3gpuE0ELNS1_3repE0EEENS1_30default_config_static_selectorELNS0_4arch9wavefront6targetE0EEEvT1_.uses_vcc, 0
	.set _ZN7rocprim17ROCPRIM_400000_NS6detail17trampoline_kernelINS0_14default_configENS1_25partition_config_selectorILNS1_17partition_subalgoE9EllbEEZZNS1_14partition_implILS5_9ELb0ES3_jPlS8_PNS0_10empty_typeENS0_5tupleIJS8_S9_EEENSB_IJS8_SA_EEENS0_18inequality_wrapperIZN2at6native12_GLOBAL__N_124unique_dim_cuda_templateIN3c104HalfEEESt5tupleIJNSF_6TensorESM_SM_EERKSM_lbbbEUlllE0_EEPmJS9_EEE10hipError_tPvRmT3_T4_T5_T6_T7_T9_mT8_P12ihipStream_tbDpT10_ENKUlT_T0_E_clISt17integral_constantIbLb1EES1C_EEDaS17_S18_EUlS17_E_NS1_11comp_targetILNS1_3genE0ELNS1_11target_archE4294967295ELNS1_3gpuE0ELNS1_3repE0EEENS1_30default_config_static_selectorELNS0_4arch9wavefront6targetE0EEEvT1_.uses_flat_scratch, 0
	.set _ZN7rocprim17ROCPRIM_400000_NS6detail17trampoline_kernelINS0_14default_configENS1_25partition_config_selectorILNS1_17partition_subalgoE9EllbEEZZNS1_14partition_implILS5_9ELb0ES3_jPlS8_PNS0_10empty_typeENS0_5tupleIJS8_S9_EEENSB_IJS8_SA_EEENS0_18inequality_wrapperIZN2at6native12_GLOBAL__N_124unique_dim_cuda_templateIN3c104HalfEEESt5tupleIJNSF_6TensorESM_SM_EERKSM_lbbbEUlllE0_EEPmJS9_EEE10hipError_tPvRmT3_T4_T5_T6_T7_T9_mT8_P12ihipStream_tbDpT10_ENKUlT_T0_E_clISt17integral_constantIbLb1EES1C_EEDaS17_S18_EUlS17_E_NS1_11comp_targetILNS1_3genE0ELNS1_11target_archE4294967295ELNS1_3gpuE0ELNS1_3repE0EEENS1_30default_config_static_selectorELNS0_4arch9wavefront6targetE0EEEvT1_.has_dyn_sized_stack, 0
	.set _ZN7rocprim17ROCPRIM_400000_NS6detail17trampoline_kernelINS0_14default_configENS1_25partition_config_selectorILNS1_17partition_subalgoE9EllbEEZZNS1_14partition_implILS5_9ELb0ES3_jPlS8_PNS0_10empty_typeENS0_5tupleIJS8_S9_EEENSB_IJS8_SA_EEENS0_18inequality_wrapperIZN2at6native12_GLOBAL__N_124unique_dim_cuda_templateIN3c104HalfEEESt5tupleIJNSF_6TensorESM_SM_EERKSM_lbbbEUlllE0_EEPmJS9_EEE10hipError_tPvRmT3_T4_T5_T6_T7_T9_mT8_P12ihipStream_tbDpT10_ENKUlT_T0_E_clISt17integral_constantIbLb1EES1C_EEDaS17_S18_EUlS17_E_NS1_11comp_targetILNS1_3genE0ELNS1_11target_archE4294967295ELNS1_3gpuE0ELNS1_3repE0EEENS1_30default_config_static_selectorELNS0_4arch9wavefront6targetE0EEEvT1_.has_recursion, 0
	.set _ZN7rocprim17ROCPRIM_400000_NS6detail17trampoline_kernelINS0_14default_configENS1_25partition_config_selectorILNS1_17partition_subalgoE9EllbEEZZNS1_14partition_implILS5_9ELb0ES3_jPlS8_PNS0_10empty_typeENS0_5tupleIJS8_S9_EEENSB_IJS8_SA_EEENS0_18inequality_wrapperIZN2at6native12_GLOBAL__N_124unique_dim_cuda_templateIN3c104HalfEEESt5tupleIJNSF_6TensorESM_SM_EERKSM_lbbbEUlllE0_EEPmJS9_EEE10hipError_tPvRmT3_T4_T5_T6_T7_T9_mT8_P12ihipStream_tbDpT10_ENKUlT_T0_E_clISt17integral_constantIbLb1EES1C_EEDaS17_S18_EUlS17_E_NS1_11comp_targetILNS1_3genE0ELNS1_11target_archE4294967295ELNS1_3gpuE0ELNS1_3repE0EEENS1_30default_config_static_selectorELNS0_4arch9wavefront6targetE0EEEvT1_.has_indirect_call, 0
	.section	.AMDGPU.csdata,"",@progbits
; Kernel info:
; codeLenInByte = 4
; TotalNumSgprs: 0
; NumVgprs: 0
; ScratchSize: 0
; MemoryBound: 0
; FloatMode: 240
; IeeeMode: 1
; LDSByteSize: 0 bytes/workgroup (compile time only)
; SGPRBlocks: 0
; VGPRBlocks: 0
; NumSGPRsForWavesPerEU: 1
; NumVGPRsForWavesPerEU: 1
; NamedBarCnt: 0
; Occupancy: 16
; WaveLimiterHint : 0
; COMPUTE_PGM_RSRC2:SCRATCH_EN: 0
; COMPUTE_PGM_RSRC2:USER_SGPR: 2
; COMPUTE_PGM_RSRC2:TRAP_HANDLER: 0
; COMPUTE_PGM_RSRC2:TGID_X_EN: 1
; COMPUTE_PGM_RSRC2:TGID_Y_EN: 0
; COMPUTE_PGM_RSRC2:TGID_Z_EN: 0
; COMPUTE_PGM_RSRC2:TIDIG_COMP_CNT: 0
	.section	.text._ZN7rocprim17ROCPRIM_400000_NS6detail17trampoline_kernelINS0_14default_configENS1_25partition_config_selectorILNS1_17partition_subalgoE9EllbEEZZNS1_14partition_implILS5_9ELb0ES3_jPlS8_PNS0_10empty_typeENS0_5tupleIJS8_S9_EEENSB_IJS8_SA_EEENS0_18inequality_wrapperIZN2at6native12_GLOBAL__N_124unique_dim_cuda_templateIN3c104HalfEEESt5tupleIJNSF_6TensorESM_SM_EERKSM_lbbbEUlllE0_EEPmJS9_EEE10hipError_tPvRmT3_T4_T5_T6_T7_T9_mT8_P12ihipStream_tbDpT10_ENKUlT_T0_E_clISt17integral_constantIbLb1EES1C_EEDaS17_S18_EUlS17_E_NS1_11comp_targetILNS1_3genE5ELNS1_11target_archE942ELNS1_3gpuE9ELNS1_3repE0EEENS1_30default_config_static_selectorELNS0_4arch9wavefront6targetE0EEEvT1_,"axG",@progbits,_ZN7rocprim17ROCPRIM_400000_NS6detail17trampoline_kernelINS0_14default_configENS1_25partition_config_selectorILNS1_17partition_subalgoE9EllbEEZZNS1_14partition_implILS5_9ELb0ES3_jPlS8_PNS0_10empty_typeENS0_5tupleIJS8_S9_EEENSB_IJS8_SA_EEENS0_18inequality_wrapperIZN2at6native12_GLOBAL__N_124unique_dim_cuda_templateIN3c104HalfEEESt5tupleIJNSF_6TensorESM_SM_EERKSM_lbbbEUlllE0_EEPmJS9_EEE10hipError_tPvRmT3_T4_T5_T6_T7_T9_mT8_P12ihipStream_tbDpT10_ENKUlT_T0_E_clISt17integral_constantIbLb1EES1C_EEDaS17_S18_EUlS17_E_NS1_11comp_targetILNS1_3genE5ELNS1_11target_archE942ELNS1_3gpuE9ELNS1_3repE0EEENS1_30default_config_static_selectorELNS0_4arch9wavefront6targetE0EEEvT1_,comdat
	.globl	_ZN7rocprim17ROCPRIM_400000_NS6detail17trampoline_kernelINS0_14default_configENS1_25partition_config_selectorILNS1_17partition_subalgoE9EllbEEZZNS1_14partition_implILS5_9ELb0ES3_jPlS8_PNS0_10empty_typeENS0_5tupleIJS8_S9_EEENSB_IJS8_SA_EEENS0_18inequality_wrapperIZN2at6native12_GLOBAL__N_124unique_dim_cuda_templateIN3c104HalfEEESt5tupleIJNSF_6TensorESM_SM_EERKSM_lbbbEUlllE0_EEPmJS9_EEE10hipError_tPvRmT3_T4_T5_T6_T7_T9_mT8_P12ihipStream_tbDpT10_ENKUlT_T0_E_clISt17integral_constantIbLb1EES1C_EEDaS17_S18_EUlS17_E_NS1_11comp_targetILNS1_3genE5ELNS1_11target_archE942ELNS1_3gpuE9ELNS1_3repE0EEENS1_30default_config_static_selectorELNS0_4arch9wavefront6targetE0EEEvT1_ ; -- Begin function _ZN7rocprim17ROCPRIM_400000_NS6detail17trampoline_kernelINS0_14default_configENS1_25partition_config_selectorILNS1_17partition_subalgoE9EllbEEZZNS1_14partition_implILS5_9ELb0ES3_jPlS8_PNS0_10empty_typeENS0_5tupleIJS8_S9_EEENSB_IJS8_SA_EEENS0_18inequality_wrapperIZN2at6native12_GLOBAL__N_124unique_dim_cuda_templateIN3c104HalfEEESt5tupleIJNSF_6TensorESM_SM_EERKSM_lbbbEUlllE0_EEPmJS9_EEE10hipError_tPvRmT3_T4_T5_T6_T7_T9_mT8_P12ihipStream_tbDpT10_ENKUlT_T0_E_clISt17integral_constantIbLb1EES1C_EEDaS17_S18_EUlS17_E_NS1_11comp_targetILNS1_3genE5ELNS1_11target_archE942ELNS1_3gpuE9ELNS1_3repE0EEENS1_30default_config_static_selectorELNS0_4arch9wavefront6targetE0EEEvT1_
	.p2align	8
	.type	_ZN7rocprim17ROCPRIM_400000_NS6detail17trampoline_kernelINS0_14default_configENS1_25partition_config_selectorILNS1_17partition_subalgoE9EllbEEZZNS1_14partition_implILS5_9ELb0ES3_jPlS8_PNS0_10empty_typeENS0_5tupleIJS8_S9_EEENSB_IJS8_SA_EEENS0_18inequality_wrapperIZN2at6native12_GLOBAL__N_124unique_dim_cuda_templateIN3c104HalfEEESt5tupleIJNSF_6TensorESM_SM_EERKSM_lbbbEUlllE0_EEPmJS9_EEE10hipError_tPvRmT3_T4_T5_T6_T7_T9_mT8_P12ihipStream_tbDpT10_ENKUlT_T0_E_clISt17integral_constantIbLb1EES1C_EEDaS17_S18_EUlS17_E_NS1_11comp_targetILNS1_3genE5ELNS1_11target_archE942ELNS1_3gpuE9ELNS1_3repE0EEENS1_30default_config_static_selectorELNS0_4arch9wavefront6targetE0EEEvT1_,@function
_ZN7rocprim17ROCPRIM_400000_NS6detail17trampoline_kernelINS0_14default_configENS1_25partition_config_selectorILNS1_17partition_subalgoE9EllbEEZZNS1_14partition_implILS5_9ELb0ES3_jPlS8_PNS0_10empty_typeENS0_5tupleIJS8_S9_EEENSB_IJS8_SA_EEENS0_18inequality_wrapperIZN2at6native12_GLOBAL__N_124unique_dim_cuda_templateIN3c104HalfEEESt5tupleIJNSF_6TensorESM_SM_EERKSM_lbbbEUlllE0_EEPmJS9_EEE10hipError_tPvRmT3_T4_T5_T6_T7_T9_mT8_P12ihipStream_tbDpT10_ENKUlT_T0_E_clISt17integral_constantIbLb1EES1C_EEDaS17_S18_EUlS17_E_NS1_11comp_targetILNS1_3genE5ELNS1_11target_archE942ELNS1_3gpuE9ELNS1_3repE0EEENS1_30default_config_static_selectorELNS0_4arch9wavefront6targetE0EEEvT1_: ; @_ZN7rocprim17ROCPRIM_400000_NS6detail17trampoline_kernelINS0_14default_configENS1_25partition_config_selectorILNS1_17partition_subalgoE9EllbEEZZNS1_14partition_implILS5_9ELb0ES3_jPlS8_PNS0_10empty_typeENS0_5tupleIJS8_S9_EEENSB_IJS8_SA_EEENS0_18inequality_wrapperIZN2at6native12_GLOBAL__N_124unique_dim_cuda_templateIN3c104HalfEEESt5tupleIJNSF_6TensorESM_SM_EERKSM_lbbbEUlllE0_EEPmJS9_EEE10hipError_tPvRmT3_T4_T5_T6_T7_T9_mT8_P12ihipStream_tbDpT10_ENKUlT_T0_E_clISt17integral_constantIbLb1EES1C_EEDaS17_S18_EUlS17_E_NS1_11comp_targetILNS1_3genE5ELNS1_11target_archE942ELNS1_3gpuE9ELNS1_3repE0EEENS1_30default_config_static_selectorELNS0_4arch9wavefront6targetE0EEEvT1_
; %bb.0:
	.section	.rodata,"a",@progbits
	.p2align	6, 0x0
	.amdhsa_kernel _ZN7rocprim17ROCPRIM_400000_NS6detail17trampoline_kernelINS0_14default_configENS1_25partition_config_selectorILNS1_17partition_subalgoE9EllbEEZZNS1_14partition_implILS5_9ELb0ES3_jPlS8_PNS0_10empty_typeENS0_5tupleIJS8_S9_EEENSB_IJS8_SA_EEENS0_18inequality_wrapperIZN2at6native12_GLOBAL__N_124unique_dim_cuda_templateIN3c104HalfEEESt5tupleIJNSF_6TensorESM_SM_EERKSM_lbbbEUlllE0_EEPmJS9_EEE10hipError_tPvRmT3_T4_T5_T6_T7_T9_mT8_P12ihipStream_tbDpT10_ENKUlT_T0_E_clISt17integral_constantIbLb1EES1C_EEDaS17_S18_EUlS17_E_NS1_11comp_targetILNS1_3genE5ELNS1_11target_archE942ELNS1_3gpuE9ELNS1_3repE0EEENS1_30default_config_static_selectorELNS0_4arch9wavefront6targetE0EEEvT1_
		.amdhsa_group_segment_fixed_size 0
		.amdhsa_private_segment_fixed_size 0
		.amdhsa_kernarg_size 136
		.amdhsa_user_sgpr_count 2
		.amdhsa_user_sgpr_dispatch_ptr 0
		.amdhsa_user_sgpr_queue_ptr 0
		.amdhsa_user_sgpr_kernarg_segment_ptr 1
		.amdhsa_user_sgpr_dispatch_id 0
		.amdhsa_user_sgpr_kernarg_preload_length 0
		.amdhsa_user_sgpr_kernarg_preload_offset 0
		.amdhsa_user_sgpr_private_segment_size 0
		.amdhsa_wavefront_size32 1
		.amdhsa_uses_dynamic_stack 0
		.amdhsa_enable_private_segment 0
		.amdhsa_system_sgpr_workgroup_id_x 1
		.amdhsa_system_sgpr_workgroup_id_y 0
		.amdhsa_system_sgpr_workgroup_id_z 0
		.amdhsa_system_sgpr_workgroup_info 0
		.amdhsa_system_vgpr_workitem_id 0
		.amdhsa_next_free_vgpr 1
		.amdhsa_next_free_sgpr 1
		.amdhsa_named_barrier_count 0
		.amdhsa_reserve_vcc 0
		.amdhsa_float_round_mode_32 0
		.amdhsa_float_round_mode_16_64 0
		.amdhsa_float_denorm_mode_32 3
		.amdhsa_float_denorm_mode_16_64 3
		.amdhsa_fp16_overflow 0
		.amdhsa_memory_ordered 1
		.amdhsa_forward_progress 1
		.amdhsa_inst_pref_size 0
		.amdhsa_round_robin_scheduling 0
		.amdhsa_exception_fp_ieee_invalid_op 0
		.amdhsa_exception_fp_denorm_src 0
		.amdhsa_exception_fp_ieee_div_zero 0
		.amdhsa_exception_fp_ieee_overflow 0
		.amdhsa_exception_fp_ieee_underflow 0
		.amdhsa_exception_fp_ieee_inexact 0
		.amdhsa_exception_int_div_zero 0
	.end_amdhsa_kernel
	.section	.text._ZN7rocprim17ROCPRIM_400000_NS6detail17trampoline_kernelINS0_14default_configENS1_25partition_config_selectorILNS1_17partition_subalgoE9EllbEEZZNS1_14partition_implILS5_9ELb0ES3_jPlS8_PNS0_10empty_typeENS0_5tupleIJS8_S9_EEENSB_IJS8_SA_EEENS0_18inequality_wrapperIZN2at6native12_GLOBAL__N_124unique_dim_cuda_templateIN3c104HalfEEESt5tupleIJNSF_6TensorESM_SM_EERKSM_lbbbEUlllE0_EEPmJS9_EEE10hipError_tPvRmT3_T4_T5_T6_T7_T9_mT8_P12ihipStream_tbDpT10_ENKUlT_T0_E_clISt17integral_constantIbLb1EES1C_EEDaS17_S18_EUlS17_E_NS1_11comp_targetILNS1_3genE5ELNS1_11target_archE942ELNS1_3gpuE9ELNS1_3repE0EEENS1_30default_config_static_selectorELNS0_4arch9wavefront6targetE0EEEvT1_,"axG",@progbits,_ZN7rocprim17ROCPRIM_400000_NS6detail17trampoline_kernelINS0_14default_configENS1_25partition_config_selectorILNS1_17partition_subalgoE9EllbEEZZNS1_14partition_implILS5_9ELb0ES3_jPlS8_PNS0_10empty_typeENS0_5tupleIJS8_S9_EEENSB_IJS8_SA_EEENS0_18inequality_wrapperIZN2at6native12_GLOBAL__N_124unique_dim_cuda_templateIN3c104HalfEEESt5tupleIJNSF_6TensorESM_SM_EERKSM_lbbbEUlllE0_EEPmJS9_EEE10hipError_tPvRmT3_T4_T5_T6_T7_T9_mT8_P12ihipStream_tbDpT10_ENKUlT_T0_E_clISt17integral_constantIbLb1EES1C_EEDaS17_S18_EUlS17_E_NS1_11comp_targetILNS1_3genE5ELNS1_11target_archE942ELNS1_3gpuE9ELNS1_3repE0EEENS1_30default_config_static_selectorELNS0_4arch9wavefront6targetE0EEEvT1_,comdat
.Lfunc_end1338:
	.size	_ZN7rocprim17ROCPRIM_400000_NS6detail17trampoline_kernelINS0_14default_configENS1_25partition_config_selectorILNS1_17partition_subalgoE9EllbEEZZNS1_14partition_implILS5_9ELb0ES3_jPlS8_PNS0_10empty_typeENS0_5tupleIJS8_S9_EEENSB_IJS8_SA_EEENS0_18inequality_wrapperIZN2at6native12_GLOBAL__N_124unique_dim_cuda_templateIN3c104HalfEEESt5tupleIJNSF_6TensorESM_SM_EERKSM_lbbbEUlllE0_EEPmJS9_EEE10hipError_tPvRmT3_T4_T5_T6_T7_T9_mT8_P12ihipStream_tbDpT10_ENKUlT_T0_E_clISt17integral_constantIbLb1EES1C_EEDaS17_S18_EUlS17_E_NS1_11comp_targetILNS1_3genE5ELNS1_11target_archE942ELNS1_3gpuE9ELNS1_3repE0EEENS1_30default_config_static_selectorELNS0_4arch9wavefront6targetE0EEEvT1_, .Lfunc_end1338-_ZN7rocprim17ROCPRIM_400000_NS6detail17trampoline_kernelINS0_14default_configENS1_25partition_config_selectorILNS1_17partition_subalgoE9EllbEEZZNS1_14partition_implILS5_9ELb0ES3_jPlS8_PNS0_10empty_typeENS0_5tupleIJS8_S9_EEENSB_IJS8_SA_EEENS0_18inequality_wrapperIZN2at6native12_GLOBAL__N_124unique_dim_cuda_templateIN3c104HalfEEESt5tupleIJNSF_6TensorESM_SM_EERKSM_lbbbEUlllE0_EEPmJS9_EEE10hipError_tPvRmT3_T4_T5_T6_T7_T9_mT8_P12ihipStream_tbDpT10_ENKUlT_T0_E_clISt17integral_constantIbLb1EES1C_EEDaS17_S18_EUlS17_E_NS1_11comp_targetILNS1_3genE5ELNS1_11target_archE942ELNS1_3gpuE9ELNS1_3repE0EEENS1_30default_config_static_selectorELNS0_4arch9wavefront6targetE0EEEvT1_
                                        ; -- End function
	.set _ZN7rocprim17ROCPRIM_400000_NS6detail17trampoline_kernelINS0_14default_configENS1_25partition_config_selectorILNS1_17partition_subalgoE9EllbEEZZNS1_14partition_implILS5_9ELb0ES3_jPlS8_PNS0_10empty_typeENS0_5tupleIJS8_S9_EEENSB_IJS8_SA_EEENS0_18inequality_wrapperIZN2at6native12_GLOBAL__N_124unique_dim_cuda_templateIN3c104HalfEEESt5tupleIJNSF_6TensorESM_SM_EERKSM_lbbbEUlllE0_EEPmJS9_EEE10hipError_tPvRmT3_T4_T5_T6_T7_T9_mT8_P12ihipStream_tbDpT10_ENKUlT_T0_E_clISt17integral_constantIbLb1EES1C_EEDaS17_S18_EUlS17_E_NS1_11comp_targetILNS1_3genE5ELNS1_11target_archE942ELNS1_3gpuE9ELNS1_3repE0EEENS1_30default_config_static_selectorELNS0_4arch9wavefront6targetE0EEEvT1_.num_vgpr, 0
	.set _ZN7rocprim17ROCPRIM_400000_NS6detail17trampoline_kernelINS0_14default_configENS1_25partition_config_selectorILNS1_17partition_subalgoE9EllbEEZZNS1_14partition_implILS5_9ELb0ES3_jPlS8_PNS0_10empty_typeENS0_5tupleIJS8_S9_EEENSB_IJS8_SA_EEENS0_18inequality_wrapperIZN2at6native12_GLOBAL__N_124unique_dim_cuda_templateIN3c104HalfEEESt5tupleIJNSF_6TensorESM_SM_EERKSM_lbbbEUlllE0_EEPmJS9_EEE10hipError_tPvRmT3_T4_T5_T6_T7_T9_mT8_P12ihipStream_tbDpT10_ENKUlT_T0_E_clISt17integral_constantIbLb1EES1C_EEDaS17_S18_EUlS17_E_NS1_11comp_targetILNS1_3genE5ELNS1_11target_archE942ELNS1_3gpuE9ELNS1_3repE0EEENS1_30default_config_static_selectorELNS0_4arch9wavefront6targetE0EEEvT1_.num_agpr, 0
	.set _ZN7rocprim17ROCPRIM_400000_NS6detail17trampoline_kernelINS0_14default_configENS1_25partition_config_selectorILNS1_17partition_subalgoE9EllbEEZZNS1_14partition_implILS5_9ELb0ES3_jPlS8_PNS0_10empty_typeENS0_5tupleIJS8_S9_EEENSB_IJS8_SA_EEENS0_18inequality_wrapperIZN2at6native12_GLOBAL__N_124unique_dim_cuda_templateIN3c104HalfEEESt5tupleIJNSF_6TensorESM_SM_EERKSM_lbbbEUlllE0_EEPmJS9_EEE10hipError_tPvRmT3_T4_T5_T6_T7_T9_mT8_P12ihipStream_tbDpT10_ENKUlT_T0_E_clISt17integral_constantIbLb1EES1C_EEDaS17_S18_EUlS17_E_NS1_11comp_targetILNS1_3genE5ELNS1_11target_archE942ELNS1_3gpuE9ELNS1_3repE0EEENS1_30default_config_static_selectorELNS0_4arch9wavefront6targetE0EEEvT1_.numbered_sgpr, 0
	.set _ZN7rocprim17ROCPRIM_400000_NS6detail17trampoline_kernelINS0_14default_configENS1_25partition_config_selectorILNS1_17partition_subalgoE9EllbEEZZNS1_14partition_implILS5_9ELb0ES3_jPlS8_PNS0_10empty_typeENS0_5tupleIJS8_S9_EEENSB_IJS8_SA_EEENS0_18inequality_wrapperIZN2at6native12_GLOBAL__N_124unique_dim_cuda_templateIN3c104HalfEEESt5tupleIJNSF_6TensorESM_SM_EERKSM_lbbbEUlllE0_EEPmJS9_EEE10hipError_tPvRmT3_T4_T5_T6_T7_T9_mT8_P12ihipStream_tbDpT10_ENKUlT_T0_E_clISt17integral_constantIbLb1EES1C_EEDaS17_S18_EUlS17_E_NS1_11comp_targetILNS1_3genE5ELNS1_11target_archE942ELNS1_3gpuE9ELNS1_3repE0EEENS1_30default_config_static_selectorELNS0_4arch9wavefront6targetE0EEEvT1_.num_named_barrier, 0
	.set _ZN7rocprim17ROCPRIM_400000_NS6detail17trampoline_kernelINS0_14default_configENS1_25partition_config_selectorILNS1_17partition_subalgoE9EllbEEZZNS1_14partition_implILS5_9ELb0ES3_jPlS8_PNS0_10empty_typeENS0_5tupleIJS8_S9_EEENSB_IJS8_SA_EEENS0_18inequality_wrapperIZN2at6native12_GLOBAL__N_124unique_dim_cuda_templateIN3c104HalfEEESt5tupleIJNSF_6TensorESM_SM_EERKSM_lbbbEUlllE0_EEPmJS9_EEE10hipError_tPvRmT3_T4_T5_T6_T7_T9_mT8_P12ihipStream_tbDpT10_ENKUlT_T0_E_clISt17integral_constantIbLb1EES1C_EEDaS17_S18_EUlS17_E_NS1_11comp_targetILNS1_3genE5ELNS1_11target_archE942ELNS1_3gpuE9ELNS1_3repE0EEENS1_30default_config_static_selectorELNS0_4arch9wavefront6targetE0EEEvT1_.private_seg_size, 0
	.set _ZN7rocprim17ROCPRIM_400000_NS6detail17trampoline_kernelINS0_14default_configENS1_25partition_config_selectorILNS1_17partition_subalgoE9EllbEEZZNS1_14partition_implILS5_9ELb0ES3_jPlS8_PNS0_10empty_typeENS0_5tupleIJS8_S9_EEENSB_IJS8_SA_EEENS0_18inequality_wrapperIZN2at6native12_GLOBAL__N_124unique_dim_cuda_templateIN3c104HalfEEESt5tupleIJNSF_6TensorESM_SM_EERKSM_lbbbEUlllE0_EEPmJS9_EEE10hipError_tPvRmT3_T4_T5_T6_T7_T9_mT8_P12ihipStream_tbDpT10_ENKUlT_T0_E_clISt17integral_constantIbLb1EES1C_EEDaS17_S18_EUlS17_E_NS1_11comp_targetILNS1_3genE5ELNS1_11target_archE942ELNS1_3gpuE9ELNS1_3repE0EEENS1_30default_config_static_selectorELNS0_4arch9wavefront6targetE0EEEvT1_.uses_vcc, 0
	.set _ZN7rocprim17ROCPRIM_400000_NS6detail17trampoline_kernelINS0_14default_configENS1_25partition_config_selectorILNS1_17partition_subalgoE9EllbEEZZNS1_14partition_implILS5_9ELb0ES3_jPlS8_PNS0_10empty_typeENS0_5tupleIJS8_S9_EEENSB_IJS8_SA_EEENS0_18inequality_wrapperIZN2at6native12_GLOBAL__N_124unique_dim_cuda_templateIN3c104HalfEEESt5tupleIJNSF_6TensorESM_SM_EERKSM_lbbbEUlllE0_EEPmJS9_EEE10hipError_tPvRmT3_T4_T5_T6_T7_T9_mT8_P12ihipStream_tbDpT10_ENKUlT_T0_E_clISt17integral_constantIbLb1EES1C_EEDaS17_S18_EUlS17_E_NS1_11comp_targetILNS1_3genE5ELNS1_11target_archE942ELNS1_3gpuE9ELNS1_3repE0EEENS1_30default_config_static_selectorELNS0_4arch9wavefront6targetE0EEEvT1_.uses_flat_scratch, 0
	.set _ZN7rocprim17ROCPRIM_400000_NS6detail17trampoline_kernelINS0_14default_configENS1_25partition_config_selectorILNS1_17partition_subalgoE9EllbEEZZNS1_14partition_implILS5_9ELb0ES3_jPlS8_PNS0_10empty_typeENS0_5tupleIJS8_S9_EEENSB_IJS8_SA_EEENS0_18inequality_wrapperIZN2at6native12_GLOBAL__N_124unique_dim_cuda_templateIN3c104HalfEEESt5tupleIJNSF_6TensorESM_SM_EERKSM_lbbbEUlllE0_EEPmJS9_EEE10hipError_tPvRmT3_T4_T5_T6_T7_T9_mT8_P12ihipStream_tbDpT10_ENKUlT_T0_E_clISt17integral_constantIbLb1EES1C_EEDaS17_S18_EUlS17_E_NS1_11comp_targetILNS1_3genE5ELNS1_11target_archE942ELNS1_3gpuE9ELNS1_3repE0EEENS1_30default_config_static_selectorELNS0_4arch9wavefront6targetE0EEEvT1_.has_dyn_sized_stack, 0
	.set _ZN7rocprim17ROCPRIM_400000_NS6detail17trampoline_kernelINS0_14default_configENS1_25partition_config_selectorILNS1_17partition_subalgoE9EllbEEZZNS1_14partition_implILS5_9ELb0ES3_jPlS8_PNS0_10empty_typeENS0_5tupleIJS8_S9_EEENSB_IJS8_SA_EEENS0_18inequality_wrapperIZN2at6native12_GLOBAL__N_124unique_dim_cuda_templateIN3c104HalfEEESt5tupleIJNSF_6TensorESM_SM_EERKSM_lbbbEUlllE0_EEPmJS9_EEE10hipError_tPvRmT3_T4_T5_T6_T7_T9_mT8_P12ihipStream_tbDpT10_ENKUlT_T0_E_clISt17integral_constantIbLb1EES1C_EEDaS17_S18_EUlS17_E_NS1_11comp_targetILNS1_3genE5ELNS1_11target_archE942ELNS1_3gpuE9ELNS1_3repE0EEENS1_30default_config_static_selectorELNS0_4arch9wavefront6targetE0EEEvT1_.has_recursion, 0
	.set _ZN7rocprim17ROCPRIM_400000_NS6detail17trampoline_kernelINS0_14default_configENS1_25partition_config_selectorILNS1_17partition_subalgoE9EllbEEZZNS1_14partition_implILS5_9ELb0ES3_jPlS8_PNS0_10empty_typeENS0_5tupleIJS8_S9_EEENSB_IJS8_SA_EEENS0_18inequality_wrapperIZN2at6native12_GLOBAL__N_124unique_dim_cuda_templateIN3c104HalfEEESt5tupleIJNSF_6TensorESM_SM_EERKSM_lbbbEUlllE0_EEPmJS9_EEE10hipError_tPvRmT3_T4_T5_T6_T7_T9_mT8_P12ihipStream_tbDpT10_ENKUlT_T0_E_clISt17integral_constantIbLb1EES1C_EEDaS17_S18_EUlS17_E_NS1_11comp_targetILNS1_3genE5ELNS1_11target_archE942ELNS1_3gpuE9ELNS1_3repE0EEENS1_30default_config_static_selectorELNS0_4arch9wavefront6targetE0EEEvT1_.has_indirect_call, 0
	.section	.AMDGPU.csdata,"",@progbits
; Kernel info:
; codeLenInByte = 0
; TotalNumSgprs: 0
; NumVgprs: 0
; ScratchSize: 0
; MemoryBound: 0
; FloatMode: 240
; IeeeMode: 1
; LDSByteSize: 0 bytes/workgroup (compile time only)
; SGPRBlocks: 0
; VGPRBlocks: 0
; NumSGPRsForWavesPerEU: 1
; NumVGPRsForWavesPerEU: 1
; NamedBarCnt: 0
; Occupancy: 16
; WaveLimiterHint : 0
; COMPUTE_PGM_RSRC2:SCRATCH_EN: 0
; COMPUTE_PGM_RSRC2:USER_SGPR: 2
; COMPUTE_PGM_RSRC2:TRAP_HANDLER: 0
; COMPUTE_PGM_RSRC2:TGID_X_EN: 1
; COMPUTE_PGM_RSRC2:TGID_Y_EN: 0
; COMPUTE_PGM_RSRC2:TGID_Z_EN: 0
; COMPUTE_PGM_RSRC2:TIDIG_COMP_CNT: 0
	.section	.text._ZN7rocprim17ROCPRIM_400000_NS6detail17trampoline_kernelINS0_14default_configENS1_25partition_config_selectorILNS1_17partition_subalgoE9EllbEEZZNS1_14partition_implILS5_9ELb0ES3_jPlS8_PNS0_10empty_typeENS0_5tupleIJS8_S9_EEENSB_IJS8_SA_EEENS0_18inequality_wrapperIZN2at6native12_GLOBAL__N_124unique_dim_cuda_templateIN3c104HalfEEESt5tupleIJNSF_6TensorESM_SM_EERKSM_lbbbEUlllE0_EEPmJS9_EEE10hipError_tPvRmT3_T4_T5_T6_T7_T9_mT8_P12ihipStream_tbDpT10_ENKUlT_T0_E_clISt17integral_constantIbLb1EES1C_EEDaS17_S18_EUlS17_E_NS1_11comp_targetILNS1_3genE4ELNS1_11target_archE910ELNS1_3gpuE8ELNS1_3repE0EEENS1_30default_config_static_selectorELNS0_4arch9wavefront6targetE0EEEvT1_,"axG",@progbits,_ZN7rocprim17ROCPRIM_400000_NS6detail17trampoline_kernelINS0_14default_configENS1_25partition_config_selectorILNS1_17partition_subalgoE9EllbEEZZNS1_14partition_implILS5_9ELb0ES3_jPlS8_PNS0_10empty_typeENS0_5tupleIJS8_S9_EEENSB_IJS8_SA_EEENS0_18inequality_wrapperIZN2at6native12_GLOBAL__N_124unique_dim_cuda_templateIN3c104HalfEEESt5tupleIJNSF_6TensorESM_SM_EERKSM_lbbbEUlllE0_EEPmJS9_EEE10hipError_tPvRmT3_T4_T5_T6_T7_T9_mT8_P12ihipStream_tbDpT10_ENKUlT_T0_E_clISt17integral_constantIbLb1EES1C_EEDaS17_S18_EUlS17_E_NS1_11comp_targetILNS1_3genE4ELNS1_11target_archE910ELNS1_3gpuE8ELNS1_3repE0EEENS1_30default_config_static_selectorELNS0_4arch9wavefront6targetE0EEEvT1_,comdat
	.globl	_ZN7rocprim17ROCPRIM_400000_NS6detail17trampoline_kernelINS0_14default_configENS1_25partition_config_selectorILNS1_17partition_subalgoE9EllbEEZZNS1_14partition_implILS5_9ELb0ES3_jPlS8_PNS0_10empty_typeENS0_5tupleIJS8_S9_EEENSB_IJS8_SA_EEENS0_18inequality_wrapperIZN2at6native12_GLOBAL__N_124unique_dim_cuda_templateIN3c104HalfEEESt5tupleIJNSF_6TensorESM_SM_EERKSM_lbbbEUlllE0_EEPmJS9_EEE10hipError_tPvRmT3_T4_T5_T6_T7_T9_mT8_P12ihipStream_tbDpT10_ENKUlT_T0_E_clISt17integral_constantIbLb1EES1C_EEDaS17_S18_EUlS17_E_NS1_11comp_targetILNS1_3genE4ELNS1_11target_archE910ELNS1_3gpuE8ELNS1_3repE0EEENS1_30default_config_static_selectorELNS0_4arch9wavefront6targetE0EEEvT1_ ; -- Begin function _ZN7rocprim17ROCPRIM_400000_NS6detail17trampoline_kernelINS0_14default_configENS1_25partition_config_selectorILNS1_17partition_subalgoE9EllbEEZZNS1_14partition_implILS5_9ELb0ES3_jPlS8_PNS0_10empty_typeENS0_5tupleIJS8_S9_EEENSB_IJS8_SA_EEENS0_18inequality_wrapperIZN2at6native12_GLOBAL__N_124unique_dim_cuda_templateIN3c104HalfEEESt5tupleIJNSF_6TensorESM_SM_EERKSM_lbbbEUlllE0_EEPmJS9_EEE10hipError_tPvRmT3_T4_T5_T6_T7_T9_mT8_P12ihipStream_tbDpT10_ENKUlT_T0_E_clISt17integral_constantIbLb1EES1C_EEDaS17_S18_EUlS17_E_NS1_11comp_targetILNS1_3genE4ELNS1_11target_archE910ELNS1_3gpuE8ELNS1_3repE0EEENS1_30default_config_static_selectorELNS0_4arch9wavefront6targetE0EEEvT1_
	.p2align	8
	.type	_ZN7rocprim17ROCPRIM_400000_NS6detail17trampoline_kernelINS0_14default_configENS1_25partition_config_selectorILNS1_17partition_subalgoE9EllbEEZZNS1_14partition_implILS5_9ELb0ES3_jPlS8_PNS0_10empty_typeENS0_5tupleIJS8_S9_EEENSB_IJS8_SA_EEENS0_18inequality_wrapperIZN2at6native12_GLOBAL__N_124unique_dim_cuda_templateIN3c104HalfEEESt5tupleIJNSF_6TensorESM_SM_EERKSM_lbbbEUlllE0_EEPmJS9_EEE10hipError_tPvRmT3_T4_T5_T6_T7_T9_mT8_P12ihipStream_tbDpT10_ENKUlT_T0_E_clISt17integral_constantIbLb1EES1C_EEDaS17_S18_EUlS17_E_NS1_11comp_targetILNS1_3genE4ELNS1_11target_archE910ELNS1_3gpuE8ELNS1_3repE0EEENS1_30default_config_static_selectorELNS0_4arch9wavefront6targetE0EEEvT1_,@function
_ZN7rocprim17ROCPRIM_400000_NS6detail17trampoline_kernelINS0_14default_configENS1_25partition_config_selectorILNS1_17partition_subalgoE9EllbEEZZNS1_14partition_implILS5_9ELb0ES3_jPlS8_PNS0_10empty_typeENS0_5tupleIJS8_S9_EEENSB_IJS8_SA_EEENS0_18inequality_wrapperIZN2at6native12_GLOBAL__N_124unique_dim_cuda_templateIN3c104HalfEEESt5tupleIJNSF_6TensorESM_SM_EERKSM_lbbbEUlllE0_EEPmJS9_EEE10hipError_tPvRmT3_T4_T5_T6_T7_T9_mT8_P12ihipStream_tbDpT10_ENKUlT_T0_E_clISt17integral_constantIbLb1EES1C_EEDaS17_S18_EUlS17_E_NS1_11comp_targetILNS1_3genE4ELNS1_11target_archE910ELNS1_3gpuE8ELNS1_3repE0EEENS1_30default_config_static_selectorELNS0_4arch9wavefront6targetE0EEEvT1_: ; @_ZN7rocprim17ROCPRIM_400000_NS6detail17trampoline_kernelINS0_14default_configENS1_25partition_config_selectorILNS1_17partition_subalgoE9EllbEEZZNS1_14partition_implILS5_9ELb0ES3_jPlS8_PNS0_10empty_typeENS0_5tupleIJS8_S9_EEENSB_IJS8_SA_EEENS0_18inequality_wrapperIZN2at6native12_GLOBAL__N_124unique_dim_cuda_templateIN3c104HalfEEESt5tupleIJNSF_6TensorESM_SM_EERKSM_lbbbEUlllE0_EEPmJS9_EEE10hipError_tPvRmT3_T4_T5_T6_T7_T9_mT8_P12ihipStream_tbDpT10_ENKUlT_T0_E_clISt17integral_constantIbLb1EES1C_EEDaS17_S18_EUlS17_E_NS1_11comp_targetILNS1_3genE4ELNS1_11target_archE910ELNS1_3gpuE8ELNS1_3repE0EEENS1_30default_config_static_selectorELNS0_4arch9wavefront6targetE0EEEvT1_
; %bb.0:
	.section	.rodata,"a",@progbits
	.p2align	6, 0x0
	.amdhsa_kernel _ZN7rocprim17ROCPRIM_400000_NS6detail17trampoline_kernelINS0_14default_configENS1_25partition_config_selectorILNS1_17partition_subalgoE9EllbEEZZNS1_14partition_implILS5_9ELb0ES3_jPlS8_PNS0_10empty_typeENS0_5tupleIJS8_S9_EEENSB_IJS8_SA_EEENS0_18inequality_wrapperIZN2at6native12_GLOBAL__N_124unique_dim_cuda_templateIN3c104HalfEEESt5tupleIJNSF_6TensorESM_SM_EERKSM_lbbbEUlllE0_EEPmJS9_EEE10hipError_tPvRmT3_T4_T5_T6_T7_T9_mT8_P12ihipStream_tbDpT10_ENKUlT_T0_E_clISt17integral_constantIbLb1EES1C_EEDaS17_S18_EUlS17_E_NS1_11comp_targetILNS1_3genE4ELNS1_11target_archE910ELNS1_3gpuE8ELNS1_3repE0EEENS1_30default_config_static_selectorELNS0_4arch9wavefront6targetE0EEEvT1_
		.amdhsa_group_segment_fixed_size 0
		.amdhsa_private_segment_fixed_size 0
		.amdhsa_kernarg_size 136
		.amdhsa_user_sgpr_count 2
		.amdhsa_user_sgpr_dispatch_ptr 0
		.amdhsa_user_sgpr_queue_ptr 0
		.amdhsa_user_sgpr_kernarg_segment_ptr 1
		.amdhsa_user_sgpr_dispatch_id 0
		.amdhsa_user_sgpr_kernarg_preload_length 0
		.amdhsa_user_sgpr_kernarg_preload_offset 0
		.amdhsa_user_sgpr_private_segment_size 0
		.amdhsa_wavefront_size32 1
		.amdhsa_uses_dynamic_stack 0
		.amdhsa_enable_private_segment 0
		.amdhsa_system_sgpr_workgroup_id_x 1
		.amdhsa_system_sgpr_workgroup_id_y 0
		.amdhsa_system_sgpr_workgroup_id_z 0
		.amdhsa_system_sgpr_workgroup_info 0
		.amdhsa_system_vgpr_workitem_id 0
		.amdhsa_next_free_vgpr 1
		.amdhsa_next_free_sgpr 1
		.amdhsa_named_barrier_count 0
		.amdhsa_reserve_vcc 0
		.amdhsa_float_round_mode_32 0
		.amdhsa_float_round_mode_16_64 0
		.amdhsa_float_denorm_mode_32 3
		.amdhsa_float_denorm_mode_16_64 3
		.amdhsa_fp16_overflow 0
		.amdhsa_memory_ordered 1
		.amdhsa_forward_progress 1
		.amdhsa_inst_pref_size 0
		.amdhsa_round_robin_scheduling 0
		.amdhsa_exception_fp_ieee_invalid_op 0
		.amdhsa_exception_fp_denorm_src 0
		.amdhsa_exception_fp_ieee_div_zero 0
		.amdhsa_exception_fp_ieee_overflow 0
		.amdhsa_exception_fp_ieee_underflow 0
		.amdhsa_exception_fp_ieee_inexact 0
		.amdhsa_exception_int_div_zero 0
	.end_amdhsa_kernel
	.section	.text._ZN7rocprim17ROCPRIM_400000_NS6detail17trampoline_kernelINS0_14default_configENS1_25partition_config_selectorILNS1_17partition_subalgoE9EllbEEZZNS1_14partition_implILS5_9ELb0ES3_jPlS8_PNS0_10empty_typeENS0_5tupleIJS8_S9_EEENSB_IJS8_SA_EEENS0_18inequality_wrapperIZN2at6native12_GLOBAL__N_124unique_dim_cuda_templateIN3c104HalfEEESt5tupleIJNSF_6TensorESM_SM_EERKSM_lbbbEUlllE0_EEPmJS9_EEE10hipError_tPvRmT3_T4_T5_T6_T7_T9_mT8_P12ihipStream_tbDpT10_ENKUlT_T0_E_clISt17integral_constantIbLb1EES1C_EEDaS17_S18_EUlS17_E_NS1_11comp_targetILNS1_3genE4ELNS1_11target_archE910ELNS1_3gpuE8ELNS1_3repE0EEENS1_30default_config_static_selectorELNS0_4arch9wavefront6targetE0EEEvT1_,"axG",@progbits,_ZN7rocprim17ROCPRIM_400000_NS6detail17trampoline_kernelINS0_14default_configENS1_25partition_config_selectorILNS1_17partition_subalgoE9EllbEEZZNS1_14partition_implILS5_9ELb0ES3_jPlS8_PNS0_10empty_typeENS0_5tupleIJS8_S9_EEENSB_IJS8_SA_EEENS0_18inequality_wrapperIZN2at6native12_GLOBAL__N_124unique_dim_cuda_templateIN3c104HalfEEESt5tupleIJNSF_6TensorESM_SM_EERKSM_lbbbEUlllE0_EEPmJS9_EEE10hipError_tPvRmT3_T4_T5_T6_T7_T9_mT8_P12ihipStream_tbDpT10_ENKUlT_T0_E_clISt17integral_constantIbLb1EES1C_EEDaS17_S18_EUlS17_E_NS1_11comp_targetILNS1_3genE4ELNS1_11target_archE910ELNS1_3gpuE8ELNS1_3repE0EEENS1_30default_config_static_selectorELNS0_4arch9wavefront6targetE0EEEvT1_,comdat
.Lfunc_end1339:
	.size	_ZN7rocprim17ROCPRIM_400000_NS6detail17trampoline_kernelINS0_14default_configENS1_25partition_config_selectorILNS1_17partition_subalgoE9EllbEEZZNS1_14partition_implILS5_9ELb0ES3_jPlS8_PNS0_10empty_typeENS0_5tupleIJS8_S9_EEENSB_IJS8_SA_EEENS0_18inequality_wrapperIZN2at6native12_GLOBAL__N_124unique_dim_cuda_templateIN3c104HalfEEESt5tupleIJNSF_6TensorESM_SM_EERKSM_lbbbEUlllE0_EEPmJS9_EEE10hipError_tPvRmT3_T4_T5_T6_T7_T9_mT8_P12ihipStream_tbDpT10_ENKUlT_T0_E_clISt17integral_constantIbLb1EES1C_EEDaS17_S18_EUlS17_E_NS1_11comp_targetILNS1_3genE4ELNS1_11target_archE910ELNS1_3gpuE8ELNS1_3repE0EEENS1_30default_config_static_selectorELNS0_4arch9wavefront6targetE0EEEvT1_, .Lfunc_end1339-_ZN7rocprim17ROCPRIM_400000_NS6detail17trampoline_kernelINS0_14default_configENS1_25partition_config_selectorILNS1_17partition_subalgoE9EllbEEZZNS1_14partition_implILS5_9ELb0ES3_jPlS8_PNS0_10empty_typeENS0_5tupleIJS8_S9_EEENSB_IJS8_SA_EEENS0_18inequality_wrapperIZN2at6native12_GLOBAL__N_124unique_dim_cuda_templateIN3c104HalfEEESt5tupleIJNSF_6TensorESM_SM_EERKSM_lbbbEUlllE0_EEPmJS9_EEE10hipError_tPvRmT3_T4_T5_T6_T7_T9_mT8_P12ihipStream_tbDpT10_ENKUlT_T0_E_clISt17integral_constantIbLb1EES1C_EEDaS17_S18_EUlS17_E_NS1_11comp_targetILNS1_3genE4ELNS1_11target_archE910ELNS1_3gpuE8ELNS1_3repE0EEENS1_30default_config_static_selectorELNS0_4arch9wavefront6targetE0EEEvT1_
                                        ; -- End function
	.set _ZN7rocprim17ROCPRIM_400000_NS6detail17trampoline_kernelINS0_14default_configENS1_25partition_config_selectorILNS1_17partition_subalgoE9EllbEEZZNS1_14partition_implILS5_9ELb0ES3_jPlS8_PNS0_10empty_typeENS0_5tupleIJS8_S9_EEENSB_IJS8_SA_EEENS0_18inequality_wrapperIZN2at6native12_GLOBAL__N_124unique_dim_cuda_templateIN3c104HalfEEESt5tupleIJNSF_6TensorESM_SM_EERKSM_lbbbEUlllE0_EEPmJS9_EEE10hipError_tPvRmT3_T4_T5_T6_T7_T9_mT8_P12ihipStream_tbDpT10_ENKUlT_T0_E_clISt17integral_constantIbLb1EES1C_EEDaS17_S18_EUlS17_E_NS1_11comp_targetILNS1_3genE4ELNS1_11target_archE910ELNS1_3gpuE8ELNS1_3repE0EEENS1_30default_config_static_selectorELNS0_4arch9wavefront6targetE0EEEvT1_.num_vgpr, 0
	.set _ZN7rocprim17ROCPRIM_400000_NS6detail17trampoline_kernelINS0_14default_configENS1_25partition_config_selectorILNS1_17partition_subalgoE9EllbEEZZNS1_14partition_implILS5_9ELb0ES3_jPlS8_PNS0_10empty_typeENS0_5tupleIJS8_S9_EEENSB_IJS8_SA_EEENS0_18inequality_wrapperIZN2at6native12_GLOBAL__N_124unique_dim_cuda_templateIN3c104HalfEEESt5tupleIJNSF_6TensorESM_SM_EERKSM_lbbbEUlllE0_EEPmJS9_EEE10hipError_tPvRmT3_T4_T5_T6_T7_T9_mT8_P12ihipStream_tbDpT10_ENKUlT_T0_E_clISt17integral_constantIbLb1EES1C_EEDaS17_S18_EUlS17_E_NS1_11comp_targetILNS1_3genE4ELNS1_11target_archE910ELNS1_3gpuE8ELNS1_3repE0EEENS1_30default_config_static_selectorELNS0_4arch9wavefront6targetE0EEEvT1_.num_agpr, 0
	.set _ZN7rocprim17ROCPRIM_400000_NS6detail17trampoline_kernelINS0_14default_configENS1_25partition_config_selectorILNS1_17partition_subalgoE9EllbEEZZNS1_14partition_implILS5_9ELb0ES3_jPlS8_PNS0_10empty_typeENS0_5tupleIJS8_S9_EEENSB_IJS8_SA_EEENS0_18inequality_wrapperIZN2at6native12_GLOBAL__N_124unique_dim_cuda_templateIN3c104HalfEEESt5tupleIJNSF_6TensorESM_SM_EERKSM_lbbbEUlllE0_EEPmJS9_EEE10hipError_tPvRmT3_T4_T5_T6_T7_T9_mT8_P12ihipStream_tbDpT10_ENKUlT_T0_E_clISt17integral_constantIbLb1EES1C_EEDaS17_S18_EUlS17_E_NS1_11comp_targetILNS1_3genE4ELNS1_11target_archE910ELNS1_3gpuE8ELNS1_3repE0EEENS1_30default_config_static_selectorELNS0_4arch9wavefront6targetE0EEEvT1_.numbered_sgpr, 0
	.set _ZN7rocprim17ROCPRIM_400000_NS6detail17trampoline_kernelINS0_14default_configENS1_25partition_config_selectorILNS1_17partition_subalgoE9EllbEEZZNS1_14partition_implILS5_9ELb0ES3_jPlS8_PNS0_10empty_typeENS0_5tupleIJS8_S9_EEENSB_IJS8_SA_EEENS0_18inequality_wrapperIZN2at6native12_GLOBAL__N_124unique_dim_cuda_templateIN3c104HalfEEESt5tupleIJNSF_6TensorESM_SM_EERKSM_lbbbEUlllE0_EEPmJS9_EEE10hipError_tPvRmT3_T4_T5_T6_T7_T9_mT8_P12ihipStream_tbDpT10_ENKUlT_T0_E_clISt17integral_constantIbLb1EES1C_EEDaS17_S18_EUlS17_E_NS1_11comp_targetILNS1_3genE4ELNS1_11target_archE910ELNS1_3gpuE8ELNS1_3repE0EEENS1_30default_config_static_selectorELNS0_4arch9wavefront6targetE0EEEvT1_.num_named_barrier, 0
	.set _ZN7rocprim17ROCPRIM_400000_NS6detail17trampoline_kernelINS0_14default_configENS1_25partition_config_selectorILNS1_17partition_subalgoE9EllbEEZZNS1_14partition_implILS5_9ELb0ES3_jPlS8_PNS0_10empty_typeENS0_5tupleIJS8_S9_EEENSB_IJS8_SA_EEENS0_18inequality_wrapperIZN2at6native12_GLOBAL__N_124unique_dim_cuda_templateIN3c104HalfEEESt5tupleIJNSF_6TensorESM_SM_EERKSM_lbbbEUlllE0_EEPmJS9_EEE10hipError_tPvRmT3_T4_T5_T6_T7_T9_mT8_P12ihipStream_tbDpT10_ENKUlT_T0_E_clISt17integral_constantIbLb1EES1C_EEDaS17_S18_EUlS17_E_NS1_11comp_targetILNS1_3genE4ELNS1_11target_archE910ELNS1_3gpuE8ELNS1_3repE0EEENS1_30default_config_static_selectorELNS0_4arch9wavefront6targetE0EEEvT1_.private_seg_size, 0
	.set _ZN7rocprim17ROCPRIM_400000_NS6detail17trampoline_kernelINS0_14default_configENS1_25partition_config_selectorILNS1_17partition_subalgoE9EllbEEZZNS1_14partition_implILS5_9ELb0ES3_jPlS8_PNS0_10empty_typeENS0_5tupleIJS8_S9_EEENSB_IJS8_SA_EEENS0_18inequality_wrapperIZN2at6native12_GLOBAL__N_124unique_dim_cuda_templateIN3c104HalfEEESt5tupleIJNSF_6TensorESM_SM_EERKSM_lbbbEUlllE0_EEPmJS9_EEE10hipError_tPvRmT3_T4_T5_T6_T7_T9_mT8_P12ihipStream_tbDpT10_ENKUlT_T0_E_clISt17integral_constantIbLb1EES1C_EEDaS17_S18_EUlS17_E_NS1_11comp_targetILNS1_3genE4ELNS1_11target_archE910ELNS1_3gpuE8ELNS1_3repE0EEENS1_30default_config_static_selectorELNS0_4arch9wavefront6targetE0EEEvT1_.uses_vcc, 0
	.set _ZN7rocprim17ROCPRIM_400000_NS6detail17trampoline_kernelINS0_14default_configENS1_25partition_config_selectorILNS1_17partition_subalgoE9EllbEEZZNS1_14partition_implILS5_9ELb0ES3_jPlS8_PNS0_10empty_typeENS0_5tupleIJS8_S9_EEENSB_IJS8_SA_EEENS0_18inequality_wrapperIZN2at6native12_GLOBAL__N_124unique_dim_cuda_templateIN3c104HalfEEESt5tupleIJNSF_6TensorESM_SM_EERKSM_lbbbEUlllE0_EEPmJS9_EEE10hipError_tPvRmT3_T4_T5_T6_T7_T9_mT8_P12ihipStream_tbDpT10_ENKUlT_T0_E_clISt17integral_constantIbLb1EES1C_EEDaS17_S18_EUlS17_E_NS1_11comp_targetILNS1_3genE4ELNS1_11target_archE910ELNS1_3gpuE8ELNS1_3repE0EEENS1_30default_config_static_selectorELNS0_4arch9wavefront6targetE0EEEvT1_.uses_flat_scratch, 0
	.set _ZN7rocprim17ROCPRIM_400000_NS6detail17trampoline_kernelINS0_14default_configENS1_25partition_config_selectorILNS1_17partition_subalgoE9EllbEEZZNS1_14partition_implILS5_9ELb0ES3_jPlS8_PNS0_10empty_typeENS0_5tupleIJS8_S9_EEENSB_IJS8_SA_EEENS0_18inequality_wrapperIZN2at6native12_GLOBAL__N_124unique_dim_cuda_templateIN3c104HalfEEESt5tupleIJNSF_6TensorESM_SM_EERKSM_lbbbEUlllE0_EEPmJS9_EEE10hipError_tPvRmT3_T4_T5_T6_T7_T9_mT8_P12ihipStream_tbDpT10_ENKUlT_T0_E_clISt17integral_constantIbLb1EES1C_EEDaS17_S18_EUlS17_E_NS1_11comp_targetILNS1_3genE4ELNS1_11target_archE910ELNS1_3gpuE8ELNS1_3repE0EEENS1_30default_config_static_selectorELNS0_4arch9wavefront6targetE0EEEvT1_.has_dyn_sized_stack, 0
	.set _ZN7rocprim17ROCPRIM_400000_NS6detail17trampoline_kernelINS0_14default_configENS1_25partition_config_selectorILNS1_17partition_subalgoE9EllbEEZZNS1_14partition_implILS5_9ELb0ES3_jPlS8_PNS0_10empty_typeENS0_5tupleIJS8_S9_EEENSB_IJS8_SA_EEENS0_18inequality_wrapperIZN2at6native12_GLOBAL__N_124unique_dim_cuda_templateIN3c104HalfEEESt5tupleIJNSF_6TensorESM_SM_EERKSM_lbbbEUlllE0_EEPmJS9_EEE10hipError_tPvRmT3_T4_T5_T6_T7_T9_mT8_P12ihipStream_tbDpT10_ENKUlT_T0_E_clISt17integral_constantIbLb1EES1C_EEDaS17_S18_EUlS17_E_NS1_11comp_targetILNS1_3genE4ELNS1_11target_archE910ELNS1_3gpuE8ELNS1_3repE0EEENS1_30default_config_static_selectorELNS0_4arch9wavefront6targetE0EEEvT1_.has_recursion, 0
	.set _ZN7rocprim17ROCPRIM_400000_NS6detail17trampoline_kernelINS0_14default_configENS1_25partition_config_selectorILNS1_17partition_subalgoE9EllbEEZZNS1_14partition_implILS5_9ELb0ES3_jPlS8_PNS0_10empty_typeENS0_5tupleIJS8_S9_EEENSB_IJS8_SA_EEENS0_18inequality_wrapperIZN2at6native12_GLOBAL__N_124unique_dim_cuda_templateIN3c104HalfEEESt5tupleIJNSF_6TensorESM_SM_EERKSM_lbbbEUlllE0_EEPmJS9_EEE10hipError_tPvRmT3_T4_T5_T6_T7_T9_mT8_P12ihipStream_tbDpT10_ENKUlT_T0_E_clISt17integral_constantIbLb1EES1C_EEDaS17_S18_EUlS17_E_NS1_11comp_targetILNS1_3genE4ELNS1_11target_archE910ELNS1_3gpuE8ELNS1_3repE0EEENS1_30default_config_static_selectorELNS0_4arch9wavefront6targetE0EEEvT1_.has_indirect_call, 0
	.section	.AMDGPU.csdata,"",@progbits
; Kernel info:
; codeLenInByte = 0
; TotalNumSgprs: 0
; NumVgprs: 0
; ScratchSize: 0
; MemoryBound: 0
; FloatMode: 240
; IeeeMode: 1
; LDSByteSize: 0 bytes/workgroup (compile time only)
; SGPRBlocks: 0
; VGPRBlocks: 0
; NumSGPRsForWavesPerEU: 1
; NumVGPRsForWavesPerEU: 1
; NamedBarCnt: 0
; Occupancy: 16
; WaveLimiterHint : 0
; COMPUTE_PGM_RSRC2:SCRATCH_EN: 0
; COMPUTE_PGM_RSRC2:USER_SGPR: 2
; COMPUTE_PGM_RSRC2:TRAP_HANDLER: 0
; COMPUTE_PGM_RSRC2:TGID_X_EN: 1
; COMPUTE_PGM_RSRC2:TGID_Y_EN: 0
; COMPUTE_PGM_RSRC2:TGID_Z_EN: 0
; COMPUTE_PGM_RSRC2:TIDIG_COMP_CNT: 0
	.section	.text._ZN7rocprim17ROCPRIM_400000_NS6detail17trampoline_kernelINS0_14default_configENS1_25partition_config_selectorILNS1_17partition_subalgoE9EllbEEZZNS1_14partition_implILS5_9ELb0ES3_jPlS8_PNS0_10empty_typeENS0_5tupleIJS8_S9_EEENSB_IJS8_SA_EEENS0_18inequality_wrapperIZN2at6native12_GLOBAL__N_124unique_dim_cuda_templateIN3c104HalfEEESt5tupleIJNSF_6TensorESM_SM_EERKSM_lbbbEUlllE0_EEPmJS9_EEE10hipError_tPvRmT3_T4_T5_T6_T7_T9_mT8_P12ihipStream_tbDpT10_ENKUlT_T0_E_clISt17integral_constantIbLb1EES1C_EEDaS17_S18_EUlS17_E_NS1_11comp_targetILNS1_3genE3ELNS1_11target_archE908ELNS1_3gpuE7ELNS1_3repE0EEENS1_30default_config_static_selectorELNS0_4arch9wavefront6targetE0EEEvT1_,"axG",@progbits,_ZN7rocprim17ROCPRIM_400000_NS6detail17trampoline_kernelINS0_14default_configENS1_25partition_config_selectorILNS1_17partition_subalgoE9EllbEEZZNS1_14partition_implILS5_9ELb0ES3_jPlS8_PNS0_10empty_typeENS0_5tupleIJS8_S9_EEENSB_IJS8_SA_EEENS0_18inequality_wrapperIZN2at6native12_GLOBAL__N_124unique_dim_cuda_templateIN3c104HalfEEESt5tupleIJNSF_6TensorESM_SM_EERKSM_lbbbEUlllE0_EEPmJS9_EEE10hipError_tPvRmT3_T4_T5_T6_T7_T9_mT8_P12ihipStream_tbDpT10_ENKUlT_T0_E_clISt17integral_constantIbLb1EES1C_EEDaS17_S18_EUlS17_E_NS1_11comp_targetILNS1_3genE3ELNS1_11target_archE908ELNS1_3gpuE7ELNS1_3repE0EEENS1_30default_config_static_selectorELNS0_4arch9wavefront6targetE0EEEvT1_,comdat
	.globl	_ZN7rocprim17ROCPRIM_400000_NS6detail17trampoline_kernelINS0_14default_configENS1_25partition_config_selectorILNS1_17partition_subalgoE9EllbEEZZNS1_14partition_implILS5_9ELb0ES3_jPlS8_PNS0_10empty_typeENS0_5tupleIJS8_S9_EEENSB_IJS8_SA_EEENS0_18inequality_wrapperIZN2at6native12_GLOBAL__N_124unique_dim_cuda_templateIN3c104HalfEEESt5tupleIJNSF_6TensorESM_SM_EERKSM_lbbbEUlllE0_EEPmJS9_EEE10hipError_tPvRmT3_T4_T5_T6_T7_T9_mT8_P12ihipStream_tbDpT10_ENKUlT_T0_E_clISt17integral_constantIbLb1EES1C_EEDaS17_S18_EUlS17_E_NS1_11comp_targetILNS1_3genE3ELNS1_11target_archE908ELNS1_3gpuE7ELNS1_3repE0EEENS1_30default_config_static_selectorELNS0_4arch9wavefront6targetE0EEEvT1_ ; -- Begin function _ZN7rocprim17ROCPRIM_400000_NS6detail17trampoline_kernelINS0_14default_configENS1_25partition_config_selectorILNS1_17partition_subalgoE9EllbEEZZNS1_14partition_implILS5_9ELb0ES3_jPlS8_PNS0_10empty_typeENS0_5tupleIJS8_S9_EEENSB_IJS8_SA_EEENS0_18inequality_wrapperIZN2at6native12_GLOBAL__N_124unique_dim_cuda_templateIN3c104HalfEEESt5tupleIJNSF_6TensorESM_SM_EERKSM_lbbbEUlllE0_EEPmJS9_EEE10hipError_tPvRmT3_T4_T5_T6_T7_T9_mT8_P12ihipStream_tbDpT10_ENKUlT_T0_E_clISt17integral_constantIbLb1EES1C_EEDaS17_S18_EUlS17_E_NS1_11comp_targetILNS1_3genE3ELNS1_11target_archE908ELNS1_3gpuE7ELNS1_3repE0EEENS1_30default_config_static_selectorELNS0_4arch9wavefront6targetE0EEEvT1_
	.p2align	8
	.type	_ZN7rocprim17ROCPRIM_400000_NS6detail17trampoline_kernelINS0_14default_configENS1_25partition_config_selectorILNS1_17partition_subalgoE9EllbEEZZNS1_14partition_implILS5_9ELb0ES3_jPlS8_PNS0_10empty_typeENS0_5tupleIJS8_S9_EEENSB_IJS8_SA_EEENS0_18inequality_wrapperIZN2at6native12_GLOBAL__N_124unique_dim_cuda_templateIN3c104HalfEEESt5tupleIJNSF_6TensorESM_SM_EERKSM_lbbbEUlllE0_EEPmJS9_EEE10hipError_tPvRmT3_T4_T5_T6_T7_T9_mT8_P12ihipStream_tbDpT10_ENKUlT_T0_E_clISt17integral_constantIbLb1EES1C_EEDaS17_S18_EUlS17_E_NS1_11comp_targetILNS1_3genE3ELNS1_11target_archE908ELNS1_3gpuE7ELNS1_3repE0EEENS1_30default_config_static_selectorELNS0_4arch9wavefront6targetE0EEEvT1_,@function
_ZN7rocprim17ROCPRIM_400000_NS6detail17trampoline_kernelINS0_14default_configENS1_25partition_config_selectorILNS1_17partition_subalgoE9EllbEEZZNS1_14partition_implILS5_9ELb0ES3_jPlS8_PNS0_10empty_typeENS0_5tupleIJS8_S9_EEENSB_IJS8_SA_EEENS0_18inequality_wrapperIZN2at6native12_GLOBAL__N_124unique_dim_cuda_templateIN3c104HalfEEESt5tupleIJNSF_6TensorESM_SM_EERKSM_lbbbEUlllE0_EEPmJS9_EEE10hipError_tPvRmT3_T4_T5_T6_T7_T9_mT8_P12ihipStream_tbDpT10_ENKUlT_T0_E_clISt17integral_constantIbLb1EES1C_EEDaS17_S18_EUlS17_E_NS1_11comp_targetILNS1_3genE3ELNS1_11target_archE908ELNS1_3gpuE7ELNS1_3repE0EEENS1_30default_config_static_selectorELNS0_4arch9wavefront6targetE0EEEvT1_: ; @_ZN7rocprim17ROCPRIM_400000_NS6detail17trampoline_kernelINS0_14default_configENS1_25partition_config_selectorILNS1_17partition_subalgoE9EllbEEZZNS1_14partition_implILS5_9ELb0ES3_jPlS8_PNS0_10empty_typeENS0_5tupleIJS8_S9_EEENSB_IJS8_SA_EEENS0_18inequality_wrapperIZN2at6native12_GLOBAL__N_124unique_dim_cuda_templateIN3c104HalfEEESt5tupleIJNSF_6TensorESM_SM_EERKSM_lbbbEUlllE0_EEPmJS9_EEE10hipError_tPvRmT3_T4_T5_T6_T7_T9_mT8_P12ihipStream_tbDpT10_ENKUlT_T0_E_clISt17integral_constantIbLb1EES1C_EEDaS17_S18_EUlS17_E_NS1_11comp_targetILNS1_3genE3ELNS1_11target_archE908ELNS1_3gpuE7ELNS1_3repE0EEENS1_30default_config_static_selectorELNS0_4arch9wavefront6targetE0EEEvT1_
; %bb.0:
	.section	.rodata,"a",@progbits
	.p2align	6, 0x0
	.amdhsa_kernel _ZN7rocprim17ROCPRIM_400000_NS6detail17trampoline_kernelINS0_14default_configENS1_25partition_config_selectorILNS1_17partition_subalgoE9EllbEEZZNS1_14partition_implILS5_9ELb0ES3_jPlS8_PNS0_10empty_typeENS0_5tupleIJS8_S9_EEENSB_IJS8_SA_EEENS0_18inequality_wrapperIZN2at6native12_GLOBAL__N_124unique_dim_cuda_templateIN3c104HalfEEESt5tupleIJNSF_6TensorESM_SM_EERKSM_lbbbEUlllE0_EEPmJS9_EEE10hipError_tPvRmT3_T4_T5_T6_T7_T9_mT8_P12ihipStream_tbDpT10_ENKUlT_T0_E_clISt17integral_constantIbLb1EES1C_EEDaS17_S18_EUlS17_E_NS1_11comp_targetILNS1_3genE3ELNS1_11target_archE908ELNS1_3gpuE7ELNS1_3repE0EEENS1_30default_config_static_selectorELNS0_4arch9wavefront6targetE0EEEvT1_
		.amdhsa_group_segment_fixed_size 0
		.amdhsa_private_segment_fixed_size 0
		.amdhsa_kernarg_size 136
		.amdhsa_user_sgpr_count 2
		.amdhsa_user_sgpr_dispatch_ptr 0
		.amdhsa_user_sgpr_queue_ptr 0
		.amdhsa_user_sgpr_kernarg_segment_ptr 1
		.amdhsa_user_sgpr_dispatch_id 0
		.amdhsa_user_sgpr_kernarg_preload_length 0
		.amdhsa_user_sgpr_kernarg_preload_offset 0
		.amdhsa_user_sgpr_private_segment_size 0
		.amdhsa_wavefront_size32 1
		.amdhsa_uses_dynamic_stack 0
		.amdhsa_enable_private_segment 0
		.amdhsa_system_sgpr_workgroup_id_x 1
		.amdhsa_system_sgpr_workgroup_id_y 0
		.amdhsa_system_sgpr_workgroup_id_z 0
		.amdhsa_system_sgpr_workgroup_info 0
		.amdhsa_system_vgpr_workitem_id 0
		.amdhsa_next_free_vgpr 1
		.amdhsa_next_free_sgpr 1
		.amdhsa_named_barrier_count 0
		.amdhsa_reserve_vcc 0
		.amdhsa_float_round_mode_32 0
		.amdhsa_float_round_mode_16_64 0
		.amdhsa_float_denorm_mode_32 3
		.amdhsa_float_denorm_mode_16_64 3
		.amdhsa_fp16_overflow 0
		.amdhsa_memory_ordered 1
		.amdhsa_forward_progress 1
		.amdhsa_inst_pref_size 0
		.amdhsa_round_robin_scheduling 0
		.amdhsa_exception_fp_ieee_invalid_op 0
		.amdhsa_exception_fp_denorm_src 0
		.amdhsa_exception_fp_ieee_div_zero 0
		.amdhsa_exception_fp_ieee_overflow 0
		.amdhsa_exception_fp_ieee_underflow 0
		.amdhsa_exception_fp_ieee_inexact 0
		.amdhsa_exception_int_div_zero 0
	.end_amdhsa_kernel
	.section	.text._ZN7rocprim17ROCPRIM_400000_NS6detail17trampoline_kernelINS0_14default_configENS1_25partition_config_selectorILNS1_17partition_subalgoE9EllbEEZZNS1_14partition_implILS5_9ELb0ES3_jPlS8_PNS0_10empty_typeENS0_5tupleIJS8_S9_EEENSB_IJS8_SA_EEENS0_18inequality_wrapperIZN2at6native12_GLOBAL__N_124unique_dim_cuda_templateIN3c104HalfEEESt5tupleIJNSF_6TensorESM_SM_EERKSM_lbbbEUlllE0_EEPmJS9_EEE10hipError_tPvRmT3_T4_T5_T6_T7_T9_mT8_P12ihipStream_tbDpT10_ENKUlT_T0_E_clISt17integral_constantIbLb1EES1C_EEDaS17_S18_EUlS17_E_NS1_11comp_targetILNS1_3genE3ELNS1_11target_archE908ELNS1_3gpuE7ELNS1_3repE0EEENS1_30default_config_static_selectorELNS0_4arch9wavefront6targetE0EEEvT1_,"axG",@progbits,_ZN7rocprim17ROCPRIM_400000_NS6detail17trampoline_kernelINS0_14default_configENS1_25partition_config_selectorILNS1_17partition_subalgoE9EllbEEZZNS1_14partition_implILS5_9ELb0ES3_jPlS8_PNS0_10empty_typeENS0_5tupleIJS8_S9_EEENSB_IJS8_SA_EEENS0_18inequality_wrapperIZN2at6native12_GLOBAL__N_124unique_dim_cuda_templateIN3c104HalfEEESt5tupleIJNSF_6TensorESM_SM_EERKSM_lbbbEUlllE0_EEPmJS9_EEE10hipError_tPvRmT3_T4_T5_T6_T7_T9_mT8_P12ihipStream_tbDpT10_ENKUlT_T0_E_clISt17integral_constantIbLb1EES1C_EEDaS17_S18_EUlS17_E_NS1_11comp_targetILNS1_3genE3ELNS1_11target_archE908ELNS1_3gpuE7ELNS1_3repE0EEENS1_30default_config_static_selectorELNS0_4arch9wavefront6targetE0EEEvT1_,comdat
.Lfunc_end1340:
	.size	_ZN7rocprim17ROCPRIM_400000_NS6detail17trampoline_kernelINS0_14default_configENS1_25partition_config_selectorILNS1_17partition_subalgoE9EllbEEZZNS1_14partition_implILS5_9ELb0ES3_jPlS8_PNS0_10empty_typeENS0_5tupleIJS8_S9_EEENSB_IJS8_SA_EEENS0_18inequality_wrapperIZN2at6native12_GLOBAL__N_124unique_dim_cuda_templateIN3c104HalfEEESt5tupleIJNSF_6TensorESM_SM_EERKSM_lbbbEUlllE0_EEPmJS9_EEE10hipError_tPvRmT3_T4_T5_T6_T7_T9_mT8_P12ihipStream_tbDpT10_ENKUlT_T0_E_clISt17integral_constantIbLb1EES1C_EEDaS17_S18_EUlS17_E_NS1_11comp_targetILNS1_3genE3ELNS1_11target_archE908ELNS1_3gpuE7ELNS1_3repE0EEENS1_30default_config_static_selectorELNS0_4arch9wavefront6targetE0EEEvT1_, .Lfunc_end1340-_ZN7rocprim17ROCPRIM_400000_NS6detail17trampoline_kernelINS0_14default_configENS1_25partition_config_selectorILNS1_17partition_subalgoE9EllbEEZZNS1_14partition_implILS5_9ELb0ES3_jPlS8_PNS0_10empty_typeENS0_5tupleIJS8_S9_EEENSB_IJS8_SA_EEENS0_18inequality_wrapperIZN2at6native12_GLOBAL__N_124unique_dim_cuda_templateIN3c104HalfEEESt5tupleIJNSF_6TensorESM_SM_EERKSM_lbbbEUlllE0_EEPmJS9_EEE10hipError_tPvRmT3_T4_T5_T6_T7_T9_mT8_P12ihipStream_tbDpT10_ENKUlT_T0_E_clISt17integral_constantIbLb1EES1C_EEDaS17_S18_EUlS17_E_NS1_11comp_targetILNS1_3genE3ELNS1_11target_archE908ELNS1_3gpuE7ELNS1_3repE0EEENS1_30default_config_static_selectorELNS0_4arch9wavefront6targetE0EEEvT1_
                                        ; -- End function
	.set _ZN7rocprim17ROCPRIM_400000_NS6detail17trampoline_kernelINS0_14default_configENS1_25partition_config_selectorILNS1_17partition_subalgoE9EllbEEZZNS1_14partition_implILS5_9ELb0ES3_jPlS8_PNS0_10empty_typeENS0_5tupleIJS8_S9_EEENSB_IJS8_SA_EEENS0_18inequality_wrapperIZN2at6native12_GLOBAL__N_124unique_dim_cuda_templateIN3c104HalfEEESt5tupleIJNSF_6TensorESM_SM_EERKSM_lbbbEUlllE0_EEPmJS9_EEE10hipError_tPvRmT3_T4_T5_T6_T7_T9_mT8_P12ihipStream_tbDpT10_ENKUlT_T0_E_clISt17integral_constantIbLb1EES1C_EEDaS17_S18_EUlS17_E_NS1_11comp_targetILNS1_3genE3ELNS1_11target_archE908ELNS1_3gpuE7ELNS1_3repE0EEENS1_30default_config_static_selectorELNS0_4arch9wavefront6targetE0EEEvT1_.num_vgpr, 0
	.set _ZN7rocprim17ROCPRIM_400000_NS6detail17trampoline_kernelINS0_14default_configENS1_25partition_config_selectorILNS1_17partition_subalgoE9EllbEEZZNS1_14partition_implILS5_9ELb0ES3_jPlS8_PNS0_10empty_typeENS0_5tupleIJS8_S9_EEENSB_IJS8_SA_EEENS0_18inequality_wrapperIZN2at6native12_GLOBAL__N_124unique_dim_cuda_templateIN3c104HalfEEESt5tupleIJNSF_6TensorESM_SM_EERKSM_lbbbEUlllE0_EEPmJS9_EEE10hipError_tPvRmT3_T4_T5_T6_T7_T9_mT8_P12ihipStream_tbDpT10_ENKUlT_T0_E_clISt17integral_constantIbLb1EES1C_EEDaS17_S18_EUlS17_E_NS1_11comp_targetILNS1_3genE3ELNS1_11target_archE908ELNS1_3gpuE7ELNS1_3repE0EEENS1_30default_config_static_selectorELNS0_4arch9wavefront6targetE0EEEvT1_.num_agpr, 0
	.set _ZN7rocprim17ROCPRIM_400000_NS6detail17trampoline_kernelINS0_14default_configENS1_25partition_config_selectorILNS1_17partition_subalgoE9EllbEEZZNS1_14partition_implILS5_9ELb0ES3_jPlS8_PNS0_10empty_typeENS0_5tupleIJS8_S9_EEENSB_IJS8_SA_EEENS0_18inequality_wrapperIZN2at6native12_GLOBAL__N_124unique_dim_cuda_templateIN3c104HalfEEESt5tupleIJNSF_6TensorESM_SM_EERKSM_lbbbEUlllE0_EEPmJS9_EEE10hipError_tPvRmT3_T4_T5_T6_T7_T9_mT8_P12ihipStream_tbDpT10_ENKUlT_T0_E_clISt17integral_constantIbLb1EES1C_EEDaS17_S18_EUlS17_E_NS1_11comp_targetILNS1_3genE3ELNS1_11target_archE908ELNS1_3gpuE7ELNS1_3repE0EEENS1_30default_config_static_selectorELNS0_4arch9wavefront6targetE0EEEvT1_.numbered_sgpr, 0
	.set _ZN7rocprim17ROCPRIM_400000_NS6detail17trampoline_kernelINS0_14default_configENS1_25partition_config_selectorILNS1_17partition_subalgoE9EllbEEZZNS1_14partition_implILS5_9ELb0ES3_jPlS8_PNS0_10empty_typeENS0_5tupleIJS8_S9_EEENSB_IJS8_SA_EEENS0_18inequality_wrapperIZN2at6native12_GLOBAL__N_124unique_dim_cuda_templateIN3c104HalfEEESt5tupleIJNSF_6TensorESM_SM_EERKSM_lbbbEUlllE0_EEPmJS9_EEE10hipError_tPvRmT3_T4_T5_T6_T7_T9_mT8_P12ihipStream_tbDpT10_ENKUlT_T0_E_clISt17integral_constantIbLb1EES1C_EEDaS17_S18_EUlS17_E_NS1_11comp_targetILNS1_3genE3ELNS1_11target_archE908ELNS1_3gpuE7ELNS1_3repE0EEENS1_30default_config_static_selectorELNS0_4arch9wavefront6targetE0EEEvT1_.num_named_barrier, 0
	.set _ZN7rocprim17ROCPRIM_400000_NS6detail17trampoline_kernelINS0_14default_configENS1_25partition_config_selectorILNS1_17partition_subalgoE9EllbEEZZNS1_14partition_implILS5_9ELb0ES3_jPlS8_PNS0_10empty_typeENS0_5tupleIJS8_S9_EEENSB_IJS8_SA_EEENS0_18inequality_wrapperIZN2at6native12_GLOBAL__N_124unique_dim_cuda_templateIN3c104HalfEEESt5tupleIJNSF_6TensorESM_SM_EERKSM_lbbbEUlllE0_EEPmJS9_EEE10hipError_tPvRmT3_T4_T5_T6_T7_T9_mT8_P12ihipStream_tbDpT10_ENKUlT_T0_E_clISt17integral_constantIbLb1EES1C_EEDaS17_S18_EUlS17_E_NS1_11comp_targetILNS1_3genE3ELNS1_11target_archE908ELNS1_3gpuE7ELNS1_3repE0EEENS1_30default_config_static_selectorELNS0_4arch9wavefront6targetE0EEEvT1_.private_seg_size, 0
	.set _ZN7rocprim17ROCPRIM_400000_NS6detail17trampoline_kernelINS0_14default_configENS1_25partition_config_selectorILNS1_17partition_subalgoE9EllbEEZZNS1_14partition_implILS5_9ELb0ES3_jPlS8_PNS0_10empty_typeENS0_5tupleIJS8_S9_EEENSB_IJS8_SA_EEENS0_18inequality_wrapperIZN2at6native12_GLOBAL__N_124unique_dim_cuda_templateIN3c104HalfEEESt5tupleIJNSF_6TensorESM_SM_EERKSM_lbbbEUlllE0_EEPmJS9_EEE10hipError_tPvRmT3_T4_T5_T6_T7_T9_mT8_P12ihipStream_tbDpT10_ENKUlT_T0_E_clISt17integral_constantIbLb1EES1C_EEDaS17_S18_EUlS17_E_NS1_11comp_targetILNS1_3genE3ELNS1_11target_archE908ELNS1_3gpuE7ELNS1_3repE0EEENS1_30default_config_static_selectorELNS0_4arch9wavefront6targetE0EEEvT1_.uses_vcc, 0
	.set _ZN7rocprim17ROCPRIM_400000_NS6detail17trampoline_kernelINS0_14default_configENS1_25partition_config_selectorILNS1_17partition_subalgoE9EllbEEZZNS1_14partition_implILS5_9ELb0ES3_jPlS8_PNS0_10empty_typeENS0_5tupleIJS8_S9_EEENSB_IJS8_SA_EEENS0_18inequality_wrapperIZN2at6native12_GLOBAL__N_124unique_dim_cuda_templateIN3c104HalfEEESt5tupleIJNSF_6TensorESM_SM_EERKSM_lbbbEUlllE0_EEPmJS9_EEE10hipError_tPvRmT3_T4_T5_T6_T7_T9_mT8_P12ihipStream_tbDpT10_ENKUlT_T0_E_clISt17integral_constantIbLb1EES1C_EEDaS17_S18_EUlS17_E_NS1_11comp_targetILNS1_3genE3ELNS1_11target_archE908ELNS1_3gpuE7ELNS1_3repE0EEENS1_30default_config_static_selectorELNS0_4arch9wavefront6targetE0EEEvT1_.uses_flat_scratch, 0
	.set _ZN7rocprim17ROCPRIM_400000_NS6detail17trampoline_kernelINS0_14default_configENS1_25partition_config_selectorILNS1_17partition_subalgoE9EllbEEZZNS1_14partition_implILS5_9ELb0ES3_jPlS8_PNS0_10empty_typeENS0_5tupleIJS8_S9_EEENSB_IJS8_SA_EEENS0_18inequality_wrapperIZN2at6native12_GLOBAL__N_124unique_dim_cuda_templateIN3c104HalfEEESt5tupleIJNSF_6TensorESM_SM_EERKSM_lbbbEUlllE0_EEPmJS9_EEE10hipError_tPvRmT3_T4_T5_T6_T7_T9_mT8_P12ihipStream_tbDpT10_ENKUlT_T0_E_clISt17integral_constantIbLb1EES1C_EEDaS17_S18_EUlS17_E_NS1_11comp_targetILNS1_3genE3ELNS1_11target_archE908ELNS1_3gpuE7ELNS1_3repE0EEENS1_30default_config_static_selectorELNS0_4arch9wavefront6targetE0EEEvT1_.has_dyn_sized_stack, 0
	.set _ZN7rocprim17ROCPRIM_400000_NS6detail17trampoline_kernelINS0_14default_configENS1_25partition_config_selectorILNS1_17partition_subalgoE9EllbEEZZNS1_14partition_implILS5_9ELb0ES3_jPlS8_PNS0_10empty_typeENS0_5tupleIJS8_S9_EEENSB_IJS8_SA_EEENS0_18inequality_wrapperIZN2at6native12_GLOBAL__N_124unique_dim_cuda_templateIN3c104HalfEEESt5tupleIJNSF_6TensorESM_SM_EERKSM_lbbbEUlllE0_EEPmJS9_EEE10hipError_tPvRmT3_T4_T5_T6_T7_T9_mT8_P12ihipStream_tbDpT10_ENKUlT_T0_E_clISt17integral_constantIbLb1EES1C_EEDaS17_S18_EUlS17_E_NS1_11comp_targetILNS1_3genE3ELNS1_11target_archE908ELNS1_3gpuE7ELNS1_3repE0EEENS1_30default_config_static_selectorELNS0_4arch9wavefront6targetE0EEEvT1_.has_recursion, 0
	.set _ZN7rocprim17ROCPRIM_400000_NS6detail17trampoline_kernelINS0_14default_configENS1_25partition_config_selectorILNS1_17partition_subalgoE9EllbEEZZNS1_14partition_implILS5_9ELb0ES3_jPlS8_PNS0_10empty_typeENS0_5tupleIJS8_S9_EEENSB_IJS8_SA_EEENS0_18inequality_wrapperIZN2at6native12_GLOBAL__N_124unique_dim_cuda_templateIN3c104HalfEEESt5tupleIJNSF_6TensorESM_SM_EERKSM_lbbbEUlllE0_EEPmJS9_EEE10hipError_tPvRmT3_T4_T5_T6_T7_T9_mT8_P12ihipStream_tbDpT10_ENKUlT_T0_E_clISt17integral_constantIbLb1EES1C_EEDaS17_S18_EUlS17_E_NS1_11comp_targetILNS1_3genE3ELNS1_11target_archE908ELNS1_3gpuE7ELNS1_3repE0EEENS1_30default_config_static_selectorELNS0_4arch9wavefront6targetE0EEEvT1_.has_indirect_call, 0
	.section	.AMDGPU.csdata,"",@progbits
; Kernel info:
; codeLenInByte = 0
; TotalNumSgprs: 0
; NumVgprs: 0
; ScratchSize: 0
; MemoryBound: 0
; FloatMode: 240
; IeeeMode: 1
; LDSByteSize: 0 bytes/workgroup (compile time only)
; SGPRBlocks: 0
; VGPRBlocks: 0
; NumSGPRsForWavesPerEU: 1
; NumVGPRsForWavesPerEU: 1
; NamedBarCnt: 0
; Occupancy: 16
; WaveLimiterHint : 0
; COMPUTE_PGM_RSRC2:SCRATCH_EN: 0
; COMPUTE_PGM_RSRC2:USER_SGPR: 2
; COMPUTE_PGM_RSRC2:TRAP_HANDLER: 0
; COMPUTE_PGM_RSRC2:TGID_X_EN: 1
; COMPUTE_PGM_RSRC2:TGID_Y_EN: 0
; COMPUTE_PGM_RSRC2:TGID_Z_EN: 0
; COMPUTE_PGM_RSRC2:TIDIG_COMP_CNT: 0
	.section	.text._ZN7rocprim17ROCPRIM_400000_NS6detail17trampoline_kernelINS0_14default_configENS1_25partition_config_selectorILNS1_17partition_subalgoE9EllbEEZZNS1_14partition_implILS5_9ELb0ES3_jPlS8_PNS0_10empty_typeENS0_5tupleIJS8_S9_EEENSB_IJS8_SA_EEENS0_18inequality_wrapperIZN2at6native12_GLOBAL__N_124unique_dim_cuda_templateIN3c104HalfEEESt5tupleIJNSF_6TensorESM_SM_EERKSM_lbbbEUlllE0_EEPmJS9_EEE10hipError_tPvRmT3_T4_T5_T6_T7_T9_mT8_P12ihipStream_tbDpT10_ENKUlT_T0_E_clISt17integral_constantIbLb1EES1C_EEDaS17_S18_EUlS17_E_NS1_11comp_targetILNS1_3genE2ELNS1_11target_archE906ELNS1_3gpuE6ELNS1_3repE0EEENS1_30default_config_static_selectorELNS0_4arch9wavefront6targetE0EEEvT1_,"axG",@progbits,_ZN7rocprim17ROCPRIM_400000_NS6detail17trampoline_kernelINS0_14default_configENS1_25partition_config_selectorILNS1_17partition_subalgoE9EllbEEZZNS1_14partition_implILS5_9ELb0ES3_jPlS8_PNS0_10empty_typeENS0_5tupleIJS8_S9_EEENSB_IJS8_SA_EEENS0_18inequality_wrapperIZN2at6native12_GLOBAL__N_124unique_dim_cuda_templateIN3c104HalfEEESt5tupleIJNSF_6TensorESM_SM_EERKSM_lbbbEUlllE0_EEPmJS9_EEE10hipError_tPvRmT3_T4_T5_T6_T7_T9_mT8_P12ihipStream_tbDpT10_ENKUlT_T0_E_clISt17integral_constantIbLb1EES1C_EEDaS17_S18_EUlS17_E_NS1_11comp_targetILNS1_3genE2ELNS1_11target_archE906ELNS1_3gpuE6ELNS1_3repE0EEENS1_30default_config_static_selectorELNS0_4arch9wavefront6targetE0EEEvT1_,comdat
	.globl	_ZN7rocprim17ROCPRIM_400000_NS6detail17trampoline_kernelINS0_14default_configENS1_25partition_config_selectorILNS1_17partition_subalgoE9EllbEEZZNS1_14partition_implILS5_9ELb0ES3_jPlS8_PNS0_10empty_typeENS0_5tupleIJS8_S9_EEENSB_IJS8_SA_EEENS0_18inequality_wrapperIZN2at6native12_GLOBAL__N_124unique_dim_cuda_templateIN3c104HalfEEESt5tupleIJNSF_6TensorESM_SM_EERKSM_lbbbEUlllE0_EEPmJS9_EEE10hipError_tPvRmT3_T4_T5_T6_T7_T9_mT8_P12ihipStream_tbDpT10_ENKUlT_T0_E_clISt17integral_constantIbLb1EES1C_EEDaS17_S18_EUlS17_E_NS1_11comp_targetILNS1_3genE2ELNS1_11target_archE906ELNS1_3gpuE6ELNS1_3repE0EEENS1_30default_config_static_selectorELNS0_4arch9wavefront6targetE0EEEvT1_ ; -- Begin function _ZN7rocprim17ROCPRIM_400000_NS6detail17trampoline_kernelINS0_14default_configENS1_25partition_config_selectorILNS1_17partition_subalgoE9EllbEEZZNS1_14partition_implILS5_9ELb0ES3_jPlS8_PNS0_10empty_typeENS0_5tupleIJS8_S9_EEENSB_IJS8_SA_EEENS0_18inequality_wrapperIZN2at6native12_GLOBAL__N_124unique_dim_cuda_templateIN3c104HalfEEESt5tupleIJNSF_6TensorESM_SM_EERKSM_lbbbEUlllE0_EEPmJS9_EEE10hipError_tPvRmT3_T4_T5_T6_T7_T9_mT8_P12ihipStream_tbDpT10_ENKUlT_T0_E_clISt17integral_constantIbLb1EES1C_EEDaS17_S18_EUlS17_E_NS1_11comp_targetILNS1_3genE2ELNS1_11target_archE906ELNS1_3gpuE6ELNS1_3repE0EEENS1_30default_config_static_selectorELNS0_4arch9wavefront6targetE0EEEvT1_
	.p2align	8
	.type	_ZN7rocprim17ROCPRIM_400000_NS6detail17trampoline_kernelINS0_14default_configENS1_25partition_config_selectorILNS1_17partition_subalgoE9EllbEEZZNS1_14partition_implILS5_9ELb0ES3_jPlS8_PNS0_10empty_typeENS0_5tupleIJS8_S9_EEENSB_IJS8_SA_EEENS0_18inequality_wrapperIZN2at6native12_GLOBAL__N_124unique_dim_cuda_templateIN3c104HalfEEESt5tupleIJNSF_6TensorESM_SM_EERKSM_lbbbEUlllE0_EEPmJS9_EEE10hipError_tPvRmT3_T4_T5_T6_T7_T9_mT8_P12ihipStream_tbDpT10_ENKUlT_T0_E_clISt17integral_constantIbLb1EES1C_EEDaS17_S18_EUlS17_E_NS1_11comp_targetILNS1_3genE2ELNS1_11target_archE906ELNS1_3gpuE6ELNS1_3repE0EEENS1_30default_config_static_selectorELNS0_4arch9wavefront6targetE0EEEvT1_,@function
_ZN7rocprim17ROCPRIM_400000_NS6detail17trampoline_kernelINS0_14default_configENS1_25partition_config_selectorILNS1_17partition_subalgoE9EllbEEZZNS1_14partition_implILS5_9ELb0ES3_jPlS8_PNS0_10empty_typeENS0_5tupleIJS8_S9_EEENSB_IJS8_SA_EEENS0_18inequality_wrapperIZN2at6native12_GLOBAL__N_124unique_dim_cuda_templateIN3c104HalfEEESt5tupleIJNSF_6TensorESM_SM_EERKSM_lbbbEUlllE0_EEPmJS9_EEE10hipError_tPvRmT3_T4_T5_T6_T7_T9_mT8_P12ihipStream_tbDpT10_ENKUlT_T0_E_clISt17integral_constantIbLb1EES1C_EEDaS17_S18_EUlS17_E_NS1_11comp_targetILNS1_3genE2ELNS1_11target_archE906ELNS1_3gpuE6ELNS1_3repE0EEENS1_30default_config_static_selectorELNS0_4arch9wavefront6targetE0EEEvT1_: ; @_ZN7rocprim17ROCPRIM_400000_NS6detail17trampoline_kernelINS0_14default_configENS1_25partition_config_selectorILNS1_17partition_subalgoE9EllbEEZZNS1_14partition_implILS5_9ELb0ES3_jPlS8_PNS0_10empty_typeENS0_5tupleIJS8_S9_EEENSB_IJS8_SA_EEENS0_18inequality_wrapperIZN2at6native12_GLOBAL__N_124unique_dim_cuda_templateIN3c104HalfEEESt5tupleIJNSF_6TensorESM_SM_EERKSM_lbbbEUlllE0_EEPmJS9_EEE10hipError_tPvRmT3_T4_T5_T6_T7_T9_mT8_P12ihipStream_tbDpT10_ENKUlT_T0_E_clISt17integral_constantIbLb1EES1C_EEDaS17_S18_EUlS17_E_NS1_11comp_targetILNS1_3genE2ELNS1_11target_archE906ELNS1_3gpuE6ELNS1_3repE0EEENS1_30default_config_static_selectorELNS0_4arch9wavefront6targetE0EEEvT1_
; %bb.0:
	.section	.rodata,"a",@progbits
	.p2align	6, 0x0
	.amdhsa_kernel _ZN7rocprim17ROCPRIM_400000_NS6detail17trampoline_kernelINS0_14default_configENS1_25partition_config_selectorILNS1_17partition_subalgoE9EllbEEZZNS1_14partition_implILS5_9ELb0ES3_jPlS8_PNS0_10empty_typeENS0_5tupleIJS8_S9_EEENSB_IJS8_SA_EEENS0_18inequality_wrapperIZN2at6native12_GLOBAL__N_124unique_dim_cuda_templateIN3c104HalfEEESt5tupleIJNSF_6TensorESM_SM_EERKSM_lbbbEUlllE0_EEPmJS9_EEE10hipError_tPvRmT3_T4_T5_T6_T7_T9_mT8_P12ihipStream_tbDpT10_ENKUlT_T0_E_clISt17integral_constantIbLb1EES1C_EEDaS17_S18_EUlS17_E_NS1_11comp_targetILNS1_3genE2ELNS1_11target_archE906ELNS1_3gpuE6ELNS1_3repE0EEENS1_30default_config_static_selectorELNS0_4arch9wavefront6targetE0EEEvT1_
		.amdhsa_group_segment_fixed_size 0
		.amdhsa_private_segment_fixed_size 0
		.amdhsa_kernarg_size 136
		.amdhsa_user_sgpr_count 2
		.amdhsa_user_sgpr_dispatch_ptr 0
		.amdhsa_user_sgpr_queue_ptr 0
		.amdhsa_user_sgpr_kernarg_segment_ptr 1
		.amdhsa_user_sgpr_dispatch_id 0
		.amdhsa_user_sgpr_kernarg_preload_length 0
		.amdhsa_user_sgpr_kernarg_preload_offset 0
		.amdhsa_user_sgpr_private_segment_size 0
		.amdhsa_wavefront_size32 1
		.amdhsa_uses_dynamic_stack 0
		.amdhsa_enable_private_segment 0
		.amdhsa_system_sgpr_workgroup_id_x 1
		.amdhsa_system_sgpr_workgroup_id_y 0
		.amdhsa_system_sgpr_workgroup_id_z 0
		.amdhsa_system_sgpr_workgroup_info 0
		.amdhsa_system_vgpr_workitem_id 0
		.amdhsa_next_free_vgpr 1
		.amdhsa_next_free_sgpr 1
		.amdhsa_named_barrier_count 0
		.amdhsa_reserve_vcc 0
		.amdhsa_float_round_mode_32 0
		.amdhsa_float_round_mode_16_64 0
		.amdhsa_float_denorm_mode_32 3
		.amdhsa_float_denorm_mode_16_64 3
		.amdhsa_fp16_overflow 0
		.amdhsa_memory_ordered 1
		.amdhsa_forward_progress 1
		.amdhsa_inst_pref_size 0
		.amdhsa_round_robin_scheduling 0
		.amdhsa_exception_fp_ieee_invalid_op 0
		.amdhsa_exception_fp_denorm_src 0
		.amdhsa_exception_fp_ieee_div_zero 0
		.amdhsa_exception_fp_ieee_overflow 0
		.amdhsa_exception_fp_ieee_underflow 0
		.amdhsa_exception_fp_ieee_inexact 0
		.amdhsa_exception_int_div_zero 0
	.end_amdhsa_kernel
	.section	.text._ZN7rocprim17ROCPRIM_400000_NS6detail17trampoline_kernelINS0_14default_configENS1_25partition_config_selectorILNS1_17partition_subalgoE9EllbEEZZNS1_14partition_implILS5_9ELb0ES3_jPlS8_PNS0_10empty_typeENS0_5tupleIJS8_S9_EEENSB_IJS8_SA_EEENS0_18inequality_wrapperIZN2at6native12_GLOBAL__N_124unique_dim_cuda_templateIN3c104HalfEEESt5tupleIJNSF_6TensorESM_SM_EERKSM_lbbbEUlllE0_EEPmJS9_EEE10hipError_tPvRmT3_T4_T5_T6_T7_T9_mT8_P12ihipStream_tbDpT10_ENKUlT_T0_E_clISt17integral_constantIbLb1EES1C_EEDaS17_S18_EUlS17_E_NS1_11comp_targetILNS1_3genE2ELNS1_11target_archE906ELNS1_3gpuE6ELNS1_3repE0EEENS1_30default_config_static_selectorELNS0_4arch9wavefront6targetE0EEEvT1_,"axG",@progbits,_ZN7rocprim17ROCPRIM_400000_NS6detail17trampoline_kernelINS0_14default_configENS1_25partition_config_selectorILNS1_17partition_subalgoE9EllbEEZZNS1_14partition_implILS5_9ELb0ES3_jPlS8_PNS0_10empty_typeENS0_5tupleIJS8_S9_EEENSB_IJS8_SA_EEENS0_18inequality_wrapperIZN2at6native12_GLOBAL__N_124unique_dim_cuda_templateIN3c104HalfEEESt5tupleIJNSF_6TensorESM_SM_EERKSM_lbbbEUlllE0_EEPmJS9_EEE10hipError_tPvRmT3_T4_T5_T6_T7_T9_mT8_P12ihipStream_tbDpT10_ENKUlT_T0_E_clISt17integral_constantIbLb1EES1C_EEDaS17_S18_EUlS17_E_NS1_11comp_targetILNS1_3genE2ELNS1_11target_archE906ELNS1_3gpuE6ELNS1_3repE0EEENS1_30default_config_static_selectorELNS0_4arch9wavefront6targetE0EEEvT1_,comdat
.Lfunc_end1341:
	.size	_ZN7rocprim17ROCPRIM_400000_NS6detail17trampoline_kernelINS0_14default_configENS1_25partition_config_selectorILNS1_17partition_subalgoE9EllbEEZZNS1_14partition_implILS5_9ELb0ES3_jPlS8_PNS0_10empty_typeENS0_5tupleIJS8_S9_EEENSB_IJS8_SA_EEENS0_18inequality_wrapperIZN2at6native12_GLOBAL__N_124unique_dim_cuda_templateIN3c104HalfEEESt5tupleIJNSF_6TensorESM_SM_EERKSM_lbbbEUlllE0_EEPmJS9_EEE10hipError_tPvRmT3_T4_T5_T6_T7_T9_mT8_P12ihipStream_tbDpT10_ENKUlT_T0_E_clISt17integral_constantIbLb1EES1C_EEDaS17_S18_EUlS17_E_NS1_11comp_targetILNS1_3genE2ELNS1_11target_archE906ELNS1_3gpuE6ELNS1_3repE0EEENS1_30default_config_static_selectorELNS0_4arch9wavefront6targetE0EEEvT1_, .Lfunc_end1341-_ZN7rocprim17ROCPRIM_400000_NS6detail17trampoline_kernelINS0_14default_configENS1_25partition_config_selectorILNS1_17partition_subalgoE9EllbEEZZNS1_14partition_implILS5_9ELb0ES3_jPlS8_PNS0_10empty_typeENS0_5tupleIJS8_S9_EEENSB_IJS8_SA_EEENS0_18inequality_wrapperIZN2at6native12_GLOBAL__N_124unique_dim_cuda_templateIN3c104HalfEEESt5tupleIJNSF_6TensorESM_SM_EERKSM_lbbbEUlllE0_EEPmJS9_EEE10hipError_tPvRmT3_T4_T5_T6_T7_T9_mT8_P12ihipStream_tbDpT10_ENKUlT_T0_E_clISt17integral_constantIbLb1EES1C_EEDaS17_S18_EUlS17_E_NS1_11comp_targetILNS1_3genE2ELNS1_11target_archE906ELNS1_3gpuE6ELNS1_3repE0EEENS1_30default_config_static_selectorELNS0_4arch9wavefront6targetE0EEEvT1_
                                        ; -- End function
	.set _ZN7rocprim17ROCPRIM_400000_NS6detail17trampoline_kernelINS0_14default_configENS1_25partition_config_selectorILNS1_17partition_subalgoE9EllbEEZZNS1_14partition_implILS5_9ELb0ES3_jPlS8_PNS0_10empty_typeENS0_5tupleIJS8_S9_EEENSB_IJS8_SA_EEENS0_18inequality_wrapperIZN2at6native12_GLOBAL__N_124unique_dim_cuda_templateIN3c104HalfEEESt5tupleIJNSF_6TensorESM_SM_EERKSM_lbbbEUlllE0_EEPmJS9_EEE10hipError_tPvRmT3_T4_T5_T6_T7_T9_mT8_P12ihipStream_tbDpT10_ENKUlT_T0_E_clISt17integral_constantIbLb1EES1C_EEDaS17_S18_EUlS17_E_NS1_11comp_targetILNS1_3genE2ELNS1_11target_archE906ELNS1_3gpuE6ELNS1_3repE0EEENS1_30default_config_static_selectorELNS0_4arch9wavefront6targetE0EEEvT1_.num_vgpr, 0
	.set _ZN7rocprim17ROCPRIM_400000_NS6detail17trampoline_kernelINS0_14default_configENS1_25partition_config_selectorILNS1_17partition_subalgoE9EllbEEZZNS1_14partition_implILS5_9ELb0ES3_jPlS8_PNS0_10empty_typeENS0_5tupleIJS8_S9_EEENSB_IJS8_SA_EEENS0_18inequality_wrapperIZN2at6native12_GLOBAL__N_124unique_dim_cuda_templateIN3c104HalfEEESt5tupleIJNSF_6TensorESM_SM_EERKSM_lbbbEUlllE0_EEPmJS9_EEE10hipError_tPvRmT3_T4_T5_T6_T7_T9_mT8_P12ihipStream_tbDpT10_ENKUlT_T0_E_clISt17integral_constantIbLb1EES1C_EEDaS17_S18_EUlS17_E_NS1_11comp_targetILNS1_3genE2ELNS1_11target_archE906ELNS1_3gpuE6ELNS1_3repE0EEENS1_30default_config_static_selectorELNS0_4arch9wavefront6targetE0EEEvT1_.num_agpr, 0
	.set _ZN7rocprim17ROCPRIM_400000_NS6detail17trampoline_kernelINS0_14default_configENS1_25partition_config_selectorILNS1_17partition_subalgoE9EllbEEZZNS1_14partition_implILS5_9ELb0ES3_jPlS8_PNS0_10empty_typeENS0_5tupleIJS8_S9_EEENSB_IJS8_SA_EEENS0_18inequality_wrapperIZN2at6native12_GLOBAL__N_124unique_dim_cuda_templateIN3c104HalfEEESt5tupleIJNSF_6TensorESM_SM_EERKSM_lbbbEUlllE0_EEPmJS9_EEE10hipError_tPvRmT3_T4_T5_T6_T7_T9_mT8_P12ihipStream_tbDpT10_ENKUlT_T0_E_clISt17integral_constantIbLb1EES1C_EEDaS17_S18_EUlS17_E_NS1_11comp_targetILNS1_3genE2ELNS1_11target_archE906ELNS1_3gpuE6ELNS1_3repE0EEENS1_30default_config_static_selectorELNS0_4arch9wavefront6targetE0EEEvT1_.numbered_sgpr, 0
	.set _ZN7rocprim17ROCPRIM_400000_NS6detail17trampoline_kernelINS0_14default_configENS1_25partition_config_selectorILNS1_17partition_subalgoE9EllbEEZZNS1_14partition_implILS5_9ELb0ES3_jPlS8_PNS0_10empty_typeENS0_5tupleIJS8_S9_EEENSB_IJS8_SA_EEENS0_18inequality_wrapperIZN2at6native12_GLOBAL__N_124unique_dim_cuda_templateIN3c104HalfEEESt5tupleIJNSF_6TensorESM_SM_EERKSM_lbbbEUlllE0_EEPmJS9_EEE10hipError_tPvRmT3_T4_T5_T6_T7_T9_mT8_P12ihipStream_tbDpT10_ENKUlT_T0_E_clISt17integral_constantIbLb1EES1C_EEDaS17_S18_EUlS17_E_NS1_11comp_targetILNS1_3genE2ELNS1_11target_archE906ELNS1_3gpuE6ELNS1_3repE0EEENS1_30default_config_static_selectorELNS0_4arch9wavefront6targetE0EEEvT1_.num_named_barrier, 0
	.set _ZN7rocprim17ROCPRIM_400000_NS6detail17trampoline_kernelINS0_14default_configENS1_25partition_config_selectorILNS1_17partition_subalgoE9EllbEEZZNS1_14partition_implILS5_9ELb0ES3_jPlS8_PNS0_10empty_typeENS0_5tupleIJS8_S9_EEENSB_IJS8_SA_EEENS0_18inequality_wrapperIZN2at6native12_GLOBAL__N_124unique_dim_cuda_templateIN3c104HalfEEESt5tupleIJNSF_6TensorESM_SM_EERKSM_lbbbEUlllE0_EEPmJS9_EEE10hipError_tPvRmT3_T4_T5_T6_T7_T9_mT8_P12ihipStream_tbDpT10_ENKUlT_T0_E_clISt17integral_constantIbLb1EES1C_EEDaS17_S18_EUlS17_E_NS1_11comp_targetILNS1_3genE2ELNS1_11target_archE906ELNS1_3gpuE6ELNS1_3repE0EEENS1_30default_config_static_selectorELNS0_4arch9wavefront6targetE0EEEvT1_.private_seg_size, 0
	.set _ZN7rocprim17ROCPRIM_400000_NS6detail17trampoline_kernelINS0_14default_configENS1_25partition_config_selectorILNS1_17partition_subalgoE9EllbEEZZNS1_14partition_implILS5_9ELb0ES3_jPlS8_PNS0_10empty_typeENS0_5tupleIJS8_S9_EEENSB_IJS8_SA_EEENS0_18inequality_wrapperIZN2at6native12_GLOBAL__N_124unique_dim_cuda_templateIN3c104HalfEEESt5tupleIJNSF_6TensorESM_SM_EERKSM_lbbbEUlllE0_EEPmJS9_EEE10hipError_tPvRmT3_T4_T5_T6_T7_T9_mT8_P12ihipStream_tbDpT10_ENKUlT_T0_E_clISt17integral_constantIbLb1EES1C_EEDaS17_S18_EUlS17_E_NS1_11comp_targetILNS1_3genE2ELNS1_11target_archE906ELNS1_3gpuE6ELNS1_3repE0EEENS1_30default_config_static_selectorELNS0_4arch9wavefront6targetE0EEEvT1_.uses_vcc, 0
	.set _ZN7rocprim17ROCPRIM_400000_NS6detail17trampoline_kernelINS0_14default_configENS1_25partition_config_selectorILNS1_17partition_subalgoE9EllbEEZZNS1_14partition_implILS5_9ELb0ES3_jPlS8_PNS0_10empty_typeENS0_5tupleIJS8_S9_EEENSB_IJS8_SA_EEENS0_18inequality_wrapperIZN2at6native12_GLOBAL__N_124unique_dim_cuda_templateIN3c104HalfEEESt5tupleIJNSF_6TensorESM_SM_EERKSM_lbbbEUlllE0_EEPmJS9_EEE10hipError_tPvRmT3_T4_T5_T6_T7_T9_mT8_P12ihipStream_tbDpT10_ENKUlT_T0_E_clISt17integral_constantIbLb1EES1C_EEDaS17_S18_EUlS17_E_NS1_11comp_targetILNS1_3genE2ELNS1_11target_archE906ELNS1_3gpuE6ELNS1_3repE0EEENS1_30default_config_static_selectorELNS0_4arch9wavefront6targetE0EEEvT1_.uses_flat_scratch, 0
	.set _ZN7rocprim17ROCPRIM_400000_NS6detail17trampoline_kernelINS0_14default_configENS1_25partition_config_selectorILNS1_17partition_subalgoE9EllbEEZZNS1_14partition_implILS5_9ELb0ES3_jPlS8_PNS0_10empty_typeENS0_5tupleIJS8_S9_EEENSB_IJS8_SA_EEENS0_18inequality_wrapperIZN2at6native12_GLOBAL__N_124unique_dim_cuda_templateIN3c104HalfEEESt5tupleIJNSF_6TensorESM_SM_EERKSM_lbbbEUlllE0_EEPmJS9_EEE10hipError_tPvRmT3_T4_T5_T6_T7_T9_mT8_P12ihipStream_tbDpT10_ENKUlT_T0_E_clISt17integral_constantIbLb1EES1C_EEDaS17_S18_EUlS17_E_NS1_11comp_targetILNS1_3genE2ELNS1_11target_archE906ELNS1_3gpuE6ELNS1_3repE0EEENS1_30default_config_static_selectorELNS0_4arch9wavefront6targetE0EEEvT1_.has_dyn_sized_stack, 0
	.set _ZN7rocprim17ROCPRIM_400000_NS6detail17trampoline_kernelINS0_14default_configENS1_25partition_config_selectorILNS1_17partition_subalgoE9EllbEEZZNS1_14partition_implILS5_9ELb0ES3_jPlS8_PNS0_10empty_typeENS0_5tupleIJS8_S9_EEENSB_IJS8_SA_EEENS0_18inequality_wrapperIZN2at6native12_GLOBAL__N_124unique_dim_cuda_templateIN3c104HalfEEESt5tupleIJNSF_6TensorESM_SM_EERKSM_lbbbEUlllE0_EEPmJS9_EEE10hipError_tPvRmT3_T4_T5_T6_T7_T9_mT8_P12ihipStream_tbDpT10_ENKUlT_T0_E_clISt17integral_constantIbLb1EES1C_EEDaS17_S18_EUlS17_E_NS1_11comp_targetILNS1_3genE2ELNS1_11target_archE906ELNS1_3gpuE6ELNS1_3repE0EEENS1_30default_config_static_selectorELNS0_4arch9wavefront6targetE0EEEvT1_.has_recursion, 0
	.set _ZN7rocprim17ROCPRIM_400000_NS6detail17trampoline_kernelINS0_14default_configENS1_25partition_config_selectorILNS1_17partition_subalgoE9EllbEEZZNS1_14partition_implILS5_9ELb0ES3_jPlS8_PNS0_10empty_typeENS0_5tupleIJS8_S9_EEENSB_IJS8_SA_EEENS0_18inequality_wrapperIZN2at6native12_GLOBAL__N_124unique_dim_cuda_templateIN3c104HalfEEESt5tupleIJNSF_6TensorESM_SM_EERKSM_lbbbEUlllE0_EEPmJS9_EEE10hipError_tPvRmT3_T4_T5_T6_T7_T9_mT8_P12ihipStream_tbDpT10_ENKUlT_T0_E_clISt17integral_constantIbLb1EES1C_EEDaS17_S18_EUlS17_E_NS1_11comp_targetILNS1_3genE2ELNS1_11target_archE906ELNS1_3gpuE6ELNS1_3repE0EEENS1_30default_config_static_selectorELNS0_4arch9wavefront6targetE0EEEvT1_.has_indirect_call, 0
	.section	.AMDGPU.csdata,"",@progbits
; Kernel info:
; codeLenInByte = 0
; TotalNumSgprs: 0
; NumVgprs: 0
; ScratchSize: 0
; MemoryBound: 0
; FloatMode: 240
; IeeeMode: 1
; LDSByteSize: 0 bytes/workgroup (compile time only)
; SGPRBlocks: 0
; VGPRBlocks: 0
; NumSGPRsForWavesPerEU: 1
; NumVGPRsForWavesPerEU: 1
; NamedBarCnt: 0
; Occupancy: 16
; WaveLimiterHint : 0
; COMPUTE_PGM_RSRC2:SCRATCH_EN: 0
; COMPUTE_PGM_RSRC2:USER_SGPR: 2
; COMPUTE_PGM_RSRC2:TRAP_HANDLER: 0
; COMPUTE_PGM_RSRC2:TGID_X_EN: 1
; COMPUTE_PGM_RSRC2:TGID_Y_EN: 0
; COMPUTE_PGM_RSRC2:TGID_Z_EN: 0
; COMPUTE_PGM_RSRC2:TIDIG_COMP_CNT: 0
	.section	.text._ZN7rocprim17ROCPRIM_400000_NS6detail17trampoline_kernelINS0_14default_configENS1_25partition_config_selectorILNS1_17partition_subalgoE9EllbEEZZNS1_14partition_implILS5_9ELb0ES3_jPlS8_PNS0_10empty_typeENS0_5tupleIJS8_S9_EEENSB_IJS8_SA_EEENS0_18inequality_wrapperIZN2at6native12_GLOBAL__N_124unique_dim_cuda_templateIN3c104HalfEEESt5tupleIJNSF_6TensorESM_SM_EERKSM_lbbbEUlllE0_EEPmJS9_EEE10hipError_tPvRmT3_T4_T5_T6_T7_T9_mT8_P12ihipStream_tbDpT10_ENKUlT_T0_E_clISt17integral_constantIbLb1EES1C_EEDaS17_S18_EUlS17_E_NS1_11comp_targetILNS1_3genE10ELNS1_11target_archE1200ELNS1_3gpuE4ELNS1_3repE0EEENS1_30default_config_static_selectorELNS0_4arch9wavefront6targetE0EEEvT1_,"axG",@progbits,_ZN7rocprim17ROCPRIM_400000_NS6detail17trampoline_kernelINS0_14default_configENS1_25partition_config_selectorILNS1_17partition_subalgoE9EllbEEZZNS1_14partition_implILS5_9ELb0ES3_jPlS8_PNS0_10empty_typeENS0_5tupleIJS8_S9_EEENSB_IJS8_SA_EEENS0_18inequality_wrapperIZN2at6native12_GLOBAL__N_124unique_dim_cuda_templateIN3c104HalfEEESt5tupleIJNSF_6TensorESM_SM_EERKSM_lbbbEUlllE0_EEPmJS9_EEE10hipError_tPvRmT3_T4_T5_T6_T7_T9_mT8_P12ihipStream_tbDpT10_ENKUlT_T0_E_clISt17integral_constantIbLb1EES1C_EEDaS17_S18_EUlS17_E_NS1_11comp_targetILNS1_3genE10ELNS1_11target_archE1200ELNS1_3gpuE4ELNS1_3repE0EEENS1_30default_config_static_selectorELNS0_4arch9wavefront6targetE0EEEvT1_,comdat
	.globl	_ZN7rocprim17ROCPRIM_400000_NS6detail17trampoline_kernelINS0_14default_configENS1_25partition_config_selectorILNS1_17partition_subalgoE9EllbEEZZNS1_14partition_implILS5_9ELb0ES3_jPlS8_PNS0_10empty_typeENS0_5tupleIJS8_S9_EEENSB_IJS8_SA_EEENS0_18inequality_wrapperIZN2at6native12_GLOBAL__N_124unique_dim_cuda_templateIN3c104HalfEEESt5tupleIJNSF_6TensorESM_SM_EERKSM_lbbbEUlllE0_EEPmJS9_EEE10hipError_tPvRmT3_T4_T5_T6_T7_T9_mT8_P12ihipStream_tbDpT10_ENKUlT_T0_E_clISt17integral_constantIbLb1EES1C_EEDaS17_S18_EUlS17_E_NS1_11comp_targetILNS1_3genE10ELNS1_11target_archE1200ELNS1_3gpuE4ELNS1_3repE0EEENS1_30default_config_static_selectorELNS0_4arch9wavefront6targetE0EEEvT1_ ; -- Begin function _ZN7rocprim17ROCPRIM_400000_NS6detail17trampoline_kernelINS0_14default_configENS1_25partition_config_selectorILNS1_17partition_subalgoE9EllbEEZZNS1_14partition_implILS5_9ELb0ES3_jPlS8_PNS0_10empty_typeENS0_5tupleIJS8_S9_EEENSB_IJS8_SA_EEENS0_18inequality_wrapperIZN2at6native12_GLOBAL__N_124unique_dim_cuda_templateIN3c104HalfEEESt5tupleIJNSF_6TensorESM_SM_EERKSM_lbbbEUlllE0_EEPmJS9_EEE10hipError_tPvRmT3_T4_T5_T6_T7_T9_mT8_P12ihipStream_tbDpT10_ENKUlT_T0_E_clISt17integral_constantIbLb1EES1C_EEDaS17_S18_EUlS17_E_NS1_11comp_targetILNS1_3genE10ELNS1_11target_archE1200ELNS1_3gpuE4ELNS1_3repE0EEENS1_30default_config_static_selectorELNS0_4arch9wavefront6targetE0EEEvT1_
	.p2align	8
	.type	_ZN7rocprim17ROCPRIM_400000_NS6detail17trampoline_kernelINS0_14default_configENS1_25partition_config_selectorILNS1_17partition_subalgoE9EllbEEZZNS1_14partition_implILS5_9ELb0ES3_jPlS8_PNS0_10empty_typeENS0_5tupleIJS8_S9_EEENSB_IJS8_SA_EEENS0_18inequality_wrapperIZN2at6native12_GLOBAL__N_124unique_dim_cuda_templateIN3c104HalfEEESt5tupleIJNSF_6TensorESM_SM_EERKSM_lbbbEUlllE0_EEPmJS9_EEE10hipError_tPvRmT3_T4_T5_T6_T7_T9_mT8_P12ihipStream_tbDpT10_ENKUlT_T0_E_clISt17integral_constantIbLb1EES1C_EEDaS17_S18_EUlS17_E_NS1_11comp_targetILNS1_3genE10ELNS1_11target_archE1200ELNS1_3gpuE4ELNS1_3repE0EEENS1_30default_config_static_selectorELNS0_4arch9wavefront6targetE0EEEvT1_,@function
_ZN7rocprim17ROCPRIM_400000_NS6detail17trampoline_kernelINS0_14default_configENS1_25partition_config_selectorILNS1_17partition_subalgoE9EllbEEZZNS1_14partition_implILS5_9ELb0ES3_jPlS8_PNS0_10empty_typeENS0_5tupleIJS8_S9_EEENSB_IJS8_SA_EEENS0_18inequality_wrapperIZN2at6native12_GLOBAL__N_124unique_dim_cuda_templateIN3c104HalfEEESt5tupleIJNSF_6TensorESM_SM_EERKSM_lbbbEUlllE0_EEPmJS9_EEE10hipError_tPvRmT3_T4_T5_T6_T7_T9_mT8_P12ihipStream_tbDpT10_ENKUlT_T0_E_clISt17integral_constantIbLb1EES1C_EEDaS17_S18_EUlS17_E_NS1_11comp_targetILNS1_3genE10ELNS1_11target_archE1200ELNS1_3gpuE4ELNS1_3repE0EEENS1_30default_config_static_selectorELNS0_4arch9wavefront6targetE0EEEvT1_: ; @_ZN7rocprim17ROCPRIM_400000_NS6detail17trampoline_kernelINS0_14default_configENS1_25partition_config_selectorILNS1_17partition_subalgoE9EllbEEZZNS1_14partition_implILS5_9ELb0ES3_jPlS8_PNS0_10empty_typeENS0_5tupleIJS8_S9_EEENSB_IJS8_SA_EEENS0_18inequality_wrapperIZN2at6native12_GLOBAL__N_124unique_dim_cuda_templateIN3c104HalfEEESt5tupleIJNSF_6TensorESM_SM_EERKSM_lbbbEUlllE0_EEPmJS9_EEE10hipError_tPvRmT3_T4_T5_T6_T7_T9_mT8_P12ihipStream_tbDpT10_ENKUlT_T0_E_clISt17integral_constantIbLb1EES1C_EEDaS17_S18_EUlS17_E_NS1_11comp_targetILNS1_3genE10ELNS1_11target_archE1200ELNS1_3gpuE4ELNS1_3repE0EEENS1_30default_config_static_selectorELNS0_4arch9wavefront6targetE0EEEvT1_
; %bb.0:
	.section	.rodata,"a",@progbits
	.p2align	6, 0x0
	.amdhsa_kernel _ZN7rocprim17ROCPRIM_400000_NS6detail17trampoline_kernelINS0_14default_configENS1_25partition_config_selectorILNS1_17partition_subalgoE9EllbEEZZNS1_14partition_implILS5_9ELb0ES3_jPlS8_PNS0_10empty_typeENS0_5tupleIJS8_S9_EEENSB_IJS8_SA_EEENS0_18inequality_wrapperIZN2at6native12_GLOBAL__N_124unique_dim_cuda_templateIN3c104HalfEEESt5tupleIJNSF_6TensorESM_SM_EERKSM_lbbbEUlllE0_EEPmJS9_EEE10hipError_tPvRmT3_T4_T5_T6_T7_T9_mT8_P12ihipStream_tbDpT10_ENKUlT_T0_E_clISt17integral_constantIbLb1EES1C_EEDaS17_S18_EUlS17_E_NS1_11comp_targetILNS1_3genE10ELNS1_11target_archE1200ELNS1_3gpuE4ELNS1_3repE0EEENS1_30default_config_static_selectorELNS0_4arch9wavefront6targetE0EEEvT1_
		.amdhsa_group_segment_fixed_size 0
		.amdhsa_private_segment_fixed_size 0
		.amdhsa_kernarg_size 136
		.amdhsa_user_sgpr_count 2
		.amdhsa_user_sgpr_dispatch_ptr 0
		.amdhsa_user_sgpr_queue_ptr 0
		.amdhsa_user_sgpr_kernarg_segment_ptr 1
		.amdhsa_user_sgpr_dispatch_id 0
		.amdhsa_user_sgpr_kernarg_preload_length 0
		.amdhsa_user_sgpr_kernarg_preload_offset 0
		.amdhsa_user_sgpr_private_segment_size 0
		.amdhsa_wavefront_size32 1
		.amdhsa_uses_dynamic_stack 0
		.amdhsa_enable_private_segment 0
		.amdhsa_system_sgpr_workgroup_id_x 1
		.amdhsa_system_sgpr_workgroup_id_y 0
		.amdhsa_system_sgpr_workgroup_id_z 0
		.amdhsa_system_sgpr_workgroup_info 0
		.amdhsa_system_vgpr_workitem_id 0
		.amdhsa_next_free_vgpr 1
		.amdhsa_next_free_sgpr 1
		.amdhsa_named_barrier_count 0
		.amdhsa_reserve_vcc 0
		.amdhsa_float_round_mode_32 0
		.amdhsa_float_round_mode_16_64 0
		.amdhsa_float_denorm_mode_32 3
		.amdhsa_float_denorm_mode_16_64 3
		.amdhsa_fp16_overflow 0
		.amdhsa_memory_ordered 1
		.amdhsa_forward_progress 1
		.amdhsa_inst_pref_size 0
		.amdhsa_round_robin_scheduling 0
		.amdhsa_exception_fp_ieee_invalid_op 0
		.amdhsa_exception_fp_denorm_src 0
		.amdhsa_exception_fp_ieee_div_zero 0
		.amdhsa_exception_fp_ieee_overflow 0
		.amdhsa_exception_fp_ieee_underflow 0
		.amdhsa_exception_fp_ieee_inexact 0
		.amdhsa_exception_int_div_zero 0
	.end_amdhsa_kernel
	.section	.text._ZN7rocprim17ROCPRIM_400000_NS6detail17trampoline_kernelINS0_14default_configENS1_25partition_config_selectorILNS1_17partition_subalgoE9EllbEEZZNS1_14partition_implILS5_9ELb0ES3_jPlS8_PNS0_10empty_typeENS0_5tupleIJS8_S9_EEENSB_IJS8_SA_EEENS0_18inequality_wrapperIZN2at6native12_GLOBAL__N_124unique_dim_cuda_templateIN3c104HalfEEESt5tupleIJNSF_6TensorESM_SM_EERKSM_lbbbEUlllE0_EEPmJS9_EEE10hipError_tPvRmT3_T4_T5_T6_T7_T9_mT8_P12ihipStream_tbDpT10_ENKUlT_T0_E_clISt17integral_constantIbLb1EES1C_EEDaS17_S18_EUlS17_E_NS1_11comp_targetILNS1_3genE10ELNS1_11target_archE1200ELNS1_3gpuE4ELNS1_3repE0EEENS1_30default_config_static_selectorELNS0_4arch9wavefront6targetE0EEEvT1_,"axG",@progbits,_ZN7rocprim17ROCPRIM_400000_NS6detail17trampoline_kernelINS0_14default_configENS1_25partition_config_selectorILNS1_17partition_subalgoE9EllbEEZZNS1_14partition_implILS5_9ELb0ES3_jPlS8_PNS0_10empty_typeENS0_5tupleIJS8_S9_EEENSB_IJS8_SA_EEENS0_18inequality_wrapperIZN2at6native12_GLOBAL__N_124unique_dim_cuda_templateIN3c104HalfEEESt5tupleIJNSF_6TensorESM_SM_EERKSM_lbbbEUlllE0_EEPmJS9_EEE10hipError_tPvRmT3_T4_T5_T6_T7_T9_mT8_P12ihipStream_tbDpT10_ENKUlT_T0_E_clISt17integral_constantIbLb1EES1C_EEDaS17_S18_EUlS17_E_NS1_11comp_targetILNS1_3genE10ELNS1_11target_archE1200ELNS1_3gpuE4ELNS1_3repE0EEENS1_30default_config_static_selectorELNS0_4arch9wavefront6targetE0EEEvT1_,comdat
.Lfunc_end1342:
	.size	_ZN7rocprim17ROCPRIM_400000_NS6detail17trampoline_kernelINS0_14default_configENS1_25partition_config_selectorILNS1_17partition_subalgoE9EllbEEZZNS1_14partition_implILS5_9ELb0ES3_jPlS8_PNS0_10empty_typeENS0_5tupleIJS8_S9_EEENSB_IJS8_SA_EEENS0_18inequality_wrapperIZN2at6native12_GLOBAL__N_124unique_dim_cuda_templateIN3c104HalfEEESt5tupleIJNSF_6TensorESM_SM_EERKSM_lbbbEUlllE0_EEPmJS9_EEE10hipError_tPvRmT3_T4_T5_T6_T7_T9_mT8_P12ihipStream_tbDpT10_ENKUlT_T0_E_clISt17integral_constantIbLb1EES1C_EEDaS17_S18_EUlS17_E_NS1_11comp_targetILNS1_3genE10ELNS1_11target_archE1200ELNS1_3gpuE4ELNS1_3repE0EEENS1_30default_config_static_selectorELNS0_4arch9wavefront6targetE0EEEvT1_, .Lfunc_end1342-_ZN7rocprim17ROCPRIM_400000_NS6detail17trampoline_kernelINS0_14default_configENS1_25partition_config_selectorILNS1_17partition_subalgoE9EllbEEZZNS1_14partition_implILS5_9ELb0ES3_jPlS8_PNS0_10empty_typeENS0_5tupleIJS8_S9_EEENSB_IJS8_SA_EEENS0_18inequality_wrapperIZN2at6native12_GLOBAL__N_124unique_dim_cuda_templateIN3c104HalfEEESt5tupleIJNSF_6TensorESM_SM_EERKSM_lbbbEUlllE0_EEPmJS9_EEE10hipError_tPvRmT3_T4_T5_T6_T7_T9_mT8_P12ihipStream_tbDpT10_ENKUlT_T0_E_clISt17integral_constantIbLb1EES1C_EEDaS17_S18_EUlS17_E_NS1_11comp_targetILNS1_3genE10ELNS1_11target_archE1200ELNS1_3gpuE4ELNS1_3repE0EEENS1_30default_config_static_selectorELNS0_4arch9wavefront6targetE0EEEvT1_
                                        ; -- End function
	.set _ZN7rocprim17ROCPRIM_400000_NS6detail17trampoline_kernelINS0_14default_configENS1_25partition_config_selectorILNS1_17partition_subalgoE9EllbEEZZNS1_14partition_implILS5_9ELb0ES3_jPlS8_PNS0_10empty_typeENS0_5tupleIJS8_S9_EEENSB_IJS8_SA_EEENS0_18inequality_wrapperIZN2at6native12_GLOBAL__N_124unique_dim_cuda_templateIN3c104HalfEEESt5tupleIJNSF_6TensorESM_SM_EERKSM_lbbbEUlllE0_EEPmJS9_EEE10hipError_tPvRmT3_T4_T5_T6_T7_T9_mT8_P12ihipStream_tbDpT10_ENKUlT_T0_E_clISt17integral_constantIbLb1EES1C_EEDaS17_S18_EUlS17_E_NS1_11comp_targetILNS1_3genE10ELNS1_11target_archE1200ELNS1_3gpuE4ELNS1_3repE0EEENS1_30default_config_static_selectorELNS0_4arch9wavefront6targetE0EEEvT1_.num_vgpr, 0
	.set _ZN7rocprim17ROCPRIM_400000_NS6detail17trampoline_kernelINS0_14default_configENS1_25partition_config_selectorILNS1_17partition_subalgoE9EllbEEZZNS1_14partition_implILS5_9ELb0ES3_jPlS8_PNS0_10empty_typeENS0_5tupleIJS8_S9_EEENSB_IJS8_SA_EEENS0_18inequality_wrapperIZN2at6native12_GLOBAL__N_124unique_dim_cuda_templateIN3c104HalfEEESt5tupleIJNSF_6TensorESM_SM_EERKSM_lbbbEUlllE0_EEPmJS9_EEE10hipError_tPvRmT3_T4_T5_T6_T7_T9_mT8_P12ihipStream_tbDpT10_ENKUlT_T0_E_clISt17integral_constantIbLb1EES1C_EEDaS17_S18_EUlS17_E_NS1_11comp_targetILNS1_3genE10ELNS1_11target_archE1200ELNS1_3gpuE4ELNS1_3repE0EEENS1_30default_config_static_selectorELNS0_4arch9wavefront6targetE0EEEvT1_.num_agpr, 0
	.set _ZN7rocprim17ROCPRIM_400000_NS6detail17trampoline_kernelINS0_14default_configENS1_25partition_config_selectorILNS1_17partition_subalgoE9EllbEEZZNS1_14partition_implILS5_9ELb0ES3_jPlS8_PNS0_10empty_typeENS0_5tupleIJS8_S9_EEENSB_IJS8_SA_EEENS0_18inequality_wrapperIZN2at6native12_GLOBAL__N_124unique_dim_cuda_templateIN3c104HalfEEESt5tupleIJNSF_6TensorESM_SM_EERKSM_lbbbEUlllE0_EEPmJS9_EEE10hipError_tPvRmT3_T4_T5_T6_T7_T9_mT8_P12ihipStream_tbDpT10_ENKUlT_T0_E_clISt17integral_constantIbLb1EES1C_EEDaS17_S18_EUlS17_E_NS1_11comp_targetILNS1_3genE10ELNS1_11target_archE1200ELNS1_3gpuE4ELNS1_3repE0EEENS1_30default_config_static_selectorELNS0_4arch9wavefront6targetE0EEEvT1_.numbered_sgpr, 0
	.set _ZN7rocprim17ROCPRIM_400000_NS6detail17trampoline_kernelINS0_14default_configENS1_25partition_config_selectorILNS1_17partition_subalgoE9EllbEEZZNS1_14partition_implILS5_9ELb0ES3_jPlS8_PNS0_10empty_typeENS0_5tupleIJS8_S9_EEENSB_IJS8_SA_EEENS0_18inequality_wrapperIZN2at6native12_GLOBAL__N_124unique_dim_cuda_templateIN3c104HalfEEESt5tupleIJNSF_6TensorESM_SM_EERKSM_lbbbEUlllE0_EEPmJS9_EEE10hipError_tPvRmT3_T4_T5_T6_T7_T9_mT8_P12ihipStream_tbDpT10_ENKUlT_T0_E_clISt17integral_constantIbLb1EES1C_EEDaS17_S18_EUlS17_E_NS1_11comp_targetILNS1_3genE10ELNS1_11target_archE1200ELNS1_3gpuE4ELNS1_3repE0EEENS1_30default_config_static_selectorELNS0_4arch9wavefront6targetE0EEEvT1_.num_named_barrier, 0
	.set _ZN7rocprim17ROCPRIM_400000_NS6detail17trampoline_kernelINS0_14default_configENS1_25partition_config_selectorILNS1_17partition_subalgoE9EllbEEZZNS1_14partition_implILS5_9ELb0ES3_jPlS8_PNS0_10empty_typeENS0_5tupleIJS8_S9_EEENSB_IJS8_SA_EEENS0_18inequality_wrapperIZN2at6native12_GLOBAL__N_124unique_dim_cuda_templateIN3c104HalfEEESt5tupleIJNSF_6TensorESM_SM_EERKSM_lbbbEUlllE0_EEPmJS9_EEE10hipError_tPvRmT3_T4_T5_T6_T7_T9_mT8_P12ihipStream_tbDpT10_ENKUlT_T0_E_clISt17integral_constantIbLb1EES1C_EEDaS17_S18_EUlS17_E_NS1_11comp_targetILNS1_3genE10ELNS1_11target_archE1200ELNS1_3gpuE4ELNS1_3repE0EEENS1_30default_config_static_selectorELNS0_4arch9wavefront6targetE0EEEvT1_.private_seg_size, 0
	.set _ZN7rocprim17ROCPRIM_400000_NS6detail17trampoline_kernelINS0_14default_configENS1_25partition_config_selectorILNS1_17partition_subalgoE9EllbEEZZNS1_14partition_implILS5_9ELb0ES3_jPlS8_PNS0_10empty_typeENS0_5tupleIJS8_S9_EEENSB_IJS8_SA_EEENS0_18inequality_wrapperIZN2at6native12_GLOBAL__N_124unique_dim_cuda_templateIN3c104HalfEEESt5tupleIJNSF_6TensorESM_SM_EERKSM_lbbbEUlllE0_EEPmJS9_EEE10hipError_tPvRmT3_T4_T5_T6_T7_T9_mT8_P12ihipStream_tbDpT10_ENKUlT_T0_E_clISt17integral_constantIbLb1EES1C_EEDaS17_S18_EUlS17_E_NS1_11comp_targetILNS1_3genE10ELNS1_11target_archE1200ELNS1_3gpuE4ELNS1_3repE0EEENS1_30default_config_static_selectorELNS0_4arch9wavefront6targetE0EEEvT1_.uses_vcc, 0
	.set _ZN7rocprim17ROCPRIM_400000_NS6detail17trampoline_kernelINS0_14default_configENS1_25partition_config_selectorILNS1_17partition_subalgoE9EllbEEZZNS1_14partition_implILS5_9ELb0ES3_jPlS8_PNS0_10empty_typeENS0_5tupleIJS8_S9_EEENSB_IJS8_SA_EEENS0_18inequality_wrapperIZN2at6native12_GLOBAL__N_124unique_dim_cuda_templateIN3c104HalfEEESt5tupleIJNSF_6TensorESM_SM_EERKSM_lbbbEUlllE0_EEPmJS9_EEE10hipError_tPvRmT3_T4_T5_T6_T7_T9_mT8_P12ihipStream_tbDpT10_ENKUlT_T0_E_clISt17integral_constantIbLb1EES1C_EEDaS17_S18_EUlS17_E_NS1_11comp_targetILNS1_3genE10ELNS1_11target_archE1200ELNS1_3gpuE4ELNS1_3repE0EEENS1_30default_config_static_selectorELNS0_4arch9wavefront6targetE0EEEvT1_.uses_flat_scratch, 0
	.set _ZN7rocprim17ROCPRIM_400000_NS6detail17trampoline_kernelINS0_14default_configENS1_25partition_config_selectorILNS1_17partition_subalgoE9EllbEEZZNS1_14partition_implILS5_9ELb0ES3_jPlS8_PNS0_10empty_typeENS0_5tupleIJS8_S9_EEENSB_IJS8_SA_EEENS0_18inequality_wrapperIZN2at6native12_GLOBAL__N_124unique_dim_cuda_templateIN3c104HalfEEESt5tupleIJNSF_6TensorESM_SM_EERKSM_lbbbEUlllE0_EEPmJS9_EEE10hipError_tPvRmT3_T4_T5_T6_T7_T9_mT8_P12ihipStream_tbDpT10_ENKUlT_T0_E_clISt17integral_constantIbLb1EES1C_EEDaS17_S18_EUlS17_E_NS1_11comp_targetILNS1_3genE10ELNS1_11target_archE1200ELNS1_3gpuE4ELNS1_3repE0EEENS1_30default_config_static_selectorELNS0_4arch9wavefront6targetE0EEEvT1_.has_dyn_sized_stack, 0
	.set _ZN7rocprim17ROCPRIM_400000_NS6detail17trampoline_kernelINS0_14default_configENS1_25partition_config_selectorILNS1_17partition_subalgoE9EllbEEZZNS1_14partition_implILS5_9ELb0ES3_jPlS8_PNS0_10empty_typeENS0_5tupleIJS8_S9_EEENSB_IJS8_SA_EEENS0_18inequality_wrapperIZN2at6native12_GLOBAL__N_124unique_dim_cuda_templateIN3c104HalfEEESt5tupleIJNSF_6TensorESM_SM_EERKSM_lbbbEUlllE0_EEPmJS9_EEE10hipError_tPvRmT3_T4_T5_T6_T7_T9_mT8_P12ihipStream_tbDpT10_ENKUlT_T0_E_clISt17integral_constantIbLb1EES1C_EEDaS17_S18_EUlS17_E_NS1_11comp_targetILNS1_3genE10ELNS1_11target_archE1200ELNS1_3gpuE4ELNS1_3repE0EEENS1_30default_config_static_selectorELNS0_4arch9wavefront6targetE0EEEvT1_.has_recursion, 0
	.set _ZN7rocprim17ROCPRIM_400000_NS6detail17trampoline_kernelINS0_14default_configENS1_25partition_config_selectorILNS1_17partition_subalgoE9EllbEEZZNS1_14partition_implILS5_9ELb0ES3_jPlS8_PNS0_10empty_typeENS0_5tupleIJS8_S9_EEENSB_IJS8_SA_EEENS0_18inequality_wrapperIZN2at6native12_GLOBAL__N_124unique_dim_cuda_templateIN3c104HalfEEESt5tupleIJNSF_6TensorESM_SM_EERKSM_lbbbEUlllE0_EEPmJS9_EEE10hipError_tPvRmT3_T4_T5_T6_T7_T9_mT8_P12ihipStream_tbDpT10_ENKUlT_T0_E_clISt17integral_constantIbLb1EES1C_EEDaS17_S18_EUlS17_E_NS1_11comp_targetILNS1_3genE10ELNS1_11target_archE1200ELNS1_3gpuE4ELNS1_3repE0EEENS1_30default_config_static_selectorELNS0_4arch9wavefront6targetE0EEEvT1_.has_indirect_call, 0
	.section	.AMDGPU.csdata,"",@progbits
; Kernel info:
; codeLenInByte = 0
; TotalNumSgprs: 0
; NumVgprs: 0
; ScratchSize: 0
; MemoryBound: 0
; FloatMode: 240
; IeeeMode: 1
; LDSByteSize: 0 bytes/workgroup (compile time only)
; SGPRBlocks: 0
; VGPRBlocks: 0
; NumSGPRsForWavesPerEU: 1
; NumVGPRsForWavesPerEU: 1
; NamedBarCnt: 0
; Occupancy: 16
; WaveLimiterHint : 0
; COMPUTE_PGM_RSRC2:SCRATCH_EN: 0
; COMPUTE_PGM_RSRC2:USER_SGPR: 2
; COMPUTE_PGM_RSRC2:TRAP_HANDLER: 0
; COMPUTE_PGM_RSRC2:TGID_X_EN: 1
; COMPUTE_PGM_RSRC2:TGID_Y_EN: 0
; COMPUTE_PGM_RSRC2:TGID_Z_EN: 0
; COMPUTE_PGM_RSRC2:TIDIG_COMP_CNT: 0
	.section	.text._ZN7rocprim17ROCPRIM_400000_NS6detail17trampoline_kernelINS0_14default_configENS1_25partition_config_selectorILNS1_17partition_subalgoE9EllbEEZZNS1_14partition_implILS5_9ELb0ES3_jPlS8_PNS0_10empty_typeENS0_5tupleIJS8_S9_EEENSB_IJS8_SA_EEENS0_18inequality_wrapperIZN2at6native12_GLOBAL__N_124unique_dim_cuda_templateIN3c104HalfEEESt5tupleIJNSF_6TensorESM_SM_EERKSM_lbbbEUlllE0_EEPmJS9_EEE10hipError_tPvRmT3_T4_T5_T6_T7_T9_mT8_P12ihipStream_tbDpT10_ENKUlT_T0_E_clISt17integral_constantIbLb1EES1C_EEDaS17_S18_EUlS17_E_NS1_11comp_targetILNS1_3genE9ELNS1_11target_archE1100ELNS1_3gpuE3ELNS1_3repE0EEENS1_30default_config_static_selectorELNS0_4arch9wavefront6targetE0EEEvT1_,"axG",@progbits,_ZN7rocprim17ROCPRIM_400000_NS6detail17trampoline_kernelINS0_14default_configENS1_25partition_config_selectorILNS1_17partition_subalgoE9EllbEEZZNS1_14partition_implILS5_9ELb0ES3_jPlS8_PNS0_10empty_typeENS0_5tupleIJS8_S9_EEENSB_IJS8_SA_EEENS0_18inequality_wrapperIZN2at6native12_GLOBAL__N_124unique_dim_cuda_templateIN3c104HalfEEESt5tupleIJNSF_6TensorESM_SM_EERKSM_lbbbEUlllE0_EEPmJS9_EEE10hipError_tPvRmT3_T4_T5_T6_T7_T9_mT8_P12ihipStream_tbDpT10_ENKUlT_T0_E_clISt17integral_constantIbLb1EES1C_EEDaS17_S18_EUlS17_E_NS1_11comp_targetILNS1_3genE9ELNS1_11target_archE1100ELNS1_3gpuE3ELNS1_3repE0EEENS1_30default_config_static_selectorELNS0_4arch9wavefront6targetE0EEEvT1_,comdat
	.globl	_ZN7rocprim17ROCPRIM_400000_NS6detail17trampoline_kernelINS0_14default_configENS1_25partition_config_selectorILNS1_17partition_subalgoE9EllbEEZZNS1_14partition_implILS5_9ELb0ES3_jPlS8_PNS0_10empty_typeENS0_5tupleIJS8_S9_EEENSB_IJS8_SA_EEENS0_18inequality_wrapperIZN2at6native12_GLOBAL__N_124unique_dim_cuda_templateIN3c104HalfEEESt5tupleIJNSF_6TensorESM_SM_EERKSM_lbbbEUlllE0_EEPmJS9_EEE10hipError_tPvRmT3_T4_T5_T6_T7_T9_mT8_P12ihipStream_tbDpT10_ENKUlT_T0_E_clISt17integral_constantIbLb1EES1C_EEDaS17_S18_EUlS17_E_NS1_11comp_targetILNS1_3genE9ELNS1_11target_archE1100ELNS1_3gpuE3ELNS1_3repE0EEENS1_30default_config_static_selectorELNS0_4arch9wavefront6targetE0EEEvT1_ ; -- Begin function _ZN7rocprim17ROCPRIM_400000_NS6detail17trampoline_kernelINS0_14default_configENS1_25partition_config_selectorILNS1_17partition_subalgoE9EllbEEZZNS1_14partition_implILS5_9ELb0ES3_jPlS8_PNS0_10empty_typeENS0_5tupleIJS8_S9_EEENSB_IJS8_SA_EEENS0_18inequality_wrapperIZN2at6native12_GLOBAL__N_124unique_dim_cuda_templateIN3c104HalfEEESt5tupleIJNSF_6TensorESM_SM_EERKSM_lbbbEUlllE0_EEPmJS9_EEE10hipError_tPvRmT3_T4_T5_T6_T7_T9_mT8_P12ihipStream_tbDpT10_ENKUlT_T0_E_clISt17integral_constantIbLb1EES1C_EEDaS17_S18_EUlS17_E_NS1_11comp_targetILNS1_3genE9ELNS1_11target_archE1100ELNS1_3gpuE3ELNS1_3repE0EEENS1_30default_config_static_selectorELNS0_4arch9wavefront6targetE0EEEvT1_
	.p2align	8
	.type	_ZN7rocprim17ROCPRIM_400000_NS6detail17trampoline_kernelINS0_14default_configENS1_25partition_config_selectorILNS1_17partition_subalgoE9EllbEEZZNS1_14partition_implILS5_9ELb0ES3_jPlS8_PNS0_10empty_typeENS0_5tupleIJS8_S9_EEENSB_IJS8_SA_EEENS0_18inequality_wrapperIZN2at6native12_GLOBAL__N_124unique_dim_cuda_templateIN3c104HalfEEESt5tupleIJNSF_6TensorESM_SM_EERKSM_lbbbEUlllE0_EEPmJS9_EEE10hipError_tPvRmT3_T4_T5_T6_T7_T9_mT8_P12ihipStream_tbDpT10_ENKUlT_T0_E_clISt17integral_constantIbLb1EES1C_EEDaS17_S18_EUlS17_E_NS1_11comp_targetILNS1_3genE9ELNS1_11target_archE1100ELNS1_3gpuE3ELNS1_3repE0EEENS1_30default_config_static_selectorELNS0_4arch9wavefront6targetE0EEEvT1_,@function
_ZN7rocprim17ROCPRIM_400000_NS6detail17trampoline_kernelINS0_14default_configENS1_25partition_config_selectorILNS1_17partition_subalgoE9EllbEEZZNS1_14partition_implILS5_9ELb0ES3_jPlS8_PNS0_10empty_typeENS0_5tupleIJS8_S9_EEENSB_IJS8_SA_EEENS0_18inequality_wrapperIZN2at6native12_GLOBAL__N_124unique_dim_cuda_templateIN3c104HalfEEESt5tupleIJNSF_6TensorESM_SM_EERKSM_lbbbEUlllE0_EEPmJS9_EEE10hipError_tPvRmT3_T4_T5_T6_T7_T9_mT8_P12ihipStream_tbDpT10_ENKUlT_T0_E_clISt17integral_constantIbLb1EES1C_EEDaS17_S18_EUlS17_E_NS1_11comp_targetILNS1_3genE9ELNS1_11target_archE1100ELNS1_3gpuE3ELNS1_3repE0EEENS1_30default_config_static_selectorELNS0_4arch9wavefront6targetE0EEEvT1_: ; @_ZN7rocprim17ROCPRIM_400000_NS6detail17trampoline_kernelINS0_14default_configENS1_25partition_config_selectorILNS1_17partition_subalgoE9EllbEEZZNS1_14partition_implILS5_9ELb0ES3_jPlS8_PNS0_10empty_typeENS0_5tupleIJS8_S9_EEENSB_IJS8_SA_EEENS0_18inequality_wrapperIZN2at6native12_GLOBAL__N_124unique_dim_cuda_templateIN3c104HalfEEESt5tupleIJNSF_6TensorESM_SM_EERKSM_lbbbEUlllE0_EEPmJS9_EEE10hipError_tPvRmT3_T4_T5_T6_T7_T9_mT8_P12ihipStream_tbDpT10_ENKUlT_T0_E_clISt17integral_constantIbLb1EES1C_EEDaS17_S18_EUlS17_E_NS1_11comp_targetILNS1_3genE9ELNS1_11target_archE1100ELNS1_3gpuE3ELNS1_3repE0EEENS1_30default_config_static_selectorELNS0_4arch9wavefront6targetE0EEEvT1_
; %bb.0:
	.section	.rodata,"a",@progbits
	.p2align	6, 0x0
	.amdhsa_kernel _ZN7rocprim17ROCPRIM_400000_NS6detail17trampoline_kernelINS0_14default_configENS1_25partition_config_selectorILNS1_17partition_subalgoE9EllbEEZZNS1_14partition_implILS5_9ELb0ES3_jPlS8_PNS0_10empty_typeENS0_5tupleIJS8_S9_EEENSB_IJS8_SA_EEENS0_18inequality_wrapperIZN2at6native12_GLOBAL__N_124unique_dim_cuda_templateIN3c104HalfEEESt5tupleIJNSF_6TensorESM_SM_EERKSM_lbbbEUlllE0_EEPmJS9_EEE10hipError_tPvRmT3_T4_T5_T6_T7_T9_mT8_P12ihipStream_tbDpT10_ENKUlT_T0_E_clISt17integral_constantIbLb1EES1C_EEDaS17_S18_EUlS17_E_NS1_11comp_targetILNS1_3genE9ELNS1_11target_archE1100ELNS1_3gpuE3ELNS1_3repE0EEENS1_30default_config_static_selectorELNS0_4arch9wavefront6targetE0EEEvT1_
		.amdhsa_group_segment_fixed_size 0
		.amdhsa_private_segment_fixed_size 0
		.amdhsa_kernarg_size 136
		.amdhsa_user_sgpr_count 2
		.amdhsa_user_sgpr_dispatch_ptr 0
		.amdhsa_user_sgpr_queue_ptr 0
		.amdhsa_user_sgpr_kernarg_segment_ptr 1
		.amdhsa_user_sgpr_dispatch_id 0
		.amdhsa_user_sgpr_kernarg_preload_length 0
		.amdhsa_user_sgpr_kernarg_preload_offset 0
		.amdhsa_user_sgpr_private_segment_size 0
		.amdhsa_wavefront_size32 1
		.amdhsa_uses_dynamic_stack 0
		.amdhsa_enable_private_segment 0
		.amdhsa_system_sgpr_workgroup_id_x 1
		.amdhsa_system_sgpr_workgroup_id_y 0
		.amdhsa_system_sgpr_workgroup_id_z 0
		.amdhsa_system_sgpr_workgroup_info 0
		.amdhsa_system_vgpr_workitem_id 0
		.amdhsa_next_free_vgpr 1
		.amdhsa_next_free_sgpr 1
		.amdhsa_named_barrier_count 0
		.amdhsa_reserve_vcc 0
		.amdhsa_float_round_mode_32 0
		.amdhsa_float_round_mode_16_64 0
		.amdhsa_float_denorm_mode_32 3
		.amdhsa_float_denorm_mode_16_64 3
		.amdhsa_fp16_overflow 0
		.amdhsa_memory_ordered 1
		.amdhsa_forward_progress 1
		.amdhsa_inst_pref_size 0
		.amdhsa_round_robin_scheduling 0
		.amdhsa_exception_fp_ieee_invalid_op 0
		.amdhsa_exception_fp_denorm_src 0
		.amdhsa_exception_fp_ieee_div_zero 0
		.amdhsa_exception_fp_ieee_overflow 0
		.amdhsa_exception_fp_ieee_underflow 0
		.amdhsa_exception_fp_ieee_inexact 0
		.amdhsa_exception_int_div_zero 0
	.end_amdhsa_kernel
	.section	.text._ZN7rocprim17ROCPRIM_400000_NS6detail17trampoline_kernelINS0_14default_configENS1_25partition_config_selectorILNS1_17partition_subalgoE9EllbEEZZNS1_14partition_implILS5_9ELb0ES3_jPlS8_PNS0_10empty_typeENS0_5tupleIJS8_S9_EEENSB_IJS8_SA_EEENS0_18inequality_wrapperIZN2at6native12_GLOBAL__N_124unique_dim_cuda_templateIN3c104HalfEEESt5tupleIJNSF_6TensorESM_SM_EERKSM_lbbbEUlllE0_EEPmJS9_EEE10hipError_tPvRmT3_T4_T5_T6_T7_T9_mT8_P12ihipStream_tbDpT10_ENKUlT_T0_E_clISt17integral_constantIbLb1EES1C_EEDaS17_S18_EUlS17_E_NS1_11comp_targetILNS1_3genE9ELNS1_11target_archE1100ELNS1_3gpuE3ELNS1_3repE0EEENS1_30default_config_static_selectorELNS0_4arch9wavefront6targetE0EEEvT1_,"axG",@progbits,_ZN7rocprim17ROCPRIM_400000_NS6detail17trampoline_kernelINS0_14default_configENS1_25partition_config_selectorILNS1_17partition_subalgoE9EllbEEZZNS1_14partition_implILS5_9ELb0ES3_jPlS8_PNS0_10empty_typeENS0_5tupleIJS8_S9_EEENSB_IJS8_SA_EEENS0_18inequality_wrapperIZN2at6native12_GLOBAL__N_124unique_dim_cuda_templateIN3c104HalfEEESt5tupleIJNSF_6TensorESM_SM_EERKSM_lbbbEUlllE0_EEPmJS9_EEE10hipError_tPvRmT3_T4_T5_T6_T7_T9_mT8_P12ihipStream_tbDpT10_ENKUlT_T0_E_clISt17integral_constantIbLb1EES1C_EEDaS17_S18_EUlS17_E_NS1_11comp_targetILNS1_3genE9ELNS1_11target_archE1100ELNS1_3gpuE3ELNS1_3repE0EEENS1_30default_config_static_selectorELNS0_4arch9wavefront6targetE0EEEvT1_,comdat
.Lfunc_end1343:
	.size	_ZN7rocprim17ROCPRIM_400000_NS6detail17trampoline_kernelINS0_14default_configENS1_25partition_config_selectorILNS1_17partition_subalgoE9EllbEEZZNS1_14partition_implILS5_9ELb0ES3_jPlS8_PNS0_10empty_typeENS0_5tupleIJS8_S9_EEENSB_IJS8_SA_EEENS0_18inequality_wrapperIZN2at6native12_GLOBAL__N_124unique_dim_cuda_templateIN3c104HalfEEESt5tupleIJNSF_6TensorESM_SM_EERKSM_lbbbEUlllE0_EEPmJS9_EEE10hipError_tPvRmT3_T4_T5_T6_T7_T9_mT8_P12ihipStream_tbDpT10_ENKUlT_T0_E_clISt17integral_constantIbLb1EES1C_EEDaS17_S18_EUlS17_E_NS1_11comp_targetILNS1_3genE9ELNS1_11target_archE1100ELNS1_3gpuE3ELNS1_3repE0EEENS1_30default_config_static_selectorELNS0_4arch9wavefront6targetE0EEEvT1_, .Lfunc_end1343-_ZN7rocprim17ROCPRIM_400000_NS6detail17trampoline_kernelINS0_14default_configENS1_25partition_config_selectorILNS1_17partition_subalgoE9EllbEEZZNS1_14partition_implILS5_9ELb0ES3_jPlS8_PNS0_10empty_typeENS0_5tupleIJS8_S9_EEENSB_IJS8_SA_EEENS0_18inequality_wrapperIZN2at6native12_GLOBAL__N_124unique_dim_cuda_templateIN3c104HalfEEESt5tupleIJNSF_6TensorESM_SM_EERKSM_lbbbEUlllE0_EEPmJS9_EEE10hipError_tPvRmT3_T4_T5_T6_T7_T9_mT8_P12ihipStream_tbDpT10_ENKUlT_T0_E_clISt17integral_constantIbLb1EES1C_EEDaS17_S18_EUlS17_E_NS1_11comp_targetILNS1_3genE9ELNS1_11target_archE1100ELNS1_3gpuE3ELNS1_3repE0EEENS1_30default_config_static_selectorELNS0_4arch9wavefront6targetE0EEEvT1_
                                        ; -- End function
	.set _ZN7rocprim17ROCPRIM_400000_NS6detail17trampoline_kernelINS0_14default_configENS1_25partition_config_selectorILNS1_17partition_subalgoE9EllbEEZZNS1_14partition_implILS5_9ELb0ES3_jPlS8_PNS0_10empty_typeENS0_5tupleIJS8_S9_EEENSB_IJS8_SA_EEENS0_18inequality_wrapperIZN2at6native12_GLOBAL__N_124unique_dim_cuda_templateIN3c104HalfEEESt5tupleIJNSF_6TensorESM_SM_EERKSM_lbbbEUlllE0_EEPmJS9_EEE10hipError_tPvRmT3_T4_T5_T6_T7_T9_mT8_P12ihipStream_tbDpT10_ENKUlT_T0_E_clISt17integral_constantIbLb1EES1C_EEDaS17_S18_EUlS17_E_NS1_11comp_targetILNS1_3genE9ELNS1_11target_archE1100ELNS1_3gpuE3ELNS1_3repE0EEENS1_30default_config_static_selectorELNS0_4arch9wavefront6targetE0EEEvT1_.num_vgpr, 0
	.set _ZN7rocprim17ROCPRIM_400000_NS6detail17trampoline_kernelINS0_14default_configENS1_25partition_config_selectorILNS1_17partition_subalgoE9EllbEEZZNS1_14partition_implILS5_9ELb0ES3_jPlS8_PNS0_10empty_typeENS0_5tupleIJS8_S9_EEENSB_IJS8_SA_EEENS0_18inequality_wrapperIZN2at6native12_GLOBAL__N_124unique_dim_cuda_templateIN3c104HalfEEESt5tupleIJNSF_6TensorESM_SM_EERKSM_lbbbEUlllE0_EEPmJS9_EEE10hipError_tPvRmT3_T4_T5_T6_T7_T9_mT8_P12ihipStream_tbDpT10_ENKUlT_T0_E_clISt17integral_constantIbLb1EES1C_EEDaS17_S18_EUlS17_E_NS1_11comp_targetILNS1_3genE9ELNS1_11target_archE1100ELNS1_3gpuE3ELNS1_3repE0EEENS1_30default_config_static_selectorELNS0_4arch9wavefront6targetE0EEEvT1_.num_agpr, 0
	.set _ZN7rocprim17ROCPRIM_400000_NS6detail17trampoline_kernelINS0_14default_configENS1_25partition_config_selectorILNS1_17partition_subalgoE9EllbEEZZNS1_14partition_implILS5_9ELb0ES3_jPlS8_PNS0_10empty_typeENS0_5tupleIJS8_S9_EEENSB_IJS8_SA_EEENS0_18inequality_wrapperIZN2at6native12_GLOBAL__N_124unique_dim_cuda_templateIN3c104HalfEEESt5tupleIJNSF_6TensorESM_SM_EERKSM_lbbbEUlllE0_EEPmJS9_EEE10hipError_tPvRmT3_T4_T5_T6_T7_T9_mT8_P12ihipStream_tbDpT10_ENKUlT_T0_E_clISt17integral_constantIbLb1EES1C_EEDaS17_S18_EUlS17_E_NS1_11comp_targetILNS1_3genE9ELNS1_11target_archE1100ELNS1_3gpuE3ELNS1_3repE0EEENS1_30default_config_static_selectorELNS0_4arch9wavefront6targetE0EEEvT1_.numbered_sgpr, 0
	.set _ZN7rocprim17ROCPRIM_400000_NS6detail17trampoline_kernelINS0_14default_configENS1_25partition_config_selectorILNS1_17partition_subalgoE9EllbEEZZNS1_14partition_implILS5_9ELb0ES3_jPlS8_PNS0_10empty_typeENS0_5tupleIJS8_S9_EEENSB_IJS8_SA_EEENS0_18inequality_wrapperIZN2at6native12_GLOBAL__N_124unique_dim_cuda_templateIN3c104HalfEEESt5tupleIJNSF_6TensorESM_SM_EERKSM_lbbbEUlllE0_EEPmJS9_EEE10hipError_tPvRmT3_T4_T5_T6_T7_T9_mT8_P12ihipStream_tbDpT10_ENKUlT_T0_E_clISt17integral_constantIbLb1EES1C_EEDaS17_S18_EUlS17_E_NS1_11comp_targetILNS1_3genE9ELNS1_11target_archE1100ELNS1_3gpuE3ELNS1_3repE0EEENS1_30default_config_static_selectorELNS0_4arch9wavefront6targetE0EEEvT1_.num_named_barrier, 0
	.set _ZN7rocprim17ROCPRIM_400000_NS6detail17trampoline_kernelINS0_14default_configENS1_25partition_config_selectorILNS1_17partition_subalgoE9EllbEEZZNS1_14partition_implILS5_9ELb0ES3_jPlS8_PNS0_10empty_typeENS0_5tupleIJS8_S9_EEENSB_IJS8_SA_EEENS0_18inequality_wrapperIZN2at6native12_GLOBAL__N_124unique_dim_cuda_templateIN3c104HalfEEESt5tupleIJNSF_6TensorESM_SM_EERKSM_lbbbEUlllE0_EEPmJS9_EEE10hipError_tPvRmT3_T4_T5_T6_T7_T9_mT8_P12ihipStream_tbDpT10_ENKUlT_T0_E_clISt17integral_constantIbLb1EES1C_EEDaS17_S18_EUlS17_E_NS1_11comp_targetILNS1_3genE9ELNS1_11target_archE1100ELNS1_3gpuE3ELNS1_3repE0EEENS1_30default_config_static_selectorELNS0_4arch9wavefront6targetE0EEEvT1_.private_seg_size, 0
	.set _ZN7rocprim17ROCPRIM_400000_NS6detail17trampoline_kernelINS0_14default_configENS1_25partition_config_selectorILNS1_17partition_subalgoE9EllbEEZZNS1_14partition_implILS5_9ELb0ES3_jPlS8_PNS0_10empty_typeENS0_5tupleIJS8_S9_EEENSB_IJS8_SA_EEENS0_18inequality_wrapperIZN2at6native12_GLOBAL__N_124unique_dim_cuda_templateIN3c104HalfEEESt5tupleIJNSF_6TensorESM_SM_EERKSM_lbbbEUlllE0_EEPmJS9_EEE10hipError_tPvRmT3_T4_T5_T6_T7_T9_mT8_P12ihipStream_tbDpT10_ENKUlT_T0_E_clISt17integral_constantIbLb1EES1C_EEDaS17_S18_EUlS17_E_NS1_11comp_targetILNS1_3genE9ELNS1_11target_archE1100ELNS1_3gpuE3ELNS1_3repE0EEENS1_30default_config_static_selectorELNS0_4arch9wavefront6targetE0EEEvT1_.uses_vcc, 0
	.set _ZN7rocprim17ROCPRIM_400000_NS6detail17trampoline_kernelINS0_14default_configENS1_25partition_config_selectorILNS1_17partition_subalgoE9EllbEEZZNS1_14partition_implILS5_9ELb0ES3_jPlS8_PNS0_10empty_typeENS0_5tupleIJS8_S9_EEENSB_IJS8_SA_EEENS0_18inequality_wrapperIZN2at6native12_GLOBAL__N_124unique_dim_cuda_templateIN3c104HalfEEESt5tupleIJNSF_6TensorESM_SM_EERKSM_lbbbEUlllE0_EEPmJS9_EEE10hipError_tPvRmT3_T4_T5_T6_T7_T9_mT8_P12ihipStream_tbDpT10_ENKUlT_T0_E_clISt17integral_constantIbLb1EES1C_EEDaS17_S18_EUlS17_E_NS1_11comp_targetILNS1_3genE9ELNS1_11target_archE1100ELNS1_3gpuE3ELNS1_3repE0EEENS1_30default_config_static_selectorELNS0_4arch9wavefront6targetE0EEEvT1_.uses_flat_scratch, 0
	.set _ZN7rocprim17ROCPRIM_400000_NS6detail17trampoline_kernelINS0_14default_configENS1_25partition_config_selectorILNS1_17partition_subalgoE9EllbEEZZNS1_14partition_implILS5_9ELb0ES3_jPlS8_PNS0_10empty_typeENS0_5tupleIJS8_S9_EEENSB_IJS8_SA_EEENS0_18inequality_wrapperIZN2at6native12_GLOBAL__N_124unique_dim_cuda_templateIN3c104HalfEEESt5tupleIJNSF_6TensorESM_SM_EERKSM_lbbbEUlllE0_EEPmJS9_EEE10hipError_tPvRmT3_T4_T5_T6_T7_T9_mT8_P12ihipStream_tbDpT10_ENKUlT_T0_E_clISt17integral_constantIbLb1EES1C_EEDaS17_S18_EUlS17_E_NS1_11comp_targetILNS1_3genE9ELNS1_11target_archE1100ELNS1_3gpuE3ELNS1_3repE0EEENS1_30default_config_static_selectorELNS0_4arch9wavefront6targetE0EEEvT1_.has_dyn_sized_stack, 0
	.set _ZN7rocprim17ROCPRIM_400000_NS6detail17trampoline_kernelINS0_14default_configENS1_25partition_config_selectorILNS1_17partition_subalgoE9EllbEEZZNS1_14partition_implILS5_9ELb0ES3_jPlS8_PNS0_10empty_typeENS0_5tupleIJS8_S9_EEENSB_IJS8_SA_EEENS0_18inequality_wrapperIZN2at6native12_GLOBAL__N_124unique_dim_cuda_templateIN3c104HalfEEESt5tupleIJNSF_6TensorESM_SM_EERKSM_lbbbEUlllE0_EEPmJS9_EEE10hipError_tPvRmT3_T4_T5_T6_T7_T9_mT8_P12ihipStream_tbDpT10_ENKUlT_T0_E_clISt17integral_constantIbLb1EES1C_EEDaS17_S18_EUlS17_E_NS1_11comp_targetILNS1_3genE9ELNS1_11target_archE1100ELNS1_3gpuE3ELNS1_3repE0EEENS1_30default_config_static_selectorELNS0_4arch9wavefront6targetE0EEEvT1_.has_recursion, 0
	.set _ZN7rocprim17ROCPRIM_400000_NS6detail17trampoline_kernelINS0_14default_configENS1_25partition_config_selectorILNS1_17partition_subalgoE9EllbEEZZNS1_14partition_implILS5_9ELb0ES3_jPlS8_PNS0_10empty_typeENS0_5tupleIJS8_S9_EEENSB_IJS8_SA_EEENS0_18inequality_wrapperIZN2at6native12_GLOBAL__N_124unique_dim_cuda_templateIN3c104HalfEEESt5tupleIJNSF_6TensorESM_SM_EERKSM_lbbbEUlllE0_EEPmJS9_EEE10hipError_tPvRmT3_T4_T5_T6_T7_T9_mT8_P12ihipStream_tbDpT10_ENKUlT_T0_E_clISt17integral_constantIbLb1EES1C_EEDaS17_S18_EUlS17_E_NS1_11comp_targetILNS1_3genE9ELNS1_11target_archE1100ELNS1_3gpuE3ELNS1_3repE0EEENS1_30default_config_static_selectorELNS0_4arch9wavefront6targetE0EEEvT1_.has_indirect_call, 0
	.section	.AMDGPU.csdata,"",@progbits
; Kernel info:
; codeLenInByte = 0
; TotalNumSgprs: 0
; NumVgprs: 0
; ScratchSize: 0
; MemoryBound: 0
; FloatMode: 240
; IeeeMode: 1
; LDSByteSize: 0 bytes/workgroup (compile time only)
; SGPRBlocks: 0
; VGPRBlocks: 0
; NumSGPRsForWavesPerEU: 1
; NumVGPRsForWavesPerEU: 1
; NamedBarCnt: 0
; Occupancy: 16
; WaveLimiterHint : 0
; COMPUTE_PGM_RSRC2:SCRATCH_EN: 0
; COMPUTE_PGM_RSRC2:USER_SGPR: 2
; COMPUTE_PGM_RSRC2:TRAP_HANDLER: 0
; COMPUTE_PGM_RSRC2:TGID_X_EN: 1
; COMPUTE_PGM_RSRC2:TGID_Y_EN: 0
; COMPUTE_PGM_RSRC2:TGID_Z_EN: 0
; COMPUTE_PGM_RSRC2:TIDIG_COMP_CNT: 0
	.section	.text._ZN7rocprim17ROCPRIM_400000_NS6detail17trampoline_kernelINS0_14default_configENS1_25partition_config_selectorILNS1_17partition_subalgoE9EllbEEZZNS1_14partition_implILS5_9ELb0ES3_jPlS8_PNS0_10empty_typeENS0_5tupleIJS8_S9_EEENSB_IJS8_SA_EEENS0_18inequality_wrapperIZN2at6native12_GLOBAL__N_124unique_dim_cuda_templateIN3c104HalfEEESt5tupleIJNSF_6TensorESM_SM_EERKSM_lbbbEUlllE0_EEPmJS9_EEE10hipError_tPvRmT3_T4_T5_T6_T7_T9_mT8_P12ihipStream_tbDpT10_ENKUlT_T0_E_clISt17integral_constantIbLb1EES1C_EEDaS17_S18_EUlS17_E_NS1_11comp_targetILNS1_3genE8ELNS1_11target_archE1030ELNS1_3gpuE2ELNS1_3repE0EEENS1_30default_config_static_selectorELNS0_4arch9wavefront6targetE0EEEvT1_,"axG",@progbits,_ZN7rocprim17ROCPRIM_400000_NS6detail17trampoline_kernelINS0_14default_configENS1_25partition_config_selectorILNS1_17partition_subalgoE9EllbEEZZNS1_14partition_implILS5_9ELb0ES3_jPlS8_PNS0_10empty_typeENS0_5tupleIJS8_S9_EEENSB_IJS8_SA_EEENS0_18inequality_wrapperIZN2at6native12_GLOBAL__N_124unique_dim_cuda_templateIN3c104HalfEEESt5tupleIJNSF_6TensorESM_SM_EERKSM_lbbbEUlllE0_EEPmJS9_EEE10hipError_tPvRmT3_T4_T5_T6_T7_T9_mT8_P12ihipStream_tbDpT10_ENKUlT_T0_E_clISt17integral_constantIbLb1EES1C_EEDaS17_S18_EUlS17_E_NS1_11comp_targetILNS1_3genE8ELNS1_11target_archE1030ELNS1_3gpuE2ELNS1_3repE0EEENS1_30default_config_static_selectorELNS0_4arch9wavefront6targetE0EEEvT1_,comdat
	.globl	_ZN7rocprim17ROCPRIM_400000_NS6detail17trampoline_kernelINS0_14default_configENS1_25partition_config_selectorILNS1_17partition_subalgoE9EllbEEZZNS1_14partition_implILS5_9ELb0ES3_jPlS8_PNS0_10empty_typeENS0_5tupleIJS8_S9_EEENSB_IJS8_SA_EEENS0_18inequality_wrapperIZN2at6native12_GLOBAL__N_124unique_dim_cuda_templateIN3c104HalfEEESt5tupleIJNSF_6TensorESM_SM_EERKSM_lbbbEUlllE0_EEPmJS9_EEE10hipError_tPvRmT3_T4_T5_T6_T7_T9_mT8_P12ihipStream_tbDpT10_ENKUlT_T0_E_clISt17integral_constantIbLb1EES1C_EEDaS17_S18_EUlS17_E_NS1_11comp_targetILNS1_3genE8ELNS1_11target_archE1030ELNS1_3gpuE2ELNS1_3repE0EEENS1_30default_config_static_selectorELNS0_4arch9wavefront6targetE0EEEvT1_ ; -- Begin function _ZN7rocprim17ROCPRIM_400000_NS6detail17trampoline_kernelINS0_14default_configENS1_25partition_config_selectorILNS1_17partition_subalgoE9EllbEEZZNS1_14partition_implILS5_9ELb0ES3_jPlS8_PNS0_10empty_typeENS0_5tupleIJS8_S9_EEENSB_IJS8_SA_EEENS0_18inequality_wrapperIZN2at6native12_GLOBAL__N_124unique_dim_cuda_templateIN3c104HalfEEESt5tupleIJNSF_6TensorESM_SM_EERKSM_lbbbEUlllE0_EEPmJS9_EEE10hipError_tPvRmT3_T4_T5_T6_T7_T9_mT8_P12ihipStream_tbDpT10_ENKUlT_T0_E_clISt17integral_constantIbLb1EES1C_EEDaS17_S18_EUlS17_E_NS1_11comp_targetILNS1_3genE8ELNS1_11target_archE1030ELNS1_3gpuE2ELNS1_3repE0EEENS1_30default_config_static_selectorELNS0_4arch9wavefront6targetE0EEEvT1_
	.p2align	8
	.type	_ZN7rocprim17ROCPRIM_400000_NS6detail17trampoline_kernelINS0_14default_configENS1_25partition_config_selectorILNS1_17partition_subalgoE9EllbEEZZNS1_14partition_implILS5_9ELb0ES3_jPlS8_PNS0_10empty_typeENS0_5tupleIJS8_S9_EEENSB_IJS8_SA_EEENS0_18inequality_wrapperIZN2at6native12_GLOBAL__N_124unique_dim_cuda_templateIN3c104HalfEEESt5tupleIJNSF_6TensorESM_SM_EERKSM_lbbbEUlllE0_EEPmJS9_EEE10hipError_tPvRmT3_T4_T5_T6_T7_T9_mT8_P12ihipStream_tbDpT10_ENKUlT_T0_E_clISt17integral_constantIbLb1EES1C_EEDaS17_S18_EUlS17_E_NS1_11comp_targetILNS1_3genE8ELNS1_11target_archE1030ELNS1_3gpuE2ELNS1_3repE0EEENS1_30default_config_static_selectorELNS0_4arch9wavefront6targetE0EEEvT1_,@function
_ZN7rocprim17ROCPRIM_400000_NS6detail17trampoline_kernelINS0_14default_configENS1_25partition_config_selectorILNS1_17partition_subalgoE9EllbEEZZNS1_14partition_implILS5_9ELb0ES3_jPlS8_PNS0_10empty_typeENS0_5tupleIJS8_S9_EEENSB_IJS8_SA_EEENS0_18inequality_wrapperIZN2at6native12_GLOBAL__N_124unique_dim_cuda_templateIN3c104HalfEEESt5tupleIJNSF_6TensorESM_SM_EERKSM_lbbbEUlllE0_EEPmJS9_EEE10hipError_tPvRmT3_T4_T5_T6_T7_T9_mT8_P12ihipStream_tbDpT10_ENKUlT_T0_E_clISt17integral_constantIbLb1EES1C_EEDaS17_S18_EUlS17_E_NS1_11comp_targetILNS1_3genE8ELNS1_11target_archE1030ELNS1_3gpuE2ELNS1_3repE0EEENS1_30default_config_static_selectorELNS0_4arch9wavefront6targetE0EEEvT1_: ; @_ZN7rocprim17ROCPRIM_400000_NS6detail17trampoline_kernelINS0_14default_configENS1_25partition_config_selectorILNS1_17partition_subalgoE9EllbEEZZNS1_14partition_implILS5_9ELb0ES3_jPlS8_PNS0_10empty_typeENS0_5tupleIJS8_S9_EEENSB_IJS8_SA_EEENS0_18inequality_wrapperIZN2at6native12_GLOBAL__N_124unique_dim_cuda_templateIN3c104HalfEEESt5tupleIJNSF_6TensorESM_SM_EERKSM_lbbbEUlllE0_EEPmJS9_EEE10hipError_tPvRmT3_T4_T5_T6_T7_T9_mT8_P12ihipStream_tbDpT10_ENKUlT_T0_E_clISt17integral_constantIbLb1EES1C_EEDaS17_S18_EUlS17_E_NS1_11comp_targetILNS1_3genE8ELNS1_11target_archE1030ELNS1_3gpuE2ELNS1_3repE0EEENS1_30default_config_static_selectorELNS0_4arch9wavefront6targetE0EEEvT1_
; %bb.0:
	.section	.rodata,"a",@progbits
	.p2align	6, 0x0
	.amdhsa_kernel _ZN7rocprim17ROCPRIM_400000_NS6detail17trampoline_kernelINS0_14default_configENS1_25partition_config_selectorILNS1_17partition_subalgoE9EllbEEZZNS1_14partition_implILS5_9ELb0ES3_jPlS8_PNS0_10empty_typeENS0_5tupleIJS8_S9_EEENSB_IJS8_SA_EEENS0_18inequality_wrapperIZN2at6native12_GLOBAL__N_124unique_dim_cuda_templateIN3c104HalfEEESt5tupleIJNSF_6TensorESM_SM_EERKSM_lbbbEUlllE0_EEPmJS9_EEE10hipError_tPvRmT3_T4_T5_T6_T7_T9_mT8_P12ihipStream_tbDpT10_ENKUlT_T0_E_clISt17integral_constantIbLb1EES1C_EEDaS17_S18_EUlS17_E_NS1_11comp_targetILNS1_3genE8ELNS1_11target_archE1030ELNS1_3gpuE2ELNS1_3repE0EEENS1_30default_config_static_selectorELNS0_4arch9wavefront6targetE0EEEvT1_
		.amdhsa_group_segment_fixed_size 0
		.amdhsa_private_segment_fixed_size 0
		.amdhsa_kernarg_size 136
		.amdhsa_user_sgpr_count 2
		.amdhsa_user_sgpr_dispatch_ptr 0
		.amdhsa_user_sgpr_queue_ptr 0
		.amdhsa_user_sgpr_kernarg_segment_ptr 1
		.amdhsa_user_sgpr_dispatch_id 0
		.amdhsa_user_sgpr_kernarg_preload_length 0
		.amdhsa_user_sgpr_kernarg_preload_offset 0
		.amdhsa_user_sgpr_private_segment_size 0
		.amdhsa_wavefront_size32 1
		.amdhsa_uses_dynamic_stack 0
		.amdhsa_enable_private_segment 0
		.amdhsa_system_sgpr_workgroup_id_x 1
		.amdhsa_system_sgpr_workgroup_id_y 0
		.amdhsa_system_sgpr_workgroup_id_z 0
		.amdhsa_system_sgpr_workgroup_info 0
		.amdhsa_system_vgpr_workitem_id 0
		.amdhsa_next_free_vgpr 1
		.amdhsa_next_free_sgpr 1
		.amdhsa_named_barrier_count 0
		.amdhsa_reserve_vcc 0
		.amdhsa_float_round_mode_32 0
		.amdhsa_float_round_mode_16_64 0
		.amdhsa_float_denorm_mode_32 3
		.amdhsa_float_denorm_mode_16_64 3
		.amdhsa_fp16_overflow 0
		.amdhsa_memory_ordered 1
		.amdhsa_forward_progress 1
		.amdhsa_inst_pref_size 0
		.amdhsa_round_robin_scheduling 0
		.amdhsa_exception_fp_ieee_invalid_op 0
		.amdhsa_exception_fp_denorm_src 0
		.amdhsa_exception_fp_ieee_div_zero 0
		.amdhsa_exception_fp_ieee_overflow 0
		.amdhsa_exception_fp_ieee_underflow 0
		.amdhsa_exception_fp_ieee_inexact 0
		.amdhsa_exception_int_div_zero 0
	.end_amdhsa_kernel
	.section	.text._ZN7rocprim17ROCPRIM_400000_NS6detail17trampoline_kernelINS0_14default_configENS1_25partition_config_selectorILNS1_17partition_subalgoE9EllbEEZZNS1_14partition_implILS5_9ELb0ES3_jPlS8_PNS0_10empty_typeENS0_5tupleIJS8_S9_EEENSB_IJS8_SA_EEENS0_18inequality_wrapperIZN2at6native12_GLOBAL__N_124unique_dim_cuda_templateIN3c104HalfEEESt5tupleIJNSF_6TensorESM_SM_EERKSM_lbbbEUlllE0_EEPmJS9_EEE10hipError_tPvRmT3_T4_T5_T6_T7_T9_mT8_P12ihipStream_tbDpT10_ENKUlT_T0_E_clISt17integral_constantIbLb1EES1C_EEDaS17_S18_EUlS17_E_NS1_11comp_targetILNS1_3genE8ELNS1_11target_archE1030ELNS1_3gpuE2ELNS1_3repE0EEENS1_30default_config_static_selectorELNS0_4arch9wavefront6targetE0EEEvT1_,"axG",@progbits,_ZN7rocprim17ROCPRIM_400000_NS6detail17trampoline_kernelINS0_14default_configENS1_25partition_config_selectorILNS1_17partition_subalgoE9EllbEEZZNS1_14partition_implILS5_9ELb0ES3_jPlS8_PNS0_10empty_typeENS0_5tupleIJS8_S9_EEENSB_IJS8_SA_EEENS0_18inequality_wrapperIZN2at6native12_GLOBAL__N_124unique_dim_cuda_templateIN3c104HalfEEESt5tupleIJNSF_6TensorESM_SM_EERKSM_lbbbEUlllE0_EEPmJS9_EEE10hipError_tPvRmT3_T4_T5_T6_T7_T9_mT8_P12ihipStream_tbDpT10_ENKUlT_T0_E_clISt17integral_constantIbLb1EES1C_EEDaS17_S18_EUlS17_E_NS1_11comp_targetILNS1_3genE8ELNS1_11target_archE1030ELNS1_3gpuE2ELNS1_3repE0EEENS1_30default_config_static_selectorELNS0_4arch9wavefront6targetE0EEEvT1_,comdat
.Lfunc_end1344:
	.size	_ZN7rocprim17ROCPRIM_400000_NS6detail17trampoline_kernelINS0_14default_configENS1_25partition_config_selectorILNS1_17partition_subalgoE9EllbEEZZNS1_14partition_implILS5_9ELb0ES3_jPlS8_PNS0_10empty_typeENS0_5tupleIJS8_S9_EEENSB_IJS8_SA_EEENS0_18inequality_wrapperIZN2at6native12_GLOBAL__N_124unique_dim_cuda_templateIN3c104HalfEEESt5tupleIJNSF_6TensorESM_SM_EERKSM_lbbbEUlllE0_EEPmJS9_EEE10hipError_tPvRmT3_T4_T5_T6_T7_T9_mT8_P12ihipStream_tbDpT10_ENKUlT_T0_E_clISt17integral_constantIbLb1EES1C_EEDaS17_S18_EUlS17_E_NS1_11comp_targetILNS1_3genE8ELNS1_11target_archE1030ELNS1_3gpuE2ELNS1_3repE0EEENS1_30default_config_static_selectorELNS0_4arch9wavefront6targetE0EEEvT1_, .Lfunc_end1344-_ZN7rocprim17ROCPRIM_400000_NS6detail17trampoline_kernelINS0_14default_configENS1_25partition_config_selectorILNS1_17partition_subalgoE9EllbEEZZNS1_14partition_implILS5_9ELb0ES3_jPlS8_PNS0_10empty_typeENS0_5tupleIJS8_S9_EEENSB_IJS8_SA_EEENS0_18inequality_wrapperIZN2at6native12_GLOBAL__N_124unique_dim_cuda_templateIN3c104HalfEEESt5tupleIJNSF_6TensorESM_SM_EERKSM_lbbbEUlllE0_EEPmJS9_EEE10hipError_tPvRmT3_T4_T5_T6_T7_T9_mT8_P12ihipStream_tbDpT10_ENKUlT_T0_E_clISt17integral_constantIbLb1EES1C_EEDaS17_S18_EUlS17_E_NS1_11comp_targetILNS1_3genE8ELNS1_11target_archE1030ELNS1_3gpuE2ELNS1_3repE0EEENS1_30default_config_static_selectorELNS0_4arch9wavefront6targetE0EEEvT1_
                                        ; -- End function
	.set _ZN7rocprim17ROCPRIM_400000_NS6detail17trampoline_kernelINS0_14default_configENS1_25partition_config_selectorILNS1_17partition_subalgoE9EllbEEZZNS1_14partition_implILS5_9ELb0ES3_jPlS8_PNS0_10empty_typeENS0_5tupleIJS8_S9_EEENSB_IJS8_SA_EEENS0_18inequality_wrapperIZN2at6native12_GLOBAL__N_124unique_dim_cuda_templateIN3c104HalfEEESt5tupleIJNSF_6TensorESM_SM_EERKSM_lbbbEUlllE0_EEPmJS9_EEE10hipError_tPvRmT3_T4_T5_T6_T7_T9_mT8_P12ihipStream_tbDpT10_ENKUlT_T0_E_clISt17integral_constantIbLb1EES1C_EEDaS17_S18_EUlS17_E_NS1_11comp_targetILNS1_3genE8ELNS1_11target_archE1030ELNS1_3gpuE2ELNS1_3repE0EEENS1_30default_config_static_selectorELNS0_4arch9wavefront6targetE0EEEvT1_.num_vgpr, 0
	.set _ZN7rocprim17ROCPRIM_400000_NS6detail17trampoline_kernelINS0_14default_configENS1_25partition_config_selectorILNS1_17partition_subalgoE9EllbEEZZNS1_14partition_implILS5_9ELb0ES3_jPlS8_PNS0_10empty_typeENS0_5tupleIJS8_S9_EEENSB_IJS8_SA_EEENS0_18inequality_wrapperIZN2at6native12_GLOBAL__N_124unique_dim_cuda_templateIN3c104HalfEEESt5tupleIJNSF_6TensorESM_SM_EERKSM_lbbbEUlllE0_EEPmJS9_EEE10hipError_tPvRmT3_T4_T5_T6_T7_T9_mT8_P12ihipStream_tbDpT10_ENKUlT_T0_E_clISt17integral_constantIbLb1EES1C_EEDaS17_S18_EUlS17_E_NS1_11comp_targetILNS1_3genE8ELNS1_11target_archE1030ELNS1_3gpuE2ELNS1_3repE0EEENS1_30default_config_static_selectorELNS0_4arch9wavefront6targetE0EEEvT1_.num_agpr, 0
	.set _ZN7rocprim17ROCPRIM_400000_NS6detail17trampoline_kernelINS0_14default_configENS1_25partition_config_selectorILNS1_17partition_subalgoE9EllbEEZZNS1_14partition_implILS5_9ELb0ES3_jPlS8_PNS0_10empty_typeENS0_5tupleIJS8_S9_EEENSB_IJS8_SA_EEENS0_18inequality_wrapperIZN2at6native12_GLOBAL__N_124unique_dim_cuda_templateIN3c104HalfEEESt5tupleIJNSF_6TensorESM_SM_EERKSM_lbbbEUlllE0_EEPmJS9_EEE10hipError_tPvRmT3_T4_T5_T6_T7_T9_mT8_P12ihipStream_tbDpT10_ENKUlT_T0_E_clISt17integral_constantIbLb1EES1C_EEDaS17_S18_EUlS17_E_NS1_11comp_targetILNS1_3genE8ELNS1_11target_archE1030ELNS1_3gpuE2ELNS1_3repE0EEENS1_30default_config_static_selectorELNS0_4arch9wavefront6targetE0EEEvT1_.numbered_sgpr, 0
	.set _ZN7rocprim17ROCPRIM_400000_NS6detail17trampoline_kernelINS0_14default_configENS1_25partition_config_selectorILNS1_17partition_subalgoE9EllbEEZZNS1_14partition_implILS5_9ELb0ES3_jPlS8_PNS0_10empty_typeENS0_5tupleIJS8_S9_EEENSB_IJS8_SA_EEENS0_18inequality_wrapperIZN2at6native12_GLOBAL__N_124unique_dim_cuda_templateIN3c104HalfEEESt5tupleIJNSF_6TensorESM_SM_EERKSM_lbbbEUlllE0_EEPmJS9_EEE10hipError_tPvRmT3_T4_T5_T6_T7_T9_mT8_P12ihipStream_tbDpT10_ENKUlT_T0_E_clISt17integral_constantIbLb1EES1C_EEDaS17_S18_EUlS17_E_NS1_11comp_targetILNS1_3genE8ELNS1_11target_archE1030ELNS1_3gpuE2ELNS1_3repE0EEENS1_30default_config_static_selectorELNS0_4arch9wavefront6targetE0EEEvT1_.num_named_barrier, 0
	.set _ZN7rocprim17ROCPRIM_400000_NS6detail17trampoline_kernelINS0_14default_configENS1_25partition_config_selectorILNS1_17partition_subalgoE9EllbEEZZNS1_14partition_implILS5_9ELb0ES3_jPlS8_PNS0_10empty_typeENS0_5tupleIJS8_S9_EEENSB_IJS8_SA_EEENS0_18inequality_wrapperIZN2at6native12_GLOBAL__N_124unique_dim_cuda_templateIN3c104HalfEEESt5tupleIJNSF_6TensorESM_SM_EERKSM_lbbbEUlllE0_EEPmJS9_EEE10hipError_tPvRmT3_T4_T5_T6_T7_T9_mT8_P12ihipStream_tbDpT10_ENKUlT_T0_E_clISt17integral_constantIbLb1EES1C_EEDaS17_S18_EUlS17_E_NS1_11comp_targetILNS1_3genE8ELNS1_11target_archE1030ELNS1_3gpuE2ELNS1_3repE0EEENS1_30default_config_static_selectorELNS0_4arch9wavefront6targetE0EEEvT1_.private_seg_size, 0
	.set _ZN7rocprim17ROCPRIM_400000_NS6detail17trampoline_kernelINS0_14default_configENS1_25partition_config_selectorILNS1_17partition_subalgoE9EllbEEZZNS1_14partition_implILS5_9ELb0ES3_jPlS8_PNS0_10empty_typeENS0_5tupleIJS8_S9_EEENSB_IJS8_SA_EEENS0_18inequality_wrapperIZN2at6native12_GLOBAL__N_124unique_dim_cuda_templateIN3c104HalfEEESt5tupleIJNSF_6TensorESM_SM_EERKSM_lbbbEUlllE0_EEPmJS9_EEE10hipError_tPvRmT3_T4_T5_T6_T7_T9_mT8_P12ihipStream_tbDpT10_ENKUlT_T0_E_clISt17integral_constantIbLb1EES1C_EEDaS17_S18_EUlS17_E_NS1_11comp_targetILNS1_3genE8ELNS1_11target_archE1030ELNS1_3gpuE2ELNS1_3repE0EEENS1_30default_config_static_selectorELNS0_4arch9wavefront6targetE0EEEvT1_.uses_vcc, 0
	.set _ZN7rocprim17ROCPRIM_400000_NS6detail17trampoline_kernelINS0_14default_configENS1_25partition_config_selectorILNS1_17partition_subalgoE9EllbEEZZNS1_14partition_implILS5_9ELb0ES3_jPlS8_PNS0_10empty_typeENS0_5tupleIJS8_S9_EEENSB_IJS8_SA_EEENS0_18inequality_wrapperIZN2at6native12_GLOBAL__N_124unique_dim_cuda_templateIN3c104HalfEEESt5tupleIJNSF_6TensorESM_SM_EERKSM_lbbbEUlllE0_EEPmJS9_EEE10hipError_tPvRmT3_T4_T5_T6_T7_T9_mT8_P12ihipStream_tbDpT10_ENKUlT_T0_E_clISt17integral_constantIbLb1EES1C_EEDaS17_S18_EUlS17_E_NS1_11comp_targetILNS1_3genE8ELNS1_11target_archE1030ELNS1_3gpuE2ELNS1_3repE0EEENS1_30default_config_static_selectorELNS0_4arch9wavefront6targetE0EEEvT1_.uses_flat_scratch, 0
	.set _ZN7rocprim17ROCPRIM_400000_NS6detail17trampoline_kernelINS0_14default_configENS1_25partition_config_selectorILNS1_17partition_subalgoE9EllbEEZZNS1_14partition_implILS5_9ELb0ES3_jPlS8_PNS0_10empty_typeENS0_5tupleIJS8_S9_EEENSB_IJS8_SA_EEENS0_18inequality_wrapperIZN2at6native12_GLOBAL__N_124unique_dim_cuda_templateIN3c104HalfEEESt5tupleIJNSF_6TensorESM_SM_EERKSM_lbbbEUlllE0_EEPmJS9_EEE10hipError_tPvRmT3_T4_T5_T6_T7_T9_mT8_P12ihipStream_tbDpT10_ENKUlT_T0_E_clISt17integral_constantIbLb1EES1C_EEDaS17_S18_EUlS17_E_NS1_11comp_targetILNS1_3genE8ELNS1_11target_archE1030ELNS1_3gpuE2ELNS1_3repE0EEENS1_30default_config_static_selectorELNS0_4arch9wavefront6targetE0EEEvT1_.has_dyn_sized_stack, 0
	.set _ZN7rocprim17ROCPRIM_400000_NS6detail17trampoline_kernelINS0_14default_configENS1_25partition_config_selectorILNS1_17partition_subalgoE9EllbEEZZNS1_14partition_implILS5_9ELb0ES3_jPlS8_PNS0_10empty_typeENS0_5tupleIJS8_S9_EEENSB_IJS8_SA_EEENS0_18inequality_wrapperIZN2at6native12_GLOBAL__N_124unique_dim_cuda_templateIN3c104HalfEEESt5tupleIJNSF_6TensorESM_SM_EERKSM_lbbbEUlllE0_EEPmJS9_EEE10hipError_tPvRmT3_T4_T5_T6_T7_T9_mT8_P12ihipStream_tbDpT10_ENKUlT_T0_E_clISt17integral_constantIbLb1EES1C_EEDaS17_S18_EUlS17_E_NS1_11comp_targetILNS1_3genE8ELNS1_11target_archE1030ELNS1_3gpuE2ELNS1_3repE0EEENS1_30default_config_static_selectorELNS0_4arch9wavefront6targetE0EEEvT1_.has_recursion, 0
	.set _ZN7rocprim17ROCPRIM_400000_NS6detail17trampoline_kernelINS0_14default_configENS1_25partition_config_selectorILNS1_17partition_subalgoE9EllbEEZZNS1_14partition_implILS5_9ELb0ES3_jPlS8_PNS0_10empty_typeENS0_5tupleIJS8_S9_EEENSB_IJS8_SA_EEENS0_18inequality_wrapperIZN2at6native12_GLOBAL__N_124unique_dim_cuda_templateIN3c104HalfEEESt5tupleIJNSF_6TensorESM_SM_EERKSM_lbbbEUlllE0_EEPmJS9_EEE10hipError_tPvRmT3_T4_T5_T6_T7_T9_mT8_P12ihipStream_tbDpT10_ENKUlT_T0_E_clISt17integral_constantIbLb1EES1C_EEDaS17_S18_EUlS17_E_NS1_11comp_targetILNS1_3genE8ELNS1_11target_archE1030ELNS1_3gpuE2ELNS1_3repE0EEENS1_30default_config_static_selectorELNS0_4arch9wavefront6targetE0EEEvT1_.has_indirect_call, 0
	.section	.AMDGPU.csdata,"",@progbits
; Kernel info:
; codeLenInByte = 0
; TotalNumSgprs: 0
; NumVgprs: 0
; ScratchSize: 0
; MemoryBound: 0
; FloatMode: 240
; IeeeMode: 1
; LDSByteSize: 0 bytes/workgroup (compile time only)
; SGPRBlocks: 0
; VGPRBlocks: 0
; NumSGPRsForWavesPerEU: 1
; NumVGPRsForWavesPerEU: 1
; NamedBarCnt: 0
; Occupancy: 16
; WaveLimiterHint : 0
; COMPUTE_PGM_RSRC2:SCRATCH_EN: 0
; COMPUTE_PGM_RSRC2:USER_SGPR: 2
; COMPUTE_PGM_RSRC2:TRAP_HANDLER: 0
; COMPUTE_PGM_RSRC2:TGID_X_EN: 1
; COMPUTE_PGM_RSRC2:TGID_Y_EN: 0
; COMPUTE_PGM_RSRC2:TGID_Z_EN: 0
; COMPUTE_PGM_RSRC2:TIDIG_COMP_CNT: 0
	.section	.text._ZN7rocprim17ROCPRIM_400000_NS6detail17trampoline_kernelINS0_14default_configENS1_25partition_config_selectorILNS1_17partition_subalgoE9EllbEEZZNS1_14partition_implILS5_9ELb0ES3_jPlS8_PNS0_10empty_typeENS0_5tupleIJS8_S9_EEENSB_IJS8_SA_EEENS0_18inequality_wrapperIZN2at6native12_GLOBAL__N_124unique_dim_cuda_templateIN3c104HalfEEESt5tupleIJNSF_6TensorESM_SM_EERKSM_lbbbEUlllE0_EEPmJS9_EEE10hipError_tPvRmT3_T4_T5_T6_T7_T9_mT8_P12ihipStream_tbDpT10_ENKUlT_T0_E_clISt17integral_constantIbLb1EES1B_IbLb0EEEEDaS17_S18_EUlS17_E_NS1_11comp_targetILNS1_3genE0ELNS1_11target_archE4294967295ELNS1_3gpuE0ELNS1_3repE0EEENS1_30default_config_static_selectorELNS0_4arch9wavefront6targetE0EEEvT1_,"axG",@progbits,_ZN7rocprim17ROCPRIM_400000_NS6detail17trampoline_kernelINS0_14default_configENS1_25partition_config_selectorILNS1_17partition_subalgoE9EllbEEZZNS1_14partition_implILS5_9ELb0ES3_jPlS8_PNS0_10empty_typeENS0_5tupleIJS8_S9_EEENSB_IJS8_SA_EEENS0_18inequality_wrapperIZN2at6native12_GLOBAL__N_124unique_dim_cuda_templateIN3c104HalfEEESt5tupleIJNSF_6TensorESM_SM_EERKSM_lbbbEUlllE0_EEPmJS9_EEE10hipError_tPvRmT3_T4_T5_T6_T7_T9_mT8_P12ihipStream_tbDpT10_ENKUlT_T0_E_clISt17integral_constantIbLb1EES1B_IbLb0EEEEDaS17_S18_EUlS17_E_NS1_11comp_targetILNS1_3genE0ELNS1_11target_archE4294967295ELNS1_3gpuE0ELNS1_3repE0EEENS1_30default_config_static_selectorELNS0_4arch9wavefront6targetE0EEEvT1_,comdat
	.globl	_ZN7rocprim17ROCPRIM_400000_NS6detail17trampoline_kernelINS0_14default_configENS1_25partition_config_selectorILNS1_17partition_subalgoE9EllbEEZZNS1_14partition_implILS5_9ELb0ES3_jPlS8_PNS0_10empty_typeENS0_5tupleIJS8_S9_EEENSB_IJS8_SA_EEENS0_18inequality_wrapperIZN2at6native12_GLOBAL__N_124unique_dim_cuda_templateIN3c104HalfEEESt5tupleIJNSF_6TensorESM_SM_EERKSM_lbbbEUlllE0_EEPmJS9_EEE10hipError_tPvRmT3_T4_T5_T6_T7_T9_mT8_P12ihipStream_tbDpT10_ENKUlT_T0_E_clISt17integral_constantIbLb1EES1B_IbLb0EEEEDaS17_S18_EUlS17_E_NS1_11comp_targetILNS1_3genE0ELNS1_11target_archE4294967295ELNS1_3gpuE0ELNS1_3repE0EEENS1_30default_config_static_selectorELNS0_4arch9wavefront6targetE0EEEvT1_ ; -- Begin function _ZN7rocprim17ROCPRIM_400000_NS6detail17trampoline_kernelINS0_14default_configENS1_25partition_config_selectorILNS1_17partition_subalgoE9EllbEEZZNS1_14partition_implILS5_9ELb0ES3_jPlS8_PNS0_10empty_typeENS0_5tupleIJS8_S9_EEENSB_IJS8_SA_EEENS0_18inequality_wrapperIZN2at6native12_GLOBAL__N_124unique_dim_cuda_templateIN3c104HalfEEESt5tupleIJNSF_6TensorESM_SM_EERKSM_lbbbEUlllE0_EEPmJS9_EEE10hipError_tPvRmT3_T4_T5_T6_T7_T9_mT8_P12ihipStream_tbDpT10_ENKUlT_T0_E_clISt17integral_constantIbLb1EES1B_IbLb0EEEEDaS17_S18_EUlS17_E_NS1_11comp_targetILNS1_3genE0ELNS1_11target_archE4294967295ELNS1_3gpuE0ELNS1_3repE0EEENS1_30default_config_static_selectorELNS0_4arch9wavefront6targetE0EEEvT1_
	.p2align	8
	.type	_ZN7rocprim17ROCPRIM_400000_NS6detail17trampoline_kernelINS0_14default_configENS1_25partition_config_selectorILNS1_17partition_subalgoE9EllbEEZZNS1_14partition_implILS5_9ELb0ES3_jPlS8_PNS0_10empty_typeENS0_5tupleIJS8_S9_EEENSB_IJS8_SA_EEENS0_18inequality_wrapperIZN2at6native12_GLOBAL__N_124unique_dim_cuda_templateIN3c104HalfEEESt5tupleIJNSF_6TensorESM_SM_EERKSM_lbbbEUlllE0_EEPmJS9_EEE10hipError_tPvRmT3_T4_T5_T6_T7_T9_mT8_P12ihipStream_tbDpT10_ENKUlT_T0_E_clISt17integral_constantIbLb1EES1B_IbLb0EEEEDaS17_S18_EUlS17_E_NS1_11comp_targetILNS1_3genE0ELNS1_11target_archE4294967295ELNS1_3gpuE0ELNS1_3repE0EEENS1_30default_config_static_selectorELNS0_4arch9wavefront6targetE0EEEvT1_,@function
_ZN7rocprim17ROCPRIM_400000_NS6detail17trampoline_kernelINS0_14default_configENS1_25partition_config_selectorILNS1_17partition_subalgoE9EllbEEZZNS1_14partition_implILS5_9ELb0ES3_jPlS8_PNS0_10empty_typeENS0_5tupleIJS8_S9_EEENSB_IJS8_SA_EEENS0_18inequality_wrapperIZN2at6native12_GLOBAL__N_124unique_dim_cuda_templateIN3c104HalfEEESt5tupleIJNSF_6TensorESM_SM_EERKSM_lbbbEUlllE0_EEPmJS9_EEE10hipError_tPvRmT3_T4_T5_T6_T7_T9_mT8_P12ihipStream_tbDpT10_ENKUlT_T0_E_clISt17integral_constantIbLb1EES1B_IbLb0EEEEDaS17_S18_EUlS17_E_NS1_11comp_targetILNS1_3genE0ELNS1_11target_archE4294967295ELNS1_3gpuE0ELNS1_3repE0EEENS1_30default_config_static_selectorELNS0_4arch9wavefront6targetE0EEEvT1_: ; @_ZN7rocprim17ROCPRIM_400000_NS6detail17trampoline_kernelINS0_14default_configENS1_25partition_config_selectorILNS1_17partition_subalgoE9EllbEEZZNS1_14partition_implILS5_9ELb0ES3_jPlS8_PNS0_10empty_typeENS0_5tupleIJS8_S9_EEENSB_IJS8_SA_EEENS0_18inequality_wrapperIZN2at6native12_GLOBAL__N_124unique_dim_cuda_templateIN3c104HalfEEESt5tupleIJNSF_6TensorESM_SM_EERKSM_lbbbEUlllE0_EEPmJS9_EEE10hipError_tPvRmT3_T4_T5_T6_T7_T9_mT8_P12ihipStream_tbDpT10_ENKUlT_T0_E_clISt17integral_constantIbLb1EES1B_IbLb0EEEEDaS17_S18_EUlS17_E_NS1_11comp_targetILNS1_3genE0ELNS1_11target_archE4294967295ELNS1_3gpuE0ELNS1_3repE0EEENS1_30default_config_static_selectorELNS0_4arch9wavefront6targetE0EEEvT1_
; %bb.0:
	s_endpgm
	.section	.rodata,"a",@progbits
	.p2align	6, 0x0
	.amdhsa_kernel _ZN7rocprim17ROCPRIM_400000_NS6detail17trampoline_kernelINS0_14default_configENS1_25partition_config_selectorILNS1_17partition_subalgoE9EllbEEZZNS1_14partition_implILS5_9ELb0ES3_jPlS8_PNS0_10empty_typeENS0_5tupleIJS8_S9_EEENSB_IJS8_SA_EEENS0_18inequality_wrapperIZN2at6native12_GLOBAL__N_124unique_dim_cuda_templateIN3c104HalfEEESt5tupleIJNSF_6TensorESM_SM_EERKSM_lbbbEUlllE0_EEPmJS9_EEE10hipError_tPvRmT3_T4_T5_T6_T7_T9_mT8_P12ihipStream_tbDpT10_ENKUlT_T0_E_clISt17integral_constantIbLb1EES1B_IbLb0EEEEDaS17_S18_EUlS17_E_NS1_11comp_targetILNS1_3genE0ELNS1_11target_archE4294967295ELNS1_3gpuE0ELNS1_3repE0EEENS1_30default_config_static_selectorELNS0_4arch9wavefront6targetE0EEEvT1_
		.amdhsa_group_segment_fixed_size 0
		.amdhsa_private_segment_fixed_size 0
		.amdhsa_kernarg_size 120
		.amdhsa_user_sgpr_count 2
		.amdhsa_user_sgpr_dispatch_ptr 0
		.amdhsa_user_sgpr_queue_ptr 0
		.amdhsa_user_sgpr_kernarg_segment_ptr 1
		.amdhsa_user_sgpr_dispatch_id 0
		.amdhsa_user_sgpr_kernarg_preload_length 0
		.amdhsa_user_sgpr_kernarg_preload_offset 0
		.amdhsa_user_sgpr_private_segment_size 0
		.amdhsa_wavefront_size32 1
		.amdhsa_uses_dynamic_stack 0
		.amdhsa_enable_private_segment 0
		.amdhsa_system_sgpr_workgroup_id_x 1
		.amdhsa_system_sgpr_workgroup_id_y 0
		.amdhsa_system_sgpr_workgroup_id_z 0
		.amdhsa_system_sgpr_workgroup_info 0
		.amdhsa_system_vgpr_workitem_id 0
		.amdhsa_next_free_vgpr 1
		.amdhsa_next_free_sgpr 1
		.amdhsa_named_barrier_count 0
		.amdhsa_reserve_vcc 0
		.amdhsa_float_round_mode_32 0
		.amdhsa_float_round_mode_16_64 0
		.amdhsa_float_denorm_mode_32 3
		.amdhsa_float_denorm_mode_16_64 3
		.amdhsa_fp16_overflow 0
		.amdhsa_memory_ordered 1
		.amdhsa_forward_progress 1
		.amdhsa_inst_pref_size 1
		.amdhsa_round_robin_scheduling 0
		.amdhsa_exception_fp_ieee_invalid_op 0
		.amdhsa_exception_fp_denorm_src 0
		.amdhsa_exception_fp_ieee_div_zero 0
		.amdhsa_exception_fp_ieee_overflow 0
		.amdhsa_exception_fp_ieee_underflow 0
		.amdhsa_exception_fp_ieee_inexact 0
		.amdhsa_exception_int_div_zero 0
	.end_amdhsa_kernel
	.section	.text._ZN7rocprim17ROCPRIM_400000_NS6detail17trampoline_kernelINS0_14default_configENS1_25partition_config_selectorILNS1_17partition_subalgoE9EllbEEZZNS1_14partition_implILS5_9ELb0ES3_jPlS8_PNS0_10empty_typeENS0_5tupleIJS8_S9_EEENSB_IJS8_SA_EEENS0_18inequality_wrapperIZN2at6native12_GLOBAL__N_124unique_dim_cuda_templateIN3c104HalfEEESt5tupleIJNSF_6TensorESM_SM_EERKSM_lbbbEUlllE0_EEPmJS9_EEE10hipError_tPvRmT3_T4_T5_T6_T7_T9_mT8_P12ihipStream_tbDpT10_ENKUlT_T0_E_clISt17integral_constantIbLb1EES1B_IbLb0EEEEDaS17_S18_EUlS17_E_NS1_11comp_targetILNS1_3genE0ELNS1_11target_archE4294967295ELNS1_3gpuE0ELNS1_3repE0EEENS1_30default_config_static_selectorELNS0_4arch9wavefront6targetE0EEEvT1_,"axG",@progbits,_ZN7rocprim17ROCPRIM_400000_NS6detail17trampoline_kernelINS0_14default_configENS1_25partition_config_selectorILNS1_17partition_subalgoE9EllbEEZZNS1_14partition_implILS5_9ELb0ES3_jPlS8_PNS0_10empty_typeENS0_5tupleIJS8_S9_EEENSB_IJS8_SA_EEENS0_18inequality_wrapperIZN2at6native12_GLOBAL__N_124unique_dim_cuda_templateIN3c104HalfEEESt5tupleIJNSF_6TensorESM_SM_EERKSM_lbbbEUlllE0_EEPmJS9_EEE10hipError_tPvRmT3_T4_T5_T6_T7_T9_mT8_P12ihipStream_tbDpT10_ENKUlT_T0_E_clISt17integral_constantIbLb1EES1B_IbLb0EEEEDaS17_S18_EUlS17_E_NS1_11comp_targetILNS1_3genE0ELNS1_11target_archE4294967295ELNS1_3gpuE0ELNS1_3repE0EEENS1_30default_config_static_selectorELNS0_4arch9wavefront6targetE0EEEvT1_,comdat
.Lfunc_end1345:
	.size	_ZN7rocprim17ROCPRIM_400000_NS6detail17trampoline_kernelINS0_14default_configENS1_25partition_config_selectorILNS1_17partition_subalgoE9EllbEEZZNS1_14partition_implILS5_9ELb0ES3_jPlS8_PNS0_10empty_typeENS0_5tupleIJS8_S9_EEENSB_IJS8_SA_EEENS0_18inequality_wrapperIZN2at6native12_GLOBAL__N_124unique_dim_cuda_templateIN3c104HalfEEESt5tupleIJNSF_6TensorESM_SM_EERKSM_lbbbEUlllE0_EEPmJS9_EEE10hipError_tPvRmT3_T4_T5_T6_T7_T9_mT8_P12ihipStream_tbDpT10_ENKUlT_T0_E_clISt17integral_constantIbLb1EES1B_IbLb0EEEEDaS17_S18_EUlS17_E_NS1_11comp_targetILNS1_3genE0ELNS1_11target_archE4294967295ELNS1_3gpuE0ELNS1_3repE0EEENS1_30default_config_static_selectorELNS0_4arch9wavefront6targetE0EEEvT1_, .Lfunc_end1345-_ZN7rocprim17ROCPRIM_400000_NS6detail17trampoline_kernelINS0_14default_configENS1_25partition_config_selectorILNS1_17partition_subalgoE9EllbEEZZNS1_14partition_implILS5_9ELb0ES3_jPlS8_PNS0_10empty_typeENS0_5tupleIJS8_S9_EEENSB_IJS8_SA_EEENS0_18inequality_wrapperIZN2at6native12_GLOBAL__N_124unique_dim_cuda_templateIN3c104HalfEEESt5tupleIJNSF_6TensorESM_SM_EERKSM_lbbbEUlllE0_EEPmJS9_EEE10hipError_tPvRmT3_T4_T5_T6_T7_T9_mT8_P12ihipStream_tbDpT10_ENKUlT_T0_E_clISt17integral_constantIbLb1EES1B_IbLb0EEEEDaS17_S18_EUlS17_E_NS1_11comp_targetILNS1_3genE0ELNS1_11target_archE4294967295ELNS1_3gpuE0ELNS1_3repE0EEENS1_30default_config_static_selectorELNS0_4arch9wavefront6targetE0EEEvT1_
                                        ; -- End function
	.set _ZN7rocprim17ROCPRIM_400000_NS6detail17trampoline_kernelINS0_14default_configENS1_25partition_config_selectorILNS1_17partition_subalgoE9EllbEEZZNS1_14partition_implILS5_9ELb0ES3_jPlS8_PNS0_10empty_typeENS0_5tupleIJS8_S9_EEENSB_IJS8_SA_EEENS0_18inequality_wrapperIZN2at6native12_GLOBAL__N_124unique_dim_cuda_templateIN3c104HalfEEESt5tupleIJNSF_6TensorESM_SM_EERKSM_lbbbEUlllE0_EEPmJS9_EEE10hipError_tPvRmT3_T4_T5_T6_T7_T9_mT8_P12ihipStream_tbDpT10_ENKUlT_T0_E_clISt17integral_constantIbLb1EES1B_IbLb0EEEEDaS17_S18_EUlS17_E_NS1_11comp_targetILNS1_3genE0ELNS1_11target_archE4294967295ELNS1_3gpuE0ELNS1_3repE0EEENS1_30default_config_static_selectorELNS0_4arch9wavefront6targetE0EEEvT1_.num_vgpr, 0
	.set _ZN7rocprim17ROCPRIM_400000_NS6detail17trampoline_kernelINS0_14default_configENS1_25partition_config_selectorILNS1_17partition_subalgoE9EllbEEZZNS1_14partition_implILS5_9ELb0ES3_jPlS8_PNS0_10empty_typeENS0_5tupleIJS8_S9_EEENSB_IJS8_SA_EEENS0_18inequality_wrapperIZN2at6native12_GLOBAL__N_124unique_dim_cuda_templateIN3c104HalfEEESt5tupleIJNSF_6TensorESM_SM_EERKSM_lbbbEUlllE0_EEPmJS9_EEE10hipError_tPvRmT3_T4_T5_T6_T7_T9_mT8_P12ihipStream_tbDpT10_ENKUlT_T0_E_clISt17integral_constantIbLb1EES1B_IbLb0EEEEDaS17_S18_EUlS17_E_NS1_11comp_targetILNS1_3genE0ELNS1_11target_archE4294967295ELNS1_3gpuE0ELNS1_3repE0EEENS1_30default_config_static_selectorELNS0_4arch9wavefront6targetE0EEEvT1_.num_agpr, 0
	.set _ZN7rocprim17ROCPRIM_400000_NS6detail17trampoline_kernelINS0_14default_configENS1_25partition_config_selectorILNS1_17partition_subalgoE9EllbEEZZNS1_14partition_implILS5_9ELb0ES3_jPlS8_PNS0_10empty_typeENS0_5tupleIJS8_S9_EEENSB_IJS8_SA_EEENS0_18inequality_wrapperIZN2at6native12_GLOBAL__N_124unique_dim_cuda_templateIN3c104HalfEEESt5tupleIJNSF_6TensorESM_SM_EERKSM_lbbbEUlllE0_EEPmJS9_EEE10hipError_tPvRmT3_T4_T5_T6_T7_T9_mT8_P12ihipStream_tbDpT10_ENKUlT_T0_E_clISt17integral_constantIbLb1EES1B_IbLb0EEEEDaS17_S18_EUlS17_E_NS1_11comp_targetILNS1_3genE0ELNS1_11target_archE4294967295ELNS1_3gpuE0ELNS1_3repE0EEENS1_30default_config_static_selectorELNS0_4arch9wavefront6targetE0EEEvT1_.numbered_sgpr, 0
	.set _ZN7rocprim17ROCPRIM_400000_NS6detail17trampoline_kernelINS0_14default_configENS1_25partition_config_selectorILNS1_17partition_subalgoE9EllbEEZZNS1_14partition_implILS5_9ELb0ES3_jPlS8_PNS0_10empty_typeENS0_5tupleIJS8_S9_EEENSB_IJS8_SA_EEENS0_18inequality_wrapperIZN2at6native12_GLOBAL__N_124unique_dim_cuda_templateIN3c104HalfEEESt5tupleIJNSF_6TensorESM_SM_EERKSM_lbbbEUlllE0_EEPmJS9_EEE10hipError_tPvRmT3_T4_T5_T6_T7_T9_mT8_P12ihipStream_tbDpT10_ENKUlT_T0_E_clISt17integral_constantIbLb1EES1B_IbLb0EEEEDaS17_S18_EUlS17_E_NS1_11comp_targetILNS1_3genE0ELNS1_11target_archE4294967295ELNS1_3gpuE0ELNS1_3repE0EEENS1_30default_config_static_selectorELNS0_4arch9wavefront6targetE0EEEvT1_.num_named_barrier, 0
	.set _ZN7rocprim17ROCPRIM_400000_NS6detail17trampoline_kernelINS0_14default_configENS1_25partition_config_selectorILNS1_17partition_subalgoE9EllbEEZZNS1_14partition_implILS5_9ELb0ES3_jPlS8_PNS0_10empty_typeENS0_5tupleIJS8_S9_EEENSB_IJS8_SA_EEENS0_18inequality_wrapperIZN2at6native12_GLOBAL__N_124unique_dim_cuda_templateIN3c104HalfEEESt5tupleIJNSF_6TensorESM_SM_EERKSM_lbbbEUlllE0_EEPmJS9_EEE10hipError_tPvRmT3_T4_T5_T6_T7_T9_mT8_P12ihipStream_tbDpT10_ENKUlT_T0_E_clISt17integral_constantIbLb1EES1B_IbLb0EEEEDaS17_S18_EUlS17_E_NS1_11comp_targetILNS1_3genE0ELNS1_11target_archE4294967295ELNS1_3gpuE0ELNS1_3repE0EEENS1_30default_config_static_selectorELNS0_4arch9wavefront6targetE0EEEvT1_.private_seg_size, 0
	.set _ZN7rocprim17ROCPRIM_400000_NS6detail17trampoline_kernelINS0_14default_configENS1_25partition_config_selectorILNS1_17partition_subalgoE9EllbEEZZNS1_14partition_implILS5_9ELb0ES3_jPlS8_PNS0_10empty_typeENS0_5tupleIJS8_S9_EEENSB_IJS8_SA_EEENS0_18inequality_wrapperIZN2at6native12_GLOBAL__N_124unique_dim_cuda_templateIN3c104HalfEEESt5tupleIJNSF_6TensorESM_SM_EERKSM_lbbbEUlllE0_EEPmJS9_EEE10hipError_tPvRmT3_T4_T5_T6_T7_T9_mT8_P12ihipStream_tbDpT10_ENKUlT_T0_E_clISt17integral_constantIbLb1EES1B_IbLb0EEEEDaS17_S18_EUlS17_E_NS1_11comp_targetILNS1_3genE0ELNS1_11target_archE4294967295ELNS1_3gpuE0ELNS1_3repE0EEENS1_30default_config_static_selectorELNS0_4arch9wavefront6targetE0EEEvT1_.uses_vcc, 0
	.set _ZN7rocprim17ROCPRIM_400000_NS6detail17trampoline_kernelINS0_14default_configENS1_25partition_config_selectorILNS1_17partition_subalgoE9EllbEEZZNS1_14partition_implILS5_9ELb0ES3_jPlS8_PNS0_10empty_typeENS0_5tupleIJS8_S9_EEENSB_IJS8_SA_EEENS0_18inequality_wrapperIZN2at6native12_GLOBAL__N_124unique_dim_cuda_templateIN3c104HalfEEESt5tupleIJNSF_6TensorESM_SM_EERKSM_lbbbEUlllE0_EEPmJS9_EEE10hipError_tPvRmT3_T4_T5_T6_T7_T9_mT8_P12ihipStream_tbDpT10_ENKUlT_T0_E_clISt17integral_constantIbLb1EES1B_IbLb0EEEEDaS17_S18_EUlS17_E_NS1_11comp_targetILNS1_3genE0ELNS1_11target_archE4294967295ELNS1_3gpuE0ELNS1_3repE0EEENS1_30default_config_static_selectorELNS0_4arch9wavefront6targetE0EEEvT1_.uses_flat_scratch, 0
	.set _ZN7rocprim17ROCPRIM_400000_NS6detail17trampoline_kernelINS0_14default_configENS1_25partition_config_selectorILNS1_17partition_subalgoE9EllbEEZZNS1_14partition_implILS5_9ELb0ES3_jPlS8_PNS0_10empty_typeENS0_5tupleIJS8_S9_EEENSB_IJS8_SA_EEENS0_18inequality_wrapperIZN2at6native12_GLOBAL__N_124unique_dim_cuda_templateIN3c104HalfEEESt5tupleIJNSF_6TensorESM_SM_EERKSM_lbbbEUlllE0_EEPmJS9_EEE10hipError_tPvRmT3_T4_T5_T6_T7_T9_mT8_P12ihipStream_tbDpT10_ENKUlT_T0_E_clISt17integral_constantIbLb1EES1B_IbLb0EEEEDaS17_S18_EUlS17_E_NS1_11comp_targetILNS1_3genE0ELNS1_11target_archE4294967295ELNS1_3gpuE0ELNS1_3repE0EEENS1_30default_config_static_selectorELNS0_4arch9wavefront6targetE0EEEvT1_.has_dyn_sized_stack, 0
	.set _ZN7rocprim17ROCPRIM_400000_NS6detail17trampoline_kernelINS0_14default_configENS1_25partition_config_selectorILNS1_17partition_subalgoE9EllbEEZZNS1_14partition_implILS5_9ELb0ES3_jPlS8_PNS0_10empty_typeENS0_5tupleIJS8_S9_EEENSB_IJS8_SA_EEENS0_18inequality_wrapperIZN2at6native12_GLOBAL__N_124unique_dim_cuda_templateIN3c104HalfEEESt5tupleIJNSF_6TensorESM_SM_EERKSM_lbbbEUlllE0_EEPmJS9_EEE10hipError_tPvRmT3_T4_T5_T6_T7_T9_mT8_P12ihipStream_tbDpT10_ENKUlT_T0_E_clISt17integral_constantIbLb1EES1B_IbLb0EEEEDaS17_S18_EUlS17_E_NS1_11comp_targetILNS1_3genE0ELNS1_11target_archE4294967295ELNS1_3gpuE0ELNS1_3repE0EEENS1_30default_config_static_selectorELNS0_4arch9wavefront6targetE0EEEvT1_.has_recursion, 0
	.set _ZN7rocprim17ROCPRIM_400000_NS6detail17trampoline_kernelINS0_14default_configENS1_25partition_config_selectorILNS1_17partition_subalgoE9EllbEEZZNS1_14partition_implILS5_9ELb0ES3_jPlS8_PNS0_10empty_typeENS0_5tupleIJS8_S9_EEENSB_IJS8_SA_EEENS0_18inequality_wrapperIZN2at6native12_GLOBAL__N_124unique_dim_cuda_templateIN3c104HalfEEESt5tupleIJNSF_6TensorESM_SM_EERKSM_lbbbEUlllE0_EEPmJS9_EEE10hipError_tPvRmT3_T4_T5_T6_T7_T9_mT8_P12ihipStream_tbDpT10_ENKUlT_T0_E_clISt17integral_constantIbLb1EES1B_IbLb0EEEEDaS17_S18_EUlS17_E_NS1_11comp_targetILNS1_3genE0ELNS1_11target_archE4294967295ELNS1_3gpuE0ELNS1_3repE0EEENS1_30default_config_static_selectorELNS0_4arch9wavefront6targetE0EEEvT1_.has_indirect_call, 0
	.section	.AMDGPU.csdata,"",@progbits
; Kernel info:
; codeLenInByte = 4
; TotalNumSgprs: 0
; NumVgprs: 0
; ScratchSize: 0
; MemoryBound: 0
; FloatMode: 240
; IeeeMode: 1
; LDSByteSize: 0 bytes/workgroup (compile time only)
; SGPRBlocks: 0
; VGPRBlocks: 0
; NumSGPRsForWavesPerEU: 1
; NumVGPRsForWavesPerEU: 1
; NamedBarCnt: 0
; Occupancy: 16
; WaveLimiterHint : 0
; COMPUTE_PGM_RSRC2:SCRATCH_EN: 0
; COMPUTE_PGM_RSRC2:USER_SGPR: 2
; COMPUTE_PGM_RSRC2:TRAP_HANDLER: 0
; COMPUTE_PGM_RSRC2:TGID_X_EN: 1
; COMPUTE_PGM_RSRC2:TGID_Y_EN: 0
; COMPUTE_PGM_RSRC2:TGID_Z_EN: 0
; COMPUTE_PGM_RSRC2:TIDIG_COMP_CNT: 0
	.section	.text._ZN7rocprim17ROCPRIM_400000_NS6detail17trampoline_kernelINS0_14default_configENS1_25partition_config_selectorILNS1_17partition_subalgoE9EllbEEZZNS1_14partition_implILS5_9ELb0ES3_jPlS8_PNS0_10empty_typeENS0_5tupleIJS8_S9_EEENSB_IJS8_SA_EEENS0_18inequality_wrapperIZN2at6native12_GLOBAL__N_124unique_dim_cuda_templateIN3c104HalfEEESt5tupleIJNSF_6TensorESM_SM_EERKSM_lbbbEUlllE0_EEPmJS9_EEE10hipError_tPvRmT3_T4_T5_T6_T7_T9_mT8_P12ihipStream_tbDpT10_ENKUlT_T0_E_clISt17integral_constantIbLb1EES1B_IbLb0EEEEDaS17_S18_EUlS17_E_NS1_11comp_targetILNS1_3genE5ELNS1_11target_archE942ELNS1_3gpuE9ELNS1_3repE0EEENS1_30default_config_static_selectorELNS0_4arch9wavefront6targetE0EEEvT1_,"axG",@progbits,_ZN7rocprim17ROCPRIM_400000_NS6detail17trampoline_kernelINS0_14default_configENS1_25partition_config_selectorILNS1_17partition_subalgoE9EllbEEZZNS1_14partition_implILS5_9ELb0ES3_jPlS8_PNS0_10empty_typeENS0_5tupleIJS8_S9_EEENSB_IJS8_SA_EEENS0_18inequality_wrapperIZN2at6native12_GLOBAL__N_124unique_dim_cuda_templateIN3c104HalfEEESt5tupleIJNSF_6TensorESM_SM_EERKSM_lbbbEUlllE0_EEPmJS9_EEE10hipError_tPvRmT3_T4_T5_T6_T7_T9_mT8_P12ihipStream_tbDpT10_ENKUlT_T0_E_clISt17integral_constantIbLb1EES1B_IbLb0EEEEDaS17_S18_EUlS17_E_NS1_11comp_targetILNS1_3genE5ELNS1_11target_archE942ELNS1_3gpuE9ELNS1_3repE0EEENS1_30default_config_static_selectorELNS0_4arch9wavefront6targetE0EEEvT1_,comdat
	.globl	_ZN7rocprim17ROCPRIM_400000_NS6detail17trampoline_kernelINS0_14default_configENS1_25partition_config_selectorILNS1_17partition_subalgoE9EllbEEZZNS1_14partition_implILS5_9ELb0ES3_jPlS8_PNS0_10empty_typeENS0_5tupleIJS8_S9_EEENSB_IJS8_SA_EEENS0_18inequality_wrapperIZN2at6native12_GLOBAL__N_124unique_dim_cuda_templateIN3c104HalfEEESt5tupleIJNSF_6TensorESM_SM_EERKSM_lbbbEUlllE0_EEPmJS9_EEE10hipError_tPvRmT3_T4_T5_T6_T7_T9_mT8_P12ihipStream_tbDpT10_ENKUlT_T0_E_clISt17integral_constantIbLb1EES1B_IbLb0EEEEDaS17_S18_EUlS17_E_NS1_11comp_targetILNS1_3genE5ELNS1_11target_archE942ELNS1_3gpuE9ELNS1_3repE0EEENS1_30default_config_static_selectorELNS0_4arch9wavefront6targetE0EEEvT1_ ; -- Begin function _ZN7rocprim17ROCPRIM_400000_NS6detail17trampoline_kernelINS0_14default_configENS1_25partition_config_selectorILNS1_17partition_subalgoE9EllbEEZZNS1_14partition_implILS5_9ELb0ES3_jPlS8_PNS0_10empty_typeENS0_5tupleIJS8_S9_EEENSB_IJS8_SA_EEENS0_18inequality_wrapperIZN2at6native12_GLOBAL__N_124unique_dim_cuda_templateIN3c104HalfEEESt5tupleIJNSF_6TensorESM_SM_EERKSM_lbbbEUlllE0_EEPmJS9_EEE10hipError_tPvRmT3_T4_T5_T6_T7_T9_mT8_P12ihipStream_tbDpT10_ENKUlT_T0_E_clISt17integral_constantIbLb1EES1B_IbLb0EEEEDaS17_S18_EUlS17_E_NS1_11comp_targetILNS1_3genE5ELNS1_11target_archE942ELNS1_3gpuE9ELNS1_3repE0EEENS1_30default_config_static_selectorELNS0_4arch9wavefront6targetE0EEEvT1_
	.p2align	8
	.type	_ZN7rocprim17ROCPRIM_400000_NS6detail17trampoline_kernelINS0_14default_configENS1_25partition_config_selectorILNS1_17partition_subalgoE9EllbEEZZNS1_14partition_implILS5_9ELb0ES3_jPlS8_PNS0_10empty_typeENS0_5tupleIJS8_S9_EEENSB_IJS8_SA_EEENS0_18inequality_wrapperIZN2at6native12_GLOBAL__N_124unique_dim_cuda_templateIN3c104HalfEEESt5tupleIJNSF_6TensorESM_SM_EERKSM_lbbbEUlllE0_EEPmJS9_EEE10hipError_tPvRmT3_T4_T5_T6_T7_T9_mT8_P12ihipStream_tbDpT10_ENKUlT_T0_E_clISt17integral_constantIbLb1EES1B_IbLb0EEEEDaS17_S18_EUlS17_E_NS1_11comp_targetILNS1_3genE5ELNS1_11target_archE942ELNS1_3gpuE9ELNS1_3repE0EEENS1_30default_config_static_selectorELNS0_4arch9wavefront6targetE0EEEvT1_,@function
_ZN7rocprim17ROCPRIM_400000_NS6detail17trampoline_kernelINS0_14default_configENS1_25partition_config_selectorILNS1_17partition_subalgoE9EllbEEZZNS1_14partition_implILS5_9ELb0ES3_jPlS8_PNS0_10empty_typeENS0_5tupleIJS8_S9_EEENSB_IJS8_SA_EEENS0_18inequality_wrapperIZN2at6native12_GLOBAL__N_124unique_dim_cuda_templateIN3c104HalfEEESt5tupleIJNSF_6TensorESM_SM_EERKSM_lbbbEUlllE0_EEPmJS9_EEE10hipError_tPvRmT3_T4_T5_T6_T7_T9_mT8_P12ihipStream_tbDpT10_ENKUlT_T0_E_clISt17integral_constantIbLb1EES1B_IbLb0EEEEDaS17_S18_EUlS17_E_NS1_11comp_targetILNS1_3genE5ELNS1_11target_archE942ELNS1_3gpuE9ELNS1_3repE0EEENS1_30default_config_static_selectorELNS0_4arch9wavefront6targetE0EEEvT1_: ; @_ZN7rocprim17ROCPRIM_400000_NS6detail17trampoline_kernelINS0_14default_configENS1_25partition_config_selectorILNS1_17partition_subalgoE9EllbEEZZNS1_14partition_implILS5_9ELb0ES3_jPlS8_PNS0_10empty_typeENS0_5tupleIJS8_S9_EEENSB_IJS8_SA_EEENS0_18inequality_wrapperIZN2at6native12_GLOBAL__N_124unique_dim_cuda_templateIN3c104HalfEEESt5tupleIJNSF_6TensorESM_SM_EERKSM_lbbbEUlllE0_EEPmJS9_EEE10hipError_tPvRmT3_T4_T5_T6_T7_T9_mT8_P12ihipStream_tbDpT10_ENKUlT_T0_E_clISt17integral_constantIbLb1EES1B_IbLb0EEEEDaS17_S18_EUlS17_E_NS1_11comp_targetILNS1_3genE5ELNS1_11target_archE942ELNS1_3gpuE9ELNS1_3repE0EEENS1_30default_config_static_selectorELNS0_4arch9wavefront6targetE0EEEvT1_
; %bb.0:
	.section	.rodata,"a",@progbits
	.p2align	6, 0x0
	.amdhsa_kernel _ZN7rocprim17ROCPRIM_400000_NS6detail17trampoline_kernelINS0_14default_configENS1_25partition_config_selectorILNS1_17partition_subalgoE9EllbEEZZNS1_14partition_implILS5_9ELb0ES3_jPlS8_PNS0_10empty_typeENS0_5tupleIJS8_S9_EEENSB_IJS8_SA_EEENS0_18inequality_wrapperIZN2at6native12_GLOBAL__N_124unique_dim_cuda_templateIN3c104HalfEEESt5tupleIJNSF_6TensorESM_SM_EERKSM_lbbbEUlllE0_EEPmJS9_EEE10hipError_tPvRmT3_T4_T5_T6_T7_T9_mT8_P12ihipStream_tbDpT10_ENKUlT_T0_E_clISt17integral_constantIbLb1EES1B_IbLb0EEEEDaS17_S18_EUlS17_E_NS1_11comp_targetILNS1_3genE5ELNS1_11target_archE942ELNS1_3gpuE9ELNS1_3repE0EEENS1_30default_config_static_selectorELNS0_4arch9wavefront6targetE0EEEvT1_
		.amdhsa_group_segment_fixed_size 0
		.amdhsa_private_segment_fixed_size 0
		.amdhsa_kernarg_size 120
		.amdhsa_user_sgpr_count 2
		.amdhsa_user_sgpr_dispatch_ptr 0
		.amdhsa_user_sgpr_queue_ptr 0
		.amdhsa_user_sgpr_kernarg_segment_ptr 1
		.amdhsa_user_sgpr_dispatch_id 0
		.amdhsa_user_sgpr_kernarg_preload_length 0
		.amdhsa_user_sgpr_kernarg_preload_offset 0
		.amdhsa_user_sgpr_private_segment_size 0
		.amdhsa_wavefront_size32 1
		.amdhsa_uses_dynamic_stack 0
		.amdhsa_enable_private_segment 0
		.amdhsa_system_sgpr_workgroup_id_x 1
		.amdhsa_system_sgpr_workgroup_id_y 0
		.amdhsa_system_sgpr_workgroup_id_z 0
		.amdhsa_system_sgpr_workgroup_info 0
		.amdhsa_system_vgpr_workitem_id 0
		.amdhsa_next_free_vgpr 1
		.amdhsa_next_free_sgpr 1
		.amdhsa_named_barrier_count 0
		.amdhsa_reserve_vcc 0
		.amdhsa_float_round_mode_32 0
		.amdhsa_float_round_mode_16_64 0
		.amdhsa_float_denorm_mode_32 3
		.amdhsa_float_denorm_mode_16_64 3
		.amdhsa_fp16_overflow 0
		.amdhsa_memory_ordered 1
		.amdhsa_forward_progress 1
		.amdhsa_inst_pref_size 0
		.amdhsa_round_robin_scheduling 0
		.amdhsa_exception_fp_ieee_invalid_op 0
		.amdhsa_exception_fp_denorm_src 0
		.amdhsa_exception_fp_ieee_div_zero 0
		.amdhsa_exception_fp_ieee_overflow 0
		.amdhsa_exception_fp_ieee_underflow 0
		.amdhsa_exception_fp_ieee_inexact 0
		.amdhsa_exception_int_div_zero 0
	.end_amdhsa_kernel
	.section	.text._ZN7rocprim17ROCPRIM_400000_NS6detail17trampoline_kernelINS0_14default_configENS1_25partition_config_selectorILNS1_17partition_subalgoE9EllbEEZZNS1_14partition_implILS5_9ELb0ES3_jPlS8_PNS0_10empty_typeENS0_5tupleIJS8_S9_EEENSB_IJS8_SA_EEENS0_18inequality_wrapperIZN2at6native12_GLOBAL__N_124unique_dim_cuda_templateIN3c104HalfEEESt5tupleIJNSF_6TensorESM_SM_EERKSM_lbbbEUlllE0_EEPmJS9_EEE10hipError_tPvRmT3_T4_T5_T6_T7_T9_mT8_P12ihipStream_tbDpT10_ENKUlT_T0_E_clISt17integral_constantIbLb1EES1B_IbLb0EEEEDaS17_S18_EUlS17_E_NS1_11comp_targetILNS1_3genE5ELNS1_11target_archE942ELNS1_3gpuE9ELNS1_3repE0EEENS1_30default_config_static_selectorELNS0_4arch9wavefront6targetE0EEEvT1_,"axG",@progbits,_ZN7rocprim17ROCPRIM_400000_NS6detail17trampoline_kernelINS0_14default_configENS1_25partition_config_selectorILNS1_17partition_subalgoE9EllbEEZZNS1_14partition_implILS5_9ELb0ES3_jPlS8_PNS0_10empty_typeENS0_5tupleIJS8_S9_EEENSB_IJS8_SA_EEENS0_18inequality_wrapperIZN2at6native12_GLOBAL__N_124unique_dim_cuda_templateIN3c104HalfEEESt5tupleIJNSF_6TensorESM_SM_EERKSM_lbbbEUlllE0_EEPmJS9_EEE10hipError_tPvRmT3_T4_T5_T6_T7_T9_mT8_P12ihipStream_tbDpT10_ENKUlT_T0_E_clISt17integral_constantIbLb1EES1B_IbLb0EEEEDaS17_S18_EUlS17_E_NS1_11comp_targetILNS1_3genE5ELNS1_11target_archE942ELNS1_3gpuE9ELNS1_3repE0EEENS1_30default_config_static_selectorELNS0_4arch9wavefront6targetE0EEEvT1_,comdat
.Lfunc_end1346:
	.size	_ZN7rocprim17ROCPRIM_400000_NS6detail17trampoline_kernelINS0_14default_configENS1_25partition_config_selectorILNS1_17partition_subalgoE9EllbEEZZNS1_14partition_implILS5_9ELb0ES3_jPlS8_PNS0_10empty_typeENS0_5tupleIJS8_S9_EEENSB_IJS8_SA_EEENS0_18inequality_wrapperIZN2at6native12_GLOBAL__N_124unique_dim_cuda_templateIN3c104HalfEEESt5tupleIJNSF_6TensorESM_SM_EERKSM_lbbbEUlllE0_EEPmJS9_EEE10hipError_tPvRmT3_T4_T5_T6_T7_T9_mT8_P12ihipStream_tbDpT10_ENKUlT_T0_E_clISt17integral_constantIbLb1EES1B_IbLb0EEEEDaS17_S18_EUlS17_E_NS1_11comp_targetILNS1_3genE5ELNS1_11target_archE942ELNS1_3gpuE9ELNS1_3repE0EEENS1_30default_config_static_selectorELNS0_4arch9wavefront6targetE0EEEvT1_, .Lfunc_end1346-_ZN7rocprim17ROCPRIM_400000_NS6detail17trampoline_kernelINS0_14default_configENS1_25partition_config_selectorILNS1_17partition_subalgoE9EllbEEZZNS1_14partition_implILS5_9ELb0ES3_jPlS8_PNS0_10empty_typeENS0_5tupleIJS8_S9_EEENSB_IJS8_SA_EEENS0_18inequality_wrapperIZN2at6native12_GLOBAL__N_124unique_dim_cuda_templateIN3c104HalfEEESt5tupleIJNSF_6TensorESM_SM_EERKSM_lbbbEUlllE0_EEPmJS9_EEE10hipError_tPvRmT3_T4_T5_T6_T7_T9_mT8_P12ihipStream_tbDpT10_ENKUlT_T0_E_clISt17integral_constantIbLb1EES1B_IbLb0EEEEDaS17_S18_EUlS17_E_NS1_11comp_targetILNS1_3genE5ELNS1_11target_archE942ELNS1_3gpuE9ELNS1_3repE0EEENS1_30default_config_static_selectorELNS0_4arch9wavefront6targetE0EEEvT1_
                                        ; -- End function
	.set _ZN7rocprim17ROCPRIM_400000_NS6detail17trampoline_kernelINS0_14default_configENS1_25partition_config_selectorILNS1_17partition_subalgoE9EllbEEZZNS1_14partition_implILS5_9ELb0ES3_jPlS8_PNS0_10empty_typeENS0_5tupleIJS8_S9_EEENSB_IJS8_SA_EEENS0_18inequality_wrapperIZN2at6native12_GLOBAL__N_124unique_dim_cuda_templateIN3c104HalfEEESt5tupleIJNSF_6TensorESM_SM_EERKSM_lbbbEUlllE0_EEPmJS9_EEE10hipError_tPvRmT3_T4_T5_T6_T7_T9_mT8_P12ihipStream_tbDpT10_ENKUlT_T0_E_clISt17integral_constantIbLb1EES1B_IbLb0EEEEDaS17_S18_EUlS17_E_NS1_11comp_targetILNS1_3genE5ELNS1_11target_archE942ELNS1_3gpuE9ELNS1_3repE0EEENS1_30default_config_static_selectorELNS0_4arch9wavefront6targetE0EEEvT1_.num_vgpr, 0
	.set _ZN7rocprim17ROCPRIM_400000_NS6detail17trampoline_kernelINS0_14default_configENS1_25partition_config_selectorILNS1_17partition_subalgoE9EllbEEZZNS1_14partition_implILS5_9ELb0ES3_jPlS8_PNS0_10empty_typeENS0_5tupleIJS8_S9_EEENSB_IJS8_SA_EEENS0_18inequality_wrapperIZN2at6native12_GLOBAL__N_124unique_dim_cuda_templateIN3c104HalfEEESt5tupleIJNSF_6TensorESM_SM_EERKSM_lbbbEUlllE0_EEPmJS9_EEE10hipError_tPvRmT3_T4_T5_T6_T7_T9_mT8_P12ihipStream_tbDpT10_ENKUlT_T0_E_clISt17integral_constantIbLb1EES1B_IbLb0EEEEDaS17_S18_EUlS17_E_NS1_11comp_targetILNS1_3genE5ELNS1_11target_archE942ELNS1_3gpuE9ELNS1_3repE0EEENS1_30default_config_static_selectorELNS0_4arch9wavefront6targetE0EEEvT1_.num_agpr, 0
	.set _ZN7rocprim17ROCPRIM_400000_NS6detail17trampoline_kernelINS0_14default_configENS1_25partition_config_selectorILNS1_17partition_subalgoE9EllbEEZZNS1_14partition_implILS5_9ELb0ES3_jPlS8_PNS0_10empty_typeENS0_5tupleIJS8_S9_EEENSB_IJS8_SA_EEENS0_18inequality_wrapperIZN2at6native12_GLOBAL__N_124unique_dim_cuda_templateIN3c104HalfEEESt5tupleIJNSF_6TensorESM_SM_EERKSM_lbbbEUlllE0_EEPmJS9_EEE10hipError_tPvRmT3_T4_T5_T6_T7_T9_mT8_P12ihipStream_tbDpT10_ENKUlT_T0_E_clISt17integral_constantIbLb1EES1B_IbLb0EEEEDaS17_S18_EUlS17_E_NS1_11comp_targetILNS1_3genE5ELNS1_11target_archE942ELNS1_3gpuE9ELNS1_3repE0EEENS1_30default_config_static_selectorELNS0_4arch9wavefront6targetE0EEEvT1_.numbered_sgpr, 0
	.set _ZN7rocprim17ROCPRIM_400000_NS6detail17trampoline_kernelINS0_14default_configENS1_25partition_config_selectorILNS1_17partition_subalgoE9EllbEEZZNS1_14partition_implILS5_9ELb0ES3_jPlS8_PNS0_10empty_typeENS0_5tupleIJS8_S9_EEENSB_IJS8_SA_EEENS0_18inequality_wrapperIZN2at6native12_GLOBAL__N_124unique_dim_cuda_templateIN3c104HalfEEESt5tupleIJNSF_6TensorESM_SM_EERKSM_lbbbEUlllE0_EEPmJS9_EEE10hipError_tPvRmT3_T4_T5_T6_T7_T9_mT8_P12ihipStream_tbDpT10_ENKUlT_T0_E_clISt17integral_constantIbLb1EES1B_IbLb0EEEEDaS17_S18_EUlS17_E_NS1_11comp_targetILNS1_3genE5ELNS1_11target_archE942ELNS1_3gpuE9ELNS1_3repE0EEENS1_30default_config_static_selectorELNS0_4arch9wavefront6targetE0EEEvT1_.num_named_barrier, 0
	.set _ZN7rocprim17ROCPRIM_400000_NS6detail17trampoline_kernelINS0_14default_configENS1_25partition_config_selectorILNS1_17partition_subalgoE9EllbEEZZNS1_14partition_implILS5_9ELb0ES3_jPlS8_PNS0_10empty_typeENS0_5tupleIJS8_S9_EEENSB_IJS8_SA_EEENS0_18inequality_wrapperIZN2at6native12_GLOBAL__N_124unique_dim_cuda_templateIN3c104HalfEEESt5tupleIJNSF_6TensorESM_SM_EERKSM_lbbbEUlllE0_EEPmJS9_EEE10hipError_tPvRmT3_T4_T5_T6_T7_T9_mT8_P12ihipStream_tbDpT10_ENKUlT_T0_E_clISt17integral_constantIbLb1EES1B_IbLb0EEEEDaS17_S18_EUlS17_E_NS1_11comp_targetILNS1_3genE5ELNS1_11target_archE942ELNS1_3gpuE9ELNS1_3repE0EEENS1_30default_config_static_selectorELNS0_4arch9wavefront6targetE0EEEvT1_.private_seg_size, 0
	.set _ZN7rocprim17ROCPRIM_400000_NS6detail17trampoline_kernelINS0_14default_configENS1_25partition_config_selectorILNS1_17partition_subalgoE9EllbEEZZNS1_14partition_implILS5_9ELb0ES3_jPlS8_PNS0_10empty_typeENS0_5tupleIJS8_S9_EEENSB_IJS8_SA_EEENS0_18inequality_wrapperIZN2at6native12_GLOBAL__N_124unique_dim_cuda_templateIN3c104HalfEEESt5tupleIJNSF_6TensorESM_SM_EERKSM_lbbbEUlllE0_EEPmJS9_EEE10hipError_tPvRmT3_T4_T5_T6_T7_T9_mT8_P12ihipStream_tbDpT10_ENKUlT_T0_E_clISt17integral_constantIbLb1EES1B_IbLb0EEEEDaS17_S18_EUlS17_E_NS1_11comp_targetILNS1_3genE5ELNS1_11target_archE942ELNS1_3gpuE9ELNS1_3repE0EEENS1_30default_config_static_selectorELNS0_4arch9wavefront6targetE0EEEvT1_.uses_vcc, 0
	.set _ZN7rocprim17ROCPRIM_400000_NS6detail17trampoline_kernelINS0_14default_configENS1_25partition_config_selectorILNS1_17partition_subalgoE9EllbEEZZNS1_14partition_implILS5_9ELb0ES3_jPlS8_PNS0_10empty_typeENS0_5tupleIJS8_S9_EEENSB_IJS8_SA_EEENS0_18inequality_wrapperIZN2at6native12_GLOBAL__N_124unique_dim_cuda_templateIN3c104HalfEEESt5tupleIJNSF_6TensorESM_SM_EERKSM_lbbbEUlllE0_EEPmJS9_EEE10hipError_tPvRmT3_T4_T5_T6_T7_T9_mT8_P12ihipStream_tbDpT10_ENKUlT_T0_E_clISt17integral_constantIbLb1EES1B_IbLb0EEEEDaS17_S18_EUlS17_E_NS1_11comp_targetILNS1_3genE5ELNS1_11target_archE942ELNS1_3gpuE9ELNS1_3repE0EEENS1_30default_config_static_selectorELNS0_4arch9wavefront6targetE0EEEvT1_.uses_flat_scratch, 0
	.set _ZN7rocprim17ROCPRIM_400000_NS6detail17trampoline_kernelINS0_14default_configENS1_25partition_config_selectorILNS1_17partition_subalgoE9EllbEEZZNS1_14partition_implILS5_9ELb0ES3_jPlS8_PNS0_10empty_typeENS0_5tupleIJS8_S9_EEENSB_IJS8_SA_EEENS0_18inequality_wrapperIZN2at6native12_GLOBAL__N_124unique_dim_cuda_templateIN3c104HalfEEESt5tupleIJNSF_6TensorESM_SM_EERKSM_lbbbEUlllE0_EEPmJS9_EEE10hipError_tPvRmT3_T4_T5_T6_T7_T9_mT8_P12ihipStream_tbDpT10_ENKUlT_T0_E_clISt17integral_constantIbLb1EES1B_IbLb0EEEEDaS17_S18_EUlS17_E_NS1_11comp_targetILNS1_3genE5ELNS1_11target_archE942ELNS1_3gpuE9ELNS1_3repE0EEENS1_30default_config_static_selectorELNS0_4arch9wavefront6targetE0EEEvT1_.has_dyn_sized_stack, 0
	.set _ZN7rocprim17ROCPRIM_400000_NS6detail17trampoline_kernelINS0_14default_configENS1_25partition_config_selectorILNS1_17partition_subalgoE9EllbEEZZNS1_14partition_implILS5_9ELb0ES3_jPlS8_PNS0_10empty_typeENS0_5tupleIJS8_S9_EEENSB_IJS8_SA_EEENS0_18inequality_wrapperIZN2at6native12_GLOBAL__N_124unique_dim_cuda_templateIN3c104HalfEEESt5tupleIJNSF_6TensorESM_SM_EERKSM_lbbbEUlllE0_EEPmJS9_EEE10hipError_tPvRmT3_T4_T5_T6_T7_T9_mT8_P12ihipStream_tbDpT10_ENKUlT_T0_E_clISt17integral_constantIbLb1EES1B_IbLb0EEEEDaS17_S18_EUlS17_E_NS1_11comp_targetILNS1_3genE5ELNS1_11target_archE942ELNS1_3gpuE9ELNS1_3repE0EEENS1_30default_config_static_selectorELNS0_4arch9wavefront6targetE0EEEvT1_.has_recursion, 0
	.set _ZN7rocprim17ROCPRIM_400000_NS6detail17trampoline_kernelINS0_14default_configENS1_25partition_config_selectorILNS1_17partition_subalgoE9EllbEEZZNS1_14partition_implILS5_9ELb0ES3_jPlS8_PNS0_10empty_typeENS0_5tupleIJS8_S9_EEENSB_IJS8_SA_EEENS0_18inequality_wrapperIZN2at6native12_GLOBAL__N_124unique_dim_cuda_templateIN3c104HalfEEESt5tupleIJNSF_6TensorESM_SM_EERKSM_lbbbEUlllE0_EEPmJS9_EEE10hipError_tPvRmT3_T4_T5_T6_T7_T9_mT8_P12ihipStream_tbDpT10_ENKUlT_T0_E_clISt17integral_constantIbLb1EES1B_IbLb0EEEEDaS17_S18_EUlS17_E_NS1_11comp_targetILNS1_3genE5ELNS1_11target_archE942ELNS1_3gpuE9ELNS1_3repE0EEENS1_30default_config_static_selectorELNS0_4arch9wavefront6targetE0EEEvT1_.has_indirect_call, 0
	.section	.AMDGPU.csdata,"",@progbits
; Kernel info:
; codeLenInByte = 0
; TotalNumSgprs: 0
; NumVgprs: 0
; ScratchSize: 0
; MemoryBound: 0
; FloatMode: 240
; IeeeMode: 1
; LDSByteSize: 0 bytes/workgroup (compile time only)
; SGPRBlocks: 0
; VGPRBlocks: 0
; NumSGPRsForWavesPerEU: 1
; NumVGPRsForWavesPerEU: 1
; NamedBarCnt: 0
; Occupancy: 16
; WaveLimiterHint : 0
; COMPUTE_PGM_RSRC2:SCRATCH_EN: 0
; COMPUTE_PGM_RSRC2:USER_SGPR: 2
; COMPUTE_PGM_RSRC2:TRAP_HANDLER: 0
; COMPUTE_PGM_RSRC2:TGID_X_EN: 1
; COMPUTE_PGM_RSRC2:TGID_Y_EN: 0
; COMPUTE_PGM_RSRC2:TGID_Z_EN: 0
; COMPUTE_PGM_RSRC2:TIDIG_COMP_CNT: 0
	.section	.text._ZN7rocprim17ROCPRIM_400000_NS6detail17trampoline_kernelINS0_14default_configENS1_25partition_config_selectorILNS1_17partition_subalgoE9EllbEEZZNS1_14partition_implILS5_9ELb0ES3_jPlS8_PNS0_10empty_typeENS0_5tupleIJS8_S9_EEENSB_IJS8_SA_EEENS0_18inequality_wrapperIZN2at6native12_GLOBAL__N_124unique_dim_cuda_templateIN3c104HalfEEESt5tupleIJNSF_6TensorESM_SM_EERKSM_lbbbEUlllE0_EEPmJS9_EEE10hipError_tPvRmT3_T4_T5_T6_T7_T9_mT8_P12ihipStream_tbDpT10_ENKUlT_T0_E_clISt17integral_constantIbLb1EES1B_IbLb0EEEEDaS17_S18_EUlS17_E_NS1_11comp_targetILNS1_3genE4ELNS1_11target_archE910ELNS1_3gpuE8ELNS1_3repE0EEENS1_30default_config_static_selectorELNS0_4arch9wavefront6targetE0EEEvT1_,"axG",@progbits,_ZN7rocprim17ROCPRIM_400000_NS6detail17trampoline_kernelINS0_14default_configENS1_25partition_config_selectorILNS1_17partition_subalgoE9EllbEEZZNS1_14partition_implILS5_9ELb0ES3_jPlS8_PNS0_10empty_typeENS0_5tupleIJS8_S9_EEENSB_IJS8_SA_EEENS0_18inequality_wrapperIZN2at6native12_GLOBAL__N_124unique_dim_cuda_templateIN3c104HalfEEESt5tupleIJNSF_6TensorESM_SM_EERKSM_lbbbEUlllE0_EEPmJS9_EEE10hipError_tPvRmT3_T4_T5_T6_T7_T9_mT8_P12ihipStream_tbDpT10_ENKUlT_T0_E_clISt17integral_constantIbLb1EES1B_IbLb0EEEEDaS17_S18_EUlS17_E_NS1_11comp_targetILNS1_3genE4ELNS1_11target_archE910ELNS1_3gpuE8ELNS1_3repE0EEENS1_30default_config_static_selectorELNS0_4arch9wavefront6targetE0EEEvT1_,comdat
	.globl	_ZN7rocprim17ROCPRIM_400000_NS6detail17trampoline_kernelINS0_14default_configENS1_25partition_config_selectorILNS1_17partition_subalgoE9EllbEEZZNS1_14partition_implILS5_9ELb0ES3_jPlS8_PNS0_10empty_typeENS0_5tupleIJS8_S9_EEENSB_IJS8_SA_EEENS0_18inequality_wrapperIZN2at6native12_GLOBAL__N_124unique_dim_cuda_templateIN3c104HalfEEESt5tupleIJNSF_6TensorESM_SM_EERKSM_lbbbEUlllE0_EEPmJS9_EEE10hipError_tPvRmT3_T4_T5_T6_T7_T9_mT8_P12ihipStream_tbDpT10_ENKUlT_T0_E_clISt17integral_constantIbLb1EES1B_IbLb0EEEEDaS17_S18_EUlS17_E_NS1_11comp_targetILNS1_3genE4ELNS1_11target_archE910ELNS1_3gpuE8ELNS1_3repE0EEENS1_30default_config_static_selectorELNS0_4arch9wavefront6targetE0EEEvT1_ ; -- Begin function _ZN7rocprim17ROCPRIM_400000_NS6detail17trampoline_kernelINS0_14default_configENS1_25partition_config_selectorILNS1_17partition_subalgoE9EllbEEZZNS1_14partition_implILS5_9ELb0ES3_jPlS8_PNS0_10empty_typeENS0_5tupleIJS8_S9_EEENSB_IJS8_SA_EEENS0_18inequality_wrapperIZN2at6native12_GLOBAL__N_124unique_dim_cuda_templateIN3c104HalfEEESt5tupleIJNSF_6TensorESM_SM_EERKSM_lbbbEUlllE0_EEPmJS9_EEE10hipError_tPvRmT3_T4_T5_T6_T7_T9_mT8_P12ihipStream_tbDpT10_ENKUlT_T0_E_clISt17integral_constantIbLb1EES1B_IbLb0EEEEDaS17_S18_EUlS17_E_NS1_11comp_targetILNS1_3genE4ELNS1_11target_archE910ELNS1_3gpuE8ELNS1_3repE0EEENS1_30default_config_static_selectorELNS0_4arch9wavefront6targetE0EEEvT1_
	.p2align	8
	.type	_ZN7rocprim17ROCPRIM_400000_NS6detail17trampoline_kernelINS0_14default_configENS1_25partition_config_selectorILNS1_17partition_subalgoE9EllbEEZZNS1_14partition_implILS5_9ELb0ES3_jPlS8_PNS0_10empty_typeENS0_5tupleIJS8_S9_EEENSB_IJS8_SA_EEENS0_18inequality_wrapperIZN2at6native12_GLOBAL__N_124unique_dim_cuda_templateIN3c104HalfEEESt5tupleIJNSF_6TensorESM_SM_EERKSM_lbbbEUlllE0_EEPmJS9_EEE10hipError_tPvRmT3_T4_T5_T6_T7_T9_mT8_P12ihipStream_tbDpT10_ENKUlT_T0_E_clISt17integral_constantIbLb1EES1B_IbLb0EEEEDaS17_S18_EUlS17_E_NS1_11comp_targetILNS1_3genE4ELNS1_11target_archE910ELNS1_3gpuE8ELNS1_3repE0EEENS1_30default_config_static_selectorELNS0_4arch9wavefront6targetE0EEEvT1_,@function
_ZN7rocprim17ROCPRIM_400000_NS6detail17trampoline_kernelINS0_14default_configENS1_25partition_config_selectorILNS1_17partition_subalgoE9EllbEEZZNS1_14partition_implILS5_9ELb0ES3_jPlS8_PNS0_10empty_typeENS0_5tupleIJS8_S9_EEENSB_IJS8_SA_EEENS0_18inequality_wrapperIZN2at6native12_GLOBAL__N_124unique_dim_cuda_templateIN3c104HalfEEESt5tupleIJNSF_6TensorESM_SM_EERKSM_lbbbEUlllE0_EEPmJS9_EEE10hipError_tPvRmT3_T4_T5_T6_T7_T9_mT8_P12ihipStream_tbDpT10_ENKUlT_T0_E_clISt17integral_constantIbLb1EES1B_IbLb0EEEEDaS17_S18_EUlS17_E_NS1_11comp_targetILNS1_3genE4ELNS1_11target_archE910ELNS1_3gpuE8ELNS1_3repE0EEENS1_30default_config_static_selectorELNS0_4arch9wavefront6targetE0EEEvT1_: ; @_ZN7rocprim17ROCPRIM_400000_NS6detail17trampoline_kernelINS0_14default_configENS1_25partition_config_selectorILNS1_17partition_subalgoE9EllbEEZZNS1_14partition_implILS5_9ELb0ES3_jPlS8_PNS0_10empty_typeENS0_5tupleIJS8_S9_EEENSB_IJS8_SA_EEENS0_18inequality_wrapperIZN2at6native12_GLOBAL__N_124unique_dim_cuda_templateIN3c104HalfEEESt5tupleIJNSF_6TensorESM_SM_EERKSM_lbbbEUlllE0_EEPmJS9_EEE10hipError_tPvRmT3_T4_T5_T6_T7_T9_mT8_P12ihipStream_tbDpT10_ENKUlT_T0_E_clISt17integral_constantIbLb1EES1B_IbLb0EEEEDaS17_S18_EUlS17_E_NS1_11comp_targetILNS1_3genE4ELNS1_11target_archE910ELNS1_3gpuE8ELNS1_3repE0EEENS1_30default_config_static_selectorELNS0_4arch9wavefront6targetE0EEEvT1_
; %bb.0:
	.section	.rodata,"a",@progbits
	.p2align	6, 0x0
	.amdhsa_kernel _ZN7rocprim17ROCPRIM_400000_NS6detail17trampoline_kernelINS0_14default_configENS1_25partition_config_selectorILNS1_17partition_subalgoE9EllbEEZZNS1_14partition_implILS5_9ELb0ES3_jPlS8_PNS0_10empty_typeENS0_5tupleIJS8_S9_EEENSB_IJS8_SA_EEENS0_18inequality_wrapperIZN2at6native12_GLOBAL__N_124unique_dim_cuda_templateIN3c104HalfEEESt5tupleIJNSF_6TensorESM_SM_EERKSM_lbbbEUlllE0_EEPmJS9_EEE10hipError_tPvRmT3_T4_T5_T6_T7_T9_mT8_P12ihipStream_tbDpT10_ENKUlT_T0_E_clISt17integral_constantIbLb1EES1B_IbLb0EEEEDaS17_S18_EUlS17_E_NS1_11comp_targetILNS1_3genE4ELNS1_11target_archE910ELNS1_3gpuE8ELNS1_3repE0EEENS1_30default_config_static_selectorELNS0_4arch9wavefront6targetE0EEEvT1_
		.amdhsa_group_segment_fixed_size 0
		.amdhsa_private_segment_fixed_size 0
		.amdhsa_kernarg_size 120
		.amdhsa_user_sgpr_count 2
		.amdhsa_user_sgpr_dispatch_ptr 0
		.amdhsa_user_sgpr_queue_ptr 0
		.amdhsa_user_sgpr_kernarg_segment_ptr 1
		.amdhsa_user_sgpr_dispatch_id 0
		.amdhsa_user_sgpr_kernarg_preload_length 0
		.amdhsa_user_sgpr_kernarg_preload_offset 0
		.amdhsa_user_sgpr_private_segment_size 0
		.amdhsa_wavefront_size32 1
		.amdhsa_uses_dynamic_stack 0
		.amdhsa_enable_private_segment 0
		.amdhsa_system_sgpr_workgroup_id_x 1
		.amdhsa_system_sgpr_workgroup_id_y 0
		.amdhsa_system_sgpr_workgroup_id_z 0
		.amdhsa_system_sgpr_workgroup_info 0
		.amdhsa_system_vgpr_workitem_id 0
		.amdhsa_next_free_vgpr 1
		.amdhsa_next_free_sgpr 1
		.amdhsa_named_barrier_count 0
		.amdhsa_reserve_vcc 0
		.amdhsa_float_round_mode_32 0
		.amdhsa_float_round_mode_16_64 0
		.amdhsa_float_denorm_mode_32 3
		.amdhsa_float_denorm_mode_16_64 3
		.amdhsa_fp16_overflow 0
		.amdhsa_memory_ordered 1
		.amdhsa_forward_progress 1
		.amdhsa_inst_pref_size 0
		.amdhsa_round_robin_scheduling 0
		.amdhsa_exception_fp_ieee_invalid_op 0
		.amdhsa_exception_fp_denorm_src 0
		.amdhsa_exception_fp_ieee_div_zero 0
		.amdhsa_exception_fp_ieee_overflow 0
		.amdhsa_exception_fp_ieee_underflow 0
		.amdhsa_exception_fp_ieee_inexact 0
		.amdhsa_exception_int_div_zero 0
	.end_amdhsa_kernel
	.section	.text._ZN7rocprim17ROCPRIM_400000_NS6detail17trampoline_kernelINS0_14default_configENS1_25partition_config_selectorILNS1_17partition_subalgoE9EllbEEZZNS1_14partition_implILS5_9ELb0ES3_jPlS8_PNS0_10empty_typeENS0_5tupleIJS8_S9_EEENSB_IJS8_SA_EEENS0_18inequality_wrapperIZN2at6native12_GLOBAL__N_124unique_dim_cuda_templateIN3c104HalfEEESt5tupleIJNSF_6TensorESM_SM_EERKSM_lbbbEUlllE0_EEPmJS9_EEE10hipError_tPvRmT3_T4_T5_T6_T7_T9_mT8_P12ihipStream_tbDpT10_ENKUlT_T0_E_clISt17integral_constantIbLb1EES1B_IbLb0EEEEDaS17_S18_EUlS17_E_NS1_11comp_targetILNS1_3genE4ELNS1_11target_archE910ELNS1_3gpuE8ELNS1_3repE0EEENS1_30default_config_static_selectorELNS0_4arch9wavefront6targetE0EEEvT1_,"axG",@progbits,_ZN7rocprim17ROCPRIM_400000_NS6detail17trampoline_kernelINS0_14default_configENS1_25partition_config_selectorILNS1_17partition_subalgoE9EllbEEZZNS1_14partition_implILS5_9ELb0ES3_jPlS8_PNS0_10empty_typeENS0_5tupleIJS8_S9_EEENSB_IJS8_SA_EEENS0_18inequality_wrapperIZN2at6native12_GLOBAL__N_124unique_dim_cuda_templateIN3c104HalfEEESt5tupleIJNSF_6TensorESM_SM_EERKSM_lbbbEUlllE0_EEPmJS9_EEE10hipError_tPvRmT3_T4_T5_T6_T7_T9_mT8_P12ihipStream_tbDpT10_ENKUlT_T0_E_clISt17integral_constantIbLb1EES1B_IbLb0EEEEDaS17_S18_EUlS17_E_NS1_11comp_targetILNS1_3genE4ELNS1_11target_archE910ELNS1_3gpuE8ELNS1_3repE0EEENS1_30default_config_static_selectorELNS0_4arch9wavefront6targetE0EEEvT1_,comdat
.Lfunc_end1347:
	.size	_ZN7rocprim17ROCPRIM_400000_NS6detail17trampoline_kernelINS0_14default_configENS1_25partition_config_selectorILNS1_17partition_subalgoE9EllbEEZZNS1_14partition_implILS5_9ELb0ES3_jPlS8_PNS0_10empty_typeENS0_5tupleIJS8_S9_EEENSB_IJS8_SA_EEENS0_18inequality_wrapperIZN2at6native12_GLOBAL__N_124unique_dim_cuda_templateIN3c104HalfEEESt5tupleIJNSF_6TensorESM_SM_EERKSM_lbbbEUlllE0_EEPmJS9_EEE10hipError_tPvRmT3_T4_T5_T6_T7_T9_mT8_P12ihipStream_tbDpT10_ENKUlT_T0_E_clISt17integral_constantIbLb1EES1B_IbLb0EEEEDaS17_S18_EUlS17_E_NS1_11comp_targetILNS1_3genE4ELNS1_11target_archE910ELNS1_3gpuE8ELNS1_3repE0EEENS1_30default_config_static_selectorELNS0_4arch9wavefront6targetE0EEEvT1_, .Lfunc_end1347-_ZN7rocprim17ROCPRIM_400000_NS6detail17trampoline_kernelINS0_14default_configENS1_25partition_config_selectorILNS1_17partition_subalgoE9EllbEEZZNS1_14partition_implILS5_9ELb0ES3_jPlS8_PNS0_10empty_typeENS0_5tupleIJS8_S9_EEENSB_IJS8_SA_EEENS0_18inequality_wrapperIZN2at6native12_GLOBAL__N_124unique_dim_cuda_templateIN3c104HalfEEESt5tupleIJNSF_6TensorESM_SM_EERKSM_lbbbEUlllE0_EEPmJS9_EEE10hipError_tPvRmT3_T4_T5_T6_T7_T9_mT8_P12ihipStream_tbDpT10_ENKUlT_T0_E_clISt17integral_constantIbLb1EES1B_IbLb0EEEEDaS17_S18_EUlS17_E_NS1_11comp_targetILNS1_3genE4ELNS1_11target_archE910ELNS1_3gpuE8ELNS1_3repE0EEENS1_30default_config_static_selectorELNS0_4arch9wavefront6targetE0EEEvT1_
                                        ; -- End function
	.set _ZN7rocprim17ROCPRIM_400000_NS6detail17trampoline_kernelINS0_14default_configENS1_25partition_config_selectorILNS1_17partition_subalgoE9EllbEEZZNS1_14partition_implILS5_9ELb0ES3_jPlS8_PNS0_10empty_typeENS0_5tupleIJS8_S9_EEENSB_IJS8_SA_EEENS0_18inequality_wrapperIZN2at6native12_GLOBAL__N_124unique_dim_cuda_templateIN3c104HalfEEESt5tupleIJNSF_6TensorESM_SM_EERKSM_lbbbEUlllE0_EEPmJS9_EEE10hipError_tPvRmT3_T4_T5_T6_T7_T9_mT8_P12ihipStream_tbDpT10_ENKUlT_T0_E_clISt17integral_constantIbLb1EES1B_IbLb0EEEEDaS17_S18_EUlS17_E_NS1_11comp_targetILNS1_3genE4ELNS1_11target_archE910ELNS1_3gpuE8ELNS1_3repE0EEENS1_30default_config_static_selectorELNS0_4arch9wavefront6targetE0EEEvT1_.num_vgpr, 0
	.set _ZN7rocprim17ROCPRIM_400000_NS6detail17trampoline_kernelINS0_14default_configENS1_25partition_config_selectorILNS1_17partition_subalgoE9EllbEEZZNS1_14partition_implILS5_9ELb0ES3_jPlS8_PNS0_10empty_typeENS0_5tupleIJS8_S9_EEENSB_IJS8_SA_EEENS0_18inequality_wrapperIZN2at6native12_GLOBAL__N_124unique_dim_cuda_templateIN3c104HalfEEESt5tupleIJNSF_6TensorESM_SM_EERKSM_lbbbEUlllE0_EEPmJS9_EEE10hipError_tPvRmT3_T4_T5_T6_T7_T9_mT8_P12ihipStream_tbDpT10_ENKUlT_T0_E_clISt17integral_constantIbLb1EES1B_IbLb0EEEEDaS17_S18_EUlS17_E_NS1_11comp_targetILNS1_3genE4ELNS1_11target_archE910ELNS1_3gpuE8ELNS1_3repE0EEENS1_30default_config_static_selectorELNS0_4arch9wavefront6targetE0EEEvT1_.num_agpr, 0
	.set _ZN7rocprim17ROCPRIM_400000_NS6detail17trampoline_kernelINS0_14default_configENS1_25partition_config_selectorILNS1_17partition_subalgoE9EllbEEZZNS1_14partition_implILS5_9ELb0ES3_jPlS8_PNS0_10empty_typeENS0_5tupleIJS8_S9_EEENSB_IJS8_SA_EEENS0_18inequality_wrapperIZN2at6native12_GLOBAL__N_124unique_dim_cuda_templateIN3c104HalfEEESt5tupleIJNSF_6TensorESM_SM_EERKSM_lbbbEUlllE0_EEPmJS9_EEE10hipError_tPvRmT3_T4_T5_T6_T7_T9_mT8_P12ihipStream_tbDpT10_ENKUlT_T0_E_clISt17integral_constantIbLb1EES1B_IbLb0EEEEDaS17_S18_EUlS17_E_NS1_11comp_targetILNS1_3genE4ELNS1_11target_archE910ELNS1_3gpuE8ELNS1_3repE0EEENS1_30default_config_static_selectorELNS0_4arch9wavefront6targetE0EEEvT1_.numbered_sgpr, 0
	.set _ZN7rocprim17ROCPRIM_400000_NS6detail17trampoline_kernelINS0_14default_configENS1_25partition_config_selectorILNS1_17partition_subalgoE9EllbEEZZNS1_14partition_implILS5_9ELb0ES3_jPlS8_PNS0_10empty_typeENS0_5tupleIJS8_S9_EEENSB_IJS8_SA_EEENS0_18inequality_wrapperIZN2at6native12_GLOBAL__N_124unique_dim_cuda_templateIN3c104HalfEEESt5tupleIJNSF_6TensorESM_SM_EERKSM_lbbbEUlllE0_EEPmJS9_EEE10hipError_tPvRmT3_T4_T5_T6_T7_T9_mT8_P12ihipStream_tbDpT10_ENKUlT_T0_E_clISt17integral_constantIbLb1EES1B_IbLb0EEEEDaS17_S18_EUlS17_E_NS1_11comp_targetILNS1_3genE4ELNS1_11target_archE910ELNS1_3gpuE8ELNS1_3repE0EEENS1_30default_config_static_selectorELNS0_4arch9wavefront6targetE0EEEvT1_.num_named_barrier, 0
	.set _ZN7rocprim17ROCPRIM_400000_NS6detail17trampoline_kernelINS0_14default_configENS1_25partition_config_selectorILNS1_17partition_subalgoE9EllbEEZZNS1_14partition_implILS5_9ELb0ES3_jPlS8_PNS0_10empty_typeENS0_5tupleIJS8_S9_EEENSB_IJS8_SA_EEENS0_18inequality_wrapperIZN2at6native12_GLOBAL__N_124unique_dim_cuda_templateIN3c104HalfEEESt5tupleIJNSF_6TensorESM_SM_EERKSM_lbbbEUlllE0_EEPmJS9_EEE10hipError_tPvRmT3_T4_T5_T6_T7_T9_mT8_P12ihipStream_tbDpT10_ENKUlT_T0_E_clISt17integral_constantIbLb1EES1B_IbLb0EEEEDaS17_S18_EUlS17_E_NS1_11comp_targetILNS1_3genE4ELNS1_11target_archE910ELNS1_3gpuE8ELNS1_3repE0EEENS1_30default_config_static_selectorELNS0_4arch9wavefront6targetE0EEEvT1_.private_seg_size, 0
	.set _ZN7rocprim17ROCPRIM_400000_NS6detail17trampoline_kernelINS0_14default_configENS1_25partition_config_selectorILNS1_17partition_subalgoE9EllbEEZZNS1_14partition_implILS5_9ELb0ES3_jPlS8_PNS0_10empty_typeENS0_5tupleIJS8_S9_EEENSB_IJS8_SA_EEENS0_18inequality_wrapperIZN2at6native12_GLOBAL__N_124unique_dim_cuda_templateIN3c104HalfEEESt5tupleIJNSF_6TensorESM_SM_EERKSM_lbbbEUlllE0_EEPmJS9_EEE10hipError_tPvRmT3_T4_T5_T6_T7_T9_mT8_P12ihipStream_tbDpT10_ENKUlT_T0_E_clISt17integral_constantIbLb1EES1B_IbLb0EEEEDaS17_S18_EUlS17_E_NS1_11comp_targetILNS1_3genE4ELNS1_11target_archE910ELNS1_3gpuE8ELNS1_3repE0EEENS1_30default_config_static_selectorELNS0_4arch9wavefront6targetE0EEEvT1_.uses_vcc, 0
	.set _ZN7rocprim17ROCPRIM_400000_NS6detail17trampoline_kernelINS0_14default_configENS1_25partition_config_selectorILNS1_17partition_subalgoE9EllbEEZZNS1_14partition_implILS5_9ELb0ES3_jPlS8_PNS0_10empty_typeENS0_5tupleIJS8_S9_EEENSB_IJS8_SA_EEENS0_18inequality_wrapperIZN2at6native12_GLOBAL__N_124unique_dim_cuda_templateIN3c104HalfEEESt5tupleIJNSF_6TensorESM_SM_EERKSM_lbbbEUlllE0_EEPmJS9_EEE10hipError_tPvRmT3_T4_T5_T6_T7_T9_mT8_P12ihipStream_tbDpT10_ENKUlT_T0_E_clISt17integral_constantIbLb1EES1B_IbLb0EEEEDaS17_S18_EUlS17_E_NS1_11comp_targetILNS1_3genE4ELNS1_11target_archE910ELNS1_3gpuE8ELNS1_3repE0EEENS1_30default_config_static_selectorELNS0_4arch9wavefront6targetE0EEEvT1_.uses_flat_scratch, 0
	.set _ZN7rocprim17ROCPRIM_400000_NS6detail17trampoline_kernelINS0_14default_configENS1_25partition_config_selectorILNS1_17partition_subalgoE9EllbEEZZNS1_14partition_implILS5_9ELb0ES3_jPlS8_PNS0_10empty_typeENS0_5tupleIJS8_S9_EEENSB_IJS8_SA_EEENS0_18inequality_wrapperIZN2at6native12_GLOBAL__N_124unique_dim_cuda_templateIN3c104HalfEEESt5tupleIJNSF_6TensorESM_SM_EERKSM_lbbbEUlllE0_EEPmJS9_EEE10hipError_tPvRmT3_T4_T5_T6_T7_T9_mT8_P12ihipStream_tbDpT10_ENKUlT_T0_E_clISt17integral_constantIbLb1EES1B_IbLb0EEEEDaS17_S18_EUlS17_E_NS1_11comp_targetILNS1_3genE4ELNS1_11target_archE910ELNS1_3gpuE8ELNS1_3repE0EEENS1_30default_config_static_selectorELNS0_4arch9wavefront6targetE0EEEvT1_.has_dyn_sized_stack, 0
	.set _ZN7rocprim17ROCPRIM_400000_NS6detail17trampoline_kernelINS0_14default_configENS1_25partition_config_selectorILNS1_17partition_subalgoE9EllbEEZZNS1_14partition_implILS5_9ELb0ES3_jPlS8_PNS0_10empty_typeENS0_5tupleIJS8_S9_EEENSB_IJS8_SA_EEENS0_18inequality_wrapperIZN2at6native12_GLOBAL__N_124unique_dim_cuda_templateIN3c104HalfEEESt5tupleIJNSF_6TensorESM_SM_EERKSM_lbbbEUlllE0_EEPmJS9_EEE10hipError_tPvRmT3_T4_T5_T6_T7_T9_mT8_P12ihipStream_tbDpT10_ENKUlT_T0_E_clISt17integral_constantIbLb1EES1B_IbLb0EEEEDaS17_S18_EUlS17_E_NS1_11comp_targetILNS1_3genE4ELNS1_11target_archE910ELNS1_3gpuE8ELNS1_3repE0EEENS1_30default_config_static_selectorELNS0_4arch9wavefront6targetE0EEEvT1_.has_recursion, 0
	.set _ZN7rocprim17ROCPRIM_400000_NS6detail17trampoline_kernelINS0_14default_configENS1_25partition_config_selectorILNS1_17partition_subalgoE9EllbEEZZNS1_14partition_implILS5_9ELb0ES3_jPlS8_PNS0_10empty_typeENS0_5tupleIJS8_S9_EEENSB_IJS8_SA_EEENS0_18inequality_wrapperIZN2at6native12_GLOBAL__N_124unique_dim_cuda_templateIN3c104HalfEEESt5tupleIJNSF_6TensorESM_SM_EERKSM_lbbbEUlllE0_EEPmJS9_EEE10hipError_tPvRmT3_T4_T5_T6_T7_T9_mT8_P12ihipStream_tbDpT10_ENKUlT_T0_E_clISt17integral_constantIbLb1EES1B_IbLb0EEEEDaS17_S18_EUlS17_E_NS1_11comp_targetILNS1_3genE4ELNS1_11target_archE910ELNS1_3gpuE8ELNS1_3repE0EEENS1_30default_config_static_selectorELNS0_4arch9wavefront6targetE0EEEvT1_.has_indirect_call, 0
	.section	.AMDGPU.csdata,"",@progbits
; Kernel info:
; codeLenInByte = 0
; TotalNumSgprs: 0
; NumVgprs: 0
; ScratchSize: 0
; MemoryBound: 0
; FloatMode: 240
; IeeeMode: 1
; LDSByteSize: 0 bytes/workgroup (compile time only)
; SGPRBlocks: 0
; VGPRBlocks: 0
; NumSGPRsForWavesPerEU: 1
; NumVGPRsForWavesPerEU: 1
; NamedBarCnt: 0
; Occupancy: 16
; WaveLimiterHint : 0
; COMPUTE_PGM_RSRC2:SCRATCH_EN: 0
; COMPUTE_PGM_RSRC2:USER_SGPR: 2
; COMPUTE_PGM_RSRC2:TRAP_HANDLER: 0
; COMPUTE_PGM_RSRC2:TGID_X_EN: 1
; COMPUTE_PGM_RSRC2:TGID_Y_EN: 0
; COMPUTE_PGM_RSRC2:TGID_Z_EN: 0
; COMPUTE_PGM_RSRC2:TIDIG_COMP_CNT: 0
	.section	.text._ZN7rocprim17ROCPRIM_400000_NS6detail17trampoline_kernelINS0_14default_configENS1_25partition_config_selectorILNS1_17partition_subalgoE9EllbEEZZNS1_14partition_implILS5_9ELb0ES3_jPlS8_PNS0_10empty_typeENS0_5tupleIJS8_S9_EEENSB_IJS8_SA_EEENS0_18inequality_wrapperIZN2at6native12_GLOBAL__N_124unique_dim_cuda_templateIN3c104HalfEEESt5tupleIJNSF_6TensorESM_SM_EERKSM_lbbbEUlllE0_EEPmJS9_EEE10hipError_tPvRmT3_T4_T5_T6_T7_T9_mT8_P12ihipStream_tbDpT10_ENKUlT_T0_E_clISt17integral_constantIbLb1EES1B_IbLb0EEEEDaS17_S18_EUlS17_E_NS1_11comp_targetILNS1_3genE3ELNS1_11target_archE908ELNS1_3gpuE7ELNS1_3repE0EEENS1_30default_config_static_selectorELNS0_4arch9wavefront6targetE0EEEvT1_,"axG",@progbits,_ZN7rocprim17ROCPRIM_400000_NS6detail17trampoline_kernelINS0_14default_configENS1_25partition_config_selectorILNS1_17partition_subalgoE9EllbEEZZNS1_14partition_implILS5_9ELb0ES3_jPlS8_PNS0_10empty_typeENS0_5tupleIJS8_S9_EEENSB_IJS8_SA_EEENS0_18inequality_wrapperIZN2at6native12_GLOBAL__N_124unique_dim_cuda_templateIN3c104HalfEEESt5tupleIJNSF_6TensorESM_SM_EERKSM_lbbbEUlllE0_EEPmJS9_EEE10hipError_tPvRmT3_T4_T5_T6_T7_T9_mT8_P12ihipStream_tbDpT10_ENKUlT_T0_E_clISt17integral_constantIbLb1EES1B_IbLb0EEEEDaS17_S18_EUlS17_E_NS1_11comp_targetILNS1_3genE3ELNS1_11target_archE908ELNS1_3gpuE7ELNS1_3repE0EEENS1_30default_config_static_selectorELNS0_4arch9wavefront6targetE0EEEvT1_,comdat
	.globl	_ZN7rocprim17ROCPRIM_400000_NS6detail17trampoline_kernelINS0_14default_configENS1_25partition_config_selectorILNS1_17partition_subalgoE9EllbEEZZNS1_14partition_implILS5_9ELb0ES3_jPlS8_PNS0_10empty_typeENS0_5tupleIJS8_S9_EEENSB_IJS8_SA_EEENS0_18inequality_wrapperIZN2at6native12_GLOBAL__N_124unique_dim_cuda_templateIN3c104HalfEEESt5tupleIJNSF_6TensorESM_SM_EERKSM_lbbbEUlllE0_EEPmJS9_EEE10hipError_tPvRmT3_T4_T5_T6_T7_T9_mT8_P12ihipStream_tbDpT10_ENKUlT_T0_E_clISt17integral_constantIbLb1EES1B_IbLb0EEEEDaS17_S18_EUlS17_E_NS1_11comp_targetILNS1_3genE3ELNS1_11target_archE908ELNS1_3gpuE7ELNS1_3repE0EEENS1_30default_config_static_selectorELNS0_4arch9wavefront6targetE0EEEvT1_ ; -- Begin function _ZN7rocprim17ROCPRIM_400000_NS6detail17trampoline_kernelINS0_14default_configENS1_25partition_config_selectorILNS1_17partition_subalgoE9EllbEEZZNS1_14partition_implILS5_9ELb0ES3_jPlS8_PNS0_10empty_typeENS0_5tupleIJS8_S9_EEENSB_IJS8_SA_EEENS0_18inequality_wrapperIZN2at6native12_GLOBAL__N_124unique_dim_cuda_templateIN3c104HalfEEESt5tupleIJNSF_6TensorESM_SM_EERKSM_lbbbEUlllE0_EEPmJS9_EEE10hipError_tPvRmT3_T4_T5_T6_T7_T9_mT8_P12ihipStream_tbDpT10_ENKUlT_T0_E_clISt17integral_constantIbLb1EES1B_IbLb0EEEEDaS17_S18_EUlS17_E_NS1_11comp_targetILNS1_3genE3ELNS1_11target_archE908ELNS1_3gpuE7ELNS1_3repE0EEENS1_30default_config_static_selectorELNS0_4arch9wavefront6targetE0EEEvT1_
	.p2align	8
	.type	_ZN7rocprim17ROCPRIM_400000_NS6detail17trampoline_kernelINS0_14default_configENS1_25partition_config_selectorILNS1_17partition_subalgoE9EllbEEZZNS1_14partition_implILS5_9ELb0ES3_jPlS8_PNS0_10empty_typeENS0_5tupleIJS8_S9_EEENSB_IJS8_SA_EEENS0_18inequality_wrapperIZN2at6native12_GLOBAL__N_124unique_dim_cuda_templateIN3c104HalfEEESt5tupleIJNSF_6TensorESM_SM_EERKSM_lbbbEUlllE0_EEPmJS9_EEE10hipError_tPvRmT3_T4_T5_T6_T7_T9_mT8_P12ihipStream_tbDpT10_ENKUlT_T0_E_clISt17integral_constantIbLb1EES1B_IbLb0EEEEDaS17_S18_EUlS17_E_NS1_11comp_targetILNS1_3genE3ELNS1_11target_archE908ELNS1_3gpuE7ELNS1_3repE0EEENS1_30default_config_static_selectorELNS0_4arch9wavefront6targetE0EEEvT1_,@function
_ZN7rocprim17ROCPRIM_400000_NS6detail17trampoline_kernelINS0_14default_configENS1_25partition_config_selectorILNS1_17partition_subalgoE9EllbEEZZNS1_14partition_implILS5_9ELb0ES3_jPlS8_PNS0_10empty_typeENS0_5tupleIJS8_S9_EEENSB_IJS8_SA_EEENS0_18inequality_wrapperIZN2at6native12_GLOBAL__N_124unique_dim_cuda_templateIN3c104HalfEEESt5tupleIJNSF_6TensorESM_SM_EERKSM_lbbbEUlllE0_EEPmJS9_EEE10hipError_tPvRmT3_T4_T5_T6_T7_T9_mT8_P12ihipStream_tbDpT10_ENKUlT_T0_E_clISt17integral_constantIbLb1EES1B_IbLb0EEEEDaS17_S18_EUlS17_E_NS1_11comp_targetILNS1_3genE3ELNS1_11target_archE908ELNS1_3gpuE7ELNS1_3repE0EEENS1_30default_config_static_selectorELNS0_4arch9wavefront6targetE0EEEvT1_: ; @_ZN7rocprim17ROCPRIM_400000_NS6detail17trampoline_kernelINS0_14default_configENS1_25partition_config_selectorILNS1_17partition_subalgoE9EllbEEZZNS1_14partition_implILS5_9ELb0ES3_jPlS8_PNS0_10empty_typeENS0_5tupleIJS8_S9_EEENSB_IJS8_SA_EEENS0_18inequality_wrapperIZN2at6native12_GLOBAL__N_124unique_dim_cuda_templateIN3c104HalfEEESt5tupleIJNSF_6TensorESM_SM_EERKSM_lbbbEUlllE0_EEPmJS9_EEE10hipError_tPvRmT3_T4_T5_T6_T7_T9_mT8_P12ihipStream_tbDpT10_ENKUlT_T0_E_clISt17integral_constantIbLb1EES1B_IbLb0EEEEDaS17_S18_EUlS17_E_NS1_11comp_targetILNS1_3genE3ELNS1_11target_archE908ELNS1_3gpuE7ELNS1_3repE0EEENS1_30default_config_static_selectorELNS0_4arch9wavefront6targetE0EEEvT1_
; %bb.0:
	.section	.rodata,"a",@progbits
	.p2align	6, 0x0
	.amdhsa_kernel _ZN7rocprim17ROCPRIM_400000_NS6detail17trampoline_kernelINS0_14default_configENS1_25partition_config_selectorILNS1_17partition_subalgoE9EllbEEZZNS1_14partition_implILS5_9ELb0ES3_jPlS8_PNS0_10empty_typeENS0_5tupleIJS8_S9_EEENSB_IJS8_SA_EEENS0_18inequality_wrapperIZN2at6native12_GLOBAL__N_124unique_dim_cuda_templateIN3c104HalfEEESt5tupleIJNSF_6TensorESM_SM_EERKSM_lbbbEUlllE0_EEPmJS9_EEE10hipError_tPvRmT3_T4_T5_T6_T7_T9_mT8_P12ihipStream_tbDpT10_ENKUlT_T0_E_clISt17integral_constantIbLb1EES1B_IbLb0EEEEDaS17_S18_EUlS17_E_NS1_11comp_targetILNS1_3genE3ELNS1_11target_archE908ELNS1_3gpuE7ELNS1_3repE0EEENS1_30default_config_static_selectorELNS0_4arch9wavefront6targetE0EEEvT1_
		.amdhsa_group_segment_fixed_size 0
		.amdhsa_private_segment_fixed_size 0
		.amdhsa_kernarg_size 120
		.amdhsa_user_sgpr_count 2
		.amdhsa_user_sgpr_dispatch_ptr 0
		.amdhsa_user_sgpr_queue_ptr 0
		.amdhsa_user_sgpr_kernarg_segment_ptr 1
		.amdhsa_user_sgpr_dispatch_id 0
		.amdhsa_user_sgpr_kernarg_preload_length 0
		.amdhsa_user_sgpr_kernarg_preload_offset 0
		.amdhsa_user_sgpr_private_segment_size 0
		.amdhsa_wavefront_size32 1
		.amdhsa_uses_dynamic_stack 0
		.amdhsa_enable_private_segment 0
		.amdhsa_system_sgpr_workgroup_id_x 1
		.amdhsa_system_sgpr_workgroup_id_y 0
		.amdhsa_system_sgpr_workgroup_id_z 0
		.amdhsa_system_sgpr_workgroup_info 0
		.amdhsa_system_vgpr_workitem_id 0
		.amdhsa_next_free_vgpr 1
		.amdhsa_next_free_sgpr 1
		.amdhsa_named_barrier_count 0
		.amdhsa_reserve_vcc 0
		.amdhsa_float_round_mode_32 0
		.amdhsa_float_round_mode_16_64 0
		.amdhsa_float_denorm_mode_32 3
		.amdhsa_float_denorm_mode_16_64 3
		.amdhsa_fp16_overflow 0
		.amdhsa_memory_ordered 1
		.amdhsa_forward_progress 1
		.amdhsa_inst_pref_size 0
		.amdhsa_round_robin_scheduling 0
		.amdhsa_exception_fp_ieee_invalid_op 0
		.amdhsa_exception_fp_denorm_src 0
		.amdhsa_exception_fp_ieee_div_zero 0
		.amdhsa_exception_fp_ieee_overflow 0
		.amdhsa_exception_fp_ieee_underflow 0
		.amdhsa_exception_fp_ieee_inexact 0
		.amdhsa_exception_int_div_zero 0
	.end_amdhsa_kernel
	.section	.text._ZN7rocprim17ROCPRIM_400000_NS6detail17trampoline_kernelINS0_14default_configENS1_25partition_config_selectorILNS1_17partition_subalgoE9EllbEEZZNS1_14partition_implILS5_9ELb0ES3_jPlS8_PNS0_10empty_typeENS0_5tupleIJS8_S9_EEENSB_IJS8_SA_EEENS0_18inequality_wrapperIZN2at6native12_GLOBAL__N_124unique_dim_cuda_templateIN3c104HalfEEESt5tupleIJNSF_6TensorESM_SM_EERKSM_lbbbEUlllE0_EEPmJS9_EEE10hipError_tPvRmT3_T4_T5_T6_T7_T9_mT8_P12ihipStream_tbDpT10_ENKUlT_T0_E_clISt17integral_constantIbLb1EES1B_IbLb0EEEEDaS17_S18_EUlS17_E_NS1_11comp_targetILNS1_3genE3ELNS1_11target_archE908ELNS1_3gpuE7ELNS1_3repE0EEENS1_30default_config_static_selectorELNS0_4arch9wavefront6targetE0EEEvT1_,"axG",@progbits,_ZN7rocprim17ROCPRIM_400000_NS6detail17trampoline_kernelINS0_14default_configENS1_25partition_config_selectorILNS1_17partition_subalgoE9EllbEEZZNS1_14partition_implILS5_9ELb0ES3_jPlS8_PNS0_10empty_typeENS0_5tupleIJS8_S9_EEENSB_IJS8_SA_EEENS0_18inequality_wrapperIZN2at6native12_GLOBAL__N_124unique_dim_cuda_templateIN3c104HalfEEESt5tupleIJNSF_6TensorESM_SM_EERKSM_lbbbEUlllE0_EEPmJS9_EEE10hipError_tPvRmT3_T4_T5_T6_T7_T9_mT8_P12ihipStream_tbDpT10_ENKUlT_T0_E_clISt17integral_constantIbLb1EES1B_IbLb0EEEEDaS17_S18_EUlS17_E_NS1_11comp_targetILNS1_3genE3ELNS1_11target_archE908ELNS1_3gpuE7ELNS1_3repE0EEENS1_30default_config_static_selectorELNS0_4arch9wavefront6targetE0EEEvT1_,comdat
.Lfunc_end1348:
	.size	_ZN7rocprim17ROCPRIM_400000_NS6detail17trampoline_kernelINS0_14default_configENS1_25partition_config_selectorILNS1_17partition_subalgoE9EllbEEZZNS1_14partition_implILS5_9ELb0ES3_jPlS8_PNS0_10empty_typeENS0_5tupleIJS8_S9_EEENSB_IJS8_SA_EEENS0_18inequality_wrapperIZN2at6native12_GLOBAL__N_124unique_dim_cuda_templateIN3c104HalfEEESt5tupleIJNSF_6TensorESM_SM_EERKSM_lbbbEUlllE0_EEPmJS9_EEE10hipError_tPvRmT3_T4_T5_T6_T7_T9_mT8_P12ihipStream_tbDpT10_ENKUlT_T0_E_clISt17integral_constantIbLb1EES1B_IbLb0EEEEDaS17_S18_EUlS17_E_NS1_11comp_targetILNS1_3genE3ELNS1_11target_archE908ELNS1_3gpuE7ELNS1_3repE0EEENS1_30default_config_static_selectorELNS0_4arch9wavefront6targetE0EEEvT1_, .Lfunc_end1348-_ZN7rocprim17ROCPRIM_400000_NS6detail17trampoline_kernelINS0_14default_configENS1_25partition_config_selectorILNS1_17partition_subalgoE9EllbEEZZNS1_14partition_implILS5_9ELb0ES3_jPlS8_PNS0_10empty_typeENS0_5tupleIJS8_S9_EEENSB_IJS8_SA_EEENS0_18inequality_wrapperIZN2at6native12_GLOBAL__N_124unique_dim_cuda_templateIN3c104HalfEEESt5tupleIJNSF_6TensorESM_SM_EERKSM_lbbbEUlllE0_EEPmJS9_EEE10hipError_tPvRmT3_T4_T5_T6_T7_T9_mT8_P12ihipStream_tbDpT10_ENKUlT_T0_E_clISt17integral_constantIbLb1EES1B_IbLb0EEEEDaS17_S18_EUlS17_E_NS1_11comp_targetILNS1_3genE3ELNS1_11target_archE908ELNS1_3gpuE7ELNS1_3repE0EEENS1_30default_config_static_selectorELNS0_4arch9wavefront6targetE0EEEvT1_
                                        ; -- End function
	.set _ZN7rocprim17ROCPRIM_400000_NS6detail17trampoline_kernelINS0_14default_configENS1_25partition_config_selectorILNS1_17partition_subalgoE9EllbEEZZNS1_14partition_implILS5_9ELb0ES3_jPlS8_PNS0_10empty_typeENS0_5tupleIJS8_S9_EEENSB_IJS8_SA_EEENS0_18inequality_wrapperIZN2at6native12_GLOBAL__N_124unique_dim_cuda_templateIN3c104HalfEEESt5tupleIJNSF_6TensorESM_SM_EERKSM_lbbbEUlllE0_EEPmJS9_EEE10hipError_tPvRmT3_T4_T5_T6_T7_T9_mT8_P12ihipStream_tbDpT10_ENKUlT_T0_E_clISt17integral_constantIbLb1EES1B_IbLb0EEEEDaS17_S18_EUlS17_E_NS1_11comp_targetILNS1_3genE3ELNS1_11target_archE908ELNS1_3gpuE7ELNS1_3repE0EEENS1_30default_config_static_selectorELNS0_4arch9wavefront6targetE0EEEvT1_.num_vgpr, 0
	.set _ZN7rocprim17ROCPRIM_400000_NS6detail17trampoline_kernelINS0_14default_configENS1_25partition_config_selectorILNS1_17partition_subalgoE9EllbEEZZNS1_14partition_implILS5_9ELb0ES3_jPlS8_PNS0_10empty_typeENS0_5tupleIJS8_S9_EEENSB_IJS8_SA_EEENS0_18inequality_wrapperIZN2at6native12_GLOBAL__N_124unique_dim_cuda_templateIN3c104HalfEEESt5tupleIJNSF_6TensorESM_SM_EERKSM_lbbbEUlllE0_EEPmJS9_EEE10hipError_tPvRmT3_T4_T5_T6_T7_T9_mT8_P12ihipStream_tbDpT10_ENKUlT_T0_E_clISt17integral_constantIbLb1EES1B_IbLb0EEEEDaS17_S18_EUlS17_E_NS1_11comp_targetILNS1_3genE3ELNS1_11target_archE908ELNS1_3gpuE7ELNS1_3repE0EEENS1_30default_config_static_selectorELNS0_4arch9wavefront6targetE0EEEvT1_.num_agpr, 0
	.set _ZN7rocprim17ROCPRIM_400000_NS6detail17trampoline_kernelINS0_14default_configENS1_25partition_config_selectorILNS1_17partition_subalgoE9EllbEEZZNS1_14partition_implILS5_9ELb0ES3_jPlS8_PNS0_10empty_typeENS0_5tupleIJS8_S9_EEENSB_IJS8_SA_EEENS0_18inequality_wrapperIZN2at6native12_GLOBAL__N_124unique_dim_cuda_templateIN3c104HalfEEESt5tupleIJNSF_6TensorESM_SM_EERKSM_lbbbEUlllE0_EEPmJS9_EEE10hipError_tPvRmT3_T4_T5_T6_T7_T9_mT8_P12ihipStream_tbDpT10_ENKUlT_T0_E_clISt17integral_constantIbLb1EES1B_IbLb0EEEEDaS17_S18_EUlS17_E_NS1_11comp_targetILNS1_3genE3ELNS1_11target_archE908ELNS1_3gpuE7ELNS1_3repE0EEENS1_30default_config_static_selectorELNS0_4arch9wavefront6targetE0EEEvT1_.numbered_sgpr, 0
	.set _ZN7rocprim17ROCPRIM_400000_NS6detail17trampoline_kernelINS0_14default_configENS1_25partition_config_selectorILNS1_17partition_subalgoE9EllbEEZZNS1_14partition_implILS5_9ELb0ES3_jPlS8_PNS0_10empty_typeENS0_5tupleIJS8_S9_EEENSB_IJS8_SA_EEENS0_18inequality_wrapperIZN2at6native12_GLOBAL__N_124unique_dim_cuda_templateIN3c104HalfEEESt5tupleIJNSF_6TensorESM_SM_EERKSM_lbbbEUlllE0_EEPmJS9_EEE10hipError_tPvRmT3_T4_T5_T6_T7_T9_mT8_P12ihipStream_tbDpT10_ENKUlT_T0_E_clISt17integral_constantIbLb1EES1B_IbLb0EEEEDaS17_S18_EUlS17_E_NS1_11comp_targetILNS1_3genE3ELNS1_11target_archE908ELNS1_3gpuE7ELNS1_3repE0EEENS1_30default_config_static_selectorELNS0_4arch9wavefront6targetE0EEEvT1_.num_named_barrier, 0
	.set _ZN7rocprim17ROCPRIM_400000_NS6detail17trampoline_kernelINS0_14default_configENS1_25partition_config_selectorILNS1_17partition_subalgoE9EllbEEZZNS1_14partition_implILS5_9ELb0ES3_jPlS8_PNS0_10empty_typeENS0_5tupleIJS8_S9_EEENSB_IJS8_SA_EEENS0_18inequality_wrapperIZN2at6native12_GLOBAL__N_124unique_dim_cuda_templateIN3c104HalfEEESt5tupleIJNSF_6TensorESM_SM_EERKSM_lbbbEUlllE0_EEPmJS9_EEE10hipError_tPvRmT3_T4_T5_T6_T7_T9_mT8_P12ihipStream_tbDpT10_ENKUlT_T0_E_clISt17integral_constantIbLb1EES1B_IbLb0EEEEDaS17_S18_EUlS17_E_NS1_11comp_targetILNS1_3genE3ELNS1_11target_archE908ELNS1_3gpuE7ELNS1_3repE0EEENS1_30default_config_static_selectorELNS0_4arch9wavefront6targetE0EEEvT1_.private_seg_size, 0
	.set _ZN7rocprim17ROCPRIM_400000_NS6detail17trampoline_kernelINS0_14default_configENS1_25partition_config_selectorILNS1_17partition_subalgoE9EllbEEZZNS1_14partition_implILS5_9ELb0ES3_jPlS8_PNS0_10empty_typeENS0_5tupleIJS8_S9_EEENSB_IJS8_SA_EEENS0_18inequality_wrapperIZN2at6native12_GLOBAL__N_124unique_dim_cuda_templateIN3c104HalfEEESt5tupleIJNSF_6TensorESM_SM_EERKSM_lbbbEUlllE0_EEPmJS9_EEE10hipError_tPvRmT3_T4_T5_T6_T7_T9_mT8_P12ihipStream_tbDpT10_ENKUlT_T0_E_clISt17integral_constantIbLb1EES1B_IbLb0EEEEDaS17_S18_EUlS17_E_NS1_11comp_targetILNS1_3genE3ELNS1_11target_archE908ELNS1_3gpuE7ELNS1_3repE0EEENS1_30default_config_static_selectorELNS0_4arch9wavefront6targetE0EEEvT1_.uses_vcc, 0
	.set _ZN7rocprim17ROCPRIM_400000_NS6detail17trampoline_kernelINS0_14default_configENS1_25partition_config_selectorILNS1_17partition_subalgoE9EllbEEZZNS1_14partition_implILS5_9ELb0ES3_jPlS8_PNS0_10empty_typeENS0_5tupleIJS8_S9_EEENSB_IJS8_SA_EEENS0_18inequality_wrapperIZN2at6native12_GLOBAL__N_124unique_dim_cuda_templateIN3c104HalfEEESt5tupleIJNSF_6TensorESM_SM_EERKSM_lbbbEUlllE0_EEPmJS9_EEE10hipError_tPvRmT3_T4_T5_T6_T7_T9_mT8_P12ihipStream_tbDpT10_ENKUlT_T0_E_clISt17integral_constantIbLb1EES1B_IbLb0EEEEDaS17_S18_EUlS17_E_NS1_11comp_targetILNS1_3genE3ELNS1_11target_archE908ELNS1_3gpuE7ELNS1_3repE0EEENS1_30default_config_static_selectorELNS0_4arch9wavefront6targetE0EEEvT1_.uses_flat_scratch, 0
	.set _ZN7rocprim17ROCPRIM_400000_NS6detail17trampoline_kernelINS0_14default_configENS1_25partition_config_selectorILNS1_17partition_subalgoE9EllbEEZZNS1_14partition_implILS5_9ELb0ES3_jPlS8_PNS0_10empty_typeENS0_5tupleIJS8_S9_EEENSB_IJS8_SA_EEENS0_18inequality_wrapperIZN2at6native12_GLOBAL__N_124unique_dim_cuda_templateIN3c104HalfEEESt5tupleIJNSF_6TensorESM_SM_EERKSM_lbbbEUlllE0_EEPmJS9_EEE10hipError_tPvRmT3_T4_T5_T6_T7_T9_mT8_P12ihipStream_tbDpT10_ENKUlT_T0_E_clISt17integral_constantIbLb1EES1B_IbLb0EEEEDaS17_S18_EUlS17_E_NS1_11comp_targetILNS1_3genE3ELNS1_11target_archE908ELNS1_3gpuE7ELNS1_3repE0EEENS1_30default_config_static_selectorELNS0_4arch9wavefront6targetE0EEEvT1_.has_dyn_sized_stack, 0
	.set _ZN7rocprim17ROCPRIM_400000_NS6detail17trampoline_kernelINS0_14default_configENS1_25partition_config_selectorILNS1_17partition_subalgoE9EllbEEZZNS1_14partition_implILS5_9ELb0ES3_jPlS8_PNS0_10empty_typeENS0_5tupleIJS8_S9_EEENSB_IJS8_SA_EEENS0_18inequality_wrapperIZN2at6native12_GLOBAL__N_124unique_dim_cuda_templateIN3c104HalfEEESt5tupleIJNSF_6TensorESM_SM_EERKSM_lbbbEUlllE0_EEPmJS9_EEE10hipError_tPvRmT3_T4_T5_T6_T7_T9_mT8_P12ihipStream_tbDpT10_ENKUlT_T0_E_clISt17integral_constantIbLb1EES1B_IbLb0EEEEDaS17_S18_EUlS17_E_NS1_11comp_targetILNS1_3genE3ELNS1_11target_archE908ELNS1_3gpuE7ELNS1_3repE0EEENS1_30default_config_static_selectorELNS0_4arch9wavefront6targetE0EEEvT1_.has_recursion, 0
	.set _ZN7rocprim17ROCPRIM_400000_NS6detail17trampoline_kernelINS0_14default_configENS1_25partition_config_selectorILNS1_17partition_subalgoE9EllbEEZZNS1_14partition_implILS5_9ELb0ES3_jPlS8_PNS0_10empty_typeENS0_5tupleIJS8_S9_EEENSB_IJS8_SA_EEENS0_18inequality_wrapperIZN2at6native12_GLOBAL__N_124unique_dim_cuda_templateIN3c104HalfEEESt5tupleIJNSF_6TensorESM_SM_EERKSM_lbbbEUlllE0_EEPmJS9_EEE10hipError_tPvRmT3_T4_T5_T6_T7_T9_mT8_P12ihipStream_tbDpT10_ENKUlT_T0_E_clISt17integral_constantIbLb1EES1B_IbLb0EEEEDaS17_S18_EUlS17_E_NS1_11comp_targetILNS1_3genE3ELNS1_11target_archE908ELNS1_3gpuE7ELNS1_3repE0EEENS1_30default_config_static_selectorELNS0_4arch9wavefront6targetE0EEEvT1_.has_indirect_call, 0
	.section	.AMDGPU.csdata,"",@progbits
; Kernel info:
; codeLenInByte = 0
; TotalNumSgprs: 0
; NumVgprs: 0
; ScratchSize: 0
; MemoryBound: 0
; FloatMode: 240
; IeeeMode: 1
; LDSByteSize: 0 bytes/workgroup (compile time only)
; SGPRBlocks: 0
; VGPRBlocks: 0
; NumSGPRsForWavesPerEU: 1
; NumVGPRsForWavesPerEU: 1
; NamedBarCnt: 0
; Occupancy: 16
; WaveLimiterHint : 0
; COMPUTE_PGM_RSRC2:SCRATCH_EN: 0
; COMPUTE_PGM_RSRC2:USER_SGPR: 2
; COMPUTE_PGM_RSRC2:TRAP_HANDLER: 0
; COMPUTE_PGM_RSRC2:TGID_X_EN: 1
; COMPUTE_PGM_RSRC2:TGID_Y_EN: 0
; COMPUTE_PGM_RSRC2:TGID_Z_EN: 0
; COMPUTE_PGM_RSRC2:TIDIG_COMP_CNT: 0
	.section	.text._ZN7rocprim17ROCPRIM_400000_NS6detail17trampoline_kernelINS0_14default_configENS1_25partition_config_selectorILNS1_17partition_subalgoE9EllbEEZZNS1_14partition_implILS5_9ELb0ES3_jPlS8_PNS0_10empty_typeENS0_5tupleIJS8_S9_EEENSB_IJS8_SA_EEENS0_18inequality_wrapperIZN2at6native12_GLOBAL__N_124unique_dim_cuda_templateIN3c104HalfEEESt5tupleIJNSF_6TensorESM_SM_EERKSM_lbbbEUlllE0_EEPmJS9_EEE10hipError_tPvRmT3_T4_T5_T6_T7_T9_mT8_P12ihipStream_tbDpT10_ENKUlT_T0_E_clISt17integral_constantIbLb1EES1B_IbLb0EEEEDaS17_S18_EUlS17_E_NS1_11comp_targetILNS1_3genE2ELNS1_11target_archE906ELNS1_3gpuE6ELNS1_3repE0EEENS1_30default_config_static_selectorELNS0_4arch9wavefront6targetE0EEEvT1_,"axG",@progbits,_ZN7rocprim17ROCPRIM_400000_NS6detail17trampoline_kernelINS0_14default_configENS1_25partition_config_selectorILNS1_17partition_subalgoE9EllbEEZZNS1_14partition_implILS5_9ELb0ES3_jPlS8_PNS0_10empty_typeENS0_5tupleIJS8_S9_EEENSB_IJS8_SA_EEENS0_18inequality_wrapperIZN2at6native12_GLOBAL__N_124unique_dim_cuda_templateIN3c104HalfEEESt5tupleIJNSF_6TensorESM_SM_EERKSM_lbbbEUlllE0_EEPmJS9_EEE10hipError_tPvRmT3_T4_T5_T6_T7_T9_mT8_P12ihipStream_tbDpT10_ENKUlT_T0_E_clISt17integral_constantIbLb1EES1B_IbLb0EEEEDaS17_S18_EUlS17_E_NS1_11comp_targetILNS1_3genE2ELNS1_11target_archE906ELNS1_3gpuE6ELNS1_3repE0EEENS1_30default_config_static_selectorELNS0_4arch9wavefront6targetE0EEEvT1_,comdat
	.globl	_ZN7rocprim17ROCPRIM_400000_NS6detail17trampoline_kernelINS0_14default_configENS1_25partition_config_selectorILNS1_17partition_subalgoE9EllbEEZZNS1_14partition_implILS5_9ELb0ES3_jPlS8_PNS0_10empty_typeENS0_5tupleIJS8_S9_EEENSB_IJS8_SA_EEENS0_18inequality_wrapperIZN2at6native12_GLOBAL__N_124unique_dim_cuda_templateIN3c104HalfEEESt5tupleIJNSF_6TensorESM_SM_EERKSM_lbbbEUlllE0_EEPmJS9_EEE10hipError_tPvRmT3_T4_T5_T6_T7_T9_mT8_P12ihipStream_tbDpT10_ENKUlT_T0_E_clISt17integral_constantIbLb1EES1B_IbLb0EEEEDaS17_S18_EUlS17_E_NS1_11comp_targetILNS1_3genE2ELNS1_11target_archE906ELNS1_3gpuE6ELNS1_3repE0EEENS1_30default_config_static_selectorELNS0_4arch9wavefront6targetE0EEEvT1_ ; -- Begin function _ZN7rocprim17ROCPRIM_400000_NS6detail17trampoline_kernelINS0_14default_configENS1_25partition_config_selectorILNS1_17partition_subalgoE9EllbEEZZNS1_14partition_implILS5_9ELb0ES3_jPlS8_PNS0_10empty_typeENS0_5tupleIJS8_S9_EEENSB_IJS8_SA_EEENS0_18inequality_wrapperIZN2at6native12_GLOBAL__N_124unique_dim_cuda_templateIN3c104HalfEEESt5tupleIJNSF_6TensorESM_SM_EERKSM_lbbbEUlllE0_EEPmJS9_EEE10hipError_tPvRmT3_T4_T5_T6_T7_T9_mT8_P12ihipStream_tbDpT10_ENKUlT_T0_E_clISt17integral_constantIbLb1EES1B_IbLb0EEEEDaS17_S18_EUlS17_E_NS1_11comp_targetILNS1_3genE2ELNS1_11target_archE906ELNS1_3gpuE6ELNS1_3repE0EEENS1_30default_config_static_selectorELNS0_4arch9wavefront6targetE0EEEvT1_
	.p2align	8
	.type	_ZN7rocprim17ROCPRIM_400000_NS6detail17trampoline_kernelINS0_14default_configENS1_25partition_config_selectorILNS1_17partition_subalgoE9EllbEEZZNS1_14partition_implILS5_9ELb0ES3_jPlS8_PNS0_10empty_typeENS0_5tupleIJS8_S9_EEENSB_IJS8_SA_EEENS0_18inequality_wrapperIZN2at6native12_GLOBAL__N_124unique_dim_cuda_templateIN3c104HalfEEESt5tupleIJNSF_6TensorESM_SM_EERKSM_lbbbEUlllE0_EEPmJS9_EEE10hipError_tPvRmT3_T4_T5_T6_T7_T9_mT8_P12ihipStream_tbDpT10_ENKUlT_T0_E_clISt17integral_constantIbLb1EES1B_IbLb0EEEEDaS17_S18_EUlS17_E_NS1_11comp_targetILNS1_3genE2ELNS1_11target_archE906ELNS1_3gpuE6ELNS1_3repE0EEENS1_30default_config_static_selectorELNS0_4arch9wavefront6targetE0EEEvT1_,@function
_ZN7rocprim17ROCPRIM_400000_NS6detail17trampoline_kernelINS0_14default_configENS1_25partition_config_selectorILNS1_17partition_subalgoE9EllbEEZZNS1_14partition_implILS5_9ELb0ES3_jPlS8_PNS0_10empty_typeENS0_5tupleIJS8_S9_EEENSB_IJS8_SA_EEENS0_18inequality_wrapperIZN2at6native12_GLOBAL__N_124unique_dim_cuda_templateIN3c104HalfEEESt5tupleIJNSF_6TensorESM_SM_EERKSM_lbbbEUlllE0_EEPmJS9_EEE10hipError_tPvRmT3_T4_T5_T6_T7_T9_mT8_P12ihipStream_tbDpT10_ENKUlT_T0_E_clISt17integral_constantIbLb1EES1B_IbLb0EEEEDaS17_S18_EUlS17_E_NS1_11comp_targetILNS1_3genE2ELNS1_11target_archE906ELNS1_3gpuE6ELNS1_3repE0EEENS1_30default_config_static_selectorELNS0_4arch9wavefront6targetE0EEEvT1_: ; @_ZN7rocprim17ROCPRIM_400000_NS6detail17trampoline_kernelINS0_14default_configENS1_25partition_config_selectorILNS1_17partition_subalgoE9EllbEEZZNS1_14partition_implILS5_9ELb0ES3_jPlS8_PNS0_10empty_typeENS0_5tupleIJS8_S9_EEENSB_IJS8_SA_EEENS0_18inequality_wrapperIZN2at6native12_GLOBAL__N_124unique_dim_cuda_templateIN3c104HalfEEESt5tupleIJNSF_6TensorESM_SM_EERKSM_lbbbEUlllE0_EEPmJS9_EEE10hipError_tPvRmT3_T4_T5_T6_T7_T9_mT8_P12ihipStream_tbDpT10_ENKUlT_T0_E_clISt17integral_constantIbLb1EES1B_IbLb0EEEEDaS17_S18_EUlS17_E_NS1_11comp_targetILNS1_3genE2ELNS1_11target_archE906ELNS1_3gpuE6ELNS1_3repE0EEENS1_30default_config_static_selectorELNS0_4arch9wavefront6targetE0EEEvT1_
; %bb.0:
	.section	.rodata,"a",@progbits
	.p2align	6, 0x0
	.amdhsa_kernel _ZN7rocprim17ROCPRIM_400000_NS6detail17trampoline_kernelINS0_14default_configENS1_25partition_config_selectorILNS1_17partition_subalgoE9EllbEEZZNS1_14partition_implILS5_9ELb0ES3_jPlS8_PNS0_10empty_typeENS0_5tupleIJS8_S9_EEENSB_IJS8_SA_EEENS0_18inequality_wrapperIZN2at6native12_GLOBAL__N_124unique_dim_cuda_templateIN3c104HalfEEESt5tupleIJNSF_6TensorESM_SM_EERKSM_lbbbEUlllE0_EEPmJS9_EEE10hipError_tPvRmT3_T4_T5_T6_T7_T9_mT8_P12ihipStream_tbDpT10_ENKUlT_T0_E_clISt17integral_constantIbLb1EES1B_IbLb0EEEEDaS17_S18_EUlS17_E_NS1_11comp_targetILNS1_3genE2ELNS1_11target_archE906ELNS1_3gpuE6ELNS1_3repE0EEENS1_30default_config_static_selectorELNS0_4arch9wavefront6targetE0EEEvT1_
		.amdhsa_group_segment_fixed_size 0
		.amdhsa_private_segment_fixed_size 0
		.amdhsa_kernarg_size 120
		.amdhsa_user_sgpr_count 2
		.amdhsa_user_sgpr_dispatch_ptr 0
		.amdhsa_user_sgpr_queue_ptr 0
		.amdhsa_user_sgpr_kernarg_segment_ptr 1
		.amdhsa_user_sgpr_dispatch_id 0
		.amdhsa_user_sgpr_kernarg_preload_length 0
		.amdhsa_user_sgpr_kernarg_preload_offset 0
		.amdhsa_user_sgpr_private_segment_size 0
		.amdhsa_wavefront_size32 1
		.amdhsa_uses_dynamic_stack 0
		.amdhsa_enable_private_segment 0
		.amdhsa_system_sgpr_workgroup_id_x 1
		.amdhsa_system_sgpr_workgroup_id_y 0
		.amdhsa_system_sgpr_workgroup_id_z 0
		.amdhsa_system_sgpr_workgroup_info 0
		.amdhsa_system_vgpr_workitem_id 0
		.amdhsa_next_free_vgpr 1
		.amdhsa_next_free_sgpr 1
		.amdhsa_named_barrier_count 0
		.amdhsa_reserve_vcc 0
		.amdhsa_float_round_mode_32 0
		.amdhsa_float_round_mode_16_64 0
		.amdhsa_float_denorm_mode_32 3
		.amdhsa_float_denorm_mode_16_64 3
		.amdhsa_fp16_overflow 0
		.amdhsa_memory_ordered 1
		.amdhsa_forward_progress 1
		.amdhsa_inst_pref_size 0
		.amdhsa_round_robin_scheduling 0
		.amdhsa_exception_fp_ieee_invalid_op 0
		.amdhsa_exception_fp_denorm_src 0
		.amdhsa_exception_fp_ieee_div_zero 0
		.amdhsa_exception_fp_ieee_overflow 0
		.amdhsa_exception_fp_ieee_underflow 0
		.amdhsa_exception_fp_ieee_inexact 0
		.amdhsa_exception_int_div_zero 0
	.end_amdhsa_kernel
	.section	.text._ZN7rocprim17ROCPRIM_400000_NS6detail17trampoline_kernelINS0_14default_configENS1_25partition_config_selectorILNS1_17partition_subalgoE9EllbEEZZNS1_14partition_implILS5_9ELb0ES3_jPlS8_PNS0_10empty_typeENS0_5tupleIJS8_S9_EEENSB_IJS8_SA_EEENS0_18inequality_wrapperIZN2at6native12_GLOBAL__N_124unique_dim_cuda_templateIN3c104HalfEEESt5tupleIJNSF_6TensorESM_SM_EERKSM_lbbbEUlllE0_EEPmJS9_EEE10hipError_tPvRmT3_T4_T5_T6_T7_T9_mT8_P12ihipStream_tbDpT10_ENKUlT_T0_E_clISt17integral_constantIbLb1EES1B_IbLb0EEEEDaS17_S18_EUlS17_E_NS1_11comp_targetILNS1_3genE2ELNS1_11target_archE906ELNS1_3gpuE6ELNS1_3repE0EEENS1_30default_config_static_selectorELNS0_4arch9wavefront6targetE0EEEvT1_,"axG",@progbits,_ZN7rocprim17ROCPRIM_400000_NS6detail17trampoline_kernelINS0_14default_configENS1_25partition_config_selectorILNS1_17partition_subalgoE9EllbEEZZNS1_14partition_implILS5_9ELb0ES3_jPlS8_PNS0_10empty_typeENS0_5tupleIJS8_S9_EEENSB_IJS8_SA_EEENS0_18inequality_wrapperIZN2at6native12_GLOBAL__N_124unique_dim_cuda_templateIN3c104HalfEEESt5tupleIJNSF_6TensorESM_SM_EERKSM_lbbbEUlllE0_EEPmJS9_EEE10hipError_tPvRmT3_T4_T5_T6_T7_T9_mT8_P12ihipStream_tbDpT10_ENKUlT_T0_E_clISt17integral_constantIbLb1EES1B_IbLb0EEEEDaS17_S18_EUlS17_E_NS1_11comp_targetILNS1_3genE2ELNS1_11target_archE906ELNS1_3gpuE6ELNS1_3repE0EEENS1_30default_config_static_selectorELNS0_4arch9wavefront6targetE0EEEvT1_,comdat
.Lfunc_end1349:
	.size	_ZN7rocprim17ROCPRIM_400000_NS6detail17trampoline_kernelINS0_14default_configENS1_25partition_config_selectorILNS1_17partition_subalgoE9EllbEEZZNS1_14partition_implILS5_9ELb0ES3_jPlS8_PNS0_10empty_typeENS0_5tupleIJS8_S9_EEENSB_IJS8_SA_EEENS0_18inequality_wrapperIZN2at6native12_GLOBAL__N_124unique_dim_cuda_templateIN3c104HalfEEESt5tupleIJNSF_6TensorESM_SM_EERKSM_lbbbEUlllE0_EEPmJS9_EEE10hipError_tPvRmT3_T4_T5_T6_T7_T9_mT8_P12ihipStream_tbDpT10_ENKUlT_T0_E_clISt17integral_constantIbLb1EES1B_IbLb0EEEEDaS17_S18_EUlS17_E_NS1_11comp_targetILNS1_3genE2ELNS1_11target_archE906ELNS1_3gpuE6ELNS1_3repE0EEENS1_30default_config_static_selectorELNS0_4arch9wavefront6targetE0EEEvT1_, .Lfunc_end1349-_ZN7rocprim17ROCPRIM_400000_NS6detail17trampoline_kernelINS0_14default_configENS1_25partition_config_selectorILNS1_17partition_subalgoE9EllbEEZZNS1_14partition_implILS5_9ELb0ES3_jPlS8_PNS0_10empty_typeENS0_5tupleIJS8_S9_EEENSB_IJS8_SA_EEENS0_18inequality_wrapperIZN2at6native12_GLOBAL__N_124unique_dim_cuda_templateIN3c104HalfEEESt5tupleIJNSF_6TensorESM_SM_EERKSM_lbbbEUlllE0_EEPmJS9_EEE10hipError_tPvRmT3_T4_T5_T6_T7_T9_mT8_P12ihipStream_tbDpT10_ENKUlT_T0_E_clISt17integral_constantIbLb1EES1B_IbLb0EEEEDaS17_S18_EUlS17_E_NS1_11comp_targetILNS1_3genE2ELNS1_11target_archE906ELNS1_3gpuE6ELNS1_3repE0EEENS1_30default_config_static_selectorELNS0_4arch9wavefront6targetE0EEEvT1_
                                        ; -- End function
	.set _ZN7rocprim17ROCPRIM_400000_NS6detail17trampoline_kernelINS0_14default_configENS1_25partition_config_selectorILNS1_17partition_subalgoE9EllbEEZZNS1_14partition_implILS5_9ELb0ES3_jPlS8_PNS0_10empty_typeENS0_5tupleIJS8_S9_EEENSB_IJS8_SA_EEENS0_18inequality_wrapperIZN2at6native12_GLOBAL__N_124unique_dim_cuda_templateIN3c104HalfEEESt5tupleIJNSF_6TensorESM_SM_EERKSM_lbbbEUlllE0_EEPmJS9_EEE10hipError_tPvRmT3_T4_T5_T6_T7_T9_mT8_P12ihipStream_tbDpT10_ENKUlT_T0_E_clISt17integral_constantIbLb1EES1B_IbLb0EEEEDaS17_S18_EUlS17_E_NS1_11comp_targetILNS1_3genE2ELNS1_11target_archE906ELNS1_3gpuE6ELNS1_3repE0EEENS1_30default_config_static_selectorELNS0_4arch9wavefront6targetE0EEEvT1_.num_vgpr, 0
	.set _ZN7rocprim17ROCPRIM_400000_NS6detail17trampoline_kernelINS0_14default_configENS1_25partition_config_selectorILNS1_17partition_subalgoE9EllbEEZZNS1_14partition_implILS5_9ELb0ES3_jPlS8_PNS0_10empty_typeENS0_5tupleIJS8_S9_EEENSB_IJS8_SA_EEENS0_18inequality_wrapperIZN2at6native12_GLOBAL__N_124unique_dim_cuda_templateIN3c104HalfEEESt5tupleIJNSF_6TensorESM_SM_EERKSM_lbbbEUlllE0_EEPmJS9_EEE10hipError_tPvRmT3_T4_T5_T6_T7_T9_mT8_P12ihipStream_tbDpT10_ENKUlT_T0_E_clISt17integral_constantIbLb1EES1B_IbLb0EEEEDaS17_S18_EUlS17_E_NS1_11comp_targetILNS1_3genE2ELNS1_11target_archE906ELNS1_3gpuE6ELNS1_3repE0EEENS1_30default_config_static_selectorELNS0_4arch9wavefront6targetE0EEEvT1_.num_agpr, 0
	.set _ZN7rocprim17ROCPRIM_400000_NS6detail17trampoline_kernelINS0_14default_configENS1_25partition_config_selectorILNS1_17partition_subalgoE9EllbEEZZNS1_14partition_implILS5_9ELb0ES3_jPlS8_PNS0_10empty_typeENS0_5tupleIJS8_S9_EEENSB_IJS8_SA_EEENS0_18inequality_wrapperIZN2at6native12_GLOBAL__N_124unique_dim_cuda_templateIN3c104HalfEEESt5tupleIJNSF_6TensorESM_SM_EERKSM_lbbbEUlllE0_EEPmJS9_EEE10hipError_tPvRmT3_T4_T5_T6_T7_T9_mT8_P12ihipStream_tbDpT10_ENKUlT_T0_E_clISt17integral_constantIbLb1EES1B_IbLb0EEEEDaS17_S18_EUlS17_E_NS1_11comp_targetILNS1_3genE2ELNS1_11target_archE906ELNS1_3gpuE6ELNS1_3repE0EEENS1_30default_config_static_selectorELNS0_4arch9wavefront6targetE0EEEvT1_.numbered_sgpr, 0
	.set _ZN7rocprim17ROCPRIM_400000_NS6detail17trampoline_kernelINS0_14default_configENS1_25partition_config_selectorILNS1_17partition_subalgoE9EllbEEZZNS1_14partition_implILS5_9ELb0ES3_jPlS8_PNS0_10empty_typeENS0_5tupleIJS8_S9_EEENSB_IJS8_SA_EEENS0_18inequality_wrapperIZN2at6native12_GLOBAL__N_124unique_dim_cuda_templateIN3c104HalfEEESt5tupleIJNSF_6TensorESM_SM_EERKSM_lbbbEUlllE0_EEPmJS9_EEE10hipError_tPvRmT3_T4_T5_T6_T7_T9_mT8_P12ihipStream_tbDpT10_ENKUlT_T0_E_clISt17integral_constantIbLb1EES1B_IbLb0EEEEDaS17_S18_EUlS17_E_NS1_11comp_targetILNS1_3genE2ELNS1_11target_archE906ELNS1_3gpuE6ELNS1_3repE0EEENS1_30default_config_static_selectorELNS0_4arch9wavefront6targetE0EEEvT1_.num_named_barrier, 0
	.set _ZN7rocprim17ROCPRIM_400000_NS6detail17trampoline_kernelINS0_14default_configENS1_25partition_config_selectorILNS1_17partition_subalgoE9EllbEEZZNS1_14partition_implILS5_9ELb0ES3_jPlS8_PNS0_10empty_typeENS0_5tupleIJS8_S9_EEENSB_IJS8_SA_EEENS0_18inequality_wrapperIZN2at6native12_GLOBAL__N_124unique_dim_cuda_templateIN3c104HalfEEESt5tupleIJNSF_6TensorESM_SM_EERKSM_lbbbEUlllE0_EEPmJS9_EEE10hipError_tPvRmT3_T4_T5_T6_T7_T9_mT8_P12ihipStream_tbDpT10_ENKUlT_T0_E_clISt17integral_constantIbLb1EES1B_IbLb0EEEEDaS17_S18_EUlS17_E_NS1_11comp_targetILNS1_3genE2ELNS1_11target_archE906ELNS1_3gpuE6ELNS1_3repE0EEENS1_30default_config_static_selectorELNS0_4arch9wavefront6targetE0EEEvT1_.private_seg_size, 0
	.set _ZN7rocprim17ROCPRIM_400000_NS6detail17trampoline_kernelINS0_14default_configENS1_25partition_config_selectorILNS1_17partition_subalgoE9EllbEEZZNS1_14partition_implILS5_9ELb0ES3_jPlS8_PNS0_10empty_typeENS0_5tupleIJS8_S9_EEENSB_IJS8_SA_EEENS0_18inequality_wrapperIZN2at6native12_GLOBAL__N_124unique_dim_cuda_templateIN3c104HalfEEESt5tupleIJNSF_6TensorESM_SM_EERKSM_lbbbEUlllE0_EEPmJS9_EEE10hipError_tPvRmT3_T4_T5_T6_T7_T9_mT8_P12ihipStream_tbDpT10_ENKUlT_T0_E_clISt17integral_constantIbLb1EES1B_IbLb0EEEEDaS17_S18_EUlS17_E_NS1_11comp_targetILNS1_3genE2ELNS1_11target_archE906ELNS1_3gpuE6ELNS1_3repE0EEENS1_30default_config_static_selectorELNS0_4arch9wavefront6targetE0EEEvT1_.uses_vcc, 0
	.set _ZN7rocprim17ROCPRIM_400000_NS6detail17trampoline_kernelINS0_14default_configENS1_25partition_config_selectorILNS1_17partition_subalgoE9EllbEEZZNS1_14partition_implILS5_9ELb0ES3_jPlS8_PNS0_10empty_typeENS0_5tupleIJS8_S9_EEENSB_IJS8_SA_EEENS0_18inequality_wrapperIZN2at6native12_GLOBAL__N_124unique_dim_cuda_templateIN3c104HalfEEESt5tupleIJNSF_6TensorESM_SM_EERKSM_lbbbEUlllE0_EEPmJS9_EEE10hipError_tPvRmT3_T4_T5_T6_T7_T9_mT8_P12ihipStream_tbDpT10_ENKUlT_T0_E_clISt17integral_constantIbLb1EES1B_IbLb0EEEEDaS17_S18_EUlS17_E_NS1_11comp_targetILNS1_3genE2ELNS1_11target_archE906ELNS1_3gpuE6ELNS1_3repE0EEENS1_30default_config_static_selectorELNS0_4arch9wavefront6targetE0EEEvT1_.uses_flat_scratch, 0
	.set _ZN7rocprim17ROCPRIM_400000_NS6detail17trampoline_kernelINS0_14default_configENS1_25partition_config_selectorILNS1_17partition_subalgoE9EllbEEZZNS1_14partition_implILS5_9ELb0ES3_jPlS8_PNS0_10empty_typeENS0_5tupleIJS8_S9_EEENSB_IJS8_SA_EEENS0_18inequality_wrapperIZN2at6native12_GLOBAL__N_124unique_dim_cuda_templateIN3c104HalfEEESt5tupleIJNSF_6TensorESM_SM_EERKSM_lbbbEUlllE0_EEPmJS9_EEE10hipError_tPvRmT3_T4_T5_T6_T7_T9_mT8_P12ihipStream_tbDpT10_ENKUlT_T0_E_clISt17integral_constantIbLb1EES1B_IbLb0EEEEDaS17_S18_EUlS17_E_NS1_11comp_targetILNS1_3genE2ELNS1_11target_archE906ELNS1_3gpuE6ELNS1_3repE0EEENS1_30default_config_static_selectorELNS0_4arch9wavefront6targetE0EEEvT1_.has_dyn_sized_stack, 0
	.set _ZN7rocprim17ROCPRIM_400000_NS6detail17trampoline_kernelINS0_14default_configENS1_25partition_config_selectorILNS1_17partition_subalgoE9EllbEEZZNS1_14partition_implILS5_9ELb0ES3_jPlS8_PNS0_10empty_typeENS0_5tupleIJS8_S9_EEENSB_IJS8_SA_EEENS0_18inequality_wrapperIZN2at6native12_GLOBAL__N_124unique_dim_cuda_templateIN3c104HalfEEESt5tupleIJNSF_6TensorESM_SM_EERKSM_lbbbEUlllE0_EEPmJS9_EEE10hipError_tPvRmT3_T4_T5_T6_T7_T9_mT8_P12ihipStream_tbDpT10_ENKUlT_T0_E_clISt17integral_constantIbLb1EES1B_IbLb0EEEEDaS17_S18_EUlS17_E_NS1_11comp_targetILNS1_3genE2ELNS1_11target_archE906ELNS1_3gpuE6ELNS1_3repE0EEENS1_30default_config_static_selectorELNS0_4arch9wavefront6targetE0EEEvT1_.has_recursion, 0
	.set _ZN7rocprim17ROCPRIM_400000_NS6detail17trampoline_kernelINS0_14default_configENS1_25partition_config_selectorILNS1_17partition_subalgoE9EllbEEZZNS1_14partition_implILS5_9ELb0ES3_jPlS8_PNS0_10empty_typeENS0_5tupleIJS8_S9_EEENSB_IJS8_SA_EEENS0_18inequality_wrapperIZN2at6native12_GLOBAL__N_124unique_dim_cuda_templateIN3c104HalfEEESt5tupleIJNSF_6TensorESM_SM_EERKSM_lbbbEUlllE0_EEPmJS9_EEE10hipError_tPvRmT3_T4_T5_T6_T7_T9_mT8_P12ihipStream_tbDpT10_ENKUlT_T0_E_clISt17integral_constantIbLb1EES1B_IbLb0EEEEDaS17_S18_EUlS17_E_NS1_11comp_targetILNS1_3genE2ELNS1_11target_archE906ELNS1_3gpuE6ELNS1_3repE0EEENS1_30default_config_static_selectorELNS0_4arch9wavefront6targetE0EEEvT1_.has_indirect_call, 0
	.section	.AMDGPU.csdata,"",@progbits
; Kernel info:
; codeLenInByte = 0
; TotalNumSgprs: 0
; NumVgprs: 0
; ScratchSize: 0
; MemoryBound: 0
; FloatMode: 240
; IeeeMode: 1
; LDSByteSize: 0 bytes/workgroup (compile time only)
; SGPRBlocks: 0
; VGPRBlocks: 0
; NumSGPRsForWavesPerEU: 1
; NumVGPRsForWavesPerEU: 1
; NamedBarCnt: 0
; Occupancy: 16
; WaveLimiterHint : 0
; COMPUTE_PGM_RSRC2:SCRATCH_EN: 0
; COMPUTE_PGM_RSRC2:USER_SGPR: 2
; COMPUTE_PGM_RSRC2:TRAP_HANDLER: 0
; COMPUTE_PGM_RSRC2:TGID_X_EN: 1
; COMPUTE_PGM_RSRC2:TGID_Y_EN: 0
; COMPUTE_PGM_RSRC2:TGID_Z_EN: 0
; COMPUTE_PGM_RSRC2:TIDIG_COMP_CNT: 0
	.section	.text._ZN7rocprim17ROCPRIM_400000_NS6detail17trampoline_kernelINS0_14default_configENS1_25partition_config_selectorILNS1_17partition_subalgoE9EllbEEZZNS1_14partition_implILS5_9ELb0ES3_jPlS8_PNS0_10empty_typeENS0_5tupleIJS8_S9_EEENSB_IJS8_SA_EEENS0_18inequality_wrapperIZN2at6native12_GLOBAL__N_124unique_dim_cuda_templateIN3c104HalfEEESt5tupleIJNSF_6TensorESM_SM_EERKSM_lbbbEUlllE0_EEPmJS9_EEE10hipError_tPvRmT3_T4_T5_T6_T7_T9_mT8_P12ihipStream_tbDpT10_ENKUlT_T0_E_clISt17integral_constantIbLb1EES1B_IbLb0EEEEDaS17_S18_EUlS17_E_NS1_11comp_targetILNS1_3genE10ELNS1_11target_archE1200ELNS1_3gpuE4ELNS1_3repE0EEENS1_30default_config_static_selectorELNS0_4arch9wavefront6targetE0EEEvT1_,"axG",@progbits,_ZN7rocprim17ROCPRIM_400000_NS6detail17trampoline_kernelINS0_14default_configENS1_25partition_config_selectorILNS1_17partition_subalgoE9EllbEEZZNS1_14partition_implILS5_9ELb0ES3_jPlS8_PNS0_10empty_typeENS0_5tupleIJS8_S9_EEENSB_IJS8_SA_EEENS0_18inequality_wrapperIZN2at6native12_GLOBAL__N_124unique_dim_cuda_templateIN3c104HalfEEESt5tupleIJNSF_6TensorESM_SM_EERKSM_lbbbEUlllE0_EEPmJS9_EEE10hipError_tPvRmT3_T4_T5_T6_T7_T9_mT8_P12ihipStream_tbDpT10_ENKUlT_T0_E_clISt17integral_constantIbLb1EES1B_IbLb0EEEEDaS17_S18_EUlS17_E_NS1_11comp_targetILNS1_3genE10ELNS1_11target_archE1200ELNS1_3gpuE4ELNS1_3repE0EEENS1_30default_config_static_selectorELNS0_4arch9wavefront6targetE0EEEvT1_,comdat
	.globl	_ZN7rocprim17ROCPRIM_400000_NS6detail17trampoline_kernelINS0_14default_configENS1_25partition_config_selectorILNS1_17partition_subalgoE9EllbEEZZNS1_14partition_implILS5_9ELb0ES3_jPlS8_PNS0_10empty_typeENS0_5tupleIJS8_S9_EEENSB_IJS8_SA_EEENS0_18inequality_wrapperIZN2at6native12_GLOBAL__N_124unique_dim_cuda_templateIN3c104HalfEEESt5tupleIJNSF_6TensorESM_SM_EERKSM_lbbbEUlllE0_EEPmJS9_EEE10hipError_tPvRmT3_T4_T5_T6_T7_T9_mT8_P12ihipStream_tbDpT10_ENKUlT_T0_E_clISt17integral_constantIbLb1EES1B_IbLb0EEEEDaS17_S18_EUlS17_E_NS1_11comp_targetILNS1_3genE10ELNS1_11target_archE1200ELNS1_3gpuE4ELNS1_3repE0EEENS1_30default_config_static_selectorELNS0_4arch9wavefront6targetE0EEEvT1_ ; -- Begin function _ZN7rocprim17ROCPRIM_400000_NS6detail17trampoline_kernelINS0_14default_configENS1_25partition_config_selectorILNS1_17partition_subalgoE9EllbEEZZNS1_14partition_implILS5_9ELb0ES3_jPlS8_PNS0_10empty_typeENS0_5tupleIJS8_S9_EEENSB_IJS8_SA_EEENS0_18inequality_wrapperIZN2at6native12_GLOBAL__N_124unique_dim_cuda_templateIN3c104HalfEEESt5tupleIJNSF_6TensorESM_SM_EERKSM_lbbbEUlllE0_EEPmJS9_EEE10hipError_tPvRmT3_T4_T5_T6_T7_T9_mT8_P12ihipStream_tbDpT10_ENKUlT_T0_E_clISt17integral_constantIbLb1EES1B_IbLb0EEEEDaS17_S18_EUlS17_E_NS1_11comp_targetILNS1_3genE10ELNS1_11target_archE1200ELNS1_3gpuE4ELNS1_3repE0EEENS1_30default_config_static_selectorELNS0_4arch9wavefront6targetE0EEEvT1_
	.p2align	8
	.type	_ZN7rocprim17ROCPRIM_400000_NS6detail17trampoline_kernelINS0_14default_configENS1_25partition_config_selectorILNS1_17partition_subalgoE9EllbEEZZNS1_14partition_implILS5_9ELb0ES3_jPlS8_PNS0_10empty_typeENS0_5tupleIJS8_S9_EEENSB_IJS8_SA_EEENS0_18inequality_wrapperIZN2at6native12_GLOBAL__N_124unique_dim_cuda_templateIN3c104HalfEEESt5tupleIJNSF_6TensorESM_SM_EERKSM_lbbbEUlllE0_EEPmJS9_EEE10hipError_tPvRmT3_T4_T5_T6_T7_T9_mT8_P12ihipStream_tbDpT10_ENKUlT_T0_E_clISt17integral_constantIbLb1EES1B_IbLb0EEEEDaS17_S18_EUlS17_E_NS1_11comp_targetILNS1_3genE10ELNS1_11target_archE1200ELNS1_3gpuE4ELNS1_3repE0EEENS1_30default_config_static_selectorELNS0_4arch9wavefront6targetE0EEEvT1_,@function
_ZN7rocprim17ROCPRIM_400000_NS6detail17trampoline_kernelINS0_14default_configENS1_25partition_config_selectorILNS1_17partition_subalgoE9EllbEEZZNS1_14partition_implILS5_9ELb0ES3_jPlS8_PNS0_10empty_typeENS0_5tupleIJS8_S9_EEENSB_IJS8_SA_EEENS0_18inequality_wrapperIZN2at6native12_GLOBAL__N_124unique_dim_cuda_templateIN3c104HalfEEESt5tupleIJNSF_6TensorESM_SM_EERKSM_lbbbEUlllE0_EEPmJS9_EEE10hipError_tPvRmT3_T4_T5_T6_T7_T9_mT8_P12ihipStream_tbDpT10_ENKUlT_T0_E_clISt17integral_constantIbLb1EES1B_IbLb0EEEEDaS17_S18_EUlS17_E_NS1_11comp_targetILNS1_3genE10ELNS1_11target_archE1200ELNS1_3gpuE4ELNS1_3repE0EEENS1_30default_config_static_selectorELNS0_4arch9wavefront6targetE0EEEvT1_: ; @_ZN7rocprim17ROCPRIM_400000_NS6detail17trampoline_kernelINS0_14default_configENS1_25partition_config_selectorILNS1_17partition_subalgoE9EllbEEZZNS1_14partition_implILS5_9ELb0ES3_jPlS8_PNS0_10empty_typeENS0_5tupleIJS8_S9_EEENSB_IJS8_SA_EEENS0_18inequality_wrapperIZN2at6native12_GLOBAL__N_124unique_dim_cuda_templateIN3c104HalfEEESt5tupleIJNSF_6TensorESM_SM_EERKSM_lbbbEUlllE0_EEPmJS9_EEE10hipError_tPvRmT3_T4_T5_T6_T7_T9_mT8_P12ihipStream_tbDpT10_ENKUlT_T0_E_clISt17integral_constantIbLb1EES1B_IbLb0EEEEDaS17_S18_EUlS17_E_NS1_11comp_targetILNS1_3genE10ELNS1_11target_archE1200ELNS1_3gpuE4ELNS1_3repE0EEENS1_30default_config_static_selectorELNS0_4arch9wavefront6targetE0EEEvT1_
; %bb.0:
	.section	.rodata,"a",@progbits
	.p2align	6, 0x0
	.amdhsa_kernel _ZN7rocprim17ROCPRIM_400000_NS6detail17trampoline_kernelINS0_14default_configENS1_25partition_config_selectorILNS1_17partition_subalgoE9EllbEEZZNS1_14partition_implILS5_9ELb0ES3_jPlS8_PNS0_10empty_typeENS0_5tupleIJS8_S9_EEENSB_IJS8_SA_EEENS0_18inequality_wrapperIZN2at6native12_GLOBAL__N_124unique_dim_cuda_templateIN3c104HalfEEESt5tupleIJNSF_6TensorESM_SM_EERKSM_lbbbEUlllE0_EEPmJS9_EEE10hipError_tPvRmT3_T4_T5_T6_T7_T9_mT8_P12ihipStream_tbDpT10_ENKUlT_T0_E_clISt17integral_constantIbLb1EES1B_IbLb0EEEEDaS17_S18_EUlS17_E_NS1_11comp_targetILNS1_3genE10ELNS1_11target_archE1200ELNS1_3gpuE4ELNS1_3repE0EEENS1_30default_config_static_selectorELNS0_4arch9wavefront6targetE0EEEvT1_
		.amdhsa_group_segment_fixed_size 0
		.amdhsa_private_segment_fixed_size 0
		.amdhsa_kernarg_size 120
		.amdhsa_user_sgpr_count 2
		.amdhsa_user_sgpr_dispatch_ptr 0
		.amdhsa_user_sgpr_queue_ptr 0
		.amdhsa_user_sgpr_kernarg_segment_ptr 1
		.amdhsa_user_sgpr_dispatch_id 0
		.amdhsa_user_sgpr_kernarg_preload_length 0
		.amdhsa_user_sgpr_kernarg_preload_offset 0
		.amdhsa_user_sgpr_private_segment_size 0
		.amdhsa_wavefront_size32 1
		.amdhsa_uses_dynamic_stack 0
		.amdhsa_enable_private_segment 0
		.amdhsa_system_sgpr_workgroup_id_x 1
		.amdhsa_system_sgpr_workgroup_id_y 0
		.amdhsa_system_sgpr_workgroup_id_z 0
		.amdhsa_system_sgpr_workgroup_info 0
		.amdhsa_system_vgpr_workitem_id 0
		.amdhsa_next_free_vgpr 1
		.amdhsa_next_free_sgpr 1
		.amdhsa_named_barrier_count 0
		.amdhsa_reserve_vcc 0
		.amdhsa_float_round_mode_32 0
		.amdhsa_float_round_mode_16_64 0
		.amdhsa_float_denorm_mode_32 3
		.amdhsa_float_denorm_mode_16_64 3
		.amdhsa_fp16_overflow 0
		.amdhsa_memory_ordered 1
		.amdhsa_forward_progress 1
		.amdhsa_inst_pref_size 0
		.amdhsa_round_robin_scheduling 0
		.amdhsa_exception_fp_ieee_invalid_op 0
		.amdhsa_exception_fp_denorm_src 0
		.amdhsa_exception_fp_ieee_div_zero 0
		.amdhsa_exception_fp_ieee_overflow 0
		.amdhsa_exception_fp_ieee_underflow 0
		.amdhsa_exception_fp_ieee_inexact 0
		.amdhsa_exception_int_div_zero 0
	.end_amdhsa_kernel
	.section	.text._ZN7rocprim17ROCPRIM_400000_NS6detail17trampoline_kernelINS0_14default_configENS1_25partition_config_selectorILNS1_17partition_subalgoE9EllbEEZZNS1_14partition_implILS5_9ELb0ES3_jPlS8_PNS0_10empty_typeENS0_5tupleIJS8_S9_EEENSB_IJS8_SA_EEENS0_18inequality_wrapperIZN2at6native12_GLOBAL__N_124unique_dim_cuda_templateIN3c104HalfEEESt5tupleIJNSF_6TensorESM_SM_EERKSM_lbbbEUlllE0_EEPmJS9_EEE10hipError_tPvRmT3_T4_T5_T6_T7_T9_mT8_P12ihipStream_tbDpT10_ENKUlT_T0_E_clISt17integral_constantIbLb1EES1B_IbLb0EEEEDaS17_S18_EUlS17_E_NS1_11comp_targetILNS1_3genE10ELNS1_11target_archE1200ELNS1_3gpuE4ELNS1_3repE0EEENS1_30default_config_static_selectorELNS0_4arch9wavefront6targetE0EEEvT1_,"axG",@progbits,_ZN7rocprim17ROCPRIM_400000_NS6detail17trampoline_kernelINS0_14default_configENS1_25partition_config_selectorILNS1_17partition_subalgoE9EllbEEZZNS1_14partition_implILS5_9ELb0ES3_jPlS8_PNS0_10empty_typeENS0_5tupleIJS8_S9_EEENSB_IJS8_SA_EEENS0_18inequality_wrapperIZN2at6native12_GLOBAL__N_124unique_dim_cuda_templateIN3c104HalfEEESt5tupleIJNSF_6TensorESM_SM_EERKSM_lbbbEUlllE0_EEPmJS9_EEE10hipError_tPvRmT3_T4_T5_T6_T7_T9_mT8_P12ihipStream_tbDpT10_ENKUlT_T0_E_clISt17integral_constantIbLb1EES1B_IbLb0EEEEDaS17_S18_EUlS17_E_NS1_11comp_targetILNS1_3genE10ELNS1_11target_archE1200ELNS1_3gpuE4ELNS1_3repE0EEENS1_30default_config_static_selectorELNS0_4arch9wavefront6targetE0EEEvT1_,comdat
.Lfunc_end1350:
	.size	_ZN7rocprim17ROCPRIM_400000_NS6detail17trampoline_kernelINS0_14default_configENS1_25partition_config_selectorILNS1_17partition_subalgoE9EllbEEZZNS1_14partition_implILS5_9ELb0ES3_jPlS8_PNS0_10empty_typeENS0_5tupleIJS8_S9_EEENSB_IJS8_SA_EEENS0_18inequality_wrapperIZN2at6native12_GLOBAL__N_124unique_dim_cuda_templateIN3c104HalfEEESt5tupleIJNSF_6TensorESM_SM_EERKSM_lbbbEUlllE0_EEPmJS9_EEE10hipError_tPvRmT3_T4_T5_T6_T7_T9_mT8_P12ihipStream_tbDpT10_ENKUlT_T0_E_clISt17integral_constantIbLb1EES1B_IbLb0EEEEDaS17_S18_EUlS17_E_NS1_11comp_targetILNS1_3genE10ELNS1_11target_archE1200ELNS1_3gpuE4ELNS1_3repE0EEENS1_30default_config_static_selectorELNS0_4arch9wavefront6targetE0EEEvT1_, .Lfunc_end1350-_ZN7rocprim17ROCPRIM_400000_NS6detail17trampoline_kernelINS0_14default_configENS1_25partition_config_selectorILNS1_17partition_subalgoE9EllbEEZZNS1_14partition_implILS5_9ELb0ES3_jPlS8_PNS0_10empty_typeENS0_5tupleIJS8_S9_EEENSB_IJS8_SA_EEENS0_18inequality_wrapperIZN2at6native12_GLOBAL__N_124unique_dim_cuda_templateIN3c104HalfEEESt5tupleIJNSF_6TensorESM_SM_EERKSM_lbbbEUlllE0_EEPmJS9_EEE10hipError_tPvRmT3_T4_T5_T6_T7_T9_mT8_P12ihipStream_tbDpT10_ENKUlT_T0_E_clISt17integral_constantIbLb1EES1B_IbLb0EEEEDaS17_S18_EUlS17_E_NS1_11comp_targetILNS1_3genE10ELNS1_11target_archE1200ELNS1_3gpuE4ELNS1_3repE0EEENS1_30default_config_static_selectorELNS0_4arch9wavefront6targetE0EEEvT1_
                                        ; -- End function
	.set _ZN7rocprim17ROCPRIM_400000_NS6detail17trampoline_kernelINS0_14default_configENS1_25partition_config_selectorILNS1_17partition_subalgoE9EllbEEZZNS1_14partition_implILS5_9ELb0ES3_jPlS8_PNS0_10empty_typeENS0_5tupleIJS8_S9_EEENSB_IJS8_SA_EEENS0_18inequality_wrapperIZN2at6native12_GLOBAL__N_124unique_dim_cuda_templateIN3c104HalfEEESt5tupleIJNSF_6TensorESM_SM_EERKSM_lbbbEUlllE0_EEPmJS9_EEE10hipError_tPvRmT3_T4_T5_T6_T7_T9_mT8_P12ihipStream_tbDpT10_ENKUlT_T0_E_clISt17integral_constantIbLb1EES1B_IbLb0EEEEDaS17_S18_EUlS17_E_NS1_11comp_targetILNS1_3genE10ELNS1_11target_archE1200ELNS1_3gpuE4ELNS1_3repE0EEENS1_30default_config_static_selectorELNS0_4arch9wavefront6targetE0EEEvT1_.num_vgpr, 0
	.set _ZN7rocprim17ROCPRIM_400000_NS6detail17trampoline_kernelINS0_14default_configENS1_25partition_config_selectorILNS1_17partition_subalgoE9EllbEEZZNS1_14partition_implILS5_9ELb0ES3_jPlS8_PNS0_10empty_typeENS0_5tupleIJS8_S9_EEENSB_IJS8_SA_EEENS0_18inequality_wrapperIZN2at6native12_GLOBAL__N_124unique_dim_cuda_templateIN3c104HalfEEESt5tupleIJNSF_6TensorESM_SM_EERKSM_lbbbEUlllE0_EEPmJS9_EEE10hipError_tPvRmT3_T4_T5_T6_T7_T9_mT8_P12ihipStream_tbDpT10_ENKUlT_T0_E_clISt17integral_constantIbLb1EES1B_IbLb0EEEEDaS17_S18_EUlS17_E_NS1_11comp_targetILNS1_3genE10ELNS1_11target_archE1200ELNS1_3gpuE4ELNS1_3repE0EEENS1_30default_config_static_selectorELNS0_4arch9wavefront6targetE0EEEvT1_.num_agpr, 0
	.set _ZN7rocprim17ROCPRIM_400000_NS6detail17trampoline_kernelINS0_14default_configENS1_25partition_config_selectorILNS1_17partition_subalgoE9EllbEEZZNS1_14partition_implILS5_9ELb0ES3_jPlS8_PNS0_10empty_typeENS0_5tupleIJS8_S9_EEENSB_IJS8_SA_EEENS0_18inequality_wrapperIZN2at6native12_GLOBAL__N_124unique_dim_cuda_templateIN3c104HalfEEESt5tupleIJNSF_6TensorESM_SM_EERKSM_lbbbEUlllE0_EEPmJS9_EEE10hipError_tPvRmT3_T4_T5_T6_T7_T9_mT8_P12ihipStream_tbDpT10_ENKUlT_T0_E_clISt17integral_constantIbLb1EES1B_IbLb0EEEEDaS17_S18_EUlS17_E_NS1_11comp_targetILNS1_3genE10ELNS1_11target_archE1200ELNS1_3gpuE4ELNS1_3repE0EEENS1_30default_config_static_selectorELNS0_4arch9wavefront6targetE0EEEvT1_.numbered_sgpr, 0
	.set _ZN7rocprim17ROCPRIM_400000_NS6detail17trampoline_kernelINS0_14default_configENS1_25partition_config_selectorILNS1_17partition_subalgoE9EllbEEZZNS1_14partition_implILS5_9ELb0ES3_jPlS8_PNS0_10empty_typeENS0_5tupleIJS8_S9_EEENSB_IJS8_SA_EEENS0_18inequality_wrapperIZN2at6native12_GLOBAL__N_124unique_dim_cuda_templateIN3c104HalfEEESt5tupleIJNSF_6TensorESM_SM_EERKSM_lbbbEUlllE0_EEPmJS9_EEE10hipError_tPvRmT3_T4_T5_T6_T7_T9_mT8_P12ihipStream_tbDpT10_ENKUlT_T0_E_clISt17integral_constantIbLb1EES1B_IbLb0EEEEDaS17_S18_EUlS17_E_NS1_11comp_targetILNS1_3genE10ELNS1_11target_archE1200ELNS1_3gpuE4ELNS1_3repE0EEENS1_30default_config_static_selectorELNS0_4arch9wavefront6targetE0EEEvT1_.num_named_barrier, 0
	.set _ZN7rocprim17ROCPRIM_400000_NS6detail17trampoline_kernelINS0_14default_configENS1_25partition_config_selectorILNS1_17partition_subalgoE9EllbEEZZNS1_14partition_implILS5_9ELb0ES3_jPlS8_PNS0_10empty_typeENS0_5tupleIJS8_S9_EEENSB_IJS8_SA_EEENS0_18inequality_wrapperIZN2at6native12_GLOBAL__N_124unique_dim_cuda_templateIN3c104HalfEEESt5tupleIJNSF_6TensorESM_SM_EERKSM_lbbbEUlllE0_EEPmJS9_EEE10hipError_tPvRmT3_T4_T5_T6_T7_T9_mT8_P12ihipStream_tbDpT10_ENKUlT_T0_E_clISt17integral_constantIbLb1EES1B_IbLb0EEEEDaS17_S18_EUlS17_E_NS1_11comp_targetILNS1_3genE10ELNS1_11target_archE1200ELNS1_3gpuE4ELNS1_3repE0EEENS1_30default_config_static_selectorELNS0_4arch9wavefront6targetE0EEEvT1_.private_seg_size, 0
	.set _ZN7rocprim17ROCPRIM_400000_NS6detail17trampoline_kernelINS0_14default_configENS1_25partition_config_selectorILNS1_17partition_subalgoE9EllbEEZZNS1_14partition_implILS5_9ELb0ES3_jPlS8_PNS0_10empty_typeENS0_5tupleIJS8_S9_EEENSB_IJS8_SA_EEENS0_18inequality_wrapperIZN2at6native12_GLOBAL__N_124unique_dim_cuda_templateIN3c104HalfEEESt5tupleIJNSF_6TensorESM_SM_EERKSM_lbbbEUlllE0_EEPmJS9_EEE10hipError_tPvRmT3_T4_T5_T6_T7_T9_mT8_P12ihipStream_tbDpT10_ENKUlT_T0_E_clISt17integral_constantIbLb1EES1B_IbLb0EEEEDaS17_S18_EUlS17_E_NS1_11comp_targetILNS1_3genE10ELNS1_11target_archE1200ELNS1_3gpuE4ELNS1_3repE0EEENS1_30default_config_static_selectorELNS0_4arch9wavefront6targetE0EEEvT1_.uses_vcc, 0
	.set _ZN7rocprim17ROCPRIM_400000_NS6detail17trampoline_kernelINS0_14default_configENS1_25partition_config_selectorILNS1_17partition_subalgoE9EllbEEZZNS1_14partition_implILS5_9ELb0ES3_jPlS8_PNS0_10empty_typeENS0_5tupleIJS8_S9_EEENSB_IJS8_SA_EEENS0_18inequality_wrapperIZN2at6native12_GLOBAL__N_124unique_dim_cuda_templateIN3c104HalfEEESt5tupleIJNSF_6TensorESM_SM_EERKSM_lbbbEUlllE0_EEPmJS9_EEE10hipError_tPvRmT3_T4_T5_T6_T7_T9_mT8_P12ihipStream_tbDpT10_ENKUlT_T0_E_clISt17integral_constantIbLb1EES1B_IbLb0EEEEDaS17_S18_EUlS17_E_NS1_11comp_targetILNS1_3genE10ELNS1_11target_archE1200ELNS1_3gpuE4ELNS1_3repE0EEENS1_30default_config_static_selectorELNS0_4arch9wavefront6targetE0EEEvT1_.uses_flat_scratch, 0
	.set _ZN7rocprim17ROCPRIM_400000_NS6detail17trampoline_kernelINS0_14default_configENS1_25partition_config_selectorILNS1_17partition_subalgoE9EllbEEZZNS1_14partition_implILS5_9ELb0ES3_jPlS8_PNS0_10empty_typeENS0_5tupleIJS8_S9_EEENSB_IJS8_SA_EEENS0_18inequality_wrapperIZN2at6native12_GLOBAL__N_124unique_dim_cuda_templateIN3c104HalfEEESt5tupleIJNSF_6TensorESM_SM_EERKSM_lbbbEUlllE0_EEPmJS9_EEE10hipError_tPvRmT3_T4_T5_T6_T7_T9_mT8_P12ihipStream_tbDpT10_ENKUlT_T0_E_clISt17integral_constantIbLb1EES1B_IbLb0EEEEDaS17_S18_EUlS17_E_NS1_11comp_targetILNS1_3genE10ELNS1_11target_archE1200ELNS1_3gpuE4ELNS1_3repE0EEENS1_30default_config_static_selectorELNS0_4arch9wavefront6targetE0EEEvT1_.has_dyn_sized_stack, 0
	.set _ZN7rocprim17ROCPRIM_400000_NS6detail17trampoline_kernelINS0_14default_configENS1_25partition_config_selectorILNS1_17partition_subalgoE9EllbEEZZNS1_14partition_implILS5_9ELb0ES3_jPlS8_PNS0_10empty_typeENS0_5tupleIJS8_S9_EEENSB_IJS8_SA_EEENS0_18inequality_wrapperIZN2at6native12_GLOBAL__N_124unique_dim_cuda_templateIN3c104HalfEEESt5tupleIJNSF_6TensorESM_SM_EERKSM_lbbbEUlllE0_EEPmJS9_EEE10hipError_tPvRmT3_T4_T5_T6_T7_T9_mT8_P12ihipStream_tbDpT10_ENKUlT_T0_E_clISt17integral_constantIbLb1EES1B_IbLb0EEEEDaS17_S18_EUlS17_E_NS1_11comp_targetILNS1_3genE10ELNS1_11target_archE1200ELNS1_3gpuE4ELNS1_3repE0EEENS1_30default_config_static_selectorELNS0_4arch9wavefront6targetE0EEEvT1_.has_recursion, 0
	.set _ZN7rocprim17ROCPRIM_400000_NS6detail17trampoline_kernelINS0_14default_configENS1_25partition_config_selectorILNS1_17partition_subalgoE9EllbEEZZNS1_14partition_implILS5_9ELb0ES3_jPlS8_PNS0_10empty_typeENS0_5tupleIJS8_S9_EEENSB_IJS8_SA_EEENS0_18inequality_wrapperIZN2at6native12_GLOBAL__N_124unique_dim_cuda_templateIN3c104HalfEEESt5tupleIJNSF_6TensorESM_SM_EERKSM_lbbbEUlllE0_EEPmJS9_EEE10hipError_tPvRmT3_T4_T5_T6_T7_T9_mT8_P12ihipStream_tbDpT10_ENKUlT_T0_E_clISt17integral_constantIbLb1EES1B_IbLb0EEEEDaS17_S18_EUlS17_E_NS1_11comp_targetILNS1_3genE10ELNS1_11target_archE1200ELNS1_3gpuE4ELNS1_3repE0EEENS1_30default_config_static_selectorELNS0_4arch9wavefront6targetE0EEEvT1_.has_indirect_call, 0
	.section	.AMDGPU.csdata,"",@progbits
; Kernel info:
; codeLenInByte = 0
; TotalNumSgprs: 0
; NumVgprs: 0
; ScratchSize: 0
; MemoryBound: 0
; FloatMode: 240
; IeeeMode: 1
; LDSByteSize: 0 bytes/workgroup (compile time only)
; SGPRBlocks: 0
; VGPRBlocks: 0
; NumSGPRsForWavesPerEU: 1
; NumVGPRsForWavesPerEU: 1
; NamedBarCnt: 0
; Occupancy: 16
; WaveLimiterHint : 0
; COMPUTE_PGM_RSRC2:SCRATCH_EN: 0
; COMPUTE_PGM_RSRC2:USER_SGPR: 2
; COMPUTE_PGM_RSRC2:TRAP_HANDLER: 0
; COMPUTE_PGM_RSRC2:TGID_X_EN: 1
; COMPUTE_PGM_RSRC2:TGID_Y_EN: 0
; COMPUTE_PGM_RSRC2:TGID_Z_EN: 0
; COMPUTE_PGM_RSRC2:TIDIG_COMP_CNT: 0
	.section	.text._ZN7rocprim17ROCPRIM_400000_NS6detail17trampoline_kernelINS0_14default_configENS1_25partition_config_selectorILNS1_17partition_subalgoE9EllbEEZZNS1_14partition_implILS5_9ELb0ES3_jPlS8_PNS0_10empty_typeENS0_5tupleIJS8_S9_EEENSB_IJS8_SA_EEENS0_18inequality_wrapperIZN2at6native12_GLOBAL__N_124unique_dim_cuda_templateIN3c104HalfEEESt5tupleIJNSF_6TensorESM_SM_EERKSM_lbbbEUlllE0_EEPmJS9_EEE10hipError_tPvRmT3_T4_T5_T6_T7_T9_mT8_P12ihipStream_tbDpT10_ENKUlT_T0_E_clISt17integral_constantIbLb1EES1B_IbLb0EEEEDaS17_S18_EUlS17_E_NS1_11comp_targetILNS1_3genE9ELNS1_11target_archE1100ELNS1_3gpuE3ELNS1_3repE0EEENS1_30default_config_static_selectorELNS0_4arch9wavefront6targetE0EEEvT1_,"axG",@progbits,_ZN7rocprim17ROCPRIM_400000_NS6detail17trampoline_kernelINS0_14default_configENS1_25partition_config_selectorILNS1_17partition_subalgoE9EllbEEZZNS1_14partition_implILS5_9ELb0ES3_jPlS8_PNS0_10empty_typeENS0_5tupleIJS8_S9_EEENSB_IJS8_SA_EEENS0_18inequality_wrapperIZN2at6native12_GLOBAL__N_124unique_dim_cuda_templateIN3c104HalfEEESt5tupleIJNSF_6TensorESM_SM_EERKSM_lbbbEUlllE0_EEPmJS9_EEE10hipError_tPvRmT3_T4_T5_T6_T7_T9_mT8_P12ihipStream_tbDpT10_ENKUlT_T0_E_clISt17integral_constantIbLb1EES1B_IbLb0EEEEDaS17_S18_EUlS17_E_NS1_11comp_targetILNS1_3genE9ELNS1_11target_archE1100ELNS1_3gpuE3ELNS1_3repE0EEENS1_30default_config_static_selectorELNS0_4arch9wavefront6targetE0EEEvT1_,comdat
	.globl	_ZN7rocprim17ROCPRIM_400000_NS6detail17trampoline_kernelINS0_14default_configENS1_25partition_config_selectorILNS1_17partition_subalgoE9EllbEEZZNS1_14partition_implILS5_9ELb0ES3_jPlS8_PNS0_10empty_typeENS0_5tupleIJS8_S9_EEENSB_IJS8_SA_EEENS0_18inequality_wrapperIZN2at6native12_GLOBAL__N_124unique_dim_cuda_templateIN3c104HalfEEESt5tupleIJNSF_6TensorESM_SM_EERKSM_lbbbEUlllE0_EEPmJS9_EEE10hipError_tPvRmT3_T4_T5_T6_T7_T9_mT8_P12ihipStream_tbDpT10_ENKUlT_T0_E_clISt17integral_constantIbLb1EES1B_IbLb0EEEEDaS17_S18_EUlS17_E_NS1_11comp_targetILNS1_3genE9ELNS1_11target_archE1100ELNS1_3gpuE3ELNS1_3repE0EEENS1_30default_config_static_selectorELNS0_4arch9wavefront6targetE0EEEvT1_ ; -- Begin function _ZN7rocprim17ROCPRIM_400000_NS6detail17trampoline_kernelINS0_14default_configENS1_25partition_config_selectorILNS1_17partition_subalgoE9EllbEEZZNS1_14partition_implILS5_9ELb0ES3_jPlS8_PNS0_10empty_typeENS0_5tupleIJS8_S9_EEENSB_IJS8_SA_EEENS0_18inequality_wrapperIZN2at6native12_GLOBAL__N_124unique_dim_cuda_templateIN3c104HalfEEESt5tupleIJNSF_6TensorESM_SM_EERKSM_lbbbEUlllE0_EEPmJS9_EEE10hipError_tPvRmT3_T4_T5_T6_T7_T9_mT8_P12ihipStream_tbDpT10_ENKUlT_T0_E_clISt17integral_constantIbLb1EES1B_IbLb0EEEEDaS17_S18_EUlS17_E_NS1_11comp_targetILNS1_3genE9ELNS1_11target_archE1100ELNS1_3gpuE3ELNS1_3repE0EEENS1_30default_config_static_selectorELNS0_4arch9wavefront6targetE0EEEvT1_
	.p2align	8
	.type	_ZN7rocprim17ROCPRIM_400000_NS6detail17trampoline_kernelINS0_14default_configENS1_25partition_config_selectorILNS1_17partition_subalgoE9EllbEEZZNS1_14partition_implILS5_9ELb0ES3_jPlS8_PNS0_10empty_typeENS0_5tupleIJS8_S9_EEENSB_IJS8_SA_EEENS0_18inequality_wrapperIZN2at6native12_GLOBAL__N_124unique_dim_cuda_templateIN3c104HalfEEESt5tupleIJNSF_6TensorESM_SM_EERKSM_lbbbEUlllE0_EEPmJS9_EEE10hipError_tPvRmT3_T4_T5_T6_T7_T9_mT8_P12ihipStream_tbDpT10_ENKUlT_T0_E_clISt17integral_constantIbLb1EES1B_IbLb0EEEEDaS17_S18_EUlS17_E_NS1_11comp_targetILNS1_3genE9ELNS1_11target_archE1100ELNS1_3gpuE3ELNS1_3repE0EEENS1_30default_config_static_selectorELNS0_4arch9wavefront6targetE0EEEvT1_,@function
_ZN7rocprim17ROCPRIM_400000_NS6detail17trampoline_kernelINS0_14default_configENS1_25partition_config_selectorILNS1_17partition_subalgoE9EllbEEZZNS1_14partition_implILS5_9ELb0ES3_jPlS8_PNS0_10empty_typeENS0_5tupleIJS8_S9_EEENSB_IJS8_SA_EEENS0_18inequality_wrapperIZN2at6native12_GLOBAL__N_124unique_dim_cuda_templateIN3c104HalfEEESt5tupleIJNSF_6TensorESM_SM_EERKSM_lbbbEUlllE0_EEPmJS9_EEE10hipError_tPvRmT3_T4_T5_T6_T7_T9_mT8_P12ihipStream_tbDpT10_ENKUlT_T0_E_clISt17integral_constantIbLb1EES1B_IbLb0EEEEDaS17_S18_EUlS17_E_NS1_11comp_targetILNS1_3genE9ELNS1_11target_archE1100ELNS1_3gpuE3ELNS1_3repE0EEENS1_30default_config_static_selectorELNS0_4arch9wavefront6targetE0EEEvT1_: ; @_ZN7rocprim17ROCPRIM_400000_NS6detail17trampoline_kernelINS0_14default_configENS1_25partition_config_selectorILNS1_17partition_subalgoE9EllbEEZZNS1_14partition_implILS5_9ELb0ES3_jPlS8_PNS0_10empty_typeENS0_5tupleIJS8_S9_EEENSB_IJS8_SA_EEENS0_18inequality_wrapperIZN2at6native12_GLOBAL__N_124unique_dim_cuda_templateIN3c104HalfEEESt5tupleIJNSF_6TensorESM_SM_EERKSM_lbbbEUlllE0_EEPmJS9_EEE10hipError_tPvRmT3_T4_T5_T6_T7_T9_mT8_P12ihipStream_tbDpT10_ENKUlT_T0_E_clISt17integral_constantIbLb1EES1B_IbLb0EEEEDaS17_S18_EUlS17_E_NS1_11comp_targetILNS1_3genE9ELNS1_11target_archE1100ELNS1_3gpuE3ELNS1_3repE0EEENS1_30default_config_static_selectorELNS0_4arch9wavefront6targetE0EEEvT1_
; %bb.0:
	.section	.rodata,"a",@progbits
	.p2align	6, 0x0
	.amdhsa_kernel _ZN7rocprim17ROCPRIM_400000_NS6detail17trampoline_kernelINS0_14default_configENS1_25partition_config_selectorILNS1_17partition_subalgoE9EllbEEZZNS1_14partition_implILS5_9ELb0ES3_jPlS8_PNS0_10empty_typeENS0_5tupleIJS8_S9_EEENSB_IJS8_SA_EEENS0_18inequality_wrapperIZN2at6native12_GLOBAL__N_124unique_dim_cuda_templateIN3c104HalfEEESt5tupleIJNSF_6TensorESM_SM_EERKSM_lbbbEUlllE0_EEPmJS9_EEE10hipError_tPvRmT3_T4_T5_T6_T7_T9_mT8_P12ihipStream_tbDpT10_ENKUlT_T0_E_clISt17integral_constantIbLb1EES1B_IbLb0EEEEDaS17_S18_EUlS17_E_NS1_11comp_targetILNS1_3genE9ELNS1_11target_archE1100ELNS1_3gpuE3ELNS1_3repE0EEENS1_30default_config_static_selectorELNS0_4arch9wavefront6targetE0EEEvT1_
		.amdhsa_group_segment_fixed_size 0
		.amdhsa_private_segment_fixed_size 0
		.amdhsa_kernarg_size 120
		.amdhsa_user_sgpr_count 2
		.amdhsa_user_sgpr_dispatch_ptr 0
		.amdhsa_user_sgpr_queue_ptr 0
		.amdhsa_user_sgpr_kernarg_segment_ptr 1
		.amdhsa_user_sgpr_dispatch_id 0
		.amdhsa_user_sgpr_kernarg_preload_length 0
		.amdhsa_user_sgpr_kernarg_preload_offset 0
		.amdhsa_user_sgpr_private_segment_size 0
		.amdhsa_wavefront_size32 1
		.amdhsa_uses_dynamic_stack 0
		.amdhsa_enable_private_segment 0
		.amdhsa_system_sgpr_workgroup_id_x 1
		.amdhsa_system_sgpr_workgroup_id_y 0
		.amdhsa_system_sgpr_workgroup_id_z 0
		.amdhsa_system_sgpr_workgroup_info 0
		.amdhsa_system_vgpr_workitem_id 0
		.amdhsa_next_free_vgpr 1
		.amdhsa_next_free_sgpr 1
		.amdhsa_named_barrier_count 0
		.amdhsa_reserve_vcc 0
		.amdhsa_float_round_mode_32 0
		.amdhsa_float_round_mode_16_64 0
		.amdhsa_float_denorm_mode_32 3
		.amdhsa_float_denorm_mode_16_64 3
		.amdhsa_fp16_overflow 0
		.amdhsa_memory_ordered 1
		.amdhsa_forward_progress 1
		.amdhsa_inst_pref_size 0
		.amdhsa_round_robin_scheduling 0
		.amdhsa_exception_fp_ieee_invalid_op 0
		.amdhsa_exception_fp_denorm_src 0
		.amdhsa_exception_fp_ieee_div_zero 0
		.amdhsa_exception_fp_ieee_overflow 0
		.amdhsa_exception_fp_ieee_underflow 0
		.amdhsa_exception_fp_ieee_inexact 0
		.amdhsa_exception_int_div_zero 0
	.end_amdhsa_kernel
	.section	.text._ZN7rocprim17ROCPRIM_400000_NS6detail17trampoline_kernelINS0_14default_configENS1_25partition_config_selectorILNS1_17partition_subalgoE9EllbEEZZNS1_14partition_implILS5_9ELb0ES3_jPlS8_PNS0_10empty_typeENS0_5tupleIJS8_S9_EEENSB_IJS8_SA_EEENS0_18inequality_wrapperIZN2at6native12_GLOBAL__N_124unique_dim_cuda_templateIN3c104HalfEEESt5tupleIJNSF_6TensorESM_SM_EERKSM_lbbbEUlllE0_EEPmJS9_EEE10hipError_tPvRmT3_T4_T5_T6_T7_T9_mT8_P12ihipStream_tbDpT10_ENKUlT_T0_E_clISt17integral_constantIbLb1EES1B_IbLb0EEEEDaS17_S18_EUlS17_E_NS1_11comp_targetILNS1_3genE9ELNS1_11target_archE1100ELNS1_3gpuE3ELNS1_3repE0EEENS1_30default_config_static_selectorELNS0_4arch9wavefront6targetE0EEEvT1_,"axG",@progbits,_ZN7rocprim17ROCPRIM_400000_NS6detail17trampoline_kernelINS0_14default_configENS1_25partition_config_selectorILNS1_17partition_subalgoE9EllbEEZZNS1_14partition_implILS5_9ELb0ES3_jPlS8_PNS0_10empty_typeENS0_5tupleIJS8_S9_EEENSB_IJS8_SA_EEENS0_18inequality_wrapperIZN2at6native12_GLOBAL__N_124unique_dim_cuda_templateIN3c104HalfEEESt5tupleIJNSF_6TensorESM_SM_EERKSM_lbbbEUlllE0_EEPmJS9_EEE10hipError_tPvRmT3_T4_T5_T6_T7_T9_mT8_P12ihipStream_tbDpT10_ENKUlT_T0_E_clISt17integral_constantIbLb1EES1B_IbLb0EEEEDaS17_S18_EUlS17_E_NS1_11comp_targetILNS1_3genE9ELNS1_11target_archE1100ELNS1_3gpuE3ELNS1_3repE0EEENS1_30default_config_static_selectorELNS0_4arch9wavefront6targetE0EEEvT1_,comdat
.Lfunc_end1351:
	.size	_ZN7rocprim17ROCPRIM_400000_NS6detail17trampoline_kernelINS0_14default_configENS1_25partition_config_selectorILNS1_17partition_subalgoE9EllbEEZZNS1_14partition_implILS5_9ELb0ES3_jPlS8_PNS0_10empty_typeENS0_5tupleIJS8_S9_EEENSB_IJS8_SA_EEENS0_18inequality_wrapperIZN2at6native12_GLOBAL__N_124unique_dim_cuda_templateIN3c104HalfEEESt5tupleIJNSF_6TensorESM_SM_EERKSM_lbbbEUlllE0_EEPmJS9_EEE10hipError_tPvRmT3_T4_T5_T6_T7_T9_mT8_P12ihipStream_tbDpT10_ENKUlT_T0_E_clISt17integral_constantIbLb1EES1B_IbLb0EEEEDaS17_S18_EUlS17_E_NS1_11comp_targetILNS1_3genE9ELNS1_11target_archE1100ELNS1_3gpuE3ELNS1_3repE0EEENS1_30default_config_static_selectorELNS0_4arch9wavefront6targetE0EEEvT1_, .Lfunc_end1351-_ZN7rocprim17ROCPRIM_400000_NS6detail17trampoline_kernelINS0_14default_configENS1_25partition_config_selectorILNS1_17partition_subalgoE9EllbEEZZNS1_14partition_implILS5_9ELb0ES3_jPlS8_PNS0_10empty_typeENS0_5tupleIJS8_S9_EEENSB_IJS8_SA_EEENS0_18inequality_wrapperIZN2at6native12_GLOBAL__N_124unique_dim_cuda_templateIN3c104HalfEEESt5tupleIJNSF_6TensorESM_SM_EERKSM_lbbbEUlllE0_EEPmJS9_EEE10hipError_tPvRmT3_T4_T5_T6_T7_T9_mT8_P12ihipStream_tbDpT10_ENKUlT_T0_E_clISt17integral_constantIbLb1EES1B_IbLb0EEEEDaS17_S18_EUlS17_E_NS1_11comp_targetILNS1_3genE9ELNS1_11target_archE1100ELNS1_3gpuE3ELNS1_3repE0EEENS1_30default_config_static_selectorELNS0_4arch9wavefront6targetE0EEEvT1_
                                        ; -- End function
	.set _ZN7rocprim17ROCPRIM_400000_NS6detail17trampoline_kernelINS0_14default_configENS1_25partition_config_selectorILNS1_17partition_subalgoE9EllbEEZZNS1_14partition_implILS5_9ELb0ES3_jPlS8_PNS0_10empty_typeENS0_5tupleIJS8_S9_EEENSB_IJS8_SA_EEENS0_18inequality_wrapperIZN2at6native12_GLOBAL__N_124unique_dim_cuda_templateIN3c104HalfEEESt5tupleIJNSF_6TensorESM_SM_EERKSM_lbbbEUlllE0_EEPmJS9_EEE10hipError_tPvRmT3_T4_T5_T6_T7_T9_mT8_P12ihipStream_tbDpT10_ENKUlT_T0_E_clISt17integral_constantIbLb1EES1B_IbLb0EEEEDaS17_S18_EUlS17_E_NS1_11comp_targetILNS1_3genE9ELNS1_11target_archE1100ELNS1_3gpuE3ELNS1_3repE0EEENS1_30default_config_static_selectorELNS0_4arch9wavefront6targetE0EEEvT1_.num_vgpr, 0
	.set _ZN7rocprim17ROCPRIM_400000_NS6detail17trampoline_kernelINS0_14default_configENS1_25partition_config_selectorILNS1_17partition_subalgoE9EllbEEZZNS1_14partition_implILS5_9ELb0ES3_jPlS8_PNS0_10empty_typeENS0_5tupleIJS8_S9_EEENSB_IJS8_SA_EEENS0_18inequality_wrapperIZN2at6native12_GLOBAL__N_124unique_dim_cuda_templateIN3c104HalfEEESt5tupleIJNSF_6TensorESM_SM_EERKSM_lbbbEUlllE0_EEPmJS9_EEE10hipError_tPvRmT3_T4_T5_T6_T7_T9_mT8_P12ihipStream_tbDpT10_ENKUlT_T0_E_clISt17integral_constantIbLb1EES1B_IbLb0EEEEDaS17_S18_EUlS17_E_NS1_11comp_targetILNS1_3genE9ELNS1_11target_archE1100ELNS1_3gpuE3ELNS1_3repE0EEENS1_30default_config_static_selectorELNS0_4arch9wavefront6targetE0EEEvT1_.num_agpr, 0
	.set _ZN7rocprim17ROCPRIM_400000_NS6detail17trampoline_kernelINS0_14default_configENS1_25partition_config_selectorILNS1_17partition_subalgoE9EllbEEZZNS1_14partition_implILS5_9ELb0ES3_jPlS8_PNS0_10empty_typeENS0_5tupleIJS8_S9_EEENSB_IJS8_SA_EEENS0_18inequality_wrapperIZN2at6native12_GLOBAL__N_124unique_dim_cuda_templateIN3c104HalfEEESt5tupleIJNSF_6TensorESM_SM_EERKSM_lbbbEUlllE0_EEPmJS9_EEE10hipError_tPvRmT3_T4_T5_T6_T7_T9_mT8_P12ihipStream_tbDpT10_ENKUlT_T0_E_clISt17integral_constantIbLb1EES1B_IbLb0EEEEDaS17_S18_EUlS17_E_NS1_11comp_targetILNS1_3genE9ELNS1_11target_archE1100ELNS1_3gpuE3ELNS1_3repE0EEENS1_30default_config_static_selectorELNS0_4arch9wavefront6targetE0EEEvT1_.numbered_sgpr, 0
	.set _ZN7rocprim17ROCPRIM_400000_NS6detail17trampoline_kernelINS0_14default_configENS1_25partition_config_selectorILNS1_17partition_subalgoE9EllbEEZZNS1_14partition_implILS5_9ELb0ES3_jPlS8_PNS0_10empty_typeENS0_5tupleIJS8_S9_EEENSB_IJS8_SA_EEENS0_18inequality_wrapperIZN2at6native12_GLOBAL__N_124unique_dim_cuda_templateIN3c104HalfEEESt5tupleIJNSF_6TensorESM_SM_EERKSM_lbbbEUlllE0_EEPmJS9_EEE10hipError_tPvRmT3_T4_T5_T6_T7_T9_mT8_P12ihipStream_tbDpT10_ENKUlT_T0_E_clISt17integral_constantIbLb1EES1B_IbLb0EEEEDaS17_S18_EUlS17_E_NS1_11comp_targetILNS1_3genE9ELNS1_11target_archE1100ELNS1_3gpuE3ELNS1_3repE0EEENS1_30default_config_static_selectorELNS0_4arch9wavefront6targetE0EEEvT1_.num_named_barrier, 0
	.set _ZN7rocprim17ROCPRIM_400000_NS6detail17trampoline_kernelINS0_14default_configENS1_25partition_config_selectorILNS1_17partition_subalgoE9EllbEEZZNS1_14partition_implILS5_9ELb0ES3_jPlS8_PNS0_10empty_typeENS0_5tupleIJS8_S9_EEENSB_IJS8_SA_EEENS0_18inequality_wrapperIZN2at6native12_GLOBAL__N_124unique_dim_cuda_templateIN3c104HalfEEESt5tupleIJNSF_6TensorESM_SM_EERKSM_lbbbEUlllE0_EEPmJS9_EEE10hipError_tPvRmT3_T4_T5_T6_T7_T9_mT8_P12ihipStream_tbDpT10_ENKUlT_T0_E_clISt17integral_constantIbLb1EES1B_IbLb0EEEEDaS17_S18_EUlS17_E_NS1_11comp_targetILNS1_3genE9ELNS1_11target_archE1100ELNS1_3gpuE3ELNS1_3repE0EEENS1_30default_config_static_selectorELNS0_4arch9wavefront6targetE0EEEvT1_.private_seg_size, 0
	.set _ZN7rocprim17ROCPRIM_400000_NS6detail17trampoline_kernelINS0_14default_configENS1_25partition_config_selectorILNS1_17partition_subalgoE9EllbEEZZNS1_14partition_implILS5_9ELb0ES3_jPlS8_PNS0_10empty_typeENS0_5tupleIJS8_S9_EEENSB_IJS8_SA_EEENS0_18inequality_wrapperIZN2at6native12_GLOBAL__N_124unique_dim_cuda_templateIN3c104HalfEEESt5tupleIJNSF_6TensorESM_SM_EERKSM_lbbbEUlllE0_EEPmJS9_EEE10hipError_tPvRmT3_T4_T5_T6_T7_T9_mT8_P12ihipStream_tbDpT10_ENKUlT_T0_E_clISt17integral_constantIbLb1EES1B_IbLb0EEEEDaS17_S18_EUlS17_E_NS1_11comp_targetILNS1_3genE9ELNS1_11target_archE1100ELNS1_3gpuE3ELNS1_3repE0EEENS1_30default_config_static_selectorELNS0_4arch9wavefront6targetE0EEEvT1_.uses_vcc, 0
	.set _ZN7rocprim17ROCPRIM_400000_NS6detail17trampoline_kernelINS0_14default_configENS1_25partition_config_selectorILNS1_17partition_subalgoE9EllbEEZZNS1_14partition_implILS5_9ELb0ES3_jPlS8_PNS0_10empty_typeENS0_5tupleIJS8_S9_EEENSB_IJS8_SA_EEENS0_18inequality_wrapperIZN2at6native12_GLOBAL__N_124unique_dim_cuda_templateIN3c104HalfEEESt5tupleIJNSF_6TensorESM_SM_EERKSM_lbbbEUlllE0_EEPmJS9_EEE10hipError_tPvRmT3_T4_T5_T6_T7_T9_mT8_P12ihipStream_tbDpT10_ENKUlT_T0_E_clISt17integral_constantIbLb1EES1B_IbLb0EEEEDaS17_S18_EUlS17_E_NS1_11comp_targetILNS1_3genE9ELNS1_11target_archE1100ELNS1_3gpuE3ELNS1_3repE0EEENS1_30default_config_static_selectorELNS0_4arch9wavefront6targetE0EEEvT1_.uses_flat_scratch, 0
	.set _ZN7rocprim17ROCPRIM_400000_NS6detail17trampoline_kernelINS0_14default_configENS1_25partition_config_selectorILNS1_17partition_subalgoE9EllbEEZZNS1_14partition_implILS5_9ELb0ES3_jPlS8_PNS0_10empty_typeENS0_5tupleIJS8_S9_EEENSB_IJS8_SA_EEENS0_18inequality_wrapperIZN2at6native12_GLOBAL__N_124unique_dim_cuda_templateIN3c104HalfEEESt5tupleIJNSF_6TensorESM_SM_EERKSM_lbbbEUlllE0_EEPmJS9_EEE10hipError_tPvRmT3_T4_T5_T6_T7_T9_mT8_P12ihipStream_tbDpT10_ENKUlT_T0_E_clISt17integral_constantIbLb1EES1B_IbLb0EEEEDaS17_S18_EUlS17_E_NS1_11comp_targetILNS1_3genE9ELNS1_11target_archE1100ELNS1_3gpuE3ELNS1_3repE0EEENS1_30default_config_static_selectorELNS0_4arch9wavefront6targetE0EEEvT1_.has_dyn_sized_stack, 0
	.set _ZN7rocprim17ROCPRIM_400000_NS6detail17trampoline_kernelINS0_14default_configENS1_25partition_config_selectorILNS1_17partition_subalgoE9EllbEEZZNS1_14partition_implILS5_9ELb0ES3_jPlS8_PNS0_10empty_typeENS0_5tupleIJS8_S9_EEENSB_IJS8_SA_EEENS0_18inequality_wrapperIZN2at6native12_GLOBAL__N_124unique_dim_cuda_templateIN3c104HalfEEESt5tupleIJNSF_6TensorESM_SM_EERKSM_lbbbEUlllE0_EEPmJS9_EEE10hipError_tPvRmT3_T4_T5_T6_T7_T9_mT8_P12ihipStream_tbDpT10_ENKUlT_T0_E_clISt17integral_constantIbLb1EES1B_IbLb0EEEEDaS17_S18_EUlS17_E_NS1_11comp_targetILNS1_3genE9ELNS1_11target_archE1100ELNS1_3gpuE3ELNS1_3repE0EEENS1_30default_config_static_selectorELNS0_4arch9wavefront6targetE0EEEvT1_.has_recursion, 0
	.set _ZN7rocprim17ROCPRIM_400000_NS6detail17trampoline_kernelINS0_14default_configENS1_25partition_config_selectorILNS1_17partition_subalgoE9EllbEEZZNS1_14partition_implILS5_9ELb0ES3_jPlS8_PNS0_10empty_typeENS0_5tupleIJS8_S9_EEENSB_IJS8_SA_EEENS0_18inequality_wrapperIZN2at6native12_GLOBAL__N_124unique_dim_cuda_templateIN3c104HalfEEESt5tupleIJNSF_6TensorESM_SM_EERKSM_lbbbEUlllE0_EEPmJS9_EEE10hipError_tPvRmT3_T4_T5_T6_T7_T9_mT8_P12ihipStream_tbDpT10_ENKUlT_T0_E_clISt17integral_constantIbLb1EES1B_IbLb0EEEEDaS17_S18_EUlS17_E_NS1_11comp_targetILNS1_3genE9ELNS1_11target_archE1100ELNS1_3gpuE3ELNS1_3repE0EEENS1_30default_config_static_selectorELNS0_4arch9wavefront6targetE0EEEvT1_.has_indirect_call, 0
	.section	.AMDGPU.csdata,"",@progbits
; Kernel info:
; codeLenInByte = 0
; TotalNumSgprs: 0
; NumVgprs: 0
; ScratchSize: 0
; MemoryBound: 0
; FloatMode: 240
; IeeeMode: 1
; LDSByteSize: 0 bytes/workgroup (compile time only)
; SGPRBlocks: 0
; VGPRBlocks: 0
; NumSGPRsForWavesPerEU: 1
; NumVGPRsForWavesPerEU: 1
; NamedBarCnt: 0
; Occupancy: 16
; WaveLimiterHint : 0
; COMPUTE_PGM_RSRC2:SCRATCH_EN: 0
; COMPUTE_PGM_RSRC2:USER_SGPR: 2
; COMPUTE_PGM_RSRC2:TRAP_HANDLER: 0
; COMPUTE_PGM_RSRC2:TGID_X_EN: 1
; COMPUTE_PGM_RSRC2:TGID_Y_EN: 0
; COMPUTE_PGM_RSRC2:TGID_Z_EN: 0
; COMPUTE_PGM_RSRC2:TIDIG_COMP_CNT: 0
	.section	.text._ZN7rocprim17ROCPRIM_400000_NS6detail17trampoline_kernelINS0_14default_configENS1_25partition_config_selectorILNS1_17partition_subalgoE9EllbEEZZNS1_14partition_implILS5_9ELb0ES3_jPlS8_PNS0_10empty_typeENS0_5tupleIJS8_S9_EEENSB_IJS8_SA_EEENS0_18inequality_wrapperIZN2at6native12_GLOBAL__N_124unique_dim_cuda_templateIN3c104HalfEEESt5tupleIJNSF_6TensorESM_SM_EERKSM_lbbbEUlllE0_EEPmJS9_EEE10hipError_tPvRmT3_T4_T5_T6_T7_T9_mT8_P12ihipStream_tbDpT10_ENKUlT_T0_E_clISt17integral_constantIbLb1EES1B_IbLb0EEEEDaS17_S18_EUlS17_E_NS1_11comp_targetILNS1_3genE8ELNS1_11target_archE1030ELNS1_3gpuE2ELNS1_3repE0EEENS1_30default_config_static_selectorELNS0_4arch9wavefront6targetE0EEEvT1_,"axG",@progbits,_ZN7rocprim17ROCPRIM_400000_NS6detail17trampoline_kernelINS0_14default_configENS1_25partition_config_selectorILNS1_17partition_subalgoE9EllbEEZZNS1_14partition_implILS5_9ELb0ES3_jPlS8_PNS0_10empty_typeENS0_5tupleIJS8_S9_EEENSB_IJS8_SA_EEENS0_18inequality_wrapperIZN2at6native12_GLOBAL__N_124unique_dim_cuda_templateIN3c104HalfEEESt5tupleIJNSF_6TensorESM_SM_EERKSM_lbbbEUlllE0_EEPmJS9_EEE10hipError_tPvRmT3_T4_T5_T6_T7_T9_mT8_P12ihipStream_tbDpT10_ENKUlT_T0_E_clISt17integral_constantIbLb1EES1B_IbLb0EEEEDaS17_S18_EUlS17_E_NS1_11comp_targetILNS1_3genE8ELNS1_11target_archE1030ELNS1_3gpuE2ELNS1_3repE0EEENS1_30default_config_static_selectorELNS0_4arch9wavefront6targetE0EEEvT1_,comdat
	.globl	_ZN7rocprim17ROCPRIM_400000_NS6detail17trampoline_kernelINS0_14default_configENS1_25partition_config_selectorILNS1_17partition_subalgoE9EllbEEZZNS1_14partition_implILS5_9ELb0ES3_jPlS8_PNS0_10empty_typeENS0_5tupleIJS8_S9_EEENSB_IJS8_SA_EEENS0_18inequality_wrapperIZN2at6native12_GLOBAL__N_124unique_dim_cuda_templateIN3c104HalfEEESt5tupleIJNSF_6TensorESM_SM_EERKSM_lbbbEUlllE0_EEPmJS9_EEE10hipError_tPvRmT3_T4_T5_T6_T7_T9_mT8_P12ihipStream_tbDpT10_ENKUlT_T0_E_clISt17integral_constantIbLb1EES1B_IbLb0EEEEDaS17_S18_EUlS17_E_NS1_11comp_targetILNS1_3genE8ELNS1_11target_archE1030ELNS1_3gpuE2ELNS1_3repE0EEENS1_30default_config_static_selectorELNS0_4arch9wavefront6targetE0EEEvT1_ ; -- Begin function _ZN7rocprim17ROCPRIM_400000_NS6detail17trampoline_kernelINS0_14default_configENS1_25partition_config_selectorILNS1_17partition_subalgoE9EllbEEZZNS1_14partition_implILS5_9ELb0ES3_jPlS8_PNS0_10empty_typeENS0_5tupleIJS8_S9_EEENSB_IJS8_SA_EEENS0_18inequality_wrapperIZN2at6native12_GLOBAL__N_124unique_dim_cuda_templateIN3c104HalfEEESt5tupleIJNSF_6TensorESM_SM_EERKSM_lbbbEUlllE0_EEPmJS9_EEE10hipError_tPvRmT3_T4_T5_T6_T7_T9_mT8_P12ihipStream_tbDpT10_ENKUlT_T0_E_clISt17integral_constantIbLb1EES1B_IbLb0EEEEDaS17_S18_EUlS17_E_NS1_11comp_targetILNS1_3genE8ELNS1_11target_archE1030ELNS1_3gpuE2ELNS1_3repE0EEENS1_30default_config_static_selectorELNS0_4arch9wavefront6targetE0EEEvT1_
	.p2align	8
	.type	_ZN7rocprim17ROCPRIM_400000_NS6detail17trampoline_kernelINS0_14default_configENS1_25partition_config_selectorILNS1_17partition_subalgoE9EllbEEZZNS1_14partition_implILS5_9ELb0ES3_jPlS8_PNS0_10empty_typeENS0_5tupleIJS8_S9_EEENSB_IJS8_SA_EEENS0_18inequality_wrapperIZN2at6native12_GLOBAL__N_124unique_dim_cuda_templateIN3c104HalfEEESt5tupleIJNSF_6TensorESM_SM_EERKSM_lbbbEUlllE0_EEPmJS9_EEE10hipError_tPvRmT3_T4_T5_T6_T7_T9_mT8_P12ihipStream_tbDpT10_ENKUlT_T0_E_clISt17integral_constantIbLb1EES1B_IbLb0EEEEDaS17_S18_EUlS17_E_NS1_11comp_targetILNS1_3genE8ELNS1_11target_archE1030ELNS1_3gpuE2ELNS1_3repE0EEENS1_30default_config_static_selectorELNS0_4arch9wavefront6targetE0EEEvT1_,@function
_ZN7rocprim17ROCPRIM_400000_NS6detail17trampoline_kernelINS0_14default_configENS1_25partition_config_selectorILNS1_17partition_subalgoE9EllbEEZZNS1_14partition_implILS5_9ELb0ES3_jPlS8_PNS0_10empty_typeENS0_5tupleIJS8_S9_EEENSB_IJS8_SA_EEENS0_18inequality_wrapperIZN2at6native12_GLOBAL__N_124unique_dim_cuda_templateIN3c104HalfEEESt5tupleIJNSF_6TensorESM_SM_EERKSM_lbbbEUlllE0_EEPmJS9_EEE10hipError_tPvRmT3_T4_T5_T6_T7_T9_mT8_P12ihipStream_tbDpT10_ENKUlT_T0_E_clISt17integral_constantIbLb1EES1B_IbLb0EEEEDaS17_S18_EUlS17_E_NS1_11comp_targetILNS1_3genE8ELNS1_11target_archE1030ELNS1_3gpuE2ELNS1_3repE0EEENS1_30default_config_static_selectorELNS0_4arch9wavefront6targetE0EEEvT1_: ; @_ZN7rocprim17ROCPRIM_400000_NS6detail17trampoline_kernelINS0_14default_configENS1_25partition_config_selectorILNS1_17partition_subalgoE9EllbEEZZNS1_14partition_implILS5_9ELb0ES3_jPlS8_PNS0_10empty_typeENS0_5tupleIJS8_S9_EEENSB_IJS8_SA_EEENS0_18inequality_wrapperIZN2at6native12_GLOBAL__N_124unique_dim_cuda_templateIN3c104HalfEEESt5tupleIJNSF_6TensorESM_SM_EERKSM_lbbbEUlllE0_EEPmJS9_EEE10hipError_tPvRmT3_T4_T5_T6_T7_T9_mT8_P12ihipStream_tbDpT10_ENKUlT_T0_E_clISt17integral_constantIbLb1EES1B_IbLb0EEEEDaS17_S18_EUlS17_E_NS1_11comp_targetILNS1_3genE8ELNS1_11target_archE1030ELNS1_3gpuE2ELNS1_3repE0EEENS1_30default_config_static_selectorELNS0_4arch9wavefront6targetE0EEEvT1_
; %bb.0:
	.section	.rodata,"a",@progbits
	.p2align	6, 0x0
	.amdhsa_kernel _ZN7rocprim17ROCPRIM_400000_NS6detail17trampoline_kernelINS0_14default_configENS1_25partition_config_selectorILNS1_17partition_subalgoE9EllbEEZZNS1_14partition_implILS5_9ELb0ES3_jPlS8_PNS0_10empty_typeENS0_5tupleIJS8_S9_EEENSB_IJS8_SA_EEENS0_18inequality_wrapperIZN2at6native12_GLOBAL__N_124unique_dim_cuda_templateIN3c104HalfEEESt5tupleIJNSF_6TensorESM_SM_EERKSM_lbbbEUlllE0_EEPmJS9_EEE10hipError_tPvRmT3_T4_T5_T6_T7_T9_mT8_P12ihipStream_tbDpT10_ENKUlT_T0_E_clISt17integral_constantIbLb1EES1B_IbLb0EEEEDaS17_S18_EUlS17_E_NS1_11comp_targetILNS1_3genE8ELNS1_11target_archE1030ELNS1_3gpuE2ELNS1_3repE0EEENS1_30default_config_static_selectorELNS0_4arch9wavefront6targetE0EEEvT1_
		.amdhsa_group_segment_fixed_size 0
		.amdhsa_private_segment_fixed_size 0
		.amdhsa_kernarg_size 120
		.amdhsa_user_sgpr_count 2
		.amdhsa_user_sgpr_dispatch_ptr 0
		.amdhsa_user_sgpr_queue_ptr 0
		.amdhsa_user_sgpr_kernarg_segment_ptr 1
		.amdhsa_user_sgpr_dispatch_id 0
		.amdhsa_user_sgpr_kernarg_preload_length 0
		.amdhsa_user_sgpr_kernarg_preload_offset 0
		.amdhsa_user_sgpr_private_segment_size 0
		.amdhsa_wavefront_size32 1
		.amdhsa_uses_dynamic_stack 0
		.amdhsa_enable_private_segment 0
		.amdhsa_system_sgpr_workgroup_id_x 1
		.amdhsa_system_sgpr_workgroup_id_y 0
		.amdhsa_system_sgpr_workgroup_id_z 0
		.amdhsa_system_sgpr_workgroup_info 0
		.amdhsa_system_vgpr_workitem_id 0
		.amdhsa_next_free_vgpr 1
		.amdhsa_next_free_sgpr 1
		.amdhsa_named_barrier_count 0
		.amdhsa_reserve_vcc 0
		.amdhsa_float_round_mode_32 0
		.amdhsa_float_round_mode_16_64 0
		.amdhsa_float_denorm_mode_32 3
		.amdhsa_float_denorm_mode_16_64 3
		.amdhsa_fp16_overflow 0
		.amdhsa_memory_ordered 1
		.amdhsa_forward_progress 1
		.amdhsa_inst_pref_size 0
		.amdhsa_round_robin_scheduling 0
		.amdhsa_exception_fp_ieee_invalid_op 0
		.amdhsa_exception_fp_denorm_src 0
		.amdhsa_exception_fp_ieee_div_zero 0
		.amdhsa_exception_fp_ieee_overflow 0
		.amdhsa_exception_fp_ieee_underflow 0
		.amdhsa_exception_fp_ieee_inexact 0
		.amdhsa_exception_int_div_zero 0
	.end_amdhsa_kernel
	.section	.text._ZN7rocprim17ROCPRIM_400000_NS6detail17trampoline_kernelINS0_14default_configENS1_25partition_config_selectorILNS1_17partition_subalgoE9EllbEEZZNS1_14partition_implILS5_9ELb0ES3_jPlS8_PNS0_10empty_typeENS0_5tupleIJS8_S9_EEENSB_IJS8_SA_EEENS0_18inequality_wrapperIZN2at6native12_GLOBAL__N_124unique_dim_cuda_templateIN3c104HalfEEESt5tupleIJNSF_6TensorESM_SM_EERKSM_lbbbEUlllE0_EEPmJS9_EEE10hipError_tPvRmT3_T4_T5_T6_T7_T9_mT8_P12ihipStream_tbDpT10_ENKUlT_T0_E_clISt17integral_constantIbLb1EES1B_IbLb0EEEEDaS17_S18_EUlS17_E_NS1_11comp_targetILNS1_3genE8ELNS1_11target_archE1030ELNS1_3gpuE2ELNS1_3repE0EEENS1_30default_config_static_selectorELNS0_4arch9wavefront6targetE0EEEvT1_,"axG",@progbits,_ZN7rocprim17ROCPRIM_400000_NS6detail17trampoline_kernelINS0_14default_configENS1_25partition_config_selectorILNS1_17partition_subalgoE9EllbEEZZNS1_14partition_implILS5_9ELb0ES3_jPlS8_PNS0_10empty_typeENS0_5tupleIJS8_S9_EEENSB_IJS8_SA_EEENS0_18inequality_wrapperIZN2at6native12_GLOBAL__N_124unique_dim_cuda_templateIN3c104HalfEEESt5tupleIJNSF_6TensorESM_SM_EERKSM_lbbbEUlllE0_EEPmJS9_EEE10hipError_tPvRmT3_T4_T5_T6_T7_T9_mT8_P12ihipStream_tbDpT10_ENKUlT_T0_E_clISt17integral_constantIbLb1EES1B_IbLb0EEEEDaS17_S18_EUlS17_E_NS1_11comp_targetILNS1_3genE8ELNS1_11target_archE1030ELNS1_3gpuE2ELNS1_3repE0EEENS1_30default_config_static_selectorELNS0_4arch9wavefront6targetE0EEEvT1_,comdat
.Lfunc_end1352:
	.size	_ZN7rocprim17ROCPRIM_400000_NS6detail17trampoline_kernelINS0_14default_configENS1_25partition_config_selectorILNS1_17partition_subalgoE9EllbEEZZNS1_14partition_implILS5_9ELb0ES3_jPlS8_PNS0_10empty_typeENS0_5tupleIJS8_S9_EEENSB_IJS8_SA_EEENS0_18inequality_wrapperIZN2at6native12_GLOBAL__N_124unique_dim_cuda_templateIN3c104HalfEEESt5tupleIJNSF_6TensorESM_SM_EERKSM_lbbbEUlllE0_EEPmJS9_EEE10hipError_tPvRmT3_T4_T5_T6_T7_T9_mT8_P12ihipStream_tbDpT10_ENKUlT_T0_E_clISt17integral_constantIbLb1EES1B_IbLb0EEEEDaS17_S18_EUlS17_E_NS1_11comp_targetILNS1_3genE8ELNS1_11target_archE1030ELNS1_3gpuE2ELNS1_3repE0EEENS1_30default_config_static_selectorELNS0_4arch9wavefront6targetE0EEEvT1_, .Lfunc_end1352-_ZN7rocprim17ROCPRIM_400000_NS6detail17trampoline_kernelINS0_14default_configENS1_25partition_config_selectorILNS1_17partition_subalgoE9EllbEEZZNS1_14partition_implILS5_9ELb0ES3_jPlS8_PNS0_10empty_typeENS0_5tupleIJS8_S9_EEENSB_IJS8_SA_EEENS0_18inequality_wrapperIZN2at6native12_GLOBAL__N_124unique_dim_cuda_templateIN3c104HalfEEESt5tupleIJNSF_6TensorESM_SM_EERKSM_lbbbEUlllE0_EEPmJS9_EEE10hipError_tPvRmT3_T4_T5_T6_T7_T9_mT8_P12ihipStream_tbDpT10_ENKUlT_T0_E_clISt17integral_constantIbLb1EES1B_IbLb0EEEEDaS17_S18_EUlS17_E_NS1_11comp_targetILNS1_3genE8ELNS1_11target_archE1030ELNS1_3gpuE2ELNS1_3repE0EEENS1_30default_config_static_selectorELNS0_4arch9wavefront6targetE0EEEvT1_
                                        ; -- End function
	.set _ZN7rocprim17ROCPRIM_400000_NS6detail17trampoline_kernelINS0_14default_configENS1_25partition_config_selectorILNS1_17partition_subalgoE9EllbEEZZNS1_14partition_implILS5_9ELb0ES3_jPlS8_PNS0_10empty_typeENS0_5tupleIJS8_S9_EEENSB_IJS8_SA_EEENS0_18inequality_wrapperIZN2at6native12_GLOBAL__N_124unique_dim_cuda_templateIN3c104HalfEEESt5tupleIJNSF_6TensorESM_SM_EERKSM_lbbbEUlllE0_EEPmJS9_EEE10hipError_tPvRmT3_T4_T5_T6_T7_T9_mT8_P12ihipStream_tbDpT10_ENKUlT_T0_E_clISt17integral_constantIbLb1EES1B_IbLb0EEEEDaS17_S18_EUlS17_E_NS1_11comp_targetILNS1_3genE8ELNS1_11target_archE1030ELNS1_3gpuE2ELNS1_3repE0EEENS1_30default_config_static_selectorELNS0_4arch9wavefront6targetE0EEEvT1_.num_vgpr, 0
	.set _ZN7rocprim17ROCPRIM_400000_NS6detail17trampoline_kernelINS0_14default_configENS1_25partition_config_selectorILNS1_17partition_subalgoE9EllbEEZZNS1_14partition_implILS5_9ELb0ES3_jPlS8_PNS0_10empty_typeENS0_5tupleIJS8_S9_EEENSB_IJS8_SA_EEENS0_18inequality_wrapperIZN2at6native12_GLOBAL__N_124unique_dim_cuda_templateIN3c104HalfEEESt5tupleIJNSF_6TensorESM_SM_EERKSM_lbbbEUlllE0_EEPmJS9_EEE10hipError_tPvRmT3_T4_T5_T6_T7_T9_mT8_P12ihipStream_tbDpT10_ENKUlT_T0_E_clISt17integral_constantIbLb1EES1B_IbLb0EEEEDaS17_S18_EUlS17_E_NS1_11comp_targetILNS1_3genE8ELNS1_11target_archE1030ELNS1_3gpuE2ELNS1_3repE0EEENS1_30default_config_static_selectorELNS0_4arch9wavefront6targetE0EEEvT1_.num_agpr, 0
	.set _ZN7rocprim17ROCPRIM_400000_NS6detail17trampoline_kernelINS0_14default_configENS1_25partition_config_selectorILNS1_17partition_subalgoE9EllbEEZZNS1_14partition_implILS5_9ELb0ES3_jPlS8_PNS0_10empty_typeENS0_5tupleIJS8_S9_EEENSB_IJS8_SA_EEENS0_18inequality_wrapperIZN2at6native12_GLOBAL__N_124unique_dim_cuda_templateIN3c104HalfEEESt5tupleIJNSF_6TensorESM_SM_EERKSM_lbbbEUlllE0_EEPmJS9_EEE10hipError_tPvRmT3_T4_T5_T6_T7_T9_mT8_P12ihipStream_tbDpT10_ENKUlT_T0_E_clISt17integral_constantIbLb1EES1B_IbLb0EEEEDaS17_S18_EUlS17_E_NS1_11comp_targetILNS1_3genE8ELNS1_11target_archE1030ELNS1_3gpuE2ELNS1_3repE0EEENS1_30default_config_static_selectorELNS0_4arch9wavefront6targetE0EEEvT1_.numbered_sgpr, 0
	.set _ZN7rocprim17ROCPRIM_400000_NS6detail17trampoline_kernelINS0_14default_configENS1_25partition_config_selectorILNS1_17partition_subalgoE9EllbEEZZNS1_14partition_implILS5_9ELb0ES3_jPlS8_PNS0_10empty_typeENS0_5tupleIJS8_S9_EEENSB_IJS8_SA_EEENS0_18inequality_wrapperIZN2at6native12_GLOBAL__N_124unique_dim_cuda_templateIN3c104HalfEEESt5tupleIJNSF_6TensorESM_SM_EERKSM_lbbbEUlllE0_EEPmJS9_EEE10hipError_tPvRmT3_T4_T5_T6_T7_T9_mT8_P12ihipStream_tbDpT10_ENKUlT_T0_E_clISt17integral_constantIbLb1EES1B_IbLb0EEEEDaS17_S18_EUlS17_E_NS1_11comp_targetILNS1_3genE8ELNS1_11target_archE1030ELNS1_3gpuE2ELNS1_3repE0EEENS1_30default_config_static_selectorELNS0_4arch9wavefront6targetE0EEEvT1_.num_named_barrier, 0
	.set _ZN7rocprim17ROCPRIM_400000_NS6detail17trampoline_kernelINS0_14default_configENS1_25partition_config_selectorILNS1_17partition_subalgoE9EllbEEZZNS1_14partition_implILS5_9ELb0ES3_jPlS8_PNS0_10empty_typeENS0_5tupleIJS8_S9_EEENSB_IJS8_SA_EEENS0_18inequality_wrapperIZN2at6native12_GLOBAL__N_124unique_dim_cuda_templateIN3c104HalfEEESt5tupleIJNSF_6TensorESM_SM_EERKSM_lbbbEUlllE0_EEPmJS9_EEE10hipError_tPvRmT3_T4_T5_T6_T7_T9_mT8_P12ihipStream_tbDpT10_ENKUlT_T0_E_clISt17integral_constantIbLb1EES1B_IbLb0EEEEDaS17_S18_EUlS17_E_NS1_11comp_targetILNS1_3genE8ELNS1_11target_archE1030ELNS1_3gpuE2ELNS1_3repE0EEENS1_30default_config_static_selectorELNS0_4arch9wavefront6targetE0EEEvT1_.private_seg_size, 0
	.set _ZN7rocprim17ROCPRIM_400000_NS6detail17trampoline_kernelINS0_14default_configENS1_25partition_config_selectorILNS1_17partition_subalgoE9EllbEEZZNS1_14partition_implILS5_9ELb0ES3_jPlS8_PNS0_10empty_typeENS0_5tupleIJS8_S9_EEENSB_IJS8_SA_EEENS0_18inequality_wrapperIZN2at6native12_GLOBAL__N_124unique_dim_cuda_templateIN3c104HalfEEESt5tupleIJNSF_6TensorESM_SM_EERKSM_lbbbEUlllE0_EEPmJS9_EEE10hipError_tPvRmT3_T4_T5_T6_T7_T9_mT8_P12ihipStream_tbDpT10_ENKUlT_T0_E_clISt17integral_constantIbLb1EES1B_IbLb0EEEEDaS17_S18_EUlS17_E_NS1_11comp_targetILNS1_3genE8ELNS1_11target_archE1030ELNS1_3gpuE2ELNS1_3repE0EEENS1_30default_config_static_selectorELNS0_4arch9wavefront6targetE0EEEvT1_.uses_vcc, 0
	.set _ZN7rocprim17ROCPRIM_400000_NS6detail17trampoline_kernelINS0_14default_configENS1_25partition_config_selectorILNS1_17partition_subalgoE9EllbEEZZNS1_14partition_implILS5_9ELb0ES3_jPlS8_PNS0_10empty_typeENS0_5tupleIJS8_S9_EEENSB_IJS8_SA_EEENS0_18inequality_wrapperIZN2at6native12_GLOBAL__N_124unique_dim_cuda_templateIN3c104HalfEEESt5tupleIJNSF_6TensorESM_SM_EERKSM_lbbbEUlllE0_EEPmJS9_EEE10hipError_tPvRmT3_T4_T5_T6_T7_T9_mT8_P12ihipStream_tbDpT10_ENKUlT_T0_E_clISt17integral_constantIbLb1EES1B_IbLb0EEEEDaS17_S18_EUlS17_E_NS1_11comp_targetILNS1_3genE8ELNS1_11target_archE1030ELNS1_3gpuE2ELNS1_3repE0EEENS1_30default_config_static_selectorELNS0_4arch9wavefront6targetE0EEEvT1_.uses_flat_scratch, 0
	.set _ZN7rocprim17ROCPRIM_400000_NS6detail17trampoline_kernelINS0_14default_configENS1_25partition_config_selectorILNS1_17partition_subalgoE9EllbEEZZNS1_14partition_implILS5_9ELb0ES3_jPlS8_PNS0_10empty_typeENS0_5tupleIJS8_S9_EEENSB_IJS8_SA_EEENS0_18inequality_wrapperIZN2at6native12_GLOBAL__N_124unique_dim_cuda_templateIN3c104HalfEEESt5tupleIJNSF_6TensorESM_SM_EERKSM_lbbbEUlllE0_EEPmJS9_EEE10hipError_tPvRmT3_T4_T5_T6_T7_T9_mT8_P12ihipStream_tbDpT10_ENKUlT_T0_E_clISt17integral_constantIbLb1EES1B_IbLb0EEEEDaS17_S18_EUlS17_E_NS1_11comp_targetILNS1_3genE8ELNS1_11target_archE1030ELNS1_3gpuE2ELNS1_3repE0EEENS1_30default_config_static_selectorELNS0_4arch9wavefront6targetE0EEEvT1_.has_dyn_sized_stack, 0
	.set _ZN7rocprim17ROCPRIM_400000_NS6detail17trampoline_kernelINS0_14default_configENS1_25partition_config_selectorILNS1_17partition_subalgoE9EllbEEZZNS1_14partition_implILS5_9ELb0ES3_jPlS8_PNS0_10empty_typeENS0_5tupleIJS8_S9_EEENSB_IJS8_SA_EEENS0_18inequality_wrapperIZN2at6native12_GLOBAL__N_124unique_dim_cuda_templateIN3c104HalfEEESt5tupleIJNSF_6TensorESM_SM_EERKSM_lbbbEUlllE0_EEPmJS9_EEE10hipError_tPvRmT3_T4_T5_T6_T7_T9_mT8_P12ihipStream_tbDpT10_ENKUlT_T0_E_clISt17integral_constantIbLb1EES1B_IbLb0EEEEDaS17_S18_EUlS17_E_NS1_11comp_targetILNS1_3genE8ELNS1_11target_archE1030ELNS1_3gpuE2ELNS1_3repE0EEENS1_30default_config_static_selectorELNS0_4arch9wavefront6targetE0EEEvT1_.has_recursion, 0
	.set _ZN7rocprim17ROCPRIM_400000_NS6detail17trampoline_kernelINS0_14default_configENS1_25partition_config_selectorILNS1_17partition_subalgoE9EllbEEZZNS1_14partition_implILS5_9ELb0ES3_jPlS8_PNS0_10empty_typeENS0_5tupleIJS8_S9_EEENSB_IJS8_SA_EEENS0_18inequality_wrapperIZN2at6native12_GLOBAL__N_124unique_dim_cuda_templateIN3c104HalfEEESt5tupleIJNSF_6TensorESM_SM_EERKSM_lbbbEUlllE0_EEPmJS9_EEE10hipError_tPvRmT3_T4_T5_T6_T7_T9_mT8_P12ihipStream_tbDpT10_ENKUlT_T0_E_clISt17integral_constantIbLb1EES1B_IbLb0EEEEDaS17_S18_EUlS17_E_NS1_11comp_targetILNS1_3genE8ELNS1_11target_archE1030ELNS1_3gpuE2ELNS1_3repE0EEENS1_30default_config_static_selectorELNS0_4arch9wavefront6targetE0EEEvT1_.has_indirect_call, 0
	.section	.AMDGPU.csdata,"",@progbits
; Kernel info:
; codeLenInByte = 0
; TotalNumSgprs: 0
; NumVgprs: 0
; ScratchSize: 0
; MemoryBound: 0
; FloatMode: 240
; IeeeMode: 1
; LDSByteSize: 0 bytes/workgroup (compile time only)
; SGPRBlocks: 0
; VGPRBlocks: 0
; NumSGPRsForWavesPerEU: 1
; NumVGPRsForWavesPerEU: 1
; NamedBarCnt: 0
; Occupancy: 16
; WaveLimiterHint : 0
; COMPUTE_PGM_RSRC2:SCRATCH_EN: 0
; COMPUTE_PGM_RSRC2:USER_SGPR: 2
; COMPUTE_PGM_RSRC2:TRAP_HANDLER: 0
; COMPUTE_PGM_RSRC2:TGID_X_EN: 1
; COMPUTE_PGM_RSRC2:TGID_Y_EN: 0
; COMPUTE_PGM_RSRC2:TGID_Z_EN: 0
; COMPUTE_PGM_RSRC2:TIDIG_COMP_CNT: 0
	.section	.text._ZN7rocprim17ROCPRIM_400000_NS6detail17trampoline_kernelINS0_14default_configENS1_25partition_config_selectorILNS1_17partition_subalgoE9EllbEEZZNS1_14partition_implILS5_9ELb0ES3_jPlS8_PNS0_10empty_typeENS0_5tupleIJS8_S9_EEENSB_IJS8_SA_EEENS0_18inequality_wrapperIZN2at6native12_GLOBAL__N_124unique_dim_cuda_templateIN3c104HalfEEESt5tupleIJNSF_6TensorESM_SM_EERKSM_lbbbEUlllE0_EEPmJS9_EEE10hipError_tPvRmT3_T4_T5_T6_T7_T9_mT8_P12ihipStream_tbDpT10_ENKUlT_T0_E_clISt17integral_constantIbLb0EES1B_IbLb1EEEEDaS17_S18_EUlS17_E_NS1_11comp_targetILNS1_3genE0ELNS1_11target_archE4294967295ELNS1_3gpuE0ELNS1_3repE0EEENS1_30default_config_static_selectorELNS0_4arch9wavefront6targetE0EEEvT1_,"axG",@progbits,_ZN7rocprim17ROCPRIM_400000_NS6detail17trampoline_kernelINS0_14default_configENS1_25partition_config_selectorILNS1_17partition_subalgoE9EllbEEZZNS1_14partition_implILS5_9ELb0ES3_jPlS8_PNS0_10empty_typeENS0_5tupleIJS8_S9_EEENSB_IJS8_SA_EEENS0_18inequality_wrapperIZN2at6native12_GLOBAL__N_124unique_dim_cuda_templateIN3c104HalfEEESt5tupleIJNSF_6TensorESM_SM_EERKSM_lbbbEUlllE0_EEPmJS9_EEE10hipError_tPvRmT3_T4_T5_T6_T7_T9_mT8_P12ihipStream_tbDpT10_ENKUlT_T0_E_clISt17integral_constantIbLb0EES1B_IbLb1EEEEDaS17_S18_EUlS17_E_NS1_11comp_targetILNS1_3genE0ELNS1_11target_archE4294967295ELNS1_3gpuE0ELNS1_3repE0EEENS1_30default_config_static_selectorELNS0_4arch9wavefront6targetE0EEEvT1_,comdat
	.globl	_ZN7rocprim17ROCPRIM_400000_NS6detail17trampoline_kernelINS0_14default_configENS1_25partition_config_selectorILNS1_17partition_subalgoE9EllbEEZZNS1_14partition_implILS5_9ELb0ES3_jPlS8_PNS0_10empty_typeENS0_5tupleIJS8_S9_EEENSB_IJS8_SA_EEENS0_18inequality_wrapperIZN2at6native12_GLOBAL__N_124unique_dim_cuda_templateIN3c104HalfEEESt5tupleIJNSF_6TensorESM_SM_EERKSM_lbbbEUlllE0_EEPmJS9_EEE10hipError_tPvRmT3_T4_T5_T6_T7_T9_mT8_P12ihipStream_tbDpT10_ENKUlT_T0_E_clISt17integral_constantIbLb0EES1B_IbLb1EEEEDaS17_S18_EUlS17_E_NS1_11comp_targetILNS1_3genE0ELNS1_11target_archE4294967295ELNS1_3gpuE0ELNS1_3repE0EEENS1_30default_config_static_selectorELNS0_4arch9wavefront6targetE0EEEvT1_ ; -- Begin function _ZN7rocprim17ROCPRIM_400000_NS6detail17trampoline_kernelINS0_14default_configENS1_25partition_config_selectorILNS1_17partition_subalgoE9EllbEEZZNS1_14partition_implILS5_9ELb0ES3_jPlS8_PNS0_10empty_typeENS0_5tupleIJS8_S9_EEENSB_IJS8_SA_EEENS0_18inequality_wrapperIZN2at6native12_GLOBAL__N_124unique_dim_cuda_templateIN3c104HalfEEESt5tupleIJNSF_6TensorESM_SM_EERKSM_lbbbEUlllE0_EEPmJS9_EEE10hipError_tPvRmT3_T4_T5_T6_T7_T9_mT8_P12ihipStream_tbDpT10_ENKUlT_T0_E_clISt17integral_constantIbLb0EES1B_IbLb1EEEEDaS17_S18_EUlS17_E_NS1_11comp_targetILNS1_3genE0ELNS1_11target_archE4294967295ELNS1_3gpuE0ELNS1_3repE0EEENS1_30default_config_static_selectorELNS0_4arch9wavefront6targetE0EEEvT1_
	.p2align	8
	.type	_ZN7rocprim17ROCPRIM_400000_NS6detail17trampoline_kernelINS0_14default_configENS1_25partition_config_selectorILNS1_17partition_subalgoE9EllbEEZZNS1_14partition_implILS5_9ELb0ES3_jPlS8_PNS0_10empty_typeENS0_5tupleIJS8_S9_EEENSB_IJS8_SA_EEENS0_18inequality_wrapperIZN2at6native12_GLOBAL__N_124unique_dim_cuda_templateIN3c104HalfEEESt5tupleIJNSF_6TensorESM_SM_EERKSM_lbbbEUlllE0_EEPmJS9_EEE10hipError_tPvRmT3_T4_T5_T6_T7_T9_mT8_P12ihipStream_tbDpT10_ENKUlT_T0_E_clISt17integral_constantIbLb0EES1B_IbLb1EEEEDaS17_S18_EUlS17_E_NS1_11comp_targetILNS1_3genE0ELNS1_11target_archE4294967295ELNS1_3gpuE0ELNS1_3repE0EEENS1_30default_config_static_selectorELNS0_4arch9wavefront6targetE0EEEvT1_,@function
_ZN7rocprim17ROCPRIM_400000_NS6detail17trampoline_kernelINS0_14default_configENS1_25partition_config_selectorILNS1_17partition_subalgoE9EllbEEZZNS1_14partition_implILS5_9ELb0ES3_jPlS8_PNS0_10empty_typeENS0_5tupleIJS8_S9_EEENSB_IJS8_SA_EEENS0_18inequality_wrapperIZN2at6native12_GLOBAL__N_124unique_dim_cuda_templateIN3c104HalfEEESt5tupleIJNSF_6TensorESM_SM_EERKSM_lbbbEUlllE0_EEPmJS9_EEE10hipError_tPvRmT3_T4_T5_T6_T7_T9_mT8_P12ihipStream_tbDpT10_ENKUlT_T0_E_clISt17integral_constantIbLb0EES1B_IbLb1EEEEDaS17_S18_EUlS17_E_NS1_11comp_targetILNS1_3genE0ELNS1_11target_archE4294967295ELNS1_3gpuE0ELNS1_3repE0EEENS1_30default_config_static_selectorELNS0_4arch9wavefront6targetE0EEEvT1_: ; @_ZN7rocprim17ROCPRIM_400000_NS6detail17trampoline_kernelINS0_14default_configENS1_25partition_config_selectorILNS1_17partition_subalgoE9EllbEEZZNS1_14partition_implILS5_9ELb0ES3_jPlS8_PNS0_10empty_typeENS0_5tupleIJS8_S9_EEENSB_IJS8_SA_EEENS0_18inequality_wrapperIZN2at6native12_GLOBAL__N_124unique_dim_cuda_templateIN3c104HalfEEESt5tupleIJNSF_6TensorESM_SM_EERKSM_lbbbEUlllE0_EEPmJS9_EEE10hipError_tPvRmT3_T4_T5_T6_T7_T9_mT8_P12ihipStream_tbDpT10_ENKUlT_T0_E_clISt17integral_constantIbLb0EES1B_IbLb1EEEEDaS17_S18_EUlS17_E_NS1_11comp_targetILNS1_3genE0ELNS1_11target_archE4294967295ELNS1_3gpuE0ELNS1_3repE0EEENS1_30default_config_static_selectorELNS0_4arch9wavefront6targetE0EEEvT1_
; %bb.0:
	s_clause 0x3
	s_load_b128 s[4:7], s[0:1], 0x8
	s_load_b64 s[24:25], s[0:1], 0x18
	s_load_b256 s[12:19], s[0:1], 0x40
	s_load_b128 s[8:11], s[0:1], 0x60
	v_cmp_ne_u32_e64 s3, 0, v0
	v_cmp_eq_u32_e64 s2, 0, v0
	s_and_saveexec_b32 s20, s2
	s_cbranch_execz .LBB1353_4
; %bb.1:
	s_mov_b32 s22, exec_lo
	s_mov_b32 s21, exec_lo
	v_mbcnt_lo_u32_b32 v1, s22, 0
                                        ; implicit-def: $vgpr2
	s_delay_alu instid0(VALU_DEP_1)
	v_cmpx_eq_u32_e32 0, v1
	s_cbranch_execz .LBB1353_3
; %bb.2:
	s_load_b64 s[26:27], s[0:1], 0x78
	s_bcnt1_i32_b32 s22, s22
	s_delay_alu instid0(SALU_CYCLE_1)
	v_dual_mov_b32 v2, 0 :: v_dual_mov_b32 v3, s22
	s_wait_xcnt 0x0
	s_wait_kmcnt 0x0
	global_atomic_add_u32 v2, v2, v3, s[26:27] th:TH_ATOMIC_RETURN scope:SCOPE_DEV
.LBB1353_3:
	s_wait_xcnt 0x0
	s_or_b32 exec_lo, exec_lo, s21
	s_wait_loadcnt 0x0
	v_readfirstlane_b32 s21, v2
	s_delay_alu instid0(VALU_DEP_1)
	v_dual_mov_b32 v2, 0 :: v_dual_add_nc_u32 v1, s21, v1
	ds_store_b32 v2, v1
.LBB1353_4:
	s_or_b32 exec_lo, exec_lo, s20
	v_mov_b32_e32 v1, 0
	s_clause 0x1
	s_load_b128 s[20:23], s[0:1], 0x28
	s_load_b32 s28, s[0:1], 0x70
	s_wait_dscnt 0x0
	s_barrier_signal -1
	s_barrier_wait -1
	ds_load_b32 v4, v1
	s_wait_dscnt 0x0
	s_barrier_signal -1
	s_barrier_wait -1
	s_wait_kmcnt 0x0
	global_load_b64 v[2:3], v1, s[14:15]
	s_wait_xcnt 0x0
	s_mov_b32 s15, 0
	s_lshl_b64 s[26:27], s[6:7], 3
	v_lshlrev_b32_e32 v1, 3, v0
	s_add_nc_u64 s[4:5], s[4:5], s[26:27]
	s_mov_b32 s1, -1
	s_mul_i32 s14, s28, 0x280
	s_add_co_i32 s28, s28, -1
	s_add_co_i32 s0, s14, s6
	s_add_nc_u64 s[34:35], s[6:7], s[14:15]
	s_sub_co_i32 s31, s16, s0
	v_readfirstlane_b32 s30, v4
	v_cmp_le_u64_e64 s0, s[16:17], s[34:35]
	s_addk_co_i32 s31, 0x280
	s_cmp_eq_u32 s30, s28
	s_mul_i32 s14, s30, 0x280
	s_cselect_b32 s28, -1, 0
	s_lshl_b64 s[16:17], s[14:15], 3
	s_and_b32 s33, s0, s28
	s_add_nc_u64 s[4:5], s[4:5], s[16:17]
	s_xor_b32 s29, s33, -1
	s_delay_alu instid0(SALU_CYCLE_1)
	s_and_b32 vcc_lo, exec_lo, s29
	s_wait_loadcnt 0x0
	v_readfirstlane_b32 s14, v2
	v_readfirstlane_b32 s15, v3
	s_cbranch_vccz .LBB1353_6
; %bb.5:
	s_clause 0x4
	global_load_b64 v[2:3], v0, s[4:5] scale_offset
	global_load_b64 v[4:5], v0, s[4:5] offset:1024 scale_offset
	global_load_b64 v[6:7], v0, s[4:5] offset:2048 scale_offset
	;; [unrolled: 1-line block ×4, first 2 shown]
	v_lshlrev_b32_e32 v12, 3, v0
	s_mov_b32 s1, 0
	s_wait_loadcnt 0x3
	ds_store_2addr_stride64_b64 v12, v[2:3], v[4:5] offset1:2
	s_wait_loadcnt 0x1
	ds_store_2addr_stride64_b64 v12, v[6:7], v[8:9] offset0:4 offset1:6
	s_wait_loadcnt 0x0
	ds_store_b64 v12, v[10:11] offset:4096
	s_wait_dscnt 0x0
	s_barrier_signal -1
	s_barrier_wait -1
.LBB1353_6:
	v_cmp_gt_u32_e64 s0, s31, v0
	s_and_not1_b32 vcc_lo, exec_lo, s1
	s_cbranch_vccnz .LBB1353_18
; %bb.7:
	v_mov_b32_e32 v2, 0
	s_delay_alu instid0(VALU_DEP_1)
	v_dual_mov_b32 v3, v2 :: v_dual_mov_b32 v4, v2
	v_dual_mov_b32 v5, v2 :: v_dual_mov_b32 v6, v2
	v_dual_mov_b32 v7, v2 :: v_dual_mov_b32 v8, v2
	v_dual_mov_b32 v9, v2 :: v_dual_mov_b32 v10, v2
	v_mov_b32_e32 v11, v2
	s_and_saveexec_b32 s1, s0
	s_cbranch_execz .LBB1353_9
; %bb.8:
	global_load_b64 v[4:5], v0, s[4:5] scale_offset
	v_dual_mov_b32 v6, v2 :: v_dual_mov_b32 v7, v2
	v_dual_mov_b32 v8, v2 :: v_dual_mov_b32 v9, v2
	;; [unrolled: 1-line block ×4, first 2 shown]
	s_wait_loadcnt 0x0
	v_mov_b64_e32 v[2:3], v[4:5]
	v_mov_b64_e32 v[4:5], v[6:7]
	;; [unrolled: 1-line block ×8, first 2 shown]
.LBB1353_9:
	s_or_b32 exec_lo, exec_lo, s1
	v_or_b32_e32 v12, 0x80, v0
	s_mov_b32 s0, exec_lo
	s_delay_alu instid0(VALU_DEP_1)
	v_cmpx_gt_u32_e64 s31, v12
	s_cbranch_execz .LBB1353_11
; %bb.10:
	global_load_b64 v[4:5], v0, s[4:5] offset:1024 scale_offset
.LBB1353_11:
	s_wait_xcnt 0x0
	s_or_b32 exec_lo, exec_lo, s0
	v_or_b32_e32 v12, 0x100, v0
	s_mov_b32 s0, exec_lo
	s_delay_alu instid0(VALU_DEP_1)
	v_cmpx_gt_u32_e64 s31, v12
	s_cbranch_execz .LBB1353_13
; %bb.12:
	global_load_b64 v[6:7], v0, s[4:5] offset:2048 scale_offset
.LBB1353_13:
	s_wait_xcnt 0x0
	;; [unrolled: 10-line block ×4, first 2 shown]
	s_or_b32 exec_lo, exec_lo, s0
	v_lshlrev_b32_e32 v12, 3, v0
	s_wait_loadcnt 0x0
	ds_store_2addr_stride64_b64 v12, v[2:3], v[4:5] offset1:2
	ds_store_2addr_stride64_b64 v12, v[6:7], v[8:9] offset0:4 offset1:6
	ds_store_b64 v12, v[10:11] offset:4096
	s_wait_dscnt 0x0
	s_barrier_signal -1
	s_barrier_wait -1
.LBB1353_18:
	v_mul_u32_u24_e32 v30, 5, v0
	s_add_nc_u64 s[0:1], s[24:25], s[26:27]
	s_and_b32 vcc_lo, exec_lo, s29
	s_add_nc_u64 s[0:1], s[0:1], s[16:17]
	s_delay_alu instid0(VALU_DEP_1)
	v_lshlrev_b32_e32 v31, 3, v30
	s_mov_b32 s16, -1
	ds_load_2addr_b64 v[14:17], v31 offset1:1
	ds_load_2addr_b64 v[10:13], v31 offset0:2 offset1:3
	ds_load_b64 v[20:21], v31 offset:32
	s_wait_dscnt 0x0
	s_barrier_signal -1
	s_barrier_wait -1
	s_cbranch_vccz .LBB1353_20
; %bb.19:
	s_clause 0x4
	global_load_b64 v[2:3], v0, s[0:1] scale_offset
	global_load_b64 v[4:5], v0, s[0:1] offset:1024 scale_offset
	global_load_b64 v[6:7], v0, s[0:1] offset:2048 scale_offset
	;; [unrolled: 1-line block ×4, first 2 shown]
	v_lshlrev_b32_e32 v22, 3, v0
	s_mov_b32 s16, 0
	s_wait_loadcnt 0x3
	ds_store_2addr_stride64_b64 v22, v[2:3], v[4:5] offset1:2
	s_wait_loadcnt 0x1
	ds_store_2addr_stride64_b64 v22, v[6:7], v[8:9] offset0:4 offset1:6
	s_wait_loadcnt 0x0
	ds_store_b64 v22, v[18:19] offset:4096
	s_wait_dscnt 0x0
	s_barrier_signal -1
	s_barrier_wait -1
.LBB1353_20:
	s_and_not1_b32 vcc_lo, exec_lo, s16
	s_cbranch_vccnz .LBB1353_32
; %bb.21:
	s_mov_b32 s16, exec_lo
                                        ; implicit-def: $vgpr2_vgpr3
	v_cmpx_gt_u32_e64 s31, v0
	s_cbranch_execz .LBB1353_23
; %bb.22:
	global_load_b64 v[2:3], v0, s[0:1] scale_offset
.LBB1353_23:
	s_wait_xcnt 0x0
	s_or_b32 exec_lo, exec_lo, s16
	v_or_b32_e32 v4, 0x80, v0
	s_delay_alu instid0(VALU_DEP_1)
	v_cmp_gt_u32_e32 vcc_lo, s31, v4
                                        ; implicit-def: $vgpr4_vgpr5
	s_and_saveexec_b32 s16, vcc_lo
	s_cbranch_execz .LBB1353_25
; %bb.24:
	global_load_b64 v[4:5], v0, s[0:1] offset:1024 scale_offset
.LBB1353_25:
	s_wait_xcnt 0x0
	s_or_b32 exec_lo, exec_lo, s16
	v_or_b32_e32 v6, 0x100, v0
	s_delay_alu instid0(VALU_DEP_1)
	v_cmp_gt_u32_e32 vcc_lo, s31, v6
                                        ; implicit-def: $vgpr6_vgpr7
	s_and_saveexec_b32 s16, vcc_lo
	s_cbranch_execz .LBB1353_27
; %bb.26:
	global_load_b64 v[6:7], v0, s[0:1] offset:2048 scale_offset
.LBB1353_27:
	s_wait_xcnt 0x0
	s_or_b32 exec_lo, exec_lo, s16
	v_or_b32_e32 v8, 0x180, v0
	s_delay_alu instid0(VALU_DEP_1)
	v_cmp_gt_u32_e32 vcc_lo, s31, v8
                                        ; implicit-def: $vgpr8_vgpr9
	s_and_saveexec_b32 s16, vcc_lo
	s_cbranch_execz .LBB1353_29
; %bb.28:
	global_load_b64 v[8:9], v0, s[0:1] offset:3072 scale_offset
.LBB1353_29:
	s_wait_xcnt 0x0
	s_or_b32 exec_lo, exec_lo, s16
	v_or_b32_e32 v18, 0x200, v0
	s_delay_alu instid0(VALU_DEP_1)
	v_cmp_gt_u32_e32 vcc_lo, s31, v18
                                        ; implicit-def: $vgpr18_vgpr19
	s_and_saveexec_b32 s16, vcc_lo
	s_cbranch_execz .LBB1353_31
; %bb.30:
	global_load_b64 v[18:19], v0, s[0:1] offset:4096 scale_offset
.LBB1353_31:
	s_wait_xcnt 0x0
	s_or_b32 exec_lo, exec_lo, s16
	v_lshlrev_b32_e32 v22, 5, v0
	s_delay_alu instid0(VALU_DEP_1)
	v_sub_nc_u32_e32 v22, v31, v22
	s_wait_loadcnt 0x0
	ds_store_2addr_stride64_b64 v22, v[2:3], v[4:5] offset1:2
	ds_store_2addr_stride64_b64 v22, v[6:7], v[8:9] offset0:4 offset1:6
	ds_store_b64 v22, v[18:19] offset:4096
	s_wait_dscnt 0x0
	s_barrier_signal -1
	s_barrier_wait -1
.LBB1353_32:
	ds_load_b64 v[18:19], v31 offset:32
	ds_load_2addr_b64 v[2:5], v31 offset0:2 offset1:3
	ds_load_2addr_b64 v[6:9], v31 offset1:1
	s_cmp_lg_u32 s30, 0
	s_wait_dscnt 0x0
	s_cselect_b32 s16, -1, 0
	s_cmp_lg_u64 s[6:7], 0
	v_cmp_gt_i64_e64 s7, s[18:19], 0
	s_cselect_b32 s0, -1, 0
	s_mov_b32 s6, 0
	s_or_b32 s0, s0, s16
	s_barrier_signal -1
	s_and_b32 vcc_lo, exec_lo, s0
	s_barrier_wait -1
	s_cbranch_vccz .LBB1353_44
; %bb.33:
	v_dual_mov_b32 v26, 0 :: v_dual_lshlrev_b32 v33, 3, v0
	v_cndmask_b32_e64 v32, 0, 1, s7
	s_and_b32 vcc_lo, exec_lo, s29
	global_load_b64 v[22:23], v26, s[4:5] offset:-8
	ds_store_b64 v33, v[20:21]
	v_cmp_ne_u32_e64 s0, 1, v32
	s_cbranch_vccz .LBB1353_46
; %bb.34:
	s_and_b32 vcc_lo, exec_lo, s0
	s_cbranch_vccnz .LBB1353_47
; %bb.35:
	v_mul_u64_e32 v[24:25], s[18:19], v[12:13]
	s_wait_xcnt 0x0
	v_mul_u64_e32 v[26:27], s[18:19], v[20:21]
	s_add_nc_u64 s[4:5], s[18:19], -1
	s_mov_b32 s17, 0
	s_mov_b64 s[0:1], s[4:5]
                                        ; implicit-def: $sgpr6
	s_delay_alu instid0(VALU_DEP_2) | instskip(NEXT) | instid1(VALU_DEP_2)
	v_lshl_add_u64 v[24:25], v[24:25], 1, s[8:9]
	v_lshl_add_u64 v[26:27], v[26:27], 1, s[8:9]
	s_delay_alu instid0(VALU_DEP_2)
	v_mov_b64_e32 v[28:29], v[24:25]
.LBB1353_36:                            ; =>This Inner Loop Header: Depth=1
	global_load_u16 v34, v[28:29], off
	global_load_u16 v35, v[26:27], off
	s_cmp_eq_u64 s[0:1], 0
	s_add_nc_u64 s[24:25], s[0:1], -1
	s_cselect_b32 s1, -1, 0
	s_wait_xcnt 0x1
	v_add_nc_u64_e32 v[28:29], 2, v[28:29]
	s_wait_xcnt 0x0
	v_add_nc_u64_e32 v[26:27], 2, v[26:27]
	s_wait_loadcnt 0x0
	v_cmp_neq_f16_e32 vcc_lo, v34, v35
	v_cmp_eq_f16_e64 s0, v34, v35
	s_or_b32 s1, vcc_lo, s1
	s_delay_alu instid0(SALU_CYCLE_1) | instskip(NEXT) | instid1(SALU_CYCLE_1)
	s_and_b32 s1, exec_lo, s1
	s_or_b32 s17, s1, s17
	s_and_not1_b32 s6, s6, exec_lo
	s_and_b32 s26, s0, exec_lo
	s_mov_b64 s[0:1], s[24:25]
	s_or_b32 s6, s6, s26
	s_and_not1_b32 exec_lo, exec_lo, s17
	s_cbranch_execnz .LBB1353_36
; %bb.37:
	s_or_b32 exec_lo, exec_lo, s17
	v_mul_u64_e32 v[26:27], s[18:19], v[10:11]
	s_mov_b32 s24, 0
	s_mov_b64 s[0:1], s[4:5]
                                        ; implicit-def: $sgpr17
	s_delay_alu instid0(VALU_DEP_1) | instskip(NEXT) | instid1(VALU_DEP_1)
	v_lshl_add_u64 v[26:27], v[26:27], 1, s[8:9]
	v_mov_b64_e32 v[28:29], v[26:27]
.LBB1353_38:                            ; =>This Inner Loop Header: Depth=1
	global_load_u16 v34, v[28:29], off
	global_load_u16 v35, v[24:25], off
	s_cmp_eq_u64 s[0:1], 0
	s_add_nc_u64 s[26:27], s[0:1], -1
	s_cselect_b32 s1, -1, 0
	s_wait_xcnt 0x1
	v_add_nc_u64_e32 v[28:29], 2, v[28:29]
	s_wait_xcnt 0x0
	v_add_nc_u64_e32 v[24:25], 2, v[24:25]
	s_wait_loadcnt 0x0
	v_cmp_neq_f16_e32 vcc_lo, v34, v35
	v_cmp_eq_f16_e64 s0, v34, v35
	s_or_b32 s1, vcc_lo, s1
	s_delay_alu instid0(SALU_CYCLE_1) | instskip(NEXT) | instid1(SALU_CYCLE_1)
	s_and_b32 s1, exec_lo, s1
	s_or_b32 s24, s1, s24
	s_and_not1_b32 s17, s17, exec_lo
	s_and_b32 s25, s0, exec_lo
	s_mov_b64 s[0:1], s[26:27]
	s_or_b32 s17, s17, s25
	s_and_not1_b32 exec_lo, exec_lo, s24
	s_cbranch_execnz .LBB1353_38
; %bb.39:
	s_or_b32 exec_lo, exec_lo, s24
	v_mul_u64_e32 v[24:25], s[18:19], v[16:17]
	s_mov_b32 s25, 0
	s_mov_b64 s[0:1], s[4:5]
                                        ; implicit-def: $sgpr24
	s_delay_alu instid0(VALU_DEP_1) | instskip(NEXT) | instid1(VALU_DEP_1)
	v_lshl_add_u64 v[24:25], v[24:25], 1, s[8:9]
	v_mov_b64_e32 v[28:29], v[24:25]
.LBB1353_40:                            ; =>This Inner Loop Header: Depth=1
	global_load_u16 v34, v[28:29], off
	global_load_u16 v35, v[26:27], off
	s_cmp_eq_u64 s[0:1], 0
	s_add_nc_u64 s[26:27], s[0:1], -1
	s_cselect_b32 s1, -1, 0
	s_wait_xcnt 0x1
	v_add_nc_u64_e32 v[28:29], 2, v[28:29]
	s_wait_xcnt 0x0
	v_add_nc_u64_e32 v[26:27], 2, v[26:27]
	s_wait_loadcnt 0x0
	v_cmp_neq_f16_e32 vcc_lo, v34, v35
	v_cmp_eq_f16_e64 s0, v34, v35
	s_or_b32 s1, vcc_lo, s1
	s_delay_alu instid0(SALU_CYCLE_1) | instskip(NEXT) | instid1(SALU_CYCLE_1)
	s_and_b32 s1, exec_lo, s1
	s_or_b32 s25, s1, s25
	s_and_not1_b32 s24, s24, exec_lo
	s_and_b32 s34, s0, exec_lo
	s_mov_b64 s[0:1], s[26:27]
	s_or_b32 s24, s24, s34
	s_and_not1_b32 exec_lo, exec_lo, s25
	s_cbranch_execnz .LBB1353_40
; %bb.41:
	s_or_b32 exec_lo, exec_lo, s25
	v_mul_u64_e32 v[26:27], s[18:19], v[14:15]
	s_mov_b32 s25, 0
                                        ; implicit-def: $sgpr1
	s_delay_alu instid0(VALU_DEP_1)
	v_lshl_add_u64 v[26:27], v[26:27], 1, s[8:9]
.LBB1353_42:                            ; =>This Inner Loop Header: Depth=1
	global_load_u16 v28, v[26:27], off
	global_load_u16 v29, v[24:25], off
	s_cmp_eq_u64 s[4:5], 0
	s_add_nc_u64 s[26:27], s[4:5], -1
	s_cselect_b32 s4, -1, 0
	s_wait_xcnt 0x1
	v_add_nc_u64_e32 v[26:27], 2, v[26:27]
	s_wait_xcnt 0x0
	v_add_nc_u64_e32 v[24:25], 2, v[24:25]
	s_wait_loadcnt 0x0
	v_cmp_neq_f16_e32 vcc_lo, v28, v29
	v_cmp_eq_f16_e64 s0, v28, v29
	s_or_b32 s4, vcc_lo, s4
	s_delay_alu instid0(SALU_CYCLE_1) | instskip(NEXT) | instid1(SALU_CYCLE_1)
	s_and_b32 s4, exec_lo, s4
	s_or_b32 s25, s4, s25
	s_and_not1_b32 s1, s1, exec_lo
	s_and_b32 s0, s0, exec_lo
	s_mov_b64 s[4:5], s[26:27]
	s_or_b32 s1, s1, s0
	s_and_not1_b32 exec_lo, exec_lo, s25
	s_cbranch_execnz .LBB1353_42
; %bb.43:
	s_or_b32 exec_lo, exec_lo, s25
	s_xor_b32 s0, s17, -1
	s_delay_alu instid0(SALU_CYCLE_1) | instskip(SKIP_1) | instid1(SALU_CYCLE_1)
	v_cndmask_b32_e64 v24, 0, 1, s0
	s_xor_b32 s0, s24, -1
	v_cndmask_b32_e64 v25, 0, 1, s0
	s_xor_b32 s0, s6, -1
	s_delay_alu instid0(VALU_DEP_2) | instskip(SKIP_2) | instid1(VALU_DEP_2)
	v_lshlrev_b16 v24, 8, v24
	v_cndmask_b32_e64 v34, 0, 1, s0
	s_xor_b32 s0, s1, -1
	v_lshrrev_b32_e32 v24, 8, v24
	s_delay_alu instid0(VALU_DEP_1) | instskip(NEXT) | instid1(VALU_DEP_1)
	v_lshlrev_b16 v24, 8, v24
	v_or_b32_e32 v24, v25, v24
	s_delay_alu instid0(VALU_DEP_1)
	v_lshlrev_b32_e32 v26, 16, v24
	s_branch .LBB1353_48
.LBB1353_44:
                                        ; implicit-def: $sgpr0
                                        ; implicit-def: $vgpr34
                                        ; implicit-def: $vgpr25
	s_branch .LBB1353_89
.LBB1353_45:
                                        ; implicit-def: $vgpr24
                                        ; implicit-def: $vgpr23
                                        ; implicit-def: $vgpr35
                                        ; implicit-def: $vgpr22
	s_branch .LBB1353_142
.LBB1353_46:
	s_wait_xcnt 0x0
                                        ; implicit-def: $sgpr0
                                        ; implicit-def: $vgpr34
                                        ; implicit-def: $vgpr25
	s_cbranch_execnz .LBB1353_55
	s_branch .LBB1353_88
.LBB1353_47:
	v_mov_b32_e32 v34, 0
	s_mov_b32 s0, 0
.LBB1353_48:
	s_wait_loadcnt 0x0
	v_mov_b64_e32 v[24:25], v[22:23]
	s_wait_dscnt 0x0
	s_barrier_signal -1
	s_barrier_wait -1
	s_and_saveexec_b32 s1, s3
; %bb.49:
	v_add_nc_u32_e32 v24, -8, v33
	ds_load_b64 v[24:25], v24
; %bb.50:
	s_or_b32 exec_lo, exec_lo, s1
	v_cndmask_b32_e64 v27, 0, 1, s0
	v_lshrrev_b32_e32 v28, 16, v26
	s_mov_b32 s4, 0
	s_and_not1_b32 vcc_lo, exec_lo, s7
	s_mov_b32 s0, 0
	v_lshlrev_b16 v27, 8, v27
	v_perm_b32 v28, v28, v26, 0xc0c0304
	s_delay_alu instid0(VALU_DEP_2) | instskip(NEXT) | instid1(VALU_DEP_1)
	v_bitop3_b16 v27, v26, v27, 0xff bitop3:0xec
	v_and_b32_e32 v29, 0xffff, v27
	s_cbranch_vccnz .LBB1353_54
; %bb.51:
	s_wait_dscnt 0x0
	v_mul_u64_e32 v[24:25], s[18:19], v[24:25]
	v_mul_u64_e32 v[26:27], s[18:19], v[14:15]
	s_add_nc_u64 s[0:1], s[18:19], -1
	s_mov_b32 s5, 0
                                        ; implicit-def: $sgpr6
	s_delay_alu instid0(VALU_DEP_2) | instskip(NEXT) | instid1(VALU_DEP_2)
	v_lshl_add_u64 v[24:25], v[24:25], 1, s[8:9]
	v_lshl_add_u64 v[26:27], v[26:27], 1, s[8:9]
.LBB1353_52:                            ; =>This Inner Loop Header: Depth=1
	global_load_u16 v35, v[24:25], off
	global_load_u16 v36, v[26:27], off
	s_cmp_eq_u64 s[0:1], 0
	s_add_nc_u64 s[24:25], s[0:1], -1
	s_cselect_b32 s1, -1, 0
	s_wait_xcnt 0x1
	v_add_nc_u64_e32 v[24:25], 2, v[24:25]
	s_wait_xcnt 0x0
	v_add_nc_u64_e32 v[26:27], 2, v[26:27]
	s_wait_loadcnt 0x0
	v_cmp_neq_f16_e32 vcc_lo, v35, v36
	v_cmp_eq_f16_e64 s0, v35, v36
	s_or_b32 s1, vcc_lo, s1
	s_delay_alu instid0(SALU_CYCLE_1) | instskip(NEXT) | instid1(SALU_CYCLE_1)
	s_and_b32 s1, exec_lo, s1
	s_or_b32 s5, s1, s5
	s_and_not1_b32 s6, s6, exec_lo
	s_and_b32 s17, s0, exec_lo
	s_mov_b64 s[0:1], s[24:25]
	s_or_b32 s6, s6, s17
	s_and_not1_b32 exec_lo, exec_lo, s5
	s_cbranch_execnz .LBB1353_52
; %bb.53:
	s_or_b32 exec_lo, exec_lo, s5
	s_xor_b32 s0, s6, -1
.LBB1353_54:
	s_wait_dscnt 0x0
	s_delay_alu instid0(VALU_DEP_1)
	v_lshl_or_b32 v25, v28, 16, v29
	s_and_b32 vcc_lo, exec_lo, s4
	s_cbranch_vccz .LBB1353_88
.LBB1353_55:
	v_add_nc_u32_e32 v24, 4, v30
	s_mov_b32 s5, 0
	s_mov_b32 s4, 0
	s_mov_b32 s6, exec_lo
	s_delay_alu instid0(VALU_DEP_1)
	v_cmpx_gt_u32_e64 s31, v24
	s_cbranch_execz .LBB1353_61
; %bb.56:
	s_and_not1_b32 vcc_lo, exec_lo, s7
	s_mov_b32 s0, 0
	s_cbranch_vccnz .LBB1353_60
; %bb.57:
	v_mul_u64_e32 v[24:25], s[18:19], v[12:13]
	v_mul_u64_e32 v[26:27], s[18:19], v[20:21]
	s_add_nc_u64 s[0:1], s[18:19], -1
                                        ; implicit-def: $sgpr7
	s_delay_alu instid0(VALU_DEP_2) | instskip(NEXT) | instid1(VALU_DEP_2)
	v_lshl_add_u64 v[24:25], v[24:25], 1, s[8:9]
	v_lshl_add_u64 v[26:27], v[26:27], 1, s[8:9]
.LBB1353_58:                            ; =>This Inner Loop Header: Depth=1
	global_load_u16 v28, v[24:25], off
	global_load_u16 v29, v[26:27], off
	s_cmp_eq_u64 s[0:1], 0
	s_add_nc_u64 s[24:25], s[0:1], -1
	s_cselect_b32 s1, -1, 0
	s_wait_xcnt 0x1
	v_add_nc_u64_e32 v[24:25], 2, v[24:25]
	s_wait_xcnt 0x0
	v_add_nc_u64_e32 v[26:27], 2, v[26:27]
	s_wait_loadcnt 0x0
	v_cmp_neq_f16_e32 vcc_lo, v28, v29
	v_cmp_eq_f16_e64 s0, v28, v29
	s_or_b32 s1, vcc_lo, s1
	s_delay_alu instid0(SALU_CYCLE_1) | instskip(NEXT) | instid1(SALU_CYCLE_1)
	s_and_b32 s1, exec_lo, s1
	s_or_b32 s4, s1, s4
	s_and_not1_b32 s7, s7, exec_lo
	s_and_b32 s17, s0, exec_lo
	s_mov_b64 s[0:1], s[24:25]
	s_or_b32 s7, s7, s17
	s_and_not1_b32 exec_lo, exec_lo, s4
	s_cbranch_execnz .LBB1353_58
; %bb.59:
	s_or_b32 exec_lo, exec_lo, s4
	s_xor_b32 s0, s7, -1
.LBB1353_60:
	s_delay_alu instid0(SALU_CYCLE_1)
	s_and_b32 s4, s0, exec_lo
.LBB1353_61:
	s_or_b32 exec_lo, exec_lo, s6
	v_add_nc_u32_e32 v24, 3, v30
	s_mov_b32 s6, exec_lo
	s_delay_alu instid0(VALU_DEP_1)
	v_cmpx_gt_u32_e64 s31, v24
	s_cbranch_execz .LBB1353_67
; %bb.62:
	v_cmp_ne_u32_e32 vcc_lo, 1, v32
	s_mov_b32 s0, 0
	s_cbranch_vccnz .LBB1353_66
; %bb.63:
	v_mul_u64_e32 v[24:25], s[18:19], v[10:11]
	v_mul_u64_e32 v[26:27], s[18:19], v[12:13]
	s_add_nc_u64 s[0:1], s[18:19], -1
	s_mov_b32 s5, 0
                                        ; implicit-def: $sgpr7
	s_delay_alu instid0(VALU_DEP_2) | instskip(NEXT) | instid1(VALU_DEP_2)
	v_lshl_add_u64 v[24:25], v[24:25], 1, s[8:9]
	v_lshl_add_u64 v[26:27], v[26:27], 1, s[8:9]
.LBB1353_64:                            ; =>This Inner Loop Header: Depth=1
	global_load_u16 v28, v[24:25], off
	global_load_u16 v29, v[26:27], off
	s_cmp_eq_u64 s[0:1], 0
	s_add_nc_u64 s[24:25], s[0:1], -1
	s_cselect_b32 s1, -1, 0
	s_wait_xcnt 0x1
	v_add_nc_u64_e32 v[24:25], 2, v[24:25]
	s_wait_xcnt 0x0
	v_add_nc_u64_e32 v[26:27], 2, v[26:27]
	s_wait_loadcnt 0x0
	v_cmp_neq_f16_e32 vcc_lo, v28, v29
	v_cmp_eq_f16_e64 s0, v28, v29
	s_or_b32 s1, vcc_lo, s1
	s_delay_alu instid0(SALU_CYCLE_1) | instskip(NEXT) | instid1(SALU_CYCLE_1)
	s_and_b32 s1, exec_lo, s1
	s_or_b32 s5, s1, s5
	s_and_not1_b32 s7, s7, exec_lo
	s_and_b32 s17, s0, exec_lo
	s_mov_b64 s[0:1], s[24:25]
	s_or_b32 s7, s7, s17
	s_and_not1_b32 exec_lo, exec_lo, s5
	s_cbranch_execnz .LBB1353_64
; %bb.65:
	s_or_b32 exec_lo, exec_lo, s5
	s_xor_b32 s0, s7, -1
.LBB1353_66:
	s_delay_alu instid0(SALU_CYCLE_1)
	s_and_b32 s5, s0, exec_lo
.LBB1353_67:
	s_or_b32 exec_lo, exec_lo, s6
	v_add_nc_u32_e32 v24, 2, v30
	s_mov_b32 s6, 0
	s_mov_b32 s7, 0
	s_mov_b32 s17, exec_lo
	s_delay_alu instid0(VALU_DEP_1)
	v_cmpx_gt_u32_e64 s31, v24
	s_cbranch_execz .LBB1353_73
; %bb.68:
	v_cmp_ne_u32_e32 vcc_lo, 1, v32
	s_mov_b32 s0, 0
	s_cbranch_vccnz .LBB1353_72
; %bb.69:
	v_mul_u64_e32 v[24:25], s[18:19], v[16:17]
	v_mul_u64_e32 v[26:27], s[18:19], v[10:11]
	s_add_nc_u64 s[0:1], s[18:19], -1
                                        ; implicit-def: $sgpr24
	s_delay_alu instid0(VALU_DEP_2) | instskip(NEXT) | instid1(VALU_DEP_2)
	v_lshl_add_u64 v[24:25], v[24:25], 1, s[8:9]
	v_lshl_add_u64 v[26:27], v[26:27], 1, s[8:9]
.LBB1353_70:                            ; =>This Inner Loop Header: Depth=1
	global_load_u16 v28, v[24:25], off
	global_load_u16 v29, v[26:27], off
	s_cmp_eq_u64 s[0:1], 0
	s_add_nc_u64 s[26:27], s[0:1], -1
	s_cselect_b32 s1, -1, 0
	s_wait_xcnt 0x1
	v_add_nc_u64_e32 v[24:25], 2, v[24:25]
	s_wait_xcnt 0x0
	v_add_nc_u64_e32 v[26:27], 2, v[26:27]
	s_wait_loadcnt 0x0
	v_cmp_neq_f16_e32 vcc_lo, v28, v29
	v_cmp_eq_f16_e64 s0, v28, v29
	s_or_b32 s1, vcc_lo, s1
	s_delay_alu instid0(SALU_CYCLE_1) | instskip(NEXT) | instid1(SALU_CYCLE_1)
	s_and_b32 s1, exec_lo, s1
	s_or_b32 s7, s1, s7
	s_and_not1_b32 s24, s24, exec_lo
	s_and_b32 s25, s0, exec_lo
	s_mov_b64 s[0:1], s[26:27]
	s_or_b32 s24, s24, s25
	s_and_not1_b32 exec_lo, exec_lo, s7
	s_cbranch_execnz .LBB1353_70
; %bb.71:
	s_or_b32 exec_lo, exec_lo, s7
	s_xor_b32 s0, s24, -1
.LBB1353_72:
	s_delay_alu instid0(SALU_CYCLE_1)
	s_and_b32 s7, s0, exec_lo
.LBB1353_73:
	s_or_b32 exec_lo, exec_lo, s17
	v_add_nc_u32_e32 v24, 1, v30
	s_mov_b32 s17, exec_lo
	s_delay_alu instid0(VALU_DEP_1)
	v_cmpx_gt_u32_e64 s31, v24
	s_cbranch_execz .LBB1353_79
; %bb.74:
	v_cmp_ne_u32_e32 vcc_lo, 1, v32
	s_mov_b32 s0, 0
	s_cbranch_vccnz .LBB1353_78
; %bb.75:
	v_mul_u64_e32 v[24:25], s[18:19], v[14:15]
	v_mul_u64_e32 v[26:27], s[18:19], v[16:17]
	s_add_nc_u64 s[0:1], s[18:19], -1
	s_mov_b32 s6, 0
                                        ; implicit-def: $sgpr24
	s_delay_alu instid0(VALU_DEP_2) | instskip(NEXT) | instid1(VALU_DEP_2)
	v_lshl_add_u64 v[24:25], v[24:25], 1, s[8:9]
	v_lshl_add_u64 v[26:27], v[26:27], 1, s[8:9]
.LBB1353_76:                            ; =>This Inner Loop Header: Depth=1
	global_load_u16 v28, v[24:25], off
	global_load_u16 v29, v[26:27], off
	s_cmp_eq_u64 s[0:1], 0
	s_add_nc_u64 s[26:27], s[0:1], -1
	s_cselect_b32 s1, -1, 0
	s_wait_xcnt 0x1
	v_add_nc_u64_e32 v[24:25], 2, v[24:25]
	s_wait_xcnt 0x0
	v_add_nc_u64_e32 v[26:27], 2, v[26:27]
	s_wait_loadcnt 0x0
	v_cmp_neq_f16_e32 vcc_lo, v28, v29
	v_cmp_eq_f16_e64 s0, v28, v29
	s_or_b32 s1, vcc_lo, s1
	s_delay_alu instid0(SALU_CYCLE_1) | instskip(NEXT) | instid1(SALU_CYCLE_1)
	s_and_b32 s1, exec_lo, s1
	s_or_b32 s6, s1, s6
	s_and_not1_b32 s24, s24, exec_lo
	s_and_b32 s25, s0, exec_lo
	s_mov_b64 s[0:1], s[26:27]
	s_or_b32 s24, s24, s25
	s_and_not1_b32 exec_lo, exec_lo, s6
	s_cbranch_execnz .LBB1353_76
; %bb.77:
	s_or_b32 exec_lo, exec_lo, s6
	s_xor_b32 s0, s24, -1
.LBB1353_78:
	s_delay_alu instid0(SALU_CYCLE_1)
	s_and_b32 s6, s0, exec_lo
.LBB1353_79:
	s_or_b32 exec_lo, exec_lo, s17
	s_wait_loadcnt_dscnt 0x0
	s_barrier_signal -1
	s_barrier_wait -1
	s_and_saveexec_b32 s0, s3
; %bb.80:
	v_add_nc_u32_e32 v22, -8, v33
	ds_load_b64 v[22:23], v22
; %bb.81:
	s_or_b32 exec_lo, exec_lo, s0
	v_cndmask_b32_e64 v24, 0, 1, s5
	v_cndmask_b32_e64 v25, 0, 1, s7
	;; [unrolled: 1-line block ×3, first 2 shown]
	s_mov_b32 s0, 0
	s_mov_b32 s5, exec_lo
	v_lshlrev_b16 v24, 8, v24
	s_delay_alu instid0(VALU_DEP_2) | instskip(NEXT) | instid1(VALU_DEP_2)
	v_lshlrev_b16 v26, 8, v26
	v_or_b32_e32 v24, v25, v24
	s_delay_alu instid0(VALU_DEP_2) | instskip(NEXT) | instid1(VALU_DEP_2)
	v_and_b32_e32 v26, 0xffff, v26
	v_lshlrev_b32_e32 v27, 16, v24
	v_cmpx_gt_u32_e64 s31, v30
	s_cbranch_execz .LBB1353_87
; %bb.82:
	v_cmp_ne_u32_e32 vcc_lo, 1, v32
	s_cbranch_vccnz .LBB1353_86
; %bb.83:
	s_wait_dscnt 0x0
	v_mul_u64_e32 v[22:23], s[18:19], v[22:23]
	v_mul_u64_e32 v[24:25], s[18:19], v[14:15]
	s_add_nc_u64 s[0:1], s[18:19], -1
	s_mov_b32 s6, 0
                                        ; implicit-def: $sgpr7
	s_delay_alu instid0(VALU_DEP_2) | instskip(NEXT) | instid1(VALU_DEP_2)
	v_lshl_add_u64 v[22:23], v[22:23], 1, s[8:9]
	v_lshl_add_u64 v[24:25], v[24:25], 1, s[8:9]
.LBB1353_84:                            ; =>This Inner Loop Header: Depth=1
	global_load_u16 v28, v[22:23], off
	global_load_u16 v29, v[24:25], off
	s_cmp_eq_u64 s[0:1], 0
	s_add_nc_u64 s[24:25], s[0:1], -1
	s_cselect_b32 s1, -1, 0
	s_wait_xcnt 0x1
	v_add_nc_u64_e32 v[22:23], 2, v[22:23]
	s_wait_xcnt 0x0
	v_add_nc_u64_e32 v[24:25], 2, v[24:25]
	s_wait_loadcnt 0x0
	v_cmp_neq_f16_e32 vcc_lo, v28, v29
	v_cmp_eq_f16_e64 s0, v28, v29
	s_or_b32 s1, vcc_lo, s1
	s_delay_alu instid0(SALU_CYCLE_1) | instskip(NEXT) | instid1(SALU_CYCLE_1)
	s_and_b32 s1, exec_lo, s1
	s_or_b32 s6, s1, s6
	s_and_not1_b32 s7, s7, exec_lo
	s_and_b32 s17, s0, exec_lo
	s_mov_b64 s[0:1], s[24:25]
	s_or_b32 s7, s7, s17
	s_and_not1_b32 exec_lo, exec_lo, s6
	s_cbranch_execnz .LBB1353_84
; %bb.85:
	s_or_b32 exec_lo, exec_lo, s6
	s_xor_b32 s0, s7, -1
.LBB1353_86:
	s_delay_alu instid0(SALU_CYCLE_1)
	s_and_b32 s0, s0, exec_lo
.LBB1353_87:
	s_or_b32 exec_lo, exec_lo, s5
	v_cndmask_b32_e64 v34, 0, 1, s4
	v_or_b32_e32 v25, v26, v27
.LBB1353_88:
	s_mov_b32 s6, -1
	s_cbranch_execnz .LBB1353_45
.LBB1353_89:
	s_wait_loadcnt_dscnt 0x0
	v_lshlrev_b32_e32 v22, 5, v0
	v_cmp_gt_i64_e64 s7, s[18:19], 0
	s_and_b32 vcc_lo, exec_lo, s29
	v_sub_nc_u32_e32 v31, v31, v22
	ds_store_b64 v31, v[20:21]
	s_cbranch_vccz .LBB1353_100
; %bb.90:
	s_and_not1_b32 vcc_lo, exec_lo, s7
	s_cbranch_vccnz .LBB1353_101
; %bb.91:
	v_mul_u64_e32 v[22:23], s[18:19], v[12:13]
	v_mul_u64_e32 v[24:25], s[18:19], v[20:21]
	s_add_nc_u64 s[4:5], s[18:19], -1
	s_mov_b32 s24, 0
	s_mov_b64 s[0:1], s[4:5]
                                        ; implicit-def: $sgpr17
	s_delay_alu instid0(VALU_DEP_2) | instskip(NEXT) | instid1(VALU_DEP_2)
	v_lshl_add_u64 v[22:23], v[22:23], 1, s[8:9]
	v_lshl_add_u64 v[24:25], v[24:25], 1, s[8:9]
	s_delay_alu instid0(VALU_DEP_2)
	v_mov_b64_e32 v[26:27], v[22:23]
.LBB1353_92:                            ; =>This Inner Loop Header: Depth=1
	global_load_u16 v28, v[26:27], off
	global_load_u16 v29, v[24:25], off
	s_cmp_eq_u64 s[0:1], 0
	s_add_nc_u64 s[26:27], s[0:1], -1
	s_cselect_b32 s1, -1, 0
	s_wait_xcnt 0x1
	v_add_nc_u64_e32 v[26:27], 2, v[26:27]
	s_wait_xcnt 0x0
	v_add_nc_u64_e32 v[24:25], 2, v[24:25]
	s_wait_loadcnt 0x0
	v_cmp_neq_f16_e32 vcc_lo, v28, v29
	v_cmp_eq_f16_e64 s0, v28, v29
	s_or_b32 s1, vcc_lo, s1
	s_delay_alu instid0(SALU_CYCLE_1) | instskip(NEXT) | instid1(SALU_CYCLE_1)
	s_and_b32 s1, exec_lo, s1
	s_or_b32 s24, s1, s24
	s_and_not1_b32 s17, s17, exec_lo
	s_and_b32 s25, s0, exec_lo
	s_mov_b64 s[0:1], s[26:27]
	s_or_b32 s17, s17, s25
	s_and_not1_b32 exec_lo, exec_lo, s24
	s_cbranch_execnz .LBB1353_92
; %bb.93:
	s_or_b32 exec_lo, exec_lo, s24
	v_mul_u64_e32 v[24:25], s[18:19], v[10:11]
	s_mov_b32 s25, 0
	s_mov_b64 s[0:1], s[4:5]
                                        ; implicit-def: $sgpr24
	s_delay_alu instid0(VALU_DEP_1) | instskip(NEXT) | instid1(VALU_DEP_1)
	v_lshl_add_u64 v[24:25], v[24:25], 1, s[8:9]
	v_mov_b64_e32 v[26:27], v[24:25]
.LBB1353_94:                            ; =>This Inner Loop Header: Depth=1
	global_load_u16 v28, v[26:27], off
	global_load_u16 v29, v[22:23], off
	s_cmp_eq_u64 s[0:1], 0
	s_add_nc_u64 s[26:27], s[0:1], -1
	s_cselect_b32 s1, -1, 0
	s_wait_xcnt 0x1
	v_add_nc_u64_e32 v[26:27], 2, v[26:27]
	s_wait_xcnt 0x0
	v_add_nc_u64_e32 v[22:23], 2, v[22:23]
	s_wait_loadcnt 0x0
	v_cmp_neq_f16_e32 vcc_lo, v28, v29
	v_cmp_eq_f16_e64 s0, v28, v29
	s_or_b32 s1, vcc_lo, s1
	s_delay_alu instid0(SALU_CYCLE_1) | instskip(NEXT) | instid1(SALU_CYCLE_1)
	s_and_b32 s1, exec_lo, s1
	s_or_b32 s25, s1, s25
	s_and_not1_b32 s24, s24, exec_lo
	s_and_b32 s34, s0, exec_lo
	s_mov_b64 s[0:1], s[26:27]
	s_or_b32 s24, s24, s34
	s_and_not1_b32 exec_lo, exec_lo, s25
	s_cbranch_execnz .LBB1353_94
; %bb.95:
	s_or_b32 exec_lo, exec_lo, s25
	v_mul_u64_e32 v[22:23], s[18:19], v[16:17]
	s_mov_b32 s26, 0
	s_mov_b64 s[0:1], s[4:5]
                                        ; implicit-def: $sgpr25
	s_delay_alu instid0(VALU_DEP_1) | instskip(NEXT) | instid1(VALU_DEP_1)
	v_lshl_add_u64 v[22:23], v[22:23], 1, s[8:9]
	v_mov_b64_e32 v[26:27], v[22:23]
.LBB1353_96:                            ; =>This Inner Loop Header: Depth=1
	global_load_u16 v28, v[26:27], off
	global_load_u16 v29, v[24:25], off
	s_cmp_eq_u64 s[0:1], 0
	s_add_nc_u64 s[34:35], s[0:1], -1
	s_cselect_b32 s1, -1, 0
	s_wait_xcnt 0x1
	v_add_nc_u64_e32 v[26:27], 2, v[26:27]
	s_wait_xcnt 0x0
	v_add_nc_u64_e32 v[24:25], 2, v[24:25]
	s_wait_loadcnt 0x0
	v_cmp_neq_f16_e32 vcc_lo, v28, v29
	v_cmp_eq_f16_e64 s0, v28, v29
	s_or_b32 s1, vcc_lo, s1
	s_delay_alu instid0(SALU_CYCLE_1) | instskip(NEXT) | instid1(SALU_CYCLE_1)
	s_and_b32 s1, exec_lo, s1
	s_or_b32 s26, s1, s26
	s_and_not1_b32 s25, s25, exec_lo
	s_and_b32 s27, s0, exec_lo
	s_mov_b64 s[0:1], s[34:35]
	s_or_b32 s25, s25, s27
	s_and_not1_b32 exec_lo, exec_lo, s26
	s_cbranch_execnz .LBB1353_96
; %bb.97:
	s_or_b32 exec_lo, exec_lo, s26
	v_mul_u64_e32 v[24:25], s[18:19], v[14:15]
	s_mov_b32 s26, 0
                                        ; implicit-def: $sgpr1
	s_delay_alu instid0(VALU_DEP_1)
	v_lshl_add_u64 v[24:25], v[24:25], 1, s[8:9]
.LBB1353_98:                            ; =>This Inner Loop Header: Depth=1
	global_load_u16 v26, v[24:25], off
	global_load_u16 v27, v[22:23], off
	s_cmp_eq_u64 s[4:5], 0
	s_add_nc_u64 s[34:35], s[4:5], -1
	s_cselect_b32 s4, -1, 0
	s_wait_xcnt 0x1
	v_add_nc_u64_e32 v[24:25], 2, v[24:25]
	s_wait_xcnt 0x0
	v_add_nc_u64_e32 v[22:23], 2, v[22:23]
	s_wait_loadcnt 0x0
	v_cmp_neq_f16_e32 vcc_lo, v26, v27
	v_cmp_eq_f16_e64 s0, v26, v27
	s_or_b32 s4, vcc_lo, s4
	s_delay_alu instid0(SALU_CYCLE_1) | instskip(NEXT) | instid1(SALU_CYCLE_1)
	s_and_b32 s4, exec_lo, s4
	s_or_b32 s26, s4, s26
	s_and_not1_b32 s1, s1, exec_lo
	s_and_b32 s0, s0, exec_lo
	s_mov_b64 s[4:5], s[34:35]
	s_or_b32 s1, s1, s0
	s_and_not1_b32 exec_lo, exec_lo, s26
	s_cbranch_execnz .LBB1353_98
; %bb.99:
	s_or_b32 exec_lo, exec_lo, s26
	s_xor_b32 s0, s24, -1
	s_delay_alu instid0(SALU_CYCLE_1) | instskip(SKIP_1) | instid1(SALU_CYCLE_1)
	v_cndmask_b32_e64 v22, 0, 1, s0
	s_xor_b32 s0, s25, -1
	v_cndmask_b32_e64 v23, 0, 1, s0
	s_xor_b32 s0, s17, -1
	s_delay_alu instid0(VALU_DEP_2) | instskip(SKIP_2) | instid1(VALU_DEP_2)
	v_lshlrev_b16 v22, 8, v22
	v_cndmask_b32_e64 v34, 0, 1, s0
	s_xor_b32 s0, s1, -1
	v_lshrrev_b32_e32 v22, 8, v22
	s_delay_alu instid0(VALU_DEP_1) | instskip(NEXT) | instid1(VALU_DEP_1)
	v_lshlrev_b16 v22, 8, v22
	v_or_b32_e32 v22, v23, v22
	s_delay_alu instid0(VALU_DEP_1)
	v_lshlrev_b32_e32 v22, 16, v22
	s_branch .LBB1353_102
.LBB1353_100:
                                        ; implicit-def: $sgpr0
                                        ; implicit-def: $vgpr34
                                        ; implicit-def: $vgpr25
                                        ; implicit-def: $vgpr24
                                        ; implicit-def: $vgpr23
                                        ; implicit-def: $vgpr35
                                        ; implicit-def: $vgpr22
	s_cbranch_execnz .LBB1353_109
	s_branch .LBB1353_142
.LBB1353_101:
	v_dual_mov_b32 v22, 0 :: v_dual_mov_b32 v34, 0
	s_mov_b32 s0, 0
.LBB1353_102:
	s_delay_alu instid0(VALU_DEP_1)
	v_dual_lshrrev_b32 v35, 16, v22 :: v_dual_lshrrev_b32 v22, 24, v22
	v_cndmask_b32_e64 v23, 0, 1, s0
	v_mov_b32_e32 v24, 1
	s_wait_dscnt 0x0
	s_barrier_signal -1
	s_barrier_wait -1
                                        ; implicit-def: $sgpr0
                                        ; implicit-def: $vgpr25
	s_and_saveexec_b32 s1, s3
	s_delay_alu instid0(SALU_CYCLE_1)
	s_xor_b32 s4, exec_lo, s1
	s_cbranch_execz .LBB1353_108
; %bb.103:
	v_lshlrev_b16 v25, 8, v22
	v_lshlrev_b16 v26, 8, v23
	s_and_not1_b32 vcc_lo, exec_lo, s7
	s_mov_b32 s0, 0
	s_delay_alu instid0(VALU_DEP_2) | instskip(NEXT) | instid1(VALU_DEP_1)
	v_bitop3_b16 v25, v35, v25, 0xff bitop3:0xec
	v_dual_lshlrev_b32 v25, 16, v25 :: v_dual_bitop2_b32 v26, 1, v26 bitop3:0x54
	s_delay_alu instid0(VALU_DEP_1) | instskip(NEXT) | instid1(VALU_DEP_1)
	v_and_b32_e32 v26, 0xffff, v26
	v_or_b32_e32 v25, v26, v25
	s_cbranch_vccnz .LBB1353_107
; %bb.104:
	v_add_nc_u32_e32 v26, -8, v31
	v_mul_u64_e32 v[28:29], s[18:19], v[14:15]
	s_add_nc_u64 s[0:1], s[18:19], -1
	s_mov_b32 s5, 0
                                        ; implicit-def: $sgpr17
	ds_load_b64 v[26:27], v26
	s_wait_dscnt 0x0
	v_mul_u64_e32 v[26:27], s[18:19], v[26:27]
	v_lshl_add_u64 v[28:29], v[28:29], 1, s[8:9]
	s_delay_alu instid0(VALU_DEP_2)
	v_lshl_add_u64 v[26:27], v[26:27], 1, s[8:9]
.LBB1353_105:                           ; =>This Inner Loop Header: Depth=1
	global_load_u16 v32, v[26:27], off
	global_load_u16 v33, v[28:29], off
	s_cmp_eq_u64 s[0:1], 0
	s_add_nc_u64 s[24:25], s[0:1], -1
	s_cselect_b32 s1, -1, 0
	s_wait_xcnt 0x1
	v_add_nc_u64_e32 v[26:27], 2, v[26:27]
	s_wait_xcnt 0x0
	v_add_nc_u64_e32 v[28:29], 2, v[28:29]
	s_wait_loadcnt 0x0
	v_cmp_neq_f16_e32 vcc_lo, v32, v33
	v_cmp_eq_f16_e64 s0, v32, v33
	s_or_b32 s1, vcc_lo, s1
	s_delay_alu instid0(SALU_CYCLE_1) | instskip(NEXT) | instid1(SALU_CYCLE_1)
	s_and_b32 s1, exec_lo, s1
	s_or_b32 s5, s1, s5
	s_and_not1_b32 s17, s17, exec_lo
	s_and_b32 s26, s0, exec_lo
	s_mov_b64 s[0:1], s[24:25]
	s_or_b32 s17, s17, s26
	s_and_not1_b32 exec_lo, exec_lo, s5
	s_cbranch_execnz .LBB1353_105
; %bb.106:
	s_or_b32 exec_lo, exec_lo, s5
	s_xor_b32 s0, s17, -1
.LBB1353_107:
	s_delay_alu instid0(VALU_DEP_1)
	v_perm_b32 v25, v25, v25, 0x3020104
	s_or_b32 s6, s6, exec_lo
.LBB1353_108:
	s_or_b32 exec_lo, exec_lo, s4
	s_branch .LBB1353_142
.LBB1353_109:
	v_add_nc_u32_e32 v22, 4, v30
	s_mov_b32 s4, 0
	s_mov_b32 s5, 0
	s_mov_b32 s17, exec_lo
	s_delay_alu instid0(VALU_DEP_1)
	v_cmpx_gt_u32_e64 s31, v22
	s_cbranch_execz .LBB1353_115
; %bb.110:
	s_and_not1_b32 vcc_lo, exec_lo, s7
	s_mov_b32 s0, 0
	s_cbranch_vccnz .LBB1353_114
; %bb.111:
	v_mul_u64_e32 v[22:23], s[18:19], v[12:13]
	v_mul_u64_e32 v[24:25], s[18:19], v[20:21]
	s_add_nc_u64 s[0:1], s[18:19], -1
                                        ; implicit-def: $sgpr24
	s_delay_alu instid0(VALU_DEP_2) | instskip(NEXT) | instid1(VALU_DEP_2)
	v_lshl_add_u64 v[22:23], v[22:23], 1, s[8:9]
	v_lshl_add_u64 v[24:25], v[24:25], 1, s[8:9]
.LBB1353_112:                           ; =>This Inner Loop Header: Depth=1
	global_load_u16 v26, v[22:23], off
	global_load_u16 v27, v[24:25], off
	s_cmp_eq_u64 s[0:1], 0
	s_add_nc_u64 s[26:27], s[0:1], -1
	s_cselect_b32 s1, -1, 0
	s_wait_xcnt 0x1
	v_add_nc_u64_e32 v[22:23], 2, v[22:23]
	s_wait_xcnt 0x0
	v_add_nc_u64_e32 v[24:25], 2, v[24:25]
	s_wait_loadcnt 0x0
	v_cmp_neq_f16_e32 vcc_lo, v26, v27
	v_cmp_eq_f16_e64 s0, v26, v27
	s_or_b32 s1, vcc_lo, s1
	s_delay_alu instid0(SALU_CYCLE_1) | instskip(NEXT) | instid1(SALU_CYCLE_1)
	s_and_b32 s1, exec_lo, s1
	s_or_b32 s5, s1, s5
	s_and_not1_b32 s24, s24, exec_lo
	s_and_b32 s25, s0, exec_lo
	s_mov_b64 s[0:1], s[26:27]
	s_or_b32 s24, s24, s25
	s_and_not1_b32 exec_lo, exec_lo, s5
	s_cbranch_execnz .LBB1353_112
; %bb.113:
	s_or_b32 exec_lo, exec_lo, s5
	s_xor_b32 s0, s24, -1
.LBB1353_114:
	s_delay_alu instid0(SALU_CYCLE_1)
	s_and_b32 s5, s0, exec_lo
.LBB1353_115:
	s_or_b32 exec_lo, exec_lo, s17
	v_add_nc_u32_e32 v22, 3, v30
	s_mov_b32 s17, exec_lo
	s_delay_alu instid0(VALU_DEP_1)
	v_cmpx_gt_u32_e64 s31, v22
	s_cbranch_execz .LBB1353_121
; %bb.116:
	s_and_not1_b32 vcc_lo, exec_lo, s7
	s_mov_b32 s0, 0
	s_cbranch_vccnz .LBB1353_120
; %bb.117:
	v_mul_u64_e32 v[22:23], s[18:19], v[10:11]
	v_mul_u64_e32 v[24:25], s[18:19], v[12:13]
	s_add_nc_u64 s[0:1], s[18:19], -1
	s_mov_b32 s4, 0
                                        ; implicit-def: $sgpr24
	s_delay_alu instid0(VALU_DEP_2) | instskip(NEXT) | instid1(VALU_DEP_2)
	v_lshl_add_u64 v[22:23], v[22:23], 1, s[8:9]
	v_lshl_add_u64 v[24:25], v[24:25], 1, s[8:9]
.LBB1353_118:                           ; =>This Inner Loop Header: Depth=1
	global_load_u16 v26, v[22:23], off
	global_load_u16 v27, v[24:25], off
	s_cmp_eq_u64 s[0:1], 0
	s_add_nc_u64 s[26:27], s[0:1], -1
	s_cselect_b32 s1, -1, 0
	s_wait_xcnt 0x1
	v_add_nc_u64_e32 v[22:23], 2, v[22:23]
	s_wait_xcnt 0x0
	v_add_nc_u64_e32 v[24:25], 2, v[24:25]
	s_wait_loadcnt 0x0
	v_cmp_neq_f16_e32 vcc_lo, v26, v27
	v_cmp_eq_f16_e64 s0, v26, v27
	s_or_b32 s1, vcc_lo, s1
	s_delay_alu instid0(SALU_CYCLE_1) | instskip(NEXT) | instid1(SALU_CYCLE_1)
	s_and_b32 s1, exec_lo, s1
	s_or_b32 s4, s1, s4
	s_and_not1_b32 s24, s24, exec_lo
	s_and_b32 s25, s0, exec_lo
	s_mov_b64 s[0:1], s[26:27]
	s_or_b32 s24, s24, s25
	s_and_not1_b32 exec_lo, exec_lo, s4
	s_cbranch_execnz .LBB1353_118
; %bb.119:
	s_or_b32 exec_lo, exec_lo, s4
	s_xor_b32 s0, s24, -1
.LBB1353_120:
	s_delay_alu instid0(SALU_CYCLE_1)
	s_and_b32 s4, s0, exec_lo
.LBB1353_121:
	s_or_b32 exec_lo, exec_lo, s17
	v_add_nc_u32_e32 v22, 2, v30
	s_mov_b32 s17, 0
	s_mov_b32 s24, 0
	s_mov_b32 s25, exec_lo
	s_delay_alu instid0(VALU_DEP_1)
	v_cmpx_gt_u32_e64 s31, v22
	s_cbranch_execz .LBB1353_127
; %bb.122:
	s_and_not1_b32 vcc_lo, exec_lo, s7
	s_mov_b32 s0, 0
	s_cbranch_vccnz .LBB1353_126
; %bb.123:
	v_mul_u64_e32 v[22:23], s[18:19], v[16:17]
	v_mul_u64_e32 v[24:25], s[18:19], v[10:11]
	s_add_nc_u64 s[0:1], s[18:19], -1
                                        ; implicit-def: $sgpr26
	s_delay_alu instid0(VALU_DEP_2) | instskip(NEXT) | instid1(VALU_DEP_2)
	v_lshl_add_u64 v[22:23], v[22:23], 1, s[8:9]
	v_lshl_add_u64 v[24:25], v[24:25], 1, s[8:9]
.LBB1353_124:                           ; =>This Inner Loop Header: Depth=1
	global_load_u16 v26, v[22:23], off
	global_load_u16 v27, v[24:25], off
	s_cmp_eq_u64 s[0:1], 0
	s_add_nc_u64 s[34:35], s[0:1], -1
	s_cselect_b32 s1, -1, 0
	s_wait_xcnt 0x1
	v_add_nc_u64_e32 v[22:23], 2, v[22:23]
	s_wait_xcnt 0x0
	v_add_nc_u64_e32 v[24:25], 2, v[24:25]
	s_wait_loadcnt 0x0
	v_cmp_neq_f16_e32 vcc_lo, v26, v27
	v_cmp_eq_f16_e64 s0, v26, v27
	s_or_b32 s1, vcc_lo, s1
	s_delay_alu instid0(SALU_CYCLE_1) | instskip(NEXT) | instid1(SALU_CYCLE_1)
	s_and_b32 s1, exec_lo, s1
	s_or_b32 s24, s1, s24
	s_and_not1_b32 s26, s26, exec_lo
	s_and_b32 s27, s0, exec_lo
	s_mov_b64 s[0:1], s[34:35]
	s_or_b32 s26, s26, s27
	s_and_not1_b32 exec_lo, exec_lo, s24
	s_cbranch_execnz .LBB1353_124
; %bb.125:
	s_or_b32 exec_lo, exec_lo, s24
	s_xor_b32 s0, s26, -1
.LBB1353_126:
	s_delay_alu instid0(SALU_CYCLE_1)
	s_and_b32 s24, s0, exec_lo
.LBB1353_127:
	s_or_b32 exec_lo, exec_lo, s25
	v_add_nc_u32_e32 v22, 1, v30
	s_mov_b32 s25, exec_lo
	s_delay_alu instid0(VALU_DEP_1)
	v_cmpx_gt_u32_e64 s31, v22
	s_cbranch_execz .LBB1353_133
; %bb.128:
	s_and_not1_b32 vcc_lo, exec_lo, s7
	s_mov_b32 s0, 0
	s_cbranch_vccnz .LBB1353_132
; %bb.129:
	v_mul_u64_e32 v[22:23], s[18:19], v[14:15]
	v_mul_u64_e32 v[24:25], s[18:19], v[16:17]
	s_add_nc_u64 s[0:1], s[18:19], -1
	s_mov_b32 s17, 0
                                        ; implicit-def: $sgpr26
	s_delay_alu instid0(VALU_DEP_2) | instskip(NEXT) | instid1(VALU_DEP_2)
	v_lshl_add_u64 v[22:23], v[22:23], 1, s[8:9]
	v_lshl_add_u64 v[24:25], v[24:25], 1, s[8:9]
.LBB1353_130:                           ; =>This Inner Loop Header: Depth=1
	global_load_u16 v26, v[22:23], off
	global_load_u16 v27, v[24:25], off
	s_cmp_eq_u64 s[0:1], 0
	s_add_nc_u64 s[34:35], s[0:1], -1
	s_cselect_b32 s1, -1, 0
	s_wait_xcnt 0x1
	v_add_nc_u64_e32 v[22:23], 2, v[22:23]
	s_wait_xcnt 0x0
	v_add_nc_u64_e32 v[24:25], 2, v[24:25]
	s_wait_loadcnt 0x0
	v_cmp_neq_f16_e32 vcc_lo, v26, v27
	v_cmp_eq_f16_e64 s0, v26, v27
	s_or_b32 s1, vcc_lo, s1
	s_delay_alu instid0(SALU_CYCLE_1) | instskip(NEXT) | instid1(SALU_CYCLE_1)
	s_and_b32 s1, exec_lo, s1
	s_or_b32 s17, s1, s17
	s_and_not1_b32 s26, s26, exec_lo
	s_and_b32 s27, s0, exec_lo
	s_mov_b64 s[0:1], s[34:35]
	s_or_b32 s26, s26, s27
	s_and_not1_b32 exec_lo, exec_lo, s17
	s_cbranch_execnz .LBB1353_130
; %bb.131:
	s_or_b32 exec_lo, exec_lo, s17
	s_xor_b32 s0, s26, -1
.LBB1353_132:
	s_delay_alu instid0(SALU_CYCLE_1)
	s_and_b32 s17, s0, exec_lo
.LBB1353_133:
	s_or_b32 exec_lo, exec_lo, s25
	v_cndmask_b32_e64 v34, 0, 1, s5
	v_cndmask_b32_e64 v35, 0, 1, s24
	;; [unrolled: 1-line block ×4, first 2 shown]
	v_mov_b32_e32 v24, 1
	s_wait_dscnt 0x0
	s_barrier_signal -1
	s_barrier_wait -1
                                        ; implicit-def: $sgpr0
                                        ; implicit-def: $vgpr25
	s_and_saveexec_b32 s4, s3
	s_cbranch_execz .LBB1353_141
; %bb.134:
	v_lshlrev_b16 v25, 8, v23
	v_lshlrev_b16 v26, 8, v22
	s_mov_b32 s0, 0
	s_mov_b32 s3, exec_lo
	s_delay_alu instid0(VALU_DEP_1) | instskip(NEXT) | instid1(VALU_DEP_1)
	v_or_b32_e32 v26, v35, v26
	v_dual_lshlrev_b32 v26, 16, v26 :: v_dual_bitop2_b32 v25, 1, v25 bitop3:0x54
	s_delay_alu instid0(VALU_DEP_1) | instskip(NEXT) | instid1(VALU_DEP_1)
	v_and_b32_e32 v25, 0xffff, v25
	v_or_b32_e32 v25, v25, v26
	v_cmpx_gt_u32_e64 s31, v30
	s_cbranch_execz .LBB1353_140
; %bb.135:
	s_and_not1_b32 vcc_lo, exec_lo, s7
	s_cbranch_vccnz .LBB1353_139
; %bb.136:
	v_add_nc_u32_e32 v26, -8, v31
	v_mul_u64_e32 v[28:29], s[18:19], v[14:15]
	s_add_nc_u64 s[0:1], s[18:19], -1
	s_mov_b32 s5, 0
                                        ; implicit-def: $sgpr7
	ds_load_b64 v[26:27], v26
	s_wait_dscnt 0x0
	v_mul_u64_e32 v[26:27], s[18:19], v[26:27]
	v_lshl_add_u64 v[28:29], v[28:29], 1, s[8:9]
	s_delay_alu instid0(VALU_DEP_2)
	v_lshl_add_u64 v[26:27], v[26:27], 1, s[8:9]
.LBB1353_137:                           ; =>This Inner Loop Header: Depth=1
	global_load_u16 v31, v[26:27], off
	global_load_u16 v32, v[28:29], off
	s_cmp_eq_u64 s[0:1], 0
	s_add_nc_u64 s[8:9], s[0:1], -1
	s_cselect_b32 s1, -1, 0
	s_wait_xcnt 0x1
	v_add_nc_u64_e32 v[26:27], 2, v[26:27]
	s_wait_xcnt 0x0
	v_add_nc_u64_e32 v[28:29], 2, v[28:29]
	s_wait_loadcnt 0x0
	v_cmp_neq_f16_e32 vcc_lo, v31, v32
	v_cmp_eq_f16_e64 s0, v31, v32
	s_or_b32 s1, vcc_lo, s1
	s_delay_alu instid0(SALU_CYCLE_1) | instskip(NEXT) | instid1(SALU_CYCLE_1)
	s_and_b32 s1, exec_lo, s1
	s_or_b32 s5, s1, s5
	s_and_not1_b32 s7, s7, exec_lo
	s_and_b32 s17, s0, exec_lo
	s_mov_b64 s[0:1], s[8:9]
	s_or_b32 s7, s7, s17
	s_and_not1_b32 exec_lo, exec_lo, s5
	s_cbranch_execnz .LBB1353_137
; %bb.138:
	s_or_b32 exec_lo, exec_lo, s5
	s_xor_b32 s0, s7, -1
.LBB1353_139:
	s_delay_alu instid0(SALU_CYCLE_1)
	s_and_b32 s0, s0, exec_lo
.LBB1353_140:
	s_or_b32 exec_lo, exec_lo, s3
	s_delay_alu instid0(VALU_DEP_2)
	v_perm_b32 v25, v25, v25, 0x3020104
	s_or_b32 s6, s6, exec_lo
.LBB1353_141:
	s_or_b32 exec_lo, exec_lo, s4
.LBB1353_142:
	s_and_saveexec_b32 s1, s6
	s_cbranch_execz .LBB1353_144
; %bb.143:
	s_wait_loadcnt_dscnt 0x0
	v_dual_lshrrev_b32 v22, 24, v25 :: v_dual_lshrrev_b32 v35, 16, v25
	v_lshrrev_b32_e32 v23, 8, v25
	v_cndmask_b32_e64 v24, 0, 1, s0
.LBB1353_144:
	s_or_b32 exec_lo, exec_lo, s1
	s_delay_alu instid0(SALU_CYCLE_1)
	s_and_not1_b32 vcc_lo, exec_lo, s33
	s_cbranch_vccnz .LBB1353_148
; %bb.145:
	s_wait_loadcnt_dscnt 0x0
	v_perm_b32 v23, v24, v23, 0xc0c0004
	v_perm_b32 v22, v35, v22, 0xc0c0004
	v_cmp_gt_u32_e32 vcc_lo, s31, v30
	v_dual_add_nc_u32 v24, 1, v30 :: v_dual_add_nc_u32 v26, 4, v30
	v_and_b32_e32 v34, 0xff, v34
	s_delay_alu instid0(VALU_DEP_4) | instskip(SKIP_1) | instid1(VALU_DEP_2)
	v_lshl_or_b32 v22, v22, 16, v23
	s_mov_b32 s0, exec_lo
	v_and_b32_e32 v25, 0xffff, v34
	s_delay_alu instid0(VALU_DEP_2) | instskip(SKIP_2) | instid1(VALU_DEP_3)
	v_cndmask_b32_e32 v23, 0, v22, vcc_lo
	v_cmp_gt_u32_e32 vcc_lo, s31, v24
	v_add_nc_u32_e32 v24, 2, v30
	v_and_b32_e32 v23, 0xff, v23
	s_delay_alu instid0(VALU_DEP_1) | instskip(NEXT) | instid1(VALU_DEP_3)
	v_cndmask_b32_e32 v23, v23, v22, vcc_lo
	v_cmp_gt_u32_e32 vcc_lo, s31, v24
	v_add_nc_u32_e32 v24, 3, v30
	s_delay_alu instid0(VALU_DEP_3) | instskip(NEXT) | instid1(VALU_DEP_1)
	v_and_b32_e32 v23, 0xffff, v23
	v_cndmask_b32_e32 v23, v23, v22, vcc_lo
	s_delay_alu instid0(VALU_DEP_3) | instskip(NEXT) | instid1(VALU_DEP_2)
	v_cmp_gt_u32_e32 vcc_lo, s31, v24
	v_and_b32_e32 v23, 0xffffff, v23
	s_delay_alu instid0(VALU_DEP_1) | instskip(NEXT) | instid1(VALU_DEP_1)
	v_cndmask_b32_e32 v24, v23, v22, vcc_lo
	v_lshrrev_b64 v[22:23], 24, v[24:25]
	v_dual_lshrrev_b32 v35, 16, v24 :: v_dual_lshrrev_b32 v23, 8, v24
	v_cmpx_le_u32_e64 s31, v26
; %bb.146:
	v_mov_b32_e32 v34, 0
; %bb.147:
	s_or_b32 exec_lo, exec_lo, s0
.LBB1353_148:
	s_delay_alu instid0(VALU_DEP_1)
	v_and_b32_e32 v25, 0xff, v24
	s_wait_loadcnt_dscnt 0x0
	v_and_b32_e32 v36, 0xff, v23
	v_and_b32_e32 v37, 0xff, v35
	v_mbcnt_lo_u32_b32 v39, -1, 0
	v_and_b32_e32 v38, 0xff, v22
	v_and_b32_e32 v26, 0xff, v34
	v_lshrrev_b32_e32 v40, 5, v0
	v_add3_u32 v27, v36, v25, v37
	v_and_b32_e32 v28, 15, v39
	s_and_b32 vcc_lo, exec_lo, s16
	s_mov_b32 s7, -1
	s_delay_alu instid0(VALU_DEP_2)
	v_add3_u32 v41, v27, v38, v26
	v_and_b32_e32 v26, 16, v39
	v_or_b32_e32 v27, 31, v0
	v_cmp_eq_u32_e64 s3, 0, v28
	v_cmp_lt_u32_e64 s5, 1, v28
	v_cmp_lt_u32_e64 s6, 3, v28
	;; [unrolled: 1-line block ×3, first 2 shown]
	v_cmp_eq_u32_e64 s1, 0, v26
	v_cmp_eq_u32_e64 s0, v0, v27
	s_barrier_signal -1
	s_barrier_wait -1
                                        ; implicit-def: $vgpr30
                                        ; implicit-def: $vgpr31
                                        ; implicit-def: $vgpr32
                                        ; implicit-def: $vgpr33
                                        ; implicit-def: $vgpr42
                                        ; implicit-def: $vgpr28
                                        ; implicit-def: $vgpr26
	s_cbranch_vccz .LBB1353_175
; %bb.149:
	v_mov_b32_dpp v26, v41 row_shr:1 row_mask:0xf bank_mask:0xf
	s_delay_alu instid0(VALU_DEP_1) | instskip(NEXT) | instid1(VALU_DEP_1)
	v_cndmask_b32_e64 v26, v26, 0, s3
	v_add_nc_u32_e32 v26, v26, v41
	s_delay_alu instid0(VALU_DEP_1) | instskip(NEXT) | instid1(VALU_DEP_1)
	v_mov_b32_dpp v27, v26 row_shr:2 row_mask:0xf bank_mask:0xf
	v_cndmask_b32_e64 v27, 0, v27, s5
	s_delay_alu instid0(VALU_DEP_1) | instskip(NEXT) | instid1(VALU_DEP_1)
	v_add_nc_u32_e32 v26, v26, v27
	v_mov_b32_dpp v27, v26 row_shr:4 row_mask:0xf bank_mask:0xf
	s_delay_alu instid0(VALU_DEP_1) | instskip(NEXT) | instid1(VALU_DEP_1)
	v_cndmask_b32_e64 v27, 0, v27, s6
	v_add_nc_u32_e32 v26, v26, v27
	s_delay_alu instid0(VALU_DEP_1) | instskip(NEXT) | instid1(VALU_DEP_1)
	v_mov_b32_dpp v27, v26 row_shr:8 row_mask:0xf bank_mask:0xf
	v_cndmask_b32_e64 v27, 0, v27, s4
	s_delay_alu instid0(VALU_DEP_1) | instskip(SKIP_3) | instid1(VALU_DEP_1)
	v_add_nc_u32_e32 v26, v26, v27
	ds_swizzle_b32 v27, v26 offset:swizzle(BROADCAST,32,15)
	s_wait_dscnt 0x0
	v_cndmask_b32_e64 v27, v27, 0, s1
	v_add_nc_u32_e32 v26, v26, v27
	s_and_saveexec_b32 s7, s0
; %bb.150:
	v_lshlrev_b32_e32 v27, 2, v40
	ds_store_b32 v27, v26
; %bb.151:
	s_or_b32 exec_lo, exec_lo, s7
	s_delay_alu instid0(SALU_CYCLE_1)
	s_mov_b32 s7, exec_lo
	s_wait_dscnt 0x0
	s_barrier_signal -1
	s_barrier_wait -1
	v_cmpx_gt_u32_e32 4, v0
	s_cbranch_execz .LBB1353_153
; %bb.152:
	v_dual_lshlrev_b32 v27, 2, v0 :: v_dual_bitop2_b32 v29, 3, v39 bitop3:0x40
	ds_load_b32 v28, v27
	v_cmp_ne_u32_e32 vcc_lo, 0, v29
	s_wait_dscnt 0x0
	v_mov_b32_dpp v30, v28 row_shr:1 row_mask:0xf bank_mask:0xf
	s_delay_alu instid0(VALU_DEP_1) | instskip(SKIP_1) | instid1(VALU_DEP_2)
	v_cndmask_b32_e32 v30, 0, v30, vcc_lo
	v_cmp_lt_u32_e32 vcc_lo, 1, v29
	v_add_nc_u32_e32 v28, v30, v28
	s_delay_alu instid0(VALU_DEP_1) | instskip(NEXT) | instid1(VALU_DEP_1)
	v_mov_b32_dpp v30, v28 row_shr:2 row_mask:0xf bank_mask:0xf
	v_cndmask_b32_e32 v29, 0, v30, vcc_lo
	s_delay_alu instid0(VALU_DEP_1)
	v_add_nc_u32_e32 v28, v28, v29
	ds_store_b32 v27, v28
.LBB1353_153:
	s_or_b32 exec_lo, exec_lo, s7
	s_delay_alu instid0(SALU_CYCLE_1)
	s_mov_b32 s8, exec_lo
	v_cmp_gt_u32_e32 vcc_lo, 32, v0
	s_wait_dscnt 0x0
	s_barrier_signal -1
	s_barrier_wait -1
                                        ; implicit-def: $vgpr42
	v_cmpx_lt_u32_e32 31, v0
	s_cbranch_execz .LBB1353_155
; %bb.154:
	v_lshl_add_u32 v27, v40, 2, -4
	ds_load_b32 v42, v27
	s_wait_dscnt 0x0
	v_add_nc_u32_e32 v26, v42, v26
.LBB1353_155:
	s_or_b32 exec_lo, exec_lo, s8
	v_sub_co_u32 v27, s7, v39, 1
	s_delay_alu instid0(VALU_DEP_1) | instskip(NEXT) | instid1(VALU_DEP_1)
	v_cmp_gt_i32_e64 s8, 0, v27
	v_cndmask_b32_e64 v27, v27, v39, s8
	s_delay_alu instid0(VALU_DEP_1)
	v_lshlrev_b32_e32 v27, 2, v27
	ds_bpermute_b32 v43, v27, v26
	s_and_saveexec_b32 s8, vcc_lo
	s_cbranch_execz .LBB1353_174
; %bb.156:
	v_mov_b32_e32 v33, 0
	ds_load_b32 v26, v33 offset:12
	s_and_saveexec_b32 s9, s7
	s_cbranch_execz .LBB1353_158
; %bb.157:
	s_add_co_i32 s16, s30, 32
	s_delay_alu instid0(SALU_CYCLE_1)
	v_dual_mov_b32 v27, 1 :: v_dual_mov_b32 v28, s16
	s_wait_dscnt 0x0
	global_store_b64 v28, v[26:27], s[10:11] scale_offset scope:SCOPE_DEV
.LBB1353_158:
	s_wait_xcnt 0x0
	s_or_b32 exec_lo, exec_lo, s9
	v_xad_u32 v28, v39, -1, s30
	s_mov_b32 s16, 0
	s_mov_b32 s9, exec_lo
	s_delay_alu instid0(VALU_DEP_1) | instskip(SKIP_4) | instid1(VALU_DEP_1)
	v_add_nc_u32_e32 v32, 32, v28
	global_load_b64 v[30:31], v32, s[10:11] scale_offset scope:SCOPE_DEV
	s_wait_loadcnt 0x0
	v_and_b32_e32 v27, 0xff, v31
	s_wait_xcnt 0x0
	v_cmpx_eq_u16_e32 0, v27
	s_cbranch_execz .LBB1353_162
; %bb.159:
	v_lshl_add_u64 v[32:33], v[32:33], 3, s[10:11]
.LBB1353_160:                           ; =>This Inner Loop Header: Depth=1
	global_load_b64 v[30:31], v[32:33], off scope:SCOPE_DEV
	s_wait_loadcnt 0x0
	v_and_b32_e32 v27, 0xff, v31
	s_delay_alu instid0(VALU_DEP_1)
	v_cmp_ne_u16_e32 vcc_lo, 0, v27
	s_or_b32 s16, vcc_lo, s16
	s_wait_xcnt 0x0
	s_and_not1_b32 exec_lo, exec_lo, s16
	s_cbranch_execnz .LBB1353_160
; %bb.161:
	s_or_b32 exec_lo, exec_lo, s16
.LBB1353_162:
	s_delay_alu instid0(SALU_CYCLE_1)
	s_or_b32 exec_lo, exec_lo, s9
	v_cmp_ne_u32_e32 vcc_lo, 31, v39
	v_lshlrev_b32_e64 v45, v39, -1
	v_lshl_or_b32 v52, v39, 2, 64
	v_dual_add_nc_u32 v47, 2, v39 :: v_dual_add_nc_u32 v49, 4, v39
	v_add_co_ci_u32_e64 v27, null, 0, v39, vcc_lo
	v_dual_add_nc_u32 v51, 8, v39 :: v_dual_add_nc_u32 v53, 16, v39
	s_delay_alu instid0(VALU_DEP_2)
	v_lshlrev_b32_e32 v44, 2, v27
	v_and_b32_e32 v27, 0xff, v31
	ds_bpermute_b32 v29, v44, v30
	v_cmp_eq_u16_e32 vcc_lo, 2, v27
	v_and_or_b32 v27, vcc_lo, v45, 0x80000000
	v_cmp_gt_u32_e32 vcc_lo, 30, v39
	s_delay_alu instid0(VALU_DEP_2) | instskip(SKIP_1) | instid1(VALU_DEP_2)
	v_ctz_i32_b32_e32 v27, v27
	v_cndmask_b32_e64 v32, 0, 2, vcc_lo
	v_cmp_lt_u32_e32 vcc_lo, v39, v27
	s_delay_alu instid0(VALU_DEP_2) | instskip(SKIP_3) | instid1(VALU_DEP_2)
	v_add_lshl_u32 v46, v32, v39, 2
	s_wait_dscnt 0x0
	v_cndmask_b32_e32 v29, 0, v29, vcc_lo
	v_cmp_gt_u32_e32 vcc_lo, 28, v39
	v_add_nc_u32_e32 v29, v29, v30
	v_cndmask_b32_e64 v32, 0, 4, vcc_lo
	v_cmp_le_u32_e32 vcc_lo, v47, v27
	ds_bpermute_b32 v30, v46, v29
	v_add_lshl_u32 v48, v32, v39, 2
	s_wait_dscnt 0x0
	v_cndmask_b32_e32 v30, 0, v30, vcc_lo
	v_cmp_gt_u32_e32 vcc_lo, 24, v39
	v_cndmask_b32_e64 v32, 0, 8, vcc_lo
	v_cmp_le_u32_e32 vcc_lo, v49, v27
	s_delay_alu instid0(VALU_DEP_4) | instskip(NEXT) | instid1(VALU_DEP_3)
	v_add_nc_u32_e32 v29, v29, v30
	v_add_lshl_u32 v50, v32, v39, 2
	ds_bpermute_b32 v30, v48, v29
	s_wait_dscnt 0x0
	v_cndmask_b32_e32 v30, 0, v30, vcc_lo
	v_cmp_le_u32_e32 vcc_lo, v51, v27
	s_delay_alu instid0(VALU_DEP_2) | instskip(SKIP_4) | instid1(VALU_DEP_2)
	v_add_nc_u32_e32 v29, v29, v30
	ds_bpermute_b32 v30, v50, v29
	s_wait_dscnt 0x0
	v_cndmask_b32_e32 v30, 0, v30, vcc_lo
	v_cmp_le_u32_e32 vcc_lo, v53, v27
	v_add_nc_u32_e32 v29, v29, v30
	ds_bpermute_b32 v30, v52, v29
	s_wait_dscnt 0x0
	v_cndmask_b32_e32 v27, 0, v30, vcc_lo
	s_delay_alu instid0(VALU_DEP_1)
	v_dual_mov_b32 v29, 0 :: v_dual_add_nc_u32 v30, v29, v27
	s_branch .LBB1353_165
.LBB1353_163:                           ;   in Loop: Header=BB1353_165 Depth=1
	s_or_b32 exec_lo, exec_lo, s9
	v_and_b32_e32 v32, 0xff, v31
	ds_bpermute_b32 v33, v44, v30
	v_subrev_nc_u32_e32 v28, 32, v28
	s_mov_b32 s9, 0
	v_cmp_eq_u16_e32 vcc_lo, 2, v32
	v_and_or_b32 v32, vcc_lo, v45, 0x80000000
	s_delay_alu instid0(VALU_DEP_1) | instskip(NEXT) | instid1(VALU_DEP_1)
	v_ctz_i32_b32_e32 v32, v32
	v_cmp_lt_u32_e32 vcc_lo, v39, v32
	s_wait_dscnt 0x0
	v_cndmask_b32_e32 v33, 0, v33, vcc_lo
	v_cmp_le_u32_e32 vcc_lo, v47, v32
	s_delay_alu instid0(VALU_DEP_2) | instskip(SKIP_4) | instid1(VALU_DEP_2)
	v_add_nc_u32_e32 v30, v33, v30
	ds_bpermute_b32 v33, v46, v30
	s_wait_dscnt 0x0
	v_cndmask_b32_e32 v33, 0, v33, vcc_lo
	v_cmp_le_u32_e32 vcc_lo, v49, v32
	v_add_nc_u32_e32 v30, v30, v33
	ds_bpermute_b32 v33, v48, v30
	s_wait_dscnt 0x0
	v_cndmask_b32_e32 v33, 0, v33, vcc_lo
	v_cmp_le_u32_e32 vcc_lo, v51, v32
	s_delay_alu instid0(VALU_DEP_2) | instskip(SKIP_4) | instid1(VALU_DEP_2)
	v_add_nc_u32_e32 v30, v30, v33
	ds_bpermute_b32 v33, v50, v30
	s_wait_dscnt 0x0
	v_cndmask_b32_e32 v33, 0, v33, vcc_lo
	v_cmp_le_u32_e32 vcc_lo, v53, v32
	v_add_nc_u32_e32 v30, v30, v33
	ds_bpermute_b32 v33, v52, v30
	s_wait_dscnt 0x0
	v_cndmask_b32_e32 v32, 0, v33, vcc_lo
	s_delay_alu instid0(VALU_DEP_1)
	v_add3_u32 v30, v32, v27, v30
.LBB1353_164:                           ;   in Loop: Header=BB1353_165 Depth=1
	s_and_b32 vcc_lo, exec_lo, s9
	s_cbranch_vccnz .LBB1353_170
.LBB1353_165:                           ; =>This Loop Header: Depth=1
                                        ;     Child Loop BB1353_168 Depth 2
	v_and_b32_e32 v27, 0xff, v31
	s_mov_b32 s9, -1
                                        ; implicit-def: $vgpr31
	s_delay_alu instid0(VALU_DEP_1)
	v_cmp_ne_u16_e32 vcc_lo, 2, v27
	v_mov_b32_e32 v27, v30
                                        ; implicit-def: $vgpr30
	s_cmp_lg_u32 vcc_lo, exec_lo
	s_cbranch_scc1 .LBB1353_164
; %bb.166:                              ;   in Loop: Header=BB1353_165 Depth=1
	global_load_b64 v[30:31], v28, s[10:11] scale_offset scope:SCOPE_DEV
	s_mov_b32 s9, exec_lo
	s_wait_loadcnt 0x0
	v_and_b32_e32 v32, 0xff, v31
	s_wait_xcnt 0x0
	s_delay_alu instid0(VALU_DEP_1)
	v_cmpx_eq_u16_e32 0, v32
	s_cbranch_execz .LBB1353_163
; %bb.167:                              ;   in Loop: Header=BB1353_165 Depth=1
	v_lshl_add_u64 v[32:33], v[28:29], 3, s[10:11]
	s_mov_b32 s16, 0
.LBB1353_168:                           ;   Parent Loop BB1353_165 Depth=1
                                        ; =>  This Inner Loop Header: Depth=2
	global_load_b64 v[30:31], v[32:33], off scope:SCOPE_DEV
	s_wait_loadcnt 0x0
	v_and_b32_e32 v54, 0xff, v31
	s_delay_alu instid0(VALU_DEP_1)
	v_cmp_ne_u16_e32 vcc_lo, 0, v54
	s_or_b32 s16, vcc_lo, s16
	s_wait_xcnt 0x0
	s_and_not1_b32 exec_lo, exec_lo, s16
	s_cbranch_execnz .LBB1353_168
; %bb.169:                              ;   in Loop: Header=BB1353_165 Depth=1
	s_or_b32 exec_lo, exec_lo, s16
	s_branch .LBB1353_163
.LBB1353_170:
	s_and_saveexec_b32 s9, s7
	s_cbranch_execz .LBB1353_172
; %bb.171:
	s_add_co_i32 s16, s30, 32
	v_dual_mov_b32 v29, 2 :: v_dual_add_nc_u32 v28, v27, v26
	v_dual_mov_b32 v30, s16 :: v_dual_mov_b32 v31, 0
	global_store_b64 v30, v[28:29], s[10:11] scale_offset scope:SCOPE_DEV
	ds_store_b64 v31, v[26:27] offset:5120
.LBB1353_172:
	s_wait_xcnt 0x0
	s_or_b32 exec_lo, exec_lo, s9
	s_delay_alu instid0(SALU_CYCLE_1)
	s_and_b32 exec_lo, exec_lo, s2
; %bb.173:
	v_mov_b32_e32 v26, 0
	ds_store_b32 v26, v27 offset:12
.LBB1353_174:
	s_or_b32 exec_lo, exec_lo, s8
	s_wait_dscnt 0x0
	v_dual_mov_b32 v26, 0 :: v_dual_cndmask_b32 v28, v43, v42, s7
	s_wait_storecnt 0x0
	s_barrier_signal -1
	s_barrier_wait -1
	ds_load_b32 v27, v26 offset:12
	v_cndmask_b32_e64 v28, v28, 0, s2
	s_wait_dscnt 0x0
	s_barrier_signal -1
	s_barrier_wait -1
	s_mov_b32 s7, 0
	v_add_nc_u32_e32 v42, v27, v28
	ds_load_b64 v[26:27], v26 offset:5120
	v_add_nc_u32_e32 v33, v42, v25
	s_wait_dscnt 0x0
	s_delay_alu instid0(VALU_DEP_1) | instskip(NEXT) | instid1(VALU_DEP_1)
	v_dual_add_nc_u32 v32, v33, v36 :: v_dual_mov_b32 v28, v27
	v_add_nc_u32_e32 v31, v32, v37
	s_delay_alu instid0(VALU_DEP_1)
	v_add_nc_u32_e32 v30, v31, v38
.LBB1353_175:
	s_and_b32 vcc_lo, exec_lo, s7
	s_cbranch_vccz .LBB1353_185
; %bb.176:
	v_mov_b32_dpp v26, v41 row_shr:1 row_mask:0xf bank_mask:0xf
	s_delay_alu instid0(VALU_DEP_1) | instskip(NEXT) | instid1(VALU_DEP_1)
	v_cndmask_b32_e64 v26, v26, 0, s3
	v_add_nc_u32_e32 v26, v26, v41
	s_delay_alu instid0(VALU_DEP_1) | instskip(NEXT) | instid1(VALU_DEP_1)
	v_mov_b32_dpp v27, v26 row_shr:2 row_mask:0xf bank_mask:0xf
	v_cndmask_b32_e64 v27, 0, v27, s5
	s_delay_alu instid0(VALU_DEP_1) | instskip(NEXT) | instid1(VALU_DEP_1)
	v_add_nc_u32_e32 v26, v26, v27
	v_mov_b32_dpp v27, v26 row_shr:4 row_mask:0xf bank_mask:0xf
	s_delay_alu instid0(VALU_DEP_1) | instskip(NEXT) | instid1(VALU_DEP_1)
	v_cndmask_b32_e64 v27, 0, v27, s6
	v_add_nc_u32_e32 v26, v26, v27
	s_delay_alu instid0(VALU_DEP_1) | instskip(NEXT) | instid1(VALU_DEP_1)
	v_mov_b32_dpp v27, v26 row_shr:8 row_mask:0xf bank_mask:0xf
	v_cndmask_b32_e64 v27, 0, v27, s4
	s_delay_alu instid0(VALU_DEP_1) | instskip(SKIP_3) | instid1(VALU_DEP_1)
	v_add_nc_u32_e32 v26, v26, v27
	ds_swizzle_b32 v27, v26 offset:swizzle(BROADCAST,32,15)
	s_wait_dscnt 0x0
	v_cndmask_b32_e64 v27, v27, 0, s1
	v_add_nc_u32_e32 v26, v26, v27
	s_and_saveexec_b32 s1, s0
; %bb.177:
	v_lshlrev_b32_e32 v27, 2, v40
	ds_store_b32 v27, v26
; %bb.178:
	s_or_b32 exec_lo, exec_lo, s1
	s_delay_alu instid0(SALU_CYCLE_1)
	s_mov_b32 s0, exec_lo
	s_wait_dscnt 0x0
	s_barrier_signal -1
	s_barrier_wait -1
	v_cmpx_gt_u32_e32 4, v0
	s_cbranch_execz .LBB1353_180
; %bb.179:
	v_dual_lshlrev_b32 v27, 2, v0 :: v_dual_bitop2_b32 v29, 3, v39 bitop3:0x40
	ds_load_b32 v28, v27
	v_cmp_ne_u32_e32 vcc_lo, 0, v29
	s_wait_dscnt 0x0
	v_mov_b32_dpp v30, v28 row_shr:1 row_mask:0xf bank_mask:0xf
	s_delay_alu instid0(VALU_DEP_1) | instskip(SKIP_1) | instid1(VALU_DEP_2)
	v_cndmask_b32_e32 v30, 0, v30, vcc_lo
	v_cmp_lt_u32_e32 vcc_lo, 1, v29
	v_add_nc_u32_e32 v28, v30, v28
	s_delay_alu instid0(VALU_DEP_1) | instskip(NEXT) | instid1(VALU_DEP_1)
	v_mov_b32_dpp v30, v28 row_shr:2 row_mask:0xf bank_mask:0xf
	v_cndmask_b32_e32 v29, 0, v30, vcc_lo
	s_delay_alu instid0(VALU_DEP_1)
	v_add_nc_u32_e32 v28, v28, v29
	ds_store_b32 v27, v28
.LBB1353_180:
	s_or_b32 exec_lo, exec_lo, s0
	v_dual_mov_b32 v27, 0 :: v_dual_mov_b32 v28, 0
	s_mov_b32 s0, exec_lo
	s_wait_dscnt 0x0
	s_barrier_signal -1
	s_barrier_wait -1
	v_cmpx_lt_u32_e32 31, v0
; %bb.181:
	v_lshl_add_u32 v28, v40, 2, -4
	ds_load_b32 v28, v28
; %bb.182:
	s_or_b32 exec_lo, exec_lo, s0
	v_sub_co_u32 v29, vcc_lo, v39, 1
	s_wait_dscnt 0x0
	v_add_nc_u32_e32 v26, v28, v26
	s_delay_alu instid0(VALU_DEP_2) | instskip(NEXT) | instid1(VALU_DEP_1)
	v_cmp_gt_i32_e64 s0, 0, v29
	v_cndmask_b32_e64 v29, v29, v39, s0
	s_delay_alu instid0(VALU_DEP_1)
	v_lshlrev_b32_e32 v29, 2, v29
	ds_bpermute_b32 v29, v29, v26
	ds_load_b32 v26, v27 offset:12
	s_and_saveexec_b32 s0, s2
	s_cbranch_execz .LBB1353_184
; %bb.183:
	v_dual_mov_b32 v30, 0 :: v_dual_mov_b32 v27, 2
	s_wait_dscnt 0x0
	global_store_b64 v30, v[26:27], s[10:11] offset:256 scope:SCOPE_DEV
.LBB1353_184:
	s_wait_xcnt 0x0
	s_or_b32 exec_lo, exec_lo, s0
	s_wait_dscnt 0x1
	v_cndmask_b32_e32 v27, v29, v28, vcc_lo
	s_wait_storecnt_dscnt 0x0
	s_barrier_signal -1
	s_barrier_wait -1
	s_delay_alu instid0(VALU_DEP_1) | instskip(NEXT) | instid1(VALU_DEP_1)
	v_cndmask_b32_e64 v42, v27, 0, s2
	v_dual_mov_b32 v28, 0 :: v_dual_add_nc_u32 v33, v42, v25
	s_delay_alu instid0(VALU_DEP_1) | instskip(NEXT) | instid1(VALU_DEP_1)
	v_add_nc_u32_e32 v32, v33, v36
	v_add_nc_u32_e32 v31, v32, v37
	s_delay_alu instid0(VALU_DEP_1)
	v_add_nc_u32_e32 v30, v31, v38
.LBB1353_185:
	s_delay_alu instid0(VALU_DEP_4)
	v_dual_add_nc_u32 v25, v28, v26 :: v_dual_bitop2_b32 v24, 1, v24 bitop3:0x40
	v_cmp_gt_u32_e64 s0, 0x81, v26
	s_mov_b32 s4, -1
	v_cmp_lt_u32_e64 s1, v42, v25
	v_cmp_eq_u32_e64 s3, 1, v24
	s_and_b32 vcc_lo, exec_lo, s0
	s_cbranch_vccz .LBB1353_197
; %bb.186:
	s_or_b32 s1, s29, s1
	s_delay_alu instid0(SALU_CYCLE_1) | instskip(NEXT) | instid1(SALU_CYCLE_1)
	s_and_b32 s3, s1, s3
	s_and_saveexec_b32 s1, s3
	s_cbranch_execz .LBB1353_188
; %bb.187:
	s_lshl_b64 s[4:5], s[14:15], 3
	s_delay_alu instid0(SALU_CYCLE_1)
	s_add_nc_u64 s[4:5], s[20:21], s[4:5]
	global_store_b64 v42, v[14:15], s[4:5] scale_offset
.LBB1353_188:
	s_wait_xcnt 0x0
	s_or_b32 exec_lo, exec_lo, s1
	v_and_b32_e32 v27, 1, v23
	v_cmp_lt_u32_e32 vcc_lo, v33, v25
	s_delay_alu instid0(VALU_DEP_2) | instskip(SKIP_1) | instid1(SALU_CYCLE_1)
	v_cmp_eq_u32_e64 s1, 1, v27
	s_or_b32 s3, s29, vcc_lo
	s_and_b32 s3, s3, s1
	s_delay_alu instid0(SALU_CYCLE_1)
	s_and_saveexec_b32 s1, s3
	s_cbranch_execz .LBB1353_190
; %bb.189:
	s_lshl_b64 s[4:5], s[14:15], 3
	s_delay_alu instid0(SALU_CYCLE_1)
	s_add_nc_u64 s[4:5], s[20:21], s[4:5]
	global_store_b64 v33, v[16:17], s[4:5] scale_offset
.LBB1353_190:
	s_wait_xcnt 0x0
	s_or_b32 exec_lo, exec_lo, s1
	v_and_b32_e32 v27, 1, v35
	v_cmp_lt_u32_e32 vcc_lo, v32, v25
	s_delay_alu instid0(VALU_DEP_2) | instskip(SKIP_1) | instid1(SALU_CYCLE_1)
	v_cmp_eq_u32_e64 s1, 1, v27
	s_or_b32 s3, s29, vcc_lo
	s_and_b32 s3, s3, s1
	s_delay_alu instid0(SALU_CYCLE_1)
	s_and_saveexec_b32 s1, s3
	s_cbranch_execz .LBB1353_192
; %bb.191:
	s_lshl_b64 s[4:5], s[14:15], 3
	s_delay_alu instid0(SALU_CYCLE_1)
	s_add_nc_u64 s[4:5], s[20:21], s[4:5]
	global_store_b64 v32, v[10:11], s[4:5] scale_offset
.LBB1353_192:
	s_wait_xcnt 0x0
	s_or_b32 exec_lo, exec_lo, s1
	v_and_b32_e32 v27, 1, v22
	v_cmp_lt_u32_e32 vcc_lo, v31, v25
	s_delay_alu instid0(VALU_DEP_2) | instskip(SKIP_1) | instid1(SALU_CYCLE_1)
	v_cmp_eq_u32_e64 s1, 1, v27
	s_or_b32 s3, s29, vcc_lo
	s_and_b32 s3, s3, s1
	s_delay_alu instid0(SALU_CYCLE_1)
	s_and_saveexec_b32 s1, s3
	s_cbranch_execz .LBB1353_194
; %bb.193:
	s_lshl_b64 s[4:5], s[14:15], 3
	s_delay_alu instid0(SALU_CYCLE_1)
	s_add_nc_u64 s[4:5], s[20:21], s[4:5]
	global_store_b64 v31, v[12:13], s[4:5] scale_offset
.LBB1353_194:
	s_wait_xcnt 0x0
	s_or_b32 exec_lo, exec_lo, s1
	v_and_b32_e32 v27, 1, v34
	v_cmp_lt_u32_e32 vcc_lo, v30, v25
	s_delay_alu instid0(VALU_DEP_2) | instskip(SKIP_1) | instid1(SALU_CYCLE_1)
	v_cmp_eq_u32_e64 s1, 1, v27
	s_or_b32 s3, s29, vcc_lo
	s_and_b32 s3, s3, s1
	s_delay_alu instid0(SALU_CYCLE_1)
	s_and_saveexec_b32 s1, s3
	s_cbranch_execz .LBB1353_196
; %bb.195:
	s_lshl_b64 s[4:5], s[14:15], 3
	s_delay_alu instid0(SALU_CYCLE_1)
	s_add_nc_u64 s[4:5], s[20:21], s[4:5]
	global_store_b64 v30, v[20:21], s[4:5] scale_offset
.LBB1353_196:
	s_wait_xcnt 0x0
	s_or_b32 exec_lo, exec_lo, s1
	s_mov_b32 s4, 0
.LBB1353_197:
	s_delay_alu instid0(SALU_CYCLE_1)
	s_and_b32 vcc_lo, exec_lo, s4
	s_cbranch_vccz .LBB1353_211
; %bb.198:
	s_mov_b32 s1, exec_lo
	v_cmpx_eq_u32_e32 1, v24
; %bb.199:
	v_sub_nc_u32_e32 v27, v42, v28
	s_delay_alu instid0(VALU_DEP_1)
	v_lshlrev_b32_e32 v27, 3, v27
	ds_store_b64 v27, v[14:15]
; %bb.200:
	s_or_b32 exec_lo, exec_lo, s1
	v_and_b32_e32 v14, 1, v23
	s_mov_b32 s1, exec_lo
	s_delay_alu instid0(VALU_DEP_1)
	v_cmpx_eq_u32_e32 1, v14
; %bb.201:
	v_sub_nc_u32_e32 v14, v33, v28
	s_delay_alu instid0(VALU_DEP_1)
	v_lshlrev_b32_e32 v14, 3, v14
	ds_store_b64 v14, v[16:17]
; %bb.202:
	s_or_b32 exec_lo, exec_lo, s1
	v_and_b32_e32 v14, 1, v35
	s_mov_b32 s1, exec_lo
	s_delay_alu instid0(VALU_DEP_1)
	;; [unrolled: 11-line block ×4, first 2 shown]
	v_cmpx_eq_u32_e32 1, v10
; %bb.207:
	v_sub_nc_u32_e32 v10, v30, v28
	s_delay_alu instid0(VALU_DEP_1)
	v_lshlrev_b32_e32 v10, 3, v10
	ds_store_b64 v10, v[20:21]
; %bb.208:
	s_or_b32 exec_lo, exec_lo, s1
	v_dual_mov_b32 v29, 0 :: v_dual_lshlrev_b32 v12, 3, v0
	s_lshl_b64 s[4:5], s[14:15], 3
	v_mov_b32_e32 v13, v0
	s_mov_b32 s1, 0
	s_delay_alu instid0(VALU_DEP_2) | instskip(SKIP_3) | instid1(VALU_DEP_1)
	v_lshlrev_b64_e32 v[10:11], 3, v[28:29]
	s_wait_storecnt_dscnt 0x0
	s_barrier_signal -1
	s_barrier_wait -1
	v_add_nc_u64_e32 v[10:11], s[20:21], v[10:11]
	s_delay_alu instid0(VALU_DEP_1)
	v_add_nc_u64_e32 v[10:11], s[4:5], v[10:11]
.LBB1353_209:                           ; =>This Inner Loop Header: Depth=1
	ds_load_b64 v[14:15], v12
	v_readfirstlane_b32 s4, v10
	v_readfirstlane_b32 s5, v11
	v_add_nc_u32_e32 v12, 0x400, v12
	s_wait_dscnt 0x0
	global_store_b64 v13, v[14:15], s[4:5] scale_offset
	s_wait_xcnt 0x0
	v_add_nc_u32_e32 v13, 0x80, v13
	s_delay_alu instid0(VALU_DEP_1) | instskip(SKIP_1) | instid1(SALU_CYCLE_1)
	v_cmp_ge_u32_e32 vcc_lo, v13, v26
	s_or_b32 s1, vcc_lo, s1
	s_and_not1_b32 exec_lo, exec_lo, s1
	s_cbranch_execnz .LBB1353_209
; %bb.210:
	s_or_b32 exec_lo, exec_lo, s1
.LBB1353_211:
	s_delay_alu instid0(SALU_CYCLE_1)
	s_and_b32 vcc_lo, exec_lo, s0
	s_mov_b32 s0, -1
	s_wait_storecnt 0x0
	s_barrier_signal -1
	s_barrier_wait -1
	s_cbranch_vccnz .LBB1353_215
; %bb.212:
	s_and_b32 vcc_lo, exec_lo, s0
	s_cbranch_vccnz .LBB1353_226
.LBB1353_213:
	s_and_b32 s0, s2, s28
	s_delay_alu instid0(SALU_CYCLE_1)
	s_and_saveexec_b32 s1, s0
	s_cbranch_execnz .LBB1353_239
.LBB1353_214:
	s_endpgm
.LBB1353_215:
	v_cmp_lt_u32_e32 vcc_lo, v42, v25
	v_cmp_eq_u32_e64 s0, 1, v24
	s_or_b32 s1, s29, vcc_lo
	s_delay_alu instid0(SALU_CYCLE_1) | instskip(NEXT) | instid1(SALU_CYCLE_1)
	s_and_b32 s1, s1, s0
	s_and_saveexec_b32 s0, s1
	s_cbranch_execz .LBB1353_217
; %bb.216:
	s_lshl_b64 s[4:5], s[14:15], 3
	s_delay_alu instid0(SALU_CYCLE_1)
	s_add_nc_u64 s[4:5], s[22:23], s[4:5]
	global_store_b64 v42, v[6:7], s[4:5] scale_offset
.LBB1353_217:
	s_wait_xcnt 0x0
	s_or_b32 exec_lo, exec_lo, s0
	v_and_b32_e32 v10, 1, v23
	v_cmp_lt_u32_e32 vcc_lo, v33, v25
	s_delay_alu instid0(VALU_DEP_2) | instskip(SKIP_1) | instid1(SALU_CYCLE_1)
	v_cmp_eq_u32_e64 s0, 1, v10
	s_or_b32 s1, s29, vcc_lo
	s_and_b32 s1, s1, s0
	s_delay_alu instid0(SALU_CYCLE_1)
	s_and_saveexec_b32 s0, s1
	s_cbranch_execz .LBB1353_219
; %bb.218:
	s_lshl_b64 s[4:5], s[14:15], 3
	s_delay_alu instid0(SALU_CYCLE_1)
	s_add_nc_u64 s[4:5], s[22:23], s[4:5]
	global_store_b64 v33, v[8:9], s[4:5] scale_offset
.LBB1353_219:
	s_wait_xcnt 0x0
	s_or_b32 exec_lo, exec_lo, s0
	v_and_b32_e32 v10, 1, v35
	v_cmp_lt_u32_e32 vcc_lo, v32, v25
	s_delay_alu instid0(VALU_DEP_2) | instskip(SKIP_1) | instid1(SALU_CYCLE_1)
	v_cmp_eq_u32_e64 s0, 1, v10
	s_or_b32 s1, s29, vcc_lo
	s_and_b32 s1, s1, s0
	s_delay_alu instid0(SALU_CYCLE_1)
	s_and_saveexec_b32 s0, s1
	s_cbranch_execz .LBB1353_221
; %bb.220:
	s_lshl_b64 s[4:5], s[14:15], 3
	s_delay_alu instid0(SALU_CYCLE_1)
	s_add_nc_u64 s[4:5], s[22:23], s[4:5]
	global_store_b64 v32, v[2:3], s[4:5] scale_offset
.LBB1353_221:
	s_wait_xcnt 0x0
	s_or_b32 exec_lo, exec_lo, s0
	v_and_b32_e32 v10, 1, v22
	v_cmp_lt_u32_e32 vcc_lo, v31, v25
	s_delay_alu instid0(VALU_DEP_2) | instskip(SKIP_1) | instid1(SALU_CYCLE_1)
	v_cmp_eq_u32_e64 s0, 1, v10
	s_or_b32 s1, s29, vcc_lo
	s_and_b32 s1, s1, s0
	s_delay_alu instid0(SALU_CYCLE_1)
	s_and_saveexec_b32 s0, s1
	s_cbranch_execz .LBB1353_223
; %bb.222:
	s_lshl_b64 s[4:5], s[14:15], 3
	s_delay_alu instid0(SALU_CYCLE_1)
	s_add_nc_u64 s[4:5], s[22:23], s[4:5]
	global_store_b64 v31, v[4:5], s[4:5] scale_offset
.LBB1353_223:
	s_wait_xcnt 0x0
	s_or_b32 exec_lo, exec_lo, s0
	v_and_b32_e32 v10, 1, v34
	v_cmp_lt_u32_e32 vcc_lo, v30, v25
	s_delay_alu instid0(VALU_DEP_2) | instskip(SKIP_1) | instid1(SALU_CYCLE_1)
	v_cmp_eq_u32_e64 s0, 1, v10
	s_or_b32 s1, s29, vcc_lo
	s_and_b32 s1, s1, s0
	s_delay_alu instid0(SALU_CYCLE_1)
	s_and_saveexec_b32 s0, s1
	s_cbranch_execz .LBB1353_225
; %bb.224:
	s_lshl_b64 s[4:5], s[14:15], 3
	s_delay_alu instid0(SALU_CYCLE_1)
	s_add_nc_u64 s[4:5], s[22:23], s[4:5]
	global_store_b64 v30, v[18:19], s[4:5] scale_offset
.LBB1353_225:
	s_wait_xcnt 0x0
	s_or_b32 exec_lo, exec_lo, s0
	s_branch .LBB1353_213
.LBB1353_226:
	s_mov_b32 s0, exec_lo
	v_cmpx_eq_u32_e32 1, v24
; %bb.227:
	v_sub_nc_u32_e32 v10, v42, v28
	s_delay_alu instid0(VALU_DEP_1)
	v_lshlrev_b32_e32 v10, 3, v10
	ds_store_b64 v10, v[6:7]
; %bb.228:
	s_or_b32 exec_lo, exec_lo, s0
	v_and_b32_e32 v6, 1, v23
	s_mov_b32 s0, exec_lo
	s_delay_alu instid0(VALU_DEP_1)
	v_cmpx_eq_u32_e32 1, v6
; %bb.229:
	v_sub_nc_u32_e32 v6, v33, v28
	s_delay_alu instid0(VALU_DEP_1)
	v_lshlrev_b32_e32 v6, 3, v6
	ds_store_b64 v6, v[8:9]
; %bb.230:
	s_or_b32 exec_lo, exec_lo, s0
	v_and_b32_e32 v6, 1, v35
	s_mov_b32 s0, exec_lo
	s_delay_alu instid0(VALU_DEP_1)
	;; [unrolled: 11-line block ×4, first 2 shown]
	v_cmpx_eq_u32_e32 1, v2
; %bb.235:
	v_sub_nc_u32_e32 v2, v30, v28
	s_delay_alu instid0(VALU_DEP_1)
	v_lshlrev_b32_e32 v2, 3, v2
	ds_store_b64 v2, v[18:19]
; %bb.236:
	s_or_b32 exec_lo, exec_lo, s0
	v_mov_b32_e32 v29, 0
	s_lshl_b64 s[0:1], s[14:15], 3
	s_wait_storecnt_dscnt 0x0
	s_barrier_signal -1
	s_barrier_wait -1
	v_lshlrev_b64_e32 v[2:3], 3, v[28:29]
	s_delay_alu instid0(VALU_DEP_1) | instskip(NEXT) | instid1(VALU_DEP_1)
	v_add_nc_u64_e32 v[2:3], s[22:23], v[2:3]
	v_add_nc_u64_e32 v[2:3], s[0:1], v[2:3]
	s_mov_b32 s0, 0
.LBB1353_237:                           ; =>This Inner Loop Header: Depth=1
	ds_load_b64 v[4:5], v1
	v_readfirstlane_b32 s4, v2
	v_readfirstlane_b32 s5, v3
	v_add_nc_u32_e32 v1, 0x400, v1
	s_wait_dscnt 0x0
	global_store_b64 v0, v[4:5], s[4:5] scale_offset
	s_wait_xcnt 0x0
	v_add_nc_u32_e32 v0, 0x80, v0
	s_delay_alu instid0(VALU_DEP_1) | instskip(SKIP_1) | instid1(SALU_CYCLE_1)
	v_cmp_ge_u32_e32 vcc_lo, v0, v26
	s_or_b32 s0, vcc_lo, s0
	s_and_not1_b32 exec_lo, exec_lo, s0
	s_cbranch_execnz .LBB1353_237
; %bb.238:
	s_or_b32 exec_lo, exec_lo, s0
	s_and_b32 s0, s2, s28
	s_delay_alu instid0(SALU_CYCLE_1)
	s_and_saveexec_b32 s1, s0
	s_cbranch_execz .LBB1353_214
.LBB1353_239:
	v_mov_b32_e32 v27, 0
	s_delay_alu instid0(VALU_DEP_1) | instskip(SKIP_1) | instid1(VALU_DEP_1)
	v_add_nc_u64_e32 v[0:1], s[14:15], v[26:27]
	v_mov_b32_e32 v29, v27
	v_add_nc_u64_e32 v[0:1], v[0:1], v[28:29]
	global_store_b64 v27, v[0:1], s[12:13]
	s_endpgm
	.section	.rodata,"a",@progbits
	.p2align	6, 0x0
	.amdhsa_kernel _ZN7rocprim17ROCPRIM_400000_NS6detail17trampoline_kernelINS0_14default_configENS1_25partition_config_selectorILNS1_17partition_subalgoE9EllbEEZZNS1_14partition_implILS5_9ELb0ES3_jPlS8_PNS0_10empty_typeENS0_5tupleIJS8_S9_EEENSB_IJS8_SA_EEENS0_18inequality_wrapperIZN2at6native12_GLOBAL__N_124unique_dim_cuda_templateIN3c104HalfEEESt5tupleIJNSF_6TensorESM_SM_EERKSM_lbbbEUlllE0_EEPmJS9_EEE10hipError_tPvRmT3_T4_T5_T6_T7_T9_mT8_P12ihipStream_tbDpT10_ENKUlT_T0_E_clISt17integral_constantIbLb0EES1B_IbLb1EEEEDaS17_S18_EUlS17_E_NS1_11comp_targetILNS1_3genE0ELNS1_11target_archE4294967295ELNS1_3gpuE0ELNS1_3repE0EEENS1_30default_config_static_selectorELNS0_4arch9wavefront6targetE0EEEvT1_
		.amdhsa_group_segment_fixed_size 5128
		.amdhsa_private_segment_fixed_size 0
		.amdhsa_kernarg_size 136
		.amdhsa_user_sgpr_count 2
		.amdhsa_user_sgpr_dispatch_ptr 0
		.amdhsa_user_sgpr_queue_ptr 0
		.amdhsa_user_sgpr_kernarg_segment_ptr 1
		.amdhsa_user_sgpr_dispatch_id 0
		.amdhsa_user_sgpr_kernarg_preload_length 0
		.amdhsa_user_sgpr_kernarg_preload_offset 0
		.amdhsa_user_sgpr_private_segment_size 0
		.amdhsa_wavefront_size32 1
		.amdhsa_uses_dynamic_stack 0
		.amdhsa_enable_private_segment 0
		.amdhsa_system_sgpr_workgroup_id_x 1
		.amdhsa_system_sgpr_workgroup_id_y 0
		.amdhsa_system_sgpr_workgroup_id_z 0
		.amdhsa_system_sgpr_workgroup_info 0
		.amdhsa_system_vgpr_workitem_id 0
		.amdhsa_next_free_vgpr 55
		.amdhsa_next_free_sgpr 36
		.amdhsa_named_barrier_count 0
		.amdhsa_reserve_vcc 1
		.amdhsa_float_round_mode_32 0
		.amdhsa_float_round_mode_16_64 0
		.amdhsa_float_denorm_mode_32 3
		.amdhsa_float_denorm_mode_16_64 3
		.amdhsa_fp16_overflow 0
		.amdhsa_memory_ordered 1
		.amdhsa_forward_progress 1
		.amdhsa_inst_pref_size 75
		.amdhsa_round_robin_scheduling 0
		.amdhsa_exception_fp_ieee_invalid_op 0
		.amdhsa_exception_fp_denorm_src 0
		.amdhsa_exception_fp_ieee_div_zero 0
		.amdhsa_exception_fp_ieee_overflow 0
		.amdhsa_exception_fp_ieee_underflow 0
		.amdhsa_exception_fp_ieee_inexact 0
		.amdhsa_exception_int_div_zero 0
	.end_amdhsa_kernel
	.section	.text._ZN7rocprim17ROCPRIM_400000_NS6detail17trampoline_kernelINS0_14default_configENS1_25partition_config_selectorILNS1_17partition_subalgoE9EllbEEZZNS1_14partition_implILS5_9ELb0ES3_jPlS8_PNS0_10empty_typeENS0_5tupleIJS8_S9_EEENSB_IJS8_SA_EEENS0_18inequality_wrapperIZN2at6native12_GLOBAL__N_124unique_dim_cuda_templateIN3c104HalfEEESt5tupleIJNSF_6TensorESM_SM_EERKSM_lbbbEUlllE0_EEPmJS9_EEE10hipError_tPvRmT3_T4_T5_T6_T7_T9_mT8_P12ihipStream_tbDpT10_ENKUlT_T0_E_clISt17integral_constantIbLb0EES1B_IbLb1EEEEDaS17_S18_EUlS17_E_NS1_11comp_targetILNS1_3genE0ELNS1_11target_archE4294967295ELNS1_3gpuE0ELNS1_3repE0EEENS1_30default_config_static_selectorELNS0_4arch9wavefront6targetE0EEEvT1_,"axG",@progbits,_ZN7rocprim17ROCPRIM_400000_NS6detail17trampoline_kernelINS0_14default_configENS1_25partition_config_selectorILNS1_17partition_subalgoE9EllbEEZZNS1_14partition_implILS5_9ELb0ES3_jPlS8_PNS0_10empty_typeENS0_5tupleIJS8_S9_EEENSB_IJS8_SA_EEENS0_18inequality_wrapperIZN2at6native12_GLOBAL__N_124unique_dim_cuda_templateIN3c104HalfEEESt5tupleIJNSF_6TensorESM_SM_EERKSM_lbbbEUlllE0_EEPmJS9_EEE10hipError_tPvRmT3_T4_T5_T6_T7_T9_mT8_P12ihipStream_tbDpT10_ENKUlT_T0_E_clISt17integral_constantIbLb0EES1B_IbLb1EEEEDaS17_S18_EUlS17_E_NS1_11comp_targetILNS1_3genE0ELNS1_11target_archE4294967295ELNS1_3gpuE0ELNS1_3repE0EEENS1_30default_config_static_selectorELNS0_4arch9wavefront6targetE0EEEvT1_,comdat
.Lfunc_end1353:
	.size	_ZN7rocprim17ROCPRIM_400000_NS6detail17trampoline_kernelINS0_14default_configENS1_25partition_config_selectorILNS1_17partition_subalgoE9EllbEEZZNS1_14partition_implILS5_9ELb0ES3_jPlS8_PNS0_10empty_typeENS0_5tupleIJS8_S9_EEENSB_IJS8_SA_EEENS0_18inequality_wrapperIZN2at6native12_GLOBAL__N_124unique_dim_cuda_templateIN3c104HalfEEESt5tupleIJNSF_6TensorESM_SM_EERKSM_lbbbEUlllE0_EEPmJS9_EEE10hipError_tPvRmT3_T4_T5_T6_T7_T9_mT8_P12ihipStream_tbDpT10_ENKUlT_T0_E_clISt17integral_constantIbLb0EES1B_IbLb1EEEEDaS17_S18_EUlS17_E_NS1_11comp_targetILNS1_3genE0ELNS1_11target_archE4294967295ELNS1_3gpuE0ELNS1_3repE0EEENS1_30default_config_static_selectorELNS0_4arch9wavefront6targetE0EEEvT1_, .Lfunc_end1353-_ZN7rocprim17ROCPRIM_400000_NS6detail17trampoline_kernelINS0_14default_configENS1_25partition_config_selectorILNS1_17partition_subalgoE9EllbEEZZNS1_14partition_implILS5_9ELb0ES3_jPlS8_PNS0_10empty_typeENS0_5tupleIJS8_S9_EEENSB_IJS8_SA_EEENS0_18inequality_wrapperIZN2at6native12_GLOBAL__N_124unique_dim_cuda_templateIN3c104HalfEEESt5tupleIJNSF_6TensorESM_SM_EERKSM_lbbbEUlllE0_EEPmJS9_EEE10hipError_tPvRmT3_T4_T5_T6_T7_T9_mT8_P12ihipStream_tbDpT10_ENKUlT_T0_E_clISt17integral_constantIbLb0EES1B_IbLb1EEEEDaS17_S18_EUlS17_E_NS1_11comp_targetILNS1_3genE0ELNS1_11target_archE4294967295ELNS1_3gpuE0ELNS1_3repE0EEENS1_30default_config_static_selectorELNS0_4arch9wavefront6targetE0EEEvT1_
                                        ; -- End function
	.set _ZN7rocprim17ROCPRIM_400000_NS6detail17trampoline_kernelINS0_14default_configENS1_25partition_config_selectorILNS1_17partition_subalgoE9EllbEEZZNS1_14partition_implILS5_9ELb0ES3_jPlS8_PNS0_10empty_typeENS0_5tupleIJS8_S9_EEENSB_IJS8_SA_EEENS0_18inequality_wrapperIZN2at6native12_GLOBAL__N_124unique_dim_cuda_templateIN3c104HalfEEESt5tupleIJNSF_6TensorESM_SM_EERKSM_lbbbEUlllE0_EEPmJS9_EEE10hipError_tPvRmT3_T4_T5_T6_T7_T9_mT8_P12ihipStream_tbDpT10_ENKUlT_T0_E_clISt17integral_constantIbLb0EES1B_IbLb1EEEEDaS17_S18_EUlS17_E_NS1_11comp_targetILNS1_3genE0ELNS1_11target_archE4294967295ELNS1_3gpuE0ELNS1_3repE0EEENS1_30default_config_static_selectorELNS0_4arch9wavefront6targetE0EEEvT1_.num_vgpr, 55
	.set _ZN7rocprim17ROCPRIM_400000_NS6detail17trampoline_kernelINS0_14default_configENS1_25partition_config_selectorILNS1_17partition_subalgoE9EllbEEZZNS1_14partition_implILS5_9ELb0ES3_jPlS8_PNS0_10empty_typeENS0_5tupleIJS8_S9_EEENSB_IJS8_SA_EEENS0_18inequality_wrapperIZN2at6native12_GLOBAL__N_124unique_dim_cuda_templateIN3c104HalfEEESt5tupleIJNSF_6TensorESM_SM_EERKSM_lbbbEUlllE0_EEPmJS9_EEE10hipError_tPvRmT3_T4_T5_T6_T7_T9_mT8_P12ihipStream_tbDpT10_ENKUlT_T0_E_clISt17integral_constantIbLb0EES1B_IbLb1EEEEDaS17_S18_EUlS17_E_NS1_11comp_targetILNS1_3genE0ELNS1_11target_archE4294967295ELNS1_3gpuE0ELNS1_3repE0EEENS1_30default_config_static_selectorELNS0_4arch9wavefront6targetE0EEEvT1_.num_agpr, 0
	.set _ZN7rocprim17ROCPRIM_400000_NS6detail17trampoline_kernelINS0_14default_configENS1_25partition_config_selectorILNS1_17partition_subalgoE9EllbEEZZNS1_14partition_implILS5_9ELb0ES3_jPlS8_PNS0_10empty_typeENS0_5tupleIJS8_S9_EEENSB_IJS8_SA_EEENS0_18inequality_wrapperIZN2at6native12_GLOBAL__N_124unique_dim_cuda_templateIN3c104HalfEEESt5tupleIJNSF_6TensorESM_SM_EERKSM_lbbbEUlllE0_EEPmJS9_EEE10hipError_tPvRmT3_T4_T5_T6_T7_T9_mT8_P12ihipStream_tbDpT10_ENKUlT_T0_E_clISt17integral_constantIbLb0EES1B_IbLb1EEEEDaS17_S18_EUlS17_E_NS1_11comp_targetILNS1_3genE0ELNS1_11target_archE4294967295ELNS1_3gpuE0ELNS1_3repE0EEENS1_30default_config_static_selectorELNS0_4arch9wavefront6targetE0EEEvT1_.numbered_sgpr, 36
	.set _ZN7rocprim17ROCPRIM_400000_NS6detail17trampoline_kernelINS0_14default_configENS1_25partition_config_selectorILNS1_17partition_subalgoE9EllbEEZZNS1_14partition_implILS5_9ELb0ES3_jPlS8_PNS0_10empty_typeENS0_5tupleIJS8_S9_EEENSB_IJS8_SA_EEENS0_18inequality_wrapperIZN2at6native12_GLOBAL__N_124unique_dim_cuda_templateIN3c104HalfEEESt5tupleIJNSF_6TensorESM_SM_EERKSM_lbbbEUlllE0_EEPmJS9_EEE10hipError_tPvRmT3_T4_T5_T6_T7_T9_mT8_P12ihipStream_tbDpT10_ENKUlT_T0_E_clISt17integral_constantIbLb0EES1B_IbLb1EEEEDaS17_S18_EUlS17_E_NS1_11comp_targetILNS1_3genE0ELNS1_11target_archE4294967295ELNS1_3gpuE0ELNS1_3repE0EEENS1_30default_config_static_selectorELNS0_4arch9wavefront6targetE0EEEvT1_.num_named_barrier, 0
	.set _ZN7rocprim17ROCPRIM_400000_NS6detail17trampoline_kernelINS0_14default_configENS1_25partition_config_selectorILNS1_17partition_subalgoE9EllbEEZZNS1_14partition_implILS5_9ELb0ES3_jPlS8_PNS0_10empty_typeENS0_5tupleIJS8_S9_EEENSB_IJS8_SA_EEENS0_18inequality_wrapperIZN2at6native12_GLOBAL__N_124unique_dim_cuda_templateIN3c104HalfEEESt5tupleIJNSF_6TensorESM_SM_EERKSM_lbbbEUlllE0_EEPmJS9_EEE10hipError_tPvRmT3_T4_T5_T6_T7_T9_mT8_P12ihipStream_tbDpT10_ENKUlT_T0_E_clISt17integral_constantIbLb0EES1B_IbLb1EEEEDaS17_S18_EUlS17_E_NS1_11comp_targetILNS1_3genE0ELNS1_11target_archE4294967295ELNS1_3gpuE0ELNS1_3repE0EEENS1_30default_config_static_selectorELNS0_4arch9wavefront6targetE0EEEvT1_.private_seg_size, 0
	.set _ZN7rocprim17ROCPRIM_400000_NS6detail17trampoline_kernelINS0_14default_configENS1_25partition_config_selectorILNS1_17partition_subalgoE9EllbEEZZNS1_14partition_implILS5_9ELb0ES3_jPlS8_PNS0_10empty_typeENS0_5tupleIJS8_S9_EEENSB_IJS8_SA_EEENS0_18inequality_wrapperIZN2at6native12_GLOBAL__N_124unique_dim_cuda_templateIN3c104HalfEEESt5tupleIJNSF_6TensorESM_SM_EERKSM_lbbbEUlllE0_EEPmJS9_EEE10hipError_tPvRmT3_T4_T5_T6_T7_T9_mT8_P12ihipStream_tbDpT10_ENKUlT_T0_E_clISt17integral_constantIbLb0EES1B_IbLb1EEEEDaS17_S18_EUlS17_E_NS1_11comp_targetILNS1_3genE0ELNS1_11target_archE4294967295ELNS1_3gpuE0ELNS1_3repE0EEENS1_30default_config_static_selectorELNS0_4arch9wavefront6targetE0EEEvT1_.uses_vcc, 1
	.set _ZN7rocprim17ROCPRIM_400000_NS6detail17trampoline_kernelINS0_14default_configENS1_25partition_config_selectorILNS1_17partition_subalgoE9EllbEEZZNS1_14partition_implILS5_9ELb0ES3_jPlS8_PNS0_10empty_typeENS0_5tupleIJS8_S9_EEENSB_IJS8_SA_EEENS0_18inequality_wrapperIZN2at6native12_GLOBAL__N_124unique_dim_cuda_templateIN3c104HalfEEESt5tupleIJNSF_6TensorESM_SM_EERKSM_lbbbEUlllE0_EEPmJS9_EEE10hipError_tPvRmT3_T4_T5_T6_T7_T9_mT8_P12ihipStream_tbDpT10_ENKUlT_T0_E_clISt17integral_constantIbLb0EES1B_IbLb1EEEEDaS17_S18_EUlS17_E_NS1_11comp_targetILNS1_3genE0ELNS1_11target_archE4294967295ELNS1_3gpuE0ELNS1_3repE0EEENS1_30default_config_static_selectorELNS0_4arch9wavefront6targetE0EEEvT1_.uses_flat_scratch, 0
	.set _ZN7rocprim17ROCPRIM_400000_NS6detail17trampoline_kernelINS0_14default_configENS1_25partition_config_selectorILNS1_17partition_subalgoE9EllbEEZZNS1_14partition_implILS5_9ELb0ES3_jPlS8_PNS0_10empty_typeENS0_5tupleIJS8_S9_EEENSB_IJS8_SA_EEENS0_18inequality_wrapperIZN2at6native12_GLOBAL__N_124unique_dim_cuda_templateIN3c104HalfEEESt5tupleIJNSF_6TensorESM_SM_EERKSM_lbbbEUlllE0_EEPmJS9_EEE10hipError_tPvRmT3_T4_T5_T6_T7_T9_mT8_P12ihipStream_tbDpT10_ENKUlT_T0_E_clISt17integral_constantIbLb0EES1B_IbLb1EEEEDaS17_S18_EUlS17_E_NS1_11comp_targetILNS1_3genE0ELNS1_11target_archE4294967295ELNS1_3gpuE0ELNS1_3repE0EEENS1_30default_config_static_selectorELNS0_4arch9wavefront6targetE0EEEvT1_.has_dyn_sized_stack, 0
	.set _ZN7rocprim17ROCPRIM_400000_NS6detail17trampoline_kernelINS0_14default_configENS1_25partition_config_selectorILNS1_17partition_subalgoE9EllbEEZZNS1_14partition_implILS5_9ELb0ES3_jPlS8_PNS0_10empty_typeENS0_5tupleIJS8_S9_EEENSB_IJS8_SA_EEENS0_18inequality_wrapperIZN2at6native12_GLOBAL__N_124unique_dim_cuda_templateIN3c104HalfEEESt5tupleIJNSF_6TensorESM_SM_EERKSM_lbbbEUlllE0_EEPmJS9_EEE10hipError_tPvRmT3_T4_T5_T6_T7_T9_mT8_P12ihipStream_tbDpT10_ENKUlT_T0_E_clISt17integral_constantIbLb0EES1B_IbLb1EEEEDaS17_S18_EUlS17_E_NS1_11comp_targetILNS1_3genE0ELNS1_11target_archE4294967295ELNS1_3gpuE0ELNS1_3repE0EEENS1_30default_config_static_selectorELNS0_4arch9wavefront6targetE0EEEvT1_.has_recursion, 0
	.set _ZN7rocprim17ROCPRIM_400000_NS6detail17trampoline_kernelINS0_14default_configENS1_25partition_config_selectorILNS1_17partition_subalgoE9EllbEEZZNS1_14partition_implILS5_9ELb0ES3_jPlS8_PNS0_10empty_typeENS0_5tupleIJS8_S9_EEENSB_IJS8_SA_EEENS0_18inequality_wrapperIZN2at6native12_GLOBAL__N_124unique_dim_cuda_templateIN3c104HalfEEESt5tupleIJNSF_6TensorESM_SM_EERKSM_lbbbEUlllE0_EEPmJS9_EEE10hipError_tPvRmT3_T4_T5_T6_T7_T9_mT8_P12ihipStream_tbDpT10_ENKUlT_T0_E_clISt17integral_constantIbLb0EES1B_IbLb1EEEEDaS17_S18_EUlS17_E_NS1_11comp_targetILNS1_3genE0ELNS1_11target_archE4294967295ELNS1_3gpuE0ELNS1_3repE0EEENS1_30default_config_static_selectorELNS0_4arch9wavefront6targetE0EEEvT1_.has_indirect_call, 0
	.section	.AMDGPU.csdata,"",@progbits
; Kernel info:
; codeLenInByte = 9540
; TotalNumSgprs: 38
; NumVgprs: 55
; ScratchSize: 0
; MemoryBound: 0
; FloatMode: 240
; IeeeMode: 1
; LDSByteSize: 5128 bytes/workgroup (compile time only)
; SGPRBlocks: 0
; VGPRBlocks: 3
; NumSGPRsForWavesPerEU: 38
; NumVGPRsForWavesPerEU: 55
; NamedBarCnt: 0
; Occupancy: 16
; WaveLimiterHint : 1
; COMPUTE_PGM_RSRC2:SCRATCH_EN: 0
; COMPUTE_PGM_RSRC2:USER_SGPR: 2
; COMPUTE_PGM_RSRC2:TRAP_HANDLER: 0
; COMPUTE_PGM_RSRC2:TGID_X_EN: 1
; COMPUTE_PGM_RSRC2:TGID_Y_EN: 0
; COMPUTE_PGM_RSRC2:TGID_Z_EN: 0
; COMPUTE_PGM_RSRC2:TIDIG_COMP_CNT: 0
	.section	.text._ZN7rocprim17ROCPRIM_400000_NS6detail17trampoline_kernelINS0_14default_configENS1_25partition_config_selectorILNS1_17partition_subalgoE9EllbEEZZNS1_14partition_implILS5_9ELb0ES3_jPlS8_PNS0_10empty_typeENS0_5tupleIJS8_S9_EEENSB_IJS8_SA_EEENS0_18inequality_wrapperIZN2at6native12_GLOBAL__N_124unique_dim_cuda_templateIN3c104HalfEEESt5tupleIJNSF_6TensorESM_SM_EERKSM_lbbbEUlllE0_EEPmJS9_EEE10hipError_tPvRmT3_T4_T5_T6_T7_T9_mT8_P12ihipStream_tbDpT10_ENKUlT_T0_E_clISt17integral_constantIbLb0EES1B_IbLb1EEEEDaS17_S18_EUlS17_E_NS1_11comp_targetILNS1_3genE5ELNS1_11target_archE942ELNS1_3gpuE9ELNS1_3repE0EEENS1_30default_config_static_selectorELNS0_4arch9wavefront6targetE0EEEvT1_,"axG",@progbits,_ZN7rocprim17ROCPRIM_400000_NS6detail17trampoline_kernelINS0_14default_configENS1_25partition_config_selectorILNS1_17partition_subalgoE9EllbEEZZNS1_14partition_implILS5_9ELb0ES3_jPlS8_PNS0_10empty_typeENS0_5tupleIJS8_S9_EEENSB_IJS8_SA_EEENS0_18inequality_wrapperIZN2at6native12_GLOBAL__N_124unique_dim_cuda_templateIN3c104HalfEEESt5tupleIJNSF_6TensorESM_SM_EERKSM_lbbbEUlllE0_EEPmJS9_EEE10hipError_tPvRmT3_T4_T5_T6_T7_T9_mT8_P12ihipStream_tbDpT10_ENKUlT_T0_E_clISt17integral_constantIbLb0EES1B_IbLb1EEEEDaS17_S18_EUlS17_E_NS1_11comp_targetILNS1_3genE5ELNS1_11target_archE942ELNS1_3gpuE9ELNS1_3repE0EEENS1_30default_config_static_selectorELNS0_4arch9wavefront6targetE0EEEvT1_,comdat
	.globl	_ZN7rocprim17ROCPRIM_400000_NS6detail17trampoline_kernelINS0_14default_configENS1_25partition_config_selectorILNS1_17partition_subalgoE9EllbEEZZNS1_14partition_implILS5_9ELb0ES3_jPlS8_PNS0_10empty_typeENS0_5tupleIJS8_S9_EEENSB_IJS8_SA_EEENS0_18inequality_wrapperIZN2at6native12_GLOBAL__N_124unique_dim_cuda_templateIN3c104HalfEEESt5tupleIJNSF_6TensorESM_SM_EERKSM_lbbbEUlllE0_EEPmJS9_EEE10hipError_tPvRmT3_T4_T5_T6_T7_T9_mT8_P12ihipStream_tbDpT10_ENKUlT_T0_E_clISt17integral_constantIbLb0EES1B_IbLb1EEEEDaS17_S18_EUlS17_E_NS1_11comp_targetILNS1_3genE5ELNS1_11target_archE942ELNS1_3gpuE9ELNS1_3repE0EEENS1_30default_config_static_selectorELNS0_4arch9wavefront6targetE0EEEvT1_ ; -- Begin function _ZN7rocprim17ROCPRIM_400000_NS6detail17trampoline_kernelINS0_14default_configENS1_25partition_config_selectorILNS1_17partition_subalgoE9EllbEEZZNS1_14partition_implILS5_9ELb0ES3_jPlS8_PNS0_10empty_typeENS0_5tupleIJS8_S9_EEENSB_IJS8_SA_EEENS0_18inequality_wrapperIZN2at6native12_GLOBAL__N_124unique_dim_cuda_templateIN3c104HalfEEESt5tupleIJNSF_6TensorESM_SM_EERKSM_lbbbEUlllE0_EEPmJS9_EEE10hipError_tPvRmT3_T4_T5_T6_T7_T9_mT8_P12ihipStream_tbDpT10_ENKUlT_T0_E_clISt17integral_constantIbLb0EES1B_IbLb1EEEEDaS17_S18_EUlS17_E_NS1_11comp_targetILNS1_3genE5ELNS1_11target_archE942ELNS1_3gpuE9ELNS1_3repE0EEENS1_30default_config_static_selectorELNS0_4arch9wavefront6targetE0EEEvT1_
	.p2align	8
	.type	_ZN7rocprim17ROCPRIM_400000_NS6detail17trampoline_kernelINS0_14default_configENS1_25partition_config_selectorILNS1_17partition_subalgoE9EllbEEZZNS1_14partition_implILS5_9ELb0ES3_jPlS8_PNS0_10empty_typeENS0_5tupleIJS8_S9_EEENSB_IJS8_SA_EEENS0_18inequality_wrapperIZN2at6native12_GLOBAL__N_124unique_dim_cuda_templateIN3c104HalfEEESt5tupleIJNSF_6TensorESM_SM_EERKSM_lbbbEUlllE0_EEPmJS9_EEE10hipError_tPvRmT3_T4_T5_T6_T7_T9_mT8_P12ihipStream_tbDpT10_ENKUlT_T0_E_clISt17integral_constantIbLb0EES1B_IbLb1EEEEDaS17_S18_EUlS17_E_NS1_11comp_targetILNS1_3genE5ELNS1_11target_archE942ELNS1_3gpuE9ELNS1_3repE0EEENS1_30default_config_static_selectorELNS0_4arch9wavefront6targetE0EEEvT1_,@function
_ZN7rocprim17ROCPRIM_400000_NS6detail17trampoline_kernelINS0_14default_configENS1_25partition_config_selectorILNS1_17partition_subalgoE9EllbEEZZNS1_14partition_implILS5_9ELb0ES3_jPlS8_PNS0_10empty_typeENS0_5tupleIJS8_S9_EEENSB_IJS8_SA_EEENS0_18inequality_wrapperIZN2at6native12_GLOBAL__N_124unique_dim_cuda_templateIN3c104HalfEEESt5tupleIJNSF_6TensorESM_SM_EERKSM_lbbbEUlllE0_EEPmJS9_EEE10hipError_tPvRmT3_T4_T5_T6_T7_T9_mT8_P12ihipStream_tbDpT10_ENKUlT_T0_E_clISt17integral_constantIbLb0EES1B_IbLb1EEEEDaS17_S18_EUlS17_E_NS1_11comp_targetILNS1_3genE5ELNS1_11target_archE942ELNS1_3gpuE9ELNS1_3repE0EEENS1_30default_config_static_selectorELNS0_4arch9wavefront6targetE0EEEvT1_: ; @_ZN7rocprim17ROCPRIM_400000_NS6detail17trampoline_kernelINS0_14default_configENS1_25partition_config_selectorILNS1_17partition_subalgoE9EllbEEZZNS1_14partition_implILS5_9ELb0ES3_jPlS8_PNS0_10empty_typeENS0_5tupleIJS8_S9_EEENSB_IJS8_SA_EEENS0_18inequality_wrapperIZN2at6native12_GLOBAL__N_124unique_dim_cuda_templateIN3c104HalfEEESt5tupleIJNSF_6TensorESM_SM_EERKSM_lbbbEUlllE0_EEPmJS9_EEE10hipError_tPvRmT3_T4_T5_T6_T7_T9_mT8_P12ihipStream_tbDpT10_ENKUlT_T0_E_clISt17integral_constantIbLb0EES1B_IbLb1EEEEDaS17_S18_EUlS17_E_NS1_11comp_targetILNS1_3genE5ELNS1_11target_archE942ELNS1_3gpuE9ELNS1_3repE0EEENS1_30default_config_static_selectorELNS0_4arch9wavefront6targetE0EEEvT1_
; %bb.0:
	.section	.rodata,"a",@progbits
	.p2align	6, 0x0
	.amdhsa_kernel _ZN7rocprim17ROCPRIM_400000_NS6detail17trampoline_kernelINS0_14default_configENS1_25partition_config_selectorILNS1_17partition_subalgoE9EllbEEZZNS1_14partition_implILS5_9ELb0ES3_jPlS8_PNS0_10empty_typeENS0_5tupleIJS8_S9_EEENSB_IJS8_SA_EEENS0_18inequality_wrapperIZN2at6native12_GLOBAL__N_124unique_dim_cuda_templateIN3c104HalfEEESt5tupleIJNSF_6TensorESM_SM_EERKSM_lbbbEUlllE0_EEPmJS9_EEE10hipError_tPvRmT3_T4_T5_T6_T7_T9_mT8_P12ihipStream_tbDpT10_ENKUlT_T0_E_clISt17integral_constantIbLb0EES1B_IbLb1EEEEDaS17_S18_EUlS17_E_NS1_11comp_targetILNS1_3genE5ELNS1_11target_archE942ELNS1_3gpuE9ELNS1_3repE0EEENS1_30default_config_static_selectorELNS0_4arch9wavefront6targetE0EEEvT1_
		.amdhsa_group_segment_fixed_size 0
		.amdhsa_private_segment_fixed_size 0
		.amdhsa_kernarg_size 136
		.amdhsa_user_sgpr_count 2
		.amdhsa_user_sgpr_dispatch_ptr 0
		.amdhsa_user_sgpr_queue_ptr 0
		.amdhsa_user_sgpr_kernarg_segment_ptr 1
		.amdhsa_user_sgpr_dispatch_id 0
		.amdhsa_user_sgpr_kernarg_preload_length 0
		.amdhsa_user_sgpr_kernarg_preload_offset 0
		.amdhsa_user_sgpr_private_segment_size 0
		.amdhsa_wavefront_size32 1
		.amdhsa_uses_dynamic_stack 0
		.amdhsa_enable_private_segment 0
		.amdhsa_system_sgpr_workgroup_id_x 1
		.amdhsa_system_sgpr_workgroup_id_y 0
		.amdhsa_system_sgpr_workgroup_id_z 0
		.amdhsa_system_sgpr_workgroup_info 0
		.amdhsa_system_vgpr_workitem_id 0
		.amdhsa_next_free_vgpr 1
		.amdhsa_next_free_sgpr 1
		.amdhsa_named_barrier_count 0
		.amdhsa_reserve_vcc 0
		.amdhsa_float_round_mode_32 0
		.amdhsa_float_round_mode_16_64 0
		.amdhsa_float_denorm_mode_32 3
		.amdhsa_float_denorm_mode_16_64 3
		.amdhsa_fp16_overflow 0
		.amdhsa_memory_ordered 1
		.amdhsa_forward_progress 1
		.amdhsa_inst_pref_size 0
		.amdhsa_round_robin_scheduling 0
		.amdhsa_exception_fp_ieee_invalid_op 0
		.amdhsa_exception_fp_denorm_src 0
		.amdhsa_exception_fp_ieee_div_zero 0
		.amdhsa_exception_fp_ieee_overflow 0
		.amdhsa_exception_fp_ieee_underflow 0
		.amdhsa_exception_fp_ieee_inexact 0
		.amdhsa_exception_int_div_zero 0
	.end_amdhsa_kernel
	.section	.text._ZN7rocprim17ROCPRIM_400000_NS6detail17trampoline_kernelINS0_14default_configENS1_25partition_config_selectorILNS1_17partition_subalgoE9EllbEEZZNS1_14partition_implILS5_9ELb0ES3_jPlS8_PNS0_10empty_typeENS0_5tupleIJS8_S9_EEENSB_IJS8_SA_EEENS0_18inequality_wrapperIZN2at6native12_GLOBAL__N_124unique_dim_cuda_templateIN3c104HalfEEESt5tupleIJNSF_6TensorESM_SM_EERKSM_lbbbEUlllE0_EEPmJS9_EEE10hipError_tPvRmT3_T4_T5_T6_T7_T9_mT8_P12ihipStream_tbDpT10_ENKUlT_T0_E_clISt17integral_constantIbLb0EES1B_IbLb1EEEEDaS17_S18_EUlS17_E_NS1_11comp_targetILNS1_3genE5ELNS1_11target_archE942ELNS1_3gpuE9ELNS1_3repE0EEENS1_30default_config_static_selectorELNS0_4arch9wavefront6targetE0EEEvT1_,"axG",@progbits,_ZN7rocprim17ROCPRIM_400000_NS6detail17trampoline_kernelINS0_14default_configENS1_25partition_config_selectorILNS1_17partition_subalgoE9EllbEEZZNS1_14partition_implILS5_9ELb0ES3_jPlS8_PNS0_10empty_typeENS0_5tupleIJS8_S9_EEENSB_IJS8_SA_EEENS0_18inequality_wrapperIZN2at6native12_GLOBAL__N_124unique_dim_cuda_templateIN3c104HalfEEESt5tupleIJNSF_6TensorESM_SM_EERKSM_lbbbEUlllE0_EEPmJS9_EEE10hipError_tPvRmT3_T4_T5_T6_T7_T9_mT8_P12ihipStream_tbDpT10_ENKUlT_T0_E_clISt17integral_constantIbLb0EES1B_IbLb1EEEEDaS17_S18_EUlS17_E_NS1_11comp_targetILNS1_3genE5ELNS1_11target_archE942ELNS1_3gpuE9ELNS1_3repE0EEENS1_30default_config_static_selectorELNS0_4arch9wavefront6targetE0EEEvT1_,comdat
.Lfunc_end1354:
	.size	_ZN7rocprim17ROCPRIM_400000_NS6detail17trampoline_kernelINS0_14default_configENS1_25partition_config_selectorILNS1_17partition_subalgoE9EllbEEZZNS1_14partition_implILS5_9ELb0ES3_jPlS8_PNS0_10empty_typeENS0_5tupleIJS8_S9_EEENSB_IJS8_SA_EEENS0_18inequality_wrapperIZN2at6native12_GLOBAL__N_124unique_dim_cuda_templateIN3c104HalfEEESt5tupleIJNSF_6TensorESM_SM_EERKSM_lbbbEUlllE0_EEPmJS9_EEE10hipError_tPvRmT3_T4_T5_T6_T7_T9_mT8_P12ihipStream_tbDpT10_ENKUlT_T0_E_clISt17integral_constantIbLb0EES1B_IbLb1EEEEDaS17_S18_EUlS17_E_NS1_11comp_targetILNS1_3genE5ELNS1_11target_archE942ELNS1_3gpuE9ELNS1_3repE0EEENS1_30default_config_static_selectorELNS0_4arch9wavefront6targetE0EEEvT1_, .Lfunc_end1354-_ZN7rocprim17ROCPRIM_400000_NS6detail17trampoline_kernelINS0_14default_configENS1_25partition_config_selectorILNS1_17partition_subalgoE9EllbEEZZNS1_14partition_implILS5_9ELb0ES3_jPlS8_PNS0_10empty_typeENS0_5tupleIJS8_S9_EEENSB_IJS8_SA_EEENS0_18inequality_wrapperIZN2at6native12_GLOBAL__N_124unique_dim_cuda_templateIN3c104HalfEEESt5tupleIJNSF_6TensorESM_SM_EERKSM_lbbbEUlllE0_EEPmJS9_EEE10hipError_tPvRmT3_T4_T5_T6_T7_T9_mT8_P12ihipStream_tbDpT10_ENKUlT_T0_E_clISt17integral_constantIbLb0EES1B_IbLb1EEEEDaS17_S18_EUlS17_E_NS1_11comp_targetILNS1_3genE5ELNS1_11target_archE942ELNS1_3gpuE9ELNS1_3repE0EEENS1_30default_config_static_selectorELNS0_4arch9wavefront6targetE0EEEvT1_
                                        ; -- End function
	.set _ZN7rocprim17ROCPRIM_400000_NS6detail17trampoline_kernelINS0_14default_configENS1_25partition_config_selectorILNS1_17partition_subalgoE9EllbEEZZNS1_14partition_implILS5_9ELb0ES3_jPlS8_PNS0_10empty_typeENS0_5tupleIJS8_S9_EEENSB_IJS8_SA_EEENS0_18inequality_wrapperIZN2at6native12_GLOBAL__N_124unique_dim_cuda_templateIN3c104HalfEEESt5tupleIJNSF_6TensorESM_SM_EERKSM_lbbbEUlllE0_EEPmJS9_EEE10hipError_tPvRmT3_T4_T5_T6_T7_T9_mT8_P12ihipStream_tbDpT10_ENKUlT_T0_E_clISt17integral_constantIbLb0EES1B_IbLb1EEEEDaS17_S18_EUlS17_E_NS1_11comp_targetILNS1_3genE5ELNS1_11target_archE942ELNS1_3gpuE9ELNS1_3repE0EEENS1_30default_config_static_selectorELNS0_4arch9wavefront6targetE0EEEvT1_.num_vgpr, 0
	.set _ZN7rocprim17ROCPRIM_400000_NS6detail17trampoline_kernelINS0_14default_configENS1_25partition_config_selectorILNS1_17partition_subalgoE9EllbEEZZNS1_14partition_implILS5_9ELb0ES3_jPlS8_PNS0_10empty_typeENS0_5tupleIJS8_S9_EEENSB_IJS8_SA_EEENS0_18inequality_wrapperIZN2at6native12_GLOBAL__N_124unique_dim_cuda_templateIN3c104HalfEEESt5tupleIJNSF_6TensorESM_SM_EERKSM_lbbbEUlllE0_EEPmJS9_EEE10hipError_tPvRmT3_T4_T5_T6_T7_T9_mT8_P12ihipStream_tbDpT10_ENKUlT_T0_E_clISt17integral_constantIbLb0EES1B_IbLb1EEEEDaS17_S18_EUlS17_E_NS1_11comp_targetILNS1_3genE5ELNS1_11target_archE942ELNS1_3gpuE9ELNS1_3repE0EEENS1_30default_config_static_selectorELNS0_4arch9wavefront6targetE0EEEvT1_.num_agpr, 0
	.set _ZN7rocprim17ROCPRIM_400000_NS6detail17trampoline_kernelINS0_14default_configENS1_25partition_config_selectorILNS1_17partition_subalgoE9EllbEEZZNS1_14partition_implILS5_9ELb0ES3_jPlS8_PNS0_10empty_typeENS0_5tupleIJS8_S9_EEENSB_IJS8_SA_EEENS0_18inequality_wrapperIZN2at6native12_GLOBAL__N_124unique_dim_cuda_templateIN3c104HalfEEESt5tupleIJNSF_6TensorESM_SM_EERKSM_lbbbEUlllE0_EEPmJS9_EEE10hipError_tPvRmT3_T4_T5_T6_T7_T9_mT8_P12ihipStream_tbDpT10_ENKUlT_T0_E_clISt17integral_constantIbLb0EES1B_IbLb1EEEEDaS17_S18_EUlS17_E_NS1_11comp_targetILNS1_3genE5ELNS1_11target_archE942ELNS1_3gpuE9ELNS1_3repE0EEENS1_30default_config_static_selectorELNS0_4arch9wavefront6targetE0EEEvT1_.numbered_sgpr, 0
	.set _ZN7rocprim17ROCPRIM_400000_NS6detail17trampoline_kernelINS0_14default_configENS1_25partition_config_selectorILNS1_17partition_subalgoE9EllbEEZZNS1_14partition_implILS5_9ELb0ES3_jPlS8_PNS0_10empty_typeENS0_5tupleIJS8_S9_EEENSB_IJS8_SA_EEENS0_18inequality_wrapperIZN2at6native12_GLOBAL__N_124unique_dim_cuda_templateIN3c104HalfEEESt5tupleIJNSF_6TensorESM_SM_EERKSM_lbbbEUlllE0_EEPmJS9_EEE10hipError_tPvRmT3_T4_T5_T6_T7_T9_mT8_P12ihipStream_tbDpT10_ENKUlT_T0_E_clISt17integral_constantIbLb0EES1B_IbLb1EEEEDaS17_S18_EUlS17_E_NS1_11comp_targetILNS1_3genE5ELNS1_11target_archE942ELNS1_3gpuE9ELNS1_3repE0EEENS1_30default_config_static_selectorELNS0_4arch9wavefront6targetE0EEEvT1_.num_named_barrier, 0
	.set _ZN7rocprim17ROCPRIM_400000_NS6detail17trampoline_kernelINS0_14default_configENS1_25partition_config_selectorILNS1_17partition_subalgoE9EllbEEZZNS1_14partition_implILS5_9ELb0ES3_jPlS8_PNS0_10empty_typeENS0_5tupleIJS8_S9_EEENSB_IJS8_SA_EEENS0_18inequality_wrapperIZN2at6native12_GLOBAL__N_124unique_dim_cuda_templateIN3c104HalfEEESt5tupleIJNSF_6TensorESM_SM_EERKSM_lbbbEUlllE0_EEPmJS9_EEE10hipError_tPvRmT3_T4_T5_T6_T7_T9_mT8_P12ihipStream_tbDpT10_ENKUlT_T0_E_clISt17integral_constantIbLb0EES1B_IbLb1EEEEDaS17_S18_EUlS17_E_NS1_11comp_targetILNS1_3genE5ELNS1_11target_archE942ELNS1_3gpuE9ELNS1_3repE0EEENS1_30default_config_static_selectorELNS0_4arch9wavefront6targetE0EEEvT1_.private_seg_size, 0
	.set _ZN7rocprim17ROCPRIM_400000_NS6detail17trampoline_kernelINS0_14default_configENS1_25partition_config_selectorILNS1_17partition_subalgoE9EllbEEZZNS1_14partition_implILS5_9ELb0ES3_jPlS8_PNS0_10empty_typeENS0_5tupleIJS8_S9_EEENSB_IJS8_SA_EEENS0_18inequality_wrapperIZN2at6native12_GLOBAL__N_124unique_dim_cuda_templateIN3c104HalfEEESt5tupleIJNSF_6TensorESM_SM_EERKSM_lbbbEUlllE0_EEPmJS9_EEE10hipError_tPvRmT3_T4_T5_T6_T7_T9_mT8_P12ihipStream_tbDpT10_ENKUlT_T0_E_clISt17integral_constantIbLb0EES1B_IbLb1EEEEDaS17_S18_EUlS17_E_NS1_11comp_targetILNS1_3genE5ELNS1_11target_archE942ELNS1_3gpuE9ELNS1_3repE0EEENS1_30default_config_static_selectorELNS0_4arch9wavefront6targetE0EEEvT1_.uses_vcc, 0
	.set _ZN7rocprim17ROCPRIM_400000_NS6detail17trampoline_kernelINS0_14default_configENS1_25partition_config_selectorILNS1_17partition_subalgoE9EllbEEZZNS1_14partition_implILS5_9ELb0ES3_jPlS8_PNS0_10empty_typeENS0_5tupleIJS8_S9_EEENSB_IJS8_SA_EEENS0_18inequality_wrapperIZN2at6native12_GLOBAL__N_124unique_dim_cuda_templateIN3c104HalfEEESt5tupleIJNSF_6TensorESM_SM_EERKSM_lbbbEUlllE0_EEPmJS9_EEE10hipError_tPvRmT3_T4_T5_T6_T7_T9_mT8_P12ihipStream_tbDpT10_ENKUlT_T0_E_clISt17integral_constantIbLb0EES1B_IbLb1EEEEDaS17_S18_EUlS17_E_NS1_11comp_targetILNS1_3genE5ELNS1_11target_archE942ELNS1_3gpuE9ELNS1_3repE0EEENS1_30default_config_static_selectorELNS0_4arch9wavefront6targetE0EEEvT1_.uses_flat_scratch, 0
	.set _ZN7rocprim17ROCPRIM_400000_NS6detail17trampoline_kernelINS0_14default_configENS1_25partition_config_selectorILNS1_17partition_subalgoE9EllbEEZZNS1_14partition_implILS5_9ELb0ES3_jPlS8_PNS0_10empty_typeENS0_5tupleIJS8_S9_EEENSB_IJS8_SA_EEENS0_18inequality_wrapperIZN2at6native12_GLOBAL__N_124unique_dim_cuda_templateIN3c104HalfEEESt5tupleIJNSF_6TensorESM_SM_EERKSM_lbbbEUlllE0_EEPmJS9_EEE10hipError_tPvRmT3_T4_T5_T6_T7_T9_mT8_P12ihipStream_tbDpT10_ENKUlT_T0_E_clISt17integral_constantIbLb0EES1B_IbLb1EEEEDaS17_S18_EUlS17_E_NS1_11comp_targetILNS1_3genE5ELNS1_11target_archE942ELNS1_3gpuE9ELNS1_3repE0EEENS1_30default_config_static_selectorELNS0_4arch9wavefront6targetE0EEEvT1_.has_dyn_sized_stack, 0
	.set _ZN7rocprim17ROCPRIM_400000_NS6detail17trampoline_kernelINS0_14default_configENS1_25partition_config_selectorILNS1_17partition_subalgoE9EllbEEZZNS1_14partition_implILS5_9ELb0ES3_jPlS8_PNS0_10empty_typeENS0_5tupleIJS8_S9_EEENSB_IJS8_SA_EEENS0_18inequality_wrapperIZN2at6native12_GLOBAL__N_124unique_dim_cuda_templateIN3c104HalfEEESt5tupleIJNSF_6TensorESM_SM_EERKSM_lbbbEUlllE0_EEPmJS9_EEE10hipError_tPvRmT3_T4_T5_T6_T7_T9_mT8_P12ihipStream_tbDpT10_ENKUlT_T0_E_clISt17integral_constantIbLb0EES1B_IbLb1EEEEDaS17_S18_EUlS17_E_NS1_11comp_targetILNS1_3genE5ELNS1_11target_archE942ELNS1_3gpuE9ELNS1_3repE0EEENS1_30default_config_static_selectorELNS0_4arch9wavefront6targetE0EEEvT1_.has_recursion, 0
	.set _ZN7rocprim17ROCPRIM_400000_NS6detail17trampoline_kernelINS0_14default_configENS1_25partition_config_selectorILNS1_17partition_subalgoE9EllbEEZZNS1_14partition_implILS5_9ELb0ES3_jPlS8_PNS0_10empty_typeENS0_5tupleIJS8_S9_EEENSB_IJS8_SA_EEENS0_18inequality_wrapperIZN2at6native12_GLOBAL__N_124unique_dim_cuda_templateIN3c104HalfEEESt5tupleIJNSF_6TensorESM_SM_EERKSM_lbbbEUlllE0_EEPmJS9_EEE10hipError_tPvRmT3_T4_T5_T6_T7_T9_mT8_P12ihipStream_tbDpT10_ENKUlT_T0_E_clISt17integral_constantIbLb0EES1B_IbLb1EEEEDaS17_S18_EUlS17_E_NS1_11comp_targetILNS1_3genE5ELNS1_11target_archE942ELNS1_3gpuE9ELNS1_3repE0EEENS1_30default_config_static_selectorELNS0_4arch9wavefront6targetE0EEEvT1_.has_indirect_call, 0
	.section	.AMDGPU.csdata,"",@progbits
; Kernel info:
; codeLenInByte = 0
; TotalNumSgprs: 0
; NumVgprs: 0
; ScratchSize: 0
; MemoryBound: 0
; FloatMode: 240
; IeeeMode: 1
; LDSByteSize: 0 bytes/workgroup (compile time only)
; SGPRBlocks: 0
; VGPRBlocks: 0
; NumSGPRsForWavesPerEU: 1
; NumVGPRsForWavesPerEU: 1
; NamedBarCnt: 0
; Occupancy: 16
; WaveLimiterHint : 0
; COMPUTE_PGM_RSRC2:SCRATCH_EN: 0
; COMPUTE_PGM_RSRC2:USER_SGPR: 2
; COMPUTE_PGM_RSRC2:TRAP_HANDLER: 0
; COMPUTE_PGM_RSRC2:TGID_X_EN: 1
; COMPUTE_PGM_RSRC2:TGID_Y_EN: 0
; COMPUTE_PGM_RSRC2:TGID_Z_EN: 0
; COMPUTE_PGM_RSRC2:TIDIG_COMP_CNT: 0
	.section	.text._ZN7rocprim17ROCPRIM_400000_NS6detail17trampoline_kernelINS0_14default_configENS1_25partition_config_selectorILNS1_17partition_subalgoE9EllbEEZZNS1_14partition_implILS5_9ELb0ES3_jPlS8_PNS0_10empty_typeENS0_5tupleIJS8_S9_EEENSB_IJS8_SA_EEENS0_18inequality_wrapperIZN2at6native12_GLOBAL__N_124unique_dim_cuda_templateIN3c104HalfEEESt5tupleIJNSF_6TensorESM_SM_EERKSM_lbbbEUlllE0_EEPmJS9_EEE10hipError_tPvRmT3_T4_T5_T6_T7_T9_mT8_P12ihipStream_tbDpT10_ENKUlT_T0_E_clISt17integral_constantIbLb0EES1B_IbLb1EEEEDaS17_S18_EUlS17_E_NS1_11comp_targetILNS1_3genE4ELNS1_11target_archE910ELNS1_3gpuE8ELNS1_3repE0EEENS1_30default_config_static_selectorELNS0_4arch9wavefront6targetE0EEEvT1_,"axG",@progbits,_ZN7rocprim17ROCPRIM_400000_NS6detail17trampoline_kernelINS0_14default_configENS1_25partition_config_selectorILNS1_17partition_subalgoE9EllbEEZZNS1_14partition_implILS5_9ELb0ES3_jPlS8_PNS0_10empty_typeENS0_5tupleIJS8_S9_EEENSB_IJS8_SA_EEENS0_18inequality_wrapperIZN2at6native12_GLOBAL__N_124unique_dim_cuda_templateIN3c104HalfEEESt5tupleIJNSF_6TensorESM_SM_EERKSM_lbbbEUlllE0_EEPmJS9_EEE10hipError_tPvRmT3_T4_T5_T6_T7_T9_mT8_P12ihipStream_tbDpT10_ENKUlT_T0_E_clISt17integral_constantIbLb0EES1B_IbLb1EEEEDaS17_S18_EUlS17_E_NS1_11comp_targetILNS1_3genE4ELNS1_11target_archE910ELNS1_3gpuE8ELNS1_3repE0EEENS1_30default_config_static_selectorELNS0_4arch9wavefront6targetE0EEEvT1_,comdat
	.globl	_ZN7rocprim17ROCPRIM_400000_NS6detail17trampoline_kernelINS0_14default_configENS1_25partition_config_selectorILNS1_17partition_subalgoE9EllbEEZZNS1_14partition_implILS5_9ELb0ES3_jPlS8_PNS0_10empty_typeENS0_5tupleIJS8_S9_EEENSB_IJS8_SA_EEENS0_18inequality_wrapperIZN2at6native12_GLOBAL__N_124unique_dim_cuda_templateIN3c104HalfEEESt5tupleIJNSF_6TensorESM_SM_EERKSM_lbbbEUlllE0_EEPmJS9_EEE10hipError_tPvRmT3_T4_T5_T6_T7_T9_mT8_P12ihipStream_tbDpT10_ENKUlT_T0_E_clISt17integral_constantIbLb0EES1B_IbLb1EEEEDaS17_S18_EUlS17_E_NS1_11comp_targetILNS1_3genE4ELNS1_11target_archE910ELNS1_3gpuE8ELNS1_3repE0EEENS1_30default_config_static_selectorELNS0_4arch9wavefront6targetE0EEEvT1_ ; -- Begin function _ZN7rocprim17ROCPRIM_400000_NS6detail17trampoline_kernelINS0_14default_configENS1_25partition_config_selectorILNS1_17partition_subalgoE9EllbEEZZNS1_14partition_implILS5_9ELb0ES3_jPlS8_PNS0_10empty_typeENS0_5tupleIJS8_S9_EEENSB_IJS8_SA_EEENS0_18inequality_wrapperIZN2at6native12_GLOBAL__N_124unique_dim_cuda_templateIN3c104HalfEEESt5tupleIJNSF_6TensorESM_SM_EERKSM_lbbbEUlllE0_EEPmJS9_EEE10hipError_tPvRmT3_T4_T5_T6_T7_T9_mT8_P12ihipStream_tbDpT10_ENKUlT_T0_E_clISt17integral_constantIbLb0EES1B_IbLb1EEEEDaS17_S18_EUlS17_E_NS1_11comp_targetILNS1_3genE4ELNS1_11target_archE910ELNS1_3gpuE8ELNS1_3repE0EEENS1_30default_config_static_selectorELNS0_4arch9wavefront6targetE0EEEvT1_
	.p2align	8
	.type	_ZN7rocprim17ROCPRIM_400000_NS6detail17trampoline_kernelINS0_14default_configENS1_25partition_config_selectorILNS1_17partition_subalgoE9EllbEEZZNS1_14partition_implILS5_9ELb0ES3_jPlS8_PNS0_10empty_typeENS0_5tupleIJS8_S9_EEENSB_IJS8_SA_EEENS0_18inequality_wrapperIZN2at6native12_GLOBAL__N_124unique_dim_cuda_templateIN3c104HalfEEESt5tupleIJNSF_6TensorESM_SM_EERKSM_lbbbEUlllE0_EEPmJS9_EEE10hipError_tPvRmT3_T4_T5_T6_T7_T9_mT8_P12ihipStream_tbDpT10_ENKUlT_T0_E_clISt17integral_constantIbLb0EES1B_IbLb1EEEEDaS17_S18_EUlS17_E_NS1_11comp_targetILNS1_3genE4ELNS1_11target_archE910ELNS1_3gpuE8ELNS1_3repE0EEENS1_30default_config_static_selectorELNS0_4arch9wavefront6targetE0EEEvT1_,@function
_ZN7rocprim17ROCPRIM_400000_NS6detail17trampoline_kernelINS0_14default_configENS1_25partition_config_selectorILNS1_17partition_subalgoE9EllbEEZZNS1_14partition_implILS5_9ELb0ES3_jPlS8_PNS0_10empty_typeENS0_5tupleIJS8_S9_EEENSB_IJS8_SA_EEENS0_18inequality_wrapperIZN2at6native12_GLOBAL__N_124unique_dim_cuda_templateIN3c104HalfEEESt5tupleIJNSF_6TensorESM_SM_EERKSM_lbbbEUlllE0_EEPmJS9_EEE10hipError_tPvRmT3_T4_T5_T6_T7_T9_mT8_P12ihipStream_tbDpT10_ENKUlT_T0_E_clISt17integral_constantIbLb0EES1B_IbLb1EEEEDaS17_S18_EUlS17_E_NS1_11comp_targetILNS1_3genE4ELNS1_11target_archE910ELNS1_3gpuE8ELNS1_3repE0EEENS1_30default_config_static_selectorELNS0_4arch9wavefront6targetE0EEEvT1_: ; @_ZN7rocprim17ROCPRIM_400000_NS6detail17trampoline_kernelINS0_14default_configENS1_25partition_config_selectorILNS1_17partition_subalgoE9EllbEEZZNS1_14partition_implILS5_9ELb0ES3_jPlS8_PNS0_10empty_typeENS0_5tupleIJS8_S9_EEENSB_IJS8_SA_EEENS0_18inequality_wrapperIZN2at6native12_GLOBAL__N_124unique_dim_cuda_templateIN3c104HalfEEESt5tupleIJNSF_6TensorESM_SM_EERKSM_lbbbEUlllE0_EEPmJS9_EEE10hipError_tPvRmT3_T4_T5_T6_T7_T9_mT8_P12ihipStream_tbDpT10_ENKUlT_T0_E_clISt17integral_constantIbLb0EES1B_IbLb1EEEEDaS17_S18_EUlS17_E_NS1_11comp_targetILNS1_3genE4ELNS1_11target_archE910ELNS1_3gpuE8ELNS1_3repE0EEENS1_30default_config_static_selectorELNS0_4arch9wavefront6targetE0EEEvT1_
; %bb.0:
	.section	.rodata,"a",@progbits
	.p2align	6, 0x0
	.amdhsa_kernel _ZN7rocprim17ROCPRIM_400000_NS6detail17trampoline_kernelINS0_14default_configENS1_25partition_config_selectorILNS1_17partition_subalgoE9EllbEEZZNS1_14partition_implILS5_9ELb0ES3_jPlS8_PNS0_10empty_typeENS0_5tupleIJS8_S9_EEENSB_IJS8_SA_EEENS0_18inequality_wrapperIZN2at6native12_GLOBAL__N_124unique_dim_cuda_templateIN3c104HalfEEESt5tupleIJNSF_6TensorESM_SM_EERKSM_lbbbEUlllE0_EEPmJS9_EEE10hipError_tPvRmT3_T4_T5_T6_T7_T9_mT8_P12ihipStream_tbDpT10_ENKUlT_T0_E_clISt17integral_constantIbLb0EES1B_IbLb1EEEEDaS17_S18_EUlS17_E_NS1_11comp_targetILNS1_3genE4ELNS1_11target_archE910ELNS1_3gpuE8ELNS1_3repE0EEENS1_30default_config_static_selectorELNS0_4arch9wavefront6targetE0EEEvT1_
		.amdhsa_group_segment_fixed_size 0
		.amdhsa_private_segment_fixed_size 0
		.amdhsa_kernarg_size 136
		.amdhsa_user_sgpr_count 2
		.amdhsa_user_sgpr_dispatch_ptr 0
		.amdhsa_user_sgpr_queue_ptr 0
		.amdhsa_user_sgpr_kernarg_segment_ptr 1
		.amdhsa_user_sgpr_dispatch_id 0
		.amdhsa_user_sgpr_kernarg_preload_length 0
		.amdhsa_user_sgpr_kernarg_preload_offset 0
		.amdhsa_user_sgpr_private_segment_size 0
		.amdhsa_wavefront_size32 1
		.amdhsa_uses_dynamic_stack 0
		.amdhsa_enable_private_segment 0
		.amdhsa_system_sgpr_workgroup_id_x 1
		.amdhsa_system_sgpr_workgroup_id_y 0
		.amdhsa_system_sgpr_workgroup_id_z 0
		.amdhsa_system_sgpr_workgroup_info 0
		.amdhsa_system_vgpr_workitem_id 0
		.amdhsa_next_free_vgpr 1
		.amdhsa_next_free_sgpr 1
		.amdhsa_named_barrier_count 0
		.amdhsa_reserve_vcc 0
		.amdhsa_float_round_mode_32 0
		.amdhsa_float_round_mode_16_64 0
		.amdhsa_float_denorm_mode_32 3
		.amdhsa_float_denorm_mode_16_64 3
		.amdhsa_fp16_overflow 0
		.amdhsa_memory_ordered 1
		.amdhsa_forward_progress 1
		.amdhsa_inst_pref_size 0
		.amdhsa_round_robin_scheduling 0
		.amdhsa_exception_fp_ieee_invalid_op 0
		.amdhsa_exception_fp_denorm_src 0
		.amdhsa_exception_fp_ieee_div_zero 0
		.amdhsa_exception_fp_ieee_overflow 0
		.amdhsa_exception_fp_ieee_underflow 0
		.amdhsa_exception_fp_ieee_inexact 0
		.amdhsa_exception_int_div_zero 0
	.end_amdhsa_kernel
	.section	.text._ZN7rocprim17ROCPRIM_400000_NS6detail17trampoline_kernelINS0_14default_configENS1_25partition_config_selectorILNS1_17partition_subalgoE9EllbEEZZNS1_14partition_implILS5_9ELb0ES3_jPlS8_PNS0_10empty_typeENS0_5tupleIJS8_S9_EEENSB_IJS8_SA_EEENS0_18inequality_wrapperIZN2at6native12_GLOBAL__N_124unique_dim_cuda_templateIN3c104HalfEEESt5tupleIJNSF_6TensorESM_SM_EERKSM_lbbbEUlllE0_EEPmJS9_EEE10hipError_tPvRmT3_T4_T5_T6_T7_T9_mT8_P12ihipStream_tbDpT10_ENKUlT_T0_E_clISt17integral_constantIbLb0EES1B_IbLb1EEEEDaS17_S18_EUlS17_E_NS1_11comp_targetILNS1_3genE4ELNS1_11target_archE910ELNS1_3gpuE8ELNS1_3repE0EEENS1_30default_config_static_selectorELNS0_4arch9wavefront6targetE0EEEvT1_,"axG",@progbits,_ZN7rocprim17ROCPRIM_400000_NS6detail17trampoline_kernelINS0_14default_configENS1_25partition_config_selectorILNS1_17partition_subalgoE9EllbEEZZNS1_14partition_implILS5_9ELb0ES3_jPlS8_PNS0_10empty_typeENS0_5tupleIJS8_S9_EEENSB_IJS8_SA_EEENS0_18inequality_wrapperIZN2at6native12_GLOBAL__N_124unique_dim_cuda_templateIN3c104HalfEEESt5tupleIJNSF_6TensorESM_SM_EERKSM_lbbbEUlllE0_EEPmJS9_EEE10hipError_tPvRmT3_T4_T5_T6_T7_T9_mT8_P12ihipStream_tbDpT10_ENKUlT_T0_E_clISt17integral_constantIbLb0EES1B_IbLb1EEEEDaS17_S18_EUlS17_E_NS1_11comp_targetILNS1_3genE4ELNS1_11target_archE910ELNS1_3gpuE8ELNS1_3repE0EEENS1_30default_config_static_selectorELNS0_4arch9wavefront6targetE0EEEvT1_,comdat
.Lfunc_end1355:
	.size	_ZN7rocprim17ROCPRIM_400000_NS6detail17trampoline_kernelINS0_14default_configENS1_25partition_config_selectorILNS1_17partition_subalgoE9EllbEEZZNS1_14partition_implILS5_9ELb0ES3_jPlS8_PNS0_10empty_typeENS0_5tupleIJS8_S9_EEENSB_IJS8_SA_EEENS0_18inequality_wrapperIZN2at6native12_GLOBAL__N_124unique_dim_cuda_templateIN3c104HalfEEESt5tupleIJNSF_6TensorESM_SM_EERKSM_lbbbEUlllE0_EEPmJS9_EEE10hipError_tPvRmT3_T4_T5_T6_T7_T9_mT8_P12ihipStream_tbDpT10_ENKUlT_T0_E_clISt17integral_constantIbLb0EES1B_IbLb1EEEEDaS17_S18_EUlS17_E_NS1_11comp_targetILNS1_3genE4ELNS1_11target_archE910ELNS1_3gpuE8ELNS1_3repE0EEENS1_30default_config_static_selectorELNS0_4arch9wavefront6targetE0EEEvT1_, .Lfunc_end1355-_ZN7rocprim17ROCPRIM_400000_NS6detail17trampoline_kernelINS0_14default_configENS1_25partition_config_selectorILNS1_17partition_subalgoE9EllbEEZZNS1_14partition_implILS5_9ELb0ES3_jPlS8_PNS0_10empty_typeENS0_5tupleIJS8_S9_EEENSB_IJS8_SA_EEENS0_18inequality_wrapperIZN2at6native12_GLOBAL__N_124unique_dim_cuda_templateIN3c104HalfEEESt5tupleIJNSF_6TensorESM_SM_EERKSM_lbbbEUlllE0_EEPmJS9_EEE10hipError_tPvRmT3_T4_T5_T6_T7_T9_mT8_P12ihipStream_tbDpT10_ENKUlT_T0_E_clISt17integral_constantIbLb0EES1B_IbLb1EEEEDaS17_S18_EUlS17_E_NS1_11comp_targetILNS1_3genE4ELNS1_11target_archE910ELNS1_3gpuE8ELNS1_3repE0EEENS1_30default_config_static_selectorELNS0_4arch9wavefront6targetE0EEEvT1_
                                        ; -- End function
	.set _ZN7rocprim17ROCPRIM_400000_NS6detail17trampoline_kernelINS0_14default_configENS1_25partition_config_selectorILNS1_17partition_subalgoE9EllbEEZZNS1_14partition_implILS5_9ELb0ES3_jPlS8_PNS0_10empty_typeENS0_5tupleIJS8_S9_EEENSB_IJS8_SA_EEENS0_18inequality_wrapperIZN2at6native12_GLOBAL__N_124unique_dim_cuda_templateIN3c104HalfEEESt5tupleIJNSF_6TensorESM_SM_EERKSM_lbbbEUlllE0_EEPmJS9_EEE10hipError_tPvRmT3_T4_T5_T6_T7_T9_mT8_P12ihipStream_tbDpT10_ENKUlT_T0_E_clISt17integral_constantIbLb0EES1B_IbLb1EEEEDaS17_S18_EUlS17_E_NS1_11comp_targetILNS1_3genE4ELNS1_11target_archE910ELNS1_3gpuE8ELNS1_3repE0EEENS1_30default_config_static_selectorELNS0_4arch9wavefront6targetE0EEEvT1_.num_vgpr, 0
	.set _ZN7rocprim17ROCPRIM_400000_NS6detail17trampoline_kernelINS0_14default_configENS1_25partition_config_selectorILNS1_17partition_subalgoE9EllbEEZZNS1_14partition_implILS5_9ELb0ES3_jPlS8_PNS0_10empty_typeENS0_5tupleIJS8_S9_EEENSB_IJS8_SA_EEENS0_18inequality_wrapperIZN2at6native12_GLOBAL__N_124unique_dim_cuda_templateIN3c104HalfEEESt5tupleIJNSF_6TensorESM_SM_EERKSM_lbbbEUlllE0_EEPmJS9_EEE10hipError_tPvRmT3_T4_T5_T6_T7_T9_mT8_P12ihipStream_tbDpT10_ENKUlT_T0_E_clISt17integral_constantIbLb0EES1B_IbLb1EEEEDaS17_S18_EUlS17_E_NS1_11comp_targetILNS1_3genE4ELNS1_11target_archE910ELNS1_3gpuE8ELNS1_3repE0EEENS1_30default_config_static_selectorELNS0_4arch9wavefront6targetE0EEEvT1_.num_agpr, 0
	.set _ZN7rocprim17ROCPRIM_400000_NS6detail17trampoline_kernelINS0_14default_configENS1_25partition_config_selectorILNS1_17partition_subalgoE9EllbEEZZNS1_14partition_implILS5_9ELb0ES3_jPlS8_PNS0_10empty_typeENS0_5tupleIJS8_S9_EEENSB_IJS8_SA_EEENS0_18inequality_wrapperIZN2at6native12_GLOBAL__N_124unique_dim_cuda_templateIN3c104HalfEEESt5tupleIJNSF_6TensorESM_SM_EERKSM_lbbbEUlllE0_EEPmJS9_EEE10hipError_tPvRmT3_T4_T5_T6_T7_T9_mT8_P12ihipStream_tbDpT10_ENKUlT_T0_E_clISt17integral_constantIbLb0EES1B_IbLb1EEEEDaS17_S18_EUlS17_E_NS1_11comp_targetILNS1_3genE4ELNS1_11target_archE910ELNS1_3gpuE8ELNS1_3repE0EEENS1_30default_config_static_selectorELNS0_4arch9wavefront6targetE0EEEvT1_.numbered_sgpr, 0
	.set _ZN7rocprim17ROCPRIM_400000_NS6detail17trampoline_kernelINS0_14default_configENS1_25partition_config_selectorILNS1_17partition_subalgoE9EllbEEZZNS1_14partition_implILS5_9ELb0ES3_jPlS8_PNS0_10empty_typeENS0_5tupleIJS8_S9_EEENSB_IJS8_SA_EEENS0_18inequality_wrapperIZN2at6native12_GLOBAL__N_124unique_dim_cuda_templateIN3c104HalfEEESt5tupleIJNSF_6TensorESM_SM_EERKSM_lbbbEUlllE0_EEPmJS9_EEE10hipError_tPvRmT3_T4_T5_T6_T7_T9_mT8_P12ihipStream_tbDpT10_ENKUlT_T0_E_clISt17integral_constantIbLb0EES1B_IbLb1EEEEDaS17_S18_EUlS17_E_NS1_11comp_targetILNS1_3genE4ELNS1_11target_archE910ELNS1_3gpuE8ELNS1_3repE0EEENS1_30default_config_static_selectorELNS0_4arch9wavefront6targetE0EEEvT1_.num_named_barrier, 0
	.set _ZN7rocprim17ROCPRIM_400000_NS6detail17trampoline_kernelINS0_14default_configENS1_25partition_config_selectorILNS1_17partition_subalgoE9EllbEEZZNS1_14partition_implILS5_9ELb0ES3_jPlS8_PNS0_10empty_typeENS0_5tupleIJS8_S9_EEENSB_IJS8_SA_EEENS0_18inequality_wrapperIZN2at6native12_GLOBAL__N_124unique_dim_cuda_templateIN3c104HalfEEESt5tupleIJNSF_6TensorESM_SM_EERKSM_lbbbEUlllE0_EEPmJS9_EEE10hipError_tPvRmT3_T4_T5_T6_T7_T9_mT8_P12ihipStream_tbDpT10_ENKUlT_T0_E_clISt17integral_constantIbLb0EES1B_IbLb1EEEEDaS17_S18_EUlS17_E_NS1_11comp_targetILNS1_3genE4ELNS1_11target_archE910ELNS1_3gpuE8ELNS1_3repE0EEENS1_30default_config_static_selectorELNS0_4arch9wavefront6targetE0EEEvT1_.private_seg_size, 0
	.set _ZN7rocprim17ROCPRIM_400000_NS6detail17trampoline_kernelINS0_14default_configENS1_25partition_config_selectorILNS1_17partition_subalgoE9EllbEEZZNS1_14partition_implILS5_9ELb0ES3_jPlS8_PNS0_10empty_typeENS0_5tupleIJS8_S9_EEENSB_IJS8_SA_EEENS0_18inequality_wrapperIZN2at6native12_GLOBAL__N_124unique_dim_cuda_templateIN3c104HalfEEESt5tupleIJNSF_6TensorESM_SM_EERKSM_lbbbEUlllE0_EEPmJS9_EEE10hipError_tPvRmT3_T4_T5_T6_T7_T9_mT8_P12ihipStream_tbDpT10_ENKUlT_T0_E_clISt17integral_constantIbLb0EES1B_IbLb1EEEEDaS17_S18_EUlS17_E_NS1_11comp_targetILNS1_3genE4ELNS1_11target_archE910ELNS1_3gpuE8ELNS1_3repE0EEENS1_30default_config_static_selectorELNS0_4arch9wavefront6targetE0EEEvT1_.uses_vcc, 0
	.set _ZN7rocprim17ROCPRIM_400000_NS6detail17trampoline_kernelINS0_14default_configENS1_25partition_config_selectorILNS1_17partition_subalgoE9EllbEEZZNS1_14partition_implILS5_9ELb0ES3_jPlS8_PNS0_10empty_typeENS0_5tupleIJS8_S9_EEENSB_IJS8_SA_EEENS0_18inequality_wrapperIZN2at6native12_GLOBAL__N_124unique_dim_cuda_templateIN3c104HalfEEESt5tupleIJNSF_6TensorESM_SM_EERKSM_lbbbEUlllE0_EEPmJS9_EEE10hipError_tPvRmT3_T4_T5_T6_T7_T9_mT8_P12ihipStream_tbDpT10_ENKUlT_T0_E_clISt17integral_constantIbLb0EES1B_IbLb1EEEEDaS17_S18_EUlS17_E_NS1_11comp_targetILNS1_3genE4ELNS1_11target_archE910ELNS1_3gpuE8ELNS1_3repE0EEENS1_30default_config_static_selectorELNS0_4arch9wavefront6targetE0EEEvT1_.uses_flat_scratch, 0
	.set _ZN7rocprim17ROCPRIM_400000_NS6detail17trampoline_kernelINS0_14default_configENS1_25partition_config_selectorILNS1_17partition_subalgoE9EllbEEZZNS1_14partition_implILS5_9ELb0ES3_jPlS8_PNS0_10empty_typeENS0_5tupleIJS8_S9_EEENSB_IJS8_SA_EEENS0_18inequality_wrapperIZN2at6native12_GLOBAL__N_124unique_dim_cuda_templateIN3c104HalfEEESt5tupleIJNSF_6TensorESM_SM_EERKSM_lbbbEUlllE0_EEPmJS9_EEE10hipError_tPvRmT3_T4_T5_T6_T7_T9_mT8_P12ihipStream_tbDpT10_ENKUlT_T0_E_clISt17integral_constantIbLb0EES1B_IbLb1EEEEDaS17_S18_EUlS17_E_NS1_11comp_targetILNS1_3genE4ELNS1_11target_archE910ELNS1_3gpuE8ELNS1_3repE0EEENS1_30default_config_static_selectorELNS0_4arch9wavefront6targetE0EEEvT1_.has_dyn_sized_stack, 0
	.set _ZN7rocprim17ROCPRIM_400000_NS6detail17trampoline_kernelINS0_14default_configENS1_25partition_config_selectorILNS1_17partition_subalgoE9EllbEEZZNS1_14partition_implILS5_9ELb0ES3_jPlS8_PNS0_10empty_typeENS0_5tupleIJS8_S9_EEENSB_IJS8_SA_EEENS0_18inequality_wrapperIZN2at6native12_GLOBAL__N_124unique_dim_cuda_templateIN3c104HalfEEESt5tupleIJNSF_6TensorESM_SM_EERKSM_lbbbEUlllE0_EEPmJS9_EEE10hipError_tPvRmT3_T4_T5_T6_T7_T9_mT8_P12ihipStream_tbDpT10_ENKUlT_T0_E_clISt17integral_constantIbLb0EES1B_IbLb1EEEEDaS17_S18_EUlS17_E_NS1_11comp_targetILNS1_3genE4ELNS1_11target_archE910ELNS1_3gpuE8ELNS1_3repE0EEENS1_30default_config_static_selectorELNS0_4arch9wavefront6targetE0EEEvT1_.has_recursion, 0
	.set _ZN7rocprim17ROCPRIM_400000_NS6detail17trampoline_kernelINS0_14default_configENS1_25partition_config_selectorILNS1_17partition_subalgoE9EllbEEZZNS1_14partition_implILS5_9ELb0ES3_jPlS8_PNS0_10empty_typeENS0_5tupleIJS8_S9_EEENSB_IJS8_SA_EEENS0_18inequality_wrapperIZN2at6native12_GLOBAL__N_124unique_dim_cuda_templateIN3c104HalfEEESt5tupleIJNSF_6TensorESM_SM_EERKSM_lbbbEUlllE0_EEPmJS9_EEE10hipError_tPvRmT3_T4_T5_T6_T7_T9_mT8_P12ihipStream_tbDpT10_ENKUlT_T0_E_clISt17integral_constantIbLb0EES1B_IbLb1EEEEDaS17_S18_EUlS17_E_NS1_11comp_targetILNS1_3genE4ELNS1_11target_archE910ELNS1_3gpuE8ELNS1_3repE0EEENS1_30default_config_static_selectorELNS0_4arch9wavefront6targetE0EEEvT1_.has_indirect_call, 0
	.section	.AMDGPU.csdata,"",@progbits
; Kernel info:
; codeLenInByte = 0
; TotalNumSgprs: 0
; NumVgprs: 0
; ScratchSize: 0
; MemoryBound: 0
; FloatMode: 240
; IeeeMode: 1
; LDSByteSize: 0 bytes/workgroup (compile time only)
; SGPRBlocks: 0
; VGPRBlocks: 0
; NumSGPRsForWavesPerEU: 1
; NumVGPRsForWavesPerEU: 1
; NamedBarCnt: 0
; Occupancy: 16
; WaveLimiterHint : 0
; COMPUTE_PGM_RSRC2:SCRATCH_EN: 0
; COMPUTE_PGM_RSRC2:USER_SGPR: 2
; COMPUTE_PGM_RSRC2:TRAP_HANDLER: 0
; COMPUTE_PGM_RSRC2:TGID_X_EN: 1
; COMPUTE_PGM_RSRC2:TGID_Y_EN: 0
; COMPUTE_PGM_RSRC2:TGID_Z_EN: 0
; COMPUTE_PGM_RSRC2:TIDIG_COMP_CNT: 0
	.section	.text._ZN7rocprim17ROCPRIM_400000_NS6detail17trampoline_kernelINS0_14default_configENS1_25partition_config_selectorILNS1_17partition_subalgoE9EllbEEZZNS1_14partition_implILS5_9ELb0ES3_jPlS8_PNS0_10empty_typeENS0_5tupleIJS8_S9_EEENSB_IJS8_SA_EEENS0_18inequality_wrapperIZN2at6native12_GLOBAL__N_124unique_dim_cuda_templateIN3c104HalfEEESt5tupleIJNSF_6TensorESM_SM_EERKSM_lbbbEUlllE0_EEPmJS9_EEE10hipError_tPvRmT3_T4_T5_T6_T7_T9_mT8_P12ihipStream_tbDpT10_ENKUlT_T0_E_clISt17integral_constantIbLb0EES1B_IbLb1EEEEDaS17_S18_EUlS17_E_NS1_11comp_targetILNS1_3genE3ELNS1_11target_archE908ELNS1_3gpuE7ELNS1_3repE0EEENS1_30default_config_static_selectorELNS0_4arch9wavefront6targetE0EEEvT1_,"axG",@progbits,_ZN7rocprim17ROCPRIM_400000_NS6detail17trampoline_kernelINS0_14default_configENS1_25partition_config_selectorILNS1_17partition_subalgoE9EllbEEZZNS1_14partition_implILS5_9ELb0ES3_jPlS8_PNS0_10empty_typeENS0_5tupleIJS8_S9_EEENSB_IJS8_SA_EEENS0_18inequality_wrapperIZN2at6native12_GLOBAL__N_124unique_dim_cuda_templateIN3c104HalfEEESt5tupleIJNSF_6TensorESM_SM_EERKSM_lbbbEUlllE0_EEPmJS9_EEE10hipError_tPvRmT3_T4_T5_T6_T7_T9_mT8_P12ihipStream_tbDpT10_ENKUlT_T0_E_clISt17integral_constantIbLb0EES1B_IbLb1EEEEDaS17_S18_EUlS17_E_NS1_11comp_targetILNS1_3genE3ELNS1_11target_archE908ELNS1_3gpuE7ELNS1_3repE0EEENS1_30default_config_static_selectorELNS0_4arch9wavefront6targetE0EEEvT1_,comdat
	.globl	_ZN7rocprim17ROCPRIM_400000_NS6detail17trampoline_kernelINS0_14default_configENS1_25partition_config_selectorILNS1_17partition_subalgoE9EllbEEZZNS1_14partition_implILS5_9ELb0ES3_jPlS8_PNS0_10empty_typeENS0_5tupleIJS8_S9_EEENSB_IJS8_SA_EEENS0_18inequality_wrapperIZN2at6native12_GLOBAL__N_124unique_dim_cuda_templateIN3c104HalfEEESt5tupleIJNSF_6TensorESM_SM_EERKSM_lbbbEUlllE0_EEPmJS9_EEE10hipError_tPvRmT3_T4_T5_T6_T7_T9_mT8_P12ihipStream_tbDpT10_ENKUlT_T0_E_clISt17integral_constantIbLb0EES1B_IbLb1EEEEDaS17_S18_EUlS17_E_NS1_11comp_targetILNS1_3genE3ELNS1_11target_archE908ELNS1_3gpuE7ELNS1_3repE0EEENS1_30default_config_static_selectorELNS0_4arch9wavefront6targetE0EEEvT1_ ; -- Begin function _ZN7rocprim17ROCPRIM_400000_NS6detail17trampoline_kernelINS0_14default_configENS1_25partition_config_selectorILNS1_17partition_subalgoE9EllbEEZZNS1_14partition_implILS5_9ELb0ES3_jPlS8_PNS0_10empty_typeENS0_5tupleIJS8_S9_EEENSB_IJS8_SA_EEENS0_18inequality_wrapperIZN2at6native12_GLOBAL__N_124unique_dim_cuda_templateIN3c104HalfEEESt5tupleIJNSF_6TensorESM_SM_EERKSM_lbbbEUlllE0_EEPmJS9_EEE10hipError_tPvRmT3_T4_T5_T6_T7_T9_mT8_P12ihipStream_tbDpT10_ENKUlT_T0_E_clISt17integral_constantIbLb0EES1B_IbLb1EEEEDaS17_S18_EUlS17_E_NS1_11comp_targetILNS1_3genE3ELNS1_11target_archE908ELNS1_3gpuE7ELNS1_3repE0EEENS1_30default_config_static_selectorELNS0_4arch9wavefront6targetE0EEEvT1_
	.p2align	8
	.type	_ZN7rocprim17ROCPRIM_400000_NS6detail17trampoline_kernelINS0_14default_configENS1_25partition_config_selectorILNS1_17partition_subalgoE9EllbEEZZNS1_14partition_implILS5_9ELb0ES3_jPlS8_PNS0_10empty_typeENS0_5tupleIJS8_S9_EEENSB_IJS8_SA_EEENS0_18inequality_wrapperIZN2at6native12_GLOBAL__N_124unique_dim_cuda_templateIN3c104HalfEEESt5tupleIJNSF_6TensorESM_SM_EERKSM_lbbbEUlllE0_EEPmJS9_EEE10hipError_tPvRmT3_T4_T5_T6_T7_T9_mT8_P12ihipStream_tbDpT10_ENKUlT_T0_E_clISt17integral_constantIbLb0EES1B_IbLb1EEEEDaS17_S18_EUlS17_E_NS1_11comp_targetILNS1_3genE3ELNS1_11target_archE908ELNS1_3gpuE7ELNS1_3repE0EEENS1_30default_config_static_selectorELNS0_4arch9wavefront6targetE0EEEvT1_,@function
_ZN7rocprim17ROCPRIM_400000_NS6detail17trampoline_kernelINS0_14default_configENS1_25partition_config_selectorILNS1_17partition_subalgoE9EllbEEZZNS1_14partition_implILS5_9ELb0ES3_jPlS8_PNS0_10empty_typeENS0_5tupleIJS8_S9_EEENSB_IJS8_SA_EEENS0_18inequality_wrapperIZN2at6native12_GLOBAL__N_124unique_dim_cuda_templateIN3c104HalfEEESt5tupleIJNSF_6TensorESM_SM_EERKSM_lbbbEUlllE0_EEPmJS9_EEE10hipError_tPvRmT3_T4_T5_T6_T7_T9_mT8_P12ihipStream_tbDpT10_ENKUlT_T0_E_clISt17integral_constantIbLb0EES1B_IbLb1EEEEDaS17_S18_EUlS17_E_NS1_11comp_targetILNS1_3genE3ELNS1_11target_archE908ELNS1_3gpuE7ELNS1_3repE0EEENS1_30default_config_static_selectorELNS0_4arch9wavefront6targetE0EEEvT1_: ; @_ZN7rocprim17ROCPRIM_400000_NS6detail17trampoline_kernelINS0_14default_configENS1_25partition_config_selectorILNS1_17partition_subalgoE9EllbEEZZNS1_14partition_implILS5_9ELb0ES3_jPlS8_PNS0_10empty_typeENS0_5tupleIJS8_S9_EEENSB_IJS8_SA_EEENS0_18inequality_wrapperIZN2at6native12_GLOBAL__N_124unique_dim_cuda_templateIN3c104HalfEEESt5tupleIJNSF_6TensorESM_SM_EERKSM_lbbbEUlllE0_EEPmJS9_EEE10hipError_tPvRmT3_T4_T5_T6_T7_T9_mT8_P12ihipStream_tbDpT10_ENKUlT_T0_E_clISt17integral_constantIbLb0EES1B_IbLb1EEEEDaS17_S18_EUlS17_E_NS1_11comp_targetILNS1_3genE3ELNS1_11target_archE908ELNS1_3gpuE7ELNS1_3repE0EEENS1_30default_config_static_selectorELNS0_4arch9wavefront6targetE0EEEvT1_
; %bb.0:
	.section	.rodata,"a",@progbits
	.p2align	6, 0x0
	.amdhsa_kernel _ZN7rocprim17ROCPRIM_400000_NS6detail17trampoline_kernelINS0_14default_configENS1_25partition_config_selectorILNS1_17partition_subalgoE9EllbEEZZNS1_14partition_implILS5_9ELb0ES3_jPlS8_PNS0_10empty_typeENS0_5tupleIJS8_S9_EEENSB_IJS8_SA_EEENS0_18inequality_wrapperIZN2at6native12_GLOBAL__N_124unique_dim_cuda_templateIN3c104HalfEEESt5tupleIJNSF_6TensorESM_SM_EERKSM_lbbbEUlllE0_EEPmJS9_EEE10hipError_tPvRmT3_T4_T5_T6_T7_T9_mT8_P12ihipStream_tbDpT10_ENKUlT_T0_E_clISt17integral_constantIbLb0EES1B_IbLb1EEEEDaS17_S18_EUlS17_E_NS1_11comp_targetILNS1_3genE3ELNS1_11target_archE908ELNS1_3gpuE7ELNS1_3repE0EEENS1_30default_config_static_selectorELNS0_4arch9wavefront6targetE0EEEvT1_
		.amdhsa_group_segment_fixed_size 0
		.amdhsa_private_segment_fixed_size 0
		.amdhsa_kernarg_size 136
		.amdhsa_user_sgpr_count 2
		.amdhsa_user_sgpr_dispatch_ptr 0
		.amdhsa_user_sgpr_queue_ptr 0
		.amdhsa_user_sgpr_kernarg_segment_ptr 1
		.amdhsa_user_sgpr_dispatch_id 0
		.amdhsa_user_sgpr_kernarg_preload_length 0
		.amdhsa_user_sgpr_kernarg_preload_offset 0
		.amdhsa_user_sgpr_private_segment_size 0
		.amdhsa_wavefront_size32 1
		.amdhsa_uses_dynamic_stack 0
		.amdhsa_enable_private_segment 0
		.amdhsa_system_sgpr_workgroup_id_x 1
		.amdhsa_system_sgpr_workgroup_id_y 0
		.amdhsa_system_sgpr_workgroup_id_z 0
		.amdhsa_system_sgpr_workgroup_info 0
		.amdhsa_system_vgpr_workitem_id 0
		.amdhsa_next_free_vgpr 1
		.amdhsa_next_free_sgpr 1
		.amdhsa_named_barrier_count 0
		.amdhsa_reserve_vcc 0
		.amdhsa_float_round_mode_32 0
		.amdhsa_float_round_mode_16_64 0
		.amdhsa_float_denorm_mode_32 3
		.amdhsa_float_denorm_mode_16_64 3
		.amdhsa_fp16_overflow 0
		.amdhsa_memory_ordered 1
		.amdhsa_forward_progress 1
		.amdhsa_inst_pref_size 0
		.amdhsa_round_robin_scheduling 0
		.amdhsa_exception_fp_ieee_invalid_op 0
		.amdhsa_exception_fp_denorm_src 0
		.amdhsa_exception_fp_ieee_div_zero 0
		.amdhsa_exception_fp_ieee_overflow 0
		.amdhsa_exception_fp_ieee_underflow 0
		.amdhsa_exception_fp_ieee_inexact 0
		.amdhsa_exception_int_div_zero 0
	.end_amdhsa_kernel
	.section	.text._ZN7rocprim17ROCPRIM_400000_NS6detail17trampoline_kernelINS0_14default_configENS1_25partition_config_selectorILNS1_17partition_subalgoE9EllbEEZZNS1_14partition_implILS5_9ELb0ES3_jPlS8_PNS0_10empty_typeENS0_5tupleIJS8_S9_EEENSB_IJS8_SA_EEENS0_18inequality_wrapperIZN2at6native12_GLOBAL__N_124unique_dim_cuda_templateIN3c104HalfEEESt5tupleIJNSF_6TensorESM_SM_EERKSM_lbbbEUlllE0_EEPmJS9_EEE10hipError_tPvRmT3_T4_T5_T6_T7_T9_mT8_P12ihipStream_tbDpT10_ENKUlT_T0_E_clISt17integral_constantIbLb0EES1B_IbLb1EEEEDaS17_S18_EUlS17_E_NS1_11comp_targetILNS1_3genE3ELNS1_11target_archE908ELNS1_3gpuE7ELNS1_3repE0EEENS1_30default_config_static_selectorELNS0_4arch9wavefront6targetE0EEEvT1_,"axG",@progbits,_ZN7rocprim17ROCPRIM_400000_NS6detail17trampoline_kernelINS0_14default_configENS1_25partition_config_selectorILNS1_17partition_subalgoE9EllbEEZZNS1_14partition_implILS5_9ELb0ES3_jPlS8_PNS0_10empty_typeENS0_5tupleIJS8_S9_EEENSB_IJS8_SA_EEENS0_18inequality_wrapperIZN2at6native12_GLOBAL__N_124unique_dim_cuda_templateIN3c104HalfEEESt5tupleIJNSF_6TensorESM_SM_EERKSM_lbbbEUlllE0_EEPmJS9_EEE10hipError_tPvRmT3_T4_T5_T6_T7_T9_mT8_P12ihipStream_tbDpT10_ENKUlT_T0_E_clISt17integral_constantIbLb0EES1B_IbLb1EEEEDaS17_S18_EUlS17_E_NS1_11comp_targetILNS1_3genE3ELNS1_11target_archE908ELNS1_3gpuE7ELNS1_3repE0EEENS1_30default_config_static_selectorELNS0_4arch9wavefront6targetE0EEEvT1_,comdat
.Lfunc_end1356:
	.size	_ZN7rocprim17ROCPRIM_400000_NS6detail17trampoline_kernelINS0_14default_configENS1_25partition_config_selectorILNS1_17partition_subalgoE9EllbEEZZNS1_14partition_implILS5_9ELb0ES3_jPlS8_PNS0_10empty_typeENS0_5tupleIJS8_S9_EEENSB_IJS8_SA_EEENS0_18inequality_wrapperIZN2at6native12_GLOBAL__N_124unique_dim_cuda_templateIN3c104HalfEEESt5tupleIJNSF_6TensorESM_SM_EERKSM_lbbbEUlllE0_EEPmJS9_EEE10hipError_tPvRmT3_T4_T5_T6_T7_T9_mT8_P12ihipStream_tbDpT10_ENKUlT_T0_E_clISt17integral_constantIbLb0EES1B_IbLb1EEEEDaS17_S18_EUlS17_E_NS1_11comp_targetILNS1_3genE3ELNS1_11target_archE908ELNS1_3gpuE7ELNS1_3repE0EEENS1_30default_config_static_selectorELNS0_4arch9wavefront6targetE0EEEvT1_, .Lfunc_end1356-_ZN7rocprim17ROCPRIM_400000_NS6detail17trampoline_kernelINS0_14default_configENS1_25partition_config_selectorILNS1_17partition_subalgoE9EllbEEZZNS1_14partition_implILS5_9ELb0ES3_jPlS8_PNS0_10empty_typeENS0_5tupleIJS8_S9_EEENSB_IJS8_SA_EEENS0_18inequality_wrapperIZN2at6native12_GLOBAL__N_124unique_dim_cuda_templateIN3c104HalfEEESt5tupleIJNSF_6TensorESM_SM_EERKSM_lbbbEUlllE0_EEPmJS9_EEE10hipError_tPvRmT3_T4_T5_T6_T7_T9_mT8_P12ihipStream_tbDpT10_ENKUlT_T0_E_clISt17integral_constantIbLb0EES1B_IbLb1EEEEDaS17_S18_EUlS17_E_NS1_11comp_targetILNS1_3genE3ELNS1_11target_archE908ELNS1_3gpuE7ELNS1_3repE0EEENS1_30default_config_static_selectorELNS0_4arch9wavefront6targetE0EEEvT1_
                                        ; -- End function
	.set _ZN7rocprim17ROCPRIM_400000_NS6detail17trampoline_kernelINS0_14default_configENS1_25partition_config_selectorILNS1_17partition_subalgoE9EllbEEZZNS1_14partition_implILS5_9ELb0ES3_jPlS8_PNS0_10empty_typeENS0_5tupleIJS8_S9_EEENSB_IJS8_SA_EEENS0_18inequality_wrapperIZN2at6native12_GLOBAL__N_124unique_dim_cuda_templateIN3c104HalfEEESt5tupleIJNSF_6TensorESM_SM_EERKSM_lbbbEUlllE0_EEPmJS9_EEE10hipError_tPvRmT3_T4_T5_T6_T7_T9_mT8_P12ihipStream_tbDpT10_ENKUlT_T0_E_clISt17integral_constantIbLb0EES1B_IbLb1EEEEDaS17_S18_EUlS17_E_NS1_11comp_targetILNS1_3genE3ELNS1_11target_archE908ELNS1_3gpuE7ELNS1_3repE0EEENS1_30default_config_static_selectorELNS0_4arch9wavefront6targetE0EEEvT1_.num_vgpr, 0
	.set _ZN7rocprim17ROCPRIM_400000_NS6detail17trampoline_kernelINS0_14default_configENS1_25partition_config_selectorILNS1_17partition_subalgoE9EllbEEZZNS1_14partition_implILS5_9ELb0ES3_jPlS8_PNS0_10empty_typeENS0_5tupleIJS8_S9_EEENSB_IJS8_SA_EEENS0_18inequality_wrapperIZN2at6native12_GLOBAL__N_124unique_dim_cuda_templateIN3c104HalfEEESt5tupleIJNSF_6TensorESM_SM_EERKSM_lbbbEUlllE0_EEPmJS9_EEE10hipError_tPvRmT3_T4_T5_T6_T7_T9_mT8_P12ihipStream_tbDpT10_ENKUlT_T0_E_clISt17integral_constantIbLb0EES1B_IbLb1EEEEDaS17_S18_EUlS17_E_NS1_11comp_targetILNS1_3genE3ELNS1_11target_archE908ELNS1_3gpuE7ELNS1_3repE0EEENS1_30default_config_static_selectorELNS0_4arch9wavefront6targetE0EEEvT1_.num_agpr, 0
	.set _ZN7rocprim17ROCPRIM_400000_NS6detail17trampoline_kernelINS0_14default_configENS1_25partition_config_selectorILNS1_17partition_subalgoE9EllbEEZZNS1_14partition_implILS5_9ELb0ES3_jPlS8_PNS0_10empty_typeENS0_5tupleIJS8_S9_EEENSB_IJS8_SA_EEENS0_18inequality_wrapperIZN2at6native12_GLOBAL__N_124unique_dim_cuda_templateIN3c104HalfEEESt5tupleIJNSF_6TensorESM_SM_EERKSM_lbbbEUlllE0_EEPmJS9_EEE10hipError_tPvRmT3_T4_T5_T6_T7_T9_mT8_P12ihipStream_tbDpT10_ENKUlT_T0_E_clISt17integral_constantIbLb0EES1B_IbLb1EEEEDaS17_S18_EUlS17_E_NS1_11comp_targetILNS1_3genE3ELNS1_11target_archE908ELNS1_3gpuE7ELNS1_3repE0EEENS1_30default_config_static_selectorELNS0_4arch9wavefront6targetE0EEEvT1_.numbered_sgpr, 0
	.set _ZN7rocprim17ROCPRIM_400000_NS6detail17trampoline_kernelINS0_14default_configENS1_25partition_config_selectorILNS1_17partition_subalgoE9EllbEEZZNS1_14partition_implILS5_9ELb0ES3_jPlS8_PNS0_10empty_typeENS0_5tupleIJS8_S9_EEENSB_IJS8_SA_EEENS0_18inequality_wrapperIZN2at6native12_GLOBAL__N_124unique_dim_cuda_templateIN3c104HalfEEESt5tupleIJNSF_6TensorESM_SM_EERKSM_lbbbEUlllE0_EEPmJS9_EEE10hipError_tPvRmT3_T4_T5_T6_T7_T9_mT8_P12ihipStream_tbDpT10_ENKUlT_T0_E_clISt17integral_constantIbLb0EES1B_IbLb1EEEEDaS17_S18_EUlS17_E_NS1_11comp_targetILNS1_3genE3ELNS1_11target_archE908ELNS1_3gpuE7ELNS1_3repE0EEENS1_30default_config_static_selectorELNS0_4arch9wavefront6targetE0EEEvT1_.num_named_barrier, 0
	.set _ZN7rocprim17ROCPRIM_400000_NS6detail17trampoline_kernelINS0_14default_configENS1_25partition_config_selectorILNS1_17partition_subalgoE9EllbEEZZNS1_14partition_implILS5_9ELb0ES3_jPlS8_PNS0_10empty_typeENS0_5tupleIJS8_S9_EEENSB_IJS8_SA_EEENS0_18inequality_wrapperIZN2at6native12_GLOBAL__N_124unique_dim_cuda_templateIN3c104HalfEEESt5tupleIJNSF_6TensorESM_SM_EERKSM_lbbbEUlllE0_EEPmJS9_EEE10hipError_tPvRmT3_T4_T5_T6_T7_T9_mT8_P12ihipStream_tbDpT10_ENKUlT_T0_E_clISt17integral_constantIbLb0EES1B_IbLb1EEEEDaS17_S18_EUlS17_E_NS1_11comp_targetILNS1_3genE3ELNS1_11target_archE908ELNS1_3gpuE7ELNS1_3repE0EEENS1_30default_config_static_selectorELNS0_4arch9wavefront6targetE0EEEvT1_.private_seg_size, 0
	.set _ZN7rocprim17ROCPRIM_400000_NS6detail17trampoline_kernelINS0_14default_configENS1_25partition_config_selectorILNS1_17partition_subalgoE9EllbEEZZNS1_14partition_implILS5_9ELb0ES3_jPlS8_PNS0_10empty_typeENS0_5tupleIJS8_S9_EEENSB_IJS8_SA_EEENS0_18inequality_wrapperIZN2at6native12_GLOBAL__N_124unique_dim_cuda_templateIN3c104HalfEEESt5tupleIJNSF_6TensorESM_SM_EERKSM_lbbbEUlllE0_EEPmJS9_EEE10hipError_tPvRmT3_T4_T5_T6_T7_T9_mT8_P12ihipStream_tbDpT10_ENKUlT_T0_E_clISt17integral_constantIbLb0EES1B_IbLb1EEEEDaS17_S18_EUlS17_E_NS1_11comp_targetILNS1_3genE3ELNS1_11target_archE908ELNS1_3gpuE7ELNS1_3repE0EEENS1_30default_config_static_selectorELNS0_4arch9wavefront6targetE0EEEvT1_.uses_vcc, 0
	.set _ZN7rocprim17ROCPRIM_400000_NS6detail17trampoline_kernelINS0_14default_configENS1_25partition_config_selectorILNS1_17partition_subalgoE9EllbEEZZNS1_14partition_implILS5_9ELb0ES3_jPlS8_PNS0_10empty_typeENS0_5tupleIJS8_S9_EEENSB_IJS8_SA_EEENS0_18inequality_wrapperIZN2at6native12_GLOBAL__N_124unique_dim_cuda_templateIN3c104HalfEEESt5tupleIJNSF_6TensorESM_SM_EERKSM_lbbbEUlllE0_EEPmJS9_EEE10hipError_tPvRmT3_T4_T5_T6_T7_T9_mT8_P12ihipStream_tbDpT10_ENKUlT_T0_E_clISt17integral_constantIbLb0EES1B_IbLb1EEEEDaS17_S18_EUlS17_E_NS1_11comp_targetILNS1_3genE3ELNS1_11target_archE908ELNS1_3gpuE7ELNS1_3repE0EEENS1_30default_config_static_selectorELNS0_4arch9wavefront6targetE0EEEvT1_.uses_flat_scratch, 0
	.set _ZN7rocprim17ROCPRIM_400000_NS6detail17trampoline_kernelINS0_14default_configENS1_25partition_config_selectorILNS1_17partition_subalgoE9EllbEEZZNS1_14partition_implILS5_9ELb0ES3_jPlS8_PNS0_10empty_typeENS0_5tupleIJS8_S9_EEENSB_IJS8_SA_EEENS0_18inequality_wrapperIZN2at6native12_GLOBAL__N_124unique_dim_cuda_templateIN3c104HalfEEESt5tupleIJNSF_6TensorESM_SM_EERKSM_lbbbEUlllE0_EEPmJS9_EEE10hipError_tPvRmT3_T4_T5_T6_T7_T9_mT8_P12ihipStream_tbDpT10_ENKUlT_T0_E_clISt17integral_constantIbLb0EES1B_IbLb1EEEEDaS17_S18_EUlS17_E_NS1_11comp_targetILNS1_3genE3ELNS1_11target_archE908ELNS1_3gpuE7ELNS1_3repE0EEENS1_30default_config_static_selectorELNS0_4arch9wavefront6targetE0EEEvT1_.has_dyn_sized_stack, 0
	.set _ZN7rocprim17ROCPRIM_400000_NS6detail17trampoline_kernelINS0_14default_configENS1_25partition_config_selectorILNS1_17partition_subalgoE9EllbEEZZNS1_14partition_implILS5_9ELb0ES3_jPlS8_PNS0_10empty_typeENS0_5tupleIJS8_S9_EEENSB_IJS8_SA_EEENS0_18inequality_wrapperIZN2at6native12_GLOBAL__N_124unique_dim_cuda_templateIN3c104HalfEEESt5tupleIJNSF_6TensorESM_SM_EERKSM_lbbbEUlllE0_EEPmJS9_EEE10hipError_tPvRmT3_T4_T5_T6_T7_T9_mT8_P12ihipStream_tbDpT10_ENKUlT_T0_E_clISt17integral_constantIbLb0EES1B_IbLb1EEEEDaS17_S18_EUlS17_E_NS1_11comp_targetILNS1_3genE3ELNS1_11target_archE908ELNS1_3gpuE7ELNS1_3repE0EEENS1_30default_config_static_selectorELNS0_4arch9wavefront6targetE0EEEvT1_.has_recursion, 0
	.set _ZN7rocprim17ROCPRIM_400000_NS6detail17trampoline_kernelINS0_14default_configENS1_25partition_config_selectorILNS1_17partition_subalgoE9EllbEEZZNS1_14partition_implILS5_9ELb0ES3_jPlS8_PNS0_10empty_typeENS0_5tupleIJS8_S9_EEENSB_IJS8_SA_EEENS0_18inequality_wrapperIZN2at6native12_GLOBAL__N_124unique_dim_cuda_templateIN3c104HalfEEESt5tupleIJNSF_6TensorESM_SM_EERKSM_lbbbEUlllE0_EEPmJS9_EEE10hipError_tPvRmT3_T4_T5_T6_T7_T9_mT8_P12ihipStream_tbDpT10_ENKUlT_T0_E_clISt17integral_constantIbLb0EES1B_IbLb1EEEEDaS17_S18_EUlS17_E_NS1_11comp_targetILNS1_3genE3ELNS1_11target_archE908ELNS1_3gpuE7ELNS1_3repE0EEENS1_30default_config_static_selectorELNS0_4arch9wavefront6targetE0EEEvT1_.has_indirect_call, 0
	.section	.AMDGPU.csdata,"",@progbits
; Kernel info:
; codeLenInByte = 0
; TotalNumSgprs: 0
; NumVgprs: 0
; ScratchSize: 0
; MemoryBound: 0
; FloatMode: 240
; IeeeMode: 1
; LDSByteSize: 0 bytes/workgroup (compile time only)
; SGPRBlocks: 0
; VGPRBlocks: 0
; NumSGPRsForWavesPerEU: 1
; NumVGPRsForWavesPerEU: 1
; NamedBarCnt: 0
; Occupancy: 16
; WaveLimiterHint : 0
; COMPUTE_PGM_RSRC2:SCRATCH_EN: 0
; COMPUTE_PGM_RSRC2:USER_SGPR: 2
; COMPUTE_PGM_RSRC2:TRAP_HANDLER: 0
; COMPUTE_PGM_RSRC2:TGID_X_EN: 1
; COMPUTE_PGM_RSRC2:TGID_Y_EN: 0
; COMPUTE_PGM_RSRC2:TGID_Z_EN: 0
; COMPUTE_PGM_RSRC2:TIDIG_COMP_CNT: 0
	.section	.text._ZN7rocprim17ROCPRIM_400000_NS6detail17trampoline_kernelINS0_14default_configENS1_25partition_config_selectorILNS1_17partition_subalgoE9EllbEEZZNS1_14partition_implILS5_9ELb0ES3_jPlS8_PNS0_10empty_typeENS0_5tupleIJS8_S9_EEENSB_IJS8_SA_EEENS0_18inequality_wrapperIZN2at6native12_GLOBAL__N_124unique_dim_cuda_templateIN3c104HalfEEESt5tupleIJNSF_6TensorESM_SM_EERKSM_lbbbEUlllE0_EEPmJS9_EEE10hipError_tPvRmT3_T4_T5_T6_T7_T9_mT8_P12ihipStream_tbDpT10_ENKUlT_T0_E_clISt17integral_constantIbLb0EES1B_IbLb1EEEEDaS17_S18_EUlS17_E_NS1_11comp_targetILNS1_3genE2ELNS1_11target_archE906ELNS1_3gpuE6ELNS1_3repE0EEENS1_30default_config_static_selectorELNS0_4arch9wavefront6targetE0EEEvT1_,"axG",@progbits,_ZN7rocprim17ROCPRIM_400000_NS6detail17trampoline_kernelINS0_14default_configENS1_25partition_config_selectorILNS1_17partition_subalgoE9EllbEEZZNS1_14partition_implILS5_9ELb0ES3_jPlS8_PNS0_10empty_typeENS0_5tupleIJS8_S9_EEENSB_IJS8_SA_EEENS0_18inequality_wrapperIZN2at6native12_GLOBAL__N_124unique_dim_cuda_templateIN3c104HalfEEESt5tupleIJNSF_6TensorESM_SM_EERKSM_lbbbEUlllE0_EEPmJS9_EEE10hipError_tPvRmT3_T4_T5_T6_T7_T9_mT8_P12ihipStream_tbDpT10_ENKUlT_T0_E_clISt17integral_constantIbLb0EES1B_IbLb1EEEEDaS17_S18_EUlS17_E_NS1_11comp_targetILNS1_3genE2ELNS1_11target_archE906ELNS1_3gpuE6ELNS1_3repE0EEENS1_30default_config_static_selectorELNS0_4arch9wavefront6targetE0EEEvT1_,comdat
	.globl	_ZN7rocprim17ROCPRIM_400000_NS6detail17trampoline_kernelINS0_14default_configENS1_25partition_config_selectorILNS1_17partition_subalgoE9EllbEEZZNS1_14partition_implILS5_9ELb0ES3_jPlS8_PNS0_10empty_typeENS0_5tupleIJS8_S9_EEENSB_IJS8_SA_EEENS0_18inequality_wrapperIZN2at6native12_GLOBAL__N_124unique_dim_cuda_templateIN3c104HalfEEESt5tupleIJNSF_6TensorESM_SM_EERKSM_lbbbEUlllE0_EEPmJS9_EEE10hipError_tPvRmT3_T4_T5_T6_T7_T9_mT8_P12ihipStream_tbDpT10_ENKUlT_T0_E_clISt17integral_constantIbLb0EES1B_IbLb1EEEEDaS17_S18_EUlS17_E_NS1_11comp_targetILNS1_3genE2ELNS1_11target_archE906ELNS1_3gpuE6ELNS1_3repE0EEENS1_30default_config_static_selectorELNS0_4arch9wavefront6targetE0EEEvT1_ ; -- Begin function _ZN7rocprim17ROCPRIM_400000_NS6detail17trampoline_kernelINS0_14default_configENS1_25partition_config_selectorILNS1_17partition_subalgoE9EllbEEZZNS1_14partition_implILS5_9ELb0ES3_jPlS8_PNS0_10empty_typeENS0_5tupleIJS8_S9_EEENSB_IJS8_SA_EEENS0_18inequality_wrapperIZN2at6native12_GLOBAL__N_124unique_dim_cuda_templateIN3c104HalfEEESt5tupleIJNSF_6TensorESM_SM_EERKSM_lbbbEUlllE0_EEPmJS9_EEE10hipError_tPvRmT3_T4_T5_T6_T7_T9_mT8_P12ihipStream_tbDpT10_ENKUlT_T0_E_clISt17integral_constantIbLb0EES1B_IbLb1EEEEDaS17_S18_EUlS17_E_NS1_11comp_targetILNS1_3genE2ELNS1_11target_archE906ELNS1_3gpuE6ELNS1_3repE0EEENS1_30default_config_static_selectorELNS0_4arch9wavefront6targetE0EEEvT1_
	.p2align	8
	.type	_ZN7rocprim17ROCPRIM_400000_NS6detail17trampoline_kernelINS0_14default_configENS1_25partition_config_selectorILNS1_17partition_subalgoE9EllbEEZZNS1_14partition_implILS5_9ELb0ES3_jPlS8_PNS0_10empty_typeENS0_5tupleIJS8_S9_EEENSB_IJS8_SA_EEENS0_18inequality_wrapperIZN2at6native12_GLOBAL__N_124unique_dim_cuda_templateIN3c104HalfEEESt5tupleIJNSF_6TensorESM_SM_EERKSM_lbbbEUlllE0_EEPmJS9_EEE10hipError_tPvRmT3_T4_T5_T6_T7_T9_mT8_P12ihipStream_tbDpT10_ENKUlT_T0_E_clISt17integral_constantIbLb0EES1B_IbLb1EEEEDaS17_S18_EUlS17_E_NS1_11comp_targetILNS1_3genE2ELNS1_11target_archE906ELNS1_3gpuE6ELNS1_3repE0EEENS1_30default_config_static_selectorELNS0_4arch9wavefront6targetE0EEEvT1_,@function
_ZN7rocprim17ROCPRIM_400000_NS6detail17trampoline_kernelINS0_14default_configENS1_25partition_config_selectorILNS1_17partition_subalgoE9EllbEEZZNS1_14partition_implILS5_9ELb0ES3_jPlS8_PNS0_10empty_typeENS0_5tupleIJS8_S9_EEENSB_IJS8_SA_EEENS0_18inequality_wrapperIZN2at6native12_GLOBAL__N_124unique_dim_cuda_templateIN3c104HalfEEESt5tupleIJNSF_6TensorESM_SM_EERKSM_lbbbEUlllE0_EEPmJS9_EEE10hipError_tPvRmT3_T4_T5_T6_T7_T9_mT8_P12ihipStream_tbDpT10_ENKUlT_T0_E_clISt17integral_constantIbLb0EES1B_IbLb1EEEEDaS17_S18_EUlS17_E_NS1_11comp_targetILNS1_3genE2ELNS1_11target_archE906ELNS1_3gpuE6ELNS1_3repE0EEENS1_30default_config_static_selectorELNS0_4arch9wavefront6targetE0EEEvT1_: ; @_ZN7rocprim17ROCPRIM_400000_NS6detail17trampoline_kernelINS0_14default_configENS1_25partition_config_selectorILNS1_17partition_subalgoE9EllbEEZZNS1_14partition_implILS5_9ELb0ES3_jPlS8_PNS0_10empty_typeENS0_5tupleIJS8_S9_EEENSB_IJS8_SA_EEENS0_18inequality_wrapperIZN2at6native12_GLOBAL__N_124unique_dim_cuda_templateIN3c104HalfEEESt5tupleIJNSF_6TensorESM_SM_EERKSM_lbbbEUlllE0_EEPmJS9_EEE10hipError_tPvRmT3_T4_T5_T6_T7_T9_mT8_P12ihipStream_tbDpT10_ENKUlT_T0_E_clISt17integral_constantIbLb0EES1B_IbLb1EEEEDaS17_S18_EUlS17_E_NS1_11comp_targetILNS1_3genE2ELNS1_11target_archE906ELNS1_3gpuE6ELNS1_3repE0EEENS1_30default_config_static_selectorELNS0_4arch9wavefront6targetE0EEEvT1_
; %bb.0:
	.section	.rodata,"a",@progbits
	.p2align	6, 0x0
	.amdhsa_kernel _ZN7rocprim17ROCPRIM_400000_NS6detail17trampoline_kernelINS0_14default_configENS1_25partition_config_selectorILNS1_17partition_subalgoE9EllbEEZZNS1_14partition_implILS5_9ELb0ES3_jPlS8_PNS0_10empty_typeENS0_5tupleIJS8_S9_EEENSB_IJS8_SA_EEENS0_18inequality_wrapperIZN2at6native12_GLOBAL__N_124unique_dim_cuda_templateIN3c104HalfEEESt5tupleIJNSF_6TensorESM_SM_EERKSM_lbbbEUlllE0_EEPmJS9_EEE10hipError_tPvRmT3_T4_T5_T6_T7_T9_mT8_P12ihipStream_tbDpT10_ENKUlT_T0_E_clISt17integral_constantIbLb0EES1B_IbLb1EEEEDaS17_S18_EUlS17_E_NS1_11comp_targetILNS1_3genE2ELNS1_11target_archE906ELNS1_3gpuE6ELNS1_3repE0EEENS1_30default_config_static_selectorELNS0_4arch9wavefront6targetE0EEEvT1_
		.amdhsa_group_segment_fixed_size 0
		.amdhsa_private_segment_fixed_size 0
		.amdhsa_kernarg_size 136
		.amdhsa_user_sgpr_count 2
		.amdhsa_user_sgpr_dispatch_ptr 0
		.amdhsa_user_sgpr_queue_ptr 0
		.amdhsa_user_sgpr_kernarg_segment_ptr 1
		.amdhsa_user_sgpr_dispatch_id 0
		.amdhsa_user_sgpr_kernarg_preload_length 0
		.amdhsa_user_sgpr_kernarg_preload_offset 0
		.amdhsa_user_sgpr_private_segment_size 0
		.amdhsa_wavefront_size32 1
		.amdhsa_uses_dynamic_stack 0
		.amdhsa_enable_private_segment 0
		.amdhsa_system_sgpr_workgroup_id_x 1
		.amdhsa_system_sgpr_workgroup_id_y 0
		.amdhsa_system_sgpr_workgroup_id_z 0
		.amdhsa_system_sgpr_workgroup_info 0
		.amdhsa_system_vgpr_workitem_id 0
		.amdhsa_next_free_vgpr 1
		.amdhsa_next_free_sgpr 1
		.amdhsa_named_barrier_count 0
		.amdhsa_reserve_vcc 0
		.amdhsa_float_round_mode_32 0
		.amdhsa_float_round_mode_16_64 0
		.amdhsa_float_denorm_mode_32 3
		.amdhsa_float_denorm_mode_16_64 3
		.amdhsa_fp16_overflow 0
		.amdhsa_memory_ordered 1
		.amdhsa_forward_progress 1
		.amdhsa_inst_pref_size 0
		.amdhsa_round_robin_scheduling 0
		.amdhsa_exception_fp_ieee_invalid_op 0
		.amdhsa_exception_fp_denorm_src 0
		.amdhsa_exception_fp_ieee_div_zero 0
		.amdhsa_exception_fp_ieee_overflow 0
		.amdhsa_exception_fp_ieee_underflow 0
		.amdhsa_exception_fp_ieee_inexact 0
		.amdhsa_exception_int_div_zero 0
	.end_amdhsa_kernel
	.section	.text._ZN7rocprim17ROCPRIM_400000_NS6detail17trampoline_kernelINS0_14default_configENS1_25partition_config_selectorILNS1_17partition_subalgoE9EllbEEZZNS1_14partition_implILS5_9ELb0ES3_jPlS8_PNS0_10empty_typeENS0_5tupleIJS8_S9_EEENSB_IJS8_SA_EEENS0_18inequality_wrapperIZN2at6native12_GLOBAL__N_124unique_dim_cuda_templateIN3c104HalfEEESt5tupleIJNSF_6TensorESM_SM_EERKSM_lbbbEUlllE0_EEPmJS9_EEE10hipError_tPvRmT3_T4_T5_T6_T7_T9_mT8_P12ihipStream_tbDpT10_ENKUlT_T0_E_clISt17integral_constantIbLb0EES1B_IbLb1EEEEDaS17_S18_EUlS17_E_NS1_11comp_targetILNS1_3genE2ELNS1_11target_archE906ELNS1_3gpuE6ELNS1_3repE0EEENS1_30default_config_static_selectorELNS0_4arch9wavefront6targetE0EEEvT1_,"axG",@progbits,_ZN7rocprim17ROCPRIM_400000_NS6detail17trampoline_kernelINS0_14default_configENS1_25partition_config_selectorILNS1_17partition_subalgoE9EllbEEZZNS1_14partition_implILS5_9ELb0ES3_jPlS8_PNS0_10empty_typeENS0_5tupleIJS8_S9_EEENSB_IJS8_SA_EEENS0_18inequality_wrapperIZN2at6native12_GLOBAL__N_124unique_dim_cuda_templateIN3c104HalfEEESt5tupleIJNSF_6TensorESM_SM_EERKSM_lbbbEUlllE0_EEPmJS9_EEE10hipError_tPvRmT3_T4_T5_T6_T7_T9_mT8_P12ihipStream_tbDpT10_ENKUlT_T0_E_clISt17integral_constantIbLb0EES1B_IbLb1EEEEDaS17_S18_EUlS17_E_NS1_11comp_targetILNS1_3genE2ELNS1_11target_archE906ELNS1_3gpuE6ELNS1_3repE0EEENS1_30default_config_static_selectorELNS0_4arch9wavefront6targetE0EEEvT1_,comdat
.Lfunc_end1357:
	.size	_ZN7rocprim17ROCPRIM_400000_NS6detail17trampoline_kernelINS0_14default_configENS1_25partition_config_selectorILNS1_17partition_subalgoE9EllbEEZZNS1_14partition_implILS5_9ELb0ES3_jPlS8_PNS0_10empty_typeENS0_5tupleIJS8_S9_EEENSB_IJS8_SA_EEENS0_18inequality_wrapperIZN2at6native12_GLOBAL__N_124unique_dim_cuda_templateIN3c104HalfEEESt5tupleIJNSF_6TensorESM_SM_EERKSM_lbbbEUlllE0_EEPmJS9_EEE10hipError_tPvRmT3_T4_T5_T6_T7_T9_mT8_P12ihipStream_tbDpT10_ENKUlT_T0_E_clISt17integral_constantIbLb0EES1B_IbLb1EEEEDaS17_S18_EUlS17_E_NS1_11comp_targetILNS1_3genE2ELNS1_11target_archE906ELNS1_3gpuE6ELNS1_3repE0EEENS1_30default_config_static_selectorELNS0_4arch9wavefront6targetE0EEEvT1_, .Lfunc_end1357-_ZN7rocprim17ROCPRIM_400000_NS6detail17trampoline_kernelINS0_14default_configENS1_25partition_config_selectorILNS1_17partition_subalgoE9EllbEEZZNS1_14partition_implILS5_9ELb0ES3_jPlS8_PNS0_10empty_typeENS0_5tupleIJS8_S9_EEENSB_IJS8_SA_EEENS0_18inequality_wrapperIZN2at6native12_GLOBAL__N_124unique_dim_cuda_templateIN3c104HalfEEESt5tupleIJNSF_6TensorESM_SM_EERKSM_lbbbEUlllE0_EEPmJS9_EEE10hipError_tPvRmT3_T4_T5_T6_T7_T9_mT8_P12ihipStream_tbDpT10_ENKUlT_T0_E_clISt17integral_constantIbLb0EES1B_IbLb1EEEEDaS17_S18_EUlS17_E_NS1_11comp_targetILNS1_3genE2ELNS1_11target_archE906ELNS1_3gpuE6ELNS1_3repE0EEENS1_30default_config_static_selectorELNS0_4arch9wavefront6targetE0EEEvT1_
                                        ; -- End function
	.set _ZN7rocprim17ROCPRIM_400000_NS6detail17trampoline_kernelINS0_14default_configENS1_25partition_config_selectorILNS1_17partition_subalgoE9EllbEEZZNS1_14partition_implILS5_9ELb0ES3_jPlS8_PNS0_10empty_typeENS0_5tupleIJS8_S9_EEENSB_IJS8_SA_EEENS0_18inequality_wrapperIZN2at6native12_GLOBAL__N_124unique_dim_cuda_templateIN3c104HalfEEESt5tupleIJNSF_6TensorESM_SM_EERKSM_lbbbEUlllE0_EEPmJS9_EEE10hipError_tPvRmT3_T4_T5_T6_T7_T9_mT8_P12ihipStream_tbDpT10_ENKUlT_T0_E_clISt17integral_constantIbLb0EES1B_IbLb1EEEEDaS17_S18_EUlS17_E_NS1_11comp_targetILNS1_3genE2ELNS1_11target_archE906ELNS1_3gpuE6ELNS1_3repE0EEENS1_30default_config_static_selectorELNS0_4arch9wavefront6targetE0EEEvT1_.num_vgpr, 0
	.set _ZN7rocprim17ROCPRIM_400000_NS6detail17trampoline_kernelINS0_14default_configENS1_25partition_config_selectorILNS1_17partition_subalgoE9EllbEEZZNS1_14partition_implILS5_9ELb0ES3_jPlS8_PNS0_10empty_typeENS0_5tupleIJS8_S9_EEENSB_IJS8_SA_EEENS0_18inequality_wrapperIZN2at6native12_GLOBAL__N_124unique_dim_cuda_templateIN3c104HalfEEESt5tupleIJNSF_6TensorESM_SM_EERKSM_lbbbEUlllE0_EEPmJS9_EEE10hipError_tPvRmT3_T4_T5_T6_T7_T9_mT8_P12ihipStream_tbDpT10_ENKUlT_T0_E_clISt17integral_constantIbLb0EES1B_IbLb1EEEEDaS17_S18_EUlS17_E_NS1_11comp_targetILNS1_3genE2ELNS1_11target_archE906ELNS1_3gpuE6ELNS1_3repE0EEENS1_30default_config_static_selectorELNS0_4arch9wavefront6targetE0EEEvT1_.num_agpr, 0
	.set _ZN7rocprim17ROCPRIM_400000_NS6detail17trampoline_kernelINS0_14default_configENS1_25partition_config_selectorILNS1_17partition_subalgoE9EllbEEZZNS1_14partition_implILS5_9ELb0ES3_jPlS8_PNS0_10empty_typeENS0_5tupleIJS8_S9_EEENSB_IJS8_SA_EEENS0_18inequality_wrapperIZN2at6native12_GLOBAL__N_124unique_dim_cuda_templateIN3c104HalfEEESt5tupleIJNSF_6TensorESM_SM_EERKSM_lbbbEUlllE0_EEPmJS9_EEE10hipError_tPvRmT3_T4_T5_T6_T7_T9_mT8_P12ihipStream_tbDpT10_ENKUlT_T0_E_clISt17integral_constantIbLb0EES1B_IbLb1EEEEDaS17_S18_EUlS17_E_NS1_11comp_targetILNS1_3genE2ELNS1_11target_archE906ELNS1_3gpuE6ELNS1_3repE0EEENS1_30default_config_static_selectorELNS0_4arch9wavefront6targetE0EEEvT1_.numbered_sgpr, 0
	.set _ZN7rocprim17ROCPRIM_400000_NS6detail17trampoline_kernelINS0_14default_configENS1_25partition_config_selectorILNS1_17partition_subalgoE9EllbEEZZNS1_14partition_implILS5_9ELb0ES3_jPlS8_PNS0_10empty_typeENS0_5tupleIJS8_S9_EEENSB_IJS8_SA_EEENS0_18inequality_wrapperIZN2at6native12_GLOBAL__N_124unique_dim_cuda_templateIN3c104HalfEEESt5tupleIJNSF_6TensorESM_SM_EERKSM_lbbbEUlllE0_EEPmJS9_EEE10hipError_tPvRmT3_T4_T5_T6_T7_T9_mT8_P12ihipStream_tbDpT10_ENKUlT_T0_E_clISt17integral_constantIbLb0EES1B_IbLb1EEEEDaS17_S18_EUlS17_E_NS1_11comp_targetILNS1_3genE2ELNS1_11target_archE906ELNS1_3gpuE6ELNS1_3repE0EEENS1_30default_config_static_selectorELNS0_4arch9wavefront6targetE0EEEvT1_.num_named_barrier, 0
	.set _ZN7rocprim17ROCPRIM_400000_NS6detail17trampoline_kernelINS0_14default_configENS1_25partition_config_selectorILNS1_17partition_subalgoE9EllbEEZZNS1_14partition_implILS5_9ELb0ES3_jPlS8_PNS0_10empty_typeENS0_5tupleIJS8_S9_EEENSB_IJS8_SA_EEENS0_18inequality_wrapperIZN2at6native12_GLOBAL__N_124unique_dim_cuda_templateIN3c104HalfEEESt5tupleIJNSF_6TensorESM_SM_EERKSM_lbbbEUlllE0_EEPmJS9_EEE10hipError_tPvRmT3_T4_T5_T6_T7_T9_mT8_P12ihipStream_tbDpT10_ENKUlT_T0_E_clISt17integral_constantIbLb0EES1B_IbLb1EEEEDaS17_S18_EUlS17_E_NS1_11comp_targetILNS1_3genE2ELNS1_11target_archE906ELNS1_3gpuE6ELNS1_3repE0EEENS1_30default_config_static_selectorELNS0_4arch9wavefront6targetE0EEEvT1_.private_seg_size, 0
	.set _ZN7rocprim17ROCPRIM_400000_NS6detail17trampoline_kernelINS0_14default_configENS1_25partition_config_selectorILNS1_17partition_subalgoE9EllbEEZZNS1_14partition_implILS5_9ELb0ES3_jPlS8_PNS0_10empty_typeENS0_5tupleIJS8_S9_EEENSB_IJS8_SA_EEENS0_18inequality_wrapperIZN2at6native12_GLOBAL__N_124unique_dim_cuda_templateIN3c104HalfEEESt5tupleIJNSF_6TensorESM_SM_EERKSM_lbbbEUlllE0_EEPmJS9_EEE10hipError_tPvRmT3_T4_T5_T6_T7_T9_mT8_P12ihipStream_tbDpT10_ENKUlT_T0_E_clISt17integral_constantIbLb0EES1B_IbLb1EEEEDaS17_S18_EUlS17_E_NS1_11comp_targetILNS1_3genE2ELNS1_11target_archE906ELNS1_3gpuE6ELNS1_3repE0EEENS1_30default_config_static_selectorELNS0_4arch9wavefront6targetE0EEEvT1_.uses_vcc, 0
	.set _ZN7rocprim17ROCPRIM_400000_NS6detail17trampoline_kernelINS0_14default_configENS1_25partition_config_selectorILNS1_17partition_subalgoE9EllbEEZZNS1_14partition_implILS5_9ELb0ES3_jPlS8_PNS0_10empty_typeENS0_5tupleIJS8_S9_EEENSB_IJS8_SA_EEENS0_18inequality_wrapperIZN2at6native12_GLOBAL__N_124unique_dim_cuda_templateIN3c104HalfEEESt5tupleIJNSF_6TensorESM_SM_EERKSM_lbbbEUlllE0_EEPmJS9_EEE10hipError_tPvRmT3_T4_T5_T6_T7_T9_mT8_P12ihipStream_tbDpT10_ENKUlT_T0_E_clISt17integral_constantIbLb0EES1B_IbLb1EEEEDaS17_S18_EUlS17_E_NS1_11comp_targetILNS1_3genE2ELNS1_11target_archE906ELNS1_3gpuE6ELNS1_3repE0EEENS1_30default_config_static_selectorELNS0_4arch9wavefront6targetE0EEEvT1_.uses_flat_scratch, 0
	.set _ZN7rocprim17ROCPRIM_400000_NS6detail17trampoline_kernelINS0_14default_configENS1_25partition_config_selectorILNS1_17partition_subalgoE9EllbEEZZNS1_14partition_implILS5_9ELb0ES3_jPlS8_PNS0_10empty_typeENS0_5tupleIJS8_S9_EEENSB_IJS8_SA_EEENS0_18inequality_wrapperIZN2at6native12_GLOBAL__N_124unique_dim_cuda_templateIN3c104HalfEEESt5tupleIJNSF_6TensorESM_SM_EERKSM_lbbbEUlllE0_EEPmJS9_EEE10hipError_tPvRmT3_T4_T5_T6_T7_T9_mT8_P12ihipStream_tbDpT10_ENKUlT_T0_E_clISt17integral_constantIbLb0EES1B_IbLb1EEEEDaS17_S18_EUlS17_E_NS1_11comp_targetILNS1_3genE2ELNS1_11target_archE906ELNS1_3gpuE6ELNS1_3repE0EEENS1_30default_config_static_selectorELNS0_4arch9wavefront6targetE0EEEvT1_.has_dyn_sized_stack, 0
	.set _ZN7rocprim17ROCPRIM_400000_NS6detail17trampoline_kernelINS0_14default_configENS1_25partition_config_selectorILNS1_17partition_subalgoE9EllbEEZZNS1_14partition_implILS5_9ELb0ES3_jPlS8_PNS0_10empty_typeENS0_5tupleIJS8_S9_EEENSB_IJS8_SA_EEENS0_18inequality_wrapperIZN2at6native12_GLOBAL__N_124unique_dim_cuda_templateIN3c104HalfEEESt5tupleIJNSF_6TensorESM_SM_EERKSM_lbbbEUlllE0_EEPmJS9_EEE10hipError_tPvRmT3_T4_T5_T6_T7_T9_mT8_P12ihipStream_tbDpT10_ENKUlT_T0_E_clISt17integral_constantIbLb0EES1B_IbLb1EEEEDaS17_S18_EUlS17_E_NS1_11comp_targetILNS1_3genE2ELNS1_11target_archE906ELNS1_3gpuE6ELNS1_3repE0EEENS1_30default_config_static_selectorELNS0_4arch9wavefront6targetE0EEEvT1_.has_recursion, 0
	.set _ZN7rocprim17ROCPRIM_400000_NS6detail17trampoline_kernelINS0_14default_configENS1_25partition_config_selectorILNS1_17partition_subalgoE9EllbEEZZNS1_14partition_implILS5_9ELb0ES3_jPlS8_PNS0_10empty_typeENS0_5tupleIJS8_S9_EEENSB_IJS8_SA_EEENS0_18inequality_wrapperIZN2at6native12_GLOBAL__N_124unique_dim_cuda_templateIN3c104HalfEEESt5tupleIJNSF_6TensorESM_SM_EERKSM_lbbbEUlllE0_EEPmJS9_EEE10hipError_tPvRmT3_T4_T5_T6_T7_T9_mT8_P12ihipStream_tbDpT10_ENKUlT_T0_E_clISt17integral_constantIbLb0EES1B_IbLb1EEEEDaS17_S18_EUlS17_E_NS1_11comp_targetILNS1_3genE2ELNS1_11target_archE906ELNS1_3gpuE6ELNS1_3repE0EEENS1_30default_config_static_selectorELNS0_4arch9wavefront6targetE0EEEvT1_.has_indirect_call, 0
	.section	.AMDGPU.csdata,"",@progbits
; Kernel info:
; codeLenInByte = 0
; TotalNumSgprs: 0
; NumVgprs: 0
; ScratchSize: 0
; MemoryBound: 0
; FloatMode: 240
; IeeeMode: 1
; LDSByteSize: 0 bytes/workgroup (compile time only)
; SGPRBlocks: 0
; VGPRBlocks: 0
; NumSGPRsForWavesPerEU: 1
; NumVGPRsForWavesPerEU: 1
; NamedBarCnt: 0
; Occupancy: 16
; WaveLimiterHint : 0
; COMPUTE_PGM_RSRC2:SCRATCH_EN: 0
; COMPUTE_PGM_RSRC2:USER_SGPR: 2
; COMPUTE_PGM_RSRC2:TRAP_HANDLER: 0
; COMPUTE_PGM_RSRC2:TGID_X_EN: 1
; COMPUTE_PGM_RSRC2:TGID_Y_EN: 0
; COMPUTE_PGM_RSRC2:TGID_Z_EN: 0
; COMPUTE_PGM_RSRC2:TIDIG_COMP_CNT: 0
	.section	.text._ZN7rocprim17ROCPRIM_400000_NS6detail17trampoline_kernelINS0_14default_configENS1_25partition_config_selectorILNS1_17partition_subalgoE9EllbEEZZNS1_14partition_implILS5_9ELb0ES3_jPlS8_PNS0_10empty_typeENS0_5tupleIJS8_S9_EEENSB_IJS8_SA_EEENS0_18inequality_wrapperIZN2at6native12_GLOBAL__N_124unique_dim_cuda_templateIN3c104HalfEEESt5tupleIJNSF_6TensorESM_SM_EERKSM_lbbbEUlllE0_EEPmJS9_EEE10hipError_tPvRmT3_T4_T5_T6_T7_T9_mT8_P12ihipStream_tbDpT10_ENKUlT_T0_E_clISt17integral_constantIbLb0EES1B_IbLb1EEEEDaS17_S18_EUlS17_E_NS1_11comp_targetILNS1_3genE10ELNS1_11target_archE1200ELNS1_3gpuE4ELNS1_3repE0EEENS1_30default_config_static_selectorELNS0_4arch9wavefront6targetE0EEEvT1_,"axG",@progbits,_ZN7rocprim17ROCPRIM_400000_NS6detail17trampoline_kernelINS0_14default_configENS1_25partition_config_selectorILNS1_17partition_subalgoE9EllbEEZZNS1_14partition_implILS5_9ELb0ES3_jPlS8_PNS0_10empty_typeENS0_5tupleIJS8_S9_EEENSB_IJS8_SA_EEENS0_18inequality_wrapperIZN2at6native12_GLOBAL__N_124unique_dim_cuda_templateIN3c104HalfEEESt5tupleIJNSF_6TensorESM_SM_EERKSM_lbbbEUlllE0_EEPmJS9_EEE10hipError_tPvRmT3_T4_T5_T6_T7_T9_mT8_P12ihipStream_tbDpT10_ENKUlT_T0_E_clISt17integral_constantIbLb0EES1B_IbLb1EEEEDaS17_S18_EUlS17_E_NS1_11comp_targetILNS1_3genE10ELNS1_11target_archE1200ELNS1_3gpuE4ELNS1_3repE0EEENS1_30default_config_static_selectorELNS0_4arch9wavefront6targetE0EEEvT1_,comdat
	.globl	_ZN7rocprim17ROCPRIM_400000_NS6detail17trampoline_kernelINS0_14default_configENS1_25partition_config_selectorILNS1_17partition_subalgoE9EllbEEZZNS1_14partition_implILS5_9ELb0ES3_jPlS8_PNS0_10empty_typeENS0_5tupleIJS8_S9_EEENSB_IJS8_SA_EEENS0_18inequality_wrapperIZN2at6native12_GLOBAL__N_124unique_dim_cuda_templateIN3c104HalfEEESt5tupleIJNSF_6TensorESM_SM_EERKSM_lbbbEUlllE0_EEPmJS9_EEE10hipError_tPvRmT3_T4_T5_T6_T7_T9_mT8_P12ihipStream_tbDpT10_ENKUlT_T0_E_clISt17integral_constantIbLb0EES1B_IbLb1EEEEDaS17_S18_EUlS17_E_NS1_11comp_targetILNS1_3genE10ELNS1_11target_archE1200ELNS1_3gpuE4ELNS1_3repE0EEENS1_30default_config_static_selectorELNS0_4arch9wavefront6targetE0EEEvT1_ ; -- Begin function _ZN7rocprim17ROCPRIM_400000_NS6detail17trampoline_kernelINS0_14default_configENS1_25partition_config_selectorILNS1_17partition_subalgoE9EllbEEZZNS1_14partition_implILS5_9ELb0ES3_jPlS8_PNS0_10empty_typeENS0_5tupleIJS8_S9_EEENSB_IJS8_SA_EEENS0_18inequality_wrapperIZN2at6native12_GLOBAL__N_124unique_dim_cuda_templateIN3c104HalfEEESt5tupleIJNSF_6TensorESM_SM_EERKSM_lbbbEUlllE0_EEPmJS9_EEE10hipError_tPvRmT3_T4_T5_T6_T7_T9_mT8_P12ihipStream_tbDpT10_ENKUlT_T0_E_clISt17integral_constantIbLb0EES1B_IbLb1EEEEDaS17_S18_EUlS17_E_NS1_11comp_targetILNS1_3genE10ELNS1_11target_archE1200ELNS1_3gpuE4ELNS1_3repE0EEENS1_30default_config_static_selectorELNS0_4arch9wavefront6targetE0EEEvT1_
	.p2align	8
	.type	_ZN7rocprim17ROCPRIM_400000_NS6detail17trampoline_kernelINS0_14default_configENS1_25partition_config_selectorILNS1_17partition_subalgoE9EllbEEZZNS1_14partition_implILS5_9ELb0ES3_jPlS8_PNS0_10empty_typeENS0_5tupleIJS8_S9_EEENSB_IJS8_SA_EEENS0_18inequality_wrapperIZN2at6native12_GLOBAL__N_124unique_dim_cuda_templateIN3c104HalfEEESt5tupleIJNSF_6TensorESM_SM_EERKSM_lbbbEUlllE0_EEPmJS9_EEE10hipError_tPvRmT3_T4_T5_T6_T7_T9_mT8_P12ihipStream_tbDpT10_ENKUlT_T0_E_clISt17integral_constantIbLb0EES1B_IbLb1EEEEDaS17_S18_EUlS17_E_NS1_11comp_targetILNS1_3genE10ELNS1_11target_archE1200ELNS1_3gpuE4ELNS1_3repE0EEENS1_30default_config_static_selectorELNS0_4arch9wavefront6targetE0EEEvT1_,@function
_ZN7rocprim17ROCPRIM_400000_NS6detail17trampoline_kernelINS0_14default_configENS1_25partition_config_selectorILNS1_17partition_subalgoE9EllbEEZZNS1_14partition_implILS5_9ELb0ES3_jPlS8_PNS0_10empty_typeENS0_5tupleIJS8_S9_EEENSB_IJS8_SA_EEENS0_18inequality_wrapperIZN2at6native12_GLOBAL__N_124unique_dim_cuda_templateIN3c104HalfEEESt5tupleIJNSF_6TensorESM_SM_EERKSM_lbbbEUlllE0_EEPmJS9_EEE10hipError_tPvRmT3_T4_T5_T6_T7_T9_mT8_P12ihipStream_tbDpT10_ENKUlT_T0_E_clISt17integral_constantIbLb0EES1B_IbLb1EEEEDaS17_S18_EUlS17_E_NS1_11comp_targetILNS1_3genE10ELNS1_11target_archE1200ELNS1_3gpuE4ELNS1_3repE0EEENS1_30default_config_static_selectorELNS0_4arch9wavefront6targetE0EEEvT1_: ; @_ZN7rocprim17ROCPRIM_400000_NS6detail17trampoline_kernelINS0_14default_configENS1_25partition_config_selectorILNS1_17partition_subalgoE9EllbEEZZNS1_14partition_implILS5_9ELb0ES3_jPlS8_PNS0_10empty_typeENS0_5tupleIJS8_S9_EEENSB_IJS8_SA_EEENS0_18inequality_wrapperIZN2at6native12_GLOBAL__N_124unique_dim_cuda_templateIN3c104HalfEEESt5tupleIJNSF_6TensorESM_SM_EERKSM_lbbbEUlllE0_EEPmJS9_EEE10hipError_tPvRmT3_T4_T5_T6_T7_T9_mT8_P12ihipStream_tbDpT10_ENKUlT_T0_E_clISt17integral_constantIbLb0EES1B_IbLb1EEEEDaS17_S18_EUlS17_E_NS1_11comp_targetILNS1_3genE10ELNS1_11target_archE1200ELNS1_3gpuE4ELNS1_3repE0EEENS1_30default_config_static_selectorELNS0_4arch9wavefront6targetE0EEEvT1_
; %bb.0:
	.section	.rodata,"a",@progbits
	.p2align	6, 0x0
	.amdhsa_kernel _ZN7rocprim17ROCPRIM_400000_NS6detail17trampoline_kernelINS0_14default_configENS1_25partition_config_selectorILNS1_17partition_subalgoE9EllbEEZZNS1_14partition_implILS5_9ELb0ES3_jPlS8_PNS0_10empty_typeENS0_5tupleIJS8_S9_EEENSB_IJS8_SA_EEENS0_18inequality_wrapperIZN2at6native12_GLOBAL__N_124unique_dim_cuda_templateIN3c104HalfEEESt5tupleIJNSF_6TensorESM_SM_EERKSM_lbbbEUlllE0_EEPmJS9_EEE10hipError_tPvRmT3_T4_T5_T6_T7_T9_mT8_P12ihipStream_tbDpT10_ENKUlT_T0_E_clISt17integral_constantIbLb0EES1B_IbLb1EEEEDaS17_S18_EUlS17_E_NS1_11comp_targetILNS1_3genE10ELNS1_11target_archE1200ELNS1_3gpuE4ELNS1_3repE0EEENS1_30default_config_static_selectorELNS0_4arch9wavefront6targetE0EEEvT1_
		.amdhsa_group_segment_fixed_size 0
		.amdhsa_private_segment_fixed_size 0
		.amdhsa_kernarg_size 136
		.amdhsa_user_sgpr_count 2
		.amdhsa_user_sgpr_dispatch_ptr 0
		.amdhsa_user_sgpr_queue_ptr 0
		.amdhsa_user_sgpr_kernarg_segment_ptr 1
		.amdhsa_user_sgpr_dispatch_id 0
		.amdhsa_user_sgpr_kernarg_preload_length 0
		.amdhsa_user_sgpr_kernarg_preload_offset 0
		.amdhsa_user_sgpr_private_segment_size 0
		.amdhsa_wavefront_size32 1
		.amdhsa_uses_dynamic_stack 0
		.amdhsa_enable_private_segment 0
		.amdhsa_system_sgpr_workgroup_id_x 1
		.amdhsa_system_sgpr_workgroup_id_y 0
		.amdhsa_system_sgpr_workgroup_id_z 0
		.amdhsa_system_sgpr_workgroup_info 0
		.amdhsa_system_vgpr_workitem_id 0
		.amdhsa_next_free_vgpr 1
		.amdhsa_next_free_sgpr 1
		.amdhsa_named_barrier_count 0
		.amdhsa_reserve_vcc 0
		.amdhsa_float_round_mode_32 0
		.amdhsa_float_round_mode_16_64 0
		.amdhsa_float_denorm_mode_32 3
		.amdhsa_float_denorm_mode_16_64 3
		.amdhsa_fp16_overflow 0
		.amdhsa_memory_ordered 1
		.amdhsa_forward_progress 1
		.amdhsa_inst_pref_size 0
		.amdhsa_round_robin_scheduling 0
		.amdhsa_exception_fp_ieee_invalid_op 0
		.amdhsa_exception_fp_denorm_src 0
		.amdhsa_exception_fp_ieee_div_zero 0
		.amdhsa_exception_fp_ieee_overflow 0
		.amdhsa_exception_fp_ieee_underflow 0
		.amdhsa_exception_fp_ieee_inexact 0
		.amdhsa_exception_int_div_zero 0
	.end_amdhsa_kernel
	.section	.text._ZN7rocprim17ROCPRIM_400000_NS6detail17trampoline_kernelINS0_14default_configENS1_25partition_config_selectorILNS1_17partition_subalgoE9EllbEEZZNS1_14partition_implILS5_9ELb0ES3_jPlS8_PNS0_10empty_typeENS0_5tupleIJS8_S9_EEENSB_IJS8_SA_EEENS0_18inequality_wrapperIZN2at6native12_GLOBAL__N_124unique_dim_cuda_templateIN3c104HalfEEESt5tupleIJNSF_6TensorESM_SM_EERKSM_lbbbEUlllE0_EEPmJS9_EEE10hipError_tPvRmT3_T4_T5_T6_T7_T9_mT8_P12ihipStream_tbDpT10_ENKUlT_T0_E_clISt17integral_constantIbLb0EES1B_IbLb1EEEEDaS17_S18_EUlS17_E_NS1_11comp_targetILNS1_3genE10ELNS1_11target_archE1200ELNS1_3gpuE4ELNS1_3repE0EEENS1_30default_config_static_selectorELNS0_4arch9wavefront6targetE0EEEvT1_,"axG",@progbits,_ZN7rocprim17ROCPRIM_400000_NS6detail17trampoline_kernelINS0_14default_configENS1_25partition_config_selectorILNS1_17partition_subalgoE9EllbEEZZNS1_14partition_implILS5_9ELb0ES3_jPlS8_PNS0_10empty_typeENS0_5tupleIJS8_S9_EEENSB_IJS8_SA_EEENS0_18inequality_wrapperIZN2at6native12_GLOBAL__N_124unique_dim_cuda_templateIN3c104HalfEEESt5tupleIJNSF_6TensorESM_SM_EERKSM_lbbbEUlllE0_EEPmJS9_EEE10hipError_tPvRmT3_T4_T5_T6_T7_T9_mT8_P12ihipStream_tbDpT10_ENKUlT_T0_E_clISt17integral_constantIbLb0EES1B_IbLb1EEEEDaS17_S18_EUlS17_E_NS1_11comp_targetILNS1_3genE10ELNS1_11target_archE1200ELNS1_3gpuE4ELNS1_3repE0EEENS1_30default_config_static_selectorELNS0_4arch9wavefront6targetE0EEEvT1_,comdat
.Lfunc_end1358:
	.size	_ZN7rocprim17ROCPRIM_400000_NS6detail17trampoline_kernelINS0_14default_configENS1_25partition_config_selectorILNS1_17partition_subalgoE9EllbEEZZNS1_14partition_implILS5_9ELb0ES3_jPlS8_PNS0_10empty_typeENS0_5tupleIJS8_S9_EEENSB_IJS8_SA_EEENS0_18inequality_wrapperIZN2at6native12_GLOBAL__N_124unique_dim_cuda_templateIN3c104HalfEEESt5tupleIJNSF_6TensorESM_SM_EERKSM_lbbbEUlllE0_EEPmJS9_EEE10hipError_tPvRmT3_T4_T5_T6_T7_T9_mT8_P12ihipStream_tbDpT10_ENKUlT_T0_E_clISt17integral_constantIbLb0EES1B_IbLb1EEEEDaS17_S18_EUlS17_E_NS1_11comp_targetILNS1_3genE10ELNS1_11target_archE1200ELNS1_3gpuE4ELNS1_3repE0EEENS1_30default_config_static_selectorELNS0_4arch9wavefront6targetE0EEEvT1_, .Lfunc_end1358-_ZN7rocprim17ROCPRIM_400000_NS6detail17trampoline_kernelINS0_14default_configENS1_25partition_config_selectorILNS1_17partition_subalgoE9EllbEEZZNS1_14partition_implILS5_9ELb0ES3_jPlS8_PNS0_10empty_typeENS0_5tupleIJS8_S9_EEENSB_IJS8_SA_EEENS0_18inequality_wrapperIZN2at6native12_GLOBAL__N_124unique_dim_cuda_templateIN3c104HalfEEESt5tupleIJNSF_6TensorESM_SM_EERKSM_lbbbEUlllE0_EEPmJS9_EEE10hipError_tPvRmT3_T4_T5_T6_T7_T9_mT8_P12ihipStream_tbDpT10_ENKUlT_T0_E_clISt17integral_constantIbLb0EES1B_IbLb1EEEEDaS17_S18_EUlS17_E_NS1_11comp_targetILNS1_3genE10ELNS1_11target_archE1200ELNS1_3gpuE4ELNS1_3repE0EEENS1_30default_config_static_selectorELNS0_4arch9wavefront6targetE0EEEvT1_
                                        ; -- End function
	.set _ZN7rocprim17ROCPRIM_400000_NS6detail17trampoline_kernelINS0_14default_configENS1_25partition_config_selectorILNS1_17partition_subalgoE9EllbEEZZNS1_14partition_implILS5_9ELb0ES3_jPlS8_PNS0_10empty_typeENS0_5tupleIJS8_S9_EEENSB_IJS8_SA_EEENS0_18inequality_wrapperIZN2at6native12_GLOBAL__N_124unique_dim_cuda_templateIN3c104HalfEEESt5tupleIJNSF_6TensorESM_SM_EERKSM_lbbbEUlllE0_EEPmJS9_EEE10hipError_tPvRmT3_T4_T5_T6_T7_T9_mT8_P12ihipStream_tbDpT10_ENKUlT_T0_E_clISt17integral_constantIbLb0EES1B_IbLb1EEEEDaS17_S18_EUlS17_E_NS1_11comp_targetILNS1_3genE10ELNS1_11target_archE1200ELNS1_3gpuE4ELNS1_3repE0EEENS1_30default_config_static_selectorELNS0_4arch9wavefront6targetE0EEEvT1_.num_vgpr, 0
	.set _ZN7rocprim17ROCPRIM_400000_NS6detail17trampoline_kernelINS0_14default_configENS1_25partition_config_selectorILNS1_17partition_subalgoE9EllbEEZZNS1_14partition_implILS5_9ELb0ES3_jPlS8_PNS0_10empty_typeENS0_5tupleIJS8_S9_EEENSB_IJS8_SA_EEENS0_18inequality_wrapperIZN2at6native12_GLOBAL__N_124unique_dim_cuda_templateIN3c104HalfEEESt5tupleIJNSF_6TensorESM_SM_EERKSM_lbbbEUlllE0_EEPmJS9_EEE10hipError_tPvRmT3_T4_T5_T6_T7_T9_mT8_P12ihipStream_tbDpT10_ENKUlT_T0_E_clISt17integral_constantIbLb0EES1B_IbLb1EEEEDaS17_S18_EUlS17_E_NS1_11comp_targetILNS1_3genE10ELNS1_11target_archE1200ELNS1_3gpuE4ELNS1_3repE0EEENS1_30default_config_static_selectorELNS0_4arch9wavefront6targetE0EEEvT1_.num_agpr, 0
	.set _ZN7rocprim17ROCPRIM_400000_NS6detail17trampoline_kernelINS0_14default_configENS1_25partition_config_selectorILNS1_17partition_subalgoE9EllbEEZZNS1_14partition_implILS5_9ELb0ES3_jPlS8_PNS0_10empty_typeENS0_5tupleIJS8_S9_EEENSB_IJS8_SA_EEENS0_18inequality_wrapperIZN2at6native12_GLOBAL__N_124unique_dim_cuda_templateIN3c104HalfEEESt5tupleIJNSF_6TensorESM_SM_EERKSM_lbbbEUlllE0_EEPmJS9_EEE10hipError_tPvRmT3_T4_T5_T6_T7_T9_mT8_P12ihipStream_tbDpT10_ENKUlT_T0_E_clISt17integral_constantIbLb0EES1B_IbLb1EEEEDaS17_S18_EUlS17_E_NS1_11comp_targetILNS1_3genE10ELNS1_11target_archE1200ELNS1_3gpuE4ELNS1_3repE0EEENS1_30default_config_static_selectorELNS0_4arch9wavefront6targetE0EEEvT1_.numbered_sgpr, 0
	.set _ZN7rocprim17ROCPRIM_400000_NS6detail17trampoline_kernelINS0_14default_configENS1_25partition_config_selectorILNS1_17partition_subalgoE9EllbEEZZNS1_14partition_implILS5_9ELb0ES3_jPlS8_PNS0_10empty_typeENS0_5tupleIJS8_S9_EEENSB_IJS8_SA_EEENS0_18inequality_wrapperIZN2at6native12_GLOBAL__N_124unique_dim_cuda_templateIN3c104HalfEEESt5tupleIJNSF_6TensorESM_SM_EERKSM_lbbbEUlllE0_EEPmJS9_EEE10hipError_tPvRmT3_T4_T5_T6_T7_T9_mT8_P12ihipStream_tbDpT10_ENKUlT_T0_E_clISt17integral_constantIbLb0EES1B_IbLb1EEEEDaS17_S18_EUlS17_E_NS1_11comp_targetILNS1_3genE10ELNS1_11target_archE1200ELNS1_3gpuE4ELNS1_3repE0EEENS1_30default_config_static_selectorELNS0_4arch9wavefront6targetE0EEEvT1_.num_named_barrier, 0
	.set _ZN7rocprim17ROCPRIM_400000_NS6detail17trampoline_kernelINS0_14default_configENS1_25partition_config_selectorILNS1_17partition_subalgoE9EllbEEZZNS1_14partition_implILS5_9ELb0ES3_jPlS8_PNS0_10empty_typeENS0_5tupleIJS8_S9_EEENSB_IJS8_SA_EEENS0_18inequality_wrapperIZN2at6native12_GLOBAL__N_124unique_dim_cuda_templateIN3c104HalfEEESt5tupleIJNSF_6TensorESM_SM_EERKSM_lbbbEUlllE0_EEPmJS9_EEE10hipError_tPvRmT3_T4_T5_T6_T7_T9_mT8_P12ihipStream_tbDpT10_ENKUlT_T0_E_clISt17integral_constantIbLb0EES1B_IbLb1EEEEDaS17_S18_EUlS17_E_NS1_11comp_targetILNS1_3genE10ELNS1_11target_archE1200ELNS1_3gpuE4ELNS1_3repE0EEENS1_30default_config_static_selectorELNS0_4arch9wavefront6targetE0EEEvT1_.private_seg_size, 0
	.set _ZN7rocprim17ROCPRIM_400000_NS6detail17trampoline_kernelINS0_14default_configENS1_25partition_config_selectorILNS1_17partition_subalgoE9EllbEEZZNS1_14partition_implILS5_9ELb0ES3_jPlS8_PNS0_10empty_typeENS0_5tupleIJS8_S9_EEENSB_IJS8_SA_EEENS0_18inequality_wrapperIZN2at6native12_GLOBAL__N_124unique_dim_cuda_templateIN3c104HalfEEESt5tupleIJNSF_6TensorESM_SM_EERKSM_lbbbEUlllE0_EEPmJS9_EEE10hipError_tPvRmT3_T4_T5_T6_T7_T9_mT8_P12ihipStream_tbDpT10_ENKUlT_T0_E_clISt17integral_constantIbLb0EES1B_IbLb1EEEEDaS17_S18_EUlS17_E_NS1_11comp_targetILNS1_3genE10ELNS1_11target_archE1200ELNS1_3gpuE4ELNS1_3repE0EEENS1_30default_config_static_selectorELNS0_4arch9wavefront6targetE0EEEvT1_.uses_vcc, 0
	.set _ZN7rocprim17ROCPRIM_400000_NS6detail17trampoline_kernelINS0_14default_configENS1_25partition_config_selectorILNS1_17partition_subalgoE9EllbEEZZNS1_14partition_implILS5_9ELb0ES3_jPlS8_PNS0_10empty_typeENS0_5tupleIJS8_S9_EEENSB_IJS8_SA_EEENS0_18inequality_wrapperIZN2at6native12_GLOBAL__N_124unique_dim_cuda_templateIN3c104HalfEEESt5tupleIJNSF_6TensorESM_SM_EERKSM_lbbbEUlllE0_EEPmJS9_EEE10hipError_tPvRmT3_T4_T5_T6_T7_T9_mT8_P12ihipStream_tbDpT10_ENKUlT_T0_E_clISt17integral_constantIbLb0EES1B_IbLb1EEEEDaS17_S18_EUlS17_E_NS1_11comp_targetILNS1_3genE10ELNS1_11target_archE1200ELNS1_3gpuE4ELNS1_3repE0EEENS1_30default_config_static_selectorELNS0_4arch9wavefront6targetE0EEEvT1_.uses_flat_scratch, 0
	.set _ZN7rocprim17ROCPRIM_400000_NS6detail17trampoline_kernelINS0_14default_configENS1_25partition_config_selectorILNS1_17partition_subalgoE9EllbEEZZNS1_14partition_implILS5_9ELb0ES3_jPlS8_PNS0_10empty_typeENS0_5tupleIJS8_S9_EEENSB_IJS8_SA_EEENS0_18inequality_wrapperIZN2at6native12_GLOBAL__N_124unique_dim_cuda_templateIN3c104HalfEEESt5tupleIJNSF_6TensorESM_SM_EERKSM_lbbbEUlllE0_EEPmJS9_EEE10hipError_tPvRmT3_T4_T5_T6_T7_T9_mT8_P12ihipStream_tbDpT10_ENKUlT_T0_E_clISt17integral_constantIbLb0EES1B_IbLb1EEEEDaS17_S18_EUlS17_E_NS1_11comp_targetILNS1_3genE10ELNS1_11target_archE1200ELNS1_3gpuE4ELNS1_3repE0EEENS1_30default_config_static_selectorELNS0_4arch9wavefront6targetE0EEEvT1_.has_dyn_sized_stack, 0
	.set _ZN7rocprim17ROCPRIM_400000_NS6detail17trampoline_kernelINS0_14default_configENS1_25partition_config_selectorILNS1_17partition_subalgoE9EllbEEZZNS1_14partition_implILS5_9ELb0ES3_jPlS8_PNS0_10empty_typeENS0_5tupleIJS8_S9_EEENSB_IJS8_SA_EEENS0_18inequality_wrapperIZN2at6native12_GLOBAL__N_124unique_dim_cuda_templateIN3c104HalfEEESt5tupleIJNSF_6TensorESM_SM_EERKSM_lbbbEUlllE0_EEPmJS9_EEE10hipError_tPvRmT3_T4_T5_T6_T7_T9_mT8_P12ihipStream_tbDpT10_ENKUlT_T0_E_clISt17integral_constantIbLb0EES1B_IbLb1EEEEDaS17_S18_EUlS17_E_NS1_11comp_targetILNS1_3genE10ELNS1_11target_archE1200ELNS1_3gpuE4ELNS1_3repE0EEENS1_30default_config_static_selectorELNS0_4arch9wavefront6targetE0EEEvT1_.has_recursion, 0
	.set _ZN7rocprim17ROCPRIM_400000_NS6detail17trampoline_kernelINS0_14default_configENS1_25partition_config_selectorILNS1_17partition_subalgoE9EllbEEZZNS1_14partition_implILS5_9ELb0ES3_jPlS8_PNS0_10empty_typeENS0_5tupleIJS8_S9_EEENSB_IJS8_SA_EEENS0_18inequality_wrapperIZN2at6native12_GLOBAL__N_124unique_dim_cuda_templateIN3c104HalfEEESt5tupleIJNSF_6TensorESM_SM_EERKSM_lbbbEUlllE0_EEPmJS9_EEE10hipError_tPvRmT3_T4_T5_T6_T7_T9_mT8_P12ihipStream_tbDpT10_ENKUlT_T0_E_clISt17integral_constantIbLb0EES1B_IbLb1EEEEDaS17_S18_EUlS17_E_NS1_11comp_targetILNS1_3genE10ELNS1_11target_archE1200ELNS1_3gpuE4ELNS1_3repE0EEENS1_30default_config_static_selectorELNS0_4arch9wavefront6targetE0EEEvT1_.has_indirect_call, 0
	.section	.AMDGPU.csdata,"",@progbits
; Kernel info:
; codeLenInByte = 0
; TotalNumSgprs: 0
; NumVgprs: 0
; ScratchSize: 0
; MemoryBound: 0
; FloatMode: 240
; IeeeMode: 1
; LDSByteSize: 0 bytes/workgroup (compile time only)
; SGPRBlocks: 0
; VGPRBlocks: 0
; NumSGPRsForWavesPerEU: 1
; NumVGPRsForWavesPerEU: 1
; NamedBarCnt: 0
; Occupancy: 16
; WaveLimiterHint : 0
; COMPUTE_PGM_RSRC2:SCRATCH_EN: 0
; COMPUTE_PGM_RSRC2:USER_SGPR: 2
; COMPUTE_PGM_RSRC2:TRAP_HANDLER: 0
; COMPUTE_PGM_RSRC2:TGID_X_EN: 1
; COMPUTE_PGM_RSRC2:TGID_Y_EN: 0
; COMPUTE_PGM_RSRC2:TGID_Z_EN: 0
; COMPUTE_PGM_RSRC2:TIDIG_COMP_CNT: 0
	.section	.text._ZN7rocprim17ROCPRIM_400000_NS6detail17trampoline_kernelINS0_14default_configENS1_25partition_config_selectorILNS1_17partition_subalgoE9EllbEEZZNS1_14partition_implILS5_9ELb0ES3_jPlS8_PNS0_10empty_typeENS0_5tupleIJS8_S9_EEENSB_IJS8_SA_EEENS0_18inequality_wrapperIZN2at6native12_GLOBAL__N_124unique_dim_cuda_templateIN3c104HalfEEESt5tupleIJNSF_6TensorESM_SM_EERKSM_lbbbEUlllE0_EEPmJS9_EEE10hipError_tPvRmT3_T4_T5_T6_T7_T9_mT8_P12ihipStream_tbDpT10_ENKUlT_T0_E_clISt17integral_constantIbLb0EES1B_IbLb1EEEEDaS17_S18_EUlS17_E_NS1_11comp_targetILNS1_3genE9ELNS1_11target_archE1100ELNS1_3gpuE3ELNS1_3repE0EEENS1_30default_config_static_selectorELNS0_4arch9wavefront6targetE0EEEvT1_,"axG",@progbits,_ZN7rocprim17ROCPRIM_400000_NS6detail17trampoline_kernelINS0_14default_configENS1_25partition_config_selectorILNS1_17partition_subalgoE9EllbEEZZNS1_14partition_implILS5_9ELb0ES3_jPlS8_PNS0_10empty_typeENS0_5tupleIJS8_S9_EEENSB_IJS8_SA_EEENS0_18inequality_wrapperIZN2at6native12_GLOBAL__N_124unique_dim_cuda_templateIN3c104HalfEEESt5tupleIJNSF_6TensorESM_SM_EERKSM_lbbbEUlllE0_EEPmJS9_EEE10hipError_tPvRmT3_T4_T5_T6_T7_T9_mT8_P12ihipStream_tbDpT10_ENKUlT_T0_E_clISt17integral_constantIbLb0EES1B_IbLb1EEEEDaS17_S18_EUlS17_E_NS1_11comp_targetILNS1_3genE9ELNS1_11target_archE1100ELNS1_3gpuE3ELNS1_3repE0EEENS1_30default_config_static_selectorELNS0_4arch9wavefront6targetE0EEEvT1_,comdat
	.globl	_ZN7rocprim17ROCPRIM_400000_NS6detail17trampoline_kernelINS0_14default_configENS1_25partition_config_selectorILNS1_17partition_subalgoE9EllbEEZZNS1_14partition_implILS5_9ELb0ES3_jPlS8_PNS0_10empty_typeENS0_5tupleIJS8_S9_EEENSB_IJS8_SA_EEENS0_18inequality_wrapperIZN2at6native12_GLOBAL__N_124unique_dim_cuda_templateIN3c104HalfEEESt5tupleIJNSF_6TensorESM_SM_EERKSM_lbbbEUlllE0_EEPmJS9_EEE10hipError_tPvRmT3_T4_T5_T6_T7_T9_mT8_P12ihipStream_tbDpT10_ENKUlT_T0_E_clISt17integral_constantIbLb0EES1B_IbLb1EEEEDaS17_S18_EUlS17_E_NS1_11comp_targetILNS1_3genE9ELNS1_11target_archE1100ELNS1_3gpuE3ELNS1_3repE0EEENS1_30default_config_static_selectorELNS0_4arch9wavefront6targetE0EEEvT1_ ; -- Begin function _ZN7rocprim17ROCPRIM_400000_NS6detail17trampoline_kernelINS0_14default_configENS1_25partition_config_selectorILNS1_17partition_subalgoE9EllbEEZZNS1_14partition_implILS5_9ELb0ES3_jPlS8_PNS0_10empty_typeENS0_5tupleIJS8_S9_EEENSB_IJS8_SA_EEENS0_18inequality_wrapperIZN2at6native12_GLOBAL__N_124unique_dim_cuda_templateIN3c104HalfEEESt5tupleIJNSF_6TensorESM_SM_EERKSM_lbbbEUlllE0_EEPmJS9_EEE10hipError_tPvRmT3_T4_T5_T6_T7_T9_mT8_P12ihipStream_tbDpT10_ENKUlT_T0_E_clISt17integral_constantIbLb0EES1B_IbLb1EEEEDaS17_S18_EUlS17_E_NS1_11comp_targetILNS1_3genE9ELNS1_11target_archE1100ELNS1_3gpuE3ELNS1_3repE0EEENS1_30default_config_static_selectorELNS0_4arch9wavefront6targetE0EEEvT1_
	.p2align	8
	.type	_ZN7rocprim17ROCPRIM_400000_NS6detail17trampoline_kernelINS0_14default_configENS1_25partition_config_selectorILNS1_17partition_subalgoE9EllbEEZZNS1_14partition_implILS5_9ELb0ES3_jPlS8_PNS0_10empty_typeENS0_5tupleIJS8_S9_EEENSB_IJS8_SA_EEENS0_18inequality_wrapperIZN2at6native12_GLOBAL__N_124unique_dim_cuda_templateIN3c104HalfEEESt5tupleIJNSF_6TensorESM_SM_EERKSM_lbbbEUlllE0_EEPmJS9_EEE10hipError_tPvRmT3_T4_T5_T6_T7_T9_mT8_P12ihipStream_tbDpT10_ENKUlT_T0_E_clISt17integral_constantIbLb0EES1B_IbLb1EEEEDaS17_S18_EUlS17_E_NS1_11comp_targetILNS1_3genE9ELNS1_11target_archE1100ELNS1_3gpuE3ELNS1_3repE0EEENS1_30default_config_static_selectorELNS0_4arch9wavefront6targetE0EEEvT1_,@function
_ZN7rocprim17ROCPRIM_400000_NS6detail17trampoline_kernelINS0_14default_configENS1_25partition_config_selectorILNS1_17partition_subalgoE9EllbEEZZNS1_14partition_implILS5_9ELb0ES3_jPlS8_PNS0_10empty_typeENS0_5tupleIJS8_S9_EEENSB_IJS8_SA_EEENS0_18inequality_wrapperIZN2at6native12_GLOBAL__N_124unique_dim_cuda_templateIN3c104HalfEEESt5tupleIJNSF_6TensorESM_SM_EERKSM_lbbbEUlllE0_EEPmJS9_EEE10hipError_tPvRmT3_T4_T5_T6_T7_T9_mT8_P12ihipStream_tbDpT10_ENKUlT_T0_E_clISt17integral_constantIbLb0EES1B_IbLb1EEEEDaS17_S18_EUlS17_E_NS1_11comp_targetILNS1_3genE9ELNS1_11target_archE1100ELNS1_3gpuE3ELNS1_3repE0EEENS1_30default_config_static_selectorELNS0_4arch9wavefront6targetE0EEEvT1_: ; @_ZN7rocprim17ROCPRIM_400000_NS6detail17trampoline_kernelINS0_14default_configENS1_25partition_config_selectorILNS1_17partition_subalgoE9EllbEEZZNS1_14partition_implILS5_9ELb0ES3_jPlS8_PNS0_10empty_typeENS0_5tupleIJS8_S9_EEENSB_IJS8_SA_EEENS0_18inequality_wrapperIZN2at6native12_GLOBAL__N_124unique_dim_cuda_templateIN3c104HalfEEESt5tupleIJNSF_6TensorESM_SM_EERKSM_lbbbEUlllE0_EEPmJS9_EEE10hipError_tPvRmT3_T4_T5_T6_T7_T9_mT8_P12ihipStream_tbDpT10_ENKUlT_T0_E_clISt17integral_constantIbLb0EES1B_IbLb1EEEEDaS17_S18_EUlS17_E_NS1_11comp_targetILNS1_3genE9ELNS1_11target_archE1100ELNS1_3gpuE3ELNS1_3repE0EEENS1_30default_config_static_selectorELNS0_4arch9wavefront6targetE0EEEvT1_
; %bb.0:
	.section	.rodata,"a",@progbits
	.p2align	6, 0x0
	.amdhsa_kernel _ZN7rocprim17ROCPRIM_400000_NS6detail17trampoline_kernelINS0_14default_configENS1_25partition_config_selectorILNS1_17partition_subalgoE9EllbEEZZNS1_14partition_implILS5_9ELb0ES3_jPlS8_PNS0_10empty_typeENS0_5tupleIJS8_S9_EEENSB_IJS8_SA_EEENS0_18inequality_wrapperIZN2at6native12_GLOBAL__N_124unique_dim_cuda_templateIN3c104HalfEEESt5tupleIJNSF_6TensorESM_SM_EERKSM_lbbbEUlllE0_EEPmJS9_EEE10hipError_tPvRmT3_T4_T5_T6_T7_T9_mT8_P12ihipStream_tbDpT10_ENKUlT_T0_E_clISt17integral_constantIbLb0EES1B_IbLb1EEEEDaS17_S18_EUlS17_E_NS1_11comp_targetILNS1_3genE9ELNS1_11target_archE1100ELNS1_3gpuE3ELNS1_3repE0EEENS1_30default_config_static_selectorELNS0_4arch9wavefront6targetE0EEEvT1_
		.amdhsa_group_segment_fixed_size 0
		.amdhsa_private_segment_fixed_size 0
		.amdhsa_kernarg_size 136
		.amdhsa_user_sgpr_count 2
		.amdhsa_user_sgpr_dispatch_ptr 0
		.amdhsa_user_sgpr_queue_ptr 0
		.amdhsa_user_sgpr_kernarg_segment_ptr 1
		.amdhsa_user_sgpr_dispatch_id 0
		.amdhsa_user_sgpr_kernarg_preload_length 0
		.amdhsa_user_sgpr_kernarg_preload_offset 0
		.amdhsa_user_sgpr_private_segment_size 0
		.amdhsa_wavefront_size32 1
		.amdhsa_uses_dynamic_stack 0
		.amdhsa_enable_private_segment 0
		.amdhsa_system_sgpr_workgroup_id_x 1
		.amdhsa_system_sgpr_workgroup_id_y 0
		.amdhsa_system_sgpr_workgroup_id_z 0
		.amdhsa_system_sgpr_workgroup_info 0
		.amdhsa_system_vgpr_workitem_id 0
		.amdhsa_next_free_vgpr 1
		.amdhsa_next_free_sgpr 1
		.amdhsa_named_barrier_count 0
		.amdhsa_reserve_vcc 0
		.amdhsa_float_round_mode_32 0
		.amdhsa_float_round_mode_16_64 0
		.amdhsa_float_denorm_mode_32 3
		.amdhsa_float_denorm_mode_16_64 3
		.amdhsa_fp16_overflow 0
		.amdhsa_memory_ordered 1
		.amdhsa_forward_progress 1
		.amdhsa_inst_pref_size 0
		.amdhsa_round_robin_scheduling 0
		.amdhsa_exception_fp_ieee_invalid_op 0
		.amdhsa_exception_fp_denorm_src 0
		.amdhsa_exception_fp_ieee_div_zero 0
		.amdhsa_exception_fp_ieee_overflow 0
		.amdhsa_exception_fp_ieee_underflow 0
		.amdhsa_exception_fp_ieee_inexact 0
		.amdhsa_exception_int_div_zero 0
	.end_amdhsa_kernel
	.section	.text._ZN7rocprim17ROCPRIM_400000_NS6detail17trampoline_kernelINS0_14default_configENS1_25partition_config_selectorILNS1_17partition_subalgoE9EllbEEZZNS1_14partition_implILS5_9ELb0ES3_jPlS8_PNS0_10empty_typeENS0_5tupleIJS8_S9_EEENSB_IJS8_SA_EEENS0_18inequality_wrapperIZN2at6native12_GLOBAL__N_124unique_dim_cuda_templateIN3c104HalfEEESt5tupleIJNSF_6TensorESM_SM_EERKSM_lbbbEUlllE0_EEPmJS9_EEE10hipError_tPvRmT3_T4_T5_T6_T7_T9_mT8_P12ihipStream_tbDpT10_ENKUlT_T0_E_clISt17integral_constantIbLb0EES1B_IbLb1EEEEDaS17_S18_EUlS17_E_NS1_11comp_targetILNS1_3genE9ELNS1_11target_archE1100ELNS1_3gpuE3ELNS1_3repE0EEENS1_30default_config_static_selectorELNS0_4arch9wavefront6targetE0EEEvT1_,"axG",@progbits,_ZN7rocprim17ROCPRIM_400000_NS6detail17trampoline_kernelINS0_14default_configENS1_25partition_config_selectorILNS1_17partition_subalgoE9EllbEEZZNS1_14partition_implILS5_9ELb0ES3_jPlS8_PNS0_10empty_typeENS0_5tupleIJS8_S9_EEENSB_IJS8_SA_EEENS0_18inequality_wrapperIZN2at6native12_GLOBAL__N_124unique_dim_cuda_templateIN3c104HalfEEESt5tupleIJNSF_6TensorESM_SM_EERKSM_lbbbEUlllE0_EEPmJS9_EEE10hipError_tPvRmT3_T4_T5_T6_T7_T9_mT8_P12ihipStream_tbDpT10_ENKUlT_T0_E_clISt17integral_constantIbLb0EES1B_IbLb1EEEEDaS17_S18_EUlS17_E_NS1_11comp_targetILNS1_3genE9ELNS1_11target_archE1100ELNS1_3gpuE3ELNS1_3repE0EEENS1_30default_config_static_selectorELNS0_4arch9wavefront6targetE0EEEvT1_,comdat
.Lfunc_end1359:
	.size	_ZN7rocprim17ROCPRIM_400000_NS6detail17trampoline_kernelINS0_14default_configENS1_25partition_config_selectorILNS1_17partition_subalgoE9EllbEEZZNS1_14partition_implILS5_9ELb0ES3_jPlS8_PNS0_10empty_typeENS0_5tupleIJS8_S9_EEENSB_IJS8_SA_EEENS0_18inequality_wrapperIZN2at6native12_GLOBAL__N_124unique_dim_cuda_templateIN3c104HalfEEESt5tupleIJNSF_6TensorESM_SM_EERKSM_lbbbEUlllE0_EEPmJS9_EEE10hipError_tPvRmT3_T4_T5_T6_T7_T9_mT8_P12ihipStream_tbDpT10_ENKUlT_T0_E_clISt17integral_constantIbLb0EES1B_IbLb1EEEEDaS17_S18_EUlS17_E_NS1_11comp_targetILNS1_3genE9ELNS1_11target_archE1100ELNS1_3gpuE3ELNS1_3repE0EEENS1_30default_config_static_selectorELNS0_4arch9wavefront6targetE0EEEvT1_, .Lfunc_end1359-_ZN7rocprim17ROCPRIM_400000_NS6detail17trampoline_kernelINS0_14default_configENS1_25partition_config_selectorILNS1_17partition_subalgoE9EllbEEZZNS1_14partition_implILS5_9ELb0ES3_jPlS8_PNS0_10empty_typeENS0_5tupleIJS8_S9_EEENSB_IJS8_SA_EEENS0_18inequality_wrapperIZN2at6native12_GLOBAL__N_124unique_dim_cuda_templateIN3c104HalfEEESt5tupleIJNSF_6TensorESM_SM_EERKSM_lbbbEUlllE0_EEPmJS9_EEE10hipError_tPvRmT3_T4_T5_T6_T7_T9_mT8_P12ihipStream_tbDpT10_ENKUlT_T0_E_clISt17integral_constantIbLb0EES1B_IbLb1EEEEDaS17_S18_EUlS17_E_NS1_11comp_targetILNS1_3genE9ELNS1_11target_archE1100ELNS1_3gpuE3ELNS1_3repE0EEENS1_30default_config_static_selectorELNS0_4arch9wavefront6targetE0EEEvT1_
                                        ; -- End function
	.set _ZN7rocprim17ROCPRIM_400000_NS6detail17trampoline_kernelINS0_14default_configENS1_25partition_config_selectorILNS1_17partition_subalgoE9EllbEEZZNS1_14partition_implILS5_9ELb0ES3_jPlS8_PNS0_10empty_typeENS0_5tupleIJS8_S9_EEENSB_IJS8_SA_EEENS0_18inequality_wrapperIZN2at6native12_GLOBAL__N_124unique_dim_cuda_templateIN3c104HalfEEESt5tupleIJNSF_6TensorESM_SM_EERKSM_lbbbEUlllE0_EEPmJS9_EEE10hipError_tPvRmT3_T4_T5_T6_T7_T9_mT8_P12ihipStream_tbDpT10_ENKUlT_T0_E_clISt17integral_constantIbLb0EES1B_IbLb1EEEEDaS17_S18_EUlS17_E_NS1_11comp_targetILNS1_3genE9ELNS1_11target_archE1100ELNS1_3gpuE3ELNS1_3repE0EEENS1_30default_config_static_selectorELNS0_4arch9wavefront6targetE0EEEvT1_.num_vgpr, 0
	.set _ZN7rocprim17ROCPRIM_400000_NS6detail17trampoline_kernelINS0_14default_configENS1_25partition_config_selectorILNS1_17partition_subalgoE9EllbEEZZNS1_14partition_implILS5_9ELb0ES3_jPlS8_PNS0_10empty_typeENS0_5tupleIJS8_S9_EEENSB_IJS8_SA_EEENS0_18inequality_wrapperIZN2at6native12_GLOBAL__N_124unique_dim_cuda_templateIN3c104HalfEEESt5tupleIJNSF_6TensorESM_SM_EERKSM_lbbbEUlllE0_EEPmJS9_EEE10hipError_tPvRmT3_T4_T5_T6_T7_T9_mT8_P12ihipStream_tbDpT10_ENKUlT_T0_E_clISt17integral_constantIbLb0EES1B_IbLb1EEEEDaS17_S18_EUlS17_E_NS1_11comp_targetILNS1_3genE9ELNS1_11target_archE1100ELNS1_3gpuE3ELNS1_3repE0EEENS1_30default_config_static_selectorELNS0_4arch9wavefront6targetE0EEEvT1_.num_agpr, 0
	.set _ZN7rocprim17ROCPRIM_400000_NS6detail17trampoline_kernelINS0_14default_configENS1_25partition_config_selectorILNS1_17partition_subalgoE9EllbEEZZNS1_14partition_implILS5_9ELb0ES3_jPlS8_PNS0_10empty_typeENS0_5tupleIJS8_S9_EEENSB_IJS8_SA_EEENS0_18inequality_wrapperIZN2at6native12_GLOBAL__N_124unique_dim_cuda_templateIN3c104HalfEEESt5tupleIJNSF_6TensorESM_SM_EERKSM_lbbbEUlllE0_EEPmJS9_EEE10hipError_tPvRmT3_T4_T5_T6_T7_T9_mT8_P12ihipStream_tbDpT10_ENKUlT_T0_E_clISt17integral_constantIbLb0EES1B_IbLb1EEEEDaS17_S18_EUlS17_E_NS1_11comp_targetILNS1_3genE9ELNS1_11target_archE1100ELNS1_3gpuE3ELNS1_3repE0EEENS1_30default_config_static_selectorELNS0_4arch9wavefront6targetE0EEEvT1_.numbered_sgpr, 0
	.set _ZN7rocprim17ROCPRIM_400000_NS6detail17trampoline_kernelINS0_14default_configENS1_25partition_config_selectorILNS1_17partition_subalgoE9EllbEEZZNS1_14partition_implILS5_9ELb0ES3_jPlS8_PNS0_10empty_typeENS0_5tupleIJS8_S9_EEENSB_IJS8_SA_EEENS0_18inequality_wrapperIZN2at6native12_GLOBAL__N_124unique_dim_cuda_templateIN3c104HalfEEESt5tupleIJNSF_6TensorESM_SM_EERKSM_lbbbEUlllE0_EEPmJS9_EEE10hipError_tPvRmT3_T4_T5_T6_T7_T9_mT8_P12ihipStream_tbDpT10_ENKUlT_T0_E_clISt17integral_constantIbLb0EES1B_IbLb1EEEEDaS17_S18_EUlS17_E_NS1_11comp_targetILNS1_3genE9ELNS1_11target_archE1100ELNS1_3gpuE3ELNS1_3repE0EEENS1_30default_config_static_selectorELNS0_4arch9wavefront6targetE0EEEvT1_.num_named_barrier, 0
	.set _ZN7rocprim17ROCPRIM_400000_NS6detail17trampoline_kernelINS0_14default_configENS1_25partition_config_selectorILNS1_17partition_subalgoE9EllbEEZZNS1_14partition_implILS5_9ELb0ES3_jPlS8_PNS0_10empty_typeENS0_5tupleIJS8_S9_EEENSB_IJS8_SA_EEENS0_18inequality_wrapperIZN2at6native12_GLOBAL__N_124unique_dim_cuda_templateIN3c104HalfEEESt5tupleIJNSF_6TensorESM_SM_EERKSM_lbbbEUlllE0_EEPmJS9_EEE10hipError_tPvRmT3_T4_T5_T6_T7_T9_mT8_P12ihipStream_tbDpT10_ENKUlT_T0_E_clISt17integral_constantIbLb0EES1B_IbLb1EEEEDaS17_S18_EUlS17_E_NS1_11comp_targetILNS1_3genE9ELNS1_11target_archE1100ELNS1_3gpuE3ELNS1_3repE0EEENS1_30default_config_static_selectorELNS0_4arch9wavefront6targetE0EEEvT1_.private_seg_size, 0
	.set _ZN7rocprim17ROCPRIM_400000_NS6detail17trampoline_kernelINS0_14default_configENS1_25partition_config_selectorILNS1_17partition_subalgoE9EllbEEZZNS1_14partition_implILS5_9ELb0ES3_jPlS8_PNS0_10empty_typeENS0_5tupleIJS8_S9_EEENSB_IJS8_SA_EEENS0_18inequality_wrapperIZN2at6native12_GLOBAL__N_124unique_dim_cuda_templateIN3c104HalfEEESt5tupleIJNSF_6TensorESM_SM_EERKSM_lbbbEUlllE0_EEPmJS9_EEE10hipError_tPvRmT3_T4_T5_T6_T7_T9_mT8_P12ihipStream_tbDpT10_ENKUlT_T0_E_clISt17integral_constantIbLb0EES1B_IbLb1EEEEDaS17_S18_EUlS17_E_NS1_11comp_targetILNS1_3genE9ELNS1_11target_archE1100ELNS1_3gpuE3ELNS1_3repE0EEENS1_30default_config_static_selectorELNS0_4arch9wavefront6targetE0EEEvT1_.uses_vcc, 0
	.set _ZN7rocprim17ROCPRIM_400000_NS6detail17trampoline_kernelINS0_14default_configENS1_25partition_config_selectorILNS1_17partition_subalgoE9EllbEEZZNS1_14partition_implILS5_9ELb0ES3_jPlS8_PNS0_10empty_typeENS0_5tupleIJS8_S9_EEENSB_IJS8_SA_EEENS0_18inequality_wrapperIZN2at6native12_GLOBAL__N_124unique_dim_cuda_templateIN3c104HalfEEESt5tupleIJNSF_6TensorESM_SM_EERKSM_lbbbEUlllE0_EEPmJS9_EEE10hipError_tPvRmT3_T4_T5_T6_T7_T9_mT8_P12ihipStream_tbDpT10_ENKUlT_T0_E_clISt17integral_constantIbLb0EES1B_IbLb1EEEEDaS17_S18_EUlS17_E_NS1_11comp_targetILNS1_3genE9ELNS1_11target_archE1100ELNS1_3gpuE3ELNS1_3repE0EEENS1_30default_config_static_selectorELNS0_4arch9wavefront6targetE0EEEvT1_.uses_flat_scratch, 0
	.set _ZN7rocprim17ROCPRIM_400000_NS6detail17trampoline_kernelINS0_14default_configENS1_25partition_config_selectorILNS1_17partition_subalgoE9EllbEEZZNS1_14partition_implILS5_9ELb0ES3_jPlS8_PNS0_10empty_typeENS0_5tupleIJS8_S9_EEENSB_IJS8_SA_EEENS0_18inequality_wrapperIZN2at6native12_GLOBAL__N_124unique_dim_cuda_templateIN3c104HalfEEESt5tupleIJNSF_6TensorESM_SM_EERKSM_lbbbEUlllE0_EEPmJS9_EEE10hipError_tPvRmT3_T4_T5_T6_T7_T9_mT8_P12ihipStream_tbDpT10_ENKUlT_T0_E_clISt17integral_constantIbLb0EES1B_IbLb1EEEEDaS17_S18_EUlS17_E_NS1_11comp_targetILNS1_3genE9ELNS1_11target_archE1100ELNS1_3gpuE3ELNS1_3repE0EEENS1_30default_config_static_selectorELNS0_4arch9wavefront6targetE0EEEvT1_.has_dyn_sized_stack, 0
	.set _ZN7rocprim17ROCPRIM_400000_NS6detail17trampoline_kernelINS0_14default_configENS1_25partition_config_selectorILNS1_17partition_subalgoE9EllbEEZZNS1_14partition_implILS5_9ELb0ES3_jPlS8_PNS0_10empty_typeENS0_5tupleIJS8_S9_EEENSB_IJS8_SA_EEENS0_18inequality_wrapperIZN2at6native12_GLOBAL__N_124unique_dim_cuda_templateIN3c104HalfEEESt5tupleIJNSF_6TensorESM_SM_EERKSM_lbbbEUlllE0_EEPmJS9_EEE10hipError_tPvRmT3_T4_T5_T6_T7_T9_mT8_P12ihipStream_tbDpT10_ENKUlT_T0_E_clISt17integral_constantIbLb0EES1B_IbLb1EEEEDaS17_S18_EUlS17_E_NS1_11comp_targetILNS1_3genE9ELNS1_11target_archE1100ELNS1_3gpuE3ELNS1_3repE0EEENS1_30default_config_static_selectorELNS0_4arch9wavefront6targetE0EEEvT1_.has_recursion, 0
	.set _ZN7rocprim17ROCPRIM_400000_NS6detail17trampoline_kernelINS0_14default_configENS1_25partition_config_selectorILNS1_17partition_subalgoE9EllbEEZZNS1_14partition_implILS5_9ELb0ES3_jPlS8_PNS0_10empty_typeENS0_5tupleIJS8_S9_EEENSB_IJS8_SA_EEENS0_18inequality_wrapperIZN2at6native12_GLOBAL__N_124unique_dim_cuda_templateIN3c104HalfEEESt5tupleIJNSF_6TensorESM_SM_EERKSM_lbbbEUlllE0_EEPmJS9_EEE10hipError_tPvRmT3_T4_T5_T6_T7_T9_mT8_P12ihipStream_tbDpT10_ENKUlT_T0_E_clISt17integral_constantIbLb0EES1B_IbLb1EEEEDaS17_S18_EUlS17_E_NS1_11comp_targetILNS1_3genE9ELNS1_11target_archE1100ELNS1_3gpuE3ELNS1_3repE0EEENS1_30default_config_static_selectorELNS0_4arch9wavefront6targetE0EEEvT1_.has_indirect_call, 0
	.section	.AMDGPU.csdata,"",@progbits
; Kernel info:
; codeLenInByte = 0
; TotalNumSgprs: 0
; NumVgprs: 0
; ScratchSize: 0
; MemoryBound: 0
; FloatMode: 240
; IeeeMode: 1
; LDSByteSize: 0 bytes/workgroup (compile time only)
; SGPRBlocks: 0
; VGPRBlocks: 0
; NumSGPRsForWavesPerEU: 1
; NumVGPRsForWavesPerEU: 1
; NamedBarCnt: 0
; Occupancy: 16
; WaveLimiterHint : 0
; COMPUTE_PGM_RSRC2:SCRATCH_EN: 0
; COMPUTE_PGM_RSRC2:USER_SGPR: 2
; COMPUTE_PGM_RSRC2:TRAP_HANDLER: 0
; COMPUTE_PGM_RSRC2:TGID_X_EN: 1
; COMPUTE_PGM_RSRC2:TGID_Y_EN: 0
; COMPUTE_PGM_RSRC2:TGID_Z_EN: 0
; COMPUTE_PGM_RSRC2:TIDIG_COMP_CNT: 0
	.section	.text._ZN7rocprim17ROCPRIM_400000_NS6detail17trampoline_kernelINS0_14default_configENS1_25partition_config_selectorILNS1_17partition_subalgoE9EllbEEZZNS1_14partition_implILS5_9ELb0ES3_jPlS8_PNS0_10empty_typeENS0_5tupleIJS8_S9_EEENSB_IJS8_SA_EEENS0_18inequality_wrapperIZN2at6native12_GLOBAL__N_124unique_dim_cuda_templateIN3c104HalfEEESt5tupleIJNSF_6TensorESM_SM_EERKSM_lbbbEUlllE0_EEPmJS9_EEE10hipError_tPvRmT3_T4_T5_T6_T7_T9_mT8_P12ihipStream_tbDpT10_ENKUlT_T0_E_clISt17integral_constantIbLb0EES1B_IbLb1EEEEDaS17_S18_EUlS17_E_NS1_11comp_targetILNS1_3genE8ELNS1_11target_archE1030ELNS1_3gpuE2ELNS1_3repE0EEENS1_30default_config_static_selectorELNS0_4arch9wavefront6targetE0EEEvT1_,"axG",@progbits,_ZN7rocprim17ROCPRIM_400000_NS6detail17trampoline_kernelINS0_14default_configENS1_25partition_config_selectorILNS1_17partition_subalgoE9EllbEEZZNS1_14partition_implILS5_9ELb0ES3_jPlS8_PNS0_10empty_typeENS0_5tupleIJS8_S9_EEENSB_IJS8_SA_EEENS0_18inequality_wrapperIZN2at6native12_GLOBAL__N_124unique_dim_cuda_templateIN3c104HalfEEESt5tupleIJNSF_6TensorESM_SM_EERKSM_lbbbEUlllE0_EEPmJS9_EEE10hipError_tPvRmT3_T4_T5_T6_T7_T9_mT8_P12ihipStream_tbDpT10_ENKUlT_T0_E_clISt17integral_constantIbLb0EES1B_IbLb1EEEEDaS17_S18_EUlS17_E_NS1_11comp_targetILNS1_3genE8ELNS1_11target_archE1030ELNS1_3gpuE2ELNS1_3repE0EEENS1_30default_config_static_selectorELNS0_4arch9wavefront6targetE0EEEvT1_,comdat
	.globl	_ZN7rocprim17ROCPRIM_400000_NS6detail17trampoline_kernelINS0_14default_configENS1_25partition_config_selectorILNS1_17partition_subalgoE9EllbEEZZNS1_14partition_implILS5_9ELb0ES3_jPlS8_PNS0_10empty_typeENS0_5tupleIJS8_S9_EEENSB_IJS8_SA_EEENS0_18inequality_wrapperIZN2at6native12_GLOBAL__N_124unique_dim_cuda_templateIN3c104HalfEEESt5tupleIJNSF_6TensorESM_SM_EERKSM_lbbbEUlllE0_EEPmJS9_EEE10hipError_tPvRmT3_T4_T5_T6_T7_T9_mT8_P12ihipStream_tbDpT10_ENKUlT_T0_E_clISt17integral_constantIbLb0EES1B_IbLb1EEEEDaS17_S18_EUlS17_E_NS1_11comp_targetILNS1_3genE8ELNS1_11target_archE1030ELNS1_3gpuE2ELNS1_3repE0EEENS1_30default_config_static_selectorELNS0_4arch9wavefront6targetE0EEEvT1_ ; -- Begin function _ZN7rocprim17ROCPRIM_400000_NS6detail17trampoline_kernelINS0_14default_configENS1_25partition_config_selectorILNS1_17partition_subalgoE9EllbEEZZNS1_14partition_implILS5_9ELb0ES3_jPlS8_PNS0_10empty_typeENS0_5tupleIJS8_S9_EEENSB_IJS8_SA_EEENS0_18inequality_wrapperIZN2at6native12_GLOBAL__N_124unique_dim_cuda_templateIN3c104HalfEEESt5tupleIJNSF_6TensorESM_SM_EERKSM_lbbbEUlllE0_EEPmJS9_EEE10hipError_tPvRmT3_T4_T5_T6_T7_T9_mT8_P12ihipStream_tbDpT10_ENKUlT_T0_E_clISt17integral_constantIbLb0EES1B_IbLb1EEEEDaS17_S18_EUlS17_E_NS1_11comp_targetILNS1_3genE8ELNS1_11target_archE1030ELNS1_3gpuE2ELNS1_3repE0EEENS1_30default_config_static_selectorELNS0_4arch9wavefront6targetE0EEEvT1_
	.p2align	8
	.type	_ZN7rocprim17ROCPRIM_400000_NS6detail17trampoline_kernelINS0_14default_configENS1_25partition_config_selectorILNS1_17partition_subalgoE9EllbEEZZNS1_14partition_implILS5_9ELb0ES3_jPlS8_PNS0_10empty_typeENS0_5tupleIJS8_S9_EEENSB_IJS8_SA_EEENS0_18inequality_wrapperIZN2at6native12_GLOBAL__N_124unique_dim_cuda_templateIN3c104HalfEEESt5tupleIJNSF_6TensorESM_SM_EERKSM_lbbbEUlllE0_EEPmJS9_EEE10hipError_tPvRmT3_T4_T5_T6_T7_T9_mT8_P12ihipStream_tbDpT10_ENKUlT_T0_E_clISt17integral_constantIbLb0EES1B_IbLb1EEEEDaS17_S18_EUlS17_E_NS1_11comp_targetILNS1_3genE8ELNS1_11target_archE1030ELNS1_3gpuE2ELNS1_3repE0EEENS1_30default_config_static_selectorELNS0_4arch9wavefront6targetE0EEEvT1_,@function
_ZN7rocprim17ROCPRIM_400000_NS6detail17trampoline_kernelINS0_14default_configENS1_25partition_config_selectorILNS1_17partition_subalgoE9EllbEEZZNS1_14partition_implILS5_9ELb0ES3_jPlS8_PNS0_10empty_typeENS0_5tupleIJS8_S9_EEENSB_IJS8_SA_EEENS0_18inequality_wrapperIZN2at6native12_GLOBAL__N_124unique_dim_cuda_templateIN3c104HalfEEESt5tupleIJNSF_6TensorESM_SM_EERKSM_lbbbEUlllE0_EEPmJS9_EEE10hipError_tPvRmT3_T4_T5_T6_T7_T9_mT8_P12ihipStream_tbDpT10_ENKUlT_T0_E_clISt17integral_constantIbLb0EES1B_IbLb1EEEEDaS17_S18_EUlS17_E_NS1_11comp_targetILNS1_3genE8ELNS1_11target_archE1030ELNS1_3gpuE2ELNS1_3repE0EEENS1_30default_config_static_selectorELNS0_4arch9wavefront6targetE0EEEvT1_: ; @_ZN7rocprim17ROCPRIM_400000_NS6detail17trampoline_kernelINS0_14default_configENS1_25partition_config_selectorILNS1_17partition_subalgoE9EllbEEZZNS1_14partition_implILS5_9ELb0ES3_jPlS8_PNS0_10empty_typeENS0_5tupleIJS8_S9_EEENSB_IJS8_SA_EEENS0_18inequality_wrapperIZN2at6native12_GLOBAL__N_124unique_dim_cuda_templateIN3c104HalfEEESt5tupleIJNSF_6TensorESM_SM_EERKSM_lbbbEUlllE0_EEPmJS9_EEE10hipError_tPvRmT3_T4_T5_T6_T7_T9_mT8_P12ihipStream_tbDpT10_ENKUlT_T0_E_clISt17integral_constantIbLb0EES1B_IbLb1EEEEDaS17_S18_EUlS17_E_NS1_11comp_targetILNS1_3genE8ELNS1_11target_archE1030ELNS1_3gpuE2ELNS1_3repE0EEENS1_30default_config_static_selectorELNS0_4arch9wavefront6targetE0EEEvT1_
; %bb.0:
	.section	.rodata,"a",@progbits
	.p2align	6, 0x0
	.amdhsa_kernel _ZN7rocprim17ROCPRIM_400000_NS6detail17trampoline_kernelINS0_14default_configENS1_25partition_config_selectorILNS1_17partition_subalgoE9EllbEEZZNS1_14partition_implILS5_9ELb0ES3_jPlS8_PNS0_10empty_typeENS0_5tupleIJS8_S9_EEENSB_IJS8_SA_EEENS0_18inequality_wrapperIZN2at6native12_GLOBAL__N_124unique_dim_cuda_templateIN3c104HalfEEESt5tupleIJNSF_6TensorESM_SM_EERKSM_lbbbEUlllE0_EEPmJS9_EEE10hipError_tPvRmT3_T4_T5_T6_T7_T9_mT8_P12ihipStream_tbDpT10_ENKUlT_T0_E_clISt17integral_constantIbLb0EES1B_IbLb1EEEEDaS17_S18_EUlS17_E_NS1_11comp_targetILNS1_3genE8ELNS1_11target_archE1030ELNS1_3gpuE2ELNS1_3repE0EEENS1_30default_config_static_selectorELNS0_4arch9wavefront6targetE0EEEvT1_
		.amdhsa_group_segment_fixed_size 0
		.amdhsa_private_segment_fixed_size 0
		.amdhsa_kernarg_size 136
		.amdhsa_user_sgpr_count 2
		.amdhsa_user_sgpr_dispatch_ptr 0
		.amdhsa_user_sgpr_queue_ptr 0
		.amdhsa_user_sgpr_kernarg_segment_ptr 1
		.amdhsa_user_sgpr_dispatch_id 0
		.amdhsa_user_sgpr_kernarg_preload_length 0
		.amdhsa_user_sgpr_kernarg_preload_offset 0
		.amdhsa_user_sgpr_private_segment_size 0
		.amdhsa_wavefront_size32 1
		.amdhsa_uses_dynamic_stack 0
		.amdhsa_enable_private_segment 0
		.amdhsa_system_sgpr_workgroup_id_x 1
		.amdhsa_system_sgpr_workgroup_id_y 0
		.amdhsa_system_sgpr_workgroup_id_z 0
		.amdhsa_system_sgpr_workgroup_info 0
		.amdhsa_system_vgpr_workitem_id 0
		.amdhsa_next_free_vgpr 1
		.amdhsa_next_free_sgpr 1
		.amdhsa_named_barrier_count 0
		.amdhsa_reserve_vcc 0
		.amdhsa_float_round_mode_32 0
		.amdhsa_float_round_mode_16_64 0
		.amdhsa_float_denorm_mode_32 3
		.amdhsa_float_denorm_mode_16_64 3
		.amdhsa_fp16_overflow 0
		.amdhsa_memory_ordered 1
		.amdhsa_forward_progress 1
		.amdhsa_inst_pref_size 0
		.amdhsa_round_robin_scheduling 0
		.amdhsa_exception_fp_ieee_invalid_op 0
		.amdhsa_exception_fp_denorm_src 0
		.amdhsa_exception_fp_ieee_div_zero 0
		.amdhsa_exception_fp_ieee_overflow 0
		.amdhsa_exception_fp_ieee_underflow 0
		.amdhsa_exception_fp_ieee_inexact 0
		.amdhsa_exception_int_div_zero 0
	.end_amdhsa_kernel
	.section	.text._ZN7rocprim17ROCPRIM_400000_NS6detail17trampoline_kernelINS0_14default_configENS1_25partition_config_selectorILNS1_17partition_subalgoE9EllbEEZZNS1_14partition_implILS5_9ELb0ES3_jPlS8_PNS0_10empty_typeENS0_5tupleIJS8_S9_EEENSB_IJS8_SA_EEENS0_18inequality_wrapperIZN2at6native12_GLOBAL__N_124unique_dim_cuda_templateIN3c104HalfEEESt5tupleIJNSF_6TensorESM_SM_EERKSM_lbbbEUlllE0_EEPmJS9_EEE10hipError_tPvRmT3_T4_T5_T6_T7_T9_mT8_P12ihipStream_tbDpT10_ENKUlT_T0_E_clISt17integral_constantIbLb0EES1B_IbLb1EEEEDaS17_S18_EUlS17_E_NS1_11comp_targetILNS1_3genE8ELNS1_11target_archE1030ELNS1_3gpuE2ELNS1_3repE0EEENS1_30default_config_static_selectorELNS0_4arch9wavefront6targetE0EEEvT1_,"axG",@progbits,_ZN7rocprim17ROCPRIM_400000_NS6detail17trampoline_kernelINS0_14default_configENS1_25partition_config_selectorILNS1_17partition_subalgoE9EllbEEZZNS1_14partition_implILS5_9ELb0ES3_jPlS8_PNS0_10empty_typeENS0_5tupleIJS8_S9_EEENSB_IJS8_SA_EEENS0_18inequality_wrapperIZN2at6native12_GLOBAL__N_124unique_dim_cuda_templateIN3c104HalfEEESt5tupleIJNSF_6TensorESM_SM_EERKSM_lbbbEUlllE0_EEPmJS9_EEE10hipError_tPvRmT3_T4_T5_T6_T7_T9_mT8_P12ihipStream_tbDpT10_ENKUlT_T0_E_clISt17integral_constantIbLb0EES1B_IbLb1EEEEDaS17_S18_EUlS17_E_NS1_11comp_targetILNS1_3genE8ELNS1_11target_archE1030ELNS1_3gpuE2ELNS1_3repE0EEENS1_30default_config_static_selectorELNS0_4arch9wavefront6targetE0EEEvT1_,comdat
.Lfunc_end1360:
	.size	_ZN7rocprim17ROCPRIM_400000_NS6detail17trampoline_kernelINS0_14default_configENS1_25partition_config_selectorILNS1_17partition_subalgoE9EllbEEZZNS1_14partition_implILS5_9ELb0ES3_jPlS8_PNS0_10empty_typeENS0_5tupleIJS8_S9_EEENSB_IJS8_SA_EEENS0_18inequality_wrapperIZN2at6native12_GLOBAL__N_124unique_dim_cuda_templateIN3c104HalfEEESt5tupleIJNSF_6TensorESM_SM_EERKSM_lbbbEUlllE0_EEPmJS9_EEE10hipError_tPvRmT3_T4_T5_T6_T7_T9_mT8_P12ihipStream_tbDpT10_ENKUlT_T0_E_clISt17integral_constantIbLb0EES1B_IbLb1EEEEDaS17_S18_EUlS17_E_NS1_11comp_targetILNS1_3genE8ELNS1_11target_archE1030ELNS1_3gpuE2ELNS1_3repE0EEENS1_30default_config_static_selectorELNS0_4arch9wavefront6targetE0EEEvT1_, .Lfunc_end1360-_ZN7rocprim17ROCPRIM_400000_NS6detail17trampoline_kernelINS0_14default_configENS1_25partition_config_selectorILNS1_17partition_subalgoE9EllbEEZZNS1_14partition_implILS5_9ELb0ES3_jPlS8_PNS0_10empty_typeENS0_5tupleIJS8_S9_EEENSB_IJS8_SA_EEENS0_18inequality_wrapperIZN2at6native12_GLOBAL__N_124unique_dim_cuda_templateIN3c104HalfEEESt5tupleIJNSF_6TensorESM_SM_EERKSM_lbbbEUlllE0_EEPmJS9_EEE10hipError_tPvRmT3_T4_T5_T6_T7_T9_mT8_P12ihipStream_tbDpT10_ENKUlT_T0_E_clISt17integral_constantIbLb0EES1B_IbLb1EEEEDaS17_S18_EUlS17_E_NS1_11comp_targetILNS1_3genE8ELNS1_11target_archE1030ELNS1_3gpuE2ELNS1_3repE0EEENS1_30default_config_static_selectorELNS0_4arch9wavefront6targetE0EEEvT1_
                                        ; -- End function
	.set _ZN7rocprim17ROCPRIM_400000_NS6detail17trampoline_kernelINS0_14default_configENS1_25partition_config_selectorILNS1_17partition_subalgoE9EllbEEZZNS1_14partition_implILS5_9ELb0ES3_jPlS8_PNS0_10empty_typeENS0_5tupleIJS8_S9_EEENSB_IJS8_SA_EEENS0_18inequality_wrapperIZN2at6native12_GLOBAL__N_124unique_dim_cuda_templateIN3c104HalfEEESt5tupleIJNSF_6TensorESM_SM_EERKSM_lbbbEUlllE0_EEPmJS9_EEE10hipError_tPvRmT3_T4_T5_T6_T7_T9_mT8_P12ihipStream_tbDpT10_ENKUlT_T0_E_clISt17integral_constantIbLb0EES1B_IbLb1EEEEDaS17_S18_EUlS17_E_NS1_11comp_targetILNS1_3genE8ELNS1_11target_archE1030ELNS1_3gpuE2ELNS1_3repE0EEENS1_30default_config_static_selectorELNS0_4arch9wavefront6targetE0EEEvT1_.num_vgpr, 0
	.set _ZN7rocprim17ROCPRIM_400000_NS6detail17trampoline_kernelINS0_14default_configENS1_25partition_config_selectorILNS1_17partition_subalgoE9EllbEEZZNS1_14partition_implILS5_9ELb0ES3_jPlS8_PNS0_10empty_typeENS0_5tupleIJS8_S9_EEENSB_IJS8_SA_EEENS0_18inequality_wrapperIZN2at6native12_GLOBAL__N_124unique_dim_cuda_templateIN3c104HalfEEESt5tupleIJNSF_6TensorESM_SM_EERKSM_lbbbEUlllE0_EEPmJS9_EEE10hipError_tPvRmT3_T4_T5_T6_T7_T9_mT8_P12ihipStream_tbDpT10_ENKUlT_T0_E_clISt17integral_constantIbLb0EES1B_IbLb1EEEEDaS17_S18_EUlS17_E_NS1_11comp_targetILNS1_3genE8ELNS1_11target_archE1030ELNS1_3gpuE2ELNS1_3repE0EEENS1_30default_config_static_selectorELNS0_4arch9wavefront6targetE0EEEvT1_.num_agpr, 0
	.set _ZN7rocprim17ROCPRIM_400000_NS6detail17trampoline_kernelINS0_14default_configENS1_25partition_config_selectorILNS1_17partition_subalgoE9EllbEEZZNS1_14partition_implILS5_9ELb0ES3_jPlS8_PNS0_10empty_typeENS0_5tupleIJS8_S9_EEENSB_IJS8_SA_EEENS0_18inequality_wrapperIZN2at6native12_GLOBAL__N_124unique_dim_cuda_templateIN3c104HalfEEESt5tupleIJNSF_6TensorESM_SM_EERKSM_lbbbEUlllE0_EEPmJS9_EEE10hipError_tPvRmT3_T4_T5_T6_T7_T9_mT8_P12ihipStream_tbDpT10_ENKUlT_T0_E_clISt17integral_constantIbLb0EES1B_IbLb1EEEEDaS17_S18_EUlS17_E_NS1_11comp_targetILNS1_3genE8ELNS1_11target_archE1030ELNS1_3gpuE2ELNS1_3repE0EEENS1_30default_config_static_selectorELNS0_4arch9wavefront6targetE0EEEvT1_.numbered_sgpr, 0
	.set _ZN7rocprim17ROCPRIM_400000_NS6detail17trampoline_kernelINS0_14default_configENS1_25partition_config_selectorILNS1_17partition_subalgoE9EllbEEZZNS1_14partition_implILS5_9ELb0ES3_jPlS8_PNS0_10empty_typeENS0_5tupleIJS8_S9_EEENSB_IJS8_SA_EEENS0_18inequality_wrapperIZN2at6native12_GLOBAL__N_124unique_dim_cuda_templateIN3c104HalfEEESt5tupleIJNSF_6TensorESM_SM_EERKSM_lbbbEUlllE0_EEPmJS9_EEE10hipError_tPvRmT3_T4_T5_T6_T7_T9_mT8_P12ihipStream_tbDpT10_ENKUlT_T0_E_clISt17integral_constantIbLb0EES1B_IbLb1EEEEDaS17_S18_EUlS17_E_NS1_11comp_targetILNS1_3genE8ELNS1_11target_archE1030ELNS1_3gpuE2ELNS1_3repE0EEENS1_30default_config_static_selectorELNS0_4arch9wavefront6targetE0EEEvT1_.num_named_barrier, 0
	.set _ZN7rocprim17ROCPRIM_400000_NS6detail17trampoline_kernelINS0_14default_configENS1_25partition_config_selectorILNS1_17partition_subalgoE9EllbEEZZNS1_14partition_implILS5_9ELb0ES3_jPlS8_PNS0_10empty_typeENS0_5tupleIJS8_S9_EEENSB_IJS8_SA_EEENS0_18inequality_wrapperIZN2at6native12_GLOBAL__N_124unique_dim_cuda_templateIN3c104HalfEEESt5tupleIJNSF_6TensorESM_SM_EERKSM_lbbbEUlllE0_EEPmJS9_EEE10hipError_tPvRmT3_T4_T5_T6_T7_T9_mT8_P12ihipStream_tbDpT10_ENKUlT_T0_E_clISt17integral_constantIbLb0EES1B_IbLb1EEEEDaS17_S18_EUlS17_E_NS1_11comp_targetILNS1_3genE8ELNS1_11target_archE1030ELNS1_3gpuE2ELNS1_3repE0EEENS1_30default_config_static_selectorELNS0_4arch9wavefront6targetE0EEEvT1_.private_seg_size, 0
	.set _ZN7rocprim17ROCPRIM_400000_NS6detail17trampoline_kernelINS0_14default_configENS1_25partition_config_selectorILNS1_17partition_subalgoE9EllbEEZZNS1_14partition_implILS5_9ELb0ES3_jPlS8_PNS0_10empty_typeENS0_5tupleIJS8_S9_EEENSB_IJS8_SA_EEENS0_18inequality_wrapperIZN2at6native12_GLOBAL__N_124unique_dim_cuda_templateIN3c104HalfEEESt5tupleIJNSF_6TensorESM_SM_EERKSM_lbbbEUlllE0_EEPmJS9_EEE10hipError_tPvRmT3_T4_T5_T6_T7_T9_mT8_P12ihipStream_tbDpT10_ENKUlT_T0_E_clISt17integral_constantIbLb0EES1B_IbLb1EEEEDaS17_S18_EUlS17_E_NS1_11comp_targetILNS1_3genE8ELNS1_11target_archE1030ELNS1_3gpuE2ELNS1_3repE0EEENS1_30default_config_static_selectorELNS0_4arch9wavefront6targetE0EEEvT1_.uses_vcc, 0
	.set _ZN7rocprim17ROCPRIM_400000_NS6detail17trampoline_kernelINS0_14default_configENS1_25partition_config_selectorILNS1_17partition_subalgoE9EllbEEZZNS1_14partition_implILS5_9ELb0ES3_jPlS8_PNS0_10empty_typeENS0_5tupleIJS8_S9_EEENSB_IJS8_SA_EEENS0_18inequality_wrapperIZN2at6native12_GLOBAL__N_124unique_dim_cuda_templateIN3c104HalfEEESt5tupleIJNSF_6TensorESM_SM_EERKSM_lbbbEUlllE0_EEPmJS9_EEE10hipError_tPvRmT3_T4_T5_T6_T7_T9_mT8_P12ihipStream_tbDpT10_ENKUlT_T0_E_clISt17integral_constantIbLb0EES1B_IbLb1EEEEDaS17_S18_EUlS17_E_NS1_11comp_targetILNS1_3genE8ELNS1_11target_archE1030ELNS1_3gpuE2ELNS1_3repE0EEENS1_30default_config_static_selectorELNS0_4arch9wavefront6targetE0EEEvT1_.uses_flat_scratch, 0
	.set _ZN7rocprim17ROCPRIM_400000_NS6detail17trampoline_kernelINS0_14default_configENS1_25partition_config_selectorILNS1_17partition_subalgoE9EllbEEZZNS1_14partition_implILS5_9ELb0ES3_jPlS8_PNS0_10empty_typeENS0_5tupleIJS8_S9_EEENSB_IJS8_SA_EEENS0_18inequality_wrapperIZN2at6native12_GLOBAL__N_124unique_dim_cuda_templateIN3c104HalfEEESt5tupleIJNSF_6TensorESM_SM_EERKSM_lbbbEUlllE0_EEPmJS9_EEE10hipError_tPvRmT3_T4_T5_T6_T7_T9_mT8_P12ihipStream_tbDpT10_ENKUlT_T0_E_clISt17integral_constantIbLb0EES1B_IbLb1EEEEDaS17_S18_EUlS17_E_NS1_11comp_targetILNS1_3genE8ELNS1_11target_archE1030ELNS1_3gpuE2ELNS1_3repE0EEENS1_30default_config_static_selectorELNS0_4arch9wavefront6targetE0EEEvT1_.has_dyn_sized_stack, 0
	.set _ZN7rocprim17ROCPRIM_400000_NS6detail17trampoline_kernelINS0_14default_configENS1_25partition_config_selectorILNS1_17partition_subalgoE9EllbEEZZNS1_14partition_implILS5_9ELb0ES3_jPlS8_PNS0_10empty_typeENS0_5tupleIJS8_S9_EEENSB_IJS8_SA_EEENS0_18inequality_wrapperIZN2at6native12_GLOBAL__N_124unique_dim_cuda_templateIN3c104HalfEEESt5tupleIJNSF_6TensorESM_SM_EERKSM_lbbbEUlllE0_EEPmJS9_EEE10hipError_tPvRmT3_T4_T5_T6_T7_T9_mT8_P12ihipStream_tbDpT10_ENKUlT_T0_E_clISt17integral_constantIbLb0EES1B_IbLb1EEEEDaS17_S18_EUlS17_E_NS1_11comp_targetILNS1_3genE8ELNS1_11target_archE1030ELNS1_3gpuE2ELNS1_3repE0EEENS1_30default_config_static_selectorELNS0_4arch9wavefront6targetE0EEEvT1_.has_recursion, 0
	.set _ZN7rocprim17ROCPRIM_400000_NS6detail17trampoline_kernelINS0_14default_configENS1_25partition_config_selectorILNS1_17partition_subalgoE9EllbEEZZNS1_14partition_implILS5_9ELb0ES3_jPlS8_PNS0_10empty_typeENS0_5tupleIJS8_S9_EEENSB_IJS8_SA_EEENS0_18inequality_wrapperIZN2at6native12_GLOBAL__N_124unique_dim_cuda_templateIN3c104HalfEEESt5tupleIJNSF_6TensorESM_SM_EERKSM_lbbbEUlllE0_EEPmJS9_EEE10hipError_tPvRmT3_T4_T5_T6_T7_T9_mT8_P12ihipStream_tbDpT10_ENKUlT_T0_E_clISt17integral_constantIbLb0EES1B_IbLb1EEEEDaS17_S18_EUlS17_E_NS1_11comp_targetILNS1_3genE8ELNS1_11target_archE1030ELNS1_3gpuE2ELNS1_3repE0EEENS1_30default_config_static_selectorELNS0_4arch9wavefront6targetE0EEEvT1_.has_indirect_call, 0
	.section	.AMDGPU.csdata,"",@progbits
; Kernel info:
; codeLenInByte = 0
; TotalNumSgprs: 0
; NumVgprs: 0
; ScratchSize: 0
; MemoryBound: 0
; FloatMode: 240
; IeeeMode: 1
; LDSByteSize: 0 bytes/workgroup (compile time only)
; SGPRBlocks: 0
; VGPRBlocks: 0
; NumSGPRsForWavesPerEU: 1
; NumVGPRsForWavesPerEU: 1
; NamedBarCnt: 0
; Occupancy: 16
; WaveLimiterHint : 0
; COMPUTE_PGM_RSRC2:SCRATCH_EN: 0
; COMPUTE_PGM_RSRC2:USER_SGPR: 2
; COMPUTE_PGM_RSRC2:TRAP_HANDLER: 0
; COMPUTE_PGM_RSRC2:TGID_X_EN: 1
; COMPUTE_PGM_RSRC2:TGID_Y_EN: 0
; COMPUTE_PGM_RSRC2:TGID_Z_EN: 0
; COMPUTE_PGM_RSRC2:TIDIG_COMP_CNT: 0
	.section	.text._ZN7rocprim17ROCPRIM_400000_NS6detail17trampoline_kernelINS0_14default_configENS1_37merge_sort_block_sort_config_selectorIlNS0_10empty_typeEEEZNS1_21merge_sort_block_sortIS3_PlS8_PS5_S9_ZN2at6native12_GLOBAL__N_124unique_dim_cuda_templateItEESt5tupleIJNSA_6TensorESF_SF_EERKSF_lbbbEUlllE_EE10hipError_tT0_T1_T2_T3_mRjT4_P12ihipStream_tbNS1_7vsmem_tEEUlT_E_NS1_11comp_targetILNS1_3genE0ELNS1_11target_archE4294967295ELNS1_3gpuE0ELNS1_3repE0EEENS1_30default_config_static_selectorELNS0_4arch9wavefront6targetE0EEEvSM_,"axG",@progbits,_ZN7rocprim17ROCPRIM_400000_NS6detail17trampoline_kernelINS0_14default_configENS1_37merge_sort_block_sort_config_selectorIlNS0_10empty_typeEEEZNS1_21merge_sort_block_sortIS3_PlS8_PS5_S9_ZN2at6native12_GLOBAL__N_124unique_dim_cuda_templateItEESt5tupleIJNSA_6TensorESF_SF_EERKSF_lbbbEUlllE_EE10hipError_tT0_T1_T2_T3_mRjT4_P12ihipStream_tbNS1_7vsmem_tEEUlT_E_NS1_11comp_targetILNS1_3genE0ELNS1_11target_archE4294967295ELNS1_3gpuE0ELNS1_3repE0EEENS1_30default_config_static_selectorELNS0_4arch9wavefront6targetE0EEEvSM_,comdat
	.globl	_ZN7rocprim17ROCPRIM_400000_NS6detail17trampoline_kernelINS0_14default_configENS1_37merge_sort_block_sort_config_selectorIlNS0_10empty_typeEEEZNS1_21merge_sort_block_sortIS3_PlS8_PS5_S9_ZN2at6native12_GLOBAL__N_124unique_dim_cuda_templateItEESt5tupleIJNSA_6TensorESF_SF_EERKSF_lbbbEUlllE_EE10hipError_tT0_T1_T2_T3_mRjT4_P12ihipStream_tbNS1_7vsmem_tEEUlT_E_NS1_11comp_targetILNS1_3genE0ELNS1_11target_archE4294967295ELNS1_3gpuE0ELNS1_3repE0EEENS1_30default_config_static_selectorELNS0_4arch9wavefront6targetE0EEEvSM_ ; -- Begin function _ZN7rocprim17ROCPRIM_400000_NS6detail17trampoline_kernelINS0_14default_configENS1_37merge_sort_block_sort_config_selectorIlNS0_10empty_typeEEEZNS1_21merge_sort_block_sortIS3_PlS8_PS5_S9_ZN2at6native12_GLOBAL__N_124unique_dim_cuda_templateItEESt5tupleIJNSA_6TensorESF_SF_EERKSF_lbbbEUlllE_EE10hipError_tT0_T1_T2_T3_mRjT4_P12ihipStream_tbNS1_7vsmem_tEEUlT_E_NS1_11comp_targetILNS1_3genE0ELNS1_11target_archE4294967295ELNS1_3gpuE0ELNS1_3repE0EEENS1_30default_config_static_selectorELNS0_4arch9wavefront6targetE0EEEvSM_
	.p2align	8
	.type	_ZN7rocprim17ROCPRIM_400000_NS6detail17trampoline_kernelINS0_14default_configENS1_37merge_sort_block_sort_config_selectorIlNS0_10empty_typeEEEZNS1_21merge_sort_block_sortIS3_PlS8_PS5_S9_ZN2at6native12_GLOBAL__N_124unique_dim_cuda_templateItEESt5tupleIJNSA_6TensorESF_SF_EERKSF_lbbbEUlllE_EE10hipError_tT0_T1_T2_T3_mRjT4_P12ihipStream_tbNS1_7vsmem_tEEUlT_E_NS1_11comp_targetILNS1_3genE0ELNS1_11target_archE4294967295ELNS1_3gpuE0ELNS1_3repE0EEENS1_30default_config_static_selectorELNS0_4arch9wavefront6targetE0EEEvSM_,@function
_ZN7rocprim17ROCPRIM_400000_NS6detail17trampoline_kernelINS0_14default_configENS1_37merge_sort_block_sort_config_selectorIlNS0_10empty_typeEEEZNS1_21merge_sort_block_sortIS3_PlS8_PS5_S9_ZN2at6native12_GLOBAL__N_124unique_dim_cuda_templateItEESt5tupleIJNSA_6TensorESF_SF_EERKSF_lbbbEUlllE_EE10hipError_tT0_T1_T2_T3_mRjT4_P12ihipStream_tbNS1_7vsmem_tEEUlT_E_NS1_11comp_targetILNS1_3genE0ELNS1_11target_archE4294967295ELNS1_3gpuE0ELNS1_3repE0EEENS1_30default_config_static_selectorELNS0_4arch9wavefront6targetE0EEEvSM_: ; @_ZN7rocprim17ROCPRIM_400000_NS6detail17trampoline_kernelINS0_14default_configENS1_37merge_sort_block_sort_config_selectorIlNS0_10empty_typeEEEZNS1_21merge_sort_block_sortIS3_PlS8_PS5_S9_ZN2at6native12_GLOBAL__N_124unique_dim_cuda_templateItEESt5tupleIJNSA_6TensorESF_SF_EERKSF_lbbbEUlllE_EE10hipError_tT0_T1_T2_T3_mRjT4_P12ihipStream_tbNS1_7vsmem_tEEUlT_E_NS1_11comp_targetILNS1_3genE0ELNS1_11target_archE4294967295ELNS1_3gpuE0ELNS1_3repE0EEENS1_30default_config_static_selectorELNS0_4arch9wavefront6targetE0EEEvSM_
; %bb.0:
	s_clause 0x1
	s_load_b32 s4, s[0:1], 0x0
	s_load_b64 s[8:9], s[0:1], 0x48
	s_bfe_u32 s2, ttmp6, 0x40010
	s_and_b32 s3, ttmp7, 0xffff
	s_add_co_i32 s2, s2, 1
	s_bfe_u32 s6, ttmp6, 0x4000c
	s_mul_i32 s2, s3, s2
	s_bfe_u32 s5, ttmp6, 0x40004
	s_add_co_i32 s6, s6, 1
	s_bfe_u32 s7, ttmp6, 0x40014
	s_add_co_i32 s5, s5, s2
	s_and_b32 s2, ttmp6, 15
	s_mul_i32 s6, ttmp9, s6
	s_lshr_b32 s10, ttmp7, 16
	s_add_co_i32 s7, s7, 1
	s_add_co_i32 s2, s2, s6
	s_mul_i32 s6, s10, s7
	s_bfe_u32 s7, ttmp6, 0x40008
	s_getreg_b32 s11, hwreg(HW_REG_IB_STS2, 6, 4)
	s_add_co_i32 s7, s7, s6
	s_cmp_eq_u32 s11, 0
	s_cselect_b32 s6, s10, s7
	s_cselect_b32 s3, s3, s5
	s_wait_kmcnt 0x0
	s_mul_i32 s6, s9, s6
	s_cselect_b32 s9, ttmp9, s2
	s_add_co_i32 s2, s6, s3
	s_mov_b32 s3, 0
	s_mul_i32 s2, s2, s8
	s_delay_alu instid0(SALU_CYCLE_1) | instskip(NEXT) | instid1(SALU_CYCLE_1)
	s_add_co_i32 s2, s2, s9
	s_cmp_ge_u32 s2, s4
	s_cbranch_scc1 .LBB1361_1486
; %bb.1:
	s_clause 0x2
	s_load_b64 s[4:5], s[0:1], 0x8
	s_load_b128 s[12:15], s[0:1], 0x18
	s_load_b128 s[16:19], s[0:1], 0x38
	v_and_b32_e32 v18, 0x3ff, v0
	s_add_nc_u64 s[10:11], s[0:1], 0x48
	s_wait_xcnt 0x0
	s_lshl_b64 s[0:1], s[2:3], 14
	s_wait_kmcnt 0x0
	s_lshr_b64 s[6:7], s[4:5], 11
	s_add_nc_u64 s[12:13], s[12:13], s[0:1]
	s_cmp_lg_u64 s[6:7], s[2:3]
	s_add_nc_u64 s[20:21], s[14:15], s[0:1]
	s_cbranch_scc0 .LBB1361_8
; %bb.2:
	s_clause 0x7
	global_load_b64 v[2:3], v18, s[12:13] scale_offset
	global_load_b64 v[4:5], v18, s[12:13] offset:2048 scale_offset
	global_load_b64 v[6:7], v18, s[12:13] offset:4096 scale_offset
	;; [unrolled: 1-line block ×7, first 2 shown]
	v_dual_lshrrev_b32 v19, 2, v18 :: v_dual_lshlrev_b32 v1, 3, v18
	v_add_nc_u32_e32 v20, 0x100, v18
	v_add_nc_u32_e32 v21, 0x200, v18
	;; [unrolled: 1-line block ×3, first 2 shown]
	v_or_b32_e32 v23, 0x400, v18
	v_add_nc_u32_e32 v24, 0x500, v18
	v_add_nc_u32_e32 v25, 0x600, v18
	;; [unrolled: 1-line block ×3, first 2 shown]
	v_dual_lshlrev_b32 v27, 1, v18 :: v_dual_lshrrev_b32 v20, 2, v20
	v_and_b32_e32 v19, 0xf8, v19
	v_dual_lshrrev_b32 v21, 2, v21 :: v_dual_lshrrev_b32 v22, 2, v22
	v_dual_lshrrev_b32 v23, 2, v23 :: v_dual_lshrrev_b32 v24, 2, v24
	;; [unrolled: 1-line block ×3, first 2 shown]
	v_and_b32_e32 v27, 0x7f8, v27
	v_add_nc_u32_e32 v36, v19, v1
	v_and_b32_e32 v19, 0x1f8, v20
	v_and_b32_e32 v20, 0x1f8, v21
	;; [unrolled: 1-line block ×7, first 2 shown]
	v_lshl_add_u32 v44, v18, 6, v27
	v_dual_add_nc_u32 v37, v19, v1 :: v_dual_add_nc_u32 v38, v20, v1
	v_add_nc_u32_e32 v39, v21, v1
	s_cmp_lt_u32 s9, s8
	v_dual_add_nc_u32 v40, v22, v1 :: v_dual_add_nc_u32 v41, v23, v1
	v_dual_add_nc_u32 v42, v24, v1 :: v_dual_add_nc_u32 v43, v25, v1
	s_mov_b32 s1, 0
	s_cselect_b32 s0, 12, 18
	v_bfe_u32 v19, v0, 10, 10
	s_add_nc_u64 s[0:1], s[10:11], s[0:1]
	v_bfe_u32 v20, v0, 20, 10
	v_cmp_gt_i64_e64 s14, s[16:17], 0
	s_wait_loadcnt 0x7
	ds_store_b64 v36, v[2:3]
	s_wait_loadcnt 0x6
	ds_store_b64 v37, v[4:5] offset:2048
	s_wait_loadcnt 0x5
	ds_store_b64 v38, v[6:7] offset:4096
	;; [unrolled: 2-line block ×7, first 2 shown]
	s_wait_dscnt 0x0
	s_barrier_signal -1
	s_barrier_wait -1
	ds_load_2addr_b64 v[14:17], v44 offset1:1
	ds_load_2addr_b64 v[10:13], v44 offset0:2 offset1:3
	ds_load_2addr_b64 v[6:9], v44 offset0:4 offset1:5
	;; [unrolled: 1-line block ×3, first 2 shown]
	s_wait_dscnt 0x0
	s_barrier_signal -1
	s_barrier_wait -1
	s_load_u16 s5, s[10:11], 0xe
	v_cndmask_b32_e64 v45, 0, 1, s14
	s_load_u16 s0, s[0:1], 0x0
	s_wait_kmcnt 0x0
	v_mad_u32_u24 v19, v20, s5, v19
	s_mov_b32 s5, exec_lo
	s_delay_alu instid0(VALU_DEP_1) | instskip(NEXT) | instid1(VALU_DEP_1)
	v_mul_lo_u32 v19, v19, s0
	v_add_lshl_u32 v24, v19, v18, 3
	v_mov_b32_e32 v19, 0
	s_delay_alu instid0(VALU_DEP_2)
	v_cmpx_gt_u32_e32 0x800, v24
	s_cbranch_execz .LBB1361_188
; %bb.3:
	s_and_not1_b32 vcc_lo, exec_lo, s14
	s_cbranch_vccnz .LBB1361_18
; %bb.4:
	v_mul_u64_e32 v[20:21], s[16:17], v[16:17]
	v_mul_u64_e32 v[22:23], s[16:17], v[14:15]
	s_mov_b32 s22, 0
	s_mov_b64 s[6:7], s[16:17]
                                        ; implicit-def: $sgpr15
                                        ; implicit-def: $sgpr23
                                        ; implicit-def: $sgpr25
                                        ; implicit-def: $sgpr24
                                        ; implicit-def: $sgpr26
	s_delay_alu instid0(VALU_DEP_2) | instskip(NEXT) | instid1(VALU_DEP_2)
	v_lshl_add_u64 v[20:21], v[20:21], 1, s[18:19]
	v_lshl_add_u64 v[22:23], v[22:23], 1, s[18:19]
	s_branch .LBB1361_6
.LBB1361_5:                             ;   in Loop: Header=BB1361_6 Depth=1
	s_or_b32 exec_lo, exec_lo, s27
	s_and_b32 s0, s0, s26
	s_delay_alu instid0(SALU_CYCLE_1) | instskip(SKIP_1) | instid1(SALU_CYCLE_1)
	s_or_b32 s0, vcc_lo, s0
	s_and_b32 s1, exec_lo, s25
	s_or_b32 s22, s1, s22
	s_and_not1_b32 s1, s26, exec_lo
	s_and_b32 s0, s0, exec_lo
	s_and_not1_b32 s23, s23, exec_lo
	s_and_b32 s27, s24, exec_lo
	s_or_b32 s26, s1, s0
	s_and_not1_b32 s1, s15, exec_lo
	s_or_b32 s23, s23, s27
	s_or_b32 s15, s1, s0
	s_and_not1_b32 exec_lo, exec_lo, s22
	s_cbranch_execz .LBB1361_9
.LBB1361_6:                             ; =>This Inner Loop Header: Depth=1
	global_load_u16 v25, v[20:21], off
	global_load_u16 v26, v[22:23], off
	s_or_b32 s24, s24, exec_lo
	s_or_b32 s25, s25, exec_lo
	s_mov_b32 s27, exec_lo
	s_wait_loadcnt 0x0
	v_cmp_le_u16_e64 s0, v25, v26
	v_cmp_lt_u16_e32 vcc_lo, v25, v26
	v_cmpx_eq_u16_e64 v25, v26
	s_cbranch_execz .LBB1361_5
; %bb.7:                                ;   in Loop: Header=BB1361_6 Depth=1
	s_add_nc_u64 s[6:7], s[6:7], -1
	v_add_nc_u64_e32 v[20:21], 2, v[20:21]
	s_cmp_eq_u64 s[6:7], 0
	v_add_nc_u64_e32 v[22:23], 2, v[22:23]
	s_cselect_b32 s1, -1, 0
	s_and_not1_b32 s25, s25, exec_lo
	s_and_b32 s1, s1, exec_lo
	s_and_not1_b32 s24, s24, exec_lo
	s_or_b32 s25, s25, s1
	s_branch .LBB1361_5
.LBB1361_8:
	s_mov_b32 s24, s3
                                        ; implicit-def: $vgpr2_vgpr3
	s_cbranch_execnz .LBB1361_698
	s_branch .LBB1361_1484
.LBB1361_9:
	s_or_b32 exec_lo, exec_lo, s22
	s_and_saveexec_b32 s0, s23
	s_delay_alu instid0(SALU_CYCLE_1)
	s_xor_b32 s0, exec_lo, s0
; %bb.10:
	v_dual_cndmask_b32 v21, v17, v15, s15 :: v_dual_cndmask_b32 v20, v16, v14, s15
	v_dual_cndmask_b32 v15, v15, v17, s15 :: v_dual_cndmask_b32 v14, v14, v16, s15
	s_delay_alu instid0(VALU_DEP_2)
	v_mov_b64_e32 v[16:17], v[20:21]
; %bb.11:
	s_or_b32 exec_lo, exec_lo, s0
	v_mul_u64_e32 v[20:21], s[16:17], v[12:13]
	v_mul_u64_e32 v[22:23], s[16:17], v[10:11]
	s_mov_b32 s22, 0
	s_mov_b64 s[6:7], s[16:17]
                                        ; implicit-def: $sgpr15
                                        ; implicit-def: $sgpr23
                                        ; implicit-def: $sgpr25
                                        ; implicit-def: $sgpr24
                                        ; implicit-def: $sgpr26
	s_delay_alu instid0(VALU_DEP_2) | instskip(NEXT) | instid1(VALU_DEP_2)
	v_lshl_add_u64 v[20:21], v[20:21], 1, s[18:19]
	v_lshl_add_u64 v[22:23], v[22:23], 1, s[18:19]
	s_branch .LBB1361_13
.LBB1361_12:                            ;   in Loop: Header=BB1361_13 Depth=1
	s_or_b32 exec_lo, exec_lo, s27
	s_and_b32 s0, s0, s26
	s_delay_alu instid0(SALU_CYCLE_1) | instskip(SKIP_1) | instid1(SALU_CYCLE_1)
	s_or_b32 s0, vcc_lo, s0
	s_and_b32 s1, exec_lo, s25
	s_or_b32 s22, s1, s22
	s_and_not1_b32 s1, s26, exec_lo
	s_and_b32 s0, s0, exec_lo
	s_and_not1_b32 s23, s23, exec_lo
	s_and_b32 s27, s24, exec_lo
	s_or_b32 s26, s1, s0
	s_and_not1_b32 s1, s15, exec_lo
	s_or_b32 s23, s23, s27
	s_or_b32 s15, s1, s0
	s_and_not1_b32 exec_lo, exec_lo, s22
	s_cbranch_execz .LBB1361_15
.LBB1361_13:                            ; =>This Inner Loop Header: Depth=1
	global_load_u16 v25, v[20:21], off
	global_load_u16 v26, v[22:23], off
	s_or_b32 s24, s24, exec_lo
	s_or_b32 s25, s25, exec_lo
	s_mov_b32 s27, exec_lo
	s_wait_loadcnt 0x0
	v_cmp_le_u16_e64 s0, v25, v26
	v_cmp_lt_u16_e32 vcc_lo, v25, v26
	v_cmpx_eq_u16_e64 v25, v26
	s_cbranch_execz .LBB1361_12
; %bb.14:                               ;   in Loop: Header=BB1361_13 Depth=1
	s_add_nc_u64 s[6:7], s[6:7], -1
	v_add_nc_u64_e32 v[20:21], 2, v[20:21]
	s_cmp_eq_u64 s[6:7], 0
	v_add_nc_u64_e32 v[22:23], 2, v[22:23]
	s_cselect_b32 s1, -1, 0
	s_and_not1_b32 s25, s25, exec_lo
	s_and_b32 s1, s1, exec_lo
	s_and_not1_b32 s24, s24, exec_lo
	s_or_b32 s25, s25, s1
	s_branch .LBB1361_12
.LBB1361_15:
	s_or_b32 exec_lo, exec_lo, s22
	s_and_saveexec_b32 s0, s23
	s_delay_alu instid0(SALU_CYCLE_1)
	s_xor_b32 s0, exec_lo, s0
; %bb.16:
	v_dual_cndmask_b32 v21, v11, v13, s15 :: v_dual_cndmask_b32 v20, v10, v12, s15
	v_dual_cndmask_b32 v13, v13, v11, s15 :: v_dual_cndmask_b32 v12, v12, v10, s15
	s_delay_alu instid0(VALU_DEP_2)
	v_mov_b64_e32 v[10:11], v[20:21]
; %bb.17:
	s_or_b32 exec_lo, exec_lo, s0
.LBB1361_18:
	s_delay_alu instid0(SALU_CYCLE_1)
	s_and_not1_b32 vcc_lo, exec_lo, s14
	s_cbranch_vccnz .LBB1361_32
; %bb.19:
	v_mul_u64_e32 v[20:21], s[16:17], v[8:9]
	v_mul_u64_e32 v[22:23], s[16:17], v[6:7]
	s_mov_b32 s22, 0
	s_mov_b64 s[6:7], s[16:17]
                                        ; implicit-def: $sgpr15
                                        ; implicit-def: $sgpr23
                                        ; implicit-def: $sgpr25
                                        ; implicit-def: $sgpr24
                                        ; implicit-def: $sgpr26
	s_delay_alu instid0(VALU_DEP_2) | instskip(NEXT) | instid1(VALU_DEP_2)
	v_lshl_add_u64 v[20:21], v[20:21], 1, s[18:19]
	v_lshl_add_u64 v[22:23], v[22:23], 1, s[18:19]
	s_branch .LBB1361_21
.LBB1361_20:                            ;   in Loop: Header=BB1361_21 Depth=1
	s_or_b32 exec_lo, exec_lo, s27
	s_and_b32 s0, s0, s26
	s_delay_alu instid0(SALU_CYCLE_1) | instskip(SKIP_1) | instid1(SALU_CYCLE_1)
	s_or_b32 s0, vcc_lo, s0
	s_and_b32 s1, exec_lo, s25
	s_or_b32 s22, s1, s22
	s_and_not1_b32 s1, s26, exec_lo
	s_and_b32 s0, s0, exec_lo
	s_and_not1_b32 s23, s23, exec_lo
	s_and_b32 s27, s24, exec_lo
	s_or_b32 s26, s1, s0
	s_and_not1_b32 s1, s15, exec_lo
	s_or_b32 s23, s23, s27
	s_or_b32 s15, s1, s0
	s_and_not1_b32 exec_lo, exec_lo, s22
	s_cbranch_execz .LBB1361_23
.LBB1361_21:                            ; =>This Inner Loop Header: Depth=1
	global_load_u16 v25, v[20:21], off
	global_load_u16 v26, v[22:23], off
	s_or_b32 s24, s24, exec_lo
	s_or_b32 s25, s25, exec_lo
	s_mov_b32 s27, exec_lo
	s_wait_loadcnt 0x0
	v_cmp_le_u16_e64 s0, v25, v26
	v_cmp_lt_u16_e32 vcc_lo, v25, v26
	v_cmpx_eq_u16_e64 v25, v26
	s_cbranch_execz .LBB1361_20
; %bb.22:                               ;   in Loop: Header=BB1361_21 Depth=1
	s_add_nc_u64 s[6:7], s[6:7], -1
	v_add_nc_u64_e32 v[20:21], 2, v[20:21]
	s_cmp_eq_u64 s[6:7], 0
	v_add_nc_u64_e32 v[22:23], 2, v[22:23]
	s_cselect_b32 s1, -1, 0
	s_and_not1_b32 s25, s25, exec_lo
	s_and_b32 s1, s1, exec_lo
	s_and_not1_b32 s24, s24, exec_lo
	s_or_b32 s25, s25, s1
	s_branch .LBB1361_20
.LBB1361_23:
	s_or_b32 exec_lo, exec_lo, s22
	s_and_saveexec_b32 s0, s23
	s_delay_alu instid0(SALU_CYCLE_1)
	s_xor_b32 s0, exec_lo, s0
; %bb.24:
	v_dual_cndmask_b32 v21, v7, v9, s15 :: v_dual_cndmask_b32 v20, v6, v8, s15
	v_dual_cndmask_b32 v9, v9, v7, s15 :: v_dual_cndmask_b32 v8, v8, v6, s15
	s_delay_alu instid0(VALU_DEP_2)
	v_mov_b64_e32 v[6:7], v[20:21]
; %bb.25:
	s_or_b32 exec_lo, exec_lo, s0
	v_mul_u64_e32 v[20:21], s[16:17], v[4:5]
	v_mul_u64_e32 v[22:23], s[16:17], v[2:3]
	s_mov_b32 s22, 0
	s_mov_b64 s[6:7], s[16:17]
                                        ; implicit-def: $sgpr15
                                        ; implicit-def: $sgpr23
                                        ; implicit-def: $sgpr25
                                        ; implicit-def: $sgpr24
                                        ; implicit-def: $sgpr26
	s_delay_alu instid0(VALU_DEP_2) | instskip(NEXT) | instid1(VALU_DEP_2)
	v_lshl_add_u64 v[20:21], v[20:21], 1, s[18:19]
	v_lshl_add_u64 v[22:23], v[22:23], 1, s[18:19]
	s_branch .LBB1361_27
.LBB1361_26:                            ;   in Loop: Header=BB1361_27 Depth=1
	s_or_b32 exec_lo, exec_lo, s27
	s_and_b32 s0, s0, s26
	s_delay_alu instid0(SALU_CYCLE_1) | instskip(SKIP_1) | instid1(SALU_CYCLE_1)
	s_or_b32 s0, vcc_lo, s0
	s_and_b32 s1, exec_lo, s25
	s_or_b32 s22, s1, s22
	s_and_not1_b32 s1, s26, exec_lo
	s_and_b32 s0, s0, exec_lo
	s_and_not1_b32 s23, s23, exec_lo
	s_and_b32 s27, s24, exec_lo
	s_or_b32 s26, s1, s0
	s_and_not1_b32 s1, s15, exec_lo
	s_or_b32 s23, s23, s27
	s_or_b32 s15, s1, s0
	s_and_not1_b32 exec_lo, exec_lo, s22
	s_cbranch_execz .LBB1361_29
.LBB1361_27:                            ; =>This Inner Loop Header: Depth=1
	global_load_u16 v25, v[20:21], off
	global_load_u16 v26, v[22:23], off
	s_or_b32 s24, s24, exec_lo
	s_or_b32 s25, s25, exec_lo
	s_mov_b32 s27, exec_lo
	s_wait_loadcnt 0x0
	v_cmp_le_u16_e64 s0, v25, v26
	v_cmp_lt_u16_e32 vcc_lo, v25, v26
	v_cmpx_eq_u16_e64 v25, v26
	s_cbranch_execz .LBB1361_26
; %bb.28:                               ;   in Loop: Header=BB1361_27 Depth=1
	s_add_nc_u64 s[6:7], s[6:7], -1
	v_add_nc_u64_e32 v[20:21], 2, v[20:21]
	s_cmp_eq_u64 s[6:7], 0
	v_add_nc_u64_e32 v[22:23], 2, v[22:23]
	s_cselect_b32 s1, -1, 0
	s_and_not1_b32 s25, s25, exec_lo
	s_and_b32 s1, s1, exec_lo
	s_and_not1_b32 s24, s24, exec_lo
	s_or_b32 s25, s25, s1
	s_branch .LBB1361_26
.LBB1361_29:
	s_or_b32 exec_lo, exec_lo, s22
	s_and_saveexec_b32 s0, s23
	s_delay_alu instid0(SALU_CYCLE_1)
	s_xor_b32 s0, exec_lo, s0
; %bb.30:
	v_dual_cndmask_b32 v21, v3, v5, s15 :: v_dual_cndmask_b32 v20, v2, v4, s15
	v_dual_cndmask_b32 v5, v5, v3, s15 :: v_dual_cndmask_b32 v4, v4, v2, s15
	s_delay_alu instid0(VALU_DEP_2)
	v_mov_b64_e32 v[2:3], v[20:21]
; %bb.31:
	s_or_b32 exec_lo, exec_lo, s0
.LBB1361_32:
	s_delay_alu instid0(SALU_CYCLE_1)
	s_and_b32 vcc_lo, exec_lo, s14
	s_cbranch_vccz .LBB1361_46
; %bb.33:
	s_delay_alu instid0(VALU_DEP_1) | instskip(SKIP_3) | instid1(VALU_DEP_2)
	v_mul_u64_e32 v[20:21], s[16:17], v[10:11]
	v_mul_u64_e32 v[22:23], s[16:17], v[16:17]
	s_mov_b32 s15, 0
	s_mov_b64 s[6:7], s[16:17]
                                        ; implicit-def: $sgpr14
                                        ; implicit-def: $sgpr22
                                        ; implicit-def: $sgpr24
                                        ; implicit-def: $sgpr23
                                        ; implicit-def: $sgpr25
	v_lshl_add_u64 v[20:21], v[20:21], 1, s[18:19]
	s_delay_alu instid0(VALU_DEP_2)
	v_lshl_add_u64 v[22:23], v[22:23], 1, s[18:19]
	s_branch .LBB1361_35
.LBB1361_34:                            ;   in Loop: Header=BB1361_35 Depth=1
	s_or_b32 exec_lo, exec_lo, s26
	s_and_b32 s0, s0, s25
	s_delay_alu instid0(SALU_CYCLE_1) | instskip(SKIP_1) | instid1(SALU_CYCLE_1)
	s_or_b32 s0, vcc_lo, s0
	s_and_b32 s1, exec_lo, s24
	s_or_b32 s15, s1, s15
	s_and_not1_b32 s1, s25, exec_lo
	s_and_b32 s0, s0, exec_lo
	s_and_not1_b32 s22, s22, exec_lo
	s_and_b32 s26, s23, exec_lo
	s_or_b32 s25, s1, s0
	s_and_not1_b32 s1, s14, exec_lo
	s_or_b32 s22, s22, s26
	s_or_b32 s14, s1, s0
	s_and_not1_b32 exec_lo, exec_lo, s15
	s_cbranch_execz .LBB1361_37
.LBB1361_35:                            ; =>This Inner Loop Header: Depth=1
	global_load_u16 v25, v[20:21], off
	global_load_u16 v26, v[22:23], off
	s_or_b32 s23, s23, exec_lo
	s_or_b32 s24, s24, exec_lo
	s_mov_b32 s26, exec_lo
	s_wait_loadcnt 0x0
	v_cmp_le_u16_e64 s0, v25, v26
	v_cmp_lt_u16_e32 vcc_lo, v25, v26
	v_cmpx_eq_u16_e64 v25, v26
	s_cbranch_execz .LBB1361_34
; %bb.36:                               ;   in Loop: Header=BB1361_35 Depth=1
	s_add_nc_u64 s[6:7], s[6:7], -1
	v_add_nc_u64_e32 v[20:21], 2, v[20:21]
	s_cmp_eq_u64 s[6:7], 0
	v_add_nc_u64_e32 v[22:23], 2, v[22:23]
	s_cselect_b32 s1, -1, 0
	s_and_not1_b32 s24, s24, exec_lo
	s_and_b32 s1, s1, exec_lo
	s_and_not1_b32 s23, s23, exec_lo
	s_or_b32 s24, s24, s1
	s_branch .LBB1361_34
.LBB1361_37:
	s_or_b32 exec_lo, exec_lo, s15
	s_and_saveexec_b32 s0, s22
	s_delay_alu instid0(SALU_CYCLE_1)
	s_xor_b32 s0, exec_lo, s0
; %bb.38:
	v_dual_cndmask_b32 v21, v17, v11, s14 :: v_dual_cndmask_b32 v20, v16, v10, s14
	v_dual_cndmask_b32 v11, v11, v17, s14 :: v_dual_cndmask_b32 v10, v10, v16, s14
	s_delay_alu instid0(VALU_DEP_2)
	v_mov_b64_e32 v[16:17], v[20:21]
; %bb.39:
	s_or_b32 exec_lo, exec_lo, s0
	v_mul_u64_e32 v[20:21], s[16:17], v[6:7]
	v_mul_u64_e32 v[22:23], s[16:17], v[12:13]
	s_mov_b32 s15, 0
	s_mov_b64 s[6:7], s[16:17]
                                        ; implicit-def: $sgpr14
                                        ; implicit-def: $sgpr22
                                        ; implicit-def: $sgpr24
                                        ; implicit-def: $sgpr23
                                        ; implicit-def: $sgpr25
	s_delay_alu instid0(VALU_DEP_2) | instskip(NEXT) | instid1(VALU_DEP_2)
	v_lshl_add_u64 v[20:21], v[20:21], 1, s[18:19]
	v_lshl_add_u64 v[22:23], v[22:23], 1, s[18:19]
	s_branch .LBB1361_41
.LBB1361_40:                            ;   in Loop: Header=BB1361_41 Depth=1
	s_or_b32 exec_lo, exec_lo, s26
	s_and_b32 s0, s0, s25
	s_delay_alu instid0(SALU_CYCLE_1) | instskip(SKIP_1) | instid1(SALU_CYCLE_1)
	s_or_b32 s0, vcc_lo, s0
	s_and_b32 s1, exec_lo, s24
	s_or_b32 s15, s1, s15
	s_and_not1_b32 s1, s25, exec_lo
	s_and_b32 s0, s0, exec_lo
	s_and_not1_b32 s22, s22, exec_lo
	s_and_b32 s26, s23, exec_lo
	s_or_b32 s25, s1, s0
	s_and_not1_b32 s1, s14, exec_lo
	s_or_b32 s22, s22, s26
	s_or_b32 s14, s1, s0
	s_and_not1_b32 exec_lo, exec_lo, s15
	s_cbranch_execz .LBB1361_43
.LBB1361_41:                            ; =>This Inner Loop Header: Depth=1
	global_load_u16 v25, v[20:21], off
	global_load_u16 v26, v[22:23], off
	s_or_b32 s23, s23, exec_lo
	s_or_b32 s24, s24, exec_lo
	s_mov_b32 s26, exec_lo
	s_wait_loadcnt 0x0
	v_cmp_le_u16_e64 s0, v25, v26
	v_cmp_lt_u16_e32 vcc_lo, v25, v26
	v_cmpx_eq_u16_e64 v25, v26
	s_cbranch_execz .LBB1361_40
; %bb.42:                               ;   in Loop: Header=BB1361_41 Depth=1
	s_add_nc_u64 s[6:7], s[6:7], -1
	v_add_nc_u64_e32 v[20:21], 2, v[20:21]
	s_cmp_eq_u64 s[6:7], 0
	v_add_nc_u64_e32 v[22:23], 2, v[22:23]
	s_cselect_b32 s1, -1, 0
	s_and_not1_b32 s24, s24, exec_lo
	s_and_b32 s1, s1, exec_lo
	s_and_not1_b32 s23, s23, exec_lo
	s_or_b32 s24, s24, s1
	s_branch .LBB1361_40
.LBB1361_43:
	s_or_b32 exec_lo, exec_lo, s15
	s_and_saveexec_b32 s0, s22
	s_delay_alu instid0(SALU_CYCLE_1)
	s_xor_b32 s0, exec_lo, s0
; %bb.44:
	v_dual_cndmask_b32 v21, v13, v7, s14 :: v_dual_cndmask_b32 v20, v12, v6, s14
	v_dual_cndmask_b32 v7, v7, v13, s14 :: v_dual_cndmask_b32 v6, v6, v12, s14
	s_delay_alu instid0(VALU_DEP_2)
	v_mov_b64_e32 v[12:13], v[20:21]
; %bb.45:
	s_or_b32 exec_lo, exec_lo, s0
.LBB1361_46:
	v_cmp_ne_u32_e32 vcc_lo, 1, v45
	s_cbranch_vccnz .LBB1361_72
; %bb.47:
	s_delay_alu instid0(VALU_DEP_2) | instskip(SKIP_3) | instid1(VALU_DEP_2)
	v_mul_u64_e32 v[20:21], s[16:17], v[2:3]
	v_mul_u64_e32 v[22:23], s[16:17], v[8:9]
	s_mov_b32 s15, 0
	s_mov_b64 s[6:7], s[16:17]
                                        ; implicit-def: $sgpr14
                                        ; implicit-def: $sgpr22
                                        ; implicit-def: $sgpr24
                                        ; implicit-def: $sgpr23
                                        ; implicit-def: $sgpr25
	v_lshl_add_u64 v[20:21], v[20:21], 1, s[18:19]
	s_delay_alu instid0(VALU_DEP_2)
	v_lshl_add_u64 v[22:23], v[22:23], 1, s[18:19]
	s_branch .LBB1361_49
.LBB1361_48:                            ;   in Loop: Header=BB1361_49 Depth=1
	s_or_b32 exec_lo, exec_lo, s26
	s_and_b32 s0, s0, s25
	s_delay_alu instid0(SALU_CYCLE_1) | instskip(SKIP_1) | instid1(SALU_CYCLE_1)
	s_or_b32 s0, vcc_lo, s0
	s_and_b32 s1, exec_lo, s24
	s_or_b32 s15, s1, s15
	s_and_not1_b32 s1, s25, exec_lo
	s_and_b32 s0, s0, exec_lo
	s_and_not1_b32 s22, s22, exec_lo
	s_and_b32 s26, s23, exec_lo
	s_or_b32 s25, s1, s0
	s_and_not1_b32 s1, s14, exec_lo
	s_or_b32 s22, s22, s26
	s_or_b32 s14, s1, s0
	s_and_not1_b32 exec_lo, exec_lo, s15
	s_cbranch_execz .LBB1361_51
.LBB1361_49:                            ; =>This Inner Loop Header: Depth=1
	global_load_u16 v25, v[20:21], off
	global_load_u16 v26, v[22:23], off
	s_or_b32 s23, s23, exec_lo
	s_or_b32 s24, s24, exec_lo
	s_mov_b32 s26, exec_lo
	s_wait_loadcnt 0x0
	v_cmp_le_u16_e64 s0, v25, v26
	v_cmp_lt_u16_e32 vcc_lo, v25, v26
	v_cmpx_eq_u16_e64 v25, v26
	s_cbranch_execz .LBB1361_48
; %bb.50:                               ;   in Loop: Header=BB1361_49 Depth=1
	s_add_nc_u64 s[6:7], s[6:7], -1
	v_add_nc_u64_e32 v[20:21], 2, v[20:21]
	s_cmp_eq_u64 s[6:7], 0
	v_add_nc_u64_e32 v[22:23], 2, v[22:23]
	s_cselect_b32 s1, -1, 0
	s_and_not1_b32 s24, s24, exec_lo
	s_and_b32 s1, s1, exec_lo
	s_and_not1_b32 s23, s23, exec_lo
	s_or_b32 s24, s24, s1
	s_branch .LBB1361_48
.LBB1361_51:
	s_or_b32 exec_lo, exec_lo, s15
	s_and_saveexec_b32 s0, s22
	s_delay_alu instid0(SALU_CYCLE_1)
	s_xor_b32 s0, exec_lo, s0
; %bb.52:
	v_dual_cndmask_b32 v21, v9, v3, s14 :: v_dual_cndmask_b32 v20, v8, v2, s14
	v_dual_cndmask_b32 v3, v3, v9, s14 :: v_dual_cndmask_b32 v2, v2, v8, s14
	s_delay_alu instid0(VALU_DEP_2)
	v_mov_b64_e32 v[8:9], v[20:21]
; %bb.53:
	s_or_b32 exec_lo, exec_lo, s0
	v_mul_u64_e32 v[20:21], s[16:17], v[16:17]
	v_mul_u64_e32 v[22:23], s[16:17], v[14:15]
	s_mov_b32 s15, 0
	s_mov_b64 s[6:7], s[16:17]
                                        ; implicit-def: $sgpr14
                                        ; implicit-def: $sgpr22
                                        ; implicit-def: $sgpr24
                                        ; implicit-def: $sgpr23
                                        ; implicit-def: $sgpr25
	s_delay_alu instid0(VALU_DEP_2) | instskip(NEXT) | instid1(VALU_DEP_2)
	v_lshl_add_u64 v[20:21], v[20:21], 1, s[18:19]
	v_lshl_add_u64 v[22:23], v[22:23], 1, s[18:19]
	s_branch .LBB1361_55
.LBB1361_54:                            ;   in Loop: Header=BB1361_55 Depth=1
	s_or_b32 exec_lo, exec_lo, s26
	s_and_b32 s0, s0, s25
	s_delay_alu instid0(SALU_CYCLE_1) | instskip(SKIP_1) | instid1(SALU_CYCLE_1)
	s_or_b32 s0, vcc_lo, s0
	s_and_b32 s1, exec_lo, s24
	s_or_b32 s15, s1, s15
	s_and_not1_b32 s1, s25, exec_lo
	s_and_b32 s0, s0, exec_lo
	s_and_not1_b32 s22, s22, exec_lo
	s_and_b32 s26, s23, exec_lo
	s_or_b32 s25, s1, s0
	s_and_not1_b32 s1, s14, exec_lo
	s_or_b32 s22, s22, s26
	s_or_b32 s14, s1, s0
	s_and_not1_b32 exec_lo, exec_lo, s15
	s_cbranch_execz .LBB1361_57
.LBB1361_55:                            ; =>This Inner Loop Header: Depth=1
	global_load_u16 v25, v[20:21], off
	global_load_u16 v26, v[22:23], off
	s_or_b32 s23, s23, exec_lo
	s_or_b32 s24, s24, exec_lo
	s_mov_b32 s26, exec_lo
	s_wait_loadcnt 0x0
	v_cmp_le_u16_e64 s0, v25, v26
	v_cmp_lt_u16_e32 vcc_lo, v25, v26
	v_cmpx_eq_u16_e64 v25, v26
	s_cbranch_execz .LBB1361_54
; %bb.56:                               ;   in Loop: Header=BB1361_55 Depth=1
	s_add_nc_u64 s[6:7], s[6:7], -1
	v_add_nc_u64_e32 v[20:21], 2, v[20:21]
	s_cmp_eq_u64 s[6:7], 0
	v_add_nc_u64_e32 v[22:23], 2, v[22:23]
	s_cselect_b32 s1, -1, 0
	s_and_not1_b32 s24, s24, exec_lo
	s_and_b32 s1, s1, exec_lo
	s_and_not1_b32 s23, s23, exec_lo
	s_or_b32 s24, s24, s1
	s_branch .LBB1361_54
.LBB1361_57:
	s_or_b32 exec_lo, exec_lo, s15
	s_and_saveexec_b32 s0, s22
	s_delay_alu instid0(SALU_CYCLE_1)
	s_xor_b32 s0, exec_lo, s0
; %bb.58:
	v_dual_cndmask_b32 v21, v17, v15, s14 :: v_dual_cndmask_b32 v20, v16, v14, s14
	v_dual_cndmask_b32 v15, v15, v17, s14 :: v_dual_cndmask_b32 v14, v14, v16, s14
	s_delay_alu instid0(VALU_DEP_2)
	v_mov_b64_e32 v[16:17], v[20:21]
; %bb.59:
	s_or_b32 exec_lo, exec_lo, s0
	v_mul_u64_e32 v[20:21], s[16:17], v[12:13]
	v_mul_u64_e32 v[22:23], s[16:17], v[10:11]
	s_mov_b32 s15, 0
	s_mov_b64 s[6:7], s[16:17]
                                        ; implicit-def: $sgpr14
                                        ; implicit-def: $sgpr22
                                        ; implicit-def: $sgpr24
                                        ; implicit-def: $sgpr23
                                        ; implicit-def: $sgpr25
	s_delay_alu instid0(VALU_DEP_2) | instskip(NEXT) | instid1(VALU_DEP_2)
	v_lshl_add_u64 v[20:21], v[20:21], 1, s[18:19]
	;; [unrolled: 64-line block ×3, first 2 shown]
	v_lshl_add_u64 v[22:23], v[22:23], 1, s[18:19]
	s_branch .LBB1361_67
.LBB1361_66:                            ;   in Loop: Header=BB1361_67 Depth=1
	s_or_b32 exec_lo, exec_lo, s26
	s_and_b32 s0, s0, s25
	s_delay_alu instid0(SALU_CYCLE_1) | instskip(SKIP_1) | instid1(SALU_CYCLE_1)
	s_or_b32 s0, vcc_lo, s0
	s_and_b32 s1, exec_lo, s24
	s_or_b32 s15, s1, s15
	s_and_not1_b32 s1, s25, exec_lo
	s_and_b32 s0, s0, exec_lo
	s_and_not1_b32 s22, s22, exec_lo
	s_and_b32 s26, s23, exec_lo
	s_or_b32 s25, s1, s0
	s_and_not1_b32 s1, s14, exec_lo
	s_or_b32 s22, s22, s26
	s_or_b32 s14, s1, s0
	s_and_not1_b32 exec_lo, exec_lo, s15
	s_cbranch_execz .LBB1361_69
.LBB1361_67:                            ; =>This Inner Loop Header: Depth=1
	global_load_u16 v25, v[20:21], off
	global_load_u16 v26, v[22:23], off
	s_or_b32 s23, s23, exec_lo
	s_or_b32 s24, s24, exec_lo
	s_mov_b32 s26, exec_lo
	s_wait_loadcnt 0x0
	v_cmp_le_u16_e64 s0, v25, v26
	v_cmp_lt_u16_e32 vcc_lo, v25, v26
	v_cmpx_eq_u16_e64 v25, v26
	s_cbranch_execz .LBB1361_66
; %bb.68:                               ;   in Loop: Header=BB1361_67 Depth=1
	s_add_nc_u64 s[6:7], s[6:7], -1
	v_add_nc_u64_e32 v[20:21], 2, v[20:21]
	s_cmp_eq_u64 s[6:7], 0
	v_add_nc_u64_e32 v[22:23], 2, v[22:23]
	s_cselect_b32 s1, -1, 0
	s_and_not1_b32 s24, s24, exec_lo
	s_and_b32 s1, s1, exec_lo
	s_and_not1_b32 s23, s23, exec_lo
	s_or_b32 s24, s24, s1
	s_branch .LBB1361_66
.LBB1361_69:
	s_or_b32 exec_lo, exec_lo, s15
	s_and_saveexec_b32 s0, s22
	s_delay_alu instid0(SALU_CYCLE_1)
	s_xor_b32 s0, exec_lo, s0
; %bb.70:
	v_dual_cndmask_b32 v21, v7, v9, s14 :: v_dual_cndmask_b32 v20, v6, v8, s14
	v_dual_cndmask_b32 v9, v9, v7, s14 :: v_dual_cndmask_b32 v8, v8, v6, s14
	s_delay_alu instid0(VALU_DEP_2)
	v_mov_b64_e32 v[6:7], v[20:21]
; %bb.71:
	s_or_b32 exec_lo, exec_lo, s0
.LBB1361_72:
	v_cmp_ne_u32_e32 vcc_lo, 1, v45
	s_cbranch_vccnz .LBB1361_86
; %bb.73:
	v_mul_u64_e32 v[20:21], s[16:17], v[4:5]
	v_mul_u64_e32 v[22:23], s[16:17], v[2:3]
	s_mov_b32 s15, 0
	s_mov_b64 s[6:7], s[16:17]
                                        ; implicit-def: $sgpr14
                                        ; implicit-def: $sgpr22
                                        ; implicit-def: $sgpr24
                                        ; implicit-def: $sgpr23
                                        ; implicit-def: $sgpr25
	s_delay_alu instid0(VALU_DEP_2) | instskip(NEXT) | instid1(VALU_DEP_2)
	v_lshl_add_u64 v[20:21], v[20:21], 1, s[18:19]
	v_lshl_add_u64 v[22:23], v[22:23], 1, s[18:19]
	s_branch .LBB1361_75
.LBB1361_74:                            ;   in Loop: Header=BB1361_75 Depth=1
	s_or_b32 exec_lo, exec_lo, s26
	s_and_b32 s0, s0, s25
	s_delay_alu instid0(SALU_CYCLE_1) | instskip(SKIP_1) | instid1(SALU_CYCLE_1)
	s_or_b32 s0, vcc_lo, s0
	s_and_b32 s1, exec_lo, s24
	s_or_b32 s15, s1, s15
	s_and_not1_b32 s1, s25, exec_lo
	s_and_b32 s0, s0, exec_lo
	s_and_not1_b32 s22, s22, exec_lo
	s_and_b32 s26, s23, exec_lo
	s_or_b32 s25, s1, s0
	s_and_not1_b32 s1, s14, exec_lo
	s_or_b32 s22, s22, s26
	s_or_b32 s14, s1, s0
	s_and_not1_b32 exec_lo, exec_lo, s15
	s_cbranch_execz .LBB1361_77
.LBB1361_75:                            ; =>This Inner Loop Header: Depth=1
	global_load_u16 v25, v[20:21], off
	global_load_u16 v26, v[22:23], off
	s_or_b32 s23, s23, exec_lo
	s_or_b32 s24, s24, exec_lo
	s_mov_b32 s26, exec_lo
	s_wait_loadcnt 0x0
	v_cmp_le_u16_e64 s0, v25, v26
	v_cmp_lt_u16_e32 vcc_lo, v25, v26
	v_cmpx_eq_u16_e64 v25, v26
	s_cbranch_execz .LBB1361_74
; %bb.76:                               ;   in Loop: Header=BB1361_75 Depth=1
	s_add_nc_u64 s[6:7], s[6:7], -1
	v_add_nc_u64_e32 v[20:21], 2, v[20:21]
	s_cmp_eq_u64 s[6:7], 0
	v_add_nc_u64_e32 v[22:23], 2, v[22:23]
	s_cselect_b32 s1, -1, 0
	s_and_not1_b32 s24, s24, exec_lo
	s_and_b32 s1, s1, exec_lo
	s_and_not1_b32 s23, s23, exec_lo
	s_or_b32 s24, s24, s1
	s_branch .LBB1361_74
.LBB1361_77:
	s_or_b32 exec_lo, exec_lo, s15
	s_and_saveexec_b32 s0, s22
	s_delay_alu instid0(SALU_CYCLE_1)
	s_xor_b32 s0, exec_lo, s0
; %bb.78:
	v_dual_cndmask_b32 v21, v3, v5, s14 :: v_dual_cndmask_b32 v20, v2, v4, s14
	v_dual_cndmask_b32 v5, v5, v3, s14 :: v_dual_cndmask_b32 v4, v4, v2, s14
	s_delay_alu instid0(VALU_DEP_2)
	v_mov_b64_e32 v[2:3], v[20:21]
; %bb.79:
	s_or_b32 exec_lo, exec_lo, s0
	v_mul_u64_e32 v[20:21], s[16:17], v[10:11]
	v_mul_u64_e32 v[22:23], s[16:17], v[16:17]
	s_mov_b32 s15, 0
	s_mov_b64 s[6:7], s[16:17]
                                        ; implicit-def: $sgpr14
                                        ; implicit-def: $sgpr22
                                        ; implicit-def: $sgpr24
                                        ; implicit-def: $sgpr23
                                        ; implicit-def: $sgpr25
	s_delay_alu instid0(VALU_DEP_2) | instskip(NEXT) | instid1(VALU_DEP_2)
	v_lshl_add_u64 v[20:21], v[20:21], 1, s[18:19]
	v_lshl_add_u64 v[22:23], v[22:23], 1, s[18:19]
	s_branch .LBB1361_81
.LBB1361_80:                            ;   in Loop: Header=BB1361_81 Depth=1
	s_or_b32 exec_lo, exec_lo, s26
	s_and_b32 s0, s0, s25
	s_delay_alu instid0(SALU_CYCLE_1) | instskip(SKIP_1) | instid1(SALU_CYCLE_1)
	s_or_b32 s0, vcc_lo, s0
	s_and_b32 s1, exec_lo, s24
	s_or_b32 s15, s1, s15
	s_and_not1_b32 s1, s25, exec_lo
	s_and_b32 s0, s0, exec_lo
	s_and_not1_b32 s22, s22, exec_lo
	s_and_b32 s26, s23, exec_lo
	s_or_b32 s25, s1, s0
	s_and_not1_b32 s1, s14, exec_lo
	s_or_b32 s22, s22, s26
	s_or_b32 s14, s1, s0
	s_and_not1_b32 exec_lo, exec_lo, s15
	s_cbranch_execz .LBB1361_83
.LBB1361_81:                            ; =>This Inner Loop Header: Depth=1
	global_load_u16 v25, v[20:21], off
	global_load_u16 v26, v[22:23], off
	s_or_b32 s23, s23, exec_lo
	s_or_b32 s24, s24, exec_lo
	s_mov_b32 s26, exec_lo
	s_wait_loadcnt 0x0
	v_cmp_le_u16_e64 s0, v25, v26
	v_cmp_lt_u16_e32 vcc_lo, v25, v26
	v_cmpx_eq_u16_e64 v25, v26
	s_cbranch_execz .LBB1361_80
; %bb.82:                               ;   in Loop: Header=BB1361_81 Depth=1
	s_add_nc_u64 s[6:7], s[6:7], -1
	v_add_nc_u64_e32 v[20:21], 2, v[20:21]
	s_cmp_eq_u64 s[6:7], 0
	v_add_nc_u64_e32 v[22:23], 2, v[22:23]
	s_cselect_b32 s1, -1, 0
	s_and_not1_b32 s24, s24, exec_lo
	s_and_b32 s1, s1, exec_lo
	s_and_not1_b32 s23, s23, exec_lo
	s_or_b32 s24, s24, s1
	s_branch .LBB1361_80
.LBB1361_83:
	s_or_b32 exec_lo, exec_lo, s15
	s_and_saveexec_b32 s0, s22
	s_delay_alu instid0(SALU_CYCLE_1)
	s_xor_b32 s0, exec_lo, s0
; %bb.84:
	v_dual_cndmask_b32 v21, v17, v11, s14 :: v_dual_cndmask_b32 v20, v16, v10, s14
	v_dual_cndmask_b32 v11, v11, v17, s14 :: v_dual_cndmask_b32 v10, v10, v16, s14
	s_delay_alu instid0(VALU_DEP_2)
	v_mov_b64_e32 v[16:17], v[20:21]
; %bb.85:
	s_or_b32 exec_lo, exec_lo, s0
.LBB1361_86:
	v_cmp_ne_u32_e32 vcc_lo, 1, v45
	s_cbranch_vccnz .LBB1361_100
; %bb.87:
	s_delay_alu instid0(VALU_DEP_3) | instskip(SKIP_3) | instid1(VALU_DEP_2)
	v_mul_u64_e32 v[20:21], s[16:17], v[6:7]
	v_mul_u64_e32 v[22:23], s[16:17], v[12:13]
	s_mov_b32 s15, 0
	s_mov_b64 s[6:7], s[16:17]
                                        ; implicit-def: $sgpr14
                                        ; implicit-def: $sgpr22
                                        ; implicit-def: $sgpr24
                                        ; implicit-def: $sgpr23
                                        ; implicit-def: $sgpr25
	v_lshl_add_u64 v[20:21], v[20:21], 1, s[18:19]
	s_delay_alu instid0(VALU_DEP_2)
	v_lshl_add_u64 v[22:23], v[22:23], 1, s[18:19]
	s_branch .LBB1361_89
.LBB1361_88:                            ;   in Loop: Header=BB1361_89 Depth=1
	s_or_b32 exec_lo, exec_lo, s26
	s_and_b32 s0, s0, s25
	s_delay_alu instid0(SALU_CYCLE_1) | instskip(SKIP_1) | instid1(SALU_CYCLE_1)
	s_or_b32 s0, vcc_lo, s0
	s_and_b32 s1, exec_lo, s24
	s_or_b32 s15, s1, s15
	s_and_not1_b32 s1, s25, exec_lo
	s_and_b32 s0, s0, exec_lo
	s_and_not1_b32 s22, s22, exec_lo
	s_and_b32 s26, s23, exec_lo
	s_or_b32 s25, s1, s0
	s_and_not1_b32 s1, s14, exec_lo
	s_or_b32 s22, s22, s26
	s_or_b32 s14, s1, s0
	s_and_not1_b32 exec_lo, exec_lo, s15
	s_cbranch_execz .LBB1361_91
.LBB1361_89:                            ; =>This Inner Loop Header: Depth=1
	global_load_u16 v25, v[20:21], off
	global_load_u16 v26, v[22:23], off
	s_or_b32 s23, s23, exec_lo
	s_or_b32 s24, s24, exec_lo
	s_mov_b32 s26, exec_lo
	s_wait_loadcnt 0x0
	v_cmp_le_u16_e64 s0, v25, v26
	v_cmp_lt_u16_e32 vcc_lo, v25, v26
	v_cmpx_eq_u16_e64 v25, v26
	s_cbranch_execz .LBB1361_88
; %bb.90:                               ;   in Loop: Header=BB1361_89 Depth=1
	s_add_nc_u64 s[6:7], s[6:7], -1
	v_add_nc_u64_e32 v[20:21], 2, v[20:21]
	s_cmp_eq_u64 s[6:7], 0
	v_add_nc_u64_e32 v[22:23], 2, v[22:23]
	s_cselect_b32 s1, -1, 0
	s_and_not1_b32 s24, s24, exec_lo
	s_and_b32 s1, s1, exec_lo
	s_and_not1_b32 s23, s23, exec_lo
	s_or_b32 s24, s24, s1
	s_branch .LBB1361_88
.LBB1361_91:
	s_or_b32 exec_lo, exec_lo, s15
	s_and_saveexec_b32 s0, s22
	s_delay_alu instid0(SALU_CYCLE_1)
	s_xor_b32 s0, exec_lo, s0
; %bb.92:
	v_dual_cndmask_b32 v21, v13, v7, s14 :: v_dual_cndmask_b32 v20, v12, v6, s14
	v_dual_cndmask_b32 v7, v7, v13, s14 :: v_dual_cndmask_b32 v6, v6, v12, s14
	s_delay_alu instid0(VALU_DEP_2)
	v_mov_b64_e32 v[12:13], v[20:21]
; %bb.93:
	s_or_b32 exec_lo, exec_lo, s0
	v_mul_u64_e32 v[20:21], s[16:17], v[2:3]
	v_mul_u64_e32 v[22:23], s[16:17], v[8:9]
	s_mov_b32 s15, 0
	s_mov_b64 s[6:7], s[16:17]
                                        ; implicit-def: $sgpr14
                                        ; implicit-def: $sgpr22
                                        ; implicit-def: $sgpr24
                                        ; implicit-def: $sgpr23
                                        ; implicit-def: $sgpr25
	s_delay_alu instid0(VALU_DEP_2) | instskip(NEXT) | instid1(VALU_DEP_2)
	v_lshl_add_u64 v[20:21], v[20:21], 1, s[18:19]
	v_lshl_add_u64 v[22:23], v[22:23], 1, s[18:19]
	s_branch .LBB1361_95
.LBB1361_94:                            ;   in Loop: Header=BB1361_95 Depth=1
	s_or_b32 exec_lo, exec_lo, s26
	s_and_b32 s0, s0, s25
	s_delay_alu instid0(SALU_CYCLE_1) | instskip(SKIP_1) | instid1(SALU_CYCLE_1)
	s_or_b32 s0, vcc_lo, s0
	s_and_b32 s1, exec_lo, s24
	s_or_b32 s15, s1, s15
	s_and_not1_b32 s1, s25, exec_lo
	s_and_b32 s0, s0, exec_lo
	s_and_not1_b32 s22, s22, exec_lo
	s_and_b32 s26, s23, exec_lo
	s_or_b32 s25, s1, s0
	s_and_not1_b32 s1, s14, exec_lo
	s_or_b32 s22, s22, s26
	s_or_b32 s14, s1, s0
	s_and_not1_b32 exec_lo, exec_lo, s15
	s_cbranch_execz .LBB1361_97
.LBB1361_95:                            ; =>This Inner Loop Header: Depth=1
	global_load_u16 v25, v[20:21], off
	global_load_u16 v26, v[22:23], off
	s_or_b32 s23, s23, exec_lo
	s_or_b32 s24, s24, exec_lo
	s_mov_b32 s26, exec_lo
	s_wait_loadcnt 0x0
	v_cmp_le_u16_e64 s0, v25, v26
	v_cmp_lt_u16_e32 vcc_lo, v25, v26
	v_cmpx_eq_u16_e64 v25, v26
	s_cbranch_execz .LBB1361_94
; %bb.96:                               ;   in Loop: Header=BB1361_95 Depth=1
	s_add_nc_u64 s[6:7], s[6:7], -1
	v_add_nc_u64_e32 v[20:21], 2, v[20:21]
	s_cmp_eq_u64 s[6:7], 0
	v_add_nc_u64_e32 v[22:23], 2, v[22:23]
	s_cselect_b32 s1, -1, 0
	s_and_not1_b32 s24, s24, exec_lo
	s_and_b32 s1, s1, exec_lo
	s_and_not1_b32 s23, s23, exec_lo
	s_or_b32 s24, s24, s1
	s_branch .LBB1361_94
.LBB1361_97:
	s_or_b32 exec_lo, exec_lo, s15
	s_and_saveexec_b32 s0, s22
	s_delay_alu instid0(SALU_CYCLE_1)
	s_xor_b32 s0, exec_lo, s0
; %bb.98:
	v_dual_cndmask_b32 v21, v9, v3, s14 :: v_dual_cndmask_b32 v20, v8, v2, s14
	v_dual_cndmask_b32 v3, v3, v9, s14 :: v_dual_cndmask_b32 v2, v2, v8, s14
	s_delay_alu instid0(VALU_DEP_2)
	v_mov_b64_e32 v[8:9], v[20:21]
; %bb.99:
	s_or_b32 exec_lo, exec_lo, s0
.LBB1361_100:
	v_cmp_ne_u32_e32 vcc_lo, 1, v45
	s_cbranch_vccnz .LBB1361_114
; %bb.101:
	s_delay_alu instid0(VALU_DEP_3) | instskip(SKIP_3) | instid1(VALU_DEP_2)
	v_mul_u64_e32 v[20:21], s[16:17], v[16:17]
	v_mul_u64_e32 v[22:23], s[16:17], v[14:15]
	s_mov_b32 s15, 0
	s_mov_b64 s[6:7], s[16:17]
                                        ; implicit-def: $sgpr14
                                        ; implicit-def: $sgpr22
                                        ; implicit-def: $sgpr24
                                        ; implicit-def: $sgpr23
                                        ; implicit-def: $sgpr25
	v_lshl_add_u64 v[20:21], v[20:21], 1, s[18:19]
	s_delay_alu instid0(VALU_DEP_2)
	v_lshl_add_u64 v[22:23], v[22:23], 1, s[18:19]
	s_branch .LBB1361_103
.LBB1361_102:                           ;   in Loop: Header=BB1361_103 Depth=1
	s_or_b32 exec_lo, exec_lo, s26
	s_and_b32 s0, s0, s25
	s_delay_alu instid0(SALU_CYCLE_1) | instskip(SKIP_1) | instid1(SALU_CYCLE_1)
	s_or_b32 s0, vcc_lo, s0
	s_and_b32 s1, exec_lo, s24
	s_or_b32 s15, s1, s15
	s_and_not1_b32 s1, s25, exec_lo
	s_and_b32 s0, s0, exec_lo
	s_and_not1_b32 s22, s22, exec_lo
	s_and_b32 s26, s23, exec_lo
	s_or_b32 s25, s1, s0
	s_and_not1_b32 s1, s14, exec_lo
	s_or_b32 s22, s22, s26
	s_or_b32 s14, s1, s0
	s_and_not1_b32 exec_lo, exec_lo, s15
	s_cbranch_execz .LBB1361_105
.LBB1361_103:                           ; =>This Inner Loop Header: Depth=1
	global_load_u16 v25, v[20:21], off
	global_load_u16 v26, v[22:23], off
	s_or_b32 s23, s23, exec_lo
	s_or_b32 s24, s24, exec_lo
	s_mov_b32 s26, exec_lo
	s_wait_loadcnt 0x0
	v_cmp_le_u16_e64 s0, v25, v26
	v_cmp_lt_u16_e32 vcc_lo, v25, v26
	v_cmpx_eq_u16_e64 v25, v26
	s_cbranch_execz .LBB1361_102
; %bb.104:                              ;   in Loop: Header=BB1361_103 Depth=1
	s_add_nc_u64 s[6:7], s[6:7], -1
	v_add_nc_u64_e32 v[20:21], 2, v[20:21]
	s_cmp_eq_u64 s[6:7], 0
	v_add_nc_u64_e32 v[22:23], 2, v[22:23]
	s_cselect_b32 s1, -1, 0
	s_and_not1_b32 s24, s24, exec_lo
	s_and_b32 s1, s1, exec_lo
	s_and_not1_b32 s23, s23, exec_lo
	s_or_b32 s24, s24, s1
	s_branch .LBB1361_102
.LBB1361_105:
	s_or_b32 exec_lo, exec_lo, s15
	s_and_saveexec_b32 s0, s22
	s_delay_alu instid0(SALU_CYCLE_1)
	s_xor_b32 s0, exec_lo, s0
; %bb.106:
	v_dual_cndmask_b32 v21, v17, v15, s14 :: v_dual_cndmask_b32 v20, v16, v14, s14
	v_dual_cndmask_b32 v15, v15, v17, s14 :: v_dual_cndmask_b32 v14, v14, v16, s14
	s_delay_alu instid0(VALU_DEP_2)
	v_mov_b64_e32 v[16:17], v[20:21]
; %bb.107:
	s_or_b32 exec_lo, exec_lo, s0
	v_mul_u64_e32 v[20:21], s[16:17], v[12:13]
	v_mul_u64_e32 v[22:23], s[16:17], v[10:11]
	s_mov_b32 s15, 0
	s_mov_b64 s[6:7], s[16:17]
                                        ; implicit-def: $sgpr14
                                        ; implicit-def: $sgpr22
                                        ; implicit-def: $sgpr24
                                        ; implicit-def: $sgpr23
                                        ; implicit-def: $sgpr25
	s_delay_alu instid0(VALU_DEP_2) | instskip(NEXT) | instid1(VALU_DEP_2)
	v_lshl_add_u64 v[20:21], v[20:21], 1, s[18:19]
	v_lshl_add_u64 v[22:23], v[22:23], 1, s[18:19]
	s_branch .LBB1361_109
.LBB1361_108:                           ;   in Loop: Header=BB1361_109 Depth=1
	s_or_b32 exec_lo, exec_lo, s26
	s_and_b32 s0, s0, s25
	s_delay_alu instid0(SALU_CYCLE_1) | instskip(SKIP_1) | instid1(SALU_CYCLE_1)
	s_or_b32 s0, vcc_lo, s0
	s_and_b32 s1, exec_lo, s24
	s_or_b32 s15, s1, s15
	s_and_not1_b32 s1, s25, exec_lo
	s_and_b32 s0, s0, exec_lo
	s_and_not1_b32 s22, s22, exec_lo
	s_and_b32 s26, s23, exec_lo
	s_or_b32 s25, s1, s0
	s_and_not1_b32 s1, s14, exec_lo
	s_or_b32 s22, s22, s26
	s_or_b32 s14, s1, s0
	s_and_not1_b32 exec_lo, exec_lo, s15
	s_cbranch_execz .LBB1361_111
.LBB1361_109:                           ; =>This Inner Loop Header: Depth=1
	global_load_u16 v25, v[20:21], off
	global_load_u16 v26, v[22:23], off
	s_or_b32 s23, s23, exec_lo
	s_or_b32 s24, s24, exec_lo
	s_mov_b32 s26, exec_lo
	s_wait_loadcnt 0x0
	v_cmp_le_u16_e64 s0, v25, v26
	v_cmp_lt_u16_e32 vcc_lo, v25, v26
	v_cmpx_eq_u16_e64 v25, v26
	s_cbranch_execz .LBB1361_108
; %bb.110:                              ;   in Loop: Header=BB1361_109 Depth=1
	s_add_nc_u64 s[6:7], s[6:7], -1
	v_add_nc_u64_e32 v[20:21], 2, v[20:21]
	s_cmp_eq_u64 s[6:7], 0
	v_add_nc_u64_e32 v[22:23], 2, v[22:23]
	s_cselect_b32 s1, -1, 0
	s_and_not1_b32 s24, s24, exec_lo
	s_and_b32 s1, s1, exec_lo
	s_and_not1_b32 s23, s23, exec_lo
	s_or_b32 s24, s24, s1
	s_branch .LBB1361_108
.LBB1361_111:
	s_or_b32 exec_lo, exec_lo, s15
	s_and_saveexec_b32 s0, s22
	s_delay_alu instid0(SALU_CYCLE_1)
	s_xor_b32 s0, exec_lo, s0
; %bb.112:
	v_dual_cndmask_b32 v21, v11, v13, s14 :: v_dual_cndmask_b32 v20, v10, v12, s14
	v_dual_cndmask_b32 v13, v13, v11, s14 :: v_dual_cndmask_b32 v12, v12, v10, s14
	s_delay_alu instid0(VALU_DEP_2)
	v_mov_b64_e32 v[10:11], v[20:21]
; %bb.113:
	s_or_b32 exec_lo, exec_lo, s0
.LBB1361_114:
	v_cmp_ne_u32_e32 vcc_lo, 1, v45
	s_cbranch_vccnz .LBB1361_188
; %bb.115:
	s_delay_alu instid0(VALU_DEP_3) | instskip(SKIP_3) | instid1(VALU_DEP_2)
	v_mul_u64_e32 v[20:21], s[16:17], v[8:9]
	v_mul_u64_e32 v[22:23], s[16:17], v[6:7]
	s_mov_b32 s15, 0
	s_mov_b64 s[6:7], s[16:17]
                                        ; implicit-def: $sgpr14
                                        ; implicit-def: $sgpr22
                                        ; implicit-def: $sgpr24
                                        ; implicit-def: $sgpr23
                                        ; implicit-def: $sgpr25
	v_lshl_add_u64 v[20:21], v[20:21], 1, s[18:19]
	s_delay_alu instid0(VALU_DEP_2)
	v_lshl_add_u64 v[22:23], v[22:23], 1, s[18:19]
	s_branch .LBB1361_117
.LBB1361_116:                           ;   in Loop: Header=BB1361_117 Depth=1
	s_or_b32 exec_lo, exec_lo, s26
	s_and_b32 s0, s0, s25
	s_delay_alu instid0(SALU_CYCLE_1) | instskip(SKIP_1) | instid1(SALU_CYCLE_1)
	s_or_b32 s0, vcc_lo, s0
	s_and_b32 s1, exec_lo, s24
	s_or_b32 s15, s1, s15
	s_and_not1_b32 s1, s25, exec_lo
	s_and_b32 s0, s0, exec_lo
	s_and_not1_b32 s22, s22, exec_lo
	s_and_b32 s26, s23, exec_lo
	s_or_b32 s25, s1, s0
	s_and_not1_b32 s1, s14, exec_lo
	s_or_b32 s22, s22, s26
	s_or_b32 s14, s1, s0
	s_and_not1_b32 exec_lo, exec_lo, s15
	s_cbranch_execz .LBB1361_119
.LBB1361_117:                           ; =>This Inner Loop Header: Depth=1
	global_load_u16 v25, v[20:21], off
	global_load_u16 v26, v[22:23], off
	s_or_b32 s23, s23, exec_lo
	s_or_b32 s24, s24, exec_lo
	s_mov_b32 s26, exec_lo
	s_wait_loadcnt 0x0
	v_cmp_le_u16_e64 s0, v25, v26
	v_cmp_lt_u16_e32 vcc_lo, v25, v26
	v_cmpx_eq_u16_e64 v25, v26
	s_cbranch_execz .LBB1361_116
; %bb.118:                              ;   in Loop: Header=BB1361_117 Depth=1
	s_add_nc_u64 s[6:7], s[6:7], -1
	v_add_nc_u64_e32 v[20:21], 2, v[20:21]
	s_cmp_eq_u64 s[6:7], 0
	v_add_nc_u64_e32 v[22:23], 2, v[22:23]
	s_cselect_b32 s1, -1, 0
	s_and_not1_b32 s24, s24, exec_lo
	s_and_b32 s1, s1, exec_lo
	s_and_not1_b32 s23, s23, exec_lo
	s_or_b32 s24, s24, s1
	s_branch .LBB1361_116
.LBB1361_119:
	s_or_b32 exec_lo, exec_lo, s15
	s_and_saveexec_b32 s0, s22
	s_delay_alu instid0(SALU_CYCLE_1)
	s_xor_b32 s0, exec_lo, s0
; %bb.120:
	v_dual_cndmask_b32 v21, v7, v9, s14 :: v_dual_cndmask_b32 v20, v6, v8, s14
	v_dual_cndmask_b32 v9, v9, v7, s14 :: v_dual_cndmask_b32 v8, v8, v6, s14
	s_delay_alu instid0(VALU_DEP_2)
	v_mov_b64_e32 v[6:7], v[20:21]
; %bb.121:
	s_or_b32 exec_lo, exec_lo, s0
	v_mul_u64_e32 v[20:21], s[16:17], v[4:5]
	v_mul_u64_e32 v[22:23], s[16:17], v[2:3]
	s_mov_b32 s15, 0
	s_mov_b64 s[6:7], s[16:17]
                                        ; implicit-def: $sgpr14
                                        ; implicit-def: $sgpr22
                                        ; implicit-def: $sgpr24
                                        ; implicit-def: $sgpr23
                                        ; implicit-def: $sgpr25
	s_delay_alu instid0(VALU_DEP_2) | instskip(NEXT) | instid1(VALU_DEP_2)
	v_lshl_add_u64 v[20:21], v[20:21], 1, s[18:19]
	v_lshl_add_u64 v[22:23], v[22:23], 1, s[18:19]
	s_branch .LBB1361_123
.LBB1361_122:                           ;   in Loop: Header=BB1361_123 Depth=1
	s_or_b32 exec_lo, exec_lo, s26
	s_and_b32 s0, s0, s25
	s_delay_alu instid0(SALU_CYCLE_1) | instskip(SKIP_1) | instid1(SALU_CYCLE_1)
	s_or_b32 s0, vcc_lo, s0
	s_and_b32 s1, exec_lo, s24
	s_or_b32 s15, s1, s15
	s_and_not1_b32 s1, s25, exec_lo
	s_and_b32 s0, s0, exec_lo
	s_and_not1_b32 s22, s22, exec_lo
	s_and_b32 s26, s23, exec_lo
	s_or_b32 s25, s1, s0
	s_and_not1_b32 s1, s14, exec_lo
	s_or_b32 s22, s22, s26
	s_or_b32 s14, s1, s0
	s_and_not1_b32 exec_lo, exec_lo, s15
	s_cbranch_execz .LBB1361_125
.LBB1361_123:                           ; =>This Inner Loop Header: Depth=1
	global_load_u16 v25, v[20:21], off
	global_load_u16 v26, v[22:23], off
	s_or_b32 s23, s23, exec_lo
	s_or_b32 s24, s24, exec_lo
	s_mov_b32 s26, exec_lo
	s_wait_loadcnt 0x0
	v_cmp_le_u16_e64 s0, v25, v26
	v_cmp_lt_u16_e32 vcc_lo, v25, v26
	v_cmpx_eq_u16_e64 v25, v26
	s_cbranch_execz .LBB1361_122
; %bb.124:                              ;   in Loop: Header=BB1361_123 Depth=1
	s_add_nc_u64 s[6:7], s[6:7], -1
	v_add_nc_u64_e32 v[20:21], 2, v[20:21]
	s_cmp_eq_u64 s[6:7], 0
	v_add_nc_u64_e32 v[22:23], 2, v[22:23]
	s_cselect_b32 s1, -1, 0
	s_and_not1_b32 s24, s24, exec_lo
	s_and_b32 s1, s1, exec_lo
	s_and_not1_b32 s23, s23, exec_lo
	s_or_b32 s24, s24, s1
	s_branch .LBB1361_122
.LBB1361_125:
	s_or_b32 exec_lo, exec_lo, s15
	s_and_saveexec_b32 s0, s22
	s_delay_alu instid0(SALU_CYCLE_1)
	s_xor_b32 s0, exec_lo, s0
; %bb.126:
	v_dual_cndmask_b32 v21, v3, v5, s14 :: v_dual_cndmask_b32 v20, v2, v4, s14
	v_dual_cndmask_b32 v5, v5, v3, s14 :: v_dual_cndmask_b32 v4, v4, v2, s14
	s_delay_alu instid0(VALU_DEP_2)
	v_mov_b64_e32 v[2:3], v[20:21]
; %bb.127:
	s_or_b32 exec_lo, exec_lo, s0
	v_mul_u64_e32 v[20:21], s[16:17], v[10:11]
	v_mul_u64_e32 v[22:23], s[16:17], v[16:17]
	s_mov_b32 s15, 0
	s_mov_b64 s[6:7], s[16:17]
                                        ; implicit-def: $sgpr14
                                        ; implicit-def: $sgpr22
                                        ; implicit-def: $sgpr24
                                        ; implicit-def: $sgpr23
                                        ; implicit-def: $sgpr25
	s_delay_alu instid0(VALU_DEP_2) | instskip(NEXT) | instid1(VALU_DEP_2)
	v_lshl_add_u64 v[20:21], v[20:21], 1, s[18:19]
	;; [unrolled: 64-line block ×11, first 2 shown]
	v_lshl_add_u64 v[22:23], v[22:23], 1, s[18:19]
	s_branch .LBB1361_183
.LBB1361_182:                           ;   in Loop: Header=BB1361_183 Depth=1
	s_or_b32 exec_lo, exec_lo, s26
	s_and_b32 s0, s0, s25
	s_delay_alu instid0(SALU_CYCLE_1) | instskip(SKIP_1) | instid1(SALU_CYCLE_1)
	s_or_b32 s0, vcc_lo, s0
	s_and_b32 s1, exec_lo, s24
	s_or_b32 s15, s1, s15
	s_and_not1_b32 s1, s25, exec_lo
	s_and_b32 s0, s0, exec_lo
	s_and_not1_b32 s22, s22, exec_lo
	s_and_b32 s26, s23, exec_lo
	s_or_b32 s25, s1, s0
	s_and_not1_b32 s1, s14, exec_lo
	s_or_b32 s22, s22, s26
	s_or_b32 s14, s1, s0
	s_and_not1_b32 exec_lo, exec_lo, s15
	s_cbranch_execz .LBB1361_185
.LBB1361_183:                           ; =>This Inner Loop Header: Depth=1
	global_load_u16 v25, v[20:21], off
	global_load_u16 v26, v[22:23], off
	s_or_b32 s23, s23, exec_lo
	s_or_b32 s24, s24, exec_lo
	s_mov_b32 s26, exec_lo
	s_wait_loadcnt 0x0
	v_cmp_le_u16_e64 s0, v25, v26
	v_cmp_lt_u16_e32 vcc_lo, v25, v26
	v_cmpx_eq_u16_e64 v25, v26
	s_cbranch_execz .LBB1361_182
; %bb.184:                              ;   in Loop: Header=BB1361_183 Depth=1
	s_add_nc_u64 s[6:7], s[6:7], -1
	v_add_nc_u64_e32 v[20:21], 2, v[20:21]
	s_cmp_eq_u64 s[6:7], 0
	v_add_nc_u64_e32 v[22:23], 2, v[22:23]
	s_cselect_b32 s1, -1, 0
	s_and_not1_b32 s24, s24, exec_lo
	s_and_b32 s1, s1, exec_lo
	s_and_not1_b32 s23, s23, exec_lo
	s_or_b32 s24, s24, s1
	s_branch .LBB1361_182
.LBB1361_185:
	s_or_b32 exec_lo, exec_lo, s15
	s_and_saveexec_b32 s0, s22
	s_delay_alu instid0(SALU_CYCLE_1)
	s_xor_b32 s0, exec_lo, s0
; %bb.186:
	v_dual_cndmask_b32 v21, v9, v3, s14 :: v_dual_cndmask_b32 v20, v8, v2, s14
	v_dual_cndmask_b32 v3, v3, v9, s14 :: v_dual_cndmask_b32 v2, v2, v8, s14
	s_delay_alu instid0(VALU_DEP_2)
	v_mov_b64_e32 v[8:9], v[20:21]
; %bb.187:
	s_or_b32 exec_lo, exec_lo, s0
.LBB1361_188:
	s_delay_alu instid0(SALU_CYCLE_1) | instskip(SKIP_4) | instid1(VALU_DEP_1)
	s_or_b32 exec_lo, exec_lo, s5
	v_mbcnt_lo_u32_b32 v20, -1, 0
	v_and_b32_e32 v21, 0xffffff00, v24
	s_mov_b32 s1, 0
	s_mov_b32 s5, exec_lo
	v_dual_lshlrev_b32 v48, 3, v20 :: v_dual_lshlrev_b32 v46, 3, v21
	v_sub_nc_u32_e64 v47, 0x800, v21 clamp
	s_delay_alu instid0(VALU_DEP_2) | instskip(SKIP_1) | instid1(VALU_DEP_4)
	v_or_b32_e32 v22, 8, v48
	v_and_b32_e32 v26, 0xf0, v48
	v_lshl_or_b32 v49, v20, 6, v46
	ds_store_b128 v49, v[14:17]
	ds_store_b128 v49, v[10:13] offset:16
	v_min_u32_e32 v50, v47, v22
	v_and_b32_e32 v22, 8, v48
	v_lshl_or_b32 v25, v26, 3, v46
	ds_store_b128 v49, v[6:9] offset:32
	ds_store_b128 v49, v[2:5] offset:48
	v_add_min_u32_e64 v51, v50, 8, v47
	v_min_u32_e32 v27, v47, v22
	v_sub_nc_u32_e32 v22, v50, v26
	; wave barrier
	s_delay_alu instid0(VALU_DEP_3) | instskip(NEXT) | instid1(VALU_DEP_2)
	v_sub_nc_u32_e32 v21, v51, v50
	v_min_u32_e32 v28, v27, v22
	s_delay_alu instid0(VALU_DEP_2) | instskip(NEXT) | instid1(VALU_DEP_1)
	v_sub_nc_u32_e64 v24, v27, v21 clamp
	v_cmpx_lt_u32_e64 v24, v28
	s_cbranch_execz .LBB1361_199
; %bb.189:
	v_dual_lshlrev_b32 v20, 3, v50 :: v_dual_lshlrev_b32 v21, 3, v27
	s_lshl_b64 s[6:7], s[16:17], 1
	s_delay_alu instid0(VALU_DEP_1)
	v_add3_u32 v29, v46, v20, v21
	s_branch .LBB1361_192
.LBB1361_190:                           ;   in Loop: Header=BB1361_192 Depth=1
	s_or_b32 exec_lo, exec_lo, s23
.LBB1361_191:                           ;   in Loop: Header=BB1361_192 Depth=1
	s_delay_alu instid0(VALU_DEP_1) | instskip(NEXT) | instid1(VALU_DEP_1)
	v_dual_add_nc_u32 v20, 1, v30 :: v_dual_cndmask_b32 v28, v28, v30, s22
	v_cndmask_b32_e64 v24, v20, v24, s22
	s_delay_alu instid0(VALU_DEP_1) | instskip(SKIP_1) | instid1(SALU_CYCLE_1)
	v_cmp_ge_u32_e32 vcc_lo, v24, v28
	s_or_b32 s1, vcc_lo, s1
	s_and_not1_b32 exec_lo, exec_lo, s1
	s_cbranch_execz .LBB1361_198
.LBB1361_192:                           ; =>This Loop Header: Depth=1
                                        ;     Child Loop BB1361_195 Depth 2
	v_add_nc_u32_e32 v20, v28, v24
	v_cmp_ne_u32_e32 vcc_lo, 1, v45
	s_delay_alu instid0(VALU_DEP_2)
	v_lshrrev_b32_e32 v30, 1, v20
	s_cbranch_vccnz .LBB1361_197
; %bb.193:                              ;   in Loop: Header=BB1361_192 Depth=1
	s_delay_alu instid0(VALU_DEP_1) | instskip(SKIP_3) | instid1(VALU_DEP_2)
	v_not_b32_e32 v20, v30
	v_lshl_add_u32 v21, v30, 3, v25
	s_mov_b32 s23, 0
	s_mov_b64 s[14:15], s[16:17]
                                        ; implicit-def: $sgpr22
                                        ; implicit-def: $sgpr24
                                        ; implicit-def: $sgpr25
                                        ; implicit-def: $sgpr26
	v_lshl_add_u32 v20, v20, 3, v29
	ds_load_b64 v[32:33], v20
	ds_load_b64 v[34:35], v21
	s_wait_dscnt 0x1
	v_mad_nc_u64_u32 v[20:21], s6, v32, s[18:19]
	s_wait_dscnt 0x0
	v_mad_nc_u64_u32 v[22:23], s6, v34, s[18:19]
	s_delay_alu instid0(VALU_DEP_2) | instskip(NEXT) | instid1(VALU_DEP_2)
	v_mad_u32 v21, s7, v32, v21
	v_mad_u32 v23, s7, v34, v23
	s_delay_alu instid0(VALU_DEP_2) | instskip(NEXT) | instid1(VALU_DEP_2)
	v_mad_u32 v21, s6, v33, v21
	v_mad_u32 v23, s6, v35, v23
	s_branch .LBB1361_195
.LBB1361_194:                           ;   in Loop: Header=BB1361_195 Depth=2
	s_or_b32 exec_lo, exec_lo, s27
	s_delay_alu instid0(SALU_CYCLE_1) | instskip(NEXT) | instid1(SALU_CYCLE_1)
	s_and_b32 s27, exec_lo, s24
	s_or_b32 s23, s27, s23
	s_and_not1_b32 s26, s26, exec_lo
	s_and_b32 s0, s0, exec_lo
	s_and_not1_b32 s22, s22, exec_lo
	s_and_b32 s27, s25, exec_lo
	s_or_b32 s26, s26, s0
	s_or_b32 s22, s22, s27
	s_and_not1_b32 exec_lo, exec_lo, s23
	s_cbranch_execz .LBB1361_190
.LBB1361_195:                           ;   Parent Loop BB1361_192 Depth=1
                                        ; =>  This Inner Loop Header: Depth=2
	global_load_u16 v31, v[20:21], off
	global_load_u16 v32, v[22:23], off
	s_and_not1_b32 s25, s25, exec_lo
	s_or_b32 s24, s24, exec_lo
	s_wait_loadcnt 0x0
	v_cmp_le_u16_e32 vcc_lo, v31, v32
	v_cmp_lt_u16_e64 s0, v31, v32
	s_and_b32 s27, vcc_lo, s26
	s_delay_alu instid0(SALU_CYCLE_1) | instskip(NEXT) | instid1(SALU_CYCLE_1)
	s_or_b32 s0, s0, s27
	s_and_b32 s27, s0, exec_lo
	s_delay_alu instid0(SALU_CYCLE_1)
	s_or_b32 s25, s25, s27
	s_mov_b32 s27, exec_lo
	v_cmpx_eq_u16_e64 v31, v32
	s_cbranch_execz .LBB1361_194
; %bb.196:                              ;   in Loop: Header=BB1361_195 Depth=2
	s_add_nc_u64 s[14:15], s[14:15], -1
	v_add_nc_u64_e32 v[20:21], 2, v[20:21]
	s_cmp_eq_u64 s[14:15], 0
	v_add_nc_u64_e32 v[22:23], 2, v[22:23]
	s_cselect_b32 s26, -1, 0
	s_and_not1_b32 s24, s24, exec_lo
	s_and_b32 s26, s26, exec_lo
	s_and_not1_b32 s25, s25, exec_lo
	s_or_b32 s24, s24, s26
                                        ; implicit-def: $sgpr26
	s_branch .LBB1361_194
.LBB1361_197:                           ;   in Loop: Header=BB1361_192 Depth=1
	s_mov_b32 s22, 0
	s_branch .LBB1361_191
.LBB1361_198:
	s_or_b32 exec_lo, exec_lo, s1
.LBB1361_199:
	s_delay_alu instid0(SALU_CYCLE_1) | instskip(SKIP_1) | instid1(VALU_DEP_1)
	s_or_b32 exec_lo, exec_lo, s5
	v_dual_add_nc_u32 v21, v50, v27 :: v_dual_add_nc_u32 v20, v24, v26
	v_sub_nc_u32_e32 v21, v21, v24
	s_delay_alu instid0(VALU_DEP_2) | instskip(NEXT) | instid1(VALU_DEP_2)
	v_cmp_le_u32_e32 vcc_lo, v20, v50
	v_cmp_le_u32_e64 s0, v21, v51
	s_or_b32 s0, vcc_lo, s0
	s_delay_alu instid0(SALU_CYCLE_1)
	s_and_saveexec_b32 s1, s0
	s_cbranch_execz .LBB1361_290
; %bb.200:
	s_mov_b32 s5, exec_lo
	v_cmp_ge_u32_e32 vcc_lo, v20, v50
                                        ; implicit-def: $vgpr2_vgpr3
	v_cmpx_lt_u32_e64 v20, v50
; %bb.201:
	v_lshl_add_u32 v2, v24, 3, v25
	ds_load_b64 v[2:3], v2
; %bb.202:
	s_or_b32 exec_lo, exec_lo, s5
	v_cmp_ge_u32_e64 s5, v21, v51
	s_mov_b32 s6, exec_lo
                                        ; implicit-def: $vgpr4_vgpr5
	v_cmpx_lt_u32_e64 v21, v51
; %bb.203:
	v_lshl_add_u32 v4, v21, 3, v46
	ds_load_b64 v[4:5], v4
; %bb.204:
	s_or_b32 exec_lo, exec_lo, s6
	s_nor_b32 s0, vcc_lo, s5
	s_delay_alu instid0(SALU_CYCLE_1)
	s_and_saveexec_b32 s14, s0
	s_cbranch_execz .LBB1361_213
; %bb.205:
	v_cmp_ne_u32_e32 vcc_lo, 1, v45
	s_cbranch_vccnz .LBB1361_211
; %bb.206:
	s_wait_dscnt 0x0
	v_mul_u64_e32 v[6:7], s[16:17], v[4:5]
	v_mul_u64_e32 v[8:9], s[16:17], v[2:3]
	s_mov_b32 s15, 0
	s_mov_b64 s[6:7], s[16:17]
                                        ; implicit-def: $sgpr22
                                        ; implicit-def: $sgpr23
                                        ; implicit-def: $sgpr24
                                        ; implicit-def: $sgpr25
	s_delay_alu instid0(VALU_DEP_2) | instskip(NEXT) | instid1(VALU_DEP_2)
	v_lshl_add_u64 v[6:7], v[6:7], 1, s[18:19]
	v_lshl_add_u64 v[8:9], v[8:9], 1, s[18:19]
	s_branch .LBB1361_208
.LBB1361_207:                           ;   in Loop: Header=BB1361_208 Depth=1
	s_or_b32 exec_lo, exec_lo, s26
	s_delay_alu instid0(SALU_CYCLE_1) | instskip(NEXT) | instid1(SALU_CYCLE_1)
	s_and_b32 s26, exec_lo, s23
	s_or_b32 s15, s26, s15
	s_and_not1_b32 s25, s25, exec_lo
	s_and_b32 s0, s0, exec_lo
	s_and_not1_b32 s22, s22, exec_lo
	s_and_b32 s26, s24, exec_lo
	s_or_b32 s25, s25, s0
	s_or_b32 s22, s22, s26
	s_and_not1_b32 exec_lo, exec_lo, s15
	s_cbranch_execz .LBB1361_210
.LBB1361_208:                           ; =>This Inner Loop Header: Depth=1
	global_load_u16 v10, v[6:7], off
	global_load_u16 v11, v[8:9], off
	s_and_not1_b32 s24, s24, exec_lo
	s_or_b32 s23, s23, exec_lo
	s_wait_loadcnt 0x0
	v_cmp_le_u16_e32 vcc_lo, v10, v11
	v_cmp_lt_u16_e64 s0, v10, v11
	s_and_b32 s26, vcc_lo, s25
	s_delay_alu instid0(SALU_CYCLE_1) | instskip(NEXT) | instid1(SALU_CYCLE_1)
	s_or_b32 s0, s0, s26
	s_and_b32 s26, s0, exec_lo
	s_delay_alu instid0(SALU_CYCLE_1)
	s_or_b32 s24, s24, s26
	s_mov_b32 s26, exec_lo
	v_cmpx_eq_u16_e64 v10, v11
	s_cbranch_execz .LBB1361_207
; %bb.209:                              ;   in Loop: Header=BB1361_208 Depth=1
	s_add_nc_u64 s[6:7], s[6:7], -1
	v_add_nc_u64_e32 v[6:7], 2, v[6:7]
	s_cmp_eq_u64 s[6:7], 0
	v_add_nc_u64_e32 v[8:9], 2, v[8:9]
	s_cselect_b32 s25, -1, 0
	s_and_not1_b32 s23, s23, exec_lo
	s_and_b32 s25, s25, exec_lo
	s_and_not1_b32 s24, s24, exec_lo
	s_or_b32 s23, s23, s25
                                        ; implicit-def: $sgpr25
	s_branch .LBB1361_207
.LBB1361_210:
	s_or_b32 exec_lo, exec_lo, s15
	s_xor_b32 s0, s22, -1
	s_branch .LBB1361_212
.LBB1361_211:
	s_mov_b32 s0, -1
.LBB1361_212:
	s_and_not1_b32 s5, s5, exec_lo
	s_and_b32 s0, s0, exec_lo
	s_delay_alu instid0(SALU_CYCLE_1)
	s_or_b32 s5, s5, s0
.LBB1361_213:
	s_or_b32 exec_lo, exec_lo, s14
	v_dual_cndmask_b32 v6, v21, v20, s5 :: v_dual_cndmask_b32 v7, v51, v50, s5
	s_mov_b32 s15, -1
	s_mov_b32 s14, -1
	s_mov_b32 s22, exec_lo
	s_delay_alu instid0(VALU_DEP_1) | instskip(NEXT) | instid1(VALU_DEP_1)
	v_add_nc_u32_e32 v8, 1, v6
	v_add_min_u32_e64 v6, v7, -1, v8
	s_delay_alu instid0(VALU_DEP_1)
	v_lshl_add_u32 v6, v6, 3, v46
	ds_load_b64 v[6:7], v6
	s_wait_dscnt 0x0
	v_cndmask_b32_e64 v15, v7, v5, s5
	v_dual_cndmask_b32 v10, v8, v21, s5 :: v_dual_cndmask_b32 v14, v6, v4, s5
	v_dual_cndmask_b32 v11, v20, v8, s5 :: v_dual_cndmask_b32 v17, v3, v7, s5
	v_cndmask_b32_e64 v16, v2, v6, s5
	s_delay_alu instid0(VALU_DEP_3)
	v_cmpx_lt_u32_e64 v10, v51
	s_cbranch_execz .LBB1361_224
; %bb.214:
	s_mov_b32 s0, 0
	s_mov_b32 s14, exec_lo
	v_cmpx_lt_u32_e64 v11, v50
	s_cbranch_execz .LBB1361_223
; %bb.215:
	v_cmp_ne_u32_e32 vcc_lo, 1, v45
	s_cbranch_vccnz .LBB1361_221
; %bb.216:
	v_mul_u64_e32 v[6:7], s[16:17], v[14:15]
	v_mul_u64_e32 v[8:9], s[16:17], v[16:17]
	s_mov_b32 s23, 0
	s_mov_b64 s[6:7], s[16:17]
                                        ; implicit-def: $sgpr24
                                        ; implicit-def: $sgpr25
                                        ; implicit-def: $sgpr26
                                        ; implicit-def: $sgpr27
	s_delay_alu instid0(VALU_DEP_2) | instskip(NEXT) | instid1(VALU_DEP_2)
	v_lshl_add_u64 v[6:7], v[6:7], 1, s[18:19]
	v_lshl_add_u64 v[8:9], v[8:9], 1, s[18:19]
	s_branch .LBB1361_218
.LBB1361_217:                           ;   in Loop: Header=BB1361_218 Depth=1
	s_or_b32 exec_lo, exec_lo, s28
	s_delay_alu instid0(SALU_CYCLE_1) | instskip(NEXT) | instid1(SALU_CYCLE_1)
	s_and_b32 s28, exec_lo, s25
	s_or_b32 s23, s28, s23
	s_and_not1_b32 s27, s27, exec_lo
	s_and_b32 s0, s0, exec_lo
	s_and_not1_b32 s24, s24, exec_lo
	s_and_b32 s28, s26, exec_lo
	s_or_b32 s27, s27, s0
	s_or_b32 s24, s24, s28
	s_and_not1_b32 exec_lo, exec_lo, s23
	s_cbranch_execz .LBB1361_220
.LBB1361_218:                           ; =>This Inner Loop Header: Depth=1
	global_load_u16 v12, v[6:7], off
	global_load_u16 v13, v[8:9], off
	s_and_not1_b32 s26, s26, exec_lo
	s_or_b32 s25, s25, exec_lo
	s_wait_loadcnt 0x0
	v_cmp_le_u16_e32 vcc_lo, v12, v13
	v_cmp_lt_u16_e64 s0, v12, v13
	s_and_b32 s28, vcc_lo, s27
	s_delay_alu instid0(SALU_CYCLE_1) | instskip(NEXT) | instid1(SALU_CYCLE_1)
	s_or_b32 s0, s0, s28
	s_and_b32 s28, s0, exec_lo
	s_delay_alu instid0(SALU_CYCLE_1)
	s_or_b32 s26, s26, s28
	s_mov_b32 s28, exec_lo
	v_cmpx_eq_u16_e64 v12, v13
	s_cbranch_execz .LBB1361_217
; %bb.219:                              ;   in Loop: Header=BB1361_218 Depth=1
	s_add_nc_u64 s[6:7], s[6:7], -1
	v_add_nc_u64_e32 v[6:7], 2, v[6:7]
	s_cmp_eq_u64 s[6:7], 0
	v_add_nc_u64_e32 v[8:9], 2, v[8:9]
	s_cselect_b32 s27, -1, 0
	s_and_not1_b32 s25, s25, exec_lo
	s_and_b32 s27, s27, exec_lo
	s_and_not1_b32 s26, s26, exec_lo
	s_or_b32 s25, s25, s27
                                        ; implicit-def: $sgpr27
	s_branch .LBB1361_217
.LBB1361_220:
	s_or_b32 exec_lo, exec_lo, s23
	s_xor_b32 s0, s24, -1
	s_branch .LBB1361_222
.LBB1361_221:
	s_mov_b32 s0, -1
.LBB1361_222:
	s_delay_alu instid0(SALU_CYCLE_1)
	s_and_b32 s0, s0, exec_lo
.LBB1361_223:
	s_or_b32 exec_lo, exec_lo, s14
	s_delay_alu instid0(SALU_CYCLE_1)
	s_or_not1_b32 s14, s0, exec_lo
.LBB1361_224:
	s_or_b32 exec_lo, exec_lo, s22
	v_dual_cndmask_b32 v6, v10, v11, s14 :: v_dual_cndmask_b32 v7, v51, v50, s14
	s_mov_b32 s22, exec_lo
	s_delay_alu instid0(VALU_DEP_1) | instskip(NEXT) | instid1(VALU_DEP_1)
	v_add_nc_u32_e32 v8, 1, v6
	v_add_min_u32_e64 v6, v7, -1, v8
	s_delay_alu instid0(VALU_DEP_1)
	v_lshl_add_u32 v6, v6, 3, v46
	ds_load_b64 v[6:7], v6
	v_cndmask_b32_e64 v13, v11, v8, s14
	s_wait_dscnt 0x0
	v_dual_cndmask_b32 v11, v7, v15, s14 :: v_dual_cndmask_b32 v12, v8, v10, s14
	v_dual_cndmask_b32 v21, v17, v7, s14 :: v_dual_cndmask_b32 v10, v6, v14, s14
	v_cndmask_b32_e64 v20, v16, v6, s14
	s_delay_alu instid0(VALU_DEP_3)
	v_cmpx_lt_u32_e64 v12, v51
	s_cbranch_execz .LBB1361_235
; %bb.225:
	s_mov_b32 s0, 0
	s_mov_b32 s15, exec_lo
	v_cmpx_lt_u32_e64 v13, v50
	s_cbranch_execz .LBB1361_234
; %bb.226:
	v_cmp_ne_u32_e32 vcc_lo, 1, v45
	s_cbranch_vccnz .LBB1361_232
; %bb.227:
	v_mul_u64_e32 v[6:7], s[16:17], v[10:11]
	v_mul_u64_e32 v[8:9], s[16:17], v[20:21]
	s_mov_b32 s23, 0
	s_mov_b64 s[6:7], s[16:17]
                                        ; implicit-def: $sgpr24
                                        ; implicit-def: $sgpr25
                                        ; implicit-def: $sgpr26
                                        ; implicit-def: $sgpr27
	s_delay_alu instid0(VALU_DEP_2) | instskip(NEXT) | instid1(VALU_DEP_2)
	v_lshl_add_u64 v[6:7], v[6:7], 1, s[18:19]
	v_lshl_add_u64 v[8:9], v[8:9], 1, s[18:19]
	s_branch .LBB1361_229
.LBB1361_228:                           ;   in Loop: Header=BB1361_229 Depth=1
	s_or_b32 exec_lo, exec_lo, s28
	s_delay_alu instid0(SALU_CYCLE_1) | instskip(NEXT) | instid1(SALU_CYCLE_1)
	s_and_b32 s28, exec_lo, s25
	s_or_b32 s23, s28, s23
	s_and_not1_b32 s27, s27, exec_lo
	s_and_b32 s0, s0, exec_lo
	s_and_not1_b32 s24, s24, exec_lo
	s_and_b32 s28, s26, exec_lo
	s_or_b32 s27, s27, s0
	s_or_b32 s24, s24, s28
	s_and_not1_b32 exec_lo, exec_lo, s23
	s_cbranch_execz .LBB1361_231
.LBB1361_229:                           ; =>This Inner Loop Header: Depth=1
	global_load_u16 v22, v[6:7], off
	global_load_u16 v23, v[8:9], off
	s_and_not1_b32 s26, s26, exec_lo
	s_or_b32 s25, s25, exec_lo
	s_wait_loadcnt 0x0
	v_cmp_le_u16_e32 vcc_lo, v22, v23
	v_cmp_lt_u16_e64 s0, v22, v23
	s_and_b32 s28, vcc_lo, s27
	s_delay_alu instid0(SALU_CYCLE_1) | instskip(NEXT) | instid1(SALU_CYCLE_1)
	s_or_b32 s0, s0, s28
	s_and_b32 s28, s0, exec_lo
	s_delay_alu instid0(SALU_CYCLE_1)
	s_or_b32 s26, s26, s28
	s_mov_b32 s28, exec_lo
	v_cmpx_eq_u16_e64 v22, v23
	s_cbranch_execz .LBB1361_228
; %bb.230:                              ;   in Loop: Header=BB1361_229 Depth=1
	s_add_nc_u64 s[6:7], s[6:7], -1
	v_add_nc_u64_e32 v[6:7], 2, v[6:7]
	s_cmp_eq_u64 s[6:7], 0
	v_add_nc_u64_e32 v[8:9], 2, v[8:9]
	s_cselect_b32 s27, -1, 0
	s_and_not1_b32 s25, s25, exec_lo
	s_and_b32 s27, s27, exec_lo
	s_and_not1_b32 s26, s26, exec_lo
	s_or_b32 s25, s25, s27
                                        ; implicit-def: $sgpr27
	s_branch .LBB1361_228
.LBB1361_231:
	s_or_b32 exec_lo, exec_lo, s23
	s_xor_b32 s0, s24, -1
	s_branch .LBB1361_233
.LBB1361_232:
	s_mov_b32 s0, -1
.LBB1361_233:
	s_delay_alu instid0(SALU_CYCLE_1)
	s_and_b32 s0, s0, exec_lo
.LBB1361_234:
	s_or_b32 exec_lo, exec_lo, s15
	s_delay_alu instid0(SALU_CYCLE_1)
	s_or_not1_b32 s15, s0, exec_lo
.LBB1361_235:
	s_or_b32 exec_lo, exec_lo, s22
	v_dual_cndmask_b32 v6, v12, v13, s15 :: v_dual_cndmask_b32 v7, v51, v50, s15
	s_mov_b32 s23, -1
	s_mov_b32 s22, -1
	s_mov_b32 s24, exec_lo
	s_delay_alu instid0(VALU_DEP_1) | instskip(NEXT) | instid1(VALU_DEP_1)
	v_add_nc_u32_e32 v8, 1, v6
	v_add_min_u32_e64 v6, v7, -1, v8
	s_delay_alu instid0(VALU_DEP_1)
	v_lshl_add_u32 v6, v6, 3, v46
	ds_load_b64 v[6:7], v6
	s_wait_dscnt 0x0
	v_dual_cndmask_b32 v25, v13, v8, s15 :: v_dual_cndmask_b32 v22, v20, v6, s15
	v_dual_cndmask_b32 v13, v7, v11, s15 :: v_dual_cndmask_b32 v24, v8, v12, s15
	v_dual_cndmask_b32 v12, v6, v10, s15 :: v_dual_cndmask_b32 v23, v21, v7, s15
	s_delay_alu instid0(VALU_DEP_2)
	v_cmpx_lt_u32_e64 v24, v51
	s_cbranch_execz .LBB1361_246
; %bb.236:
	s_mov_b32 s0, 0
	s_mov_b32 s22, exec_lo
	v_cmpx_lt_u32_e64 v25, v50
	s_cbranch_execz .LBB1361_245
; %bb.237:
	v_cmp_ne_u32_e32 vcc_lo, 1, v45
	s_cbranch_vccnz .LBB1361_243
; %bb.238:
	v_mul_u64_e32 v[6:7], s[16:17], v[12:13]
	v_mul_u64_e32 v[8:9], s[16:17], v[22:23]
	s_mov_b32 s25, 0
	s_mov_b64 s[6:7], s[16:17]
                                        ; implicit-def: $sgpr26
                                        ; implicit-def: $sgpr27
                                        ; implicit-def: $sgpr28
                                        ; implicit-def: $sgpr29
	s_delay_alu instid0(VALU_DEP_2) | instskip(NEXT) | instid1(VALU_DEP_2)
	v_lshl_add_u64 v[6:7], v[6:7], 1, s[18:19]
	v_lshl_add_u64 v[8:9], v[8:9], 1, s[18:19]
	s_branch .LBB1361_240
.LBB1361_239:                           ;   in Loop: Header=BB1361_240 Depth=1
	s_or_b32 exec_lo, exec_lo, s30
	s_delay_alu instid0(SALU_CYCLE_1) | instskip(NEXT) | instid1(SALU_CYCLE_1)
	s_and_b32 s30, exec_lo, s27
	s_or_b32 s25, s30, s25
	s_and_not1_b32 s29, s29, exec_lo
	s_and_b32 s0, s0, exec_lo
	s_and_not1_b32 s26, s26, exec_lo
	s_and_b32 s30, s28, exec_lo
	s_or_b32 s29, s29, s0
	s_or_b32 s26, s26, s30
	s_and_not1_b32 exec_lo, exec_lo, s25
	s_cbranch_execz .LBB1361_242
.LBB1361_240:                           ; =>This Inner Loop Header: Depth=1
	global_load_u16 v26, v[6:7], off
	global_load_u16 v27, v[8:9], off
	s_and_not1_b32 s28, s28, exec_lo
	s_or_b32 s27, s27, exec_lo
	s_wait_loadcnt 0x0
	v_cmp_le_u16_e32 vcc_lo, v26, v27
	v_cmp_lt_u16_e64 s0, v26, v27
	s_and_b32 s30, vcc_lo, s29
	s_delay_alu instid0(SALU_CYCLE_1) | instskip(NEXT) | instid1(SALU_CYCLE_1)
	s_or_b32 s0, s0, s30
	s_and_b32 s30, s0, exec_lo
	s_delay_alu instid0(SALU_CYCLE_1)
	s_or_b32 s28, s28, s30
	s_mov_b32 s30, exec_lo
	v_cmpx_eq_u16_e64 v26, v27
	s_cbranch_execz .LBB1361_239
; %bb.241:                              ;   in Loop: Header=BB1361_240 Depth=1
	s_add_nc_u64 s[6:7], s[6:7], -1
	v_add_nc_u64_e32 v[6:7], 2, v[6:7]
	s_cmp_eq_u64 s[6:7], 0
	v_add_nc_u64_e32 v[8:9], 2, v[8:9]
	s_cselect_b32 s29, -1, 0
	s_and_not1_b32 s27, s27, exec_lo
	s_and_b32 s29, s29, exec_lo
	s_and_not1_b32 s28, s28, exec_lo
	s_or_b32 s27, s27, s29
                                        ; implicit-def: $sgpr29
	s_branch .LBB1361_239
.LBB1361_242:
	s_or_b32 exec_lo, exec_lo, s25
	s_xor_b32 s0, s26, -1
	s_branch .LBB1361_244
.LBB1361_243:
	s_mov_b32 s0, -1
.LBB1361_244:
	s_delay_alu instid0(SALU_CYCLE_1)
	s_and_b32 s0, s0, exec_lo
.LBB1361_245:
	s_or_b32 exec_lo, exec_lo, s22
	s_delay_alu instid0(SALU_CYCLE_1)
	s_or_not1_b32 s22, s0, exec_lo
.LBB1361_246:
	s_or_b32 exec_lo, exec_lo, s24
	v_dual_cndmask_b32 v6, v24, v25, s22 :: v_dual_cndmask_b32 v7, v51, v50, s22
	s_mov_b32 s24, exec_lo
	s_delay_alu instid0(VALU_DEP_1) | instskip(NEXT) | instid1(VALU_DEP_1)
	v_add_nc_u32_e32 v6, 1, v6
	v_add_min_u32_e64 v7, v7, -1, v6
	s_delay_alu instid0(VALU_DEP_1)
	v_lshl_add_u32 v7, v7, 3, v46
	ds_load_b64 v[8:9], v7
	s_wait_dscnt 0x0
	v_dual_cndmask_b32 v7, v9, v13, s22 :: v_dual_cndmask_b32 v28, v6, v24, s22
	v_dual_cndmask_b32 v29, v25, v6, s22 :: v_dual_cndmask_b32 v6, v8, v12, s22
	;; [unrolled: 1-line block ×3, first 2 shown]
	s_delay_alu instid0(VALU_DEP_3)
	v_cmpx_lt_u32_e64 v28, v51
	s_cbranch_execz .LBB1361_257
; %bb.247:
	s_mov_b32 s0, 0
	s_mov_b32 s23, exec_lo
	v_cmpx_lt_u32_e64 v29, v50
	s_cbranch_execz .LBB1361_256
; %bb.248:
	v_cmp_ne_u32_e32 vcc_lo, 1, v45
	s_cbranch_vccnz .LBB1361_254
; %bb.249:
	v_mul_u64_e32 v[8:9], s[16:17], v[6:7]
	v_mul_u64_e32 v[26:27], s[16:17], v[24:25]
	s_mov_b32 s25, 0
	s_mov_b64 s[6:7], s[16:17]
                                        ; implicit-def: $sgpr26
                                        ; implicit-def: $sgpr27
                                        ; implicit-def: $sgpr28
                                        ; implicit-def: $sgpr29
	s_delay_alu instid0(VALU_DEP_2) | instskip(NEXT) | instid1(VALU_DEP_2)
	v_lshl_add_u64 v[8:9], v[8:9], 1, s[18:19]
	v_lshl_add_u64 v[26:27], v[26:27], 1, s[18:19]
	s_branch .LBB1361_251
.LBB1361_250:                           ;   in Loop: Header=BB1361_251 Depth=1
	s_or_b32 exec_lo, exec_lo, s30
	s_delay_alu instid0(SALU_CYCLE_1) | instskip(NEXT) | instid1(SALU_CYCLE_1)
	s_and_b32 s30, exec_lo, s27
	s_or_b32 s25, s30, s25
	s_and_not1_b32 s29, s29, exec_lo
	s_and_b32 s0, s0, exec_lo
	s_and_not1_b32 s26, s26, exec_lo
	s_and_b32 s30, s28, exec_lo
	s_or_b32 s29, s29, s0
	s_or_b32 s26, s26, s30
	s_and_not1_b32 exec_lo, exec_lo, s25
	s_cbranch_execz .LBB1361_253
.LBB1361_251:                           ; =>This Inner Loop Header: Depth=1
	global_load_u16 v30, v[8:9], off
	global_load_u16 v31, v[26:27], off
	s_and_not1_b32 s28, s28, exec_lo
	s_or_b32 s27, s27, exec_lo
	s_wait_loadcnt 0x0
	v_cmp_le_u16_e32 vcc_lo, v30, v31
	v_cmp_lt_u16_e64 s0, v30, v31
	s_and_b32 s30, vcc_lo, s29
	s_delay_alu instid0(SALU_CYCLE_1) | instskip(NEXT) | instid1(SALU_CYCLE_1)
	s_or_b32 s0, s0, s30
	s_and_b32 s30, s0, exec_lo
	s_delay_alu instid0(SALU_CYCLE_1)
	s_or_b32 s28, s28, s30
	s_mov_b32 s30, exec_lo
	v_cmpx_eq_u16_e64 v30, v31
	s_cbranch_execz .LBB1361_250
; %bb.252:                              ;   in Loop: Header=BB1361_251 Depth=1
	s_add_nc_u64 s[6:7], s[6:7], -1
	v_add_nc_u64_e32 v[8:9], 2, v[8:9]
	s_cmp_eq_u64 s[6:7], 0
	v_add_nc_u64_e32 v[26:27], 2, v[26:27]
	s_cselect_b32 s29, -1, 0
	s_and_not1_b32 s27, s27, exec_lo
	s_and_b32 s29, s29, exec_lo
	s_and_not1_b32 s28, s28, exec_lo
	s_or_b32 s27, s27, s29
                                        ; implicit-def: $sgpr29
	s_branch .LBB1361_250
.LBB1361_253:
	s_or_b32 exec_lo, exec_lo, s25
	s_xor_b32 s0, s26, -1
	s_branch .LBB1361_255
.LBB1361_254:
	s_mov_b32 s0, -1
.LBB1361_255:
	s_delay_alu instid0(SALU_CYCLE_1)
	s_and_b32 s0, s0, exec_lo
.LBB1361_256:
	s_or_b32 exec_lo, exec_lo, s23
	s_delay_alu instid0(SALU_CYCLE_1)
	s_or_not1_b32 s23, s0, exec_lo
.LBB1361_257:
	s_or_b32 exec_lo, exec_lo, s24
	v_dual_cndmask_b32 v8, v28, v29, s23 :: v_dual_cndmask_b32 v9, v51, v50, s23
	s_mov_b32 s24, -1
	s_mov_b32 s25, -1
	s_mov_b32 s26, exec_lo
	s_delay_alu instid0(VALU_DEP_1) | instskip(NEXT) | instid1(VALU_DEP_1)
	v_add_nc_u32_e32 v8, 1, v8
	v_add_min_u32_e64 v9, v9, -1, v8
	s_delay_alu instid0(VALU_DEP_1)
	v_lshl_add_u32 v9, v9, 3, v46
	ds_load_b64 v[26:27], v9
	s_wait_dscnt 0x0
	v_dual_cndmask_b32 v9, v27, v7, s23 :: v_dual_cndmask_b32 v32, v8, v28, s23
	v_dual_cndmask_b32 v33, v29, v8, s23 :: v_dual_cndmask_b32 v8, v26, v6, s23
	;; [unrolled: 1-line block ×3, first 2 shown]
	s_delay_alu instid0(VALU_DEP_3)
	v_cmpx_lt_u32_e64 v32, v51
	s_cbranch_execz .LBB1361_268
; %bb.258:
	s_mov_b32 s0, 0
	s_mov_b32 s25, exec_lo
	v_cmpx_lt_u32_e64 v33, v50
	s_cbranch_execz .LBB1361_267
; %bb.259:
	v_cmp_ne_u32_e32 vcc_lo, 1, v45
	s_cbranch_vccnz .LBB1361_265
; %bb.260:
	v_mul_u64_e32 v[28:29], s[16:17], v[8:9]
	v_mul_u64_e32 v[30:31], s[16:17], v[26:27]
	s_mov_b32 s27, 0
	s_mov_b64 s[6:7], s[16:17]
                                        ; implicit-def: $sgpr28
                                        ; implicit-def: $sgpr29
                                        ; implicit-def: $sgpr30
                                        ; implicit-def: $sgpr31
	s_delay_alu instid0(VALU_DEP_2) | instskip(NEXT) | instid1(VALU_DEP_2)
	v_lshl_add_u64 v[28:29], v[28:29], 1, s[18:19]
	v_lshl_add_u64 v[30:31], v[30:31], 1, s[18:19]
	s_branch .LBB1361_262
.LBB1361_261:                           ;   in Loop: Header=BB1361_262 Depth=1
	s_or_b32 exec_lo, exec_lo, s33
	s_delay_alu instid0(SALU_CYCLE_1) | instskip(NEXT) | instid1(SALU_CYCLE_1)
	s_and_b32 s33, exec_lo, s29
	s_or_b32 s27, s33, s27
	s_and_not1_b32 s31, s31, exec_lo
	s_and_b32 s0, s0, exec_lo
	s_and_not1_b32 s28, s28, exec_lo
	s_and_b32 s33, s30, exec_lo
	s_or_b32 s31, s31, s0
	s_or_b32 s28, s28, s33
	s_and_not1_b32 exec_lo, exec_lo, s27
	s_cbranch_execz .LBB1361_264
.LBB1361_262:                           ; =>This Inner Loop Header: Depth=1
	global_load_u16 v34, v[28:29], off
	global_load_u16 v35, v[30:31], off
	s_and_not1_b32 s30, s30, exec_lo
	s_or_b32 s29, s29, exec_lo
	s_wait_loadcnt 0x0
	v_cmp_le_u16_e32 vcc_lo, v34, v35
	v_cmp_lt_u16_e64 s0, v34, v35
	s_and_b32 s33, vcc_lo, s31
	s_delay_alu instid0(SALU_CYCLE_1) | instskip(NEXT) | instid1(SALU_CYCLE_1)
	s_or_b32 s0, s0, s33
	s_and_b32 s33, s0, exec_lo
	s_delay_alu instid0(SALU_CYCLE_1)
	s_or_b32 s30, s30, s33
	s_mov_b32 s33, exec_lo
	v_cmpx_eq_u16_e64 v34, v35
	s_cbranch_execz .LBB1361_261
; %bb.263:                              ;   in Loop: Header=BB1361_262 Depth=1
	s_add_nc_u64 s[6:7], s[6:7], -1
	v_add_nc_u64_e32 v[28:29], 2, v[28:29]
	s_cmp_eq_u64 s[6:7], 0
	v_add_nc_u64_e32 v[30:31], 2, v[30:31]
	s_cselect_b32 s31, -1, 0
	s_and_not1_b32 s29, s29, exec_lo
	s_and_b32 s31, s31, exec_lo
	s_and_not1_b32 s30, s30, exec_lo
	s_or_b32 s29, s29, s31
                                        ; implicit-def: $sgpr31
	s_branch .LBB1361_261
.LBB1361_264:
	s_or_b32 exec_lo, exec_lo, s27
	s_xor_b32 s0, s28, -1
	s_branch .LBB1361_266
.LBB1361_265:
	s_mov_b32 s0, -1
.LBB1361_266:
	s_delay_alu instid0(SALU_CYCLE_1)
	s_and_b32 s0, s0, exec_lo
.LBB1361_267:
	s_or_b32 exec_lo, exec_lo, s25
	s_delay_alu instid0(SALU_CYCLE_1)
	s_or_not1_b32 s25, s0, exec_lo
.LBB1361_268:
	s_or_b32 exec_lo, exec_lo, s26
	v_dual_cndmask_b32 v28, v32, v33, s25 :: v_dual_cndmask_b32 v29, v51, v50, s25
	s_mov_b32 s26, exec_lo
	s_delay_alu instid0(VALU_DEP_1) | instskip(NEXT) | instid1(VALU_DEP_1)
	v_add_nc_u32_e32 v28, 1, v28
	v_add_min_u32_e64 v29, v29, -1, v28
	s_delay_alu instid0(VALU_DEP_1)
	v_lshl_add_u32 v29, v29, 3, v46
	ds_load_b64 v[30:31], v29
	s_wait_dscnt 0x0
	v_dual_cndmask_b32 v29, v31, v9, s25 :: v_dual_cndmask_b32 v53, v28, v32, s25
	v_dual_cndmask_b32 v31, v27, v31, s25 :: v_dual_cndmask_b32 v52, v33, v28, s25
	v_cndmask_b32_e64 v28, v30, v8, s25
	v_cndmask_b32_e64 v30, v26, v30, s25
	s_delay_alu instid0(VALU_DEP_4)
	v_cmpx_lt_u32_e64 v53, v51
	s_cbranch_execz .LBB1361_279
; %bb.269:
	s_mov_b32 s0, 0
	s_mov_b32 s24, exec_lo
	v_cmpx_lt_u32_e64 v52, v50
	s_cbranch_execz .LBB1361_278
; %bb.270:
	v_cmp_ne_u32_e32 vcc_lo, 1, v45
	s_cbranch_vccnz .LBB1361_276
; %bb.271:
	v_mul_u64_e32 v[32:33], s[16:17], v[28:29]
	v_mul_u64_e32 v[34:35], s[16:17], v[30:31]
	s_mov_b32 s27, 0
	s_mov_b64 s[6:7], s[16:17]
                                        ; implicit-def: $sgpr28
                                        ; implicit-def: $sgpr29
                                        ; implicit-def: $sgpr30
                                        ; implicit-def: $sgpr31
	s_delay_alu instid0(VALU_DEP_2) | instskip(NEXT) | instid1(VALU_DEP_2)
	v_lshl_add_u64 v[32:33], v[32:33], 1, s[18:19]
	v_lshl_add_u64 v[34:35], v[34:35], 1, s[18:19]
	s_branch .LBB1361_273
.LBB1361_272:                           ;   in Loop: Header=BB1361_273 Depth=1
	s_or_b32 exec_lo, exec_lo, s33
	s_delay_alu instid0(SALU_CYCLE_1) | instskip(NEXT) | instid1(SALU_CYCLE_1)
	s_and_b32 s33, exec_lo, s29
	s_or_b32 s27, s33, s27
	s_and_not1_b32 s31, s31, exec_lo
	s_and_b32 s0, s0, exec_lo
	s_and_not1_b32 s28, s28, exec_lo
	s_and_b32 s33, s30, exec_lo
	s_or_b32 s31, s31, s0
	s_or_b32 s28, s28, s33
	s_and_not1_b32 exec_lo, exec_lo, s27
	s_cbranch_execz .LBB1361_275
.LBB1361_273:                           ; =>This Inner Loop Header: Depth=1
	global_load_u16 v54, v[32:33], off
	global_load_u16 v55, v[34:35], off
	s_and_not1_b32 s30, s30, exec_lo
	s_or_b32 s29, s29, exec_lo
	s_wait_loadcnt 0x0
	v_cmp_le_u16_e32 vcc_lo, v54, v55
	v_cmp_lt_u16_e64 s0, v54, v55
	s_and_b32 s33, vcc_lo, s31
	s_delay_alu instid0(SALU_CYCLE_1) | instskip(NEXT) | instid1(SALU_CYCLE_1)
	s_or_b32 s0, s0, s33
	s_and_b32 s33, s0, exec_lo
	s_delay_alu instid0(SALU_CYCLE_1)
	s_or_b32 s30, s30, s33
	s_mov_b32 s33, exec_lo
	v_cmpx_eq_u16_e64 v54, v55
	s_cbranch_execz .LBB1361_272
; %bb.274:                              ;   in Loop: Header=BB1361_273 Depth=1
	s_add_nc_u64 s[6:7], s[6:7], -1
	v_add_nc_u64_e32 v[32:33], 2, v[32:33]
	s_cmp_eq_u64 s[6:7], 0
	v_add_nc_u64_e32 v[34:35], 2, v[34:35]
	s_cselect_b32 s31, -1, 0
	s_and_not1_b32 s29, s29, exec_lo
	s_and_b32 s31, s31, exec_lo
	s_and_not1_b32 s30, s30, exec_lo
	s_or_b32 s29, s29, s31
                                        ; implicit-def: $sgpr31
	s_branch .LBB1361_272
.LBB1361_275:
	s_or_b32 exec_lo, exec_lo, s27
	s_xor_b32 s0, s28, -1
	s_branch .LBB1361_277
.LBB1361_276:
	s_mov_b32 s0, -1
.LBB1361_277:
	s_delay_alu instid0(SALU_CYCLE_1)
	s_and_b32 s0, s0, exec_lo
.LBB1361_278:
	s_or_b32 exec_lo, exec_lo, s24
	s_delay_alu instid0(SALU_CYCLE_1)
	s_or_not1_b32 s24, s0, exec_lo
.LBB1361_279:
	s_or_b32 exec_lo, exec_lo, s26
	v_dual_cndmask_b32 v32, v53, v52, s24 :: v_dual_cndmask_b32 v33, v51, v50, s24
	v_dual_cndmask_b32 v8, v8, v26, s25 :: v_dual_cndmask_b32 v7, v7, v25, s23
	;; [unrolled: 1-line block ×3, first 2 shown]
	s_delay_alu instid0(VALU_DEP_3) | instskip(SKIP_2) | instid1(VALU_DEP_3)
	v_dual_add_nc_u32 v34, 1, v32 :: v_dual_cndmask_b32 v9, v9, v27, s25
	v_dual_cndmask_b32 v12, v12, v22, s22 :: v_dual_cndmask_b32 v11, v11, v21, s15
	v_dual_cndmask_b32 v10, v10, v20, s15 :: v_dual_cndmask_b32 v17, v15, v17, s14
	v_add_min_u32_e64 v32, v33, -1, v34
	v_dual_cndmask_b32 v16, v14, v16, s14 :: v_dual_cndmask_b32 v15, v5, v3, s5
	v_dual_cndmask_b32 v14, v4, v2, s5 :: v_dual_cndmask_b32 v20, v34, v53, s24
	s_delay_alu instid0(VALU_DEP_3)
	v_lshl_add_u32 v32, v32, 3, v46
	v_dual_cndmask_b32 v3, v29, v31, s24 :: v_dual_cndmask_b32 v2, v28, v30, s24
	s_mov_b32 s5, exec_lo
	ds_load_b64 v[32:33], v32
	s_wait_dscnt 0x0
	v_dual_cndmask_b32 v5, v31, v33, s24 :: v_dual_cndmask_b32 v4, v30, v32, s24
	v_cmpx_lt_u32_e64 v20, v51
	s_cbranch_execz .LBB1361_289
; %bb.280:
	v_dual_cndmask_b32 v22, v52, v34, s24 :: v_dual_cndmask_b32 v21, v33, v29, s24
	v_cndmask_b32_e64 v20, v32, v28, s24
	s_mov_b32 s14, exec_lo
	s_delay_alu instid0(VALU_DEP_2)
	v_cmpx_lt_u32_e64 v22, v50
	s_cbranch_execz .LBB1361_288
; %bb.281:
	v_cmp_ne_u32_e32 vcc_lo, 1, v45
	s_cbranch_vccnz .LBB1361_287
; %bb.282:
	v_mul_u64_e32 v[22:23], s[16:17], v[20:21]
	v_mul_u64_e32 v[24:25], s[16:17], v[4:5]
	s_mov_b32 s15, 0
	s_mov_b64 s[6:7], s[16:17]
                                        ; implicit-def: $sgpr22
                                        ; implicit-def: $sgpr23
                                        ; implicit-def: $sgpr24
                                        ; implicit-def: $sgpr25
	s_delay_alu instid0(VALU_DEP_2) | instskip(NEXT) | instid1(VALU_DEP_2)
	v_lshl_add_u64 v[22:23], v[22:23], 1, s[18:19]
	v_lshl_add_u64 v[24:25], v[24:25], 1, s[18:19]
	s_branch .LBB1361_284
.LBB1361_283:                           ;   in Loop: Header=BB1361_284 Depth=1
	s_or_b32 exec_lo, exec_lo, s26
	s_delay_alu instid0(SALU_CYCLE_1) | instskip(NEXT) | instid1(SALU_CYCLE_1)
	s_and_b32 s26, exec_lo, s23
	s_or_b32 s15, s26, s15
	s_and_not1_b32 s25, s25, exec_lo
	s_and_b32 s0, s0, exec_lo
	s_and_not1_b32 s22, s22, exec_lo
	s_and_b32 s26, s24, exec_lo
	s_or_b32 s25, s25, s0
	s_or_b32 s22, s22, s26
	s_and_not1_b32 exec_lo, exec_lo, s15
	s_cbranch_execz .LBB1361_286
.LBB1361_284:                           ; =>This Inner Loop Header: Depth=1
	global_load_u16 v26, v[22:23], off
	global_load_u16 v27, v[24:25], off
	s_and_not1_b32 s24, s24, exec_lo
	s_or_b32 s23, s23, exec_lo
	s_wait_loadcnt 0x0
	v_cmp_le_u16_e32 vcc_lo, v26, v27
	v_cmp_lt_u16_e64 s0, v26, v27
	s_and_b32 s26, vcc_lo, s25
	s_delay_alu instid0(SALU_CYCLE_1) | instskip(NEXT) | instid1(SALU_CYCLE_1)
	s_or_b32 s0, s0, s26
	s_and_b32 s26, s0, exec_lo
	s_delay_alu instid0(SALU_CYCLE_1)
	s_or_b32 s24, s24, s26
	s_mov_b32 s26, exec_lo
	v_cmpx_eq_u16_e64 v26, v27
	s_cbranch_execz .LBB1361_283
; %bb.285:                              ;   in Loop: Header=BB1361_284 Depth=1
	s_add_nc_u64 s[6:7], s[6:7], -1
	v_add_nc_u64_e32 v[22:23], 2, v[22:23]
	s_cmp_eq_u64 s[6:7], 0
	v_add_nc_u64_e32 v[24:25], 2, v[24:25]
	s_cselect_b32 s25, -1, 0
	s_and_not1_b32 s23, s23, exec_lo
	s_and_b32 s25, s25, exec_lo
	s_and_not1_b32 s24, s24, exec_lo
	s_or_b32 s23, s23, s25
                                        ; implicit-def: $sgpr25
	s_branch .LBB1361_283
.LBB1361_286:
	s_or_b32 exec_lo, exec_lo, s15
	v_dual_cndmask_b32 v5, v5, v21, s22 :: v_dual_cndmask_b32 v4, v4, v20, s22
.LBB1361_287:
	s_delay_alu instid0(VALU_DEP_1)
	v_mov_b64_e32 v[20:21], v[4:5]
.LBB1361_288:
	s_or_b32 exec_lo, exec_lo, s14
	s_delay_alu instid0(VALU_DEP_1)
	v_mov_b64_e32 v[4:5], v[20:21]
.LBB1361_289:
	s_or_b32 exec_lo, exec_lo, s5
.LBB1361_290:
	s_delay_alu instid0(SALU_CYCLE_1)
	s_or_b32 exec_lo, exec_lo, s1
	v_and_b32_e32 v26, 0xe0, v48
	s_mov_b32 s1, exec_lo
	; wave barrier
	ds_store_b128 v49, v[14:17]
	ds_store_b128 v49, v[10:13] offset:16
	v_or_b32_e32 v20, 16, v26
	v_lshl_add_u32 v25, v26, 3, v46
	ds_store_b128 v49, v[6:9] offset:32
	ds_store_b128 v49, v[2:5] offset:48
	; wave barrier
	v_min_u32_e32 v50, v47, v20
	v_and_b32_e32 v20, 24, v48
	s_delay_alu instid0(VALU_DEP_2) | instskip(NEXT) | instid1(VALU_DEP_2)
	v_add_min_u32_e64 v51, v50, 16, v47
	v_min_u32_e32 v27, v47, v20
	v_sub_nc_u32_e32 v21, v50, v26
	s_delay_alu instid0(VALU_DEP_3) | instskip(NEXT) | instid1(VALU_DEP_2)
	v_sub_nc_u32_e32 v20, v51, v50
	v_min_u32_e32 v28, v27, v21
	s_delay_alu instid0(VALU_DEP_2) | instskip(NEXT) | instid1(VALU_DEP_1)
	v_sub_nc_u32_e64 v24, v27, v20 clamp
	v_cmpx_lt_u32_e64 v24, v28
	s_cbranch_execz .LBB1361_300
; %bb.291:
	v_dual_lshlrev_b32 v20, 3, v50 :: v_dual_lshlrev_b32 v21, 3, v27
	s_lshl_b64 s[6:7], s[16:17], 1
	s_mov_b32 s5, 0
	s_delay_alu instid0(VALU_DEP_1)
	v_add3_u32 v29, v46, v20, v21
	s_branch .LBB1361_294
.LBB1361_292:                           ;   in Loop: Header=BB1361_294 Depth=1
	s_or_b32 exec_lo, exec_lo, s23
.LBB1361_293:                           ;   in Loop: Header=BB1361_294 Depth=1
	s_delay_alu instid0(VALU_DEP_1) | instskip(NEXT) | instid1(VALU_DEP_1)
	v_dual_add_nc_u32 v20, 1, v30 :: v_dual_cndmask_b32 v28, v28, v30, s22
	v_cndmask_b32_e64 v24, v20, v24, s22
	s_delay_alu instid0(VALU_DEP_1) | instskip(SKIP_1) | instid1(SALU_CYCLE_1)
	v_cmp_ge_u32_e32 vcc_lo, v24, v28
	s_or_b32 s5, vcc_lo, s5
	s_and_not1_b32 exec_lo, exec_lo, s5
	s_cbranch_execz .LBB1361_299
.LBB1361_294:                           ; =>This Loop Header: Depth=1
                                        ;     Child Loop BB1361_297 Depth 2
	v_add_nc_u32_e32 v20, v28, v24
	v_cmp_ne_u32_e32 vcc_lo, 1, v45
	s_mov_b32 s22, 0
	s_delay_alu instid0(VALU_DEP_2)
	v_lshrrev_b32_e32 v30, 1, v20
	s_cbranch_vccnz .LBB1361_293
; %bb.295:                              ;   in Loop: Header=BB1361_294 Depth=1
	s_delay_alu instid0(VALU_DEP_1) | instskip(SKIP_3) | instid1(VALU_DEP_2)
	v_not_b32_e32 v20, v30
	v_lshl_add_u32 v21, v30, 3, v25
	s_mov_b32 s23, 0
	s_mov_b64 s[14:15], s[16:17]
                                        ; implicit-def: $sgpr22
                                        ; implicit-def: $sgpr24
                                        ; implicit-def: $sgpr25
                                        ; implicit-def: $sgpr26
	v_lshl_add_u32 v20, v20, 3, v29
	ds_load_b64 v[32:33], v20
	ds_load_b64 v[34:35], v21
	s_wait_dscnt 0x1
	v_mad_nc_u64_u32 v[20:21], s6, v32, s[18:19]
	s_wait_dscnt 0x0
	v_mad_nc_u64_u32 v[22:23], s6, v34, s[18:19]
	s_delay_alu instid0(VALU_DEP_2) | instskip(NEXT) | instid1(VALU_DEP_2)
	v_mad_u32 v21, s7, v32, v21
	v_mad_u32 v23, s7, v34, v23
	s_delay_alu instid0(VALU_DEP_2) | instskip(NEXT) | instid1(VALU_DEP_2)
	v_mad_u32 v21, s6, v33, v21
	v_mad_u32 v23, s6, v35, v23
	s_branch .LBB1361_297
.LBB1361_296:                           ;   in Loop: Header=BB1361_297 Depth=2
	s_or_b32 exec_lo, exec_lo, s27
	s_delay_alu instid0(SALU_CYCLE_1) | instskip(NEXT) | instid1(SALU_CYCLE_1)
	s_and_b32 s27, exec_lo, s24
	s_or_b32 s23, s27, s23
	s_and_not1_b32 s26, s26, exec_lo
	s_and_b32 s0, s0, exec_lo
	s_and_not1_b32 s22, s22, exec_lo
	s_and_b32 s27, s25, exec_lo
	s_or_b32 s26, s26, s0
	s_or_b32 s22, s22, s27
	s_and_not1_b32 exec_lo, exec_lo, s23
	s_cbranch_execz .LBB1361_292
.LBB1361_297:                           ;   Parent Loop BB1361_294 Depth=1
                                        ; =>  This Inner Loop Header: Depth=2
	global_load_u16 v31, v[20:21], off
	global_load_u16 v32, v[22:23], off
	s_and_not1_b32 s25, s25, exec_lo
	s_or_b32 s24, s24, exec_lo
	s_wait_loadcnt 0x0
	v_cmp_le_u16_e32 vcc_lo, v31, v32
	v_cmp_lt_u16_e64 s0, v31, v32
	s_and_b32 s27, vcc_lo, s26
	s_delay_alu instid0(SALU_CYCLE_1) | instskip(NEXT) | instid1(SALU_CYCLE_1)
	s_or_b32 s0, s0, s27
	s_and_b32 s27, s0, exec_lo
	s_delay_alu instid0(SALU_CYCLE_1)
	s_or_b32 s25, s25, s27
	s_mov_b32 s27, exec_lo
	v_cmpx_eq_u16_e64 v31, v32
	s_cbranch_execz .LBB1361_296
; %bb.298:                              ;   in Loop: Header=BB1361_297 Depth=2
	s_add_nc_u64 s[14:15], s[14:15], -1
	v_add_nc_u64_e32 v[20:21], 2, v[20:21]
	s_cmp_eq_u64 s[14:15], 0
	v_add_nc_u64_e32 v[22:23], 2, v[22:23]
	s_cselect_b32 s26, -1, 0
	s_and_not1_b32 s24, s24, exec_lo
	s_and_b32 s26, s26, exec_lo
	s_and_not1_b32 s25, s25, exec_lo
	s_or_b32 s24, s24, s26
                                        ; implicit-def: $sgpr26
	s_branch .LBB1361_296
.LBB1361_299:
	s_or_b32 exec_lo, exec_lo, s5
.LBB1361_300:
	s_delay_alu instid0(SALU_CYCLE_1) | instskip(SKIP_1) | instid1(VALU_DEP_1)
	s_or_b32 exec_lo, exec_lo, s1
	v_dual_add_nc_u32 v21, v50, v27 :: v_dual_add_nc_u32 v20, v24, v26
	v_sub_nc_u32_e32 v21, v21, v24
	s_delay_alu instid0(VALU_DEP_2) | instskip(NEXT) | instid1(VALU_DEP_2)
	v_cmp_le_u32_e32 vcc_lo, v20, v50
	v_cmp_le_u32_e64 s0, v21, v51
	s_or_b32 s0, vcc_lo, s0
	s_delay_alu instid0(SALU_CYCLE_1)
	s_and_saveexec_b32 s1, s0
	s_cbranch_execz .LBB1361_391
; %bb.301:
	s_mov_b32 s5, exec_lo
	v_cmp_ge_u32_e32 vcc_lo, v20, v50
                                        ; implicit-def: $vgpr2_vgpr3
	v_cmpx_lt_u32_e64 v20, v50
; %bb.302:
	v_lshl_add_u32 v2, v24, 3, v25
	ds_load_b64 v[2:3], v2
; %bb.303:
	s_or_b32 exec_lo, exec_lo, s5
	v_cmp_ge_u32_e64 s5, v21, v51
	s_mov_b32 s6, exec_lo
                                        ; implicit-def: $vgpr4_vgpr5
	v_cmpx_lt_u32_e64 v21, v51
; %bb.304:
	v_lshl_add_u32 v4, v21, 3, v46
	ds_load_b64 v[4:5], v4
; %bb.305:
	s_or_b32 exec_lo, exec_lo, s6
	s_nor_b32 s0, vcc_lo, s5
	s_delay_alu instid0(SALU_CYCLE_1)
	s_and_saveexec_b32 s14, s0
	s_cbranch_execz .LBB1361_314
; %bb.306:
	v_cmp_ne_u32_e32 vcc_lo, 1, v45
	s_cbranch_vccnz .LBB1361_312
; %bb.307:
	s_wait_dscnt 0x0
	v_mul_u64_e32 v[6:7], s[16:17], v[4:5]
	v_mul_u64_e32 v[8:9], s[16:17], v[2:3]
	s_mov_b32 s15, 0
	s_mov_b64 s[6:7], s[16:17]
                                        ; implicit-def: $sgpr22
                                        ; implicit-def: $sgpr23
                                        ; implicit-def: $sgpr24
                                        ; implicit-def: $sgpr25
	s_delay_alu instid0(VALU_DEP_2) | instskip(NEXT) | instid1(VALU_DEP_2)
	v_lshl_add_u64 v[6:7], v[6:7], 1, s[18:19]
	v_lshl_add_u64 v[8:9], v[8:9], 1, s[18:19]
	s_branch .LBB1361_309
.LBB1361_308:                           ;   in Loop: Header=BB1361_309 Depth=1
	s_or_b32 exec_lo, exec_lo, s26
	s_delay_alu instid0(SALU_CYCLE_1) | instskip(NEXT) | instid1(SALU_CYCLE_1)
	s_and_b32 s26, exec_lo, s23
	s_or_b32 s15, s26, s15
	s_and_not1_b32 s25, s25, exec_lo
	s_and_b32 s0, s0, exec_lo
	s_and_not1_b32 s22, s22, exec_lo
	s_and_b32 s26, s24, exec_lo
	s_or_b32 s25, s25, s0
	s_or_b32 s22, s22, s26
	s_and_not1_b32 exec_lo, exec_lo, s15
	s_cbranch_execz .LBB1361_311
.LBB1361_309:                           ; =>This Inner Loop Header: Depth=1
	global_load_u16 v10, v[6:7], off
	global_load_u16 v11, v[8:9], off
	s_and_not1_b32 s24, s24, exec_lo
	s_or_b32 s23, s23, exec_lo
	s_wait_loadcnt 0x0
	v_cmp_le_u16_e32 vcc_lo, v10, v11
	v_cmp_lt_u16_e64 s0, v10, v11
	s_and_b32 s26, vcc_lo, s25
	s_delay_alu instid0(SALU_CYCLE_1) | instskip(NEXT) | instid1(SALU_CYCLE_1)
	s_or_b32 s0, s0, s26
	s_and_b32 s26, s0, exec_lo
	s_delay_alu instid0(SALU_CYCLE_1)
	s_or_b32 s24, s24, s26
	s_mov_b32 s26, exec_lo
	v_cmpx_eq_u16_e64 v10, v11
	s_cbranch_execz .LBB1361_308
; %bb.310:                              ;   in Loop: Header=BB1361_309 Depth=1
	s_add_nc_u64 s[6:7], s[6:7], -1
	v_add_nc_u64_e32 v[6:7], 2, v[6:7]
	s_cmp_eq_u64 s[6:7], 0
	v_add_nc_u64_e32 v[8:9], 2, v[8:9]
	s_cselect_b32 s25, -1, 0
	s_and_not1_b32 s23, s23, exec_lo
	s_and_b32 s25, s25, exec_lo
	s_and_not1_b32 s24, s24, exec_lo
	s_or_b32 s23, s23, s25
                                        ; implicit-def: $sgpr25
	s_branch .LBB1361_308
.LBB1361_311:
	s_or_b32 exec_lo, exec_lo, s15
	s_xor_b32 s0, s22, -1
	s_branch .LBB1361_313
.LBB1361_312:
	s_mov_b32 s0, -1
.LBB1361_313:
	s_and_not1_b32 s5, s5, exec_lo
	s_and_b32 s0, s0, exec_lo
	s_delay_alu instid0(SALU_CYCLE_1)
	s_or_b32 s5, s5, s0
.LBB1361_314:
	s_or_b32 exec_lo, exec_lo, s14
	v_dual_cndmask_b32 v6, v21, v20, s5 :: v_dual_cndmask_b32 v7, v51, v50, s5
	s_mov_b32 s15, -1
	s_mov_b32 s14, -1
	s_mov_b32 s22, exec_lo
	s_delay_alu instid0(VALU_DEP_1) | instskip(NEXT) | instid1(VALU_DEP_1)
	v_add_nc_u32_e32 v8, 1, v6
	v_add_min_u32_e64 v6, v7, -1, v8
	s_delay_alu instid0(VALU_DEP_1)
	v_lshl_add_u32 v6, v6, 3, v46
	ds_load_b64 v[6:7], v6
	s_wait_dscnt 0x0
	v_cndmask_b32_e64 v15, v7, v5, s5
	v_dual_cndmask_b32 v10, v8, v21, s5 :: v_dual_cndmask_b32 v14, v6, v4, s5
	v_dual_cndmask_b32 v11, v20, v8, s5 :: v_dual_cndmask_b32 v17, v3, v7, s5
	v_cndmask_b32_e64 v16, v2, v6, s5
	s_delay_alu instid0(VALU_DEP_3)
	v_cmpx_lt_u32_e64 v10, v51
	s_cbranch_execz .LBB1361_325
; %bb.315:
	s_mov_b32 s0, 0
	s_mov_b32 s14, exec_lo
	v_cmpx_lt_u32_e64 v11, v50
	s_cbranch_execz .LBB1361_324
; %bb.316:
	v_cmp_ne_u32_e32 vcc_lo, 1, v45
	s_cbranch_vccnz .LBB1361_322
; %bb.317:
	v_mul_u64_e32 v[6:7], s[16:17], v[14:15]
	v_mul_u64_e32 v[8:9], s[16:17], v[16:17]
	s_mov_b32 s23, 0
	s_mov_b64 s[6:7], s[16:17]
                                        ; implicit-def: $sgpr24
                                        ; implicit-def: $sgpr25
                                        ; implicit-def: $sgpr26
                                        ; implicit-def: $sgpr27
	s_delay_alu instid0(VALU_DEP_2) | instskip(NEXT) | instid1(VALU_DEP_2)
	v_lshl_add_u64 v[6:7], v[6:7], 1, s[18:19]
	v_lshl_add_u64 v[8:9], v[8:9], 1, s[18:19]
	s_branch .LBB1361_319
.LBB1361_318:                           ;   in Loop: Header=BB1361_319 Depth=1
	s_or_b32 exec_lo, exec_lo, s28
	s_delay_alu instid0(SALU_CYCLE_1) | instskip(NEXT) | instid1(SALU_CYCLE_1)
	s_and_b32 s28, exec_lo, s25
	s_or_b32 s23, s28, s23
	s_and_not1_b32 s27, s27, exec_lo
	s_and_b32 s0, s0, exec_lo
	s_and_not1_b32 s24, s24, exec_lo
	s_and_b32 s28, s26, exec_lo
	s_or_b32 s27, s27, s0
	s_or_b32 s24, s24, s28
	s_and_not1_b32 exec_lo, exec_lo, s23
	s_cbranch_execz .LBB1361_321
.LBB1361_319:                           ; =>This Inner Loop Header: Depth=1
	global_load_u16 v12, v[6:7], off
	global_load_u16 v13, v[8:9], off
	s_and_not1_b32 s26, s26, exec_lo
	s_or_b32 s25, s25, exec_lo
	s_wait_loadcnt 0x0
	v_cmp_le_u16_e32 vcc_lo, v12, v13
	v_cmp_lt_u16_e64 s0, v12, v13
	s_and_b32 s28, vcc_lo, s27
	s_delay_alu instid0(SALU_CYCLE_1) | instskip(NEXT) | instid1(SALU_CYCLE_1)
	s_or_b32 s0, s0, s28
	s_and_b32 s28, s0, exec_lo
	s_delay_alu instid0(SALU_CYCLE_1)
	s_or_b32 s26, s26, s28
	s_mov_b32 s28, exec_lo
	v_cmpx_eq_u16_e64 v12, v13
	s_cbranch_execz .LBB1361_318
; %bb.320:                              ;   in Loop: Header=BB1361_319 Depth=1
	s_add_nc_u64 s[6:7], s[6:7], -1
	v_add_nc_u64_e32 v[6:7], 2, v[6:7]
	s_cmp_eq_u64 s[6:7], 0
	v_add_nc_u64_e32 v[8:9], 2, v[8:9]
	s_cselect_b32 s27, -1, 0
	s_and_not1_b32 s25, s25, exec_lo
	s_and_b32 s27, s27, exec_lo
	s_and_not1_b32 s26, s26, exec_lo
	s_or_b32 s25, s25, s27
                                        ; implicit-def: $sgpr27
	s_branch .LBB1361_318
.LBB1361_321:
	s_or_b32 exec_lo, exec_lo, s23
	s_xor_b32 s0, s24, -1
	s_branch .LBB1361_323
.LBB1361_322:
	s_mov_b32 s0, -1
.LBB1361_323:
	s_delay_alu instid0(SALU_CYCLE_1)
	s_and_b32 s0, s0, exec_lo
.LBB1361_324:
	s_or_b32 exec_lo, exec_lo, s14
	s_delay_alu instid0(SALU_CYCLE_1)
	s_or_not1_b32 s14, s0, exec_lo
.LBB1361_325:
	s_or_b32 exec_lo, exec_lo, s22
	v_dual_cndmask_b32 v6, v10, v11, s14 :: v_dual_cndmask_b32 v7, v51, v50, s14
	s_mov_b32 s22, exec_lo
	s_delay_alu instid0(VALU_DEP_1) | instskip(NEXT) | instid1(VALU_DEP_1)
	v_add_nc_u32_e32 v8, 1, v6
	v_add_min_u32_e64 v6, v7, -1, v8
	s_delay_alu instid0(VALU_DEP_1)
	v_lshl_add_u32 v6, v6, 3, v46
	ds_load_b64 v[6:7], v6
	v_cndmask_b32_e64 v13, v11, v8, s14
	s_wait_dscnt 0x0
	v_dual_cndmask_b32 v11, v7, v15, s14 :: v_dual_cndmask_b32 v12, v8, v10, s14
	v_dual_cndmask_b32 v21, v17, v7, s14 :: v_dual_cndmask_b32 v10, v6, v14, s14
	v_cndmask_b32_e64 v20, v16, v6, s14
	s_delay_alu instid0(VALU_DEP_3)
	v_cmpx_lt_u32_e64 v12, v51
	s_cbranch_execz .LBB1361_336
; %bb.326:
	s_mov_b32 s0, 0
	s_mov_b32 s15, exec_lo
	v_cmpx_lt_u32_e64 v13, v50
	s_cbranch_execz .LBB1361_335
; %bb.327:
	v_cmp_ne_u32_e32 vcc_lo, 1, v45
	s_cbranch_vccnz .LBB1361_333
; %bb.328:
	v_mul_u64_e32 v[6:7], s[16:17], v[10:11]
	v_mul_u64_e32 v[8:9], s[16:17], v[20:21]
	s_mov_b32 s23, 0
	s_mov_b64 s[6:7], s[16:17]
                                        ; implicit-def: $sgpr24
                                        ; implicit-def: $sgpr25
                                        ; implicit-def: $sgpr26
                                        ; implicit-def: $sgpr27
	s_delay_alu instid0(VALU_DEP_2) | instskip(NEXT) | instid1(VALU_DEP_2)
	v_lshl_add_u64 v[6:7], v[6:7], 1, s[18:19]
	v_lshl_add_u64 v[8:9], v[8:9], 1, s[18:19]
	s_branch .LBB1361_330
.LBB1361_329:                           ;   in Loop: Header=BB1361_330 Depth=1
	s_or_b32 exec_lo, exec_lo, s28
	s_delay_alu instid0(SALU_CYCLE_1) | instskip(NEXT) | instid1(SALU_CYCLE_1)
	s_and_b32 s28, exec_lo, s25
	s_or_b32 s23, s28, s23
	s_and_not1_b32 s27, s27, exec_lo
	s_and_b32 s0, s0, exec_lo
	s_and_not1_b32 s24, s24, exec_lo
	s_and_b32 s28, s26, exec_lo
	s_or_b32 s27, s27, s0
	s_or_b32 s24, s24, s28
	s_and_not1_b32 exec_lo, exec_lo, s23
	s_cbranch_execz .LBB1361_332
.LBB1361_330:                           ; =>This Inner Loop Header: Depth=1
	global_load_u16 v22, v[6:7], off
	global_load_u16 v23, v[8:9], off
	s_and_not1_b32 s26, s26, exec_lo
	s_or_b32 s25, s25, exec_lo
	s_wait_loadcnt 0x0
	v_cmp_le_u16_e32 vcc_lo, v22, v23
	v_cmp_lt_u16_e64 s0, v22, v23
	s_and_b32 s28, vcc_lo, s27
	s_delay_alu instid0(SALU_CYCLE_1) | instskip(NEXT) | instid1(SALU_CYCLE_1)
	s_or_b32 s0, s0, s28
	s_and_b32 s28, s0, exec_lo
	s_delay_alu instid0(SALU_CYCLE_1)
	s_or_b32 s26, s26, s28
	s_mov_b32 s28, exec_lo
	v_cmpx_eq_u16_e64 v22, v23
	s_cbranch_execz .LBB1361_329
; %bb.331:                              ;   in Loop: Header=BB1361_330 Depth=1
	s_add_nc_u64 s[6:7], s[6:7], -1
	v_add_nc_u64_e32 v[6:7], 2, v[6:7]
	s_cmp_eq_u64 s[6:7], 0
	v_add_nc_u64_e32 v[8:9], 2, v[8:9]
	s_cselect_b32 s27, -1, 0
	s_and_not1_b32 s25, s25, exec_lo
	s_and_b32 s27, s27, exec_lo
	s_and_not1_b32 s26, s26, exec_lo
	s_or_b32 s25, s25, s27
                                        ; implicit-def: $sgpr27
	s_branch .LBB1361_329
.LBB1361_332:
	s_or_b32 exec_lo, exec_lo, s23
	s_xor_b32 s0, s24, -1
	s_branch .LBB1361_334
.LBB1361_333:
	s_mov_b32 s0, -1
.LBB1361_334:
	s_delay_alu instid0(SALU_CYCLE_1)
	s_and_b32 s0, s0, exec_lo
.LBB1361_335:
	s_or_b32 exec_lo, exec_lo, s15
	s_delay_alu instid0(SALU_CYCLE_1)
	s_or_not1_b32 s15, s0, exec_lo
.LBB1361_336:
	s_or_b32 exec_lo, exec_lo, s22
	v_dual_cndmask_b32 v6, v12, v13, s15 :: v_dual_cndmask_b32 v7, v51, v50, s15
	s_mov_b32 s23, -1
	s_mov_b32 s22, -1
	s_mov_b32 s24, exec_lo
	s_delay_alu instid0(VALU_DEP_1) | instskip(NEXT) | instid1(VALU_DEP_1)
	v_add_nc_u32_e32 v8, 1, v6
	v_add_min_u32_e64 v6, v7, -1, v8
	s_delay_alu instid0(VALU_DEP_1)
	v_lshl_add_u32 v6, v6, 3, v46
	ds_load_b64 v[6:7], v6
	s_wait_dscnt 0x0
	v_dual_cndmask_b32 v25, v13, v8, s15 :: v_dual_cndmask_b32 v22, v20, v6, s15
	v_dual_cndmask_b32 v13, v7, v11, s15 :: v_dual_cndmask_b32 v24, v8, v12, s15
	;; [unrolled: 1-line block ×3, first 2 shown]
	s_delay_alu instid0(VALU_DEP_2)
	v_cmpx_lt_u32_e64 v24, v51
	s_cbranch_execz .LBB1361_347
; %bb.337:
	s_mov_b32 s0, 0
	s_mov_b32 s22, exec_lo
	v_cmpx_lt_u32_e64 v25, v50
	s_cbranch_execz .LBB1361_346
; %bb.338:
	v_cmp_ne_u32_e32 vcc_lo, 1, v45
	s_cbranch_vccnz .LBB1361_344
; %bb.339:
	v_mul_u64_e32 v[6:7], s[16:17], v[12:13]
	v_mul_u64_e32 v[8:9], s[16:17], v[22:23]
	s_mov_b32 s25, 0
	s_mov_b64 s[6:7], s[16:17]
                                        ; implicit-def: $sgpr26
                                        ; implicit-def: $sgpr27
                                        ; implicit-def: $sgpr28
                                        ; implicit-def: $sgpr29
	s_delay_alu instid0(VALU_DEP_2) | instskip(NEXT) | instid1(VALU_DEP_2)
	v_lshl_add_u64 v[6:7], v[6:7], 1, s[18:19]
	v_lshl_add_u64 v[8:9], v[8:9], 1, s[18:19]
	s_branch .LBB1361_341
.LBB1361_340:                           ;   in Loop: Header=BB1361_341 Depth=1
	s_or_b32 exec_lo, exec_lo, s30
	s_delay_alu instid0(SALU_CYCLE_1) | instskip(NEXT) | instid1(SALU_CYCLE_1)
	s_and_b32 s30, exec_lo, s27
	s_or_b32 s25, s30, s25
	s_and_not1_b32 s29, s29, exec_lo
	s_and_b32 s0, s0, exec_lo
	s_and_not1_b32 s26, s26, exec_lo
	s_and_b32 s30, s28, exec_lo
	s_or_b32 s29, s29, s0
	s_or_b32 s26, s26, s30
	s_and_not1_b32 exec_lo, exec_lo, s25
	s_cbranch_execz .LBB1361_343
.LBB1361_341:                           ; =>This Inner Loop Header: Depth=1
	global_load_u16 v26, v[6:7], off
	global_load_u16 v27, v[8:9], off
	s_and_not1_b32 s28, s28, exec_lo
	s_or_b32 s27, s27, exec_lo
	s_wait_loadcnt 0x0
	v_cmp_le_u16_e32 vcc_lo, v26, v27
	v_cmp_lt_u16_e64 s0, v26, v27
	s_and_b32 s30, vcc_lo, s29
	s_delay_alu instid0(SALU_CYCLE_1) | instskip(NEXT) | instid1(SALU_CYCLE_1)
	s_or_b32 s0, s0, s30
	s_and_b32 s30, s0, exec_lo
	s_delay_alu instid0(SALU_CYCLE_1)
	s_or_b32 s28, s28, s30
	s_mov_b32 s30, exec_lo
	v_cmpx_eq_u16_e64 v26, v27
	s_cbranch_execz .LBB1361_340
; %bb.342:                              ;   in Loop: Header=BB1361_341 Depth=1
	s_add_nc_u64 s[6:7], s[6:7], -1
	v_add_nc_u64_e32 v[6:7], 2, v[6:7]
	s_cmp_eq_u64 s[6:7], 0
	v_add_nc_u64_e32 v[8:9], 2, v[8:9]
	s_cselect_b32 s29, -1, 0
	s_and_not1_b32 s27, s27, exec_lo
	s_and_b32 s29, s29, exec_lo
	s_and_not1_b32 s28, s28, exec_lo
	s_or_b32 s27, s27, s29
                                        ; implicit-def: $sgpr29
	s_branch .LBB1361_340
.LBB1361_343:
	s_or_b32 exec_lo, exec_lo, s25
	s_xor_b32 s0, s26, -1
	s_branch .LBB1361_345
.LBB1361_344:
	s_mov_b32 s0, -1
.LBB1361_345:
	s_delay_alu instid0(SALU_CYCLE_1)
	s_and_b32 s0, s0, exec_lo
.LBB1361_346:
	s_or_b32 exec_lo, exec_lo, s22
	s_delay_alu instid0(SALU_CYCLE_1)
	s_or_not1_b32 s22, s0, exec_lo
.LBB1361_347:
	s_or_b32 exec_lo, exec_lo, s24
	v_dual_cndmask_b32 v6, v24, v25, s22 :: v_dual_cndmask_b32 v7, v51, v50, s22
	s_mov_b32 s24, exec_lo
	s_delay_alu instid0(VALU_DEP_1) | instskip(NEXT) | instid1(VALU_DEP_1)
	v_add_nc_u32_e32 v6, 1, v6
	v_add_min_u32_e64 v7, v7, -1, v6
	s_delay_alu instid0(VALU_DEP_1)
	v_lshl_add_u32 v7, v7, 3, v46
	ds_load_b64 v[8:9], v7
	s_wait_dscnt 0x0
	v_dual_cndmask_b32 v7, v9, v13, s22 :: v_dual_cndmask_b32 v28, v6, v24, s22
	v_dual_cndmask_b32 v29, v25, v6, s22 :: v_dual_cndmask_b32 v6, v8, v12, s22
	;; [unrolled: 1-line block ×3, first 2 shown]
	s_delay_alu instid0(VALU_DEP_3)
	v_cmpx_lt_u32_e64 v28, v51
	s_cbranch_execz .LBB1361_358
; %bb.348:
	s_mov_b32 s0, 0
	s_mov_b32 s23, exec_lo
	v_cmpx_lt_u32_e64 v29, v50
	s_cbranch_execz .LBB1361_357
; %bb.349:
	v_cmp_ne_u32_e32 vcc_lo, 1, v45
	s_cbranch_vccnz .LBB1361_355
; %bb.350:
	v_mul_u64_e32 v[8:9], s[16:17], v[6:7]
	v_mul_u64_e32 v[26:27], s[16:17], v[24:25]
	s_mov_b32 s25, 0
	s_mov_b64 s[6:7], s[16:17]
                                        ; implicit-def: $sgpr26
                                        ; implicit-def: $sgpr27
                                        ; implicit-def: $sgpr28
                                        ; implicit-def: $sgpr29
	s_delay_alu instid0(VALU_DEP_2) | instskip(NEXT) | instid1(VALU_DEP_2)
	v_lshl_add_u64 v[8:9], v[8:9], 1, s[18:19]
	v_lshl_add_u64 v[26:27], v[26:27], 1, s[18:19]
	s_branch .LBB1361_352
.LBB1361_351:                           ;   in Loop: Header=BB1361_352 Depth=1
	s_or_b32 exec_lo, exec_lo, s30
	s_delay_alu instid0(SALU_CYCLE_1) | instskip(NEXT) | instid1(SALU_CYCLE_1)
	s_and_b32 s30, exec_lo, s27
	s_or_b32 s25, s30, s25
	s_and_not1_b32 s29, s29, exec_lo
	s_and_b32 s0, s0, exec_lo
	s_and_not1_b32 s26, s26, exec_lo
	s_and_b32 s30, s28, exec_lo
	s_or_b32 s29, s29, s0
	s_or_b32 s26, s26, s30
	s_and_not1_b32 exec_lo, exec_lo, s25
	s_cbranch_execz .LBB1361_354
.LBB1361_352:                           ; =>This Inner Loop Header: Depth=1
	global_load_u16 v30, v[8:9], off
	global_load_u16 v31, v[26:27], off
	s_and_not1_b32 s28, s28, exec_lo
	s_or_b32 s27, s27, exec_lo
	s_wait_loadcnt 0x0
	v_cmp_le_u16_e32 vcc_lo, v30, v31
	v_cmp_lt_u16_e64 s0, v30, v31
	s_and_b32 s30, vcc_lo, s29
	s_delay_alu instid0(SALU_CYCLE_1) | instskip(NEXT) | instid1(SALU_CYCLE_1)
	s_or_b32 s0, s0, s30
	s_and_b32 s30, s0, exec_lo
	s_delay_alu instid0(SALU_CYCLE_1)
	s_or_b32 s28, s28, s30
	s_mov_b32 s30, exec_lo
	v_cmpx_eq_u16_e64 v30, v31
	s_cbranch_execz .LBB1361_351
; %bb.353:                              ;   in Loop: Header=BB1361_352 Depth=1
	s_add_nc_u64 s[6:7], s[6:7], -1
	v_add_nc_u64_e32 v[8:9], 2, v[8:9]
	s_cmp_eq_u64 s[6:7], 0
	v_add_nc_u64_e32 v[26:27], 2, v[26:27]
	s_cselect_b32 s29, -1, 0
	s_and_not1_b32 s27, s27, exec_lo
	s_and_b32 s29, s29, exec_lo
	s_and_not1_b32 s28, s28, exec_lo
	s_or_b32 s27, s27, s29
                                        ; implicit-def: $sgpr29
	s_branch .LBB1361_351
.LBB1361_354:
	s_or_b32 exec_lo, exec_lo, s25
	s_xor_b32 s0, s26, -1
	s_branch .LBB1361_356
.LBB1361_355:
	s_mov_b32 s0, -1
.LBB1361_356:
	s_delay_alu instid0(SALU_CYCLE_1)
	s_and_b32 s0, s0, exec_lo
.LBB1361_357:
	s_or_b32 exec_lo, exec_lo, s23
	s_delay_alu instid0(SALU_CYCLE_1)
	s_or_not1_b32 s23, s0, exec_lo
.LBB1361_358:
	s_or_b32 exec_lo, exec_lo, s24
	v_dual_cndmask_b32 v8, v28, v29, s23 :: v_dual_cndmask_b32 v9, v51, v50, s23
	s_mov_b32 s24, -1
	s_mov_b32 s25, -1
	s_mov_b32 s26, exec_lo
	s_delay_alu instid0(VALU_DEP_1) | instskip(NEXT) | instid1(VALU_DEP_1)
	v_add_nc_u32_e32 v8, 1, v8
	v_add_min_u32_e64 v9, v9, -1, v8
	s_delay_alu instid0(VALU_DEP_1)
	v_lshl_add_u32 v9, v9, 3, v46
	ds_load_b64 v[26:27], v9
	s_wait_dscnt 0x0
	v_dual_cndmask_b32 v9, v27, v7, s23 :: v_dual_cndmask_b32 v32, v8, v28, s23
	v_dual_cndmask_b32 v33, v29, v8, s23 :: v_dual_cndmask_b32 v8, v26, v6, s23
	;; [unrolled: 1-line block ×3, first 2 shown]
	s_delay_alu instid0(VALU_DEP_3)
	v_cmpx_lt_u32_e64 v32, v51
	s_cbranch_execz .LBB1361_369
; %bb.359:
	s_mov_b32 s0, 0
	s_mov_b32 s25, exec_lo
	v_cmpx_lt_u32_e64 v33, v50
	s_cbranch_execz .LBB1361_368
; %bb.360:
	v_cmp_ne_u32_e32 vcc_lo, 1, v45
	s_cbranch_vccnz .LBB1361_366
; %bb.361:
	v_mul_u64_e32 v[28:29], s[16:17], v[8:9]
	v_mul_u64_e32 v[30:31], s[16:17], v[26:27]
	s_mov_b32 s27, 0
	s_mov_b64 s[6:7], s[16:17]
                                        ; implicit-def: $sgpr28
                                        ; implicit-def: $sgpr29
                                        ; implicit-def: $sgpr30
                                        ; implicit-def: $sgpr31
	s_delay_alu instid0(VALU_DEP_2) | instskip(NEXT) | instid1(VALU_DEP_2)
	v_lshl_add_u64 v[28:29], v[28:29], 1, s[18:19]
	v_lshl_add_u64 v[30:31], v[30:31], 1, s[18:19]
	s_branch .LBB1361_363
.LBB1361_362:                           ;   in Loop: Header=BB1361_363 Depth=1
	s_or_b32 exec_lo, exec_lo, s33
	s_delay_alu instid0(SALU_CYCLE_1) | instskip(NEXT) | instid1(SALU_CYCLE_1)
	s_and_b32 s33, exec_lo, s29
	s_or_b32 s27, s33, s27
	s_and_not1_b32 s31, s31, exec_lo
	s_and_b32 s0, s0, exec_lo
	s_and_not1_b32 s28, s28, exec_lo
	s_and_b32 s33, s30, exec_lo
	s_or_b32 s31, s31, s0
	s_or_b32 s28, s28, s33
	s_and_not1_b32 exec_lo, exec_lo, s27
	s_cbranch_execz .LBB1361_365
.LBB1361_363:                           ; =>This Inner Loop Header: Depth=1
	global_load_u16 v34, v[28:29], off
	global_load_u16 v35, v[30:31], off
	s_and_not1_b32 s30, s30, exec_lo
	s_or_b32 s29, s29, exec_lo
	s_wait_loadcnt 0x0
	v_cmp_le_u16_e32 vcc_lo, v34, v35
	v_cmp_lt_u16_e64 s0, v34, v35
	s_and_b32 s33, vcc_lo, s31
	s_delay_alu instid0(SALU_CYCLE_1) | instskip(NEXT) | instid1(SALU_CYCLE_1)
	s_or_b32 s0, s0, s33
	s_and_b32 s33, s0, exec_lo
	s_delay_alu instid0(SALU_CYCLE_1)
	s_or_b32 s30, s30, s33
	s_mov_b32 s33, exec_lo
	v_cmpx_eq_u16_e64 v34, v35
	s_cbranch_execz .LBB1361_362
; %bb.364:                              ;   in Loop: Header=BB1361_363 Depth=1
	s_add_nc_u64 s[6:7], s[6:7], -1
	v_add_nc_u64_e32 v[28:29], 2, v[28:29]
	s_cmp_eq_u64 s[6:7], 0
	v_add_nc_u64_e32 v[30:31], 2, v[30:31]
	s_cselect_b32 s31, -1, 0
	s_and_not1_b32 s29, s29, exec_lo
	s_and_b32 s31, s31, exec_lo
	s_and_not1_b32 s30, s30, exec_lo
	s_or_b32 s29, s29, s31
                                        ; implicit-def: $sgpr31
	s_branch .LBB1361_362
.LBB1361_365:
	s_or_b32 exec_lo, exec_lo, s27
	s_xor_b32 s0, s28, -1
	s_branch .LBB1361_367
.LBB1361_366:
	s_mov_b32 s0, -1
.LBB1361_367:
	s_delay_alu instid0(SALU_CYCLE_1)
	s_and_b32 s0, s0, exec_lo
.LBB1361_368:
	s_or_b32 exec_lo, exec_lo, s25
	s_delay_alu instid0(SALU_CYCLE_1)
	s_or_not1_b32 s25, s0, exec_lo
.LBB1361_369:
	s_or_b32 exec_lo, exec_lo, s26
	v_dual_cndmask_b32 v28, v32, v33, s25 :: v_dual_cndmask_b32 v29, v51, v50, s25
	s_mov_b32 s26, exec_lo
	s_delay_alu instid0(VALU_DEP_1) | instskip(NEXT) | instid1(VALU_DEP_1)
	v_add_nc_u32_e32 v28, 1, v28
	v_add_min_u32_e64 v29, v29, -1, v28
	s_delay_alu instid0(VALU_DEP_1)
	v_lshl_add_u32 v29, v29, 3, v46
	ds_load_b64 v[30:31], v29
	s_wait_dscnt 0x0
	v_dual_cndmask_b32 v29, v31, v9, s25 :: v_dual_cndmask_b32 v53, v28, v32, s25
	v_dual_cndmask_b32 v31, v27, v31, s25 :: v_dual_cndmask_b32 v52, v33, v28, s25
	v_cndmask_b32_e64 v28, v30, v8, s25
	v_cndmask_b32_e64 v30, v26, v30, s25
	s_delay_alu instid0(VALU_DEP_4)
	v_cmpx_lt_u32_e64 v53, v51
	s_cbranch_execz .LBB1361_380
; %bb.370:
	s_mov_b32 s0, 0
	s_mov_b32 s24, exec_lo
	v_cmpx_lt_u32_e64 v52, v50
	s_cbranch_execz .LBB1361_379
; %bb.371:
	v_cmp_ne_u32_e32 vcc_lo, 1, v45
	s_cbranch_vccnz .LBB1361_377
; %bb.372:
	v_mul_u64_e32 v[32:33], s[16:17], v[28:29]
	v_mul_u64_e32 v[34:35], s[16:17], v[30:31]
	s_mov_b32 s27, 0
	s_mov_b64 s[6:7], s[16:17]
                                        ; implicit-def: $sgpr28
                                        ; implicit-def: $sgpr29
                                        ; implicit-def: $sgpr30
                                        ; implicit-def: $sgpr31
	s_delay_alu instid0(VALU_DEP_2) | instskip(NEXT) | instid1(VALU_DEP_2)
	v_lshl_add_u64 v[32:33], v[32:33], 1, s[18:19]
	v_lshl_add_u64 v[34:35], v[34:35], 1, s[18:19]
	s_branch .LBB1361_374
.LBB1361_373:                           ;   in Loop: Header=BB1361_374 Depth=1
	s_or_b32 exec_lo, exec_lo, s33
	s_delay_alu instid0(SALU_CYCLE_1) | instskip(NEXT) | instid1(SALU_CYCLE_1)
	s_and_b32 s33, exec_lo, s29
	s_or_b32 s27, s33, s27
	s_and_not1_b32 s31, s31, exec_lo
	s_and_b32 s0, s0, exec_lo
	s_and_not1_b32 s28, s28, exec_lo
	s_and_b32 s33, s30, exec_lo
	s_or_b32 s31, s31, s0
	s_or_b32 s28, s28, s33
	s_and_not1_b32 exec_lo, exec_lo, s27
	s_cbranch_execz .LBB1361_376
.LBB1361_374:                           ; =>This Inner Loop Header: Depth=1
	global_load_u16 v54, v[32:33], off
	global_load_u16 v55, v[34:35], off
	s_and_not1_b32 s30, s30, exec_lo
	s_or_b32 s29, s29, exec_lo
	s_wait_loadcnt 0x0
	v_cmp_le_u16_e32 vcc_lo, v54, v55
	v_cmp_lt_u16_e64 s0, v54, v55
	s_and_b32 s33, vcc_lo, s31
	s_delay_alu instid0(SALU_CYCLE_1) | instskip(NEXT) | instid1(SALU_CYCLE_1)
	s_or_b32 s0, s0, s33
	s_and_b32 s33, s0, exec_lo
	s_delay_alu instid0(SALU_CYCLE_1)
	s_or_b32 s30, s30, s33
	s_mov_b32 s33, exec_lo
	v_cmpx_eq_u16_e64 v54, v55
	s_cbranch_execz .LBB1361_373
; %bb.375:                              ;   in Loop: Header=BB1361_374 Depth=1
	s_add_nc_u64 s[6:7], s[6:7], -1
	v_add_nc_u64_e32 v[32:33], 2, v[32:33]
	s_cmp_eq_u64 s[6:7], 0
	v_add_nc_u64_e32 v[34:35], 2, v[34:35]
	s_cselect_b32 s31, -1, 0
	s_and_not1_b32 s29, s29, exec_lo
	s_and_b32 s31, s31, exec_lo
	s_and_not1_b32 s30, s30, exec_lo
	s_or_b32 s29, s29, s31
                                        ; implicit-def: $sgpr31
	s_branch .LBB1361_373
.LBB1361_376:
	s_or_b32 exec_lo, exec_lo, s27
	s_xor_b32 s0, s28, -1
	s_branch .LBB1361_378
.LBB1361_377:
	s_mov_b32 s0, -1
.LBB1361_378:
	s_delay_alu instid0(SALU_CYCLE_1)
	s_and_b32 s0, s0, exec_lo
.LBB1361_379:
	s_or_b32 exec_lo, exec_lo, s24
	s_delay_alu instid0(SALU_CYCLE_1)
	s_or_not1_b32 s24, s0, exec_lo
.LBB1361_380:
	s_or_b32 exec_lo, exec_lo, s26
	v_dual_cndmask_b32 v32, v53, v52, s24 :: v_dual_cndmask_b32 v33, v51, v50, s24
	v_dual_cndmask_b32 v8, v8, v26, s25 :: v_dual_cndmask_b32 v7, v7, v25, s23
	;; [unrolled: 1-line block ×3, first 2 shown]
	s_delay_alu instid0(VALU_DEP_3) | instskip(SKIP_2) | instid1(VALU_DEP_3)
	v_dual_add_nc_u32 v34, 1, v32 :: v_dual_cndmask_b32 v9, v9, v27, s25
	v_dual_cndmask_b32 v12, v12, v22, s22 :: v_dual_cndmask_b32 v11, v11, v21, s15
	v_dual_cndmask_b32 v10, v10, v20, s15 :: v_dual_cndmask_b32 v17, v15, v17, s14
	v_add_min_u32_e64 v32, v33, -1, v34
	v_dual_cndmask_b32 v16, v14, v16, s14 :: v_dual_cndmask_b32 v15, v5, v3, s5
	v_dual_cndmask_b32 v14, v4, v2, s5 :: v_dual_cndmask_b32 v20, v34, v53, s24
	s_delay_alu instid0(VALU_DEP_3)
	v_lshl_add_u32 v32, v32, 3, v46
	v_dual_cndmask_b32 v3, v29, v31, s24 :: v_dual_cndmask_b32 v2, v28, v30, s24
	s_mov_b32 s5, exec_lo
	ds_load_b64 v[32:33], v32
	s_wait_dscnt 0x0
	v_dual_cndmask_b32 v5, v31, v33, s24 :: v_dual_cndmask_b32 v4, v30, v32, s24
	v_cmpx_lt_u32_e64 v20, v51
	s_cbranch_execz .LBB1361_390
; %bb.381:
	v_dual_cndmask_b32 v22, v52, v34, s24 :: v_dual_cndmask_b32 v21, v33, v29, s24
	v_cndmask_b32_e64 v20, v32, v28, s24
	s_mov_b32 s14, exec_lo
	s_delay_alu instid0(VALU_DEP_2)
	v_cmpx_lt_u32_e64 v22, v50
	s_cbranch_execz .LBB1361_389
; %bb.382:
	v_cmp_ne_u32_e32 vcc_lo, 1, v45
	s_cbranch_vccnz .LBB1361_388
; %bb.383:
	v_mul_u64_e32 v[22:23], s[16:17], v[20:21]
	v_mul_u64_e32 v[24:25], s[16:17], v[4:5]
	s_mov_b32 s15, 0
	s_mov_b64 s[6:7], s[16:17]
                                        ; implicit-def: $sgpr22
                                        ; implicit-def: $sgpr23
                                        ; implicit-def: $sgpr24
                                        ; implicit-def: $sgpr25
	s_delay_alu instid0(VALU_DEP_2) | instskip(NEXT) | instid1(VALU_DEP_2)
	v_lshl_add_u64 v[22:23], v[22:23], 1, s[18:19]
	v_lshl_add_u64 v[24:25], v[24:25], 1, s[18:19]
	s_branch .LBB1361_385
.LBB1361_384:                           ;   in Loop: Header=BB1361_385 Depth=1
	s_or_b32 exec_lo, exec_lo, s26
	s_delay_alu instid0(SALU_CYCLE_1) | instskip(NEXT) | instid1(SALU_CYCLE_1)
	s_and_b32 s26, exec_lo, s23
	s_or_b32 s15, s26, s15
	s_and_not1_b32 s25, s25, exec_lo
	s_and_b32 s0, s0, exec_lo
	s_and_not1_b32 s22, s22, exec_lo
	s_and_b32 s26, s24, exec_lo
	s_or_b32 s25, s25, s0
	s_or_b32 s22, s22, s26
	s_and_not1_b32 exec_lo, exec_lo, s15
	s_cbranch_execz .LBB1361_387
.LBB1361_385:                           ; =>This Inner Loop Header: Depth=1
	global_load_u16 v26, v[22:23], off
	global_load_u16 v27, v[24:25], off
	s_and_not1_b32 s24, s24, exec_lo
	s_or_b32 s23, s23, exec_lo
	s_wait_loadcnt 0x0
	v_cmp_le_u16_e32 vcc_lo, v26, v27
	v_cmp_lt_u16_e64 s0, v26, v27
	s_and_b32 s26, vcc_lo, s25
	s_delay_alu instid0(SALU_CYCLE_1) | instskip(NEXT) | instid1(SALU_CYCLE_1)
	s_or_b32 s0, s0, s26
	s_and_b32 s26, s0, exec_lo
	s_delay_alu instid0(SALU_CYCLE_1)
	s_or_b32 s24, s24, s26
	s_mov_b32 s26, exec_lo
	v_cmpx_eq_u16_e64 v26, v27
	s_cbranch_execz .LBB1361_384
; %bb.386:                              ;   in Loop: Header=BB1361_385 Depth=1
	s_add_nc_u64 s[6:7], s[6:7], -1
	v_add_nc_u64_e32 v[22:23], 2, v[22:23]
	s_cmp_eq_u64 s[6:7], 0
	v_add_nc_u64_e32 v[24:25], 2, v[24:25]
	s_cselect_b32 s25, -1, 0
	s_and_not1_b32 s23, s23, exec_lo
	s_and_b32 s25, s25, exec_lo
	s_and_not1_b32 s24, s24, exec_lo
	s_or_b32 s23, s23, s25
                                        ; implicit-def: $sgpr25
	s_branch .LBB1361_384
.LBB1361_387:
	s_or_b32 exec_lo, exec_lo, s15
	v_dual_cndmask_b32 v5, v5, v21, s22 :: v_dual_cndmask_b32 v4, v4, v20, s22
.LBB1361_388:
	s_delay_alu instid0(VALU_DEP_1)
	v_mov_b64_e32 v[20:21], v[4:5]
.LBB1361_389:
	s_or_b32 exec_lo, exec_lo, s14
	s_delay_alu instid0(VALU_DEP_1)
	v_mov_b64_e32 v[4:5], v[20:21]
.LBB1361_390:
	s_or_b32 exec_lo, exec_lo, s5
.LBB1361_391:
	s_delay_alu instid0(SALU_CYCLE_1)
	s_or_b32 exec_lo, exec_lo, s1
	v_and_b32_e32 v26, 0xc0, v48
	s_mov_b32 s1, exec_lo
	; wave barrier
	ds_store_b128 v49, v[14:17]
	ds_store_b128 v49, v[10:13] offset:16
	v_or_b32_e32 v20, 32, v26
	v_lshl_add_u32 v25, v26, 3, v46
	ds_store_b128 v49, v[6:9] offset:32
	ds_store_b128 v49, v[2:5] offset:48
	; wave barrier
	v_min_u32_e32 v50, v47, v20
	v_and_b32_e32 v20, 56, v48
	s_delay_alu instid0(VALU_DEP_2) | instskip(NEXT) | instid1(VALU_DEP_2)
	v_add_min_u32_e64 v51, v50, 32, v47
	v_min_u32_e32 v27, v47, v20
	v_sub_nc_u32_e32 v21, v50, v26
	s_delay_alu instid0(VALU_DEP_3) | instskip(NEXT) | instid1(VALU_DEP_2)
	v_sub_nc_u32_e32 v20, v51, v50
	v_min_u32_e32 v28, v27, v21
	s_delay_alu instid0(VALU_DEP_2) | instskip(NEXT) | instid1(VALU_DEP_1)
	v_sub_nc_u32_e64 v24, v27, v20 clamp
	v_cmpx_lt_u32_e64 v24, v28
	s_cbranch_execz .LBB1361_401
; %bb.392:
	v_dual_lshlrev_b32 v20, 3, v50 :: v_dual_lshlrev_b32 v21, 3, v27
	s_lshl_b64 s[6:7], s[16:17], 1
	s_mov_b32 s5, 0
	s_delay_alu instid0(VALU_DEP_1)
	v_add3_u32 v29, v46, v20, v21
	s_branch .LBB1361_395
.LBB1361_393:                           ;   in Loop: Header=BB1361_395 Depth=1
	s_or_b32 exec_lo, exec_lo, s23
.LBB1361_394:                           ;   in Loop: Header=BB1361_395 Depth=1
	s_delay_alu instid0(VALU_DEP_1) | instskip(NEXT) | instid1(VALU_DEP_1)
	v_dual_add_nc_u32 v20, 1, v30 :: v_dual_cndmask_b32 v28, v28, v30, s22
	v_cndmask_b32_e64 v24, v20, v24, s22
	s_delay_alu instid0(VALU_DEP_1) | instskip(SKIP_1) | instid1(SALU_CYCLE_1)
	v_cmp_ge_u32_e32 vcc_lo, v24, v28
	s_or_b32 s5, vcc_lo, s5
	s_and_not1_b32 exec_lo, exec_lo, s5
	s_cbranch_execz .LBB1361_400
.LBB1361_395:                           ; =>This Loop Header: Depth=1
                                        ;     Child Loop BB1361_398 Depth 2
	v_add_nc_u32_e32 v20, v28, v24
	v_cmp_ne_u32_e32 vcc_lo, 1, v45
	s_mov_b32 s22, 0
	s_delay_alu instid0(VALU_DEP_2)
	v_lshrrev_b32_e32 v30, 1, v20
	s_cbranch_vccnz .LBB1361_394
; %bb.396:                              ;   in Loop: Header=BB1361_395 Depth=1
	s_delay_alu instid0(VALU_DEP_1) | instskip(SKIP_3) | instid1(VALU_DEP_2)
	v_not_b32_e32 v20, v30
	v_lshl_add_u32 v21, v30, 3, v25
	s_mov_b32 s23, 0
	s_mov_b64 s[14:15], s[16:17]
                                        ; implicit-def: $sgpr22
                                        ; implicit-def: $sgpr24
                                        ; implicit-def: $sgpr25
                                        ; implicit-def: $sgpr26
	v_lshl_add_u32 v20, v20, 3, v29
	ds_load_b64 v[32:33], v20
	ds_load_b64 v[34:35], v21
	s_wait_dscnt 0x1
	v_mad_nc_u64_u32 v[20:21], s6, v32, s[18:19]
	s_wait_dscnt 0x0
	v_mad_nc_u64_u32 v[22:23], s6, v34, s[18:19]
	s_delay_alu instid0(VALU_DEP_2) | instskip(NEXT) | instid1(VALU_DEP_2)
	v_mad_u32 v21, s7, v32, v21
	v_mad_u32 v23, s7, v34, v23
	s_delay_alu instid0(VALU_DEP_2) | instskip(NEXT) | instid1(VALU_DEP_2)
	v_mad_u32 v21, s6, v33, v21
	v_mad_u32 v23, s6, v35, v23
	s_branch .LBB1361_398
.LBB1361_397:                           ;   in Loop: Header=BB1361_398 Depth=2
	s_or_b32 exec_lo, exec_lo, s27
	s_delay_alu instid0(SALU_CYCLE_1) | instskip(NEXT) | instid1(SALU_CYCLE_1)
	s_and_b32 s27, exec_lo, s24
	s_or_b32 s23, s27, s23
	s_and_not1_b32 s26, s26, exec_lo
	s_and_b32 s0, s0, exec_lo
	s_and_not1_b32 s22, s22, exec_lo
	s_and_b32 s27, s25, exec_lo
	s_or_b32 s26, s26, s0
	s_or_b32 s22, s22, s27
	s_and_not1_b32 exec_lo, exec_lo, s23
	s_cbranch_execz .LBB1361_393
.LBB1361_398:                           ;   Parent Loop BB1361_395 Depth=1
                                        ; =>  This Inner Loop Header: Depth=2
	global_load_u16 v31, v[20:21], off
	global_load_u16 v32, v[22:23], off
	s_and_not1_b32 s25, s25, exec_lo
	s_or_b32 s24, s24, exec_lo
	s_wait_loadcnt 0x0
	v_cmp_le_u16_e32 vcc_lo, v31, v32
	v_cmp_lt_u16_e64 s0, v31, v32
	s_and_b32 s27, vcc_lo, s26
	s_delay_alu instid0(SALU_CYCLE_1) | instskip(NEXT) | instid1(SALU_CYCLE_1)
	s_or_b32 s0, s0, s27
	s_and_b32 s27, s0, exec_lo
	s_delay_alu instid0(SALU_CYCLE_1)
	s_or_b32 s25, s25, s27
	s_mov_b32 s27, exec_lo
	v_cmpx_eq_u16_e64 v31, v32
	s_cbranch_execz .LBB1361_397
; %bb.399:                              ;   in Loop: Header=BB1361_398 Depth=2
	s_add_nc_u64 s[14:15], s[14:15], -1
	v_add_nc_u64_e32 v[20:21], 2, v[20:21]
	s_cmp_eq_u64 s[14:15], 0
	v_add_nc_u64_e32 v[22:23], 2, v[22:23]
	s_cselect_b32 s26, -1, 0
	s_and_not1_b32 s24, s24, exec_lo
	s_and_b32 s26, s26, exec_lo
	s_and_not1_b32 s25, s25, exec_lo
	s_or_b32 s24, s24, s26
                                        ; implicit-def: $sgpr26
	s_branch .LBB1361_397
.LBB1361_400:
	s_or_b32 exec_lo, exec_lo, s5
.LBB1361_401:
	s_delay_alu instid0(SALU_CYCLE_1) | instskip(SKIP_1) | instid1(VALU_DEP_1)
	s_or_b32 exec_lo, exec_lo, s1
	v_dual_add_nc_u32 v21, v50, v27 :: v_dual_add_nc_u32 v20, v24, v26
	v_sub_nc_u32_e32 v21, v21, v24
	s_delay_alu instid0(VALU_DEP_2) | instskip(NEXT) | instid1(VALU_DEP_2)
	v_cmp_le_u32_e32 vcc_lo, v20, v50
	v_cmp_le_u32_e64 s0, v21, v51
	s_or_b32 s0, vcc_lo, s0
	s_delay_alu instid0(SALU_CYCLE_1)
	s_and_saveexec_b32 s1, s0
	s_cbranch_execz .LBB1361_492
; %bb.402:
	s_mov_b32 s5, exec_lo
	v_cmp_ge_u32_e32 vcc_lo, v20, v50
                                        ; implicit-def: $vgpr2_vgpr3
	v_cmpx_lt_u32_e64 v20, v50
; %bb.403:
	v_lshl_add_u32 v2, v24, 3, v25
	ds_load_b64 v[2:3], v2
; %bb.404:
	s_or_b32 exec_lo, exec_lo, s5
	v_cmp_ge_u32_e64 s5, v21, v51
	s_mov_b32 s6, exec_lo
                                        ; implicit-def: $vgpr4_vgpr5
	v_cmpx_lt_u32_e64 v21, v51
; %bb.405:
	v_lshl_add_u32 v4, v21, 3, v46
	ds_load_b64 v[4:5], v4
; %bb.406:
	s_or_b32 exec_lo, exec_lo, s6
	s_nor_b32 s0, vcc_lo, s5
	s_delay_alu instid0(SALU_CYCLE_1)
	s_and_saveexec_b32 s14, s0
	s_cbranch_execz .LBB1361_415
; %bb.407:
	v_cmp_ne_u32_e32 vcc_lo, 1, v45
	s_cbranch_vccnz .LBB1361_413
; %bb.408:
	s_wait_dscnt 0x0
	v_mul_u64_e32 v[6:7], s[16:17], v[4:5]
	v_mul_u64_e32 v[8:9], s[16:17], v[2:3]
	s_mov_b32 s15, 0
	s_mov_b64 s[6:7], s[16:17]
                                        ; implicit-def: $sgpr22
                                        ; implicit-def: $sgpr23
                                        ; implicit-def: $sgpr24
                                        ; implicit-def: $sgpr25
	s_delay_alu instid0(VALU_DEP_2) | instskip(NEXT) | instid1(VALU_DEP_2)
	v_lshl_add_u64 v[6:7], v[6:7], 1, s[18:19]
	v_lshl_add_u64 v[8:9], v[8:9], 1, s[18:19]
	s_branch .LBB1361_410
.LBB1361_409:                           ;   in Loop: Header=BB1361_410 Depth=1
	s_or_b32 exec_lo, exec_lo, s26
	s_delay_alu instid0(SALU_CYCLE_1) | instskip(NEXT) | instid1(SALU_CYCLE_1)
	s_and_b32 s26, exec_lo, s23
	s_or_b32 s15, s26, s15
	s_and_not1_b32 s25, s25, exec_lo
	s_and_b32 s0, s0, exec_lo
	s_and_not1_b32 s22, s22, exec_lo
	s_and_b32 s26, s24, exec_lo
	s_or_b32 s25, s25, s0
	s_or_b32 s22, s22, s26
	s_and_not1_b32 exec_lo, exec_lo, s15
	s_cbranch_execz .LBB1361_412
.LBB1361_410:                           ; =>This Inner Loop Header: Depth=1
	global_load_u16 v10, v[6:7], off
	global_load_u16 v11, v[8:9], off
	s_and_not1_b32 s24, s24, exec_lo
	s_or_b32 s23, s23, exec_lo
	s_wait_loadcnt 0x0
	v_cmp_le_u16_e32 vcc_lo, v10, v11
	v_cmp_lt_u16_e64 s0, v10, v11
	s_and_b32 s26, vcc_lo, s25
	s_delay_alu instid0(SALU_CYCLE_1) | instskip(NEXT) | instid1(SALU_CYCLE_1)
	s_or_b32 s0, s0, s26
	s_and_b32 s26, s0, exec_lo
	s_delay_alu instid0(SALU_CYCLE_1)
	s_or_b32 s24, s24, s26
	s_mov_b32 s26, exec_lo
	v_cmpx_eq_u16_e64 v10, v11
	s_cbranch_execz .LBB1361_409
; %bb.411:                              ;   in Loop: Header=BB1361_410 Depth=1
	s_add_nc_u64 s[6:7], s[6:7], -1
	v_add_nc_u64_e32 v[6:7], 2, v[6:7]
	s_cmp_eq_u64 s[6:7], 0
	v_add_nc_u64_e32 v[8:9], 2, v[8:9]
	s_cselect_b32 s25, -1, 0
	s_and_not1_b32 s23, s23, exec_lo
	s_and_b32 s25, s25, exec_lo
	s_and_not1_b32 s24, s24, exec_lo
	s_or_b32 s23, s23, s25
                                        ; implicit-def: $sgpr25
	s_branch .LBB1361_409
.LBB1361_412:
	s_or_b32 exec_lo, exec_lo, s15
	s_xor_b32 s0, s22, -1
	s_branch .LBB1361_414
.LBB1361_413:
	s_mov_b32 s0, -1
.LBB1361_414:
	s_and_not1_b32 s5, s5, exec_lo
	s_and_b32 s0, s0, exec_lo
	s_delay_alu instid0(SALU_CYCLE_1)
	s_or_b32 s5, s5, s0
.LBB1361_415:
	s_or_b32 exec_lo, exec_lo, s14
	v_dual_cndmask_b32 v6, v21, v20, s5 :: v_dual_cndmask_b32 v7, v51, v50, s5
	s_mov_b32 s15, -1
	s_mov_b32 s14, -1
	s_mov_b32 s22, exec_lo
	s_delay_alu instid0(VALU_DEP_1) | instskip(NEXT) | instid1(VALU_DEP_1)
	v_add_nc_u32_e32 v8, 1, v6
	v_add_min_u32_e64 v6, v7, -1, v8
	s_delay_alu instid0(VALU_DEP_1)
	v_lshl_add_u32 v6, v6, 3, v46
	ds_load_b64 v[6:7], v6
	s_wait_dscnt 0x0
	v_cndmask_b32_e64 v15, v7, v5, s5
	v_dual_cndmask_b32 v10, v8, v21, s5 :: v_dual_cndmask_b32 v14, v6, v4, s5
	v_dual_cndmask_b32 v11, v20, v8, s5 :: v_dual_cndmask_b32 v17, v3, v7, s5
	v_cndmask_b32_e64 v16, v2, v6, s5
	s_delay_alu instid0(VALU_DEP_3)
	v_cmpx_lt_u32_e64 v10, v51
	s_cbranch_execz .LBB1361_426
; %bb.416:
	s_mov_b32 s0, 0
	s_mov_b32 s14, exec_lo
	v_cmpx_lt_u32_e64 v11, v50
	s_cbranch_execz .LBB1361_425
; %bb.417:
	v_cmp_ne_u32_e32 vcc_lo, 1, v45
	s_cbranch_vccnz .LBB1361_423
; %bb.418:
	v_mul_u64_e32 v[6:7], s[16:17], v[14:15]
	v_mul_u64_e32 v[8:9], s[16:17], v[16:17]
	s_mov_b32 s23, 0
	s_mov_b64 s[6:7], s[16:17]
                                        ; implicit-def: $sgpr24
                                        ; implicit-def: $sgpr25
                                        ; implicit-def: $sgpr26
                                        ; implicit-def: $sgpr27
	s_delay_alu instid0(VALU_DEP_2) | instskip(NEXT) | instid1(VALU_DEP_2)
	v_lshl_add_u64 v[6:7], v[6:7], 1, s[18:19]
	v_lshl_add_u64 v[8:9], v[8:9], 1, s[18:19]
	s_branch .LBB1361_420
.LBB1361_419:                           ;   in Loop: Header=BB1361_420 Depth=1
	s_or_b32 exec_lo, exec_lo, s28
	s_delay_alu instid0(SALU_CYCLE_1) | instskip(NEXT) | instid1(SALU_CYCLE_1)
	s_and_b32 s28, exec_lo, s25
	s_or_b32 s23, s28, s23
	s_and_not1_b32 s27, s27, exec_lo
	s_and_b32 s0, s0, exec_lo
	s_and_not1_b32 s24, s24, exec_lo
	s_and_b32 s28, s26, exec_lo
	s_or_b32 s27, s27, s0
	s_or_b32 s24, s24, s28
	s_and_not1_b32 exec_lo, exec_lo, s23
	s_cbranch_execz .LBB1361_422
.LBB1361_420:                           ; =>This Inner Loop Header: Depth=1
	global_load_u16 v12, v[6:7], off
	global_load_u16 v13, v[8:9], off
	s_and_not1_b32 s26, s26, exec_lo
	s_or_b32 s25, s25, exec_lo
	s_wait_loadcnt 0x0
	v_cmp_le_u16_e32 vcc_lo, v12, v13
	v_cmp_lt_u16_e64 s0, v12, v13
	s_and_b32 s28, vcc_lo, s27
	s_delay_alu instid0(SALU_CYCLE_1) | instskip(NEXT) | instid1(SALU_CYCLE_1)
	s_or_b32 s0, s0, s28
	s_and_b32 s28, s0, exec_lo
	s_delay_alu instid0(SALU_CYCLE_1)
	s_or_b32 s26, s26, s28
	s_mov_b32 s28, exec_lo
	v_cmpx_eq_u16_e64 v12, v13
	s_cbranch_execz .LBB1361_419
; %bb.421:                              ;   in Loop: Header=BB1361_420 Depth=1
	s_add_nc_u64 s[6:7], s[6:7], -1
	v_add_nc_u64_e32 v[6:7], 2, v[6:7]
	s_cmp_eq_u64 s[6:7], 0
	v_add_nc_u64_e32 v[8:9], 2, v[8:9]
	s_cselect_b32 s27, -1, 0
	s_and_not1_b32 s25, s25, exec_lo
	s_and_b32 s27, s27, exec_lo
	s_and_not1_b32 s26, s26, exec_lo
	s_or_b32 s25, s25, s27
                                        ; implicit-def: $sgpr27
	s_branch .LBB1361_419
.LBB1361_422:
	s_or_b32 exec_lo, exec_lo, s23
	s_xor_b32 s0, s24, -1
	s_branch .LBB1361_424
.LBB1361_423:
	s_mov_b32 s0, -1
.LBB1361_424:
	s_delay_alu instid0(SALU_CYCLE_1)
	s_and_b32 s0, s0, exec_lo
.LBB1361_425:
	s_or_b32 exec_lo, exec_lo, s14
	s_delay_alu instid0(SALU_CYCLE_1)
	s_or_not1_b32 s14, s0, exec_lo
.LBB1361_426:
	s_or_b32 exec_lo, exec_lo, s22
	v_dual_cndmask_b32 v6, v10, v11, s14 :: v_dual_cndmask_b32 v7, v51, v50, s14
	s_mov_b32 s22, exec_lo
	s_delay_alu instid0(VALU_DEP_1) | instskip(NEXT) | instid1(VALU_DEP_1)
	v_add_nc_u32_e32 v8, 1, v6
	v_add_min_u32_e64 v6, v7, -1, v8
	s_delay_alu instid0(VALU_DEP_1)
	v_lshl_add_u32 v6, v6, 3, v46
	ds_load_b64 v[6:7], v6
	v_cndmask_b32_e64 v13, v11, v8, s14
	s_wait_dscnt 0x0
	v_dual_cndmask_b32 v11, v7, v15, s14 :: v_dual_cndmask_b32 v12, v8, v10, s14
	v_dual_cndmask_b32 v21, v17, v7, s14 :: v_dual_cndmask_b32 v10, v6, v14, s14
	v_cndmask_b32_e64 v20, v16, v6, s14
	s_delay_alu instid0(VALU_DEP_3)
	v_cmpx_lt_u32_e64 v12, v51
	s_cbranch_execz .LBB1361_437
; %bb.427:
	s_mov_b32 s0, 0
	s_mov_b32 s15, exec_lo
	v_cmpx_lt_u32_e64 v13, v50
	s_cbranch_execz .LBB1361_436
; %bb.428:
	v_cmp_ne_u32_e32 vcc_lo, 1, v45
	s_cbranch_vccnz .LBB1361_434
; %bb.429:
	v_mul_u64_e32 v[6:7], s[16:17], v[10:11]
	v_mul_u64_e32 v[8:9], s[16:17], v[20:21]
	s_mov_b32 s23, 0
	s_mov_b64 s[6:7], s[16:17]
                                        ; implicit-def: $sgpr24
                                        ; implicit-def: $sgpr25
                                        ; implicit-def: $sgpr26
                                        ; implicit-def: $sgpr27
	s_delay_alu instid0(VALU_DEP_2) | instskip(NEXT) | instid1(VALU_DEP_2)
	v_lshl_add_u64 v[6:7], v[6:7], 1, s[18:19]
	v_lshl_add_u64 v[8:9], v[8:9], 1, s[18:19]
	s_branch .LBB1361_431
.LBB1361_430:                           ;   in Loop: Header=BB1361_431 Depth=1
	s_or_b32 exec_lo, exec_lo, s28
	s_delay_alu instid0(SALU_CYCLE_1) | instskip(NEXT) | instid1(SALU_CYCLE_1)
	s_and_b32 s28, exec_lo, s25
	s_or_b32 s23, s28, s23
	s_and_not1_b32 s27, s27, exec_lo
	s_and_b32 s0, s0, exec_lo
	s_and_not1_b32 s24, s24, exec_lo
	s_and_b32 s28, s26, exec_lo
	s_or_b32 s27, s27, s0
	s_or_b32 s24, s24, s28
	s_and_not1_b32 exec_lo, exec_lo, s23
	s_cbranch_execz .LBB1361_433
.LBB1361_431:                           ; =>This Inner Loop Header: Depth=1
	global_load_u16 v22, v[6:7], off
	global_load_u16 v23, v[8:9], off
	s_and_not1_b32 s26, s26, exec_lo
	s_or_b32 s25, s25, exec_lo
	s_wait_loadcnt 0x0
	v_cmp_le_u16_e32 vcc_lo, v22, v23
	v_cmp_lt_u16_e64 s0, v22, v23
	s_and_b32 s28, vcc_lo, s27
	s_delay_alu instid0(SALU_CYCLE_1) | instskip(NEXT) | instid1(SALU_CYCLE_1)
	s_or_b32 s0, s0, s28
	s_and_b32 s28, s0, exec_lo
	s_delay_alu instid0(SALU_CYCLE_1)
	s_or_b32 s26, s26, s28
	s_mov_b32 s28, exec_lo
	v_cmpx_eq_u16_e64 v22, v23
	s_cbranch_execz .LBB1361_430
; %bb.432:                              ;   in Loop: Header=BB1361_431 Depth=1
	s_add_nc_u64 s[6:7], s[6:7], -1
	v_add_nc_u64_e32 v[6:7], 2, v[6:7]
	s_cmp_eq_u64 s[6:7], 0
	v_add_nc_u64_e32 v[8:9], 2, v[8:9]
	s_cselect_b32 s27, -1, 0
	s_and_not1_b32 s25, s25, exec_lo
	s_and_b32 s27, s27, exec_lo
	s_and_not1_b32 s26, s26, exec_lo
	s_or_b32 s25, s25, s27
                                        ; implicit-def: $sgpr27
	s_branch .LBB1361_430
.LBB1361_433:
	s_or_b32 exec_lo, exec_lo, s23
	s_xor_b32 s0, s24, -1
	s_branch .LBB1361_435
.LBB1361_434:
	s_mov_b32 s0, -1
.LBB1361_435:
	s_delay_alu instid0(SALU_CYCLE_1)
	s_and_b32 s0, s0, exec_lo
.LBB1361_436:
	s_or_b32 exec_lo, exec_lo, s15
	s_delay_alu instid0(SALU_CYCLE_1)
	s_or_not1_b32 s15, s0, exec_lo
.LBB1361_437:
	s_or_b32 exec_lo, exec_lo, s22
	v_dual_cndmask_b32 v6, v12, v13, s15 :: v_dual_cndmask_b32 v7, v51, v50, s15
	s_mov_b32 s23, -1
	s_mov_b32 s22, -1
	s_mov_b32 s24, exec_lo
	s_delay_alu instid0(VALU_DEP_1) | instskip(NEXT) | instid1(VALU_DEP_1)
	v_add_nc_u32_e32 v8, 1, v6
	v_add_min_u32_e64 v6, v7, -1, v8
	s_delay_alu instid0(VALU_DEP_1)
	v_lshl_add_u32 v6, v6, 3, v46
	ds_load_b64 v[6:7], v6
	s_wait_dscnt 0x0
	v_dual_cndmask_b32 v25, v13, v8, s15 :: v_dual_cndmask_b32 v22, v20, v6, s15
	v_dual_cndmask_b32 v13, v7, v11, s15 :: v_dual_cndmask_b32 v24, v8, v12, s15
	;; [unrolled: 1-line block ×3, first 2 shown]
	s_delay_alu instid0(VALU_DEP_2)
	v_cmpx_lt_u32_e64 v24, v51
	s_cbranch_execz .LBB1361_448
; %bb.438:
	s_mov_b32 s0, 0
	s_mov_b32 s22, exec_lo
	v_cmpx_lt_u32_e64 v25, v50
	s_cbranch_execz .LBB1361_447
; %bb.439:
	v_cmp_ne_u32_e32 vcc_lo, 1, v45
	s_cbranch_vccnz .LBB1361_445
; %bb.440:
	v_mul_u64_e32 v[6:7], s[16:17], v[12:13]
	v_mul_u64_e32 v[8:9], s[16:17], v[22:23]
	s_mov_b32 s25, 0
	s_mov_b64 s[6:7], s[16:17]
                                        ; implicit-def: $sgpr26
                                        ; implicit-def: $sgpr27
                                        ; implicit-def: $sgpr28
                                        ; implicit-def: $sgpr29
	s_delay_alu instid0(VALU_DEP_2) | instskip(NEXT) | instid1(VALU_DEP_2)
	v_lshl_add_u64 v[6:7], v[6:7], 1, s[18:19]
	v_lshl_add_u64 v[8:9], v[8:9], 1, s[18:19]
	s_branch .LBB1361_442
.LBB1361_441:                           ;   in Loop: Header=BB1361_442 Depth=1
	s_or_b32 exec_lo, exec_lo, s30
	s_delay_alu instid0(SALU_CYCLE_1) | instskip(NEXT) | instid1(SALU_CYCLE_1)
	s_and_b32 s30, exec_lo, s27
	s_or_b32 s25, s30, s25
	s_and_not1_b32 s29, s29, exec_lo
	s_and_b32 s0, s0, exec_lo
	s_and_not1_b32 s26, s26, exec_lo
	s_and_b32 s30, s28, exec_lo
	s_or_b32 s29, s29, s0
	s_or_b32 s26, s26, s30
	s_and_not1_b32 exec_lo, exec_lo, s25
	s_cbranch_execz .LBB1361_444
.LBB1361_442:                           ; =>This Inner Loop Header: Depth=1
	global_load_u16 v26, v[6:7], off
	global_load_u16 v27, v[8:9], off
	s_and_not1_b32 s28, s28, exec_lo
	s_or_b32 s27, s27, exec_lo
	s_wait_loadcnt 0x0
	v_cmp_le_u16_e32 vcc_lo, v26, v27
	v_cmp_lt_u16_e64 s0, v26, v27
	s_and_b32 s30, vcc_lo, s29
	s_delay_alu instid0(SALU_CYCLE_1) | instskip(NEXT) | instid1(SALU_CYCLE_1)
	s_or_b32 s0, s0, s30
	s_and_b32 s30, s0, exec_lo
	s_delay_alu instid0(SALU_CYCLE_1)
	s_or_b32 s28, s28, s30
	s_mov_b32 s30, exec_lo
	v_cmpx_eq_u16_e64 v26, v27
	s_cbranch_execz .LBB1361_441
; %bb.443:                              ;   in Loop: Header=BB1361_442 Depth=1
	s_add_nc_u64 s[6:7], s[6:7], -1
	v_add_nc_u64_e32 v[6:7], 2, v[6:7]
	s_cmp_eq_u64 s[6:7], 0
	v_add_nc_u64_e32 v[8:9], 2, v[8:9]
	s_cselect_b32 s29, -1, 0
	s_and_not1_b32 s27, s27, exec_lo
	s_and_b32 s29, s29, exec_lo
	s_and_not1_b32 s28, s28, exec_lo
	s_or_b32 s27, s27, s29
                                        ; implicit-def: $sgpr29
	s_branch .LBB1361_441
.LBB1361_444:
	s_or_b32 exec_lo, exec_lo, s25
	s_xor_b32 s0, s26, -1
	s_branch .LBB1361_446
.LBB1361_445:
	s_mov_b32 s0, -1
.LBB1361_446:
	s_delay_alu instid0(SALU_CYCLE_1)
	s_and_b32 s0, s0, exec_lo
.LBB1361_447:
	s_or_b32 exec_lo, exec_lo, s22
	s_delay_alu instid0(SALU_CYCLE_1)
	s_or_not1_b32 s22, s0, exec_lo
.LBB1361_448:
	s_or_b32 exec_lo, exec_lo, s24
	v_dual_cndmask_b32 v6, v24, v25, s22 :: v_dual_cndmask_b32 v7, v51, v50, s22
	s_mov_b32 s24, exec_lo
	s_delay_alu instid0(VALU_DEP_1) | instskip(NEXT) | instid1(VALU_DEP_1)
	v_add_nc_u32_e32 v6, 1, v6
	v_add_min_u32_e64 v7, v7, -1, v6
	s_delay_alu instid0(VALU_DEP_1)
	v_lshl_add_u32 v7, v7, 3, v46
	ds_load_b64 v[8:9], v7
	s_wait_dscnt 0x0
	v_dual_cndmask_b32 v7, v9, v13, s22 :: v_dual_cndmask_b32 v28, v6, v24, s22
	v_dual_cndmask_b32 v29, v25, v6, s22 :: v_dual_cndmask_b32 v6, v8, v12, s22
	;; [unrolled: 1-line block ×3, first 2 shown]
	s_delay_alu instid0(VALU_DEP_3)
	v_cmpx_lt_u32_e64 v28, v51
	s_cbranch_execz .LBB1361_459
; %bb.449:
	s_mov_b32 s0, 0
	s_mov_b32 s23, exec_lo
	v_cmpx_lt_u32_e64 v29, v50
	s_cbranch_execz .LBB1361_458
; %bb.450:
	v_cmp_ne_u32_e32 vcc_lo, 1, v45
	s_cbranch_vccnz .LBB1361_456
; %bb.451:
	v_mul_u64_e32 v[8:9], s[16:17], v[6:7]
	v_mul_u64_e32 v[26:27], s[16:17], v[24:25]
	s_mov_b32 s25, 0
	s_mov_b64 s[6:7], s[16:17]
                                        ; implicit-def: $sgpr26
                                        ; implicit-def: $sgpr27
                                        ; implicit-def: $sgpr28
                                        ; implicit-def: $sgpr29
	s_delay_alu instid0(VALU_DEP_2) | instskip(NEXT) | instid1(VALU_DEP_2)
	v_lshl_add_u64 v[8:9], v[8:9], 1, s[18:19]
	v_lshl_add_u64 v[26:27], v[26:27], 1, s[18:19]
	s_branch .LBB1361_453
.LBB1361_452:                           ;   in Loop: Header=BB1361_453 Depth=1
	s_or_b32 exec_lo, exec_lo, s30
	s_delay_alu instid0(SALU_CYCLE_1) | instskip(NEXT) | instid1(SALU_CYCLE_1)
	s_and_b32 s30, exec_lo, s27
	s_or_b32 s25, s30, s25
	s_and_not1_b32 s29, s29, exec_lo
	s_and_b32 s0, s0, exec_lo
	s_and_not1_b32 s26, s26, exec_lo
	s_and_b32 s30, s28, exec_lo
	s_or_b32 s29, s29, s0
	s_or_b32 s26, s26, s30
	s_and_not1_b32 exec_lo, exec_lo, s25
	s_cbranch_execz .LBB1361_455
.LBB1361_453:                           ; =>This Inner Loop Header: Depth=1
	global_load_u16 v30, v[8:9], off
	global_load_u16 v31, v[26:27], off
	s_and_not1_b32 s28, s28, exec_lo
	s_or_b32 s27, s27, exec_lo
	s_wait_loadcnt 0x0
	v_cmp_le_u16_e32 vcc_lo, v30, v31
	v_cmp_lt_u16_e64 s0, v30, v31
	s_and_b32 s30, vcc_lo, s29
	s_delay_alu instid0(SALU_CYCLE_1) | instskip(NEXT) | instid1(SALU_CYCLE_1)
	s_or_b32 s0, s0, s30
	s_and_b32 s30, s0, exec_lo
	s_delay_alu instid0(SALU_CYCLE_1)
	s_or_b32 s28, s28, s30
	s_mov_b32 s30, exec_lo
	v_cmpx_eq_u16_e64 v30, v31
	s_cbranch_execz .LBB1361_452
; %bb.454:                              ;   in Loop: Header=BB1361_453 Depth=1
	s_add_nc_u64 s[6:7], s[6:7], -1
	v_add_nc_u64_e32 v[8:9], 2, v[8:9]
	s_cmp_eq_u64 s[6:7], 0
	v_add_nc_u64_e32 v[26:27], 2, v[26:27]
	s_cselect_b32 s29, -1, 0
	s_and_not1_b32 s27, s27, exec_lo
	s_and_b32 s29, s29, exec_lo
	s_and_not1_b32 s28, s28, exec_lo
	s_or_b32 s27, s27, s29
                                        ; implicit-def: $sgpr29
	s_branch .LBB1361_452
.LBB1361_455:
	s_or_b32 exec_lo, exec_lo, s25
	s_xor_b32 s0, s26, -1
	s_branch .LBB1361_457
.LBB1361_456:
	s_mov_b32 s0, -1
.LBB1361_457:
	s_delay_alu instid0(SALU_CYCLE_1)
	s_and_b32 s0, s0, exec_lo
.LBB1361_458:
	s_or_b32 exec_lo, exec_lo, s23
	s_delay_alu instid0(SALU_CYCLE_1)
	s_or_not1_b32 s23, s0, exec_lo
.LBB1361_459:
	s_or_b32 exec_lo, exec_lo, s24
	v_dual_cndmask_b32 v8, v28, v29, s23 :: v_dual_cndmask_b32 v9, v51, v50, s23
	s_mov_b32 s24, -1
	s_mov_b32 s25, -1
	s_mov_b32 s26, exec_lo
	s_delay_alu instid0(VALU_DEP_1) | instskip(NEXT) | instid1(VALU_DEP_1)
	v_add_nc_u32_e32 v8, 1, v8
	v_add_min_u32_e64 v9, v9, -1, v8
	s_delay_alu instid0(VALU_DEP_1)
	v_lshl_add_u32 v9, v9, 3, v46
	ds_load_b64 v[26:27], v9
	s_wait_dscnt 0x0
	v_dual_cndmask_b32 v9, v27, v7, s23 :: v_dual_cndmask_b32 v32, v8, v28, s23
	v_dual_cndmask_b32 v33, v29, v8, s23 :: v_dual_cndmask_b32 v8, v26, v6, s23
	;; [unrolled: 1-line block ×3, first 2 shown]
	s_delay_alu instid0(VALU_DEP_3)
	v_cmpx_lt_u32_e64 v32, v51
	s_cbranch_execz .LBB1361_470
; %bb.460:
	s_mov_b32 s0, 0
	s_mov_b32 s25, exec_lo
	v_cmpx_lt_u32_e64 v33, v50
	s_cbranch_execz .LBB1361_469
; %bb.461:
	v_cmp_ne_u32_e32 vcc_lo, 1, v45
	s_cbranch_vccnz .LBB1361_467
; %bb.462:
	v_mul_u64_e32 v[28:29], s[16:17], v[8:9]
	v_mul_u64_e32 v[30:31], s[16:17], v[26:27]
	s_mov_b32 s27, 0
	s_mov_b64 s[6:7], s[16:17]
                                        ; implicit-def: $sgpr28
                                        ; implicit-def: $sgpr29
                                        ; implicit-def: $sgpr30
                                        ; implicit-def: $sgpr31
	s_delay_alu instid0(VALU_DEP_2) | instskip(NEXT) | instid1(VALU_DEP_2)
	v_lshl_add_u64 v[28:29], v[28:29], 1, s[18:19]
	v_lshl_add_u64 v[30:31], v[30:31], 1, s[18:19]
	s_branch .LBB1361_464
.LBB1361_463:                           ;   in Loop: Header=BB1361_464 Depth=1
	s_or_b32 exec_lo, exec_lo, s33
	s_delay_alu instid0(SALU_CYCLE_1) | instskip(NEXT) | instid1(SALU_CYCLE_1)
	s_and_b32 s33, exec_lo, s29
	s_or_b32 s27, s33, s27
	s_and_not1_b32 s31, s31, exec_lo
	s_and_b32 s0, s0, exec_lo
	s_and_not1_b32 s28, s28, exec_lo
	s_and_b32 s33, s30, exec_lo
	s_or_b32 s31, s31, s0
	s_or_b32 s28, s28, s33
	s_and_not1_b32 exec_lo, exec_lo, s27
	s_cbranch_execz .LBB1361_466
.LBB1361_464:                           ; =>This Inner Loop Header: Depth=1
	global_load_u16 v34, v[28:29], off
	global_load_u16 v35, v[30:31], off
	s_and_not1_b32 s30, s30, exec_lo
	s_or_b32 s29, s29, exec_lo
	s_wait_loadcnt 0x0
	v_cmp_le_u16_e32 vcc_lo, v34, v35
	v_cmp_lt_u16_e64 s0, v34, v35
	s_and_b32 s33, vcc_lo, s31
	s_delay_alu instid0(SALU_CYCLE_1) | instskip(NEXT) | instid1(SALU_CYCLE_1)
	s_or_b32 s0, s0, s33
	s_and_b32 s33, s0, exec_lo
	s_delay_alu instid0(SALU_CYCLE_1)
	s_or_b32 s30, s30, s33
	s_mov_b32 s33, exec_lo
	v_cmpx_eq_u16_e64 v34, v35
	s_cbranch_execz .LBB1361_463
; %bb.465:                              ;   in Loop: Header=BB1361_464 Depth=1
	s_add_nc_u64 s[6:7], s[6:7], -1
	v_add_nc_u64_e32 v[28:29], 2, v[28:29]
	s_cmp_eq_u64 s[6:7], 0
	v_add_nc_u64_e32 v[30:31], 2, v[30:31]
	s_cselect_b32 s31, -1, 0
	s_and_not1_b32 s29, s29, exec_lo
	s_and_b32 s31, s31, exec_lo
	s_and_not1_b32 s30, s30, exec_lo
	s_or_b32 s29, s29, s31
                                        ; implicit-def: $sgpr31
	s_branch .LBB1361_463
.LBB1361_466:
	s_or_b32 exec_lo, exec_lo, s27
	s_xor_b32 s0, s28, -1
	s_branch .LBB1361_468
.LBB1361_467:
	s_mov_b32 s0, -1
.LBB1361_468:
	s_delay_alu instid0(SALU_CYCLE_1)
	s_and_b32 s0, s0, exec_lo
.LBB1361_469:
	s_or_b32 exec_lo, exec_lo, s25
	s_delay_alu instid0(SALU_CYCLE_1)
	s_or_not1_b32 s25, s0, exec_lo
.LBB1361_470:
	s_or_b32 exec_lo, exec_lo, s26
	v_dual_cndmask_b32 v28, v32, v33, s25 :: v_dual_cndmask_b32 v29, v51, v50, s25
	s_mov_b32 s26, exec_lo
	s_delay_alu instid0(VALU_DEP_1) | instskip(NEXT) | instid1(VALU_DEP_1)
	v_add_nc_u32_e32 v28, 1, v28
	v_add_min_u32_e64 v29, v29, -1, v28
	s_delay_alu instid0(VALU_DEP_1)
	v_lshl_add_u32 v29, v29, 3, v46
	ds_load_b64 v[30:31], v29
	s_wait_dscnt 0x0
	v_dual_cndmask_b32 v29, v31, v9, s25 :: v_dual_cndmask_b32 v53, v28, v32, s25
	v_dual_cndmask_b32 v31, v27, v31, s25 :: v_dual_cndmask_b32 v52, v33, v28, s25
	v_cndmask_b32_e64 v28, v30, v8, s25
	v_cndmask_b32_e64 v30, v26, v30, s25
	s_delay_alu instid0(VALU_DEP_4)
	v_cmpx_lt_u32_e64 v53, v51
	s_cbranch_execz .LBB1361_481
; %bb.471:
	s_mov_b32 s0, 0
	s_mov_b32 s24, exec_lo
	v_cmpx_lt_u32_e64 v52, v50
	s_cbranch_execz .LBB1361_480
; %bb.472:
	v_cmp_ne_u32_e32 vcc_lo, 1, v45
	s_cbranch_vccnz .LBB1361_478
; %bb.473:
	v_mul_u64_e32 v[32:33], s[16:17], v[28:29]
	v_mul_u64_e32 v[34:35], s[16:17], v[30:31]
	s_mov_b32 s27, 0
	s_mov_b64 s[6:7], s[16:17]
                                        ; implicit-def: $sgpr28
                                        ; implicit-def: $sgpr29
                                        ; implicit-def: $sgpr30
                                        ; implicit-def: $sgpr31
	s_delay_alu instid0(VALU_DEP_2) | instskip(NEXT) | instid1(VALU_DEP_2)
	v_lshl_add_u64 v[32:33], v[32:33], 1, s[18:19]
	v_lshl_add_u64 v[34:35], v[34:35], 1, s[18:19]
	s_branch .LBB1361_475
.LBB1361_474:                           ;   in Loop: Header=BB1361_475 Depth=1
	s_or_b32 exec_lo, exec_lo, s33
	s_delay_alu instid0(SALU_CYCLE_1) | instskip(NEXT) | instid1(SALU_CYCLE_1)
	s_and_b32 s33, exec_lo, s29
	s_or_b32 s27, s33, s27
	s_and_not1_b32 s31, s31, exec_lo
	s_and_b32 s0, s0, exec_lo
	s_and_not1_b32 s28, s28, exec_lo
	s_and_b32 s33, s30, exec_lo
	s_or_b32 s31, s31, s0
	s_or_b32 s28, s28, s33
	s_and_not1_b32 exec_lo, exec_lo, s27
	s_cbranch_execz .LBB1361_477
.LBB1361_475:                           ; =>This Inner Loop Header: Depth=1
	global_load_u16 v54, v[32:33], off
	global_load_u16 v55, v[34:35], off
	s_and_not1_b32 s30, s30, exec_lo
	s_or_b32 s29, s29, exec_lo
	s_wait_loadcnt 0x0
	v_cmp_le_u16_e32 vcc_lo, v54, v55
	v_cmp_lt_u16_e64 s0, v54, v55
	s_and_b32 s33, vcc_lo, s31
	s_delay_alu instid0(SALU_CYCLE_1) | instskip(NEXT) | instid1(SALU_CYCLE_1)
	s_or_b32 s0, s0, s33
	s_and_b32 s33, s0, exec_lo
	s_delay_alu instid0(SALU_CYCLE_1)
	s_or_b32 s30, s30, s33
	s_mov_b32 s33, exec_lo
	v_cmpx_eq_u16_e64 v54, v55
	s_cbranch_execz .LBB1361_474
; %bb.476:                              ;   in Loop: Header=BB1361_475 Depth=1
	s_add_nc_u64 s[6:7], s[6:7], -1
	v_add_nc_u64_e32 v[32:33], 2, v[32:33]
	s_cmp_eq_u64 s[6:7], 0
	v_add_nc_u64_e32 v[34:35], 2, v[34:35]
	s_cselect_b32 s31, -1, 0
	s_and_not1_b32 s29, s29, exec_lo
	s_and_b32 s31, s31, exec_lo
	s_and_not1_b32 s30, s30, exec_lo
	s_or_b32 s29, s29, s31
                                        ; implicit-def: $sgpr31
	s_branch .LBB1361_474
.LBB1361_477:
	s_or_b32 exec_lo, exec_lo, s27
	s_xor_b32 s0, s28, -1
	s_branch .LBB1361_479
.LBB1361_478:
	s_mov_b32 s0, -1
.LBB1361_479:
	s_delay_alu instid0(SALU_CYCLE_1)
	s_and_b32 s0, s0, exec_lo
.LBB1361_480:
	s_or_b32 exec_lo, exec_lo, s24
	s_delay_alu instid0(SALU_CYCLE_1)
	s_or_not1_b32 s24, s0, exec_lo
.LBB1361_481:
	s_or_b32 exec_lo, exec_lo, s26
	v_dual_cndmask_b32 v32, v53, v52, s24 :: v_dual_cndmask_b32 v33, v51, v50, s24
	v_dual_cndmask_b32 v8, v8, v26, s25 :: v_dual_cndmask_b32 v7, v7, v25, s23
	;; [unrolled: 1-line block ×3, first 2 shown]
	s_delay_alu instid0(VALU_DEP_3) | instskip(SKIP_2) | instid1(VALU_DEP_3)
	v_dual_add_nc_u32 v34, 1, v32 :: v_dual_cndmask_b32 v9, v9, v27, s25
	v_dual_cndmask_b32 v12, v12, v22, s22 :: v_dual_cndmask_b32 v11, v11, v21, s15
	v_dual_cndmask_b32 v10, v10, v20, s15 :: v_dual_cndmask_b32 v17, v15, v17, s14
	v_add_min_u32_e64 v32, v33, -1, v34
	v_dual_cndmask_b32 v16, v14, v16, s14 :: v_dual_cndmask_b32 v15, v5, v3, s5
	v_dual_cndmask_b32 v14, v4, v2, s5 :: v_dual_cndmask_b32 v20, v34, v53, s24
	s_delay_alu instid0(VALU_DEP_3)
	v_lshl_add_u32 v32, v32, 3, v46
	v_dual_cndmask_b32 v3, v29, v31, s24 :: v_dual_cndmask_b32 v2, v28, v30, s24
	s_mov_b32 s5, exec_lo
	ds_load_b64 v[32:33], v32
	s_wait_dscnt 0x0
	v_dual_cndmask_b32 v5, v31, v33, s24 :: v_dual_cndmask_b32 v4, v30, v32, s24
	v_cmpx_lt_u32_e64 v20, v51
	s_cbranch_execz .LBB1361_491
; %bb.482:
	v_dual_cndmask_b32 v22, v52, v34, s24 :: v_dual_cndmask_b32 v21, v33, v29, s24
	v_cndmask_b32_e64 v20, v32, v28, s24
	s_mov_b32 s14, exec_lo
	s_delay_alu instid0(VALU_DEP_2)
	v_cmpx_lt_u32_e64 v22, v50
	s_cbranch_execz .LBB1361_490
; %bb.483:
	v_cmp_ne_u32_e32 vcc_lo, 1, v45
	s_cbranch_vccnz .LBB1361_489
; %bb.484:
	v_mul_u64_e32 v[22:23], s[16:17], v[20:21]
	v_mul_u64_e32 v[24:25], s[16:17], v[4:5]
	s_mov_b32 s15, 0
	s_mov_b64 s[6:7], s[16:17]
                                        ; implicit-def: $sgpr22
                                        ; implicit-def: $sgpr23
                                        ; implicit-def: $sgpr24
                                        ; implicit-def: $sgpr25
	s_delay_alu instid0(VALU_DEP_2) | instskip(NEXT) | instid1(VALU_DEP_2)
	v_lshl_add_u64 v[22:23], v[22:23], 1, s[18:19]
	v_lshl_add_u64 v[24:25], v[24:25], 1, s[18:19]
	s_branch .LBB1361_486
.LBB1361_485:                           ;   in Loop: Header=BB1361_486 Depth=1
	s_or_b32 exec_lo, exec_lo, s26
	s_delay_alu instid0(SALU_CYCLE_1) | instskip(NEXT) | instid1(SALU_CYCLE_1)
	s_and_b32 s26, exec_lo, s23
	s_or_b32 s15, s26, s15
	s_and_not1_b32 s25, s25, exec_lo
	s_and_b32 s0, s0, exec_lo
	s_and_not1_b32 s22, s22, exec_lo
	s_and_b32 s26, s24, exec_lo
	s_or_b32 s25, s25, s0
	s_or_b32 s22, s22, s26
	s_and_not1_b32 exec_lo, exec_lo, s15
	s_cbranch_execz .LBB1361_488
.LBB1361_486:                           ; =>This Inner Loop Header: Depth=1
	global_load_u16 v26, v[22:23], off
	global_load_u16 v27, v[24:25], off
	s_and_not1_b32 s24, s24, exec_lo
	s_or_b32 s23, s23, exec_lo
	s_wait_loadcnt 0x0
	v_cmp_le_u16_e32 vcc_lo, v26, v27
	v_cmp_lt_u16_e64 s0, v26, v27
	s_and_b32 s26, vcc_lo, s25
	s_delay_alu instid0(SALU_CYCLE_1) | instskip(NEXT) | instid1(SALU_CYCLE_1)
	s_or_b32 s0, s0, s26
	s_and_b32 s26, s0, exec_lo
	s_delay_alu instid0(SALU_CYCLE_1)
	s_or_b32 s24, s24, s26
	s_mov_b32 s26, exec_lo
	v_cmpx_eq_u16_e64 v26, v27
	s_cbranch_execz .LBB1361_485
; %bb.487:                              ;   in Loop: Header=BB1361_486 Depth=1
	s_add_nc_u64 s[6:7], s[6:7], -1
	v_add_nc_u64_e32 v[22:23], 2, v[22:23]
	s_cmp_eq_u64 s[6:7], 0
	v_add_nc_u64_e32 v[24:25], 2, v[24:25]
	s_cselect_b32 s25, -1, 0
	s_and_not1_b32 s23, s23, exec_lo
	s_and_b32 s25, s25, exec_lo
	s_and_not1_b32 s24, s24, exec_lo
	s_or_b32 s23, s23, s25
                                        ; implicit-def: $sgpr25
	s_branch .LBB1361_485
.LBB1361_488:
	s_or_b32 exec_lo, exec_lo, s15
	v_dual_cndmask_b32 v5, v5, v21, s22 :: v_dual_cndmask_b32 v4, v4, v20, s22
.LBB1361_489:
	s_delay_alu instid0(VALU_DEP_1)
	v_mov_b64_e32 v[20:21], v[4:5]
.LBB1361_490:
	s_or_b32 exec_lo, exec_lo, s14
	s_delay_alu instid0(VALU_DEP_1)
	v_mov_b64_e32 v[4:5], v[20:21]
.LBB1361_491:
	s_or_b32 exec_lo, exec_lo, s5
.LBB1361_492:
	s_delay_alu instid0(SALU_CYCLE_1)
	s_or_b32 exec_lo, exec_lo, s1
	v_and_b32_e32 v26, 0x80, v48
	s_mov_b32 s1, exec_lo
	; wave barrier
	ds_store_b128 v49, v[14:17]
	ds_store_b128 v49, v[10:13] offset:16
	v_or_b32_e32 v20, 64, v26
	v_lshl_add_u32 v25, v26, 3, v46
	ds_store_b128 v49, v[6:9] offset:32
	ds_store_b128 v49, v[2:5] offset:48
	; wave barrier
	v_min_u32_e32 v50, v47, v20
	v_and_b32_e32 v20, 0x78, v48
	s_delay_alu instid0(VALU_DEP_2) | instskip(NEXT) | instid1(VALU_DEP_2)
	v_add_min_u32_e64 v48, v50, 64, v47
	v_min_u32_e32 v27, v47, v20
	v_sub_nc_u32_e32 v21, v50, v26
	s_delay_alu instid0(VALU_DEP_3) | instskip(NEXT) | instid1(VALU_DEP_2)
	v_sub_nc_u32_e32 v20, v48, v50
	v_min_u32_e32 v28, v27, v21
	s_delay_alu instid0(VALU_DEP_2) | instskip(NEXT) | instid1(VALU_DEP_1)
	v_sub_nc_u32_e64 v24, v27, v20 clamp
	v_cmpx_lt_u32_e64 v24, v28
	s_cbranch_execz .LBB1361_502
; %bb.493:
	v_dual_lshlrev_b32 v20, 3, v50 :: v_dual_lshlrev_b32 v21, 3, v27
	s_lshl_b64 s[6:7], s[16:17], 1
	s_mov_b32 s5, 0
	s_delay_alu instid0(VALU_DEP_1)
	v_add3_u32 v29, v46, v20, v21
	s_branch .LBB1361_496
.LBB1361_494:                           ;   in Loop: Header=BB1361_496 Depth=1
	s_or_b32 exec_lo, exec_lo, s23
.LBB1361_495:                           ;   in Loop: Header=BB1361_496 Depth=1
	s_delay_alu instid0(VALU_DEP_1) | instskip(NEXT) | instid1(VALU_DEP_1)
	v_dual_add_nc_u32 v20, 1, v30 :: v_dual_cndmask_b32 v28, v28, v30, s22
	v_cndmask_b32_e64 v24, v20, v24, s22
	s_delay_alu instid0(VALU_DEP_1) | instskip(SKIP_1) | instid1(SALU_CYCLE_1)
	v_cmp_ge_u32_e32 vcc_lo, v24, v28
	s_or_b32 s5, vcc_lo, s5
	s_and_not1_b32 exec_lo, exec_lo, s5
	s_cbranch_execz .LBB1361_501
.LBB1361_496:                           ; =>This Loop Header: Depth=1
                                        ;     Child Loop BB1361_499 Depth 2
	v_add_nc_u32_e32 v20, v28, v24
	v_cmp_ne_u32_e32 vcc_lo, 1, v45
	s_mov_b32 s22, 0
	s_delay_alu instid0(VALU_DEP_2)
	v_lshrrev_b32_e32 v30, 1, v20
	s_cbranch_vccnz .LBB1361_495
; %bb.497:                              ;   in Loop: Header=BB1361_496 Depth=1
	s_delay_alu instid0(VALU_DEP_1) | instskip(SKIP_3) | instid1(VALU_DEP_2)
	v_not_b32_e32 v20, v30
	v_lshl_add_u32 v21, v30, 3, v25
	s_mov_b32 s23, 0
	s_mov_b64 s[14:15], s[16:17]
                                        ; implicit-def: $sgpr22
                                        ; implicit-def: $sgpr24
                                        ; implicit-def: $sgpr25
                                        ; implicit-def: $sgpr26
	v_lshl_add_u32 v20, v20, 3, v29
	ds_load_b64 v[32:33], v20
	ds_load_b64 v[34:35], v21
	s_wait_dscnt 0x1
	v_mad_nc_u64_u32 v[20:21], s6, v32, s[18:19]
	s_wait_dscnt 0x0
	v_mad_nc_u64_u32 v[22:23], s6, v34, s[18:19]
	s_delay_alu instid0(VALU_DEP_2) | instskip(NEXT) | instid1(VALU_DEP_2)
	v_mad_u32 v21, s7, v32, v21
	v_mad_u32 v23, s7, v34, v23
	s_delay_alu instid0(VALU_DEP_2) | instskip(NEXT) | instid1(VALU_DEP_2)
	v_mad_u32 v21, s6, v33, v21
	v_mad_u32 v23, s6, v35, v23
	s_branch .LBB1361_499
.LBB1361_498:                           ;   in Loop: Header=BB1361_499 Depth=2
	s_or_b32 exec_lo, exec_lo, s27
	s_delay_alu instid0(SALU_CYCLE_1) | instskip(NEXT) | instid1(SALU_CYCLE_1)
	s_and_b32 s27, exec_lo, s24
	s_or_b32 s23, s27, s23
	s_and_not1_b32 s26, s26, exec_lo
	s_and_b32 s0, s0, exec_lo
	s_and_not1_b32 s22, s22, exec_lo
	s_and_b32 s27, s25, exec_lo
	s_or_b32 s26, s26, s0
	s_or_b32 s22, s22, s27
	s_and_not1_b32 exec_lo, exec_lo, s23
	s_cbranch_execz .LBB1361_494
.LBB1361_499:                           ;   Parent Loop BB1361_496 Depth=1
                                        ; =>  This Inner Loop Header: Depth=2
	global_load_u16 v31, v[20:21], off
	global_load_u16 v32, v[22:23], off
	s_and_not1_b32 s25, s25, exec_lo
	s_or_b32 s24, s24, exec_lo
	s_wait_loadcnt 0x0
	v_cmp_le_u16_e32 vcc_lo, v31, v32
	v_cmp_lt_u16_e64 s0, v31, v32
	s_and_b32 s27, vcc_lo, s26
	s_delay_alu instid0(SALU_CYCLE_1) | instskip(NEXT) | instid1(SALU_CYCLE_1)
	s_or_b32 s0, s0, s27
	s_and_b32 s27, s0, exec_lo
	s_delay_alu instid0(SALU_CYCLE_1)
	s_or_b32 s25, s25, s27
	s_mov_b32 s27, exec_lo
	v_cmpx_eq_u16_e64 v31, v32
	s_cbranch_execz .LBB1361_498
; %bb.500:                              ;   in Loop: Header=BB1361_499 Depth=2
	s_add_nc_u64 s[14:15], s[14:15], -1
	v_add_nc_u64_e32 v[20:21], 2, v[20:21]
	s_cmp_eq_u64 s[14:15], 0
	v_add_nc_u64_e32 v[22:23], 2, v[22:23]
	s_cselect_b32 s26, -1, 0
	s_and_not1_b32 s24, s24, exec_lo
	s_and_b32 s26, s26, exec_lo
	s_and_not1_b32 s25, s25, exec_lo
	s_or_b32 s24, s24, s26
                                        ; implicit-def: $sgpr26
	s_branch .LBB1361_498
.LBB1361_501:
	s_or_b32 exec_lo, exec_lo, s5
.LBB1361_502:
	s_delay_alu instid0(SALU_CYCLE_1) | instskip(SKIP_1) | instid1(VALU_DEP_1)
	s_or_b32 exec_lo, exec_lo, s1
	v_dual_add_nc_u32 v21, v50, v27 :: v_dual_add_nc_u32 v20, v24, v26
	v_sub_nc_u32_e32 v21, v21, v24
	s_delay_alu instid0(VALU_DEP_2) | instskip(NEXT) | instid1(VALU_DEP_2)
	v_cmp_le_u32_e32 vcc_lo, v20, v50
	v_cmp_le_u32_e64 s0, v21, v48
	s_or_b32 s0, vcc_lo, s0
	s_delay_alu instid0(SALU_CYCLE_1)
	s_and_saveexec_b32 s1, s0
	s_cbranch_execz .LBB1361_593
; %bb.503:
	s_mov_b32 s5, exec_lo
	v_cmp_ge_u32_e32 vcc_lo, v20, v50
                                        ; implicit-def: $vgpr2_vgpr3
	v_cmpx_lt_u32_e64 v20, v50
; %bb.504:
	v_lshl_add_u32 v2, v24, 3, v25
	ds_load_b64 v[2:3], v2
; %bb.505:
	s_or_b32 exec_lo, exec_lo, s5
	v_cmp_ge_u32_e64 s5, v21, v48
	s_mov_b32 s6, exec_lo
                                        ; implicit-def: $vgpr4_vgpr5
	v_cmpx_lt_u32_e64 v21, v48
; %bb.506:
	v_lshl_add_u32 v4, v21, 3, v46
	ds_load_b64 v[4:5], v4
; %bb.507:
	s_or_b32 exec_lo, exec_lo, s6
	s_nor_b32 s0, vcc_lo, s5
	s_delay_alu instid0(SALU_CYCLE_1)
	s_and_saveexec_b32 s14, s0
	s_cbranch_execz .LBB1361_516
; %bb.508:
	v_cmp_ne_u32_e32 vcc_lo, 1, v45
	s_cbranch_vccnz .LBB1361_514
; %bb.509:
	s_wait_dscnt 0x0
	v_mul_u64_e32 v[6:7], s[16:17], v[4:5]
	v_mul_u64_e32 v[8:9], s[16:17], v[2:3]
	s_mov_b32 s15, 0
	s_mov_b64 s[6:7], s[16:17]
                                        ; implicit-def: $sgpr22
                                        ; implicit-def: $sgpr23
                                        ; implicit-def: $sgpr24
                                        ; implicit-def: $sgpr25
	s_delay_alu instid0(VALU_DEP_2) | instskip(NEXT) | instid1(VALU_DEP_2)
	v_lshl_add_u64 v[6:7], v[6:7], 1, s[18:19]
	v_lshl_add_u64 v[8:9], v[8:9], 1, s[18:19]
	s_branch .LBB1361_511
.LBB1361_510:                           ;   in Loop: Header=BB1361_511 Depth=1
	s_or_b32 exec_lo, exec_lo, s26
	s_delay_alu instid0(SALU_CYCLE_1) | instskip(NEXT) | instid1(SALU_CYCLE_1)
	s_and_b32 s26, exec_lo, s23
	s_or_b32 s15, s26, s15
	s_and_not1_b32 s25, s25, exec_lo
	s_and_b32 s0, s0, exec_lo
	s_and_not1_b32 s22, s22, exec_lo
	s_and_b32 s26, s24, exec_lo
	s_or_b32 s25, s25, s0
	s_or_b32 s22, s22, s26
	s_and_not1_b32 exec_lo, exec_lo, s15
	s_cbranch_execz .LBB1361_513
.LBB1361_511:                           ; =>This Inner Loop Header: Depth=1
	global_load_u16 v10, v[6:7], off
	global_load_u16 v11, v[8:9], off
	s_and_not1_b32 s24, s24, exec_lo
	s_or_b32 s23, s23, exec_lo
	s_wait_loadcnt 0x0
	v_cmp_le_u16_e32 vcc_lo, v10, v11
	v_cmp_lt_u16_e64 s0, v10, v11
	s_and_b32 s26, vcc_lo, s25
	s_delay_alu instid0(SALU_CYCLE_1) | instskip(NEXT) | instid1(SALU_CYCLE_1)
	s_or_b32 s0, s0, s26
	s_and_b32 s26, s0, exec_lo
	s_delay_alu instid0(SALU_CYCLE_1)
	s_or_b32 s24, s24, s26
	s_mov_b32 s26, exec_lo
	v_cmpx_eq_u16_e64 v10, v11
	s_cbranch_execz .LBB1361_510
; %bb.512:                              ;   in Loop: Header=BB1361_511 Depth=1
	s_add_nc_u64 s[6:7], s[6:7], -1
	v_add_nc_u64_e32 v[6:7], 2, v[6:7]
	s_cmp_eq_u64 s[6:7], 0
	v_add_nc_u64_e32 v[8:9], 2, v[8:9]
	s_cselect_b32 s25, -1, 0
	s_and_not1_b32 s23, s23, exec_lo
	s_and_b32 s25, s25, exec_lo
	s_and_not1_b32 s24, s24, exec_lo
	s_or_b32 s23, s23, s25
                                        ; implicit-def: $sgpr25
	s_branch .LBB1361_510
.LBB1361_513:
	s_or_b32 exec_lo, exec_lo, s15
	s_xor_b32 s0, s22, -1
	s_branch .LBB1361_515
.LBB1361_514:
	s_mov_b32 s0, -1
.LBB1361_515:
	s_and_not1_b32 s5, s5, exec_lo
	s_and_b32 s0, s0, exec_lo
	s_delay_alu instid0(SALU_CYCLE_1)
	s_or_b32 s5, s5, s0
.LBB1361_516:
	s_or_b32 exec_lo, exec_lo, s14
	v_dual_cndmask_b32 v6, v21, v20, s5 :: v_dual_cndmask_b32 v7, v48, v50, s5
	s_mov_b32 s15, -1
	s_mov_b32 s14, -1
	s_mov_b32 s22, exec_lo
	s_delay_alu instid0(VALU_DEP_1) | instskip(NEXT) | instid1(VALU_DEP_1)
	v_add_nc_u32_e32 v8, 1, v6
	v_add_min_u32_e64 v6, v7, -1, v8
	s_delay_alu instid0(VALU_DEP_1)
	v_lshl_add_u32 v6, v6, 3, v46
	ds_load_b64 v[6:7], v6
	s_wait_dscnt 0x0
	v_cndmask_b32_e64 v15, v7, v5, s5
	v_dual_cndmask_b32 v10, v8, v21, s5 :: v_dual_cndmask_b32 v14, v6, v4, s5
	v_dual_cndmask_b32 v11, v20, v8, s5 :: v_dual_cndmask_b32 v17, v3, v7, s5
	v_cndmask_b32_e64 v16, v2, v6, s5
	s_delay_alu instid0(VALU_DEP_3)
	v_cmpx_lt_u32_e64 v10, v48
	s_cbranch_execz .LBB1361_527
; %bb.517:
	s_mov_b32 s0, 0
	s_mov_b32 s14, exec_lo
	v_cmpx_lt_u32_e64 v11, v50
	s_cbranch_execz .LBB1361_526
; %bb.518:
	v_cmp_ne_u32_e32 vcc_lo, 1, v45
	s_cbranch_vccnz .LBB1361_524
; %bb.519:
	v_mul_u64_e32 v[6:7], s[16:17], v[14:15]
	v_mul_u64_e32 v[8:9], s[16:17], v[16:17]
	s_mov_b32 s23, 0
	s_mov_b64 s[6:7], s[16:17]
                                        ; implicit-def: $sgpr24
                                        ; implicit-def: $sgpr25
                                        ; implicit-def: $sgpr26
                                        ; implicit-def: $sgpr27
	s_delay_alu instid0(VALU_DEP_2) | instskip(NEXT) | instid1(VALU_DEP_2)
	v_lshl_add_u64 v[6:7], v[6:7], 1, s[18:19]
	v_lshl_add_u64 v[8:9], v[8:9], 1, s[18:19]
	s_branch .LBB1361_521
.LBB1361_520:                           ;   in Loop: Header=BB1361_521 Depth=1
	s_or_b32 exec_lo, exec_lo, s28
	s_delay_alu instid0(SALU_CYCLE_1) | instskip(NEXT) | instid1(SALU_CYCLE_1)
	s_and_b32 s28, exec_lo, s25
	s_or_b32 s23, s28, s23
	s_and_not1_b32 s27, s27, exec_lo
	s_and_b32 s0, s0, exec_lo
	s_and_not1_b32 s24, s24, exec_lo
	s_and_b32 s28, s26, exec_lo
	s_or_b32 s27, s27, s0
	s_or_b32 s24, s24, s28
	s_and_not1_b32 exec_lo, exec_lo, s23
	s_cbranch_execz .LBB1361_523
.LBB1361_521:                           ; =>This Inner Loop Header: Depth=1
	global_load_u16 v12, v[6:7], off
	global_load_u16 v13, v[8:9], off
	s_and_not1_b32 s26, s26, exec_lo
	s_or_b32 s25, s25, exec_lo
	s_wait_loadcnt 0x0
	v_cmp_le_u16_e32 vcc_lo, v12, v13
	v_cmp_lt_u16_e64 s0, v12, v13
	s_and_b32 s28, vcc_lo, s27
	s_delay_alu instid0(SALU_CYCLE_1) | instskip(NEXT) | instid1(SALU_CYCLE_1)
	s_or_b32 s0, s0, s28
	s_and_b32 s28, s0, exec_lo
	s_delay_alu instid0(SALU_CYCLE_1)
	s_or_b32 s26, s26, s28
	s_mov_b32 s28, exec_lo
	v_cmpx_eq_u16_e64 v12, v13
	s_cbranch_execz .LBB1361_520
; %bb.522:                              ;   in Loop: Header=BB1361_521 Depth=1
	s_add_nc_u64 s[6:7], s[6:7], -1
	v_add_nc_u64_e32 v[6:7], 2, v[6:7]
	s_cmp_eq_u64 s[6:7], 0
	v_add_nc_u64_e32 v[8:9], 2, v[8:9]
	s_cselect_b32 s27, -1, 0
	s_and_not1_b32 s25, s25, exec_lo
	s_and_b32 s27, s27, exec_lo
	s_and_not1_b32 s26, s26, exec_lo
	s_or_b32 s25, s25, s27
                                        ; implicit-def: $sgpr27
	s_branch .LBB1361_520
.LBB1361_523:
	s_or_b32 exec_lo, exec_lo, s23
	s_xor_b32 s0, s24, -1
	s_branch .LBB1361_525
.LBB1361_524:
	s_mov_b32 s0, -1
.LBB1361_525:
	s_delay_alu instid0(SALU_CYCLE_1)
	s_and_b32 s0, s0, exec_lo
.LBB1361_526:
	s_or_b32 exec_lo, exec_lo, s14
	s_delay_alu instid0(SALU_CYCLE_1)
	s_or_not1_b32 s14, s0, exec_lo
.LBB1361_527:
	s_or_b32 exec_lo, exec_lo, s22
	v_dual_cndmask_b32 v6, v10, v11, s14 :: v_dual_cndmask_b32 v7, v48, v50, s14
	s_mov_b32 s22, exec_lo
	s_delay_alu instid0(VALU_DEP_1) | instskip(NEXT) | instid1(VALU_DEP_1)
	v_add_nc_u32_e32 v8, 1, v6
	v_add_min_u32_e64 v6, v7, -1, v8
	s_delay_alu instid0(VALU_DEP_1)
	v_lshl_add_u32 v6, v6, 3, v46
	ds_load_b64 v[6:7], v6
	v_cndmask_b32_e64 v13, v11, v8, s14
	s_wait_dscnt 0x0
	v_dual_cndmask_b32 v11, v7, v15, s14 :: v_dual_cndmask_b32 v12, v8, v10, s14
	v_dual_cndmask_b32 v21, v17, v7, s14 :: v_dual_cndmask_b32 v10, v6, v14, s14
	v_cndmask_b32_e64 v20, v16, v6, s14
	s_delay_alu instid0(VALU_DEP_3)
	v_cmpx_lt_u32_e64 v12, v48
	s_cbranch_execz .LBB1361_538
; %bb.528:
	s_mov_b32 s0, 0
	s_mov_b32 s15, exec_lo
	v_cmpx_lt_u32_e64 v13, v50
	s_cbranch_execz .LBB1361_537
; %bb.529:
	v_cmp_ne_u32_e32 vcc_lo, 1, v45
	s_cbranch_vccnz .LBB1361_535
; %bb.530:
	v_mul_u64_e32 v[6:7], s[16:17], v[10:11]
	v_mul_u64_e32 v[8:9], s[16:17], v[20:21]
	s_mov_b32 s23, 0
	s_mov_b64 s[6:7], s[16:17]
                                        ; implicit-def: $sgpr24
                                        ; implicit-def: $sgpr25
                                        ; implicit-def: $sgpr26
                                        ; implicit-def: $sgpr27
	s_delay_alu instid0(VALU_DEP_2) | instskip(NEXT) | instid1(VALU_DEP_2)
	v_lshl_add_u64 v[6:7], v[6:7], 1, s[18:19]
	v_lshl_add_u64 v[8:9], v[8:9], 1, s[18:19]
	s_branch .LBB1361_532
.LBB1361_531:                           ;   in Loop: Header=BB1361_532 Depth=1
	s_or_b32 exec_lo, exec_lo, s28
	s_delay_alu instid0(SALU_CYCLE_1) | instskip(NEXT) | instid1(SALU_CYCLE_1)
	s_and_b32 s28, exec_lo, s25
	s_or_b32 s23, s28, s23
	s_and_not1_b32 s27, s27, exec_lo
	s_and_b32 s0, s0, exec_lo
	s_and_not1_b32 s24, s24, exec_lo
	s_and_b32 s28, s26, exec_lo
	s_or_b32 s27, s27, s0
	s_or_b32 s24, s24, s28
	s_and_not1_b32 exec_lo, exec_lo, s23
	s_cbranch_execz .LBB1361_534
.LBB1361_532:                           ; =>This Inner Loop Header: Depth=1
	global_load_u16 v22, v[6:7], off
	global_load_u16 v23, v[8:9], off
	s_and_not1_b32 s26, s26, exec_lo
	s_or_b32 s25, s25, exec_lo
	s_wait_loadcnt 0x0
	v_cmp_le_u16_e32 vcc_lo, v22, v23
	v_cmp_lt_u16_e64 s0, v22, v23
	s_and_b32 s28, vcc_lo, s27
	s_delay_alu instid0(SALU_CYCLE_1) | instskip(NEXT) | instid1(SALU_CYCLE_1)
	s_or_b32 s0, s0, s28
	s_and_b32 s28, s0, exec_lo
	s_delay_alu instid0(SALU_CYCLE_1)
	s_or_b32 s26, s26, s28
	s_mov_b32 s28, exec_lo
	v_cmpx_eq_u16_e64 v22, v23
	s_cbranch_execz .LBB1361_531
; %bb.533:                              ;   in Loop: Header=BB1361_532 Depth=1
	s_add_nc_u64 s[6:7], s[6:7], -1
	v_add_nc_u64_e32 v[6:7], 2, v[6:7]
	s_cmp_eq_u64 s[6:7], 0
	v_add_nc_u64_e32 v[8:9], 2, v[8:9]
	s_cselect_b32 s27, -1, 0
	s_and_not1_b32 s25, s25, exec_lo
	s_and_b32 s27, s27, exec_lo
	s_and_not1_b32 s26, s26, exec_lo
	s_or_b32 s25, s25, s27
                                        ; implicit-def: $sgpr27
	s_branch .LBB1361_531
.LBB1361_534:
	s_or_b32 exec_lo, exec_lo, s23
	s_xor_b32 s0, s24, -1
	s_branch .LBB1361_536
.LBB1361_535:
	s_mov_b32 s0, -1
.LBB1361_536:
	s_delay_alu instid0(SALU_CYCLE_1)
	s_and_b32 s0, s0, exec_lo
.LBB1361_537:
	s_or_b32 exec_lo, exec_lo, s15
	s_delay_alu instid0(SALU_CYCLE_1)
	s_or_not1_b32 s15, s0, exec_lo
.LBB1361_538:
	s_or_b32 exec_lo, exec_lo, s22
	v_cndmask_b32_e64 v6, v12, v13, s15
	v_cndmask_b32_e64 v7, v48, v50, s15
	s_mov_b32 s23, -1
	s_mov_b32 s22, -1
	s_mov_b32 s24, exec_lo
	v_add_nc_u32_e32 v8, 1, v6
	s_delay_alu instid0(VALU_DEP_1) | instskip(SKIP_1) | instid1(VALU_DEP_2)
	v_add_min_u32_e64 v6, v7, -1, v8
	v_cndmask_b32_e64 v25, v13, v8, s15
	v_lshl_add_u32 v6, v6, 3, v46
	ds_load_b64 v[6:7], v6
	s_wait_dscnt 0x0
	v_dual_cndmask_b32 v13, v7, v11, s15 :: v_dual_cndmask_b32 v24, v8, v12, s15
	v_dual_cndmask_b32 v12, v6, v10, s15 :: v_dual_cndmask_b32 v23, v21, v7, s15
	v_cndmask_b32_e64 v22, v20, v6, s15
	s_delay_alu instid0(VALU_DEP_3)
	v_cmpx_lt_u32_e64 v24, v48
	s_cbranch_execz .LBB1361_549
; %bb.539:
	s_mov_b32 s0, 0
	s_mov_b32 s22, exec_lo
	v_cmpx_lt_u32_e64 v25, v50
	s_cbranch_execz .LBB1361_548
; %bb.540:
	v_cmp_ne_u32_e32 vcc_lo, 1, v45
	s_cbranch_vccnz .LBB1361_546
; %bb.541:
	v_mul_u64_e32 v[6:7], s[16:17], v[12:13]
	v_mul_u64_e32 v[8:9], s[16:17], v[22:23]
	s_mov_b32 s25, 0
	s_mov_b64 s[6:7], s[16:17]
                                        ; implicit-def: $sgpr26
                                        ; implicit-def: $sgpr27
                                        ; implicit-def: $sgpr28
                                        ; implicit-def: $sgpr29
	s_delay_alu instid0(VALU_DEP_2) | instskip(NEXT) | instid1(VALU_DEP_2)
	v_lshl_add_u64 v[6:7], v[6:7], 1, s[18:19]
	v_lshl_add_u64 v[8:9], v[8:9], 1, s[18:19]
	s_branch .LBB1361_543
.LBB1361_542:                           ;   in Loop: Header=BB1361_543 Depth=1
	s_or_b32 exec_lo, exec_lo, s30
	s_delay_alu instid0(SALU_CYCLE_1) | instskip(NEXT) | instid1(SALU_CYCLE_1)
	s_and_b32 s30, exec_lo, s27
	s_or_b32 s25, s30, s25
	s_and_not1_b32 s29, s29, exec_lo
	s_and_b32 s0, s0, exec_lo
	s_and_not1_b32 s26, s26, exec_lo
	s_and_b32 s30, s28, exec_lo
	s_or_b32 s29, s29, s0
	s_or_b32 s26, s26, s30
	s_and_not1_b32 exec_lo, exec_lo, s25
	s_cbranch_execz .LBB1361_545
.LBB1361_543:                           ; =>This Inner Loop Header: Depth=1
	global_load_u16 v26, v[6:7], off
	global_load_u16 v27, v[8:9], off
	s_and_not1_b32 s28, s28, exec_lo
	s_or_b32 s27, s27, exec_lo
	s_wait_loadcnt 0x0
	v_cmp_le_u16_e32 vcc_lo, v26, v27
	v_cmp_lt_u16_e64 s0, v26, v27
	s_and_b32 s30, vcc_lo, s29
	s_delay_alu instid0(SALU_CYCLE_1) | instskip(NEXT) | instid1(SALU_CYCLE_1)
	s_or_b32 s0, s0, s30
	s_and_b32 s30, s0, exec_lo
	s_delay_alu instid0(SALU_CYCLE_1)
	s_or_b32 s28, s28, s30
	s_mov_b32 s30, exec_lo
	v_cmpx_eq_u16_e64 v26, v27
	s_cbranch_execz .LBB1361_542
; %bb.544:                              ;   in Loop: Header=BB1361_543 Depth=1
	s_add_nc_u64 s[6:7], s[6:7], -1
	v_add_nc_u64_e32 v[6:7], 2, v[6:7]
	s_cmp_eq_u64 s[6:7], 0
	v_add_nc_u64_e32 v[8:9], 2, v[8:9]
	s_cselect_b32 s29, -1, 0
	s_and_not1_b32 s27, s27, exec_lo
	s_and_b32 s29, s29, exec_lo
	s_and_not1_b32 s28, s28, exec_lo
	s_or_b32 s27, s27, s29
                                        ; implicit-def: $sgpr29
	s_branch .LBB1361_542
.LBB1361_545:
	s_or_b32 exec_lo, exec_lo, s25
	s_xor_b32 s0, s26, -1
	s_branch .LBB1361_547
.LBB1361_546:
	s_mov_b32 s0, -1
.LBB1361_547:
	s_delay_alu instid0(SALU_CYCLE_1)
	s_and_b32 s0, s0, exec_lo
.LBB1361_548:
	s_or_b32 exec_lo, exec_lo, s22
	s_delay_alu instid0(SALU_CYCLE_1)
	s_or_not1_b32 s22, s0, exec_lo
.LBB1361_549:
	s_or_b32 exec_lo, exec_lo, s24
	v_cndmask_b32_e64 v6, v24, v25, s22
	s_mov_b32 s24, exec_lo
	s_delay_alu instid0(VALU_DEP_1) | instskip(NEXT) | instid1(VALU_DEP_1)
	v_add_nc_u32_e32 v6, 1, v6
	v_dual_cndmask_b32 v7, v48, v50, s22 :: v_dual_cndmask_b32 v28, v6, v24, s22
	s_delay_alu instid0(VALU_DEP_1) | instskip(NEXT) | instid1(VALU_DEP_1)
	v_add_min_u32_e64 v7, v7, -1, v6
	v_lshl_add_u32 v7, v7, 3, v46
	ds_load_b64 v[8:9], v7
	s_wait_dscnt 0x0
	v_cndmask_b32_e64 v7, v9, v13, s22
	v_dual_cndmask_b32 v29, v25, v6, s22 :: v_dual_cndmask_b32 v6, v8, v12, s22
	v_dual_cndmask_b32 v25, v23, v9, s22 :: v_dual_cndmask_b32 v24, v22, v8, s22
	v_cmpx_lt_u32_e64 v28, v48
	s_cbranch_execz .LBB1361_560
; %bb.550:
	s_mov_b32 s0, 0
	s_mov_b32 s23, exec_lo
	v_cmpx_lt_u32_e64 v29, v50
	s_cbranch_execz .LBB1361_559
; %bb.551:
	v_cmp_ne_u32_e32 vcc_lo, 1, v45
	s_cbranch_vccnz .LBB1361_557
; %bb.552:
	v_mul_u64_e32 v[8:9], s[16:17], v[6:7]
	v_mul_u64_e32 v[26:27], s[16:17], v[24:25]
	s_mov_b32 s25, 0
	s_mov_b64 s[6:7], s[16:17]
                                        ; implicit-def: $sgpr26
                                        ; implicit-def: $sgpr27
                                        ; implicit-def: $sgpr28
                                        ; implicit-def: $sgpr29
	s_delay_alu instid0(VALU_DEP_2) | instskip(NEXT) | instid1(VALU_DEP_2)
	v_lshl_add_u64 v[8:9], v[8:9], 1, s[18:19]
	v_lshl_add_u64 v[26:27], v[26:27], 1, s[18:19]
	s_branch .LBB1361_554
.LBB1361_553:                           ;   in Loop: Header=BB1361_554 Depth=1
	s_or_b32 exec_lo, exec_lo, s30
	s_delay_alu instid0(SALU_CYCLE_1) | instskip(NEXT) | instid1(SALU_CYCLE_1)
	s_and_b32 s30, exec_lo, s27
	s_or_b32 s25, s30, s25
	s_and_not1_b32 s29, s29, exec_lo
	s_and_b32 s0, s0, exec_lo
	s_and_not1_b32 s26, s26, exec_lo
	s_and_b32 s30, s28, exec_lo
	s_or_b32 s29, s29, s0
	s_or_b32 s26, s26, s30
	s_and_not1_b32 exec_lo, exec_lo, s25
	s_cbranch_execz .LBB1361_556
.LBB1361_554:                           ; =>This Inner Loop Header: Depth=1
	global_load_u16 v30, v[8:9], off
	global_load_u16 v31, v[26:27], off
	s_and_not1_b32 s28, s28, exec_lo
	s_or_b32 s27, s27, exec_lo
	s_wait_loadcnt 0x0
	v_cmp_le_u16_e32 vcc_lo, v30, v31
	v_cmp_lt_u16_e64 s0, v30, v31
	s_and_b32 s30, vcc_lo, s29
	s_delay_alu instid0(SALU_CYCLE_1) | instskip(NEXT) | instid1(SALU_CYCLE_1)
	s_or_b32 s0, s0, s30
	s_and_b32 s30, s0, exec_lo
	s_delay_alu instid0(SALU_CYCLE_1)
	s_or_b32 s28, s28, s30
	s_mov_b32 s30, exec_lo
	v_cmpx_eq_u16_e64 v30, v31
	s_cbranch_execz .LBB1361_553
; %bb.555:                              ;   in Loop: Header=BB1361_554 Depth=1
	s_add_nc_u64 s[6:7], s[6:7], -1
	v_add_nc_u64_e32 v[8:9], 2, v[8:9]
	s_cmp_eq_u64 s[6:7], 0
	v_add_nc_u64_e32 v[26:27], 2, v[26:27]
	s_cselect_b32 s29, -1, 0
	s_and_not1_b32 s27, s27, exec_lo
	s_and_b32 s29, s29, exec_lo
	s_and_not1_b32 s28, s28, exec_lo
	s_or_b32 s27, s27, s29
                                        ; implicit-def: $sgpr29
	s_branch .LBB1361_553
.LBB1361_556:
	s_or_b32 exec_lo, exec_lo, s25
	s_xor_b32 s0, s26, -1
	s_branch .LBB1361_558
.LBB1361_557:
	s_mov_b32 s0, -1
.LBB1361_558:
	s_delay_alu instid0(SALU_CYCLE_1)
	s_and_b32 s0, s0, exec_lo
.LBB1361_559:
	s_or_b32 exec_lo, exec_lo, s23
	s_delay_alu instid0(SALU_CYCLE_1)
	s_or_not1_b32 s23, s0, exec_lo
.LBB1361_560:
	s_or_b32 exec_lo, exec_lo, s24
	v_cndmask_b32_e64 v8, v28, v29, s23
	v_cndmask_b32_e64 v9, v48, v50, s23
	s_mov_b32 s24, -1
	s_mov_b32 s25, -1
	s_mov_b32 s26, exec_lo
	v_add_nc_u32_e32 v8, 1, v8
	s_delay_alu instid0(VALU_DEP_1) | instskip(NEXT) | instid1(VALU_DEP_1)
	v_add_min_u32_e64 v9, v9, -1, v8
	v_lshl_add_u32 v9, v9, 3, v46
	ds_load_b64 v[26:27], v9
	v_cndmask_b32_e64 v32, v8, v28, s23
	s_wait_dscnt 0x0
	v_dual_cndmask_b32 v33, v29, v8, s23 :: v_dual_cndmask_b32 v9, v27, v7, s23
	v_dual_cndmask_b32 v8, v26, v6, s23 :: v_dual_cndmask_b32 v27, v25, v27, s23
	v_cndmask_b32_e64 v26, v24, v26, s23
	v_cmpx_lt_u32_e64 v32, v48
	s_cbranch_execz .LBB1361_571
; %bb.561:
	s_mov_b32 s0, 0
	s_mov_b32 s25, exec_lo
	v_cmpx_lt_u32_e64 v33, v50
	s_cbranch_execz .LBB1361_570
; %bb.562:
	v_cmp_ne_u32_e32 vcc_lo, 1, v45
	s_cbranch_vccnz .LBB1361_568
; %bb.563:
	v_mul_u64_e32 v[28:29], s[16:17], v[8:9]
	v_mul_u64_e32 v[30:31], s[16:17], v[26:27]
	s_mov_b32 s27, 0
	s_mov_b64 s[6:7], s[16:17]
                                        ; implicit-def: $sgpr28
                                        ; implicit-def: $sgpr29
                                        ; implicit-def: $sgpr30
                                        ; implicit-def: $sgpr31
	s_delay_alu instid0(VALU_DEP_2) | instskip(NEXT) | instid1(VALU_DEP_2)
	v_lshl_add_u64 v[28:29], v[28:29], 1, s[18:19]
	v_lshl_add_u64 v[30:31], v[30:31], 1, s[18:19]
	s_branch .LBB1361_565
.LBB1361_564:                           ;   in Loop: Header=BB1361_565 Depth=1
	s_or_b32 exec_lo, exec_lo, s33
	s_delay_alu instid0(SALU_CYCLE_1) | instskip(NEXT) | instid1(SALU_CYCLE_1)
	s_and_b32 s33, exec_lo, s29
	s_or_b32 s27, s33, s27
	s_and_not1_b32 s31, s31, exec_lo
	s_and_b32 s0, s0, exec_lo
	s_and_not1_b32 s28, s28, exec_lo
	s_and_b32 s33, s30, exec_lo
	s_or_b32 s31, s31, s0
	s_or_b32 s28, s28, s33
	s_and_not1_b32 exec_lo, exec_lo, s27
	s_cbranch_execz .LBB1361_567
.LBB1361_565:                           ; =>This Inner Loop Header: Depth=1
	global_load_u16 v34, v[28:29], off
	global_load_u16 v35, v[30:31], off
	s_and_not1_b32 s30, s30, exec_lo
	s_or_b32 s29, s29, exec_lo
	s_wait_loadcnt 0x0
	v_cmp_le_u16_e32 vcc_lo, v34, v35
	v_cmp_lt_u16_e64 s0, v34, v35
	s_and_b32 s33, vcc_lo, s31
	s_delay_alu instid0(SALU_CYCLE_1) | instskip(NEXT) | instid1(SALU_CYCLE_1)
	s_or_b32 s0, s0, s33
	s_and_b32 s33, s0, exec_lo
	s_delay_alu instid0(SALU_CYCLE_1)
	s_or_b32 s30, s30, s33
	s_mov_b32 s33, exec_lo
	v_cmpx_eq_u16_e64 v34, v35
	s_cbranch_execz .LBB1361_564
; %bb.566:                              ;   in Loop: Header=BB1361_565 Depth=1
	s_add_nc_u64 s[6:7], s[6:7], -1
	v_add_nc_u64_e32 v[28:29], 2, v[28:29]
	s_cmp_eq_u64 s[6:7], 0
	v_add_nc_u64_e32 v[30:31], 2, v[30:31]
	s_cselect_b32 s31, -1, 0
	s_and_not1_b32 s29, s29, exec_lo
	s_and_b32 s31, s31, exec_lo
	s_and_not1_b32 s30, s30, exec_lo
	s_or_b32 s29, s29, s31
                                        ; implicit-def: $sgpr31
	s_branch .LBB1361_564
.LBB1361_567:
	s_or_b32 exec_lo, exec_lo, s27
	s_xor_b32 s0, s28, -1
	s_branch .LBB1361_569
.LBB1361_568:
	s_mov_b32 s0, -1
.LBB1361_569:
	s_delay_alu instid0(SALU_CYCLE_1)
	s_and_b32 s0, s0, exec_lo
.LBB1361_570:
	s_or_b32 exec_lo, exec_lo, s25
	s_delay_alu instid0(SALU_CYCLE_1)
	s_or_not1_b32 s25, s0, exec_lo
.LBB1361_571:
	s_or_b32 exec_lo, exec_lo, s26
	v_cndmask_b32_e64 v28, v32, v33, s25
	v_cndmask_b32_e64 v29, v48, v50, s25
	s_mov_b32 s26, exec_lo
	s_delay_alu instid0(VALU_DEP_2) | instskip(NEXT) | instid1(VALU_DEP_1)
	v_add_nc_u32_e32 v28, 1, v28
	v_add_min_u32_e64 v29, v29, -1, v28
	s_delay_alu instid0(VALU_DEP_1)
	v_lshl_add_u32 v29, v29, 3, v46
	ds_load_b64 v[30:31], v29
	v_cndmask_b32_e64 v49, v28, v32, s25
	s_wait_dscnt 0x0
	v_dual_cndmask_b32 v47, v33, v28, s25 :: v_dual_cndmask_b32 v29, v31, v9, s25
	v_dual_cndmask_b32 v28, v30, v8, s25 :: v_dual_cndmask_b32 v31, v27, v31, s25
	v_cndmask_b32_e64 v30, v26, v30, s25
	v_cmpx_lt_u32_e64 v49, v48
	s_cbranch_execz .LBB1361_582
; %bb.572:
	s_mov_b32 s0, 0
	s_mov_b32 s24, exec_lo
	v_cmpx_lt_u32_e64 v47, v50
	s_cbranch_execz .LBB1361_581
; %bb.573:
	v_cmp_ne_u32_e32 vcc_lo, 1, v45
	s_cbranch_vccnz .LBB1361_579
; %bb.574:
	v_mul_u64_e32 v[32:33], s[16:17], v[28:29]
	v_mul_u64_e32 v[34:35], s[16:17], v[30:31]
	s_mov_b32 s27, 0
	s_mov_b64 s[6:7], s[16:17]
                                        ; implicit-def: $sgpr28
                                        ; implicit-def: $sgpr29
                                        ; implicit-def: $sgpr30
                                        ; implicit-def: $sgpr31
	s_delay_alu instid0(VALU_DEP_2) | instskip(NEXT) | instid1(VALU_DEP_2)
	v_lshl_add_u64 v[32:33], v[32:33], 1, s[18:19]
	v_lshl_add_u64 v[34:35], v[34:35], 1, s[18:19]
	s_branch .LBB1361_576
.LBB1361_575:                           ;   in Loop: Header=BB1361_576 Depth=1
	s_or_b32 exec_lo, exec_lo, s33
	s_delay_alu instid0(SALU_CYCLE_1) | instskip(NEXT) | instid1(SALU_CYCLE_1)
	s_and_b32 s33, exec_lo, s29
	s_or_b32 s27, s33, s27
	s_and_not1_b32 s31, s31, exec_lo
	s_and_b32 s0, s0, exec_lo
	s_and_not1_b32 s28, s28, exec_lo
	s_and_b32 s33, s30, exec_lo
	s_or_b32 s31, s31, s0
	s_or_b32 s28, s28, s33
	s_and_not1_b32 exec_lo, exec_lo, s27
	s_cbranch_execz .LBB1361_578
.LBB1361_576:                           ; =>This Inner Loop Header: Depth=1
	global_load_u16 v51, v[32:33], off
	global_load_u16 v52, v[34:35], off
	s_and_not1_b32 s30, s30, exec_lo
	s_or_b32 s29, s29, exec_lo
	s_wait_loadcnt 0x0
	v_cmp_le_u16_e32 vcc_lo, v51, v52
	v_cmp_lt_u16_e64 s0, v51, v52
	s_and_b32 s33, vcc_lo, s31
	s_delay_alu instid0(SALU_CYCLE_1) | instskip(NEXT) | instid1(SALU_CYCLE_1)
	s_or_b32 s0, s0, s33
	s_and_b32 s33, s0, exec_lo
	s_delay_alu instid0(SALU_CYCLE_1)
	s_or_b32 s30, s30, s33
	s_mov_b32 s33, exec_lo
	v_cmpx_eq_u16_e64 v51, v52
	s_cbranch_execz .LBB1361_575
; %bb.577:                              ;   in Loop: Header=BB1361_576 Depth=1
	s_add_nc_u64 s[6:7], s[6:7], -1
	v_add_nc_u64_e32 v[32:33], 2, v[32:33]
	s_cmp_eq_u64 s[6:7], 0
	v_add_nc_u64_e32 v[34:35], 2, v[34:35]
	s_cselect_b32 s31, -1, 0
	s_and_not1_b32 s29, s29, exec_lo
	s_and_b32 s31, s31, exec_lo
	s_and_not1_b32 s30, s30, exec_lo
	s_or_b32 s29, s29, s31
                                        ; implicit-def: $sgpr31
	s_branch .LBB1361_575
.LBB1361_578:
	s_or_b32 exec_lo, exec_lo, s27
	s_xor_b32 s0, s28, -1
	s_branch .LBB1361_580
.LBB1361_579:
	s_mov_b32 s0, -1
.LBB1361_580:
	s_delay_alu instid0(SALU_CYCLE_1)
	s_and_b32 s0, s0, exec_lo
.LBB1361_581:
	s_or_b32 exec_lo, exec_lo, s24
	s_delay_alu instid0(SALU_CYCLE_1)
	s_or_not1_b32 s24, s0, exec_lo
.LBB1361_582:
	s_or_b32 exec_lo, exec_lo, s26
	v_dual_cndmask_b32 v32, v49, v47, s24 :: v_dual_cndmask_b32 v33, v48, v50, s24
	v_dual_cndmask_b32 v8, v8, v26, s25 :: v_dual_cndmask_b32 v7, v7, v25, s23
	;; [unrolled: 1-line block ×3, first 2 shown]
	s_delay_alu instid0(VALU_DEP_3) | instskip(SKIP_2) | instid1(VALU_DEP_3)
	v_dual_add_nc_u32 v34, 1, v32 :: v_dual_cndmask_b32 v9, v9, v27, s25
	v_dual_cndmask_b32 v12, v12, v22, s22 :: v_dual_cndmask_b32 v11, v11, v21, s15
	v_dual_cndmask_b32 v10, v10, v20, s15 :: v_dual_cndmask_b32 v17, v15, v17, s14
	v_add_min_u32_e64 v32, v33, -1, v34
	v_dual_cndmask_b32 v16, v14, v16, s14 :: v_dual_cndmask_b32 v15, v5, v3, s5
	v_dual_cndmask_b32 v14, v4, v2, s5 :: v_dual_cndmask_b32 v20, v34, v49, s24
	s_delay_alu instid0(VALU_DEP_3)
	v_lshl_add_u32 v32, v32, 3, v46
	v_dual_cndmask_b32 v3, v29, v31, s24 :: v_dual_cndmask_b32 v2, v28, v30, s24
	s_mov_b32 s5, exec_lo
	ds_load_b64 v[32:33], v32
	s_wait_dscnt 0x0
	v_dual_cndmask_b32 v5, v31, v33, s24 :: v_dual_cndmask_b32 v4, v30, v32, s24
	v_cmpx_lt_u32_e64 v20, v48
	s_cbranch_execz .LBB1361_592
; %bb.583:
	v_dual_cndmask_b32 v22, v47, v34, s24 :: v_dual_cndmask_b32 v21, v33, v29, s24
	v_cndmask_b32_e64 v20, v32, v28, s24
	s_mov_b32 s14, exec_lo
	s_delay_alu instid0(VALU_DEP_2)
	v_cmpx_lt_u32_e64 v22, v50
	s_cbranch_execz .LBB1361_591
; %bb.584:
	v_cmp_ne_u32_e32 vcc_lo, 1, v45
	s_cbranch_vccnz .LBB1361_590
; %bb.585:
	v_mul_u64_e32 v[22:23], s[16:17], v[20:21]
	v_mul_u64_e32 v[24:25], s[16:17], v[4:5]
	s_mov_b32 s15, 0
	s_mov_b64 s[6:7], s[16:17]
                                        ; implicit-def: $sgpr22
                                        ; implicit-def: $sgpr23
                                        ; implicit-def: $sgpr24
                                        ; implicit-def: $sgpr25
	s_delay_alu instid0(VALU_DEP_2) | instskip(NEXT) | instid1(VALU_DEP_2)
	v_lshl_add_u64 v[22:23], v[22:23], 1, s[18:19]
	v_lshl_add_u64 v[24:25], v[24:25], 1, s[18:19]
	s_branch .LBB1361_587
.LBB1361_586:                           ;   in Loop: Header=BB1361_587 Depth=1
	s_or_b32 exec_lo, exec_lo, s26
	s_delay_alu instid0(SALU_CYCLE_1) | instskip(NEXT) | instid1(SALU_CYCLE_1)
	s_and_b32 s26, exec_lo, s23
	s_or_b32 s15, s26, s15
	s_and_not1_b32 s25, s25, exec_lo
	s_and_b32 s0, s0, exec_lo
	s_and_not1_b32 s22, s22, exec_lo
	s_and_b32 s26, s24, exec_lo
	s_or_b32 s25, s25, s0
	s_or_b32 s22, s22, s26
	s_and_not1_b32 exec_lo, exec_lo, s15
	s_cbranch_execz .LBB1361_589
.LBB1361_587:                           ; =>This Inner Loop Header: Depth=1
	global_load_u16 v26, v[22:23], off
	global_load_u16 v27, v[24:25], off
	s_and_not1_b32 s24, s24, exec_lo
	s_or_b32 s23, s23, exec_lo
	s_wait_loadcnt 0x0
	v_cmp_le_u16_e32 vcc_lo, v26, v27
	v_cmp_lt_u16_e64 s0, v26, v27
	s_and_b32 s26, vcc_lo, s25
	s_delay_alu instid0(SALU_CYCLE_1) | instskip(NEXT) | instid1(SALU_CYCLE_1)
	s_or_b32 s0, s0, s26
	s_and_b32 s26, s0, exec_lo
	s_delay_alu instid0(SALU_CYCLE_1)
	s_or_b32 s24, s24, s26
	s_mov_b32 s26, exec_lo
	v_cmpx_eq_u16_e64 v26, v27
	s_cbranch_execz .LBB1361_586
; %bb.588:                              ;   in Loop: Header=BB1361_587 Depth=1
	s_add_nc_u64 s[6:7], s[6:7], -1
	v_add_nc_u64_e32 v[22:23], 2, v[22:23]
	s_cmp_eq_u64 s[6:7], 0
	v_add_nc_u64_e32 v[24:25], 2, v[24:25]
	s_cselect_b32 s25, -1, 0
	s_and_not1_b32 s23, s23, exec_lo
	s_and_b32 s25, s25, exec_lo
	s_and_not1_b32 s24, s24, exec_lo
	s_or_b32 s23, s23, s25
                                        ; implicit-def: $sgpr25
	s_branch .LBB1361_586
.LBB1361_589:
	s_or_b32 exec_lo, exec_lo, s15
	v_dual_cndmask_b32 v5, v5, v21, s22 :: v_dual_cndmask_b32 v4, v4, v20, s22
.LBB1361_590:
	s_delay_alu instid0(VALU_DEP_1)
	v_mov_b64_e32 v[20:21], v[4:5]
.LBB1361_591:
	s_or_b32 exec_lo, exec_lo, s14
	s_delay_alu instid0(VALU_DEP_1)
	v_mov_b64_e32 v[4:5], v[20:21]
.LBB1361_592:
	s_or_b32 exec_lo, exec_lo, s5
.LBB1361_593:
	s_delay_alu instid0(SALU_CYCLE_1)
	s_or_b32 exec_lo, exec_lo, s1
	v_lshlrev_b32_e32 v24, 3, v1
	s_lshl_b64 s[6:7], s[16:17], 1
	s_movk_i32 s1, 0x80
	; wave barrier
	s_wait_dscnt 0x0
	s_barrier_signal -1
	s_barrier_wait -1
.LBB1361_594:                           ; =>This Loop Header: Depth=1
                                        ;     Child Loop BB1361_598 Depth 2
                                        ;       Child Loop BB1361_601 Depth 3
                                        ;     Child Loop BB1361_613 Depth 2
                                        ;     Child Loop BB1361_623 Depth 2
	;; [unrolled: 1-line block ×8, first 2 shown]
	s_lshl_b32 s5, s1, 1
	s_mov_b32 s22, exec_lo
	s_sub_co_i32 s0, 0, s5
	ds_store_b128 v24, v[14:17]
	ds_store_b128 v24, v[10:13] offset:16
	ds_store_b128 v24, v[6:9] offset:32
	;; [unrolled: 1-line block ×3, first 2 shown]
	v_and_b32_e32 v29, s0, v1
	s_add_co_i32 s0, s5, -1
	s_wait_dscnt 0x0
	v_and_b32_e32 v20, s0, v1
	s_barrier_signal -1
	v_add_min_u32_e64 v25, v29, s1, 0x800
	s_barrier_wait -1
	s_delay_alu instid0(VALU_DEP_2) | instskip(NEXT) | instid1(VALU_DEP_2)
	v_min_u32_e32 v30, 0x800, v20
	v_dual_lshlrev_b32 v28, 3, v29 :: v_dual_sub_nc_u32 v20, v25, v29
	v_add_min_u32_e64 v26, v25, s1, 0x800
	s_delay_alu instid0(VALU_DEP_2) | instskip(NEXT) | instid1(VALU_DEP_2)
	v_min_u32_e32 v31, v30, v20
	v_sub_nc_u32_e32 v21, v26, v25
	s_delay_alu instid0(VALU_DEP_1) | instskip(NEXT) | instid1(VALU_DEP_1)
	v_sub_nc_u32_e64 v27, v30, v21 clamp
	v_cmpx_lt_u32_e64 v27, v31
	s_cbranch_execz .LBB1361_604
; %bb.595:                              ;   in Loop: Header=BB1361_594 Depth=1
	v_lshlrev_b32_e32 v20, 3, v30
	s_mov_b32 s23, 0
	s_delay_alu instid0(VALU_DEP_1)
	v_lshl_add_u32 v32, v25, 3, v20
	s_branch .LBB1361_598
.LBB1361_596:                           ;   in Loop: Header=BB1361_598 Depth=2
	s_or_b32 exec_lo, exec_lo, s25
.LBB1361_597:                           ;   in Loop: Header=BB1361_598 Depth=2
	s_delay_alu instid0(VALU_DEP_1) | instskip(NEXT) | instid1(VALU_DEP_1)
	v_dual_add_nc_u32 v20, 1, v33 :: v_dual_cndmask_b32 v31, v31, v33, s24
	v_cndmask_b32_e64 v27, v20, v27, s24
	s_delay_alu instid0(VALU_DEP_1) | instskip(SKIP_1) | instid1(SALU_CYCLE_1)
	v_cmp_ge_u32_e32 vcc_lo, v27, v31
	s_or_b32 s23, vcc_lo, s23
	s_and_not1_b32 exec_lo, exec_lo, s23
	s_cbranch_execz .LBB1361_603
.LBB1361_598:                           ;   Parent Loop BB1361_594 Depth=1
                                        ; =>  This Loop Header: Depth=2
                                        ;       Child Loop BB1361_601 Depth 3
	v_add_nc_u32_e32 v20, v31, v27
	v_cmp_ne_u32_e32 vcc_lo, 1, v45
	s_mov_b32 s24, 0
	s_delay_alu instid0(VALU_DEP_2)
	v_lshrrev_b32_e32 v33, 1, v20
	s_cbranch_vccnz .LBB1361_597
; %bb.599:                              ;   in Loop: Header=BB1361_598 Depth=2
	s_delay_alu instid0(VALU_DEP_1) | instskip(SKIP_3) | instid1(VALU_DEP_2)
	v_not_b32_e32 v20, v33
	v_lshl_add_u32 v21, v33, 3, v28
	s_mov_b32 s25, 0
	s_mov_b64 s[14:15], s[16:17]
                                        ; implicit-def: $sgpr24
                                        ; implicit-def: $sgpr26
                                        ; implicit-def: $sgpr27
                                        ; implicit-def: $sgpr28
	v_lshl_add_u32 v20, v20, 3, v32
	ds_load_b64 v[34:35], v20
	ds_load_b64 v[46:47], v21
	s_wait_dscnt 0x1
	v_mad_nc_u64_u32 v[20:21], s6, v34, s[18:19]
	s_wait_dscnt 0x0
	v_mad_nc_u64_u32 v[22:23], s6, v46, s[18:19]
	s_delay_alu instid0(VALU_DEP_2) | instskip(NEXT) | instid1(VALU_DEP_2)
	v_mad_u32 v21, s7, v34, v21
	v_mad_u32 v23, s7, v46, v23
	s_delay_alu instid0(VALU_DEP_2) | instskip(NEXT) | instid1(VALU_DEP_2)
	v_mad_u32 v21, s6, v35, v21
	v_mad_u32 v23, s6, v47, v23
	s_branch .LBB1361_601
.LBB1361_600:                           ;   in Loop: Header=BB1361_601 Depth=3
	s_or_b32 exec_lo, exec_lo, s29
	s_delay_alu instid0(SALU_CYCLE_1) | instskip(NEXT) | instid1(SALU_CYCLE_1)
	s_and_b32 s29, exec_lo, s26
	s_or_b32 s25, s29, s25
	s_and_not1_b32 s28, s28, exec_lo
	s_and_b32 s0, s0, exec_lo
	s_and_not1_b32 s24, s24, exec_lo
	s_and_b32 s29, s27, exec_lo
	s_or_b32 s28, s28, s0
	s_or_b32 s24, s24, s29
	s_and_not1_b32 exec_lo, exec_lo, s25
	s_cbranch_execz .LBB1361_596
.LBB1361_601:                           ;   Parent Loop BB1361_594 Depth=1
                                        ;     Parent Loop BB1361_598 Depth=2
                                        ; =>    This Inner Loop Header: Depth=3
	global_load_u16 v34, v[20:21], off
	global_load_u16 v35, v[22:23], off
	s_and_not1_b32 s27, s27, exec_lo
	s_or_b32 s26, s26, exec_lo
	s_wait_loadcnt 0x0
	v_cmp_le_u16_e32 vcc_lo, v34, v35
	v_cmp_lt_u16_e64 s0, v34, v35
	s_and_b32 s29, vcc_lo, s28
	s_delay_alu instid0(SALU_CYCLE_1) | instskip(NEXT) | instid1(SALU_CYCLE_1)
	s_or_b32 s0, s0, s29
	s_and_b32 s29, s0, exec_lo
	s_delay_alu instid0(SALU_CYCLE_1)
	s_or_b32 s27, s27, s29
	s_mov_b32 s29, exec_lo
	v_cmpx_eq_u16_e64 v34, v35
	s_cbranch_execz .LBB1361_600
; %bb.602:                              ;   in Loop: Header=BB1361_601 Depth=3
	s_add_nc_u64 s[14:15], s[14:15], -1
	v_add_nc_u64_e32 v[20:21], 2, v[20:21]
	s_cmp_eq_u64 s[14:15], 0
	v_add_nc_u64_e32 v[22:23], 2, v[22:23]
	s_cselect_b32 s28, -1, 0
	s_and_not1_b32 s26, s26, exec_lo
	s_and_b32 s28, s28, exec_lo
	s_and_not1_b32 s27, s27, exec_lo
	s_or_b32 s26, s26, s28
                                        ; implicit-def: $sgpr28
	s_branch .LBB1361_600
.LBB1361_603:                           ;   in Loop: Header=BB1361_594 Depth=1
	s_or_b32 exec_lo, exec_lo, s23
.LBB1361_604:                           ;   in Loop: Header=BB1361_594 Depth=1
	s_delay_alu instid0(SALU_CYCLE_1) | instskip(SKIP_1) | instid1(VALU_DEP_1)
	s_or_b32 exec_lo, exec_lo, s22
	v_dual_sub_nc_u32 v21, v30, v27 :: v_dual_add_nc_u32 v20, v27, v29
	v_add_nc_u32_e32 v21, v21, v25
	s_delay_alu instid0(VALU_DEP_2) | instskip(NEXT) | instid1(VALU_DEP_2)
	v_cmp_le_u32_e32 vcc_lo, v20, v25
	v_cmp_le_u32_e64 s0, v21, v26
	s_or_b32 s0, vcc_lo, s0
	s_delay_alu instid0(SALU_CYCLE_1)
	s_and_saveexec_b32 s22, s0
	s_cbranch_execz .LBB1361_695
; %bb.605:                              ;   in Loop: Header=BB1361_594 Depth=1
	s_mov_b32 s14, exec_lo
	v_cmp_ge_u32_e32 vcc_lo, v20, v25
                                        ; implicit-def: $vgpr2_vgpr3
	v_cmpx_lt_u32_e64 v20, v25
; %bb.606:                              ;   in Loop: Header=BB1361_594 Depth=1
	v_lshl_add_u32 v2, v27, 3, v28
	ds_load_b64 v[2:3], v2
; %bb.607:                              ;   in Loop: Header=BB1361_594 Depth=1
	s_or_b32 exec_lo, exec_lo, s14
	v_cmp_ge_u32_e64 s23, v21, v26
	s_mov_b32 s14, exec_lo
                                        ; implicit-def: $vgpr14_vgpr15
	v_cmpx_lt_u32_e64 v21, v26
; %bb.608:                              ;   in Loop: Header=BB1361_594 Depth=1
	v_lshlrev_b32_e32 v4, 3, v21
	ds_load_b64 v[14:15], v4
; %bb.609:                              ;   in Loop: Header=BB1361_594 Depth=1
	s_or_b32 exec_lo, exec_lo, s14
	s_nor_b32 s0, vcc_lo, s23
	s_delay_alu instid0(SALU_CYCLE_1)
	s_and_saveexec_b32 s24, s0
	s_cbranch_execz .LBB1361_618
; %bb.610:                              ;   in Loop: Header=BB1361_594 Depth=1
	v_cmp_ne_u32_e32 vcc_lo, 1, v45
	s_cbranch_vccnz .LBB1361_616
; %bb.611:                              ;   in Loop: Header=BB1361_594 Depth=1
	s_wait_dscnt 0x0
	v_mad_nc_u64_u32 v[4:5], s6, v14, s[18:19]
	v_mad_nc_u64_u32 v[6:7], s6, v2, s[18:19]
	s_mov_b32 s25, 0
	s_mov_b64 s[14:15], s[16:17]
                                        ; implicit-def: $sgpr26
                                        ; implicit-def: $sgpr27
                                        ; implicit-def: $sgpr28
                                        ; implicit-def: $sgpr29
	s_delay_alu instid0(VALU_DEP_2) | instskip(NEXT) | instid1(VALU_DEP_2)
	v_mad_u32 v5, s7, v14, v5
	v_mad_u32 v7, s7, v2, v7
	s_delay_alu instid0(VALU_DEP_2) | instskip(NEXT) | instid1(VALU_DEP_2)
	v_mad_u32 v5, s6, v15, v5
	v_mad_u32 v7, s6, v3, v7
	s_branch .LBB1361_613
.LBB1361_612:                           ;   in Loop: Header=BB1361_613 Depth=2
	s_or_b32 exec_lo, exec_lo, s30
	s_delay_alu instid0(SALU_CYCLE_1) | instskip(NEXT) | instid1(SALU_CYCLE_1)
	s_and_b32 s30, exec_lo, s27
	s_or_b32 s25, s30, s25
	s_and_not1_b32 s29, s29, exec_lo
	s_and_b32 s0, s0, exec_lo
	s_and_not1_b32 s26, s26, exec_lo
	s_and_b32 s30, s28, exec_lo
	s_or_b32 s29, s29, s0
	s_or_b32 s26, s26, s30
	s_and_not1_b32 exec_lo, exec_lo, s25
	s_cbranch_execz .LBB1361_615
.LBB1361_613:                           ;   Parent Loop BB1361_594 Depth=1
                                        ; =>  This Inner Loop Header: Depth=2
	global_load_u16 v8, v[4:5], off
	global_load_u16 v9, v[6:7], off
	s_and_not1_b32 s28, s28, exec_lo
	s_or_b32 s27, s27, exec_lo
	s_wait_loadcnt 0x0
	v_cmp_le_u16_e32 vcc_lo, v8, v9
	v_cmp_lt_u16_e64 s0, v8, v9
	s_and_b32 s30, vcc_lo, s29
	s_delay_alu instid0(SALU_CYCLE_1) | instskip(NEXT) | instid1(SALU_CYCLE_1)
	s_or_b32 s0, s0, s30
	s_and_b32 s30, s0, exec_lo
	s_delay_alu instid0(SALU_CYCLE_1)
	s_or_b32 s28, s28, s30
	s_mov_b32 s30, exec_lo
	v_cmpx_eq_u16_e64 v8, v9
	s_cbranch_execz .LBB1361_612
; %bb.614:                              ;   in Loop: Header=BB1361_613 Depth=2
	s_add_nc_u64 s[14:15], s[14:15], -1
	v_add_nc_u64_e32 v[4:5], 2, v[4:5]
	s_cmp_eq_u64 s[14:15], 0
	v_add_nc_u64_e32 v[6:7], 2, v[6:7]
	s_cselect_b32 s29, -1, 0
	s_and_not1_b32 s27, s27, exec_lo
	s_and_b32 s29, s29, exec_lo
	s_and_not1_b32 s28, s28, exec_lo
	s_or_b32 s27, s27, s29
                                        ; implicit-def: $sgpr29
	s_branch .LBB1361_612
.LBB1361_615:                           ;   in Loop: Header=BB1361_594 Depth=1
	s_or_b32 exec_lo, exec_lo, s25
	s_xor_b32 s0, s26, -1
	s_branch .LBB1361_617
.LBB1361_616:                           ;   in Loop: Header=BB1361_594 Depth=1
	s_mov_b32 s0, -1
.LBB1361_617:                           ;   in Loop: Header=BB1361_594 Depth=1
	s_and_not1_b32 s14, s23, exec_lo
	s_and_b32 s0, s0, exec_lo
	s_delay_alu instid0(SALU_CYCLE_1)
	s_or_b32 s23, s14, s0
.LBB1361_618:                           ;   in Loop: Header=BB1361_594 Depth=1
	s_or_b32 exec_lo, exec_lo, s24
	v_dual_cndmask_b32 v4, v21, v20, s23 :: v_dual_cndmask_b32 v5, v26, v25, s23
	s_mov_b32 s25, -1
	s_mov_b32 s24, -1
	s_mov_b32 s26, exec_lo
	s_delay_alu instid0(VALU_DEP_1) | instskip(NEXT) | instid1(VALU_DEP_1)
	v_add_nc_u32_e32 v6, 1, v4
	v_add_min_u32_e64 v4, v5, -1, v6
	s_delay_alu instid0(VALU_DEP_1)
	v_dual_lshlrev_b32 v4, 3, v4 :: v_dual_cndmask_b32 v8, v6, v21, s23
	v_cndmask_b32_e64 v9, v20, v6, s23
	ds_load_b64 v[4:5], v4
	s_wait_dscnt 0x0
	v_dual_cndmask_b32 v16, v5, v15, s23 :: v_dual_cndmask_b32 v20, v4, v14, s23
	v_dual_cndmask_b32 v17, v3, v5, s23 :: v_dual_cndmask_b32 v21, v2, v4, s23
	v_cmpx_lt_u32_e64 v8, v26
	s_cbranch_execz .LBB1361_629
; %bb.619:                              ;   in Loop: Header=BB1361_594 Depth=1
	s_mov_b32 s0, 0
	s_mov_b32 s24, exec_lo
	v_cmpx_lt_u32_e64 v9, v25
	s_cbranch_execz .LBB1361_628
; %bb.620:                              ;   in Loop: Header=BB1361_594 Depth=1
	v_cmp_ne_u32_e32 vcc_lo, 1, v45
	s_cbranch_vccnz .LBB1361_626
; %bb.621:                              ;   in Loop: Header=BB1361_594 Depth=1
	v_mad_nc_u64_u32 v[4:5], s6, v20, s[18:19]
	v_mad_nc_u64_u32 v[6:7], s6, v21, s[18:19]
	s_mov_b32 s27, 0
	s_mov_b64 s[14:15], s[16:17]
                                        ; implicit-def: $sgpr28
                                        ; implicit-def: $sgpr29
                                        ; implicit-def: $sgpr30
                                        ; implicit-def: $sgpr31
	s_delay_alu instid0(VALU_DEP_2) | instskip(NEXT) | instid1(VALU_DEP_2)
	v_mad_u32 v5, s7, v20, v5
	v_mad_u32 v7, s7, v21, v7
	s_delay_alu instid0(VALU_DEP_2) | instskip(NEXT) | instid1(VALU_DEP_2)
	v_mad_u32 v5, s6, v16, v5
	v_mad_u32 v7, s6, v17, v7
	s_branch .LBB1361_623
.LBB1361_622:                           ;   in Loop: Header=BB1361_623 Depth=2
	s_or_b32 exec_lo, exec_lo, s33
	s_delay_alu instid0(SALU_CYCLE_1) | instskip(NEXT) | instid1(SALU_CYCLE_1)
	s_and_b32 s33, exec_lo, s29
	s_or_b32 s27, s33, s27
	s_and_not1_b32 s31, s31, exec_lo
	s_and_b32 s0, s0, exec_lo
	s_and_not1_b32 s28, s28, exec_lo
	s_and_b32 s33, s30, exec_lo
	s_or_b32 s31, s31, s0
	s_or_b32 s28, s28, s33
	s_and_not1_b32 exec_lo, exec_lo, s27
	s_cbranch_execz .LBB1361_625
.LBB1361_623:                           ;   Parent Loop BB1361_594 Depth=1
                                        ; =>  This Inner Loop Header: Depth=2
	global_load_u16 v10, v[4:5], off
	global_load_u16 v11, v[6:7], off
	s_and_not1_b32 s30, s30, exec_lo
	s_or_b32 s29, s29, exec_lo
	s_wait_loadcnt 0x0
	v_cmp_le_u16_e32 vcc_lo, v10, v11
	v_cmp_lt_u16_e64 s0, v10, v11
	s_and_b32 s33, vcc_lo, s31
	s_delay_alu instid0(SALU_CYCLE_1) | instskip(NEXT) | instid1(SALU_CYCLE_1)
	s_or_b32 s0, s0, s33
	s_and_b32 s33, s0, exec_lo
	s_delay_alu instid0(SALU_CYCLE_1)
	s_or_b32 s30, s30, s33
	s_mov_b32 s33, exec_lo
	v_cmpx_eq_u16_e64 v10, v11
	s_cbranch_execz .LBB1361_622
; %bb.624:                              ;   in Loop: Header=BB1361_623 Depth=2
	s_add_nc_u64 s[14:15], s[14:15], -1
	v_add_nc_u64_e32 v[4:5], 2, v[4:5]
	s_cmp_eq_u64 s[14:15], 0
	v_add_nc_u64_e32 v[6:7], 2, v[6:7]
	s_cselect_b32 s31, -1, 0
	s_and_not1_b32 s29, s29, exec_lo
	s_and_b32 s31, s31, exec_lo
	s_and_not1_b32 s30, s30, exec_lo
	s_or_b32 s29, s29, s31
                                        ; implicit-def: $sgpr31
	s_branch .LBB1361_622
.LBB1361_625:                           ;   in Loop: Header=BB1361_594 Depth=1
	s_or_b32 exec_lo, exec_lo, s27
	s_xor_b32 s0, s28, -1
	s_branch .LBB1361_627
.LBB1361_626:                           ;   in Loop: Header=BB1361_594 Depth=1
	s_mov_b32 s0, -1
.LBB1361_627:                           ;   in Loop: Header=BB1361_594 Depth=1
	s_delay_alu instid0(SALU_CYCLE_1)
	s_and_b32 s0, s0, exec_lo
.LBB1361_628:                           ;   in Loop: Header=BB1361_594 Depth=1
	s_or_b32 exec_lo, exec_lo, s24
	s_delay_alu instid0(SALU_CYCLE_1)
	s_or_not1_b32 s24, s0, exec_lo
.LBB1361_629:                           ;   in Loop: Header=BB1361_594 Depth=1
	s_or_b32 exec_lo, exec_lo, s26
	v_cndmask_b32_e64 v4, v8, v9, s24
	v_cndmask_b32_e64 v5, v26, v25, s24
	s_mov_b32 s26, exec_lo
	s_delay_alu instid0(VALU_DEP_2) | instskip(NEXT) | instid1(VALU_DEP_1)
	v_add_nc_u32_e32 v6, 1, v4
	v_add_min_u32_e64 v4, v5, -1, v6
	v_dual_cndmask_b32 v8, v6, v8, s24 :: v_dual_cndmask_b32 v9, v9, v6, s24
	s_delay_alu instid0(VALU_DEP_2)
	v_lshlrev_b32_e32 v4, 3, v4
	ds_load_b64 v[4:5], v4
	s_wait_dscnt 0x0
	v_cndmask_b32_e64 v22, v5, v16, s24
	v_dual_cndmask_b32 v23, v4, v20, s24 :: v_dual_cndmask_b32 v27, v17, v5, s24
	v_cndmask_b32_e64 v28, v21, v4, s24
	v_cmpx_lt_u32_e64 v8, v26
	s_cbranch_execz .LBB1361_640
; %bb.630:                              ;   in Loop: Header=BB1361_594 Depth=1
	s_mov_b32 s0, 0
	s_mov_b32 s25, exec_lo
	v_cmpx_lt_u32_e64 v9, v25
	s_cbranch_execz .LBB1361_639
; %bb.631:                              ;   in Loop: Header=BB1361_594 Depth=1
	v_cmp_ne_u32_e32 vcc_lo, 1, v45
	s_cbranch_vccnz .LBB1361_637
; %bb.632:                              ;   in Loop: Header=BB1361_594 Depth=1
	v_mad_nc_u64_u32 v[4:5], s6, v23, s[18:19]
	v_mad_nc_u64_u32 v[6:7], s6, v28, s[18:19]
	s_mov_b32 s27, 0
	s_mov_b64 s[14:15], s[16:17]
                                        ; implicit-def: $sgpr28
                                        ; implicit-def: $sgpr29
                                        ; implicit-def: $sgpr30
                                        ; implicit-def: $sgpr31
	s_delay_alu instid0(VALU_DEP_2) | instskip(NEXT) | instid1(VALU_DEP_2)
	v_mad_u32 v5, s7, v23, v5
	v_mad_u32 v7, s7, v28, v7
	s_delay_alu instid0(VALU_DEP_2) | instskip(NEXT) | instid1(VALU_DEP_2)
	v_mad_u32 v5, s6, v22, v5
	v_mad_u32 v7, s6, v27, v7
	s_branch .LBB1361_634
.LBB1361_633:                           ;   in Loop: Header=BB1361_634 Depth=2
	s_or_b32 exec_lo, exec_lo, s33
	s_delay_alu instid0(SALU_CYCLE_1) | instskip(NEXT) | instid1(SALU_CYCLE_1)
	s_and_b32 s33, exec_lo, s29
	s_or_b32 s27, s33, s27
	s_and_not1_b32 s31, s31, exec_lo
	s_and_b32 s0, s0, exec_lo
	s_and_not1_b32 s28, s28, exec_lo
	s_and_b32 s33, s30, exec_lo
	s_or_b32 s31, s31, s0
	s_or_b32 s28, s28, s33
	s_and_not1_b32 exec_lo, exec_lo, s27
	s_cbranch_execz .LBB1361_636
.LBB1361_634:                           ;   Parent Loop BB1361_594 Depth=1
                                        ; =>  This Inner Loop Header: Depth=2
	global_load_u16 v10, v[4:5], off
	global_load_u16 v11, v[6:7], off
	s_and_not1_b32 s30, s30, exec_lo
	s_or_b32 s29, s29, exec_lo
	s_wait_loadcnt 0x0
	v_cmp_le_u16_e32 vcc_lo, v10, v11
	v_cmp_lt_u16_e64 s0, v10, v11
	s_and_b32 s33, vcc_lo, s31
	s_delay_alu instid0(SALU_CYCLE_1) | instskip(NEXT) | instid1(SALU_CYCLE_1)
	s_or_b32 s0, s0, s33
	s_and_b32 s33, s0, exec_lo
	s_delay_alu instid0(SALU_CYCLE_1)
	s_or_b32 s30, s30, s33
	s_mov_b32 s33, exec_lo
	v_cmpx_eq_u16_e64 v10, v11
	s_cbranch_execz .LBB1361_633
; %bb.635:                              ;   in Loop: Header=BB1361_634 Depth=2
	s_add_nc_u64 s[14:15], s[14:15], -1
	v_add_nc_u64_e32 v[4:5], 2, v[4:5]
	s_cmp_eq_u64 s[14:15], 0
	v_add_nc_u64_e32 v[6:7], 2, v[6:7]
	s_cselect_b32 s31, -1, 0
	s_and_not1_b32 s29, s29, exec_lo
	s_and_b32 s31, s31, exec_lo
	s_and_not1_b32 s30, s30, exec_lo
	s_or_b32 s29, s29, s31
                                        ; implicit-def: $sgpr31
	s_branch .LBB1361_633
.LBB1361_636:                           ;   in Loop: Header=BB1361_594 Depth=1
	s_or_b32 exec_lo, exec_lo, s27
	s_xor_b32 s0, s28, -1
	s_branch .LBB1361_638
.LBB1361_637:                           ;   in Loop: Header=BB1361_594 Depth=1
	s_mov_b32 s0, -1
.LBB1361_638:                           ;   in Loop: Header=BB1361_594 Depth=1
	s_delay_alu instid0(SALU_CYCLE_1)
	s_and_b32 s0, s0, exec_lo
.LBB1361_639:                           ;   in Loop: Header=BB1361_594 Depth=1
	s_or_b32 exec_lo, exec_lo, s25
	s_delay_alu instid0(SALU_CYCLE_1)
	s_or_not1_b32 s25, s0, exec_lo
.LBB1361_640:                           ;   in Loop: Header=BB1361_594 Depth=1
	s_or_b32 exec_lo, exec_lo, s26
	v_cndmask_b32_e64 v4, v8, v9, s25
	v_cndmask_b32_e64 v5, v26, v25, s25
	s_mov_b32 s27, -1
	s_mov_b32 s26, -1
	s_mov_b32 s28, exec_lo
	v_add_nc_u32_e32 v6, 1, v4
	s_delay_alu instid0(VALU_DEP_1) | instskip(SKIP_1) | instid1(VALU_DEP_2)
	v_add_min_u32_e64 v4, v5, -1, v6
	v_dual_cndmask_b32 v8, v6, v8, s25 :: v_dual_cndmask_b32 v9, v9, v6, s25
	v_lshlrev_b32_e32 v4, 3, v4
	ds_load_b64 v[4:5], v4
	s_wait_dscnt 0x0
	v_dual_cndmask_b32 v12, v5, v22, s25 :: v_dual_cndmask_b32 v29, v4, v23, s25
	v_dual_cndmask_b32 v13, v27, v5, s25 :: v_dual_cndmask_b32 v30, v28, v4, s25
	v_cmpx_lt_u32_e64 v8, v26
	s_cbranch_execz .LBB1361_651
; %bb.641:                              ;   in Loop: Header=BB1361_594 Depth=1
	s_mov_b32 s0, 0
	s_mov_b32 s26, exec_lo
	v_cmpx_lt_u32_e64 v9, v25
	s_cbranch_execz .LBB1361_650
; %bb.642:                              ;   in Loop: Header=BB1361_594 Depth=1
	v_cmp_ne_u32_e32 vcc_lo, 1, v45
	s_cbranch_vccnz .LBB1361_648
; %bb.643:                              ;   in Loop: Header=BB1361_594 Depth=1
	v_mad_nc_u64_u32 v[4:5], s6, v29, s[18:19]
	v_mad_nc_u64_u32 v[6:7], s6, v30, s[18:19]
	s_mov_b32 s29, 0
	s_mov_b64 s[14:15], s[16:17]
                                        ; implicit-def: $sgpr30
                                        ; implicit-def: $sgpr31
                                        ; implicit-def: $sgpr33
                                        ; implicit-def: $sgpr34
	s_delay_alu instid0(VALU_DEP_2) | instskip(NEXT) | instid1(VALU_DEP_2)
	v_mad_u32 v5, s7, v29, v5
	v_mad_u32 v7, s7, v30, v7
	s_delay_alu instid0(VALU_DEP_2) | instskip(NEXT) | instid1(VALU_DEP_2)
	v_mad_u32 v5, s6, v12, v5
	v_mad_u32 v7, s6, v13, v7
	s_branch .LBB1361_645
.LBB1361_644:                           ;   in Loop: Header=BB1361_645 Depth=2
	s_or_b32 exec_lo, exec_lo, s35
	s_delay_alu instid0(SALU_CYCLE_1) | instskip(NEXT) | instid1(SALU_CYCLE_1)
	s_and_b32 s35, exec_lo, s31
	s_or_b32 s29, s35, s29
	s_and_not1_b32 s34, s34, exec_lo
	s_and_b32 s0, s0, exec_lo
	s_and_not1_b32 s30, s30, exec_lo
	s_and_b32 s35, s33, exec_lo
	s_or_b32 s34, s34, s0
	s_or_b32 s30, s30, s35
	s_and_not1_b32 exec_lo, exec_lo, s29
	s_cbranch_execz .LBB1361_647
.LBB1361_645:                           ;   Parent Loop BB1361_594 Depth=1
                                        ; =>  This Inner Loop Header: Depth=2
	global_load_u16 v10, v[4:5], off
	global_load_u16 v11, v[6:7], off
	s_and_not1_b32 s33, s33, exec_lo
	s_or_b32 s31, s31, exec_lo
	s_wait_loadcnt 0x0
	v_cmp_le_u16_e32 vcc_lo, v10, v11
	v_cmp_lt_u16_e64 s0, v10, v11
	s_and_b32 s35, vcc_lo, s34
	s_delay_alu instid0(SALU_CYCLE_1) | instskip(NEXT) | instid1(SALU_CYCLE_1)
	s_or_b32 s0, s0, s35
	s_and_b32 s35, s0, exec_lo
	s_delay_alu instid0(SALU_CYCLE_1)
	s_or_b32 s33, s33, s35
	s_mov_b32 s35, exec_lo
	v_cmpx_eq_u16_e64 v10, v11
	s_cbranch_execz .LBB1361_644
; %bb.646:                              ;   in Loop: Header=BB1361_645 Depth=2
	s_add_nc_u64 s[14:15], s[14:15], -1
	v_add_nc_u64_e32 v[4:5], 2, v[4:5]
	s_cmp_eq_u64 s[14:15], 0
	v_add_nc_u64_e32 v[6:7], 2, v[6:7]
	s_cselect_b32 s34, -1, 0
	s_and_not1_b32 s31, s31, exec_lo
	s_and_b32 s34, s34, exec_lo
	s_and_not1_b32 s33, s33, exec_lo
	s_or_b32 s31, s31, s34
                                        ; implicit-def: $sgpr34
	s_branch .LBB1361_644
.LBB1361_647:                           ;   in Loop: Header=BB1361_594 Depth=1
	s_or_b32 exec_lo, exec_lo, s29
	s_xor_b32 s0, s30, -1
	s_branch .LBB1361_649
.LBB1361_648:                           ;   in Loop: Header=BB1361_594 Depth=1
	s_mov_b32 s0, -1
.LBB1361_649:                           ;   in Loop: Header=BB1361_594 Depth=1
	s_delay_alu instid0(SALU_CYCLE_1)
	s_and_b32 s0, s0, exec_lo
.LBB1361_650:                           ;   in Loop: Header=BB1361_594 Depth=1
	s_or_b32 exec_lo, exec_lo, s26
	s_delay_alu instid0(SALU_CYCLE_1)
	s_or_not1_b32 s26, s0, exec_lo
.LBB1361_651:                           ;   in Loop: Header=BB1361_594 Depth=1
	s_or_b32 exec_lo, exec_lo, s28
	v_cndmask_b32_e64 v4, v8, v9, s26
	v_cndmask_b32_e64 v5, v26, v25, s26
	s_mov_b32 s28, exec_lo
	s_delay_alu instid0(VALU_DEP_2) | instskip(NEXT) | instid1(VALU_DEP_1)
	v_add_nc_u32_e32 v6, 1, v4
	v_add_min_u32_e64 v4, v5, -1, v6
	v_dual_cndmask_b32 v8, v6, v8, s26 :: v_dual_cndmask_b32 v9, v9, v6, s26
	s_delay_alu instid0(VALU_DEP_2)
	v_lshlrev_b32_e32 v4, 3, v4
	ds_load_b64 v[4:5], v4
	s_wait_dscnt 0x0
	v_dual_cndmask_b32 v31, v5, v12, s26 :: v_dual_cndmask_b32 v32, v4, v29, s26
	v_dual_cndmask_b32 v33, v13, v5, s26 :: v_dual_cndmask_b32 v34, v30, v4, s26
	v_cmpx_lt_u32_e64 v8, v26
	s_cbranch_execz .LBB1361_662
; %bb.652:                              ;   in Loop: Header=BB1361_594 Depth=1
	s_mov_b32 s0, 0
	s_mov_b32 s27, exec_lo
	v_cmpx_lt_u32_e64 v9, v25
	s_cbranch_execz .LBB1361_661
; %bb.653:                              ;   in Loop: Header=BB1361_594 Depth=1
	v_cmp_ne_u32_e32 vcc_lo, 1, v45
	s_cbranch_vccnz .LBB1361_659
; %bb.654:                              ;   in Loop: Header=BB1361_594 Depth=1
	v_mad_nc_u64_u32 v[4:5], s6, v32, s[18:19]
	v_mad_nc_u64_u32 v[6:7], s6, v34, s[18:19]
	s_mov_b32 s29, 0
	s_mov_b64 s[14:15], s[16:17]
                                        ; implicit-def: $sgpr30
                                        ; implicit-def: $sgpr31
                                        ; implicit-def: $sgpr33
                                        ; implicit-def: $sgpr34
	s_delay_alu instid0(VALU_DEP_2) | instskip(NEXT) | instid1(VALU_DEP_2)
	v_mad_u32 v5, s7, v32, v5
	v_mad_u32 v7, s7, v34, v7
	s_delay_alu instid0(VALU_DEP_2) | instskip(NEXT) | instid1(VALU_DEP_2)
	v_mad_u32 v5, s6, v31, v5
	v_mad_u32 v7, s6, v33, v7
	s_branch .LBB1361_656
.LBB1361_655:                           ;   in Loop: Header=BB1361_656 Depth=2
	s_or_b32 exec_lo, exec_lo, s35
	s_delay_alu instid0(SALU_CYCLE_1) | instskip(NEXT) | instid1(SALU_CYCLE_1)
	s_and_b32 s35, exec_lo, s31
	s_or_b32 s29, s35, s29
	s_and_not1_b32 s34, s34, exec_lo
	s_and_b32 s0, s0, exec_lo
	s_and_not1_b32 s30, s30, exec_lo
	s_and_b32 s35, s33, exec_lo
	s_or_b32 s34, s34, s0
	s_or_b32 s30, s30, s35
	s_and_not1_b32 exec_lo, exec_lo, s29
	s_cbranch_execz .LBB1361_658
.LBB1361_656:                           ;   Parent Loop BB1361_594 Depth=1
                                        ; =>  This Inner Loop Header: Depth=2
	global_load_u16 v10, v[4:5], off
	global_load_u16 v11, v[6:7], off
	s_and_not1_b32 s33, s33, exec_lo
	s_or_b32 s31, s31, exec_lo
	s_wait_loadcnt 0x0
	v_cmp_le_u16_e32 vcc_lo, v10, v11
	v_cmp_lt_u16_e64 s0, v10, v11
	s_and_b32 s35, vcc_lo, s34
	s_delay_alu instid0(SALU_CYCLE_1) | instskip(NEXT) | instid1(SALU_CYCLE_1)
	s_or_b32 s0, s0, s35
	s_and_b32 s35, s0, exec_lo
	s_delay_alu instid0(SALU_CYCLE_1)
	s_or_b32 s33, s33, s35
	s_mov_b32 s35, exec_lo
	v_cmpx_eq_u16_e64 v10, v11
	s_cbranch_execz .LBB1361_655
; %bb.657:                              ;   in Loop: Header=BB1361_656 Depth=2
	s_add_nc_u64 s[14:15], s[14:15], -1
	v_add_nc_u64_e32 v[4:5], 2, v[4:5]
	s_cmp_eq_u64 s[14:15], 0
	v_add_nc_u64_e32 v[6:7], 2, v[6:7]
	s_cselect_b32 s34, -1, 0
	s_and_not1_b32 s31, s31, exec_lo
	s_and_b32 s34, s34, exec_lo
	s_and_not1_b32 s33, s33, exec_lo
	s_or_b32 s31, s31, s34
                                        ; implicit-def: $sgpr34
	s_branch .LBB1361_655
.LBB1361_658:                           ;   in Loop: Header=BB1361_594 Depth=1
	s_or_b32 exec_lo, exec_lo, s29
	s_xor_b32 s0, s30, -1
	s_branch .LBB1361_660
.LBB1361_659:                           ;   in Loop: Header=BB1361_594 Depth=1
	s_mov_b32 s0, -1
.LBB1361_660:                           ;   in Loop: Header=BB1361_594 Depth=1
	s_delay_alu instid0(SALU_CYCLE_1)
	s_and_b32 s0, s0, exec_lo
.LBB1361_661:                           ;   in Loop: Header=BB1361_594 Depth=1
	s_or_b32 exec_lo, exec_lo, s27
	s_delay_alu instid0(SALU_CYCLE_1)
	s_or_not1_b32 s27, s0, exec_lo
.LBB1361_662:                           ;   in Loop: Header=BB1361_594 Depth=1
	s_or_b32 exec_lo, exec_lo, s28
	v_cndmask_b32_e64 v4, v8, v9, s27
	v_cndmask_b32_e64 v5, v26, v25, s27
	s_mov_b32 s28, -1
	s_mov_b32 s29, -1
	s_mov_b32 s30, exec_lo
	v_add_nc_u32_e32 v6, 1, v4
	s_delay_alu instid0(VALU_DEP_1) | instskip(SKIP_1) | instid1(VALU_DEP_2)
	v_add_min_u32_e64 v4, v5, -1, v6
	v_dual_cndmask_b32 v8, v6, v8, s27 :: v_dual_cndmask_b32 v9, v9, v6, s27
	v_lshlrev_b32_e32 v4, 3, v4
	ds_load_b64 v[4:5], v4
	s_wait_dscnt 0x0
	v_dual_cndmask_b32 v35, v5, v31, s27 :: v_dual_cndmask_b32 v46, v4, v32, s27
	v_dual_cndmask_b32 v47, v33, v5, s27 :: v_dual_cndmask_b32 v48, v34, v4, s27
	v_cmpx_lt_u32_e64 v8, v26
	s_cbranch_execz .LBB1361_673
; %bb.663:                              ;   in Loop: Header=BB1361_594 Depth=1
	s_mov_b32 s0, 0
	s_mov_b32 s29, exec_lo
	v_cmpx_lt_u32_e64 v9, v25
	s_cbranch_execz .LBB1361_672
; %bb.664:                              ;   in Loop: Header=BB1361_594 Depth=1
	v_cmp_ne_u32_e32 vcc_lo, 1, v45
	s_cbranch_vccnz .LBB1361_670
; %bb.665:                              ;   in Loop: Header=BB1361_594 Depth=1
	v_mad_nc_u64_u32 v[4:5], s6, v46, s[18:19]
	v_mad_nc_u64_u32 v[6:7], s6, v48, s[18:19]
	s_mov_b32 s31, 0
	s_mov_b64 s[14:15], s[16:17]
                                        ; implicit-def: $sgpr33
                                        ; implicit-def: $sgpr34
                                        ; implicit-def: $sgpr35
                                        ; implicit-def: $sgpr36
	s_delay_alu instid0(VALU_DEP_2) | instskip(NEXT) | instid1(VALU_DEP_2)
	v_mad_u32 v5, s7, v46, v5
	v_mad_u32 v7, s7, v48, v7
	s_delay_alu instid0(VALU_DEP_2) | instskip(NEXT) | instid1(VALU_DEP_2)
	v_mad_u32 v5, s6, v35, v5
	v_mad_u32 v7, s6, v47, v7
	s_branch .LBB1361_667
.LBB1361_666:                           ;   in Loop: Header=BB1361_667 Depth=2
	s_or_b32 exec_lo, exec_lo, s37
	s_delay_alu instid0(SALU_CYCLE_1) | instskip(NEXT) | instid1(SALU_CYCLE_1)
	s_and_b32 s37, exec_lo, s34
	s_or_b32 s31, s37, s31
	s_and_not1_b32 s36, s36, exec_lo
	s_and_b32 s0, s0, exec_lo
	s_and_not1_b32 s33, s33, exec_lo
	s_and_b32 s37, s35, exec_lo
	s_or_b32 s36, s36, s0
	s_or_b32 s33, s33, s37
	s_and_not1_b32 exec_lo, exec_lo, s31
	s_cbranch_execz .LBB1361_669
.LBB1361_667:                           ;   Parent Loop BB1361_594 Depth=1
                                        ; =>  This Inner Loop Header: Depth=2
	global_load_u16 v10, v[4:5], off
	global_load_u16 v11, v[6:7], off
	s_and_not1_b32 s35, s35, exec_lo
	s_or_b32 s34, s34, exec_lo
	s_wait_loadcnt 0x0
	v_cmp_le_u16_e32 vcc_lo, v10, v11
	v_cmp_lt_u16_e64 s0, v10, v11
	s_and_b32 s37, vcc_lo, s36
	s_delay_alu instid0(SALU_CYCLE_1) | instskip(NEXT) | instid1(SALU_CYCLE_1)
	s_or_b32 s0, s0, s37
	s_and_b32 s37, s0, exec_lo
	s_delay_alu instid0(SALU_CYCLE_1)
	s_or_b32 s35, s35, s37
	s_mov_b32 s37, exec_lo
	v_cmpx_eq_u16_e64 v10, v11
	s_cbranch_execz .LBB1361_666
; %bb.668:                              ;   in Loop: Header=BB1361_667 Depth=2
	s_add_nc_u64 s[14:15], s[14:15], -1
	v_add_nc_u64_e32 v[4:5], 2, v[4:5]
	s_cmp_eq_u64 s[14:15], 0
	v_add_nc_u64_e32 v[6:7], 2, v[6:7]
	s_cselect_b32 s36, -1, 0
	s_and_not1_b32 s34, s34, exec_lo
	s_and_b32 s36, s36, exec_lo
	s_and_not1_b32 s35, s35, exec_lo
	s_or_b32 s34, s34, s36
                                        ; implicit-def: $sgpr36
	s_branch .LBB1361_666
.LBB1361_669:                           ;   in Loop: Header=BB1361_594 Depth=1
	s_or_b32 exec_lo, exec_lo, s31
	s_xor_b32 s0, s33, -1
	s_branch .LBB1361_671
.LBB1361_670:                           ;   in Loop: Header=BB1361_594 Depth=1
	s_mov_b32 s0, -1
.LBB1361_671:                           ;   in Loop: Header=BB1361_594 Depth=1
	s_delay_alu instid0(SALU_CYCLE_1)
	s_and_b32 s0, s0, exec_lo
.LBB1361_672:                           ;   in Loop: Header=BB1361_594 Depth=1
	s_or_b32 exec_lo, exec_lo, s29
	s_delay_alu instid0(SALU_CYCLE_1)
	s_or_not1_b32 s29, s0, exec_lo
.LBB1361_673:                           ;   in Loop: Header=BB1361_594 Depth=1
	s_or_b32 exec_lo, exec_lo, s30
	v_cndmask_b32_e64 v4, v8, v9, s29
	v_cndmask_b32_e64 v5, v26, v25, s29
	s_mov_b32 s30, exec_lo
	s_delay_alu instid0(VALU_DEP_2) | instskip(NEXT) | instid1(VALU_DEP_1)
	v_add_nc_u32_e32 v6, 1, v4
	v_add_min_u32_e64 v4, v5, -1, v6
	v_dual_cndmask_b32 v10, v6, v8, s29 :: v_dual_cndmask_b32 v8, v9, v6, s29
	s_delay_alu instid0(VALU_DEP_2)
	v_lshlrev_b32_e32 v4, 3, v4
	ds_load_b64 v[4:5], v4
	s_wait_dscnt 0x0
	v_dual_cndmask_b32 v49, v5, v35, s29 :: v_dual_cndmask_b32 v50, v4, v46, s29
	v_dual_cndmask_b32 v51, v47, v5, s29 :: v_dual_cndmask_b32 v52, v48, v4, s29
	v_cmpx_lt_u32_e64 v10, v26
	s_cbranch_execz .LBB1361_684
; %bb.674:                              ;   in Loop: Header=BB1361_594 Depth=1
	s_mov_b32 s0, 0
	s_mov_b32 s28, exec_lo
	v_cmpx_lt_u32_e64 v8, v25
	s_cbranch_execz .LBB1361_683
; %bb.675:                              ;   in Loop: Header=BB1361_594 Depth=1
	v_cmp_ne_u32_e32 vcc_lo, 1, v45
	s_cbranch_vccnz .LBB1361_681
; %bb.676:                              ;   in Loop: Header=BB1361_594 Depth=1
	v_mad_nc_u64_u32 v[4:5], s6, v50, s[18:19]
	v_mad_nc_u64_u32 v[6:7], s6, v52, s[18:19]
	s_mov_b32 s31, 0
	s_mov_b64 s[14:15], s[16:17]
                                        ; implicit-def: $sgpr33
                                        ; implicit-def: $sgpr34
                                        ; implicit-def: $sgpr35
                                        ; implicit-def: $sgpr36
	s_delay_alu instid0(VALU_DEP_2) | instskip(NEXT) | instid1(VALU_DEP_2)
	v_mad_u32 v5, s7, v50, v5
	v_mad_u32 v7, s7, v52, v7
	s_delay_alu instid0(VALU_DEP_2) | instskip(NEXT) | instid1(VALU_DEP_2)
	v_mad_u32 v5, s6, v49, v5
	v_mad_u32 v7, s6, v51, v7
	s_branch .LBB1361_678
.LBB1361_677:                           ;   in Loop: Header=BB1361_678 Depth=2
	s_or_b32 exec_lo, exec_lo, s37
	s_delay_alu instid0(SALU_CYCLE_1) | instskip(NEXT) | instid1(SALU_CYCLE_1)
	s_and_b32 s37, exec_lo, s34
	s_or_b32 s31, s37, s31
	s_and_not1_b32 s36, s36, exec_lo
	s_and_b32 s0, s0, exec_lo
	s_and_not1_b32 s33, s33, exec_lo
	s_and_b32 s37, s35, exec_lo
	s_or_b32 s36, s36, s0
	s_or_b32 s33, s33, s37
	s_and_not1_b32 exec_lo, exec_lo, s31
	s_cbranch_execz .LBB1361_680
.LBB1361_678:                           ;   Parent Loop BB1361_594 Depth=1
                                        ; =>  This Inner Loop Header: Depth=2
	global_load_u16 v9, v[4:5], off
	global_load_u16 v11, v[6:7], off
	s_and_not1_b32 s35, s35, exec_lo
	s_or_b32 s34, s34, exec_lo
	s_wait_loadcnt 0x0
	v_cmp_le_u16_e32 vcc_lo, v9, v11
	v_cmp_lt_u16_e64 s0, v9, v11
	s_and_b32 s37, vcc_lo, s36
	s_delay_alu instid0(SALU_CYCLE_1) | instskip(NEXT) | instid1(SALU_CYCLE_1)
	s_or_b32 s0, s0, s37
	s_and_b32 s37, s0, exec_lo
	s_delay_alu instid0(SALU_CYCLE_1)
	s_or_b32 s35, s35, s37
	s_mov_b32 s37, exec_lo
	v_cmpx_eq_u16_e64 v9, v11
	s_cbranch_execz .LBB1361_677
; %bb.679:                              ;   in Loop: Header=BB1361_678 Depth=2
	s_add_nc_u64 s[14:15], s[14:15], -1
	v_add_nc_u64_e32 v[4:5], 2, v[4:5]
	s_cmp_eq_u64 s[14:15], 0
	v_add_nc_u64_e32 v[6:7], 2, v[6:7]
	s_cselect_b32 s36, -1, 0
	s_and_not1_b32 s34, s34, exec_lo
	s_and_b32 s36, s36, exec_lo
	s_and_not1_b32 s35, s35, exec_lo
	s_or_b32 s34, s34, s36
                                        ; implicit-def: $sgpr36
	s_branch .LBB1361_677
.LBB1361_680:                           ;   in Loop: Header=BB1361_594 Depth=1
	s_or_b32 exec_lo, exec_lo, s31
	s_xor_b32 s0, s33, -1
	s_branch .LBB1361_682
.LBB1361_681:                           ;   in Loop: Header=BB1361_594 Depth=1
	s_mov_b32 s0, -1
.LBB1361_682:                           ;   in Loop: Header=BB1361_594 Depth=1
	s_delay_alu instid0(SALU_CYCLE_1)
	s_and_b32 s0, s0, exec_lo
.LBB1361_683:                           ;   in Loop: Header=BB1361_594 Depth=1
	s_or_b32 exec_lo, exec_lo, s28
	s_delay_alu instid0(SALU_CYCLE_1)
	s_or_not1_b32 s28, s0, exec_lo
.LBB1361_684:                           ;   in Loop: Header=BB1361_594 Depth=1
	s_or_b32 exec_lo, exec_lo, s30
	v_cndmask_b32_e64 v4, v10, v8, s28
	v_cndmask_b32_e64 v5, v26, v25, s28
	s_mov_b32 s30, exec_lo
	s_delay_alu instid0(VALU_DEP_2) | instskip(NEXT) | instid1(VALU_DEP_1)
	v_add_nc_u32_e32 v9, 1, v4
	v_add_min_u32_e64 v4, v5, -1, v9
	s_delay_alu instid0(VALU_DEP_1)
	v_dual_cndmask_b32 v10, v9, v10, s28 :: v_dual_lshlrev_b32 v4, 3, v4
	ds_load_b64 v[6:7], v4
	s_wait_dscnt 0x0
	v_dual_cndmask_b32 v5, v51, v7, s28 :: v_dual_cndmask_b32 v4, v52, v6, s28
	v_cmpx_lt_u32_e64 v10, v26
	s_cbranch_execz .LBB1361_694
; %bb.685:                              ;   in Loop: Header=BB1361_594 Depth=1
	v_dual_cndmask_b32 v8, v8, v9, s28 :: v_dual_cndmask_b32 v6, v6, v50, s28
	v_cndmask_b32_e64 v7, v7, v49, s28
	s_mov_b32 s31, exec_lo
	s_delay_alu instid0(VALU_DEP_2)
	v_cmpx_lt_u32_e64 v8, v25
	s_cbranch_execz .LBB1361_693
; %bb.686:                              ;   in Loop: Header=BB1361_594 Depth=1
	v_cmp_ne_u32_e32 vcc_lo, 1, v45
	s_cbranch_vccnz .LBB1361_692
; %bb.687:                              ;   in Loop: Header=BB1361_594 Depth=1
	v_mad_nc_u64_u32 v[8:9], s6, v6, s[18:19]
	v_mad_nc_u64_u32 v[10:11], s6, v4, s[18:19]
	s_mov_b32 s33, 0
	s_mov_b64 s[14:15], s[16:17]
                                        ; implicit-def: $sgpr34
                                        ; implicit-def: $sgpr35
                                        ; implicit-def: $sgpr36
                                        ; implicit-def: $sgpr37
	s_delay_alu instid0(VALU_DEP_2) | instskip(NEXT) | instid1(VALU_DEP_2)
	v_mad_u32 v9, s7, v6, v9
	v_mad_u32 v11, s7, v4, v11
	s_delay_alu instid0(VALU_DEP_2) | instskip(NEXT) | instid1(VALU_DEP_2)
	v_mad_u32 v9, s6, v7, v9
	v_mad_u32 v11, s6, v5, v11
	s_branch .LBB1361_689
.LBB1361_688:                           ;   in Loop: Header=BB1361_689 Depth=2
	s_or_b32 exec_lo, exec_lo, s38
	s_delay_alu instid0(SALU_CYCLE_1) | instskip(NEXT) | instid1(SALU_CYCLE_1)
	s_and_b32 s38, exec_lo, s35
	s_or_b32 s33, s38, s33
	s_and_not1_b32 s37, s37, exec_lo
	s_and_b32 s0, s0, exec_lo
	s_and_not1_b32 s34, s34, exec_lo
	s_and_b32 s38, s36, exec_lo
	s_or_b32 s37, s37, s0
	s_or_b32 s34, s34, s38
	s_and_not1_b32 exec_lo, exec_lo, s33
	s_cbranch_execz .LBB1361_691
.LBB1361_689:                           ;   Parent Loop BB1361_594 Depth=1
                                        ; =>  This Inner Loop Header: Depth=2
	global_load_u16 v25, v[8:9], off
	global_load_u16 v26, v[10:11], off
	s_and_not1_b32 s36, s36, exec_lo
	s_or_b32 s35, s35, exec_lo
	s_wait_loadcnt 0x0
	v_cmp_le_u16_e32 vcc_lo, v25, v26
	v_cmp_lt_u16_e64 s0, v25, v26
	s_and_b32 s38, vcc_lo, s37
	s_delay_alu instid0(SALU_CYCLE_1) | instskip(NEXT) | instid1(SALU_CYCLE_1)
	s_or_b32 s0, s0, s38
	s_and_b32 s38, s0, exec_lo
	s_delay_alu instid0(SALU_CYCLE_1)
	s_or_b32 s36, s36, s38
	s_mov_b32 s38, exec_lo
	v_cmpx_eq_u16_e64 v25, v26
	s_cbranch_execz .LBB1361_688
; %bb.690:                              ;   in Loop: Header=BB1361_689 Depth=2
	s_add_nc_u64 s[14:15], s[14:15], -1
	v_add_nc_u64_e32 v[8:9], 2, v[8:9]
	s_cmp_eq_u64 s[14:15], 0
	v_add_nc_u64_e32 v[10:11], 2, v[10:11]
	s_cselect_b32 s37, -1, 0
	s_and_not1_b32 s35, s35, exec_lo
	s_and_b32 s37, s37, exec_lo
	s_and_not1_b32 s36, s36, exec_lo
	s_or_b32 s35, s35, s37
                                        ; implicit-def: $sgpr37
	s_branch .LBB1361_688
.LBB1361_691:                           ;   in Loop: Header=BB1361_594 Depth=1
	s_or_b32 exec_lo, exec_lo, s33
	v_dual_cndmask_b32 v5, v5, v7, s34 :: v_dual_cndmask_b32 v4, v4, v6, s34
.LBB1361_692:                           ;   in Loop: Header=BB1361_594 Depth=1
	s_delay_alu instid0(VALU_DEP_1)
	v_mov_b64_e32 v[6:7], v[4:5]
.LBB1361_693:                           ;   in Loop: Header=BB1361_594 Depth=1
	s_or_b32 exec_lo, exec_lo, s31
	s_delay_alu instid0(VALU_DEP_1)
	v_mov_b64_e32 v[4:5], v[6:7]
.LBB1361_694:                           ;   in Loop: Header=BB1361_594 Depth=1
	s_or_b32 exec_lo, exec_lo, s30
	v_dual_cndmask_b32 v9, v35, v47, s29 :: v_dual_cndmask_b32 v8, v46, v48, s29
	v_dual_cndmask_b32 v7, v31, v33, s27 :: v_dual_cndmask_b32 v6, v32, v34, s27
	;; [unrolled: 1-line block ×7, first 2 shown]
.LBB1361_695:                           ;   in Loop: Header=BB1361_594 Depth=1
	s_or_b32 exec_lo, exec_lo, s22
	s_cmp_lt_u32 s1, 0x400
	s_barrier_signal -1
	s_barrier_wait -1
	s_cbranch_scc0 .LBB1361_697
; %bb.696:                              ;   in Loop: Header=BB1361_594 Depth=1
	s_mov_b32 s1, s5
	s_branch .LBB1361_594
.LBB1361_697:
	s_barrier_signal -1
	s_barrier_wait -1
	ds_store_2addr_b64 v44, v[14:15], v[16:17] offset1:1
	ds_store_2addr_b64 v44, v[10:11], v[12:13] offset0:2 offset1:3
	ds_store_2addr_b64 v44, v[6:7], v[8:9] offset0:4 offset1:5
	;; [unrolled: 1-line block ×3, first 2 shown]
	s_wait_dscnt 0x0
	s_barrier_signal -1
	s_barrier_wait -1
	ds_load_b64 v[4:5], v36
	ds_load_b64 v[6:7], v37 offset:2048
	ds_load_b64 v[8:9], v38 offset:4096
	;; [unrolled: 1-line block ×7, first 2 shown]
	s_mov_b32 s24, -1
	s_wait_dscnt 0x7
	global_store_b64 v18, v[4:5], s[20:21] scale_offset
	s_wait_dscnt 0x6
	global_store_b64 v18, v[6:7], s[20:21] offset:2048 scale_offset
	s_wait_dscnt 0x5
	global_store_b64 v18, v[8:9], s[20:21] offset:4096 scale_offset
	;; [unrolled: 2-line block ×6, first 2 shown]
	s_branch .LBB1361_1484
.LBB1361_698:
	s_lshl_b64 s[0:1], s[2:3], 11
                                        ; implicit-def: $vgpr2_vgpr3
	s_delay_alu instid0(SALU_CYCLE_1) | instskip(NEXT) | instid1(SALU_CYCLE_1)
	s_sub_co_i32 s25, s4, s0
	v_cmp_gt_u32_e64 s0, s25, v18
	s_wait_xcnt 0x0
	s_and_saveexec_b32 s1, s0
	s_cbranch_execz .LBB1361_700
; %bb.699:
	s_wait_dscnt 0x0
	global_load_b64 v[2:3], v18, s[12:13] scale_offset
.LBB1361_700:
	s_wait_xcnt 0x0
	s_or_b32 exec_lo, exec_lo, s1
	v_add_nc_u32_e32 v1, 0x100, v18
                                        ; implicit-def: $vgpr4_vgpr5
	s_delay_alu instid0(VALU_DEP_1)
	v_cmp_gt_u32_e64 s1, s25, v1
	s_and_saveexec_b32 s2, s1
	s_cbranch_execz .LBB1361_702
; %bb.701:
	global_load_b64 v[4:5], v18, s[12:13] offset:2048 scale_offset
.LBB1361_702:
	s_wait_xcnt 0x0
	s_or_b32 exec_lo, exec_lo, s2
	v_add_nc_u32_e32 v19, 0x200, v18
                                        ; implicit-def: $vgpr6_vgpr7
	s_delay_alu instid0(VALU_DEP_1)
	v_cmp_gt_u32_e64 s2, s25, v19
	s_and_saveexec_b32 s3, s2
	s_cbranch_execz .LBB1361_704
; %bb.703:
	global_load_b64 v[6:7], v18, s[12:13] offset:4096 scale_offset
.LBB1361_704:
	s_wait_xcnt 0x0
	s_or_b32 exec_lo, exec_lo, s3
	v_add_nc_u32_e32 v20, 0x300, v18
                                        ; implicit-def: $vgpr10_vgpr11
	s_delay_alu instid0(VALU_DEP_1)
	v_cmp_gt_u32_e64 s3, s25, v20
	s_and_saveexec_b32 s4, s3
	s_cbranch_execz .LBB1361_706
; %bb.705:
	global_load_b64 v[10:11], v18, s[12:13] offset:6144 scale_offset
.LBB1361_706:
	s_wait_xcnt 0x0
	s_or_b32 exec_lo, exec_lo, s4
	v_or_b32_e32 v22, 0x400, v18
                                        ; implicit-def: $vgpr8_vgpr9
	s_delay_alu instid0(VALU_DEP_1)
	v_cmp_gt_u32_e64 s4, s25, v22
	s_and_saveexec_b32 s5, s4
	s_cbranch_execz .LBB1361_708
; %bb.707:
	global_load_b64 v[8:9], v18, s[12:13] offset:8192 scale_offset
.LBB1361_708:
	s_wait_xcnt 0x0
	s_or_b32 exec_lo, exec_lo, s5
	v_add_nc_u32_e32 v23, 0x500, v18
                                        ; implicit-def: $vgpr12_vgpr13
	s_delay_alu instid0(VALU_DEP_1)
	v_cmp_gt_u32_e64 s5, s25, v23
	s_and_saveexec_b32 s6, s5
	s_cbranch_execz .LBB1361_710
; %bb.709:
	global_load_b64 v[12:13], v18, s[12:13] offset:10240 scale_offset
.LBB1361_710:
	s_wait_xcnt 0x0
	s_or_b32 exec_lo, exec_lo, s6
	v_add_nc_u32_e32 v24, 0x600, v18
                                        ; implicit-def: $vgpr14_vgpr15
	s_delay_alu instid0(VALU_DEP_1)
	v_cmp_gt_u32_e64 s6, s25, v24
	s_and_saveexec_b32 s7, s6
	s_cbranch_execz .LBB1361_712
; %bb.711:
	global_load_b64 v[14:15], v18, s[12:13] offset:12288 scale_offset
.LBB1361_712:
	s_wait_xcnt 0x0
	s_or_b32 exec_lo, exec_lo, s7
	v_add_nc_u32_e32 v25, 0x700, v18
                                        ; implicit-def: $vgpr16_vgpr17
	s_delay_alu instid0(VALU_DEP_1)
	v_cmp_gt_u32_e64 s24, s25, v25
	s_and_saveexec_b32 s7, s24
	s_cbranch_execz .LBB1361_714
; %bb.713:
	global_load_b64 v[16:17], v18, s[12:13] offset:14336 scale_offset
.LBB1361_714:
	s_wait_xcnt 0x0
	s_or_b32 exec_lo, exec_lo, s7
	v_dual_lshrrev_b32 v21, 2, v18 :: v_dual_lshrrev_b32 v1, 2, v1
	v_dual_lshrrev_b32 v19, 2, v19 :: v_dual_lshrrev_b32 v26, 2, v20
	v_lshlrev_b32_e32 v20, 3, v18
	s_delay_alu instid0(VALU_DEP_3) | instskip(NEXT) | instid1(VALU_DEP_4)
	v_and_b32_e32 v21, 0xf8, v21
	v_and_b32_e32 v1, 0x1f8, v1
	s_delay_alu instid0(VALU_DEP_4)
	v_and_b32_e32 v27, 0x1f8, v19
	v_and_b32_e32 v26, 0x1f8, v26
	s_cmp_lt_u32 s9, s8
	v_add_nc_u32_e32 v19, v21, v20
	v_dual_add_nc_u32 v21, v1, v20 :: v_dual_lshrrev_b32 v1, 2, v22
	v_dual_lshrrev_b32 v22, 2, v23 :: v_dual_add_nc_u32 v36, v27, v20
	v_add_nc_u32_e32 v37, v26, v20
	v_dual_lshrrev_b32 v23, 2, v24 :: v_dual_lshrrev_b32 v24, 2, v25
	s_wait_loadcnt_dscnt 0x0
	ds_store_b64 v19, v[2:3]
	ds_store_b64 v21, v[4:5] offset:2048
	ds_store_b64 v36, v[6:7] offset:4096
	;; [unrolled: 1-line block ×3, first 2 shown]
	v_and_b32_e32 v1, 0x1f8, v1
	v_lshlrev_b32_e32 v5, 1, v18
	v_and_b32_e32 v2, 0x3f8, v22
	v_and_b32_e32 v3, 0x3f8, v23
	;; [unrolled: 1-line block ×3, first 2 shown]
	v_add_nc_u32_e32 v38, v1, v20
	v_and_b32_e32 v1, 0x7f8, v5
	s_delay_alu instid0(VALU_DEP_4) | instskip(NEXT) | instid1(VALU_DEP_4)
	v_dual_add_nc_u32 v39, v2, v20 :: v_dual_add_nc_u32 v40, v3, v20
	v_add_nc_u32_e32 v41, v4, v20
	ds_store_b64 v38, v[8:9] offset:8192
	ds_store_b64 v39, v[12:13] offset:10240
	;; [unrolled: 1-line block ×4, first 2 shown]
	v_lshl_add_u32 v42, v18, 6, v1
	s_wait_storecnt_dscnt 0x0
	s_barrier_signal -1
	s_barrier_wait -1
	ds_load_2addr_b64 v[14:17], v42 offset1:1
	ds_load_2addr_b64 v[10:13], v42 offset0:2 offset1:3
	ds_load_2addr_b64 v[6:9], v42 offset0:4 offset1:5
	;; [unrolled: 1-line block ×3, first 2 shown]
	s_wait_dscnt 0x0
	s_barrier_signal -1
	s_barrier_wait -1
	s_load_u16 s7, s[10:11], 0xe
	s_cselect_b32 s8, 12, 18
	s_mov_b32 s9, 0
	v_bfe_u32 v1, v0, 10, 10
	s_add_nc_u64 s[8:9], s[10:11], s[8:9]
	v_bfe_u32 v0, v0, 20, 10
	s_load_u16 s8, s[8:9], 0x0
	v_cmp_gt_i64_e64 s26, s[16:17], 0
	s_wait_kmcnt 0x0
	s_delay_alu instid0(VALU_DEP_2) | instskip(NEXT) | instid1(VALU_DEP_1)
	v_mad_u32_u24 v0, v0, s7, v1
	v_mul_lo_u32 v0, v0, s8
	s_delay_alu instid0(VALU_DEP_1) | instskip(NEXT) | instid1(VALU_DEP_1)
	v_add_lshl_u32 v24, v0, v18, 3
	v_sub_nc_u32_e64 v25, s25, v24 clamp
	s_delay_alu instid0(VALU_DEP_1)
	v_cmp_lt_u32_e64 s7, 1, v25
	s_and_saveexec_b32 s12, s7
	s_cbranch_execz .LBB1361_723
; %bb.715:
	s_and_not1_b32 vcc_lo, exec_lo, s26
	s_cbranch_vccnz .LBB1361_723
; %bb.716:
	v_mul_u64_e32 v[0:1], s[16:17], v[16:17]
	v_mul_u64_e32 v[22:23], s[16:17], v[14:15]
	s_mov_b32 s14, 0
	s_mov_b64 s[10:11], s[16:17]
                                        ; implicit-def: $sgpr13
                                        ; implicit-def: $sgpr15
                                        ; implicit-def: $sgpr23
                                        ; implicit-def: $sgpr22
                                        ; implicit-def: $sgpr27
	s_delay_alu instid0(VALU_DEP_2) | instskip(NEXT) | instid1(VALU_DEP_2)
	v_lshl_add_u64 v[0:1], v[0:1], 1, s[18:19]
	v_lshl_add_u64 v[22:23], v[22:23], 1, s[18:19]
	s_branch .LBB1361_718
.LBB1361_717:                           ;   in Loop: Header=BB1361_718 Depth=1
	s_or_b32 exec_lo, exec_lo, s28
	s_and_b32 s8, s8, s27
	s_delay_alu instid0(SALU_CYCLE_1) | instskip(SKIP_1) | instid1(SALU_CYCLE_1)
	s_or_b32 s8, vcc_lo, s8
	s_and_b32 s9, exec_lo, s23
	s_or_b32 s14, s9, s14
	s_and_not1_b32 s9, s27, exec_lo
	s_and_b32 s8, s8, exec_lo
	s_and_not1_b32 s15, s15, exec_lo
	s_and_b32 s28, s22, exec_lo
	s_or_b32 s27, s9, s8
	s_and_not1_b32 s9, s13, exec_lo
	s_or_b32 s15, s15, s28
	s_or_b32 s13, s9, s8
	s_and_not1_b32 exec_lo, exec_lo, s14
	s_cbranch_execz .LBB1361_720
.LBB1361_718:                           ; =>This Inner Loop Header: Depth=1
	global_load_u16 v26, v[0:1], off
	global_load_u16 v27, v[22:23], off
	s_or_b32 s22, s22, exec_lo
	s_or_b32 s23, s23, exec_lo
	s_mov_b32 s28, exec_lo
	s_wait_loadcnt 0x0
	v_cmp_le_u16_e64 s8, v26, v27
	v_cmp_lt_u16_e32 vcc_lo, v26, v27
	v_cmpx_eq_u16_e64 v26, v27
	s_cbranch_execz .LBB1361_717
; %bb.719:                              ;   in Loop: Header=BB1361_718 Depth=1
	s_add_nc_u64 s[10:11], s[10:11], -1
	v_add_nc_u64_e32 v[0:1], 2, v[0:1]
	s_cmp_eq_u64 s[10:11], 0
	v_add_nc_u64_e32 v[22:23], 2, v[22:23]
	s_cselect_b32 s9, -1, 0
	s_and_not1_b32 s23, s23, exec_lo
	s_and_b32 s9, s9, exec_lo
	s_and_not1_b32 s22, s22, exec_lo
	s_or_b32 s23, s23, s9
	s_branch .LBB1361_717
.LBB1361_720:
	s_or_b32 exec_lo, exec_lo, s14
	s_and_saveexec_b32 s8, s15
	s_delay_alu instid0(SALU_CYCLE_1)
	s_xor_b32 s8, exec_lo, s8
; %bb.721:
	v_dual_cndmask_b32 v1, v17, v15, s13 :: v_dual_cndmask_b32 v0, v16, v14, s13
	v_dual_cndmask_b32 v15, v15, v17, s13 :: v_dual_cndmask_b32 v14, v14, v16, s13
	s_delay_alu instid0(VALU_DEP_2)
	v_mov_b64_e32 v[16:17], v[0:1]
; %bb.722:
	s_or_b32 exec_lo, exec_lo, s8
.LBB1361_723:
	s_delay_alu instid0(SALU_CYCLE_1)
	s_or_b32 exec_lo, exec_lo, s12
	v_cmp_lt_u32_e64 s8, 3, v25
	s_and_saveexec_b32 s11, s8
	s_cbranch_execz .LBB1361_732
; %bb.724:
	s_and_not1_b32 vcc_lo, exec_lo, s26
	s_cbranch_vccnz .LBB1361_732
; %bb.725:
	v_mul_u64_e32 v[0:1], s[16:17], v[12:13]
	v_mul_u64_e32 v[22:23], s[16:17], v[10:11]
	s_mov_b32 s15, 0
	s_mov_b64 s[12:13], s[16:17]
                                        ; implicit-def: $sgpr14
                                        ; implicit-def: $sgpr22
                                        ; implicit-def: $sgpr27
                                        ; implicit-def: $sgpr23
                                        ; implicit-def: $sgpr28
	s_delay_alu instid0(VALU_DEP_2) | instskip(NEXT) | instid1(VALU_DEP_2)
	v_lshl_add_u64 v[0:1], v[0:1], 1, s[18:19]
	v_lshl_add_u64 v[22:23], v[22:23], 1, s[18:19]
	s_branch .LBB1361_727
.LBB1361_726:                           ;   in Loop: Header=BB1361_727 Depth=1
	s_or_b32 exec_lo, exec_lo, s29
	s_and_b32 s9, s9, s28
	s_delay_alu instid0(SALU_CYCLE_1) | instskip(SKIP_1) | instid1(SALU_CYCLE_1)
	s_or_b32 s9, vcc_lo, s9
	s_and_b32 s10, exec_lo, s27
	s_or_b32 s15, s10, s15
	s_and_not1_b32 s10, s28, exec_lo
	s_and_b32 s9, s9, exec_lo
	s_and_not1_b32 s22, s22, exec_lo
	s_and_b32 s29, s23, exec_lo
	s_or_b32 s28, s10, s9
	s_and_not1_b32 s10, s14, exec_lo
	s_or_b32 s22, s22, s29
	s_or_b32 s14, s10, s9
	s_and_not1_b32 exec_lo, exec_lo, s15
	s_cbranch_execz .LBB1361_729
.LBB1361_727:                           ; =>This Inner Loop Header: Depth=1
	global_load_u16 v26, v[0:1], off
	global_load_u16 v27, v[22:23], off
	s_or_b32 s23, s23, exec_lo
	s_or_b32 s27, s27, exec_lo
	s_mov_b32 s29, exec_lo
	s_wait_loadcnt 0x0
	v_cmp_le_u16_e64 s9, v26, v27
	v_cmp_lt_u16_e32 vcc_lo, v26, v27
	v_cmpx_eq_u16_e64 v26, v27
	s_cbranch_execz .LBB1361_726
; %bb.728:                              ;   in Loop: Header=BB1361_727 Depth=1
	s_add_nc_u64 s[12:13], s[12:13], -1
	v_add_nc_u64_e32 v[0:1], 2, v[0:1]
	s_cmp_eq_u64 s[12:13], 0
	v_add_nc_u64_e32 v[22:23], 2, v[22:23]
	s_cselect_b32 s10, -1, 0
	s_and_not1_b32 s27, s27, exec_lo
	s_and_b32 s10, s10, exec_lo
	s_and_not1_b32 s23, s23, exec_lo
	s_or_b32 s27, s27, s10
	s_branch .LBB1361_726
.LBB1361_729:
	s_or_b32 exec_lo, exec_lo, s15
	s_and_saveexec_b32 s9, s22
	s_delay_alu instid0(SALU_CYCLE_1)
	s_xor_b32 s9, exec_lo, s9
; %bb.730:
	v_dual_cndmask_b32 v1, v11, v13, s14 :: v_dual_cndmask_b32 v0, v10, v12, s14
	v_dual_cndmask_b32 v13, v13, v11, s14 :: v_dual_cndmask_b32 v12, v12, v10, s14
	s_delay_alu instid0(VALU_DEP_2)
	v_mov_b64_e32 v[10:11], v[0:1]
; %bb.731:
	s_or_b32 exec_lo, exec_lo, s9
.LBB1361_732:
	s_delay_alu instid0(SALU_CYCLE_1)
	s_or_b32 exec_lo, exec_lo, s11
	v_cmp_lt_u32_e64 s9, 5, v25
	s_and_saveexec_b32 s14, s9
	s_cbranch_execz .LBB1361_741
; %bb.733:
	s_and_not1_b32 vcc_lo, exec_lo, s26
	s_cbranch_vccnz .LBB1361_741
; %bb.734:
	v_mul_u64_e32 v[0:1], s[16:17], v[8:9]
	v_mul_u64_e32 v[22:23], s[16:17], v[6:7]
	s_mov_b32 s22, 0
	s_mov_b64 s[12:13], s[16:17]
                                        ; implicit-def: $sgpr15
                                        ; implicit-def: $sgpr23
                                        ; implicit-def: $sgpr28
                                        ; implicit-def: $sgpr27
                                        ; implicit-def: $sgpr29
	s_delay_alu instid0(VALU_DEP_2) | instskip(NEXT) | instid1(VALU_DEP_2)
	v_lshl_add_u64 v[0:1], v[0:1], 1, s[18:19]
	v_lshl_add_u64 v[22:23], v[22:23], 1, s[18:19]
	s_branch .LBB1361_736
.LBB1361_735:                           ;   in Loop: Header=BB1361_736 Depth=1
	s_or_b32 exec_lo, exec_lo, s30
	s_and_b32 s10, s10, s29
	s_delay_alu instid0(SALU_CYCLE_1) | instskip(SKIP_1) | instid1(SALU_CYCLE_1)
	s_or_b32 s10, vcc_lo, s10
	s_and_b32 s11, exec_lo, s28
	s_or_b32 s22, s11, s22
	s_and_not1_b32 s11, s29, exec_lo
	s_and_b32 s10, s10, exec_lo
	s_and_not1_b32 s23, s23, exec_lo
	s_and_b32 s30, s27, exec_lo
	s_or_b32 s29, s11, s10
	s_and_not1_b32 s11, s15, exec_lo
	s_or_b32 s23, s23, s30
	s_or_b32 s15, s11, s10
	s_and_not1_b32 exec_lo, exec_lo, s22
	s_cbranch_execz .LBB1361_738
.LBB1361_736:                           ; =>This Inner Loop Header: Depth=1
	global_load_u16 v26, v[0:1], off
	global_load_u16 v27, v[22:23], off
	s_or_b32 s27, s27, exec_lo
	s_or_b32 s28, s28, exec_lo
	s_mov_b32 s30, exec_lo
	s_wait_loadcnt 0x0
	v_cmp_le_u16_e64 s10, v26, v27
	v_cmp_lt_u16_e32 vcc_lo, v26, v27
	v_cmpx_eq_u16_e64 v26, v27
	s_cbranch_execz .LBB1361_735
; %bb.737:                              ;   in Loop: Header=BB1361_736 Depth=1
	s_add_nc_u64 s[12:13], s[12:13], -1
	v_add_nc_u64_e32 v[0:1], 2, v[0:1]
	s_cmp_eq_u64 s[12:13], 0
	v_add_nc_u64_e32 v[22:23], 2, v[22:23]
	s_cselect_b32 s11, -1, 0
	s_and_not1_b32 s28, s28, exec_lo
	s_and_b32 s11, s11, exec_lo
	s_and_not1_b32 s27, s27, exec_lo
	s_or_b32 s28, s28, s11
	s_branch .LBB1361_735
.LBB1361_738:
	s_or_b32 exec_lo, exec_lo, s22
	s_and_saveexec_b32 s10, s23
	s_delay_alu instid0(SALU_CYCLE_1)
	s_xor_b32 s10, exec_lo, s10
; %bb.739:
	v_dual_cndmask_b32 v1, v7, v9, s15 :: v_dual_cndmask_b32 v0, v6, v8, s15
	v_dual_cndmask_b32 v9, v9, v7, s15 :: v_dual_cndmask_b32 v8, v8, v6, s15
	s_delay_alu instid0(VALU_DEP_2)
	v_mov_b64_e32 v[6:7], v[0:1]
; %bb.740:
	s_or_b32 exec_lo, exec_lo, s10
.LBB1361_741:
	s_delay_alu instid0(SALU_CYCLE_1)
	s_or_b32 exec_lo, exec_lo, s14
	v_cmp_lt_u32_e64 s10, 7, v25
	s_and_saveexec_b32 s13, s10
	s_cbranch_execz .LBB1361_750
; %bb.742:
	s_and_not1_b32 vcc_lo, exec_lo, s26
	s_cbranch_vccnz .LBB1361_750
; %bb.743:
	v_mul_u64_e32 v[0:1], s[16:17], v[4:5]
	v_mul_u64_e32 v[22:23], s[16:17], v[2:3]
	s_mov_b32 s23, 0
	s_mov_b64 s[14:15], s[16:17]
                                        ; implicit-def: $sgpr22
                                        ; implicit-def: $sgpr27
                                        ; implicit-def: $sgpr29
                                        ; implicit-def: $sgpr28
                                        ; implicit-def: $sgpr30
	s_delay_alu instid0(VALU_DEP_2) | instskip(NEXT) | instid1(VALU_DEP_2)
	v_lshl_add_u64 v[0:1], v[0:1], 1, s[18:19]
	v_lshl_add_u64 v[22:23], v[22:23], 1, s[18:19]
	s_branch .LBB1361_745
.LBB1361_744:                           ;   in Loop: Header=BB1361_745 Depth=1
	s_or_b32 exec_lo, exec_lo, s31
	s_and_b32 s11, s11, s30
	s_delay_alu instid0(SALU_CYCLE_1) | instskip(SKIP_1) | instid1(SALU_CYCLE_1)
	s_or_b32 s11, vcc_lo, s11
	s_and_b32 s12, exec_lo, s29
	s_or_b32 s23, s12, s23
	s_and_not1_b32 s12, s30, exec_lo
	s_and_b32 s11, s11, exec_lo
	s_and_not1_b32 s27, s27, exec_lo
	s_and_b32 s31, s28, exec_lo
	s_or_b32 s30, s12, s11
	s_and_not1_b32 s12, s22, exec_lo
	s_or_b32 s27, s27, s31
	s_or_b32 s22, s12, s11
	s_and_not1_b32 exec_lo, exec_lo, s23
	s_cbranch_execz .LBB1361_747
.LBB1361_745:                           ; =>This Inner Loop Header: Depth=1
	global_load_u16 v26, v[0:1], off
	global_load_u16 v27, v[22:23], off
	s_or_b32 s28, s28, exec_lo
	s_or_b32 s29, s29, exec_lo
	s_mov_b32 s31, exec_lo
	s_wait_loadcnt 0x0
	v_cmp_le_u16_e64 s11, v26, v27
	v_cmp_lt_u16_e32 vcc_lo, v26, v27
	v_cmpx_eq_u16_e64 v26, v27
	s_cbranch_execz .LBB1361_744
; %bb.746:                              ;   in Loop: Header=BB1361_745 Depth=1
	s_add_nc_u64 s[14:15], s[14:15], -1
	v_add_nc_u64_e32 v[0:1], 2, v[0:1]
	s_cmp_eq_u64 s[14:15], 0
	v_add_nc_u64_e32 v[22:23], 2, v[22:23]
	s_cselect_b32 s12, -1, 0
	s_and_not1_b32 s29, s29, exec_lo
	s_and_b32 s12, s12, exec_lo
	s_and_not1_b32 s28, s28, exec_lo
	s_or_b32 s29, s29, s12
	s_branch .LBB1361_744
.LBB1361_747:
	s_or_b32 exec_lo, exec_lo, s23
	s_and_saveexec_b32 s11, s27
	s_delay_alu instid0(SALU_CYCLE_1)
	s_xor_b32 s11, exec_lo, s11
; %bb.748:
	v_dual_cndmask_b32 v1, v3, v5, s22 :: v_dual_cndmask_b32 v0, v2, v4, s22
	v_dual_cndmask_b32 v5, v5, v3, s22 :: v_dual_cndmask_b32 v4, v4, v2, s22
	s_delay_alu instid0(VALU_DEP_2)
	v_mov_b64_e32 v[2:3], v[0:1]
; %bb.749:
	s_or_b32 exec_lo, exec_lo, s11
.LBB1361_750:
	s_delay_alu instid0(SALU_CYCLE_1) | instskip(SKIP_2) | instid1(SALU_CYCLE_1)
	s_or_b32 exec_lo, exec_lo, s13
	v_cmp_lt_u32_e64 s11, 2, v25
	s_and_saveexec_b32 s12, s11
	s_xor_b32 s22, exec_lo, s12
	s_cbranch_execz .LBB1361_759
; %bb.751:
	s_and_not1_b32 vcc_lo, exec_lo, s26
	s_cbranch_vccnz .LBB1361_759
; %bb.752:
	v_mul_u64_e32 v[0:1], s[16:17], v[10:11]
	v_mul_u64_e32 v[22:23], s[16:17], v[16:17]
	s_mov_b32 s27, 0
	s_mov_b64 s[14:15], s[16:17]
                                        ; implicit-def: $sgpr23
                                        ; implicit-def: $sgpr28
                                        ; implicit-def: $sgpr30
                                        ; implicit-def: $sgpr29
                                        ; implicit-def: $sgpr31
	s_delay_alu instid0(VALU_DEP_2) | instskip(NEXT) | instid1(VALU_DEP_2)
	v_lshl_add_u64 v[0:1], v[0:1], 1, s[18:19]
	v_lshl_add_u64 v[22:23], v[22:23], 1, s[18:19]
	s_branch .LBB1361_754
.LBB1361_753:                           ;   in Loop: Header=BB1361_754 Depth=1
	s_or_b32 exec_lo, exec_lo, s33
	s_and_b32 s12, s12, s31
	s_delay_alu instid0(SALU_CYCLE_1) | instskip(SKIP_1) | instid1(SALU_CYCLE_1)
	s_or_b32 s12, vcc_lo, s12
	s_and_b32 s13, exec_lo, s30
	s_or_b32 s27, s13, s27
	s_and_not1_b32 s13, s31, exec_lo
	s_and_b32 s12, s12, exec_lo
	s_and_not1_b32 s28, s28, exec_lo
	s_and_b32 s33, s29, exec_lo
	s_or_b32 s31, s13, s12
	s_and_not1_b32 s13, s23, exec_lo
	s_or_b32 s28, s28, s33
	s_or_b32 s23, s13, s12
	s_and_not1_b32 exec_lo, exec_lo, s27
	s_cbranch_execz .LBB1361_756
.LBB1361_754:                           ; =>This Inner Loop Header: Depth=1
	global_load_u16 v26, v[0:1], off
	global_load_u16 v27, v[22:23], off
	s_or_b32 s29, s29, exec_lo
	s_or_b32 s30, s30, exec_lo
	s_mov_b32 s33, exec_lo
	s_wait_loadcnt 0x0
	v_cmp_le_u16_e64 s12, v26, v27
	v_cmp_lt_u16_e32 vcc_lo, v26, v27
	v_cmpx_eq_u16_e64 v26, v27
	s_cbranch_execz .LBB1361_753
; %bb.755:                              ;   in Loop: Header=BB1361_754 Depth=1
	s_add_nc_u64 s[14:15], s[14:15], -1
	v_add_nc_u64_e32 v[0:1], 2, v[0:1]
	s_cmp_eq_u64 s[14:15], 0
	v_add_nc_u64_e32 v[22:23], 2, v[22:23]
	s_cselect_b32 s13, -1, 0
	s_and_not1_b32 s30, s30, exec_lo
	s_and_b32 s13, s13, exec_lo
	s_and_not1_b32 s29, s29, exec_lo
	s_or_b32 s30, s30, s13
	s_branch .LBB1361_753
.LBB1361_756:
	s_or_b32 exec_lo, exec_lo, s27
	s_and_saveexec_b32 s12, s28
	s_delay_alu instid0(SALU_CYCLE_1)
	s_xor_b32 s12, exec_lo, s12
; %bb.757:
	v_dual_cndmask_b32 v1, v17, v11, s23 :: v_dual_cndmask_b32 v0, v16, v10, s23
	v_dual_cndmask_b32 v11, v11, v17, s23 :: v_dual_cndmask_b32 v10, v10, v16, s23
	s_delay_alu instid0(VALU_DEP_2)
	v_mov_b64_e32 v[16:17], v[0:1]
; %bb.758:
	s_or_b32 exec_lo, exec_lo, s12
.LBB1361_759:
	s_delay_alu instid0(SALU_CYCLE_1)
	s_or_b32 exec_lo, exec_lo, s22
	v_cmp_lt_u32_e64 s12, 4, v25
	s_and_saveexec_b32 s15, s12
	s_cbranch_execz .LBB1361_768
; %bb.760:
	s_and_not1_b32 vcc_lo, exec_lo, s26
	s_cbranch_vccnz .LBB1361_768
; %bb.761:
	v_mul_u64_e32 v[0:1], s[16:17], v[6:7]
	v_mul_u64_e32 v[22:23], s[16:17], v[12:13]
	s_mov_b32 s28, 0
	s_mov_b64 s[22:23], s[16:17]
                                        ; implicit-def: $sgpr27
                                        ; implicit-def: $sgpr29
                                        ; implicit-def: $sgpr31
                                        ; implicit-def: $sgpr30
                                        ; implicit-def: $sgpr33
	s_delay_alu instid0(VALU_DEP_2) | instskip(NEXT) | instid1(VALU_DEP_2)
	v_lshl_add_u64 v[0:1], v[0:1], 1, s[18:19]
	v_lshl_add_u64 v[22:23], v[22:23], 1, s[18:19]
	s_branch .LBB1361_763
.LBB1361_762:                           ;   in Loop: Header=BB1361_763 Depth=1
	s_or_b32 exec_lo, exec_lo, s34
	s_and_b32 s13, s13, s33
	s_delay_alu instid0(SALU_CYCLE_1) | instskip(SKIP_1) | instid1(SALU_CYCLE_1)
	s_or_b32 s13, vcc_lo, s13
	s_and_b32 s14, exec_lo, s31
	s_or_b32 s28, s14, s28
	s_and_not1_b32 s14, s33, exec_lo
	s_and_b32 s13, s13, exec_lo
	s_and_not1_b32 s29, s29, exec_lo
	s_and_b32 s34, s30, exec_lo
	s_or_b32 s33, s14, s13
	s_and_not1_b32 s14, s27, exec_lo
	s_or_b32 s29, s29, s34
	s_or_b32 s27, s14, s13
	s_and_not1_b32 exec_lo, exec_lo, s28
	s_cbranch_execz .LBB1361_765
.LBB1361_763:                           ; =>This Inner Loop Header: Depth=1
	global_load_u16 v26, v[0:1], off
	global_load_u16 v27, v[22:23], off
	s_or_b32 s30, s30, exec_lo
	s_or_b32 s31, s31, exec_lo
	s_mov_b32 s34, exec_lo
	s_wait_loadcnt 0x0
	v_cmp_le_u16_e64 s13, v26, v27
	v_cmp_lt_u16_e32 vcc_lo, v26, v27
	v_cmpx_eq_u16_e64 v26, v27
	s_cbranch_execz .LBB1361_762
; %bb.764:                              ;   in Loop: Header=BB1361_763 Depth=1
	s_add_nc_u64 s[22:23], s[22:23], -1
	v_add_nc_u64_e32 v[0:1], 2, v[0:1]
	s_cmp_eq_u64 s[22:23], 0
	v_add_nc_u64_e32 v[22:23], 2, v[22:23]
	s_cselect_b32 s14, -1, 0
	s_and_not1_b32 s31, s31, exec_lo
	s_and_b32 s14, s14, exec_lo
	s_and_not1_b32 s30, s30, exec_lo
	s_or_b32 s31, s31, s14
	s_branch .LBB1361_762
.LBB1361_765:
	s_or_b32 exec_lo, exec_lo, s28
	s_and_saveexec_b32 s13, s29
	s_delay_alu instid0(SALU_CYCLE_1)
	s_xor_b32 s13, exec_lo, s13
; %bb.766:
	v_dual_cndmask_b32 v1, v13, v7, s27 :: v_dual_cndmask_b32 v0, v12, v6, s27
	v_dual_cndmask_b32 v7, v7, v13, s27 :: v_dual_cndmask_b32 v6, v6, v12, s27
	s_delay_alu instid0(VALU_DEP_2)
	v_mov_b64_e32 v[12:13], v[0:1]
; %bb.767:
	s_or_b32 exec_lo, exec_lo, s13
.LBB1361_768:
	s_delay_alu instid0(SALU_CYCLE_1)
	s_or_b32 exec_lo, exec_lo, s15
	v_cmp_lt_u32_e64 s13, 6, v25
	s_and_saveexec_b32 s27, s13
	s_cbranch_execz .LBB1361_777
; %bb.769:
	s_and_not1_b32 vcc_lo, exec_lo, s26
	s_cbranch_vccnz .LBB1361_777
; %bb.770:
	v_mul_u64_e32 v[0:1], s[16:17], v[2:3]
	v_mul_u64_e32 v[22:23], s[16:17], v[8:9]
	s_mov_b32 s29, 0
	s_mov_b64 s[22:23], s[16:17]
                                        ; implicit-def: $sgpr28
                                        ; implicit-def: $sgpr30
                                        ; implicit-def: $sgpr33
                                        ; implicit-def: $sgpr31
                                        ; implicit-def: $sgpr34
	s_delay_alu instid0(VALU_DEP_2) | instskip(NEXT) | instid1(VALU_DEP_2)
	v_lshl_add_u64 v[0:1], v[0:1], 1, s[18:19]
	v_lshl_add_u64 v[22:23], v[22:23], 1, s[18:19]
	s_branch .LBB1361_772
.LBB1361_771:                           ;   in Loop: Header=BB1361_772 Depth=1
	s_or_b32 exec_lo, exec_lo, s35
	s_and_b32 s14, s14, s34
	s_delay_alu instid0(SALU_CYCLE_1) | instskip(SKIP_1) | instid1(SALU_CYCLE_1)
	s_or_b32 s14, vcc_lo, s14
	s_and_b32 s15, exec_lo, s33
	s_or_b32 s29, s15, s29
	s_and_not1_b32 s15, s34, exec_lo
	s_and_b32 s14, s14, exec_lo
	s_and_not1_b32 s30, s30, exec_lo
	s_and_b32 s35, s31, exec_lo
	s_or_b32 s34, s15, s14
	s_and_not1_b32 s15, s28, exec_lo
	s_or_b32 s30, s30, s35
	s_or_b32 s28, s15, s14
	s_and_not1_b32 exec_lo, exec_lo, s29
	s_cbranch_execz .LBB1361_774
.LBB1361_772:                           ; =>This Inner Loop Header: Depth=1
	global_load_u16 v25, v[0:1], off
	global_load_u16 v26, v[22:23], off
	s_or_b32 s31, s31, exec_lo
	s_or_b32 s33, s33, exec_lo
	s_mov_b32 s35, exec_lo
	s_wait_loadcnt 0x0
	v_cmp_le_u16_e64 s14, v25, v26
	v_cmp_lt_u16_e32 vcc_lo, v25, v26
	v_cmpx_eq_u16_e64 v25, v26
	s_cbranch_execz .LBB1361_771
; %bb.773:                              ;   in Loop: Header=BB1361_772 Depth=1
	s_add_nc_u64 s[22:23], s[22:23], -1
	v_add_nc_u64_e32 v[0:1], 2, v[0:1]
	s_cmp_eq_u64 s[22:23], 0
	v_add_nc_u64_e32 v[22:23], 2, v[22:23]
	s_cselect_b32 s15, -1, 0
	s_and_not1_b32 s33, s33, exec_lo
	s_and_b32 s15, s15, exec_lo
	s_and_not1_b32 s31, s31, exec_lo
	s_or_b32 s33, s33, s15
	s_branch .LBB1361_771
.LBB1361_774:
	s_or_b32 exec_lo, exec_lo, s29
	s_and_saveexec_b32 s14, s30
	s_delay_alu instid0(SALU_CYCLE_1)
	s_xor_b32 s14, exec_lo, s14
; %bb.775:
	v_dual_cndmask_b32 v1, v9, v3, s28 :: v_dual_cndmask_b32 v0, v8, v2, s28
	v_dual_cndmask_b32 v3, v3, v9, s28 :: v_dual_cndmask_b32 v2, v2, v8, s28
	s_delay_alu instid0(VALU_DEP_2)
	v_mov_b64_e32 v[8:9], v[0:1]
; %bb.776:
	s_or_b32 exec_lo, exec_lo, s14
.LBB1361_777:
	s_delay_alu instid0(SALU_CYCLE_1)
	s_or_b32 exec_lo, exec_lo, s27
	s_and_saveexec_b32 s27, s7
	s_cbranch_execz .LBB1361_786
; %bb.778:
	s_and_not1_b32 vcc_lo, exec_lo, s26
	s_cbranch_vccnz .LBB1361_786
; %bb.779:
	v_mul_u64_e32 v[0:1], s[16:17], v[16:17]
	v_mul_u64_e32 v[22:23], s[16:17], v[14:15]
	s_mov_b32 s29, 0
	s_mov_b64 s[22:23], s[16:17]
                                        ; implicit-def: $sgpr28
                                        ; implicit-def: $sgpr30
                                        ; implicit-def: $sgpr33
                                        ; implicit-def: $sgpr31
                                        ; implicit-def: $sgpr34
	s_delay_alu instid0(VALU_DEP_2) | instskip(NEXT) | instid1(VALU_DEP_2)
	v_lshl_add_u64 v[0:1], v[0:1], 1, s[18:19]
	v_lshl_add_u64 v[22:23], v[22:23], 1, s[18:19]
	s_branch .LBB1361_781
.LBB1361_780:                           ;   in Loop: Header=BB1361_781 Depth=1
	s_or_b32 exec_lo, exec_lo, s35
	s_and_b32 s14, s14, s34
	s_delay_alu instid0(SALU_CYCLE_1) | instskip(SKIP_1) | instid1(SALU_CYCLE_1)
	s_or_b32 s14, vcc_lo, s14
	s_and_b32 s15, exec_lo, s33
	s_or_b32 s29, s15, s29
	s_and_not1_b32 s15, s34, exec_lo
	s_and_b32 s14, s14, exec_lo
	s_and_not1_b32 s30, s30, exec_lo
	s_and_b32 s35, s31, exec_lo
	s_or_b32 s34, s15, s14
	s_and_not1_b32 s15, s28, exec_lo
	s_or_b32 s30, s30, s35
	s_or_b32 s28, s15, s14
	s_and_not1_b32 exec_lo, exec_lo, s29
	s_cbranch_execz .LBB1361_783
.LBB1361_781:                           ; =>This Inner Loop Header: Depth=1
	global_load_u16 v25, v[0:1], off
	global_load_u16 v26, v[22:23], off
	s_or_b32 s31, s31, exec_lo
	s_or_b32 s33, s33, exec_lo
	s_mov_b32 s35, exec_lo
	s_wait_loadcnt 0x0
	v_cmp_le_u16_e64 s14, v25, v26
	v_cmp_lt_u16_e32 vcc_lo, v25, v26
	v_cmpx_eq_u16_e64 v25, v26
	s_cbranch_execz .LBB1361_780
; %bb.782:                              ;   in Loop: Header=BB1361_781 Depth=1
	s_add_nc_u64 s[22:23], s[22:23], -1
	v_add_nc_u64_e32 v[0:1], 2, v[0:1]
	s_cmp_eq_u64 s[22:23], 0
	v_add_nc_u64_e32 v[22:23], 2, v[22:23]
	s_cselect_b32 s15, -1, 0
	s_and_not1_b32 s33, s33, exec_lo
	s_and_b32 s15, s15, exec_lo
	s_and_not1_b32 s31, s31, exec_lo
	s_or_b32 s33, s33, s15
	s_branch .LBB1361_780
.LBB1361_783:
	s_or_b32 exec_lo, exec_lo, s29
	s_and_saveexec_b32 s14, s30
	s_delay_alu instid0(SALU_CYCLE_1)
	s_xor_b32 s14, exec_lo, s14
; %bb.784:
	v_dual_cndmask_b32 v1, v17, v15, s28 :: v_dual_cndmask_b32 v0, v16, v14, s28
	v_dual_cndmask_b32 v15, v15, v17, s28 :: v_dual_cndmask_b32 v14, v14, v16, s28
	s_delay_alu instid0(VALU_DEP_2)
	v_mov_b64_e32 v[16:17], v[0:1]
; %bb.785:
	s_or_b32 exec_lo, exec_lo, s14
.LBB1361_786:
	s_delay_alu instid0(SALU_CYCLE_1)
	s_or_b32 exec_lo, exec_lo, s27
	s_and_saveexec_b32 s27, s8
	s_cbranch_execz .LBB1361_795
; %bb.787:
	s_and_not1_b32 vcc_lo, exec_lo, s26
	s_cbranch_vccnz .LBB1361_795
; %bb.788:
	v_mul_u64_e32 v[0:1], s[16:17], v[12:13]
	v_mul_u64_e32 v[22:23], s[16:17], v[10:11]
	s_mov_b32 s29, 0
	s_mov_b64 s[22:23], s[16:17]
                                        ; implicit-def: $sgpr28
                                        ; implicit-def: $sgpr30
                                        ; implicit-def: $sgpr33
                                        ; implicit-def: $sgpr31
                                        ; implicit-def: $sgpr34
	s_delay_alu instid0(VALU_DEP_2) | instskip(NEXT) | instid1(VALU_DEP_2)
	v_lshl_add_u64 v[0:1], v[0:1], 1, s[18:19]
	v_lshl_add_u64 v[22:23], v[22:23], 1, s[18:19]
	s_branch .LBB1361_790
.LBB1361_789:                           ;   in Loop: Header=BB1361_790 Depth=1
	s_or_b32 exec_lo, exec_lo, s35
	s_and_b32 s14, s14, s34
	s_delay_alu instid0(SALU_CYCLE_1) | instskip(SKIP_1) | instid1(SALU_CYCLE_1)
	s_or_b32 s14, vcc_lo, s14
	s_and_b32 s15, exec_lo, s33
	s_or_b32 s29, s15, s29
	s_and_not1_b32 s15, s34, exec_lo
	s_and_b32 s14, s14, exec_lo
	s_and_not1_b32 s30, s30, exec_lo
	s_and_b32 s35, s31, exec_lo
	s_or_b32 s34, s15, s14
	s_and_not1_b32 s15, s28, exec_lo
	s_or_b32 s30, s30, s35
	s_or_b32 s28, s15, s14
	s_and_not1_b32 exec_lo, exec_lo, s29
	s_cbranch_execz .LBB1361_792
.LBB1361_790:                           ; =>This Inner Loop Header: Depth=1
	global_load_u16 v25, v[0:1], off
	global_load_u16 v26, v[22:23], off
	s_or_b32 s31, s31, exec_lo
	s_or_b32 s33, s33, exec_lo
	s_mov_b32 s35, exec_lo
	s_wait_loadcnt 0x0
	v_cmp_le_u16_e64 s14, v25, v26
	v_cmp_lt_u16_e32 vcc_lo, v25, v26
	v_cmpx_eq_u16_e64 v25, v26
	s_cbranch_execz .LBB1361_789
; %bb.791:                              ;   in Loop: Header=BB1361_790 Depth=1
	s_add_nc_u64 s[22:23], s[22:23], -1
	v_add_nc_u64_e32 v[0:1], 2, v[0:1]
	s_cmp_eq_u64 s[22:23], 0
	v_add_nc_u64_e32 v[22:23], 2, v[22:23]
	s_cselect_b32 s15, -1, 0
	s_and_not1_b32 s33, s33, exec_lo
	s_and_b32 s15, s15, exec_lo
	s_and_not1_b32 s31, s31, exec_lo
	s_or_b32 s33, s33, s15
	s_branch .LBB1361_789
.LBB1361_792:
	s_or_b32 exec_lo, exec_lo, s29
	s_and_saveexec_b32 s14, s30
	s_delay_alu instid0(SALU_CYCLE_1)
	s_xor_b32 s14, exec_lo, s14
; %bb.793:
	v_dual_cndmask_b32 v1, v11, v13, s28 :: v_dual_cndmask_b32 v0, v10, v12, s28
	v_dual_cndmask_b32 v13, v13, v11, s28 :: v_dual_cndmask_b32 v12, v12, v10, s28
	s_delay_alu instid0(VALU_DEP_2)
	v_mov_b64_e32 v[10:11], v[0:1]
; %bb.794:
	s_or_b32 exec_lo, exec_lo, s14
.LBB1361_795:
	s_delay_alu instid0(SALU_CYCLE_1)
	s_or_b32 exec_lo, exec_lo, s27
	s_and_saveexec_b32 s27, s9
	s_cbranch_execz .LBB1361_804
; %bb.796:
	s_and_not1_b32 vcc_lo, exec_lo, s26
	s_cbranch_vccnz .LBB1361_804
; %bb.797:
	v_mul_u64_e32 v[0:1], s[16:17], v[8:9]
	v_mul_u64_e32 v[22:23], s[16:17], v[6:7]
	s_mov_b32 s29, 0
	s_mov_b64 s[22:23], s[16:17]
                                        ; implicit-def: $sgpr28
                                        ; implicit-def: $sgpr30
                                        ; implicit-def: $sgpr33
                                        ; implicit-def: $sgpr31
                                        ; implicit-def: $sgpr34
	s_delay_alu instid0(VALU_DEP_2) | instskip(NEXT) | instid1(VALU_DEP_2)
	v_lshl_add_u64 v[0:1], v[0:1], 1, s[18:19]
	v_lshl_add_u64 v[22:23], v[22:23], 1, s[18:19]
	s_branch .LBB1361_799
.LBB1361_798:                           ;   in Loop: Header=BB1361_799 Depth=1
	s_or_b32 exec_lo, exec_lo, s35
	s_and_b32 s14, s14, s34
	s_delay_alu instid0(SALU_CYCLE_1) | instskip(SKIP_1) | instid1(SALU_CYCLE_1)
	s_or_b32 s14, vcc_lo, s14
	s_and_b32 s15, exec_lo, s33
	s_or_b32 s29, s15, s29
	s_and_not1_b32 s15, s34, exec_lo
	s_and_b32 s14, s14, exec_lo
	s_and_not1_b32 s30, s30, exec_lo
	s_and_b32 s35, s31, exec_lo
	s_or_b32 s34, s15, s14
	s_and_not1_b32 s15, s28, exec_lo
	s_or_b32 s30, s30, s35
	s_or_b32 s28, s15, s14
	s_and_not1_b32 exec_lo, exec_lo, s29
	s_cbranch_execz .LBB1361_801
.LBB1361_799:                           ; =>This Inner Loop Header: Depth=1
	global_load_u16 v25, v[0:1], off
	global_load_u16 v26, v[22:23], off
	s_or_b32 s31, s31, exec_lo
	s_or_b32 s33, s33, exec_lo
	s_mov_b32 s35, exec_lo
	s_wait_loadcnt 0x0
	v_cmp_le_u16_e64 s14, v25, v26
	v_cmp_lt_u16_e32 vcc_lo, v25, v26
	v_cmpx_eq_u16_e64 v25, v26
	s_cbranch_execz .LBB1361_798
; %bb.800:                              ;   in Loop: Header=BB1361_799 Depth=1
	s_add_nc_u64 s[22:23], s[22:23], -1
	v_add_nc_u64_e32 v[0:1], 2, v[0:1]
	s_cmp_eq_u64 s[22:23], 0
	v_add_nc_u64_e32 v[22:23], 2, v[22:23]
	s_cselect_b32 s15, -1, 0
	s_and_not1_b32 s33, s33, exec_lo
	s_and_b32 s15, s15, exec_lo
	s_and_not1_b32 s31, s31, exec_lo
	s_or_b32 s33, s33, s15
	s_branch .LBB1361_798
.LBB1361_801:
	s_or_b32 exec_lo, exec_lo, s29
	s_and_saveexec_b32 s14, s30
	s_delay_alu instid0(SALU_CYCLE_1)
	s_xor_b32 s14, exec_lo, s14
; %bb.802:
	v_dual_cndmask_b32 v1, v7, v9, s28 :: v_dual_cndmask_b32 v0, v6, v8, s28
	v_dual_cndmask_b32 v9, v9, v7, s28 :: v_dual_cndmask_b32 v8, v8, v6, s28
	s_delay_alu instid0(VALU_DEP_2)
	v_mov_b64_e32 v[6:7], v[0:1]
; %bb.803:
	s_or_b32 exec_lo, exec_lo, s14
.LBB1361_804:
	s_delay_alu instid0(SALU_CYCLE_1)
	s_or_b32 exec_lo, exec_lo, s27
	s_and_saveexec_b32 s27, s10
	s_cbranch_execz .LBB1361_813
; %bb.805:
	s_and_not1_b32 vcc_lo, exec_lo, s26
	s_cbranch_vccnz .LBB1361_813
; %bb.806:
	v_mul_u64_e32 v[0:1], s[16:17], v[4:5]
	v_mul_u64_e32 v[22:23], s[16:17], v[2:3]
	s_mov_b32 s29, 0
	s_mov_b64 s[22:23], s[16:17]
                                        ; implicit-def: $sgpr28
                                        ; implicit-def: $sgpr30
                                        ; implicit-def: $sgpr33
                                        ; implicit-def: $sgpr31
                                        ; implicit-def: $sgpr34
	s_delay_alu instid0(VALU_DEP_2) | instskip(NEXT) | instid1(VALU_DEP_2)
	v_lshl_add_u64 v[0:1], v[0:1], 1, s[18:19]
	v_lshl_add_u64 v[22:23], v[22:23], 1, s[18:19]
	s_branch .LBB1361_808
.LBB1361_807:                           ;   in Loop: Header=BB1361_808 Depth=1
	s_or_b32 exec_lo, exec_lo, s35
	s_and_b32 s14, s14, s34
	s_delay_alu instid0(SALU_CYCLE_1) | instskip(SKIP_1) | instid1(SALU_CYCLE_1)
	s_or_b32 s14, vcc_lo, s14
	s_and_b32 s15, exec_lo, s33
	s_or_b32 s29, s15, s29
	s_and_not1_b32 s15, s34, exec_lo
	s_and_b32 s14, s14, exec_lo
	s_and_not1_b32 s30, s30, exec_lo
	s_and_b32 s35, s31, exec_lo
	s_or_b32 s34, s15, s14
	s_and_not1_b32 s15, s28, exec_lo
	s_or_b32 s30, s30, s35
	s_or_b32 s28, s15, s14
	s_and_not1_b32 exec_lo, exec_lo, s29
	s_cbranch_execz .LBB1361_810
.LBB1361_808:                           ; =>This Inner Loop Header: Depth=1
	global_load_u16 v25, v[0:1], off
	global_load_u16 v26, v[22:23], off
	s_or_b32 s31, s31, exec_lo
	s_or_b32 s33, s33, exec_lo
	s_mov_b32 s35, exec_lo
	s_wait_loadcnt 0x0
	v_cmp_le_u16_e64 s14, v25, v26
	v_cmp_lt_u16_e32 vcc_lo, v25, v26
	v_cmpx_eq_u16_e64 v25, v26
	s_cbranch_execz .LBB1361_807
; %bb.809:                              ;   in Loop: Header=BB1361_808 Depth=1
	s_add_nc_u64 s[22:23], s[22:23], -1
	v_add_nc_u64_e32 v[0:1], 2, v[0:1]
	s_cmp_eq_u64 s[22:23], 0
	v_add_nc_u64_e32 v[22:23], 2, v[22:23]
	s_cselect_b32 s15, -1, 0
	s_and_not1_b32 s33, s33, exec_lo
	s_and_b32 s15, s15, exec_lo
	s_and_not1_b32 s31, s31, exec_lo
	s_or_b32 s33, s33, s15
	s_branch .LBB1361_807
.LBB1361_810:
	s_or_b32 exec_lo, exec_lo, s29
	s_and_saveexec_b32 s14, s30
	s_delay_alu instid0(SALU_CYCLE_1)
	s_xor_b32 s14, exec_lo, s14
; %bb.811:
	v_dual_cndmask_b32 v1, v3, v5, s28 :: v_dual_cndmask_b32 v0, v2, v4, s28
	v_dual_cndmask_b32 v5, v5, v3, s28 :: v_dual_cndmask_b32 v4, v4, v2, s28
	s_delay_alu instid0(VALU_DEP_2)
	v_mov_b64_e32 v[2:3], v[0:1]
; %bb.812:
	s_or_b32 exec_lo, exec_lo, s14
.LBB1361_813:
	s_delay_alu instid0(SALU_CYCLE_1)
	s_or_b32 exec_lo, exec_lo, s27
	s_and_saveexec_b32 s27, s11
	s_cbranch_execz .LBB1361_822
; %bb.814:
	s_and_not1_b32 vcc_lo, exec_lo, s26
	s_cbranch_vccnz .LBB1361_822
; %bb.815:
	v_mul_u64_e32 v[0:1], s[16:17], v[10:11]
	v_mul_u64_e32 v[22:23], s[16:17], v[16:17]
	s_mov_b32 s29, 0
	s_mov_b64 s[22:23], s[16:17]
                                        ; implicit-def: $sgpr28
                                        ; implicit-def: $sgpr30
                                        ; implicit-def: $sgpr33
                                        ; implicit-def: $sgpr31
                                        ; implicit-def: $sgpr34
	s_delay_alu instid0(VALU_DEP_2) | instskip(NEXT) | instid1(VALU_DEP_2)
	v_lshl_add_u64 v[0:1], v[0:1], 1, s[18:19]
	v_lshl_add_u64 v[22:23], v[22:23], 1, s[18:19]
	s_branch .LBB1361_817
.LBB1361_816:                           ;   in Loop: Header=BB1361_817 Depth=1
	s_or_b32 exec_lo, exec_lo, s35
	s_and_b32 s14, s14, s34
	s_delay_alu instid0(SALU_CYCLE_1) | instskip(SKIP_1) | instid1(SALU_CYCLE_1)
	s_or_b32 s14, vcc_lo, s14
	s_and_b32 s15, exec_lo, s33
	s_or_b32 s29, s15, s29
	s_and_not1_b32 s15, s34, exec_lo
	s_and_b32 s14, s14, exec_lo
	s_and_not1_b32 s30, s30, exec_lo
	s_and_b32 s35, s31, exec_lo
	s_or_b32 s34, s15, s14
	s_and_not1_b32 s15, s28, exec_lo
	s_or_b32 s30, s30, s35
	s_or_b32 s28, s15, s14
	s_and_not1_b32 exec_lo, exec_lo, s29
	s_cbranch_execz .LBB1361_819
.LBB1361_817:                           ; =>This Inner Loop Header: Depth=1
	global_load_u16 v25, v[0:1], off
	global_load_u16 v26, v[22:23], off
	s_or_b32 s31, s31, exec_lo
	s_or_b32 s33, s33, exec_lo
	s_mov_b32 s35, exec_lo
	s_wait_loadcnt 0x0
	v_cmp_le_u16_e64 s14, v25, v26
	v_cmp_lt_u16_e32 vcc_lo, v25, v26
	v_cmpx_eq_u16_e64 v25, v26
	s_cbranch_execz .LBB1361_816
; %bb.818:                              ;   in Loop: Header=BB1361_817 Depth=1
	s_add_nc_u64 s[22:23], s[22:23], -1
	v_add_nc_u64_e32 v[0:1], 2, v[0:1]
	s_cmp_eq_u64 s[22:23], 0
	v_add_nc_u64_e32 v[22:23], 2, v[22:23]
	s_cselect_b32 s15, -1, 0
	s_and_not1_b32 s33, s33, exec_lo
	s_and_b32 s15, s15, exec_lo
	s_and_not1_b32 s31, s31, exec_lo
	s_or_b32 s33, s33, s15
	s_branch .LBB1361_816
.LBB1361_819:
	s_or_b32 exec_lo, exec_lo, s29
	s_and_saveexec_b32 s14, s30
	s_delay_alu instid0(SALU_CYCLE_1)
	s_xor_b32 s14, exec_lo, s14
; %bb.820:
	v_dual_cndmask_b32 v1, v17, v11, s28 :: v_dual_cndmask_b32 v0, v16, v10, s28
	v_dual_cndmask_b32 v11, v11, v17, s28 :: v_dual_cndmask_b32 v10, v10, v16, s28
	s_delay_alu instid0(VALU_DEP_2)
	v_mov_b64_e32 v[16:17], v[0:1]
; %bb.821:
	s_or_b32 exec_lo, exec_lo, s14
.LBB1361_822:
	s_delay_alu instid0(SALU_CYCLE_1)
	s_or_b32 exec_lo, exec_lo, s27
	s_and_saveexec_b32 s27, s12
	s_cbranch_execz .LBB1361_831
; %bb.823:
	s_and_not1_b32 vcc_lo, exec_lo, s26
	s_cbranch_vccnz .LBB1361_831
; %bb.824:
	v_mul_u64_e32 v[0:1], s[16:17], v[6:7]
	v_mul_u64_e32 v[22:23], s[16:17], v[12:13]
	s_mov_b32 s29, 0
	s_mov_b64 s[22:23], s[16:17]
                                        ; implicit-def: $sgpr28
                                        ; implicit-def: $sgpr30
                                        ; implicit-def: $sgpr33
                                        ; implicit-def: $sgpr31
                                        ; implicit-def: $sgpr34
	s_delay_alu instid0(VALU_DEP_2) | instskip(NEXT) | instid1(VALU_DEP_2)
	v_lshl_add_u64 v[0:1], v[0:1], 1, s[18:19]
	v_lshl_add_u64 v[22:23], v[22:23], 1, s[18:19]
	s_branch .LBB1361_826
.LBB1361_825:                           ;   in Loop: Header=BB1361_826 Depth=1
	s_or_b32 exec_lo, exec_lo, s35
	s_and_b32 s14, s14, s34
	s_delay_alu instid0(SALU_CYCLE_1) | instskip(SKIP_1) | instid1(SALU_CYCLE_1)
	s_or_b32 s14, vcc_lo, s14
	s_and_b32 s15, exec_lo, s33
	s_or_b32 s29, s15, s29
	s_and_not1_b32 s15, s34, exec_lo
	s_and_b32 s14, s14, exec_lo
	s_and_not1_b32 s30, s30, exec_lo
	s_and_b32 s35, s31, exec_lo
	s_or_b32 s34, s15, s14
	s_and_not1_b32 s15, s28, exec_lo
	s_or_b32 s30, s30, s35
	s_or_b32 s28, s15, s14
	s_and_not1_b32 exec_lo, exec_lo, s29
	s_cbranch_execz .LBB1361_828
.LBB1361_826:                           ; =>This Inner Loop Header: Depth=1
	global_load_u16 v25, v[0:1], off
	global_load_u16 v26, v[22:23], off
	s_or_b32 s31, s31, exec_lo
	s_or_b32 s33, s33, exec_lo
	s_mov_b32 s35, exec_lo
	s_wait_loadcnt 0x0
	v_cmp_le_u16_e64 s14, v25, v26
	v_cmp_lt_u16_e32 vcc_lo, v25, v26
	v_cmpx_eq_u16_e64 v25, v26
	s_cbranch_execz .LBB1361_825
; %bb.827:                              ;   in Loop: Header=BB1361_826 Depth=1
	s_add_nc_u64 s[22:23], s[22:23], -1
	v_add_nc_u64_e32 v[0:1], 2, v[0:1]
	s_cmp_eq_u64 s[22:23], 0
	v_add_nc_u64_e32 v[22:23], 2, v[22:23]
	s_cselect_b32 s15, -1, 0
	s_and_not1_b32 s33, s33, exec_lo
	s_and_b32 s15, s15, exec_lo
	s_and_not1_b32 s31, s31, exec_lo
	s_or_b32 s33, s33, s15
	s_branch .LBB1361_825
.LBB1361_828:
	s_or_b32 exec_lo, exec_lo, s29
	s_and_saveexec_b32 s14, s30
	s_delay_alu instid0(SALU_CYCLE_1)
	s_xor_b32 s14, exec_lo, s14
; %bb.829:
	v_dual_cndmask_b32 v1, v13, v7, s28 :: v_dual_cndmask_b32 v0, v12, v6, s28
	v_dual_cndmask_b32 v7, v7, v13, s28 :: v_dual_cndmask_b32 v6, v6, v12, s28
	s_delay_alu instid0(VALU_DEP_2)
	v_mov_b64_e32 v[12:13], v[0:1]
; %bb.830:
	s_or_b32 exec_lo, exec_lo, s14
.LBB1361_831:
	s_delay_alu instid0(SALU_CYCLE_1)
	s_or_b32 exec_lo, exec_lo, s27
	s_and_saveexec_b32 s27, s13
	s_cbranch_execz .LBB1361_840
; %bb.832:
	s_and_not1_b32 vcc_lo, exec_lo, s26
	s_cbranch_vccnz .LBB1361_840
; %bb.833:
	v_mul_u64_e32 v[0:1], s[16:17], v[2:3]
	v_mul_u64_e32 v[22:23], s[16:17], v[8:9]
	s_mov_b32 s29, 0
	s_mov_b64 s[22:23], s[16:17]
                                        ; implicit-def: $sgpr28
                                        ; implicit-def: $sgpr30
                                        ; implicit-def: $sgpr33
                                        ; implicit-def: $sgpr31
                                        ; implicit-def: $sgpr34
	s_delay_alu instid0(VALU_DEP_2) | instskip(NEXT) | instid1(VALU_DEP_2)
	v_lshl_add_u64 v[0:1], v[0:1], 1, s[18:19]
	v_lshl_add_u64 v[22:23], v[22:23], 1, s[18:19]
	s_branch .LBB1361_835
.LBB1361_834:                           ;   in Loop: Header=BB1361_835 Depth=1
	s_or_b32 exec_lo, exec_lo, s35
	s_and_b32 s14, s14, s34
	s_delay_alu instid0(SALU_CYCLE_1) | instskip(SKIP_1) | instid1(SALU_CYCLE_1)
	s_or_b32 s14, vcc_lo, s14
	s_and_b32 s15, exec_lo, s33
	s_or_b32 s29, s15, s29
	s_and_not1_b32 s15, s34, exec_lo
	s_and_b32 s14, s14, exec_lo
	s_and_not1_b32 s30, s30, exec_lo
	s_and_b32 s35, s31, exec_lo
	s_or_b32 s34, s15, s14
	s_and_not1_b32 s15, s28, exec_lo
	s_or_b32 s30, s30, s35
	s_or_b32 s28, s15, s14
	s_and_not1_b32 exec_lo, exec_lo, s29
	s_cbranch_execz .LBB1361_837
.LBB1361_835:                           ; =>This Inner Loop Header: Depth=1
	global_load_u16 v25, v[0:1], off
	global_load_u16 v26, v[22:23], off
	s_or_b32 s31, s31, exec_lo
	s_or_b32 s33, s33, exec_lo
	s_mov_b32 s35, exec_lo
	s_wait_loadcnt 0x0
	v_cmp_le_u16_e64 s14, v25, v26
	v_cmp_lt_u16_e32 vcc_lo, v25, v26
	v_cmpx_eq_u16_e64 v25, v26
	s_cbranch_execz .LBB1361_834
; %bb.836:                              ;   in Loop: Header=BB1361_835 Depth=1
	s_add_nc_u64 s[22:23], s[22:23], -1
	v_add_nc_u64_e32 v[0:1], 2, v[0:1]
	s_cmp_eq_u64 s[22:23], 0
	v_add_nc_u64_e32 v[22:23], 2, v[22:23]
	s_cselect_b32 s15, -1, 0
	s_and_not1_b32 s33, s33, exec_lo
	s_and_b32 s15, s15, exec_lo
	s_and_not1_b32 s31, s31, exec_lo
	s_or_b32 s33, s33, s15
	s_branch .LBB1361_834
.LBB1361_837:
	s_or_b32 exec_lo, exec_lo, s29
	s_and_saveexec_b32 s14, s30
	s_delay_alu instid0(SALU_CYCLE_1)
	s_xor_b32 s14, exec_lo, s14
; %bb.838:
	v_dual_cndmask_b32 v1, v9, v3, s28 :: v_dual_cndmask_b32 v0, v8, v2, s28
	v_dual_cndmask_b32 v3, v3, v9, s28 :: v_dual_cndmask_b32 v2, v2, v8, s28
	s_delay_alu instid0(VALU_DEP_2)
	v_mov_b64_e32 v[8:9], v[0:1]
; %bb.839:
	s_or_b32 exec_lo, exec_lo, s14
.LBB1361_840:
	s_delay_alu instid0(SALU_CYCLE_1)
	s_or_b32 exec_lo, exec_lo, s27
	s_and_saveexec_b32 s27, s7
	s_cbranch_execz .LBB1361_849
; %bb.841:
	s_and_not1_b32 vcc_lo, exec_lo, s26
	s_cbranch_vccnz .LBB1361_849
; %bb.842:
	v_mul_u64_e32 v[0:1], s[16:17], v[16:17]
	v_mul_u64_e32 v[22:23], s[16:17], v[14:15]
	s_mov_b32 s29, 0
	s_mov_b64 s[22:23], s[16:17]
                                        ; implicit-def: $sgpr28
                                        ; implicit-def: $sgpr30
                                        ; implicit-def: $sgpr33
                                        ; implicit-def: $sgpr31
                                        ; implicit-def: $sgpr34
	s_delay_alu instid0(VALU_DEP_2) | instskip(NEXT) | instid1(VALU_DEP_2)
	v_lshl_add_u64 v[0:1], v[0:1], 1, s[18:19]
	v_lshl_add_u64 v[22:23], v[22:23], 1, s[18:19]
	s_branch .LBB1361_844
.LBB1361_843:                           ;   in Loop: Header=BB1361_844 Depth=1
	s_or_b32 exec_lo, exec_lo, s35
	s_and_b32 s14, s14, s34
	s_delay_alu instid0(SALU_CYCLE_1) | instskip(SKIP_1) | instid1(SALU_CYCLE_1)
	s_or_b32 s14, vcc_lo, s14
	s_and_b32 s15, exec_lo, s33
	s_or_b32 s29, s15, s29
	s_and_not1_b32 s15, s34, exec_lo
	s_and_b32 s14, s14, exec_lo
	s_and_not1_b32 s30, s30, exec_lo
	s_and_b32 s35, s31, exec_lo
	s_or_b32 s34, s15, s14
	s_and_not1_b32 s15, s28, exec_lo
	s_or_b32 s30, s30, s35
	s_or_b32 s28, s15, s14
	s_and_not1_b32 exec_lo, exec_lo, s29
	s_cbranch_execz .LBB1361_846
.LBB1361_844:                           ; =>This Inner Loop Header: Depth=1
	global_load_u16 v25, v[0:1], off
	global_load_u16 v26, v[22:23], off
	s_or_b32 s31, s31, exec_lo
	s_or_b32 s33, s33, exec_lo
	s_mov_b32 s35, exec_lo
	s_wait_loadcnt 0x0
	v_cmp_le_u16_e64 s14, v25, v26
	v_cmp_lt_u16_e32 vcc_lo, v25, v26
	v_cmpx_eq_u16_e64 v25, v26
	s_cbranch_execz .LBB1361_843
; %bb.845:                              ;   in Loop: Header=BB1361_844 Depth=1
	s_add_nc_u64 s[22:23], s[22:23], -1
	v_add_nc_u64_e32 v[0:1], 2, v[0:1]
	s_cmp_eq_u64 s[22:23], 0
	v_add_nc_u64_e32 v[22:23], 2, v[22:23]
	s_cselect_b32 s15, -1, 0
	s_and_not1_b32 s33, s33, exec_lo
	s_and_b32 s15, s15, exec_lo
	s_and_not1_b32 s31, s31, exec_lo
	s_or_b32 s33, s33, s15
	s_branch .LBB1361_843
.LBB1361_846:
	s_or_b32 exec_lo, exec_lo, s29
	s_and_saveexec_b32 s14, s30
	s_delay_alu instid0(SALU_CYCLE_1)
	s_xor_b32 s14, exec_lo, s14
; %bb.847:
	v_dual_cndmask_b32 v1, v17, v15, s28 :: v_dual_cndmask_b32 v0, v16, v14, s28
	v_dual_cndmask_b32 v15, v15, v17, s28 :: v_dual_cndmask_b32 v14, v14, v16, s28
	s_delay_alu instid0(VALU_DEP_2)
	v_mov_b64_e32 v[16:17], v[0:1]
; %bb.848:
	s_or_b32 exec_lo, exec_lo, s14
.LBB1361_849:
	s_delay_alu instid0(SALU_CYCLE_1)
	s_or_b32 exec_lo, exec_lo, s27
	s_and_saveexec_b32 s27, s8
	s_cbranch_execz .LBB1361_858
; %bb.850:
	s_and_not1_b32 vcc_lo, exec_lo, s26
	s_cbranch_vccnz .LBB1361_858
; %bb.851:
	v_mul_u64_e32 v[0:1], s[16:17], v[12:13]
	v_mul_u64_e32 v[22:23], s[16:17], v[10:11]
	s_mov_b32 s29, 0
	s_mov_b64 s[22:23], s[16:17]
                                        ; implicit-def: $sgpr28
                                        ; implicit-def: $sgpr30
                                        ; implicit-def: $sgpr33
                                        ; implicit-def: $sgpr31
                                        ; implicit-def: $sgpr34
	s_delay_alu instid0(VALU_DEP_2) | instskip(NEXT) | instid1(VALU_DEP_2)
	v_lshl_add_u64 v[0:1], v[0:1], 1, s[18:19]
	v_lshl_add_u64 v[22:23], v[22:23], 1, s[18:19]
	s_branch .LBB1361_853
.LBB1361_852:                           ;   in Loop: Header=BB1361_853 Depth=1
	s_or_b32 exec_lo, exec_lo, s35
	s_and_b32 s14, s14, s34
	s_delay_alu instid0(SALU_CYCLE_1) | instskip(SKIP_1) | instid1(SALU_CYCLE_1)
	s_or_b32 s14, vcc_lo, s14
	s_and_b32 s15, exec_lo, s33
	s_or_b32 s29, s15, s29
	s_and_not1_b32 s15, s34, exec_lo
	s_and_b32 s14, s14, exec_lo
	s_and_not1_b32 s30, s30, exec_lo
	s_and_b32 s35, s31, exec_lo
	s_or_b32 s34, s15, s14
	s_and_not1_b32 s15, s28, exec_lo
	s_or_b32 s30, s30, s35
	s_or_b32 s28, s15, s14
	s_and_not1_b32 exec_lo, exec_lo, s29
	s_cbranch_execz .LBB1361_855
.LBB1361_853:                           ; =>This Inner Loop Header: Depth=1
	global_load_u16 v25, v[0:1], off
	global_load_u16 v26, v[22:23], off
	s_or_b32 s31, s31, exec_lo
	s_or_b32 s33, s33, exec_lo
	s_mov_b32 s35, exec_lo
	s_wait_loadcnt 0x0
	v_cmp_le_u16_e64 s14, v25, v26
	v_cmp_lt_u16_e32 vcc_lo, v25, v26
	v_cmpx_eq_u16_e64 v25, v26
	s_cbranch_execz .LBB1361_852
; %bb.854:                              ;   in Loop: Header=BB1361_853 Depth=1
	s_add_nc_u64 s[22:23], s[22:23], -1
	v_add_nc_u64_e32 v[0:1], 2, v[0:1]
	s_cmp_eq_u64 s[22:23], 0
	v_add_nc_u64_e32 v[22:23], 2, v[22:23]
	s_cselect_b32 s15, -1, 0
	s_and_not1_b32 s33, s33, exec_lo
	s_and_b32 s15, s15, exec_lo
	s_and_not1_b32 s31, s31, exec_lo
	s_or_b32 s33, s33, s15
	s_branch .LBB1361_852
.LBB1361_855:
	s_or_b32 exec_lo, exec_lo, s29
	s_and_saveexec_b32 s14, s30
	s_delay_alu instid0(SALU_CYCLE_1)
	s_xor_b32 s14, exec_lo, s14
; %bb.856:
	v_dual_cndmask_b32 v1, v11, v13, s28 :: v_dual_cndmask_b32 v0, v10, v12, s28
	v_dual_cndmask_b32 v13, v13, v11, s28 :: v_dual_cndmask_b32 v12, v12, v10, s28
	s_delay_alu instid0(VALU_DEP_2)
	v_mov_b64_e32 v[10:11], v[0:1]
; %bb.857:
	s_or_b32 exec_lo, exec_lo, s14
.LBB1361_858:
	s_delay_alu instid0(SALU_CYCLE_1)
	s_or_b32 exec_lo, exec_lo, s27
	s_and_saveexec_b32 s27, s9
	s_cbranch_execz .LBB1361_867
; %bb.859:
	s_and_not1_b32 vcc_lo, exec_lo, s26
	s_cbranch_vccnz .LBB1361_867
; %bb.860:
	v_mul_u64_e32 v[0:1], s[16:17], v[8:9]
	v_mul_u64_e32 v[22:23], s[16:17], v[6:7]
	s_mov_b32 s29, 0
	s_mov_b64 s[22:23], s[16:17]
                                        ; implicit-def: $sgpr28
                                        ; implicit-def: $sgpr30
                                        ; implicit-def: $sgpr33
                                        ; implicit-def: $sgpr31
                                        ; implicit-def: $sgpr34
	s_delay_alu instid0(VALU_DEP_2) | instskip(NEXT) | instid1(VALU_DEP_2)
	v_lshl_add_u64 v[0:1], v[0:1], 1, s[18:19]
	v_lshl_add_u64 v[22:23], v[22:23], 1, s[18:19]
	s_branch .LBB1361_862
.LBB1361_861:                           ;   in Loop: Header=BB1361_862 Depth=1
	s_or_b32 exec_lo, exec_lo, s35
	s_and_b32 s14, s14, s34
	s_delay_alu instid0(SALU_CYCLE_1) | instskip(SKIP_1) | instid1(SALU_CYCLE_1)
	s_or_b32 s14, vcc_lo, s14
	s_and_b32 s15, exec_lo, s33
	s_or_b32 s29, s15, s29
	s_and_not1_b32 s15, s34, exec_lo
	s_and_b32 s14, s14, exec_lo
	s_and_not1_b32 s30, s30, exec_lo
	s_and_b32 s35, s31, exec_lo
	s_or_b32 s34, s15, s14
	s_and_not1_b32 s15, s28, exec_lo
	s_or_b32 s30, s30, s35
	s_or_b32 s28, s15, s14
	s_and_not1_b32 exec_lo, exec_lo, s29
	s_cbranch_execz .LBB1361_864
.LBB1361_862:                           ; =>This Inner Loop Header: Depth=1
	global_load_u16 v25, v[0:1], off
	global_load_u16 v26, v[22:23], off
	s_or_b32 s31, s31, exec_lo
	s_or_b32 s33, s33, exec_lo
	s_mov_b32 s35, exec_lo
	s_wait_loadcnt 0x0
	v_cmp_le_u16_e64 s14, v25, v26
	v_cmp_lt_u16_e32 vcc_lo, v25, v26
	v_cmpx_eq_u16_e64 v25, v26
	s_cbranch_execz .LBB1361_861
; %bb.863:                              ;   in Loop: Header=BB1361_862 Depth=1
	s_add_nc_u64 s[22:23], s[22:23], -1
	v_add_nc_u64_e32 v[0:1], 2, v[0:1]
	s_cmp_eq_u64 s[22:23], 0
	v_add_nc_u64_e32 v[22:23], 2, v[22:23]
	s_cselect_b32 s15, -1, 0
	s_and_not1_b32 s33, s33, exec_lo
	s_and_b32 s15, s15, exec_lo
	s_and_not1_b32 s31, s31, exec_lo
	s_or_b32 s33, s33, s15
	s_branch .LBB1361_861
.LBB1361_864:
	s_or_b32 exec_lo, exec_lo, s29
	s_and_saveexec_b32 s14, s30
	s_delay_alu instid0(SALU_CYCLE_1)
	s_xor_b32 s14, exec_lo, s14
; %bb.865:
	v_dual_cndmask_b32 v1, v7, v9, s28 :: v_dual_cndmask_b32 v0, v6, v8, s28
	v_dual_cndmask_b32 v9, v9, v7, s28 :: v_dual_cndmask_b32 v8, v8, v6, s28
	s_delay_alu instid0(VALU_DEP_2)
	v_mov_b64_e32 v[6:7], v[0:1]
; %bb.866:
	s_or_b32 exec_lo, exec_lo, s14
.LBB1361_867:
	s_delay_alu instid0(SALU_CYCLE_1)
	s_or_b32 exec_lo, exec_lo, s27
	s_and_saveexec_b32 s27, s10
	s_cbranch_execz .LBB1361_876
; %bb.868:
	s_and_not1_b32 vcc_lo, exec_lo, s26
	s_cbranch_vccnz .LBB1361_876
; %bb.869:
	v_mul_u64_e32 v[0:1], s[16:17], v[4:5]
	v_mul_u64_e32 v[22:23], s[16:17], v[2:3]
	s_mov_b32 s29, 0
	s_mov_b64 s[22:23], s[16:17]
                                        ; implicit-def: $sgpr28
                                        ; implicit-def: $sgpr30
                                        ; implicit-def: $sgpr33
                                        ; implicit-def: $sgpr31
                                        ; implicit-def: $sgpr34
	s_delay_alu instid0(VALU_DEP_2) | instskip(NEXT) | instid1(VALU_DEP_2)
	v_lshl_add_u64 v[0:1], v[0:1], 1, s[18:19]
	v_lshl_add_u64 v[22:23], v[22:23], 1, s[18:19]
	s_branch .LBB1361_871
.LBB1361_870:                           ;   in Loop: Header=BB1361_871 Depth=1
	s_or_b32 exec_lo, exec_lo, s35
	s_and_b32 s14, s14, s34
	s_delay_alu instid0(SALU_CYCLE_1) | instskip(SKIP_1) | instid1(SALU_CYCLE_1)
	s_or_b32 s14, vcc_lo, s14
	s_and_b32 s15, exec_lo, s33
	s_or_b32 s29, s15, s29
	s_and_not1_b32 s15, s34, exec_lo
	s_and_b32 s14, s14, exec_lo
	s_and_not1_b32 s30, s30, exec_lo
	s_and_b32 s35, s31, exec_lo
	s_or_b32 s34, s15, s14
	s_and_not1_b32 s15, s28, exec_lo
	s_or_b32 s30, s30, s35
	s_or_b32 s28, s15, s14
	s_and_not1_b32 exec_lo, exec_lo, s29
	s_cbranch_execz .LBB1361_873
.LBB1361_871:                           ; =>This Inner Loop Header: Depth=1
	global_load_u16 v25, v[0:1], off
	global_load_u16 v26, v[22:23], off
	s_or_b32 s31, s31, exec_lo
	s_or_b32 s33, s33, exec_lo
	s_mov_b32 s35, exec_lo
	s_wait_loadcnt 0x0
	v_cmp_le_u16_e64 s14, v25, v26
	v_cmp_lt_u16_e32 vcc_lo, v25, v26
	v_cmpx_eq_u16_e64 v25, v26
	s_cbranch_execz .LBB1361_870
; %bb.872:                              ;   in Loop: Header=BB1361_871 Depth=1
	s_add_nc_u64 s[22:23], s[22:23], -1
	v_add_nc_u64_e32 v[0:1], 2, v[0:1]
	s_cmp_eq_u64 s[22:23], 0
	v_add_nc_u64_e32 v[22:23], 2, v[22:23]
	s_cselect_b32 s15, -1, 0
	s_and_not1_b32 s33, s33, exec_lo
	s_and_b32 s15, s15, exec_lo
	s_and_not1_b32 s31, s31, exec_lo
	s_or_b32 s33, s33, s15
	s_branch .LBB1361_870
.LBB1361_873:
	s_or_b32 exec_lo, exec_lo, s29
	s_and_saveexec_b32 s14, s30
	s_delay_alu instid0(SALU_CYCLE_1)
	s_xor_b32 s14, exec_lo, s14
; %bb.874:
	v_dual_cndmask_b32 v1, v3, v5, s28 :: v_dual_cndmask_b32 v0, v2, v4, s28
	v_dual_cndmask_b32 v5, v5, v3, s28 :: v_dual_cndmask_b32 v4, v4, v2, s28
	s_delay_alu instid0(VALU_DEP_2)
	v_mov_b64_e32 v[2:3], v[0:1]
; %bb.875:
	s_or_b32 exec_lo, exec_lo, s14
.LBB1361_876:
	s_delay_alu instid0(SALU_CYCLE_1)
	s_or_b32 exec_lo, exec_lo, s27
	s_and_saveexec_b32 s27, s11
	s_cbranch_execz .LBB1361_885
; %bb.877:
	s_and_not1_b32 vcc_lo, exec_lo, s26
	s_cbranch_vccnz .LBB1361_885
; %bb.878:
	v_mul_u64_e32 v[0:1], s[16:17], v[10:11]
	v_mul_u64_e32 v[22:23], s[16:17], v[16:17]
	s_mov_b32 s29, 0
	s_mov_b64 s[22:23], s[16:17]
                                        ; implicit-def: $sgpr28
                                        ; implicit-def: $sgpr30
                                        ; implicit-def: $sgpr33
                                        ; implicit-def: $sgpr31
                                        ; implicit-def: $sgpr34
	s_delay_alu instid0(VALU_DEP_2) | instskip(NEXT) | instid1(VALU_DEP_2)
	v_lshl_add_u64 v[0:1], v[0:1], 1, s[18:19]
	v_lshl_add_u64 v[22:23], v[22:23], 1, s[18:19]
	s_branch .LBB1361_880
.LBB1361_879:                           ;   in Loop: Header=BB1361_880 Depth=1
	s_or_b32 exec_lo, exec_lo, s35
	s_and_b32 s14, s14, s34
	s_delay_alu instid0(SALU_CYCLE_1) | instskip(SKIP_1) | instid1(SALU_CYCLE_1)
	s_or_b32 s14, vcc_lo, s14
	s_and_b32 s15, exec_lo, s33
	s_or_b32 s29, s15, s29
	s_and_not1_b32 s15, s34, exec_lo
	s_and_b32 s14, s14, exec_lo
	s_and_not1_b32 s30, s30, exec_lo
	s_and_b32 s35, s31, exec_lo
	s_or_b32 s34, s15, s14
	s_and_not1_b32 s15, s28, exec_lo
	s_or_b32 s30, s30, s35
	s_or_b32 s28, s15, s14
	s_and_not1_b32 exec_lo, exec_lo, s29
	s_cbranch_execz .LBB1361_882
.LBB1361_880:                           ; =>This Inner Loop Header: Depth=1
	global_load_u16 v25, v[0:1], off
	global_load_u16 v26, v[22:23], off
	s_or_b32 s31, s31, exec_lo
	s_or_b32 s33, s33, exec_lo
	s_mov_b32 s35, exec_lo
	s_wait_loadcnt 0x0
	v_cmp_le_u16_e64 s14, v25, v26
	v_cmp_lt_u16_e32 vcc_lo, v25, v26
	v_cmpx_eq_u16_e64 v25, v26
	s_cbranch_execz .LBB1361_879
; %bb.881:                              ;   in Loop: Header=BB1361_880 Depth=1
	s_add_nc_u64 s[22:23], s[22:23], -1
	v_add_nc_u64_e32 v[0:1], 2, v[0:1]
	s_cmp_eq_u64 s[22:23], 0
	v_add_nc_u64_e32 v[22:23], 2, v[22:23]
	s_cselect_b32 s15, -1, 0
	s_and_not1_b32 s33, s33, exec_lo
	s_and_b32 s15, s15, exec_lo
	s_and_not1_b32 s31, s31, exec_lo
	s_or_b32 s33, s33, s15
	s_branch .LBB1361_879
.LBB1361_882:
	s_or_b32 exec_lo, exec_lo, s29
	s_and_saveexec_b32 s14, s30
	s_delay_alu instid0(SALU_CYCLE_1)
	s_xor_b32 s14, exec_lo, s14
; %bb.883:
	v_dual_cndmask_b32 v1, v17, v11, s28 :: v_dual_cndmask_b32 v0, v16, v10, s28
	v_dual_cndmask_b32 v11, v11, v17, s28 :: v_dual_cndmask_b32 v10, v10, v16, s28
	s_delay_alu instid0(VALU_DEP_2)
	v_mov_b64_e32 v[16:17], v[0:1]
; %bb.884:
	s_or_b32 exec_lo, exec_lo, s14
.LBB1361_885:
	s_delay_alu instid0(SALU_CYCLE_1)
	s_or_b32 exec_lo, exec_lo, s27
	s_and_saveexec_b32 s27, s12
	s_cbranch_execz .LBB1361_894
; %bb.886:
	s_and_not1_b32 vcc_lo, exec_lo, s26
	s_cbranch_vccnz .LBB1361_894
; %bb.887:
	v_mul_u64_e32 v[0:1], s[16:17], v[6:7]
	v_mul_u64_e32 v[22:23], s[16:17], v[12:13]
	s_mov_b32 s29, 0
	s_mov_b64 s[22:23], s[16:17]
                                        ; implicit-def: $sgpr28
                                        ; implicit-def: $sgpr30
                                        ; implicit-def: $sgpr33
                                        ; implicit-def: $sgpr31
                                        ; implicit-def: $sgpr34
	s_delay_alu instid0(VALU_DEP_2) | instskip(NEXT) | instid1(VALU_DEP_2)
	v_lshl_add_u64 v[0:1], v[0:1], 1, s[18:19]
	v_lshl_add_u64 v[22:23], v[22:23], 1, s[18:19]
	s_branch .LBB1361_889
.LBB1361_888:                           ;   in Loop: Header=BB1361_889 Depth=1
	s_or_b32 exec_lo, exec_lo, s35
	s_and_b32 s14, s14, s34
	s_delay_alu instid0(SALU_CYCLE_1) | instskip(SKIP_1) | instid1(SALU_CYCLE_1)
	s_or_b32 s14, vcc_lo, s14
	s_and_b32 s15, exec_lo, s33
	s_or_b32 s29, s15, s29
	s_and_not1_b32 s15, s34, exec_lo
	s_and_b32 s14, s14, exec_lo
	s_and_not1_b32 s30, s30, exec_lo
	s_and_b32 s35, s31, exec_lo
	s_or_b32 s34, s15, s14
	s_and_not1_b32 s15, s28, exec_lo
	s_or_b32 s30, s30, s35
	s_or_b32 s28, s15, s14
	s_and_not1_b32 exec_lo, exec_lo, s29
	s_cbranch_execz .LBB1361_891
.LBB1361_889:                           ; =>This Inner Loop Header: Depth=1
	global_load_u16 v25, v[0:1], off
	global_load_u16 v26, v[22:23], off
	s_or_b32 s31, s31, exec_lo
	s_or_b32 s33, s33, exec_lo
	s_mov_b32 s35, exec_lo
	s_wait_loadcnt 0x0
	v_cmp_le_u16_e64 s14, v25, v26
	v_cmp_lt_u16_e32 vcc_lo, v25, v26
	v_cmpx_eq_u16_e64 v25, v26
	s_cbranch_execz .LBB1361_888
; %bb.890:                              ;   in Loop: Header=BB1361_889 Depth=1
	s_add_nc_u64 s[22:23], s[22:23], -1
	v_add_nc_u64_e32 v[0:1], 2, v[0:1]
	s_cmp_eq_u64 s[22:23], 0
	v_add_nc_u64_e32 v[22:23], 2, v[22:23]
	s_cselect_b32 s15, -1, 0
	s_and_not1_b32 s33, s33, exec_lo
	s_and_b32 s15, s15, exec_lo
	s_and_not1_b32 s31, s31, exec_lo
	s_or_b32 s33, s33, s15
	s_branch .LBB1361_888
.LBB1361_891:
	s_or_b32 exec_lo, exec_lo, s29
	s_and_saveexec_b32 s14, s30
	s_delay_alu instid0(SALU_CYCLE_1)
	s_xor_b32 s14, exec_lo, s14
; %bb.892:
	v_dual_cndmask_b32 v1, v13, v7, s28 :: v_dual_cndmask_b32 v0, v12, v6, s28
	v_dual_cndmask_b32 v7, v7, v13, s28 :: v_dual_cndmask_b32 v6, v6, v12, s28
	s_delay_alu instid0(VALU_DEP_2)
	v_mov_b64_e32 v[12:13], v[0:1]
; %bb.893:
	s_or_b32 exec_lo, exec_lo, s14
.LBB1361_894:
	s_delay_alu instid0(SALU_CYCLE_1)
	s_or_b32 exec_lo, exec_lo, s27
	s_and_saveexec_b32 s27, s13
	s_cbranch_execz .LBB1361_903
; %bb.895:
	s_and_not1_b32 vcc_lo, exec_lo, s26
	s_cbranch_vccnz .LBB1361_903
; %bb.896:
	v_mul_u64_e32 v[0:1], s[16:17], v[2:3]
	v_mul_u64_e32 v[22:23], s[16:17], v[8:9]
	s_mov_b32 s29, 0
	s_mov_b64 s[22:23], s[16:17]
                                        ; implicit-def: $sgpr28
                                        ; implicit-def: $sgpr30
                                        ; implicit-def: $sgpr33
                                        ; implicit-def: $sgpr31
                                        ; implicit-def: $sgpr34
	s_delay_alu instid0(VALU_DEP_2) | instskip(NEXT) | instid1(VALU_DEP_2)
	v_lshl_add_u64 v[0:1], v[0:1], 1, s[18:19]
	v_lshl_add_u64 v[22:23], v[22:23], 1, s[18:19]
	s_branch .LBB1361_898
.LBB1361_897:                           ;   in Loop: Header=BB1361_898 Depth=1
	s_or_b32 exec_lo, exec_lo, s35
	s_and_b32 s14, s14, s34
	s_delay_alu instid0(SALU_CYCLE_1) | instskip(SKIP_1) | instid1(SALU_CYCLE_1)
	s_or_b32 s14, vcc_lo, s14
	s_and_b32 s15, exec_lo, s33
	s_or_b32 s29, s15, s29
	s_and_not1_b32 s15, s34, exec_lo
	s_and_b32 s14, s14, exec_lo
	s_and_not1_b32 s30, s30, exec_lo
	s_and_b32 s35, s31, exec_lo
	s_or_b32 s34, s15, s14
	s_and_not1_b32 s15, s28, exec_lo
	s_or_b32 s30, s30, s35
	s_or_b32 s28, s15, s14
	s_and_not1_b32 exec_lo, exec_lo, s29
	s_cbranch_execz .LBB1361_900
.LBB1361_898:                           ; =>This Inner Loop Header: Depth=1
	global_load_u16 v25, v[0:1], off
	global_load_u16 v26, v[22:23], off
	s_or_b32 s31, s31, exec_lo
	s_or_b32 s33, s33, exec_lo
	s_mov_b32 s35, exec_lo
	s_wait_loadcnt 0x0
	v_cmp_le_u16_e64 s14, v25, v26
	v_cmp_lt_u16_e32 vcc_lo, v25, v26
	v_cmpx_eq_u16_e64 v25, v26
	s_cbranch_execz .LBB1361_897
; %bb.899:                              ;   in Loop: Header=BB1361_898 Depth=1
	s_add_nc_u64 s[22:23], s[22:23], -1
	v_add_nc_u64_e32 v[0:1], 2, v[0:1]
	s_cmp_eq_u64 s[22:23], 0
	v_add_nc_u64_e32 v[22:23], 2, v[22:23]
	s_cselect_b32 s15, -1, 0
	s_and_not1_b32 s33, s33, exec_lo
	s_and_b32 s15, s15, exec_lo
	s_and_not1_b32 s31, s31, exec_lo
	s_or_b32 s33, s33, s15
	s_branch .LBB1361_897
.LBB1361_900:
	s_or_b32 exec_lo, exec_lo, s29
	s_and_saveexec_b32 s14, s30
	s_delay_alu instid0(SALU_CYCLE_1)
	s_xor_b32 s14, exec_lo, s14
; %bb.901:
	v_dual_cndmask_b32 v1, v9, v3, s28 :: v_dual_cndmask_b32 v0, v8, v2, s28
	v_dual_cndmask_b32 v3, v3, v9, s28 :: v_dual_cndmask_b32 v2, v2, v8, s28
	s_delay_alu instid0(VALU_DEP_2)
	v_mov_b64_e32 v[8:9], v[0:1]
; %bb.902:
	s_or_b32 exec_lo, exec_lo, s14
.LBB1361_903:
	s_delay_alu instid0(SALU_CYCLE_1)
	s_or_b32 exec_lo, exec_lo, s27
	s_and_saveexec_b32 s15, s7
	s_cbranch_execz .LBB1361_912
; %bb.904:
	s_and_not1_b32 vcc_lo, exec_lo, s26
	s_cbranch_vccnz .LBB1361_912
; %bb.905:
	v_mul_u64_e32 v[0:1], s[16:17], v[16:17]
	v_mul_u64_e32 v[22:23], s[16:17], v[14:15]
	s_mov_b32 s28, 0
	s_mov_b64 s[22:23], s[16:17]
                                        ; implicit-def: $sgpr27
                                        ; implicit-def: $sgpr29
                                        ; implicit-def: $sgpr31
                                        ; implicit-def: $sgpr30
                                        ; implicit-def: $sgpr33
	s_delay_alu instid0(VALU_DEP_2) | instskip(NEXT) | instid1(VALU_DEP_2)
	v_lshl_add_u64 v[0:1], v[0:1], 1, s[18:19]
	v_lshl_add_u64 v[22:23], v[22:23], 1, s[18:19]
	s_branch .LBB1361_907
.LBB1361_906:                           ;   in Loop: Header=BB1361_907 Depth=1
	s_or_b32 exec_lo, exec_lo, s34
	s_and_b32 s7, s7, s33
	s_delay_alu instid0(SALU_CYCLE_1) | instskip(SKIP_1) | instid1(SALU_CYCLE_1)
	s_or_b32 s7, vcc_lo, s7
	s_and_b32 s14, exec_lo, s31
	s_or_b32 s28, s14, s28
	s_and_not1_b32 s14, s33, exec_lo
	s_and_b32 s7, s7, exec_lo
	s_and_not1_b32 s29, s29, exec_lo
	s_and_b32 s34, s30, exec_lo
	s_or_b32 s33, s14, s7
	s_and_not1_b32 s14, s27, exec_lo
	s_or_b32 s29, s29, s34
	s_or_b32 s27, s14, s7
	s_and_not1_b32 exec_lo, exec_lo, s28
	s_cbranch_execz .LBB1361_909
.LBB1361_907:                           ; =>This Inner Loop Header: Depth=1
	global_load_u16 v25, v[0:1], off
	global_load_u16 v26, v[22:23], off
	s_or_b32 s30, s30, exec_lo
	s_or_b32 s31, s31, exec_lo
	s_mov_b32 s34, exec_lo
	s_wait_loadcnt 0x0
	v_cmp_le_u16_e64 s7, v25, v26
	v_cmp_lt_u16_e32 vcc_lo, v25, v26
	v_cmpx_eq_u16_e64 v25, v26
	s_cbranch_execz .LBB1361_906
; %bb.908:                              ;   in Loop: Header=BB1361_907 Depth=1
	s_add_nc_u64 s[22:23], s[22:23], -1
	v_add_nc_u64_e32 v[0:1], 2, v[0:1]
	s_cmp_eq_u64 s[22:23], 0
	v_add_nc_u64_e32 v[22:23], 2, v[22:23]
	s_cselect_b32 s14, -1, 0
	s_and_not1_b32 s31, s31, exec_lo
	s_and_b32 s14, s14, exec_lo
	s_and_not1_b32 s30, s30, exec_lo
	s_or_b32 s31, s31, s14
	s_branch .LBB1361_906
.LBB1361_909:
	s_or_b32 exec_lo, exec_lo, s28
	s_and_saveexec_b32 s7, s29
	s_delay_alu instid0(SALU_CYCLE_1)
	s_xor_b32 s7, exec_lo, s7
; %bb.910:
	v_dual_cndmask_b32 v1, v17, v15, s27 :: v_dual_cndmask_b32 v0, v16, v14, s27
	v_dual_cndmask_b32 v15, v15, v17, s27 :: v_dual_cndmask_b32 v14, v14, v16, s27
	s_delay_alu instid0(VALU_DEP_2)
	v_mov_b64_e32 v[16:17], v[0:1]
; %bb.911:
	s_or_b32 exec_lo, exec_lo, s7
.LBB1361_912:
	s_delay_alu instid0(SALU_CYCLE_1)
	s_or_b32 exec_lo, exec_lo, s15
	s_and_saveexec_b32 s22, s8
	s_cbranch_execz .LBB1361_921
; %bb.913:
	s_and_not1_b32 vcc_lo, exec_lo, s26
	s_cbranch_vccnz .LBB1361_921
; %bb.914:
	v_mul_u64_e32 v[0:1], s[16:17], v[12:13]
	v_mul_u64_e32 v[22:23], s[16:17], v[10:11]
	s_mov_b32 s27, 0
	s_mov_b64 s[14:15], s[16:17]
                                        ; implicit-def: $sgpr23
                                        ; implicit-def: $sgpr28
                                        ; implicit-def: $sgpr30
                                        ; implicit-def: $sgpr29
                                        ; implicit-def: $sgpr31
	s_delay_alu instid0(VALU_DEP_2) | instskip(NEXT) | instid1(VALU_DEP_2)
	v_lshl_add_u64 v[0:1], v[0:1], 1, s[18:19]
	v_lshl_add_u64 v[22:23], v[22:23], 1, s[18:19]
	s_branch .LBB1361_916
.LBB1361_915:                           ;   in Loop: Header=BB1361_916 Depth=1
	s_or_b32 exec_lo, exec_lo, s33
	s_and_b32 s7, s7, s31
	s_delay_alu instid0(SALU_CYCLE_1) | instskip(SKIP_1) | instid1(SALU_CYCLE_1)
	s_or_b32 s7, vcc_lo, s7
	s_and_b32 s8, exec_lo, s30
	s_or_b32 s27, s8, s27
	s_and_not1_b32 s8, s31, exec_lo
	s_and_b32 s7, s7, exec_lo
	s_and_not1_b32 s28, s28, exec_lo
	s_and_b32 s33, s29, exec_lo
	s_or_b32 s31, s8, s7
	s_and_not1_b32 s8, s23, exec_lo
	s_or_b32 s28, s28, s33
	s_or_b32 s23, s8, s7
	s_and_not1_b32 exec_lo, exec_lo, s27
	s_cbranch_execz .LBB1361_918
.LBB1361_916:                           ; =>This Inner Loop Header: Depth=1
	global_load_u16 v25, v[0:1], off
	global_load_u16 v26, v[22:23], off
	s_or_b32 s29, s29, exec_lo
	s_or_b32 s30, s30, exec_lo
	s_mov_b32 s33, exec_lo
	s_wait_loadcnt 0x0
	v_cmp_le_u16_e64 s7, v25, v26
	v_cmp_lt_u16_e32 vcc_lo, v25, v26
	v_cmpx_eq_u16_e64 v25, v26
	s_cbranch_execz .LBB1361_915
; %bb.917:                              ;   in Loop: Header=BB1361_916 Depth=1
	s_add_nc_u64 s[14:15], s[14:15], -1
	v_add_nc_u64_e32 v[0:1], 2, v[0:1]
	s_cmp_eq_u64 s[14:15], 0
	v_add_nc_u64_e32 v[22:23], 2, v[22:23]
	s_cselect_b32 s8, -1, 0
	s_and_not1_b32 s30, s30, exec_lo
	s_and_b32 s8, s8, exec_lo
	s_and_not1_b32 s29, s29, exec_lo
	s_or_b32 s30, s30, s8
	s_branch .LBB1361_915
.LBB1361_918:
	s_or_b32 exec_lo, exec_lo, s27
	s_and_saveexec_b32 s7, s28
	s_delay_alu instid0(SALU_CYCLE_1)
	s_xor_b32 s7, exec_lo, s7
; %bb.919:
	v_dual_cndmask_b32 v1, v11, v13, s23 :: v_dual_cndmask_b32 v0, v10, v12, s23
	v_dual_cndmask_b32 v13, v13, v11, s23 :: v_dual_cndmask_b32 v12, v12, v10, s23
	s_delay_alu instid0(VALU_DEP_2)
	v_mov_b64_e32 v[10:11], v[0:1]
; %bb.920:
	s_or_b32 exec_lo, exec_lo, s7
.LBB1361_921:
	s_delay_alu instid0(SALU_CYCLE_1)
	s_or_b32 exec_lo, exec_lo, s22
	s_and_saveexec_b32 s22, s9
	s_cbranch_execz .LBB1361_930
; %bb.922:
	s_and_not1_b32 vcc_lo, exec_lo, s26
	s_cbranch_vccnz .LBB1361_930
; %bb.923:
	v_mul_u64_e32 v[0:1], s[16:17], v[8:9]
	v_mul_u64_e32 v[22:23], s[16:17], v[6:7]
	s_mov_b32 s23, 0
	s_mov_b64 s[14:15], s[16:17]
                                        ; implicit-def: $sgpr9
                                        ; implicit-def: $sgpr27
                                        ; implicit-def: $sgpr29
                                        ; implicit-def: $sgpr28
                                        ; implicit-def: $sgpr30
	s_delay_alu instid0(VALU_DEP_2) | instskip(NEXT) | instid1(VALU_DEP_2)
	v_lshl_add_u64 v[0:1], v[0:1], 1, s[18:19]
	v_lshl_add_u64 v[22:23], v[22:23], 1, s[18:19]
	s_branch .LBB1361_925
.LBB1361_924:                           ;   in Loop: Header=BB1361_925 Depth=1
	s_or_b32 exec_lo, exec_lo, s31
	s_and_b32 s7, s7, s30
	s_delay_alu instid0(SALU_CYCLE_1) | instskip(SKIP_1) | instid1(SALU_CYCLE_1)
	s_or_b32 s7, vcc_lo, s7
	s_and_b32 s8, exec_lo, s29
	s_or_b32 s23, s8, s23
	s_and_not1_b32 s8, s30, exec_lo
	s_and_b32 s7, s7, exec_lo
	s_and_not1_b32 s27, s27, exec_lo
	s_and_b32 s31, s28, exec_lo
	s_or_b32 s30, s8, s7
	s_and_not1_b32 s8, s9, exec_lo
	s_or_b32 s27, s27, s31
	s_or_b32 s9, s8, s7
	s_and_not1_b32 exec_lo, exec_lo, s23
	s_cbranch_execz .LBB1361_927
.LBB1361_925:                           ; =>This Inner Loop Header: Depth=1
	global_load_u16 v25, v[0:1], off
	global_load_u16 v26, v[22:23], off
	s_or_b32 s28, s28, exec_lo
	s_or_b32 s29, s29, exec_lo
	s_mov_b32 s31, exec_lo
	s_wait_loadcnt 0x0
	v_cmp_le_u16_e64 s7, v25, v26
	v_cmp_lt_u16_e32 vcc_lo, v25, v26
	v_cmpx_eq_u16_e64 v25, v26
	s_cbranch_execz .LBB1361_924
; %bb.926:                              ;   in Loop: Header=BB1361_925 Depth=1
	s_add_nc_u64 s[14:15], s[14:15], -1
	v_add_nc_u64_e32 v[0:1], 2, v[0:1]
	s_cmp_eq_u64 s[14:15], 0
	v_add_nc_u64_e32 v[22:23], 2, v[22:23]
	s_cselect_b32 s8, -1, 0
	s_and_not1_b32 s29, s29, exec_lo
	s_and_b32 s8, s8, exec_lo
	s_and_not1_b32 s28, s28, exec_lo
	s_or_b32 s29, s29, s8
	s_branch .LBB1361_924
.LBB1361_927:
	s_or_b32 exec_lo, exec_lo, s23
	s_and_saveexec_b32 s7, s27
	s_delay_alu instid0(SALU_CYCLE_1)
	s_xor_b32 s7, exec_lo, s7
; %bb.928:
	v_dual_cndmask_b32 v1, v7, v9, s9 :: v_dual_cndmask_b32 v0, v6, v8, s9
	v_dual_cndmask_b32 v9, v9, v7, s9 :: v_dual_cndmask_b32 v8, v8, v6, s9
	s_delay_alu instid0(VALU_DEP_2)
	v_mov_b64_e32 v[6:7], v[0:1]
; %bb.929:
	s_or_b32 exec_lo, exec_lo, s7
.LBB1361_930:
	s_delay_alu instid0(SALU_CYCLE_1)
	s_or_b32 exec_lo, exec_lo, s22
	s_and_saveexec_b32 s9, s10
	s_cbranch_execz .LBB1361_939
; %bb.931:
	s_and_not1_b32 vcc_lo, exec_lo, s26
	s_cbranch_vccnz .LBB1361_939
; %bb.932:
	v_mul_u64_e32 v[0:1], s[16:17], v[4:5]
	v_mul_u64_e32 v[22:23], s[16:17], v[2:3]
	s_mov_b32 s22, 0
	s_mov_b64 s[14:15], s[16:17]
                                        ; implicit-def: $sgpr10
                                        ; implicit-def: $sgpr23
                                        ; implicit-def: $sgpr28
                                        ; implicit-def: $sgpr27
                                        ; implicit-def: $sgpr29
	s_delay_alu instid0(VALU_DEP_2) | instskip(NEXT) | instid1(VALU_DEP_2)
	v_lshl_add_u64 v[0:1], v[0:1], 1, s[18:19]
	v_lshl_add_u64 v[22:23], v[22:23], 1, s[18:19]
	s_branch .LBB1361_934
.LBB1361_933:                           ;   in Loop: Header=BB1361_934 Depth=1
	s_or_b32 exec_lo, exec_lo, s30
	s_and_b32 s7, s7, s29
	s_delay_alu instid0(SALU_CYCLE_1) | instskip(SKIP_1) | instid1(SALU_CYCLE_1)
	s_or_b32 s7, vcc_lo, s7
	s_and_b32 s8, exec_lo, s28
	s_or_b32 s22, s8, s22
	s_and_not1_b32 s8, s29, exec_lo
	s_and_b32 s7, s7, exec_lo
	s_and_not1_b32 s23, s23, exec_lo
	s_and_b32 s30, s27, exec_lo
	s_or_b32 s29, s8, s7
	s_and_not1_b32 s8, s10, exec_lo
	s_or_b32 s23, s23, s30
	s_or_b32 s10, s8, s7
	s_and_not1_b32 exec_lo, exec_lo, s22
	s_cbranch_execz .LBB1361_936
.LBB1361_934:                           ; =>This Inner Loop Header: Depth=1
	global_load_u16 v25, v[0:1], off
	global_load_u16 v26, v[22:23], off
	s_or_b32 s27, s27, exec_lo
	s_or_b32 s28, s28, exec_lo
	s_mov_b32 s30, exec_lo
	s_wait_loadcnt 0x0
	v_cmp_le_u16_e64 s7, v25, v26
	v_cmp_lt_u16_e32 vcc_lo, v25, v26
	v_cmpx_eq_u16_e64 v25, v26
	s_cbranch_execz .LBB1361_933
; %bb.935:                              ;   in Loop: Header=BB1361_934 Depth=1
	s_add_nc_u64 s[14:15], s[14:15], -1
	v_add_nc_u64_e32 v[0:1], 2, v[0:1]
	s_cmp_eq_u64 s[14:15], 0
	v_add_nc_u64_e32 v[22:23], 2, v[22:23]
	s_cselect_b32 s8, -1, 0
	s_and_not1_b32 s28, s28, exec_lo
	s_and_b32 s8, s8, exec_lo
	s_and_not1_b32 s27, s27, exec_lo
	s_or_b32 s28, s28, s8
	s_branch .LBB1361_933
.LBB1361_936:
	s_or_b32 exec_lo, exec_lo, s22
	s_and_saveexec_b32 s7, s23
	s_delay_alu instid0(SALU_CYCLE_1)
	s_xor_b32 s7, exec_lo, s7
; %bb.937:
	v_dual_cndmask_b32 v1, v3, v5, s10 :: v_dual_cndmask_b32 v0, v2, v4, s10
	v_dual_cndmask_b32 v5, v5, v3, s10 :: v_dual_cndmask_b32 v4, v4, v2, s10
	s_delay_alu instid0(VALU_DEP_2)
	v_mov_b64_e32 v[2:3], v[0:1]
; %bb.938:
	s_or_b32 exec_lo, exec_lo, s7
.LBB1361_939:
	s_delay_alu instid0(SALU_CYCLE_1)
	s_or_b32 exec_lo, exec_lo, s9
	s_and_saveexec_b32 s9, s11
	s_cbranch_execz .LBB1361_948
; %bb.940:
	s_and_not1_b32 vcc_lo, exec_lo, s26
	s_cbranch_vccnz .LBB1361_948
; %bb.941:
	v_mul_u64_e32 v[0:1], s[16:17], v[10:11]
	v_mul_u64_e32 v[22:23], s[16:17], v[16:17]
	s_mov_b32 s15, 0
	s_mov_b64 s[10:11], s[16:17]
                                        ; implicit-def: $sgpr14
                                        ; implicit-def: $sgpr22
                                        ; implicit-def: $sgpr27
                                        ; implicit-def: $sgpr23
                                        ; implicit-def: $sgpr28
	s_delay_alu instid0(VALU_DEP_2) | instskip(NEXT) | instid1(VALU_DEP_2)
	v_lshl_add_u64 v[0:1], v[0:1], 1, s[18:19]
	v_lshl_add_u64 v[22:23], v[22:23], 1, s[18:19]
	s_branch .LBB1361_943
.LBB1361_942:                           ;   in Loop: Header=BB1361_943 Depth=1
	s_or_b32 exec_lo, exec_lo, s29
	s_and_b32 s7, s7, s28
	s_delay_alu instid0(SALU_CYCLE_1) | instskip(SKIP_1) | instid1(SALU_CYCLE_1)
	s_or_b32 s7, vcc_lo, s7
	s_and_b32 s8, exec_lo, s27
	s_or_b32 s15, s8, s15
	s_and_not1_b32 s8, s28, exec_lo
	s_and_b32 s7, s7, exec_lo
	s_and_not1_b32 s22, s22, exec_lo
	s_and_b32 s29, s23, exec_lo
	s_or_b32 s28, s8, s7
	s_and_not1_b32 s8, s14, exec_lo
	s_or_b32 s22, s22, s29
	s_or_b32 s14, s8, s7
	s_and_not1_b32 exec_lo, exec_lo, s15
	s_cbranch_execz .LBB1361_945
.LBB1361_943:                           ; =>This Inner Loop Header: Depth=1
	global_load_u16 v25, v[0:1], off
	global_load_u16 v26, v[22:23], off
	s_or_b32 s23, s23, exec_lo
	s_or_b32 s27, s27, exec_lo
	s_mov_b32 s29, exec_lo
	s_wait_loadcnt 0x0
	v_cmp_le_u16_e64 s7, v25, v26
	v_cmp_lt_u16_e32 vcc_lo, v25, v26
	v_cmpx_eq_u16_e64 v25, v26
	s_cbranch_execz .LBB1361_942
; %bb.944:                              ;   in Loop: Header=BB1361_943 Depth=1
	s_add_nc_u64 s[10:11], s[10:11], -1
	v_add_nc_u64_e32 v[0:1], 2, v[0:1]
	s_cmp_eq_u64 s[10:11], 0
	v_add_nc_u64_e32 v[22:23], 2, v[22:23]
	s_cselect_b32 s8, -1, 0
	s_and_not1_b32 s27, s27, exec_lo
	s_and_b32 s8, s8, exec_lo
	s_and_not1_b32 s23, s23, exec_lo
	s_or_b32 s27, s27, s8
	s_branch .LBB1361_942
.LBB1361_945:
	s_or_b32 exec_lo, exec_lo, s15
	s_and_saveexec_b32 s7, s22
	s_delay_alu instid0(SALU_CYCLE_1)
	s_xor_b32 s7, exec_lo, s7
; %bb.946:
	v_dual_cndmask_b32 v1, v17, v11, s14 :: v_dual_cndmask_b32 v0, v16, v10, s14
	v_dual_cndmask_b32 v11, v11, v17, s14 :: v_dual_cndmask_b32 v10, v10, v16, s14
	s_delay_alu instid0(VALU_DEP_2)
	v_mov_b64_e32 v[16:17], v[0:1]
; %bb.947:
	s_or_b32 exec_lo, exec_lo, s7
.LBB1361_948:
	s_delay_alu instid0(SALU_CYCLE_1)
	s_or_b32 exec_lo, exec_lo, s9
	s_and_saveexec_b32 s9, s12
	s_cbranch_execz .LBB1361_957
; %bb.949:
	s_and_not1_b32 vcc_lo, exec_lo, s26
	s_cbranch_vccnz .LBB1361_957
; %bb.950:
	v_mul_u64_e32 v[0:1], s[16:17], v[6:7]
	v_mul_u64_e32 v[22:23], s[16:17], v[12:13]
	s_mov_b32 s14, 0
	s_mov_b64 s[10:11], s[16:17]
                                        ; implicit-def: $sgpr12
                                        ; implicit-def: $sgpr15
                                        ; implicit-def: $sgpr23
                                        ; implicit-def: $sgpr22
                                        ; implicit-def: $sgpr27
	s_delay_alu instid0(VALU_DEP_2) | instskip(NEXT) | instid1(VALU_DEP_2)
	v_lshl_add_u64 v[0:1], v[0:1], 1, s[18:19]
	v_lshl_add_u64 v[22:23], v[22:23], 1, s[18:19]
	s_branch .LBB1361_952
.LBB1361_951:                           ;   in Loop: Header=BB1361_952 Depth=1
	s_or_b32 exec_lo, exec_lo, s28
	s_and_b32 s7, s7, s27
	s_delay_alu instid0(SALU_CYCLE_1) | instskip(SKIP_1) | instid1(SALU_CYCLE_1)
	s_or_b32 s7, vcc_lo, s7
	s_and_b32 s8, exec_lo, s23
	s_or_b32 s14, s8, s14
	s_and_not1_b32 s8, s27, exec_lo
	s_and_b32 s7, s7, exec_lo
	s_and_not1_b32 s15, s15, exec_lo
	s_and_b32 s28, s22, exec_lo
	s_or_b32 s27, s8, s7
	s_and_not1_b32 s8, s12, exec_lo
	s_or_b32 s15, s15, s28
	s_or_b32 s12, s8, s7
	s_and_not1_b32 exec_lo, exec_lo, s14
	s_cbranch_execz .LBB1361_954
.LBB1361_952:                           ; =>This Inner Loop Header: Depth=1
	global_load_u16 v25, v[0:1], off
	global_load_u16 v26, v[22:23], off
	s_or_b32 s22, s22, exec_lo
	s_or_b32 s23, s23, exec_lo
	s_mov_b32 s28, exec_lo
	s_wait_loadcnt 0x0
	v_cmp_le_u16_e64 s7, v25, v26
	v_cmp_lt_u16_e32 vcc_lo, v25, v26
	v_cmpx_eq_u16_e64 v25, v26
	s_cbranch_execz .LBB1361_951
; %bb.953:                              ;   in Loop: Header=BB1361_952 Depth=1
	s_add_nc_u64 s[10:11], s[10:11], -1
	v_add_nc_u64_e32 v[0:1], 2, v[0:1]
	s_cmp_eq_u64 s[10:11], 0
	v_add_nc_u64_e32 v[22:23], 2, v[22:23]
	s_cselect_b32 s8, -1, 0
	s_and_not1_b32 s23, s23, exec_lo
	s_and_b32 s8, s8, exec_lo
	s_and_not1_b32 s22, s22, exec_lo
	s_or_b32 s23, s23, s8
	s_branch .LBB1361_951
.LBB1361_954:
	s_or_b32 exec_lo, exec_lo, s14
	s_and_saveexec_b32 s7, s15
	s_delay_alu instid0(SALU_CYCLE_1)
	s_xor_b32 s7, exec_lo, s7
; %bb.955:
	v_dual_cndmask_b32 v1, v13, v7, s12 :: v_dual_cndmask_b32 v0, v12, v6, s12
	v_dual_cndmask_b32 v7, v7, v13, s12 :: v_dual_cndmask_b32 v6, v6, v12, s12
	s_delay_alu instid0(VALU_DEP_2)
	v_mov_b64_e32 v[12:13], v[0:1]
; %bb.956:
	s_or_b32 exec_lo, exec_lo, s7
.LBB1361_957:
	s_delay_alu instid0(SALU_CYCLE_1)
	s_or_b32 exec_lo, exec_lo, s9
	s_and_saveexec_b32 s9, s13
	s_cbranch_execz .LBB1361_966
; %bb.958:
	s_and_not1_b32 vcc_lo, exec_lo, s26
	s_cbranch_vccnz .LBB1361_966
; %bb.959:
	v_mul_u64_e32 v[0:1], s[16:17], v[2:3]
	v_mul_u64_e32 v[22:23], s[16:17], v[8:9]
	s_mov_b32 s13, 0
	s_mov_b64 s[10:11], s[16:17]
                                        ; implicit-def: $sgpr12
                                        ; implicit-def: $sgpr14
                                        ; implicit-def: $sgpr22
                                        ; implicit-def: $sgpr15
                                        ; implicit-def: $sgpr23
	s_delay_alu instid0(VALU_DEP_2) | instskip(NEXT) | instid1(VALU_DEP_2)
	v_lshl_add_u64 v[0:1], v[0:1], 1, s[18:19]
	v_lshl_add_u64 v[22:23], v[22:23], 1, s[18:19]
	s_branch .LBB1361_961
.LBB1361_960:                           ;   in Loop: Header=BB1361_961 Depth=1
	s_or_b32 exec_lo, exec_lo, s27
	s_and_b32 s7, s7, s23
	s_delay_alu instid0(SALU_CYCLE_1) | instskip(SKIP_1) | instid1(SALU_CYCLE_1)
	s_or_b32 s7, vcc_lo, s7
	s_and_b32 s8, exec_lo, s22
	s_or_b32 s13, s8, s13
	s_and_not1_b32 s8, s23, exec_lo
	s_and_b32 s7, s7, exec_lo
	s_and_not1_b32 s14, s14, exec_lo
	s_and_b32 s27, s15, exec_lo
	s_or_b32 s23, s8, s7
	s_and_not1_b32 s8, s12, exec_lo
	s_or_b32 s14, s14, s27
	s_or_b32 s12, s8, s7
	s_and_not1_b32 exec_lo, exec_lo, s13
	s_cbranch_execz .LBB1361_963
.LBB1361_961:                           ; =>This Inner Loop Header: Depth=1
	global_load_u16 v25, v[0:1], off
	global_load_u16 v26, v[22:23], off
	s_or_b32 s15, s15, exec_lo
	s_or_b32 s22, s22, exec_lo
	s_mov_b32 s27, exec_lo
	s_wait_loadcnt 0x0
	v_cmp_le_u16_e64 s7, v25, v26
	v_cmp_lt_u16_e32 vcc_lo, v25, v26
	v_cmpx_eq_u16_e64 v25, v26
	s_cbranch_execz .LBB1361_960
; %bb.962:                              ;   in Loop: Header=BB1361_961 Depth=1
	s_add_nc_u64 s[10:11], s[10:11], -1
	v_add_nc_u64_e32 v[0:1], 2, v[0:1]
	s_cmp_eq_u64 s[10:11], 0
	v_add_nc_u64_e32 v[22:23], 2, v[22:23]
	s_cselect_b32 s8, -1, 0
	s_and_not1_b32 s22, s22, exec_lo
	s_and_b32 s8, s8, exec_lo
	s_and_not1_b32 s15, s15, exec_lo
	s_or_b32 s22, s22, s8
	s_branch .LBB1361_960
.LBB1361_963:
	s_or_b32 exec_lo, exec_lo, s13
	s_and_saveexec_b32 s7, s14
	s_delay_alu instid0(SALU_CYCLE_1)
	s_xor_b32 s7, exec_lo, s7
; %bb.964:
	v_dual_cndmask_b32 v1, v9, v3, s12 :: v_dual_cndmask_b32 v0, v8, v2, s12
	v_dual_cndmask_b32 v3, v3, v9, s12 :: v_dual_cndmask_b32 v2, v2, v8, s12
	s_delay_alu instid0(VALU_DEP_2)
	v_mov_b64_e32 v[8:9], v[0:1]
; %bb.965:
	s_or_b32 exec_lo, exec_lo, s7
.LBB1361_966:
	s_delay_alu instid0(SALU_CYCLE_1) | instskip(SKIP_4) | instid1(VALU_DEP_1)
	s_or_b32 exec_lo, exec_lo, s9
	v_mbcnt_lo_u32_b32 v0, -1, 0
	v_and_b32_e32 v1, 0xffffff00, v24
	s_mov_b32 s12, 0
	s_mov_b32 s13, exec_lo
	v_dual_lshlrev_b32 v45, 3, v0 :: v_dual_lshlrev_b32 v43, 3, v1
	v_sub_nc_u32_e64 v44, s25, v1 clamp
	s_delay_alu instid0(VALU_DEP_2) | instskip(SKIP_1) | instid1(VALU_DEP_4)
	v_or_b32_e32 v22, 8, v45
	v_and_b32_e32 v26, 0xf0, v45
	v_lshl_or_b32 v46, v0, 6, v43
	ds_store_b128 v46, v[14:17]
	ds_store_b128 v46, v[10:13] offset:16
	v_min_u32_e32 v47, v44, v22
	v_and_b32_e32 v22, 8, v45
	v_lshl_or_b32 v25, v26, 3, v43
	ds_store_b128 v46, v[6:9] offset:32
	ds_store_b128 v46, v[2:5] offset:48
	v_add_min_u32_e64 v48, v47, 8, v44
	v_min_u32_e32 v27, v44, v22
	v_sub_nc_u32_e32 v22, v47, v26
	; wave barrier
	s_delay_alu instid0(VALU_DEP_3) | instskip(NEXT) | instid1(VALU_DEP_2)
	v_sub_nc_u32_e32 v1, v48, v47
	v_min_u32_e32 v28, v27, v22
	s_delay_alu instid0(VALU_DEP_2) | instskip(NEXT) | instid1(VALU_DEP_1)
	v_sub_nc_u32_e64 v24, v27, v1 clamp
	v_cmpx_lt_u32_e64 v24, v28
	s_cbranch_execz .LBB1361_977
; %bb.967:
	v_lshlrev_b32_e32 v0, 3, v47
	v_lshlrev_b32_e32 v1, 3, v27
	s_lshl_b64 s[8:9], s[16:17], 1
	s_delay_alu instid0(VALU_DEP_1)
	v_add3_u32 v29, v43, v0, v1
	s_branch .LBB1361_970
.LBB1361_968:                           ;   in Loop: Header=BB1361_970 Depth=1
	s_or_b32 exec_lo, exec_lo, s15
.LBB1361_969:                           ;   in Loop: Header=BB1361_970 Depth=1
	s_delay_alu instid0(VALU_DEP_1) | instskip(NEXT) | instid1(VALU_DEP_1)
	v_dual_add_nc_u32 v0, 1, v30 :: v_dual_cndmask_b32 v28, v28, v30, s14
	v_cndmask_b32_e64 v24, v0, v24, s14
	s_delay_alu instid0(VALU_DEP_1) | instskip(SKIP_1) | instid1(SALU_CYCLE_1)
	v_cmp_ge_u32_e32 vcc_lo, v24, v28
	s_or_b32 s12, vcc_lo, s12
	s_and_not1_b32 exec_lo, exec_lo, s12
	s_cbranch_execz .LBB1361_976
.LBB1361_970:                           ; =>This Loop Header: Depth=1
                                        ;     Child Loop BB1361_973 Depth 2
	v_add_nc_u32_e32 v0, v28, v24
	s_and_not1_b32 vcc_lo, exec_lo, s26
	s_delay_alu instid0(VALU_DEP_1)
	v_lshrrev_b32_e32 v30, 1, v0
	s_cbranch_vccnz .LBB1361_975
; %bb.971:                              ;   in Loop: Header=BB1361_970 Depth=1
	s_delay_alu instid0(VALU_DEP_1) | instskip(SKIP_3) | instid1(VALU_DEP_2)
	v_not_b32_e32 v0, v30
	v_lshl_add_u32 v1, v30, 3, v25
	s_mov_b32 s15, 0
	s_mov_b64 s[10:11], s[16:17]
                                        ; implicit-def: $sgpr14
                                        ; implicit-def: $sgpr22
                                        ; implicit-def: $sgpr23
                                        ; implicit-def: $sgpr27
	v_lshl_add_u32 v0, v0, 3, v29
	ds_load_b64 v[32:33], v0
	ds_load_b64 v[34:35], v1
	s_wait_dscnt 0x1
	v_mad_nc_u64_u32 v[0:1], s8, v32, s[18:19]
	s_wait_dscnt 0x0
	v_mad_nc_u64_u32 v[22:23], s8, v34, s[18:19]
	s_delay_alu instid0(VALU_DEP_2) | instskip(NEXT) | instid1(VALU_DEP_2)
	v_mad_u32 v1, s9, v32, v1
	v_mad_u32 v23, s9, v34, v23
	s_delay_alu instid0(VALU_DEP_2) | instskip(NEXT) | instid1(VALU_DEP_2)
	v_mad_u32 v1, s8, v33, v1
	v_mad_u32 v23, s8, v35, v23
	s_branch .LBB1361_973
.LBB1361_972:                           ;   in Loop: Header=BB1361_973 Depth=2
	s_or_b32 exec_lo, exec_lo, s28
	s_delay_alu instid0(SALU_CYCLE_1) | instskip(NEXT) | instid1(SALU_CYCLE_1)
	s_and_b32 s28, exec_lo, s22
	s_or_b32 s15, s28, s15
	s_and_not1_b32 s27, s27, exec_lo
	s_and_b32 s7, s7, exec_lo
	s_and_not1_b32 s14, s14, exec_lo
	s_and_b32 s28, s23, exec_lo
	s_or_b32 s27, s27, s7
	s_or_b32 s14, s14, s28
	s_and_not1_b32 exec_lo, exec_lo, s15
	s_cbranch_execz .LBB1361_968
.LBB1361_973:                           ;   Parent Loop BB1361_970 Depth=1
                                        ; =>  This Inner Loop Header: Depth=2
	global_load_u16 v31, v[0:1], off
	global_load_u16 v32, v[22:23], off
	s_and_not1_b32 s23, s23, exec_lo
	s_or_b32 s22, s22, exec_lo
	s_wait_loadcnt 0x0
	v_cmp_le_u16_e32 vcc_lo, v31, v32
	v_cmp_lt_u16_e64 s7, v31, v32
	s_and_b32 s28, vcc_lo, s27
	s_delay_alu instid0(SALU_CYCLE_1) | instskip(NEXT) | instid1(SALU_CYCLE_1)
	s_or_b32 s7, s7, s28
	s_and_b32 s28, s7, exec_lo
	s_delay_alu instid0(SALU_CYCLE_1)
	s_or_b32 s23, s23, s28
	s_mov_b32 s28, exec_lo
	v_cmpx_eq_u16_e64 v31, v32
	s_cbranch_execz .LBB1361_972
; %bb.974:                              ;   in Loop: Header=BB1361_973 Depth=2
	s_add_nc_u64 s[10:11], s[10:11], -1
	v_add_nc_u64_e32 v[0:1], 2, v[0:1]
	s_cmp_eq_u64 s[10:11], 0
	v_add_nc_u64_e32 v[22:23], 2, v[22:23]
	s_cselect_b32 s27, -1, 0
	s_and_not1_b32 s22, s22, exec_lo
	s_and_b32 s27, s27, exec_lo
	s_and_not1_b32 s23, s23, exec_lo
	s_or_b32 s22, s22, s27
                                        ; implicit-def: $sgpr27
	s_branch .LBB1361_972
.LBB1361_975:                           ;   in Loop: Header=BB1361_970 Depth=1
	s_mov_b32 s14, 0
	s_branch .LBB1361_969
.LBB1361_976:
	s_or_b32 exec_lo, exec_lo, s12
.LBB1361_977:
	s_delay_alu instid0(SALU_CYCLE_1) | instskip(SKIP_1) | instid1(VALU_DEP_1)
	s_or_b32 exec_lo, exec_lo, s13
	v_dual_add_nc_u32 v0, v47, v27 :: v_dual_add_nc_u32 v22, v24, v26
	v_sub_nc_u32_e32 v23, v0, v24
	s_delay_alu instid0(VALU_DEP_2) | instskip(NEXT) | instid1(VALU_DEP_2)
	v_cmp_le_u32_e32 vcc_lo, v22, v47
	v_cmp_le_u32_e64 s7, v23, v48
	s_or_b32 s7, vcc_lo, s7
	s_delay_alu instid0(SALU_CYCLE_1)
	s_and_saveexec_b32 s10, s7
	s_cbranch_execz .LBB1361_1068
; %bb.978:
	s_mov_b32 s8, exec_lo
	v_cmp_ge_u32_e32 vcc_lo, v22, v47
                                        ; implicit-def: $vgpr0_vgpr1
	v_cmpx_lt_u32_e64 v22, v47
; %bb.979:
	v_lshl_add_u32 v0, v24, 3, v25
	ds_load_b64 v[0:1], v0
; %bb.980:
	s_or_b32 exec_lo, exec_lo, s8
	v_cmp_ge_u32_e64 s11, v23, v48
	s_mov_b32 s8, exec_lo
                                        ; implicit-def: $vgpr2_vgpr3
	v_cmpx_lt_u32_e64 v23, v48
; %bb.981:
	v_lshl_add_u32 v2, v23, 3, v43
	ds_load_b64 v[2:3], v2
; %bb.982:
	s_or_b32 exec_lo, exec_lo, s8
	s_nor_b32 s7, vcc_lo, s11
	s_delay_alu instid0(SALU_CYCLE_1)
	s_and_saveexec_b32 s12, s7
	s_cbranch_execz .LBB1361_991
; %bb.983:
	s_and_not1_b32 vcc_lo, exec_lo, s26
	s_cbranch_vccnz .LBB1361_989
; %bb.984:
	s_wait_dscnt 0x0
	v_mul_u64_e32 v[4:5], s[16:17], v[2:3]
	v_mul_u64_e32 v[6:7], s[16:17], v[0:1]
	s_mov_b32 s13, 0
	s_mov_b64 s[8:9], s[16:17]
                                        ; implicit-def: $sgpr14
                                        ; implicit-def: $sgpr15
                                        ; implicit-def: $sgpr22
                                        ; implicit-def: $sgpr23
	s_delay_alu instid0(VALU_DEP_2) | instskip(NEXT) | instid1(VALU_DEP_2)
	v_lshl_add_u64 v[4:5], v[4:5], 1, s[18:19]
	v_lshl_add_u64 v[6:7], v[6:7], 1, s[18:19]
	s_branch .LBB1361_986
.LBB1361_985:                           ;   in Loop: Header=BB1361_986 Depth=1
	s_or_b32 exec_lo, exec_lo, s27
	s_delay_alu instid0(SALU_CYCLE_1) | instskip(NEXT) | instid1(SALU_CYCLE_1)
	s_and_b32 s27, exec_lo, s15
	s_or_b32 s13, s27, s13
	s_and_not1_b32 s23, s23, exec_lo
	s_and_b32 s7, s7, exec_lo
	s_and_not1_b32 s14, s14, exec_lo
	s_and_b32 s27, s22, exec_lo
	s_or_b32 s23, s23, s7
	s_or_b32 s14, s14, s27
	s_and_not1_b32 exec_lo, exec_lo, s13
	s_cbranch_execz .LBB1361_988
.LBB1361_986:                           ; =>This Inner Loop Header: Depth=1
	global_load_u16 v8, v[4:5], off
	global_load_u16 v9, v[6:7], off
	s_and_not1_b32 s22, s22, exec_lo
	s_or_b32 s15, s15, exec_lo
	s_wait_loadcnt 0x0
	v_cmp_le_u16_e32 vcc_lo, v8, v9
	v_cmp_lt_u16_e64 s7, v8, v9
	s_and_b32 s27, vcc_lo, s23
	s_delay_alu instid0(SALU_CYCLE_1) | instskip(NEXT) | instid1(SALU_CYCLE_1)
	s_or_b32 s7, s7, s27
	s_and_b32 s27, s7, exec_lo
	s_delay_alu instid0(SALU_CYCLE_1)
	s_or_b32 s22, s22, s27
	s_mov_b32 s27, exec_lo
	v_cmpx_eq_u16_e64 v8, v9
	s_cbranch_execz .LBB1361_985
; %bb.987:                              ;   in Loop: Header=BB1361_986 Depth=1
	s_add_nc_u64 s[8:9], s[8:9], -1
	v_add_nc_u64_e32 v[4:5], 2, v[4:5]
	s_cmp_eq_u64 s[8:9], 0
	v_add_nc_u64_e32 v[6:7], 2, v[6:7]
	s_cselect_b32 s23, -1, 0
	s_and_not1_b32 s15, s15, exec_lo
	s_and_b32 s23, s23, exec_lo
	s_and_not1_b32 s22, s22, exec_lo
	s_or_b32 s15, s15, s23
                                        ; implicit-def: $sgpr23
	s_branch .LBB1361_985
.LBB1361_988:
	s_or_b32 exec_lo, exec_lo, s13
	s_xor_b32 s7, s14, -1
	s_branch .LBB1361_990
.LBB1361_989:
	s_mov_b32 s7, -1
.LBB1361_990:
	s_and_not1_b32 s8, s11, exec_lo
	s_and_b32 s7, s7, exec_lo
	s_delay_alu instid0(SALU_CYCLE_1)
	s_or_b32 s11, s8, s7
.LBB1361_991:
	s_or_b32 exec_lo, exec_lo, s12
	v_dual_cndmask_b32 v4, v23, v22, s11 :: v_dual_cndmask_b32 v5, v48, v47, s11
	s_mov_b32 s13, -1
	s_mov_b32 s12, -1
	s_mov_b32 s14, exec_lo
	s_delay_alu instid0(VALU_DEP_1) | instskip(NEXT) | instid1(VALU_DEP_1)
	v_add_nc_u32_e32 v4, 1, v4
	v_add_min_u32_e64 v5, v5, -1, v4
	s_delay_alu instid0(VALU_DEP_1)
	v_lshl_add_u32 v5, v5, 3, v43
	ds_load_b64 v[6:7], v5
	s_wait_dscnt 0x0
	v_cndmask_b32_e64 v5, v7, v3, s11
	v_dual_cndmask_b32 v10, v4, v23, s11 :: v_dual_cndmask_b32 v11, v22, v4, s11
	v_dual_cndmask_b32 v4, v6, v2, s11 :: v_dual_cndmask_b32 v15, v1, v7, s11
	v_cndmask_b32_e64 v14, v0, v6, s11
	s_delay_alu instid0(VALU_DEP_3)
	v_cmpx_lt_u32_e64 v10, v48
	s_cbranch_execz .LBB1361_1002
; %bb.992:
	s_mov_b32 s7, 0
	s_mov_b32 s12, exec_lo
	v_cmpx_lt_u32_e64 v11, v47
	s_cbranch_execz .LBB1361_1001
; %bb.993:
	s_and_not1_b32 vcc_lo, exec_lo, s26
	s_cbranch_vccnz .LBB1361_999
; %bb.994:
	v_mul_u64_e32 v[6:7], s[16:17], v[4:5]
	v_mul_u64_e32 v[8:9], s[16:17], v[14:15]
	s_mov_b32 s15, 0
	s_mov_b64 s[8:9], s[16:17]
                                        ; implicit-def: $sgpr22
                                        ; implicit-def: $sgpr23
                                        ; implicit-def: $sgpr27
                                        ; implicit-def: $sgpr28
	s_delay_alu instid0(VALU_DEP_2) | instskip(NEXT) | instid1(VALU_DEP_2)
	v_lshl_add_u64 v[6:7], v[6:7], 1, s[18:19]
	v_lshl_add_u64 v[8:9], v[8:9], 1, s[18:19]
	s_branch .LBB1361_996
.LBB1361_995:                           ;   in Loop: Header=BB1361_996 Depth=1
	s_or_b32 exec_lo, exec_lo, s29
	s_delay_alu instid0(SALU_CYCLE_1) | instskip(NEXT) | instid1(SALU_CYCLE_1)
	s_and_b32 s29, exec_lo, s23
	s_or_b32 s15, s29, s15
	s_and_not1_b32 s28, s28, exec_lo
	s_and_b32 s7, s7, exec_lo
	s_and_not1_b32 s22, s22, exec_lo
	s_and_b32 s29, s27, exec_lo
	s_or_b32 s28, s28, s7
	s_or_b32 s22, s22, s29
	s_and_not1_b32 exec_lo, exec_lo, s15
	s_cbranch_execz .LBB1361_998
.LBB1361_996:                           ; =>This Inner Loop Header: Depth=1
	global_load_u16 v12, v[6:7], off
	global_load_u16 v13, v[8:9], off
	s_and_not1_b32 s27, s27, exec_lo
	s_or_b32 s23, s23, exec_lo
	s_wait_loadcnt 0x0
	v_cmp_le_u16_e32 vcc_lo, v12, v13
	v_cmp_lt_u16_e64 s7, v12, v13
	s_and_b32 s29, vcc_lo, s28
	s_delay_alu instid0(SALU_CYCLE_1) | instskip(NEXT) | instid1(SALU_CYCLE_1)
	s_or_b32 s7, s7, s29
	s_and_b32 s29, s7, exec_lo
	s_delay_alu instid0(SALU_CYCLE_1)
	s_or_b32 s27, s27, s29
	s_mov_b32 s29, exec_lo
	v_cmpx_eq_u16_e64 v12, v13
	s_cbranch_execz .LBB1361_995
; %bb.997:                              ;   in Loop: Header=BB1361_996 Depth=1
	s_add_nc_u64 s[8:9], s[8:9], -1
	v_add_nc_u64_e32 v[6:7], 2, v[6:7]
	s_cmp_eq_u64 s[8:9], 0
	v_add_nc_u64_e32 v[8:9], 2, v[8:9]
	s_cselect_b32 s28, -1, 0
	s_and_not1_b32 s23, s23, exec_lo
	s_and_b32 s28, s28, exec_lo
	s_and_not1_b32 s27, s27, exec_lo
	s_or_b32 s23, s23, s28
                                        ; implicit-def: $sgpr28
	s_branch .LBB1361_995
.LBB1361_998:
	s_or_b32 exec_lo, exec_lo, s15
	s_xor_b32 s7, s22, -1
	s_branch .LBB1361_1000
.LBB1361_999:
	s_mov_b32 s7, -1
.LBB1361_1000:
	s_delay_alu instid0(SALU_CYCLE_1)
	s_and_b32 s7, s7, exec_lo
.LBB1361_1001:
	s_or_b32 exec_lo, exec_lo, s12
	s_delay_alu instid0(SALU_CYCLE_1)
	s_or_not1_b32 s12, s7, exec_lo
.LBB1361_1002:
	s_or_b32 exec_lo, exec_lo, s14
	v_cndmask_b32_e64 v6, v10, v11, s12
	v_cndmask_b32_e64 v7, v48, v47, s12
	s_mov_b32 s14, exec_lo
	s_delay_alu instid0(VALU_DEP_2) | instskip(NEXT) | instid1(VALU_DEP_1)
	v_add_nc_u32_e32 v8, 1, v6
	v_add_min_u32_e64 v6, v7, -1, v8
	v_cndmask_b32_e64 v12, v8, v10, s12
	s_delay_alu instid0(VALU_DEP_2)
	v_lshl_add_u32 v6, v6, 3, v43
	ds_load_b64 v[6:7], v6
	s_wait_dscnt 0x0
	v_dual_cndmask_b32 v13, v11, v8, s12 :: v_dual_cndmask_b32 v16, v14, v6, s12
	v_dual_cndmask_b32 v11, v7, v5, s12 :: v_dual_cndmask_b32 v10, v6, v4, s12
	v_cndmask_b32_e64 v17, v15, v7, s12
	v_cmpx_lt_u32_e64 v12, v48
	s_cbranch_execz .LBB1361_1013
; %bb.1003:
	s_mov_b32 s7, 0
	s_mov_b32 s13, exec_lo
	v_cmpx_lt_u32_e64 v13, v47
	s_cbranch_execz .LBB1361_1012
; %bb.1004:
	s_and_not1_b32 vcc_lo, exec_lo, s26
	s_cbranch_vccnz .LBB1361_1010
; %bb.1005:
	v_mul_u64_e32 v[6:7], s[16:17], v[10:11]
	v_mul_u64_e32 v[8:9], s[16:17], v[16:17]
	s_mov_b32 s15, 0
	s_mov_b64 s[8:9], s[16:17]
                                        ; implicit-def: $sgpr22
                                        ; implicit-def: $sgpr23
                                        ; implicit-def: $sgpr27
                                        ; implicit-def: $sgpr28
	s_delay_alu instid0(VALU_DEP_2) | instskip(NEXT) | instid1(VALU_DEP_2)
	v_lshl_add_u64 v[6:7], v[6:7], 1, s[18:19]
	v_lshl_add_u64 v[8:9], v[8:9], 1, s[18:19]
	s_branch .LBB1361_1007
.LBB1361_1006:                          ;   in Loop: Header=BB1361_1007 Depth=1
	s_or_b32 exec_lo, exec_lo, s29
	s_delay_alu instid0(SALU_CYCLE_1) | instskip(NEXT) | instid1(SALU_CYCLE_1)
	s_and_b32 s29, exec_lo, s23
	s_or_b32 s15, s29, s15
	s_and_not1_b32 s28, s28, exec_lo
	s_and_b32 s7, s7, exec_lo
	s_and_not1_b32 s22, s22, exec_lo
	s_and_b32 s29, s27, exec_lo
	s_or_b32 s28, s28, s7
	s_or_b32 s22, s22, s29
	s_and_not1_b32 exec_lo, exec_lo, s15
	s_cbranch_execz .LBB1361_1009
.LBB1361_1007:                          ; =>This Inner Loop Header: Depth=1
	global_load_u16 v22, v[6:7], off
	global_load_u16 v23, v[8:9], off
	s_and_not1_b32 s27, s27, exec_lo
	s_or_b32 s23, s23, exec_lo
	s_wait_loadcnt 0x0
	v_cmp_le_u16_e32 vcc_lo, v22, v23
	v_cmp_lt_u16_e64 s7, v22, v23
	s_and_b32 s29, vcc_lo, s28
	s_delay_alu instid0(SALU_CYCLE_1) | instskip(NEXT) | instid1(SALU_CYCLE_1)
	s_or_b32 s7, s7, s29
	s_and_b32 s29, s7, exec_lo
	s_delay_alu instid0(SALU_CYCLE_1)
	s_or_b32 s27, s27, s29
	s_mov_b32 s29, exec_lo
	v_cmpx_eq_u16_e64 v22, v23
	s_cbranch_execz .LBB1361_1006
; %bb.1008:                             ;   in Loop: Header=BB1361_1007 Depth=1
	s_add_nc_u64 s[8:9], s[8:9], -1
	v_add_nc_u64_e32 v[6:7], 2, v[6:7]
	s_cmp_eq_u64 s[8:9], 0
	v_add_nc_u64_e32 v[8:9], 2, v[8:9]
	s_cselect_b32 s28, -1, 0
	s_and_not1_b32 s23, s23, exec_lo
	s_and_b32 s28, s28, exec_lo
	s_and_not1_b32 s27, s27, exec_lo
	s_or_b32 s23, s23, s28
                                        ; implicit-def: $sgpr28
	s_branch .LBB1361_1006
.LBB1361_1009:
	s_or_b32 exec_lo, exec_lo, s15
	s_xor_b32 s7, s22, -1
	s_branch .LBB1361_1011
.LBB1361_1010:
	s_mov_b32 s7, -1
.LBB1361_1011:
	s_delay_alu instid0(SALU_CYCLE_1)
	s_and_b32 s7, s7, exec_lo
.LBB1361_1012:
	s_or_b32 exec_lo, exec_lo, s13
	s_delay_alu instid0(SALU_CYCLE_1)
	s_or_not1_b32 s13, s7, exec_lo
.LBB1361_1013:
	s_or_b32 exec_lo, exec_lo, s14
	v_cndmask_b32_e64 v6, v12, v13, s13
	v_cndmask_b32_e64 v7, v48, v47, s13
	s_mov_b32 s15, -1
	s_mov_b32 s14, -1
	s_mov_b32 s22, exec_lo
	v_add_nc_u32_e32 v8, 1, v6
	s_delay_alu instid0(VALU_DEP_1) | instskip(SKIP_1) | instid1(VALU_DEP_2)
	v_add_min_u32_e64 v6, v7, -1, v8
	v_cndmask_b32_e64 v25, v13, v8, s13
	v_lshl_add_u32 v6, v6, 3, v43
	ds_load_b64 v[6:7], v6
	s_wait_dscnt 0x0
	v_dual_cndmask_b32 v24, v8, v12, s13 :: v_dual_cndmask_b32 v13, v7, v11, s13
	v_dual_cndmask_b32 v12, v6, v10, s13 :: v_dual_cndmask_b32 v23, v17, v7, s13
	v_cndmask_b32_e64 v22, v16, v6, s13
	s_delay_alu instid0(VALU_DEP_3)
	v_cmpx_lt_u32_e64 v24, v48
	s_cbranch_execz .LBB1361_1024
; %bb.1014:
	s_mov_b32 s7, 0
	s_mov_b32 s14, exec_lo
	v_cmpx_lt_u32_e64 v25, v47
	s_cbranch_execz .LBB1361_1023
; %bb.1015:
	s_and_not1_b32 vcc_lo, exec_lo, s26
	s_cbranch_vccnz .LBB1361_1021
; %bb.1016:
	v_mul_u64_e32 v[6:7], s[16:17], v[12:13]
	v_mul_u64_e32 v[8:9], s[16:17], v[22:23]
	s_mov_b32 s23, 0
	s_mov_b64 s[8:9], s[16:17]
                                        ; implicit-def: $sgpr27
                                        ; implicit-def: $sgpr28
                                        ; implicit-def: $sgpr29
                                        ; implicit-def: $sgpr30
	s_delay_alu instid0(VALU_DEP_2) | instskip(NEXT) | instid1(VALU_DEP_2)
	v_lshl_add_u64 v[6:7], v[6:7], 1, s[18:19]
	v_lshl_add_u64 v[8:9], v[8:9], 1, s[18:19]
	s_branch .LBB1361_1018
.LBB1361_1017:                          ;   in Loop: Header=BB1361_1018 Depth=1
	s_or_b32 exec_lo, exec_lo, s31
	s_delay_alu instid0(SALU_CYCLE_1) | instskip(NEXT) | instid1(SALU_CYCLE_1)
	s_and_b32 s31, exec_lo, s28
	s_or_b32 s23, s31, s23
	s_and_not1_b32 s30, s30, exec_lo
	s_and_b32 s7, s7, exec_lo
	s_and_not1_b32 s27, s27, exec_lo
	s_and_b32 s31, s29, exec_lo
	s_or_b32 s30, s30, s7
	s_or_b32 s27, s27, s31
	s_and_not1_b32 exec_lo, exec_lo, s23
	s_cbranch_execz .LBB1361_1020
.LBB1361_1018:                          ; =>This Inner Loop Header: Depth=1
	global_load_u16 v26, v[6:7], off
	global_load_u16 v27, v[8:9], off
	s_and_not1_b32 s29, s29, exec_lo
	s_or_b32 s28, s28, exec_lo
	s_wait_loadcnt 0x0
	v_cmp_le_u16_e32 vcc_lo, v26, v27
	v_cmp_lt_u16_e64 s7, v26, v27
	s_and_b32 s31, vcc_lo, s30
	s_delay_alu instid0(SALU_CYCLE_1) | instskip(NEXT) | instid1(SALU_CYCLE_1)
	s_or_b32 s7, s7, s31
	s_and_b32 s31, s7, exec_lo
	s_delay_alu instid0(SALU_CYCLE_1)
	s_or_b32 s29, s29, s31
	s_mov_b32 s31, exec_lo
	v_cmpx_eq_u16_e64 v26, v27
	s_cbranch_execz .LBB1361_1017
; %bb.1019:                             ;   in Loop: Header=BB1361_1018 Depth=1
	s_add_nc_u64 s[8:9], s[8:9], -1
	v_add_nc_u64_e32 v[6:7], 2, v[6:7]
	s_cmp_eq_u64 s[8:9], 0
	v_add_nc_u64_e32 v[8:9], 2, v[8:9]
	s_cselect_b32 s30, -1, 0
	s_and_not1_b32 s28, s28, exec_lo
	s_and_b32 s30, s30, exec_lo
	s_and_not1_b32 s29, s29, exec_lo
	s_or_b32 s28, s28, s30
                                        ; implicit-def: $sgpr30
	s_branch .LBB1361_1017
.LBB1361_1020:
	s_or_b32 exec_lo, exec_lo, s23
	s_xor_b32 s7, s27, -1
	s_branch .LBB1361_1022
.LBB1361_1021:
	s_mov_b32 s7, -1
.LBB1361_1022:
	s_delay_alu instid0(SALU_CYCLE_1)
	s_and_b32 s7, s7, exec_lo
.LBB1361_1023:
	s_or_b32 exec_lo, exec_lo, s14
	s_delay_alu instid0(SALU_CYCLE_1)
	s_or_not1_b32 s14, s7, exec_lo
.LBB1361_1024:
	s_or_b32 exec_lo, exec_lo, s22
	v_cndmask_b32_e64 v6, v24, v25, s14
	v_cndmask_b32_e64 v7, v48, v47, s14
	s_mov_b32 s22, exec_lo
	s_delay_alu instid0(VALU_DEP_2) | instskip(NEXT) | instid1(VALU_DEP_1)
	v_add_nc_u32_e32 v6, 1, v6
	v_add_min_u32_e64 v7, v7, -1, v6
	v_dual_cndmask_b32 v28, v6, v24, s14 :: v_dual_cndmask_b32 v29, v25, v6, s14
	s_delay_alu instid0(VALU_DEP_2)
	v_lshl_add_u32 v7, v7, 3, v43
	ds_load_b64 v[8:9], v7
	s_wait_dscnt 0x0
	v_dual_cndmask_b32 v7, v9, v13, s14 :: v_dual_cndmask_b32 v6, v8, v12, s14
	v_dual_cndmask_b32 v25, v23, v9, s14 :: v_dual_cndmask_b32 v24, v22, v8, s14
	v_cmpx_lt_u32_e64 v28, v48
	s_cbranch_execz .LBB1361_1035
; %bb.1025:
	s_mov_b32 s7, 0
	s_mov_b32 s15, exec_lo
	v_cmpx_lt_u32_e64 v29, v47
	s_cbranch_execz .LBB1361_1034
; %bb.1026:
	s_and_not1_b32 vcc_lo, exec_lo, s26
	s_cbranch_vccnz .LBB1361_1032
; %bb.1027:
	v_mul_u64_e32 v[8:9], s[16:17], v[6:7]
	v_mul_u64_e32 v[26:27], s[16:17], v[24:25]
	s_mov_b32 s23, 0
	s_mov_b64 s[8:9], s[16:17]
                                        ; implicit-def: $sgpr27
                                        ; implicit-def: $sgpr28
                                        ; implicit-def: $sgpr29
                                        ; implicit-def: $sgpr30
	s_delay_alu instid0(VALU_DEP_2) | instskip(NEXT) | instid1(VALU_DEP_2)
	v_lshl_add_u64 v[8:9], v[8:9], 1, s[18:19]
	v_lshl_add_u64 v[26:27], v[26:27], 1, s[18:19]
	s_branch .LBB1361_1029
.LBB1361_1028:                          ;   in Loop: Header=BB1361_1029 Depth=1
	s_or_b32 exec_lo, exec_lo, s31
	s_delay_alu instid0(SALU_CYCLE_1) | instskip(NEXT) | instid1(SALU_CYCLE_1)
	s_and_b32 s31, exec_lo, s28
	s_or_b32 s23, s31, s23
	s_and_not1_b32 s30, s30, exec_lo
	s_and_b32 s7, s7, exec_lo
	s_and_not1_b32 s27, s27, exec_lo
	s_and_b32 s31, s29, exec_lo
	s_or_b32 s30, s30, s7
	s_or_b32 s27, s27, s31
	s_and_not1_b32 exec_lo, exec_lo, s23
	s_cbranch_execz .LBB1361_1031
.LBB1361_1029:                          ; =>This Inner Loop Header: Depth=1
	global_load_u16 v30, v[8:9], off
	global_load_u16 v31, v[26:27], off
	s_and_not1_b32 s29, s29, exec_lo
	s_or_b32 s28, s28, exec_lo
	s_wait_loadcnt 0x0
	v_cmp_le_u16_e32 vcc_lo, v30, v31
	v_cmp_lt_u16_e64 s7, v30, v31
	s_and_b32 s31, vcc_lo, s30
	s_delay_alu instid0(SALU_CYCLE_1) | instskip(NEXT) | instid1(SALU_CYCLE_1)
	s_or_b32 s7, s7, s31
	s_and_b32 s31, s7, exec_lo
	s_delay_alu instid0(SALU_CYCLE_1)
	s_or_b32 s29, s29, s31
	s_mov_b32 s31, exec_lo
	v_cmpx_eq_u16_e64 v30, v31
	s_cbranch_execz .LBB1361_1028
; %bb.1030:                             ;   in Loop: Header=BB1361_1029 Depth=1
	s_add_nc_u64 s[8:9], s[8:9], -1
	v_add_nc_u64_e32 v[8:9], 2, v[8:9]
	s_cmp_eq_u64 s[8:9], 0
	v_add_nc_u64_e32 v[26:27], 2, v[26:27]
	s_cselect_b32 s30, -1, 0
	s_and_not1_b32 s28, s28, exec_lo
	s_and_b32 s30, s30, exec_lo
	s_and_not1_b32 s29, s29, exec_lo
	s_or_b32 s28, s28, s30
                                        ; implicit-def: $sgpr30
	s_branch .LBB1361_1028
.LBB1361_1031:
	s_or_b32 exec_lo, exec_lo, s23
	s_xor_b32 s7, s27, -1
	s_branch .LBB1361_1033
.LBB1361_1032:
	s_mov_b32 s7, -1
.LBB1361_1033:
	s_delay_alu instid0(SALU_CYCLE_1)
	s_and_b32 s7, s7, exec_lo
.LBB1361_1034:
	s_or_b32 exec_lo, exec_lo, s15
	s_delay_alu instid0(SALU_CYCLE_1)
	s_or_not1_b32 s15, s7, exec_lo
.LBB1361_1035:
	s_or_b32 exec_lo, exec_lo, s22
	v_cndmask_b32_e64 v8, v28, v29, s15
	v_cndmask_b32_e64 v9, v48, v47, s15
	s_mov_b32 s22, -1
	s_mov_b32 s23, -1
	s_mov_b32 s27, exec_lo
	v_add_nc_u32_e32 v8, 1, v8
	s_delay_alu instid0(VALU_DEP_1) | instskip(NEXT) | instid1(VALU_DEP_1)
	v_add_min_u32_e64 v9, v9, -1, v8
	v_lshl_add_u32 v9, v9, 3, v43
	ds_load_b64 v[26:27], v9
	v_cndmask_b32_e64 v32, v8, v28, s15
	s_wait_dscnt 0x0
	v_dual_cndmask_b32 v33, v29, v8, s15 :: v_dual_cndmask_b32 v9, v27, v7, s15
	v_dual_cndmask_b32 v8, v26, v6, s15 :: v_dual_cndmask_b32 v27, v25, v27, s15
	v_cndmask_b32_e64 v26, v24, v26, s15
	v_cmpx_lt_u32_e64 v32, v48
	s_cbranch_execz .LBB1361_1046
; %bb.1036:
	s_mov_b32 s7, 0
	s_mov_b32 s23, exec_lo
	v_cmpx_lt_u32_e64 v33, v47
	s_cbranch_execz .LBB1361_1045
; %bb.1037:
	s_and_not1_b32 vcc_lo, exec_lo, s26
	s_cbranch_vccnz .LBB1361_1043
; %bb.1038:
	v_mul_u64_e32 v[28:29], s[16:17], v[8:9]
	v_mul_u64_e32 v[30:31], s[16:17], v[26:27]
	s_mov_b32 s28, 0
	s_mov_b64 s[8:9], s[16:17]
                                        ; implicit-def: $sgpr29
                                        ; implicit-def: $sgpr30
                                        ; implicit-def: $sgpr31
                                        ; implicit-def: $sgpr33
	s_delay_alu instid0(VALU_DEP_2) | instskip(NEXT) | instid1(VALU_DEP_2)
	v_lshl_add_u64 v[28:29], v[28:29], 1, s[18:19]
	v_lshl_add_u64 v[30:31], v[30:31], 1, s[18:19]
	s_branch .LBB1361_1040
.LBB1361_1039:                          ;   in Loop: Header=BB1361_1040 Depth=1
	s_or_b32 exec_lo, exec_lo, s34
	s_delay_alu instid0(SALU_CYCLE_1) | instskip(NEXT) | instid1(SALU_CYCLE_1)
	s_and_b32 s34, exec_lo, s30
	s_or_b32 s28, s34, s28
	s_and_not1_b32 s33, s33, exec_lo
	s_and_b32 s7, s7, exec_lo
	s_and_not1_b32 s29, s29, exec_lo
	s_and_b32 s34, s31, exec_lo
	s_or_b32 s33, s33, s7
	s_or_b32 s29, s29, s34
	s_and_not1_b32 exec_lo, exec_lo, s28
	s_cbranch_execz .LBB1361_1042
.LBB1361_1040:                          ; =>This Inner Loop Header: Depth=1
	global_load_u16 v34, v[28:29], off
	global_load_u16 v35, v[30:31], off
	s_and_not1_b32 s31, s31, exec_lo
	s_or_b32 s30, s30, exec_lo
	s_wait_loadcnt 0x0
	v_cmp_le_u16_e32 vcc_lo, v34, v35
	v_cmp_lt_u16_e64 s7, v34, v35
	s_and_b32 s34, vcc_lo, s33
	s_delay_alu instid0(SALU_CYCLE_1) | instskip(NEXT) | instid1(SALU_CYCLE_1)
	s_or_b32 s7, s7, s34
	s_and_b32 s34, s7, exec_lo
	s_delay_alu instid0(SALU_CYCLE_1)
	s_or_b32 s31, s31, s34
	s_mov_b32 s34, exec_lo
	v_cmpx_eq_u16_e64 v34, v35
	s_cbranch_execz .LBB1361_1039
; %bb.1041:                             ;   in Loop: Header=BB1361_1040 Depth=1
	s_add_nc_u64 s[8:9], s[8:9], -1
	v_add_nc_u64_e32 v[28:29], 2, v[28:29]
	s_cmp_eq_u64 s[8:9], 0
	v_add_nc_u64_e32 v[30:31], 2, v[30:31]
	s_cselect_b32 s33, -1, 0
	s_and_not1_b32 s30, s30, exec_lo
	s_and_b32 s33, s33, exec_lo
	s_and_not1_b32 s31, s31, exec_lo
	s_or_b32 s30, s30, s33
                                        ; implicit-def: $sgpr33
	s_branch .LBB1361_1039
.LBB1361_1042:
	s_or_b32 exec_lo, exec_lo, s28
	s_xor_b32 s7, s29, -1
	s_branch .LBB1361_1044
.LBB1361_1043:
	s_mov_b32 s7, -1
.LBB1361_1044:
	s_delay_alu instid0(SALU_CYCLE_1)
	s_and_b32 s7, s7, exec_lo
.LBB1361_1045:
	s_or_b32 exec_lo, exec_lo, s23
	s_delay_alu instid0(SALU_CYCLE_1)
	s_or_not1_b32 s23, s7, exec_lo
.LBB1361_1046:
	s_or_b32 exec_lo, exec_lo, s27
	v_cndmask_b32_e64 v28, v32, v33, s23
	v_cndmask_b32_e64 v29, v48, v47, s23
	s_mov_b32 s27, exec_lo
	s_delay_alu instid0(VALU_DEP_2) | instskip(NEXT) | instid1(VALU_DEP_1)
	v_add_nc_u32_e32 v28, 1, v28
	v_add_min_u32_e64 v29, v29, -1, v28
	s_delay_alu instid0(VALU_DEP_1)
	v_lshl_add_u32 v29, v29, 3, v43
	ds_load_b64 v[30:31], v29
	v_cndmask_b32_e64 v50, v28, v32, s23
	s_wait_dscnt 0x0
	v_dual_cndmask_b32 v49, v33, v28, s23 :: v_dual_cndmask_b32 v29, v31, v9, s23
	v_dual_cndmask_b32 v28, v30, v8, s23 :: v_dual_cndmask_b32 v31, v27, v31, s23
	v_cndmask_b32_e64 v30, v26, v30, s23
	v_cmpx_lt_u32_e64 v50, v48
	s_cbranch_execz .LBB1361_1057
; %bb.1047:
	s_mov_b32 s7, 0
	s_mov_b32 s22, exec_lo
	v_cmpx_lt_u32_e64 v49, v47
	s_cbranch_execz .LBB1361_1056
; %bb.1048:
	s_and_not1_b32 vcc_lo, exec_lo, s26
	s_cbranch_vccnz .LBB1361_1054
; %bb.1049:
	v_mul_u64_e32 v[32:33], s[16:17], v[28:29]
	v_mul_u64_e32 v[34:35], s[16:17], v[30:31]
	s_mov_b32 s28, 0
	s_mov_b64 s[8:9], s[16:17]
                                        ; implicit-def: $sgpr29
                                        ; implicit-def: $sgpr30
                                        ; implicit-def: $sgpr31
                                        ; implicit-def: $sgpr33
	s_delay_alu instid0(VALU_DEP_2) | instskip(NEXT) | instid1(VALU_DEP_2)
	v_lshl_add_u64 v[32:33], v[32:33], 1, s[18:19]
	v_lshl_add_u64 v[34:35], v[34:35], 1, s[18:19]
	s_branch .LBB1361_1051
.LBB1361_1050:                          ;   in Loop: Header=BB1361_1051 Depth=1
	s_or_b32 exec_lo, exec_lo, s34
	s_delay_alu instid0(SALU_CYCLE_1) | instskip(NEXT) | instid1(SALU_CYCLE_1)
	s_and_b32 s34, exec_lo, s30
	s_or_b32 s28, s34, s28
	s_and_not1_b32 s33, s33, exec_lo
	s_and_b32 s7, s7, exec_lo
	s_and_not1_b32 s29, s29, exec_lo
	s_and_b32 s34, s31, exec_lo
	s_or_b32 s33, s33, s7
	s_or_b32 s29, s29, s34
	s_and_not1_b32 exec_lo, exec_lo, s28
	s_cbranch_execz .LBB1361_1053
.LBB1361_1051:                          ; =>This Inner Loop Header: Depth=1
	global_load_u16 v51, v[32:33], off
	global_load_u16 v52, v[34:35], off
	s_and_not1_b32 s31, s31, exec_lo
	s_or_b32 s30, s30, exec_lo
	s_wait_loadcnt 0x0
	v_cmp_le_u16_e32 vcc_lo, v51, v52
	v_cmp_lt_u16_e64 s7, v51, v52
	s_and_b32 s34, vcc_lo, s33
	s_delay_alu instid0(SALU_CYCLE_1) | instskip(NEXT) | instid1(SALU_CYCLE_1)
	s_or_b32 s7, s7, s34
	s_and_b32 s34, s7, exec_lo
	s_delay_alu instid0(SALU_CYCLE_1)
	s_or_b32 s31, s31, s34
	s_mov_b32 s34, exec_lo
	v_cmpx_eq_u16_e64 v51, v52
	s_cbranch_execz .LBB1361_1050
; %bb.1052:                             ;   in Loop: Header=BB1361_1051 Depth=1
	s_add_nc_u64 s[8:9], s[8:9], -1
	v_add_nc_u64_e32 v[32:33], 2, v[32:33]
	s_cmp_eq_u64 s[8:9], 0
	v_add_nc_u64_e32 v[34:35], 2, v[34:35]
	s_cselect_b32 s33, -1, 0
	s_and_not1_b32 s30, s30, exec_lo
	s_and_b32 s33, s33, exec_lo
	s_and_not1_b32 s31, s31, exec_lo
	s_or_b32 s30, s30, s33
                                        ; implicit-def: $sgpr33
	s_branch .LBB1361_1050
.LBB1361_1053:
	s_or_b32 exec_lo, exec_lo, s28
	s_xor_b32 s7, s29, -1
	s_branch .LBB1361_1055
.LBB1361_1054:
	s_mov_b32 s7, -1
.LBB1361_1055:
	s_delay_alu instid0(SALU_CYCLE_1)
	s_and_b32 s7, s7, exec_lo
.LBB1361_1056:
	s_or_b32 exec_lo, exec_lo, s22
	s_delay_alu instid0(SALU_CYCLE_1)
	s_or_not1_b32 s22, s7, exec_lo
.LBB1361_1057:
	s_or_b32 exec_lo, exec_lo, s27
	v_dual_cndmask_b32 v32, v50, v49, s22 :: v_dual_cndmask_b32 v33, v48, v47, s22
	v_dual_cndmask_b32 v8, v8, v26, s23 :: v_dual_cndmask_b32 v7, v7, v25, s15
	v_dual_cndmask_b32 v6, v6, v24, s15 :: v_dual_cndmask_b32 v13, v13, v23, s14
	s_delay_alu instid0(VALU_DEP_3) | instskip(SKIP_2) | instid1(VALU_DEP_3)
	v_dual_add_nc_u32 v34, 1, v32 :: v_dual_cndmask_b32 v9, v9, v27, s23
	v_dual_cndmask_b32 v12, v12, v22, s14 :: v_dual_cndmask_b32 v11, v11, v17, s13
	v_dual_cndmask_b32 v10, v10, v16, s13 :: v_dual_cndmask_b32 v17, v5, v15, s12
	v_add_min_u32_e64 v32, v33, -1, v34
	v_dual_cndmask_b32 v16, v4, v14, s12 :: v_dual_cndmask_b32 v15, v3, v1, s11
	v_dual_cndmask_b32 v14, v2, v0, s11 :: v_dual_cndmask_b32 v3, v29, v31, s22
	s_delay_alu instid0(VALU_DEP_3)
	v_lshl_add_u32 v32, v32, 3, v43
	s_mov_b32 s11, exec_lo
	ds_load_b64 v[32:33], v32
	v_cndmask_b32_e64 v0, v34, v50, s22
	s_wait_dscnt 0x0
	v_dual_cndmask_b32 v2, v28, v30, s22 :: v_dual_cndmask_b32 v4, v30, v32, s22
	v_cndmask_b32_e64 v5, v31, v33, s22
	s_delay_alu instid0(VALU_DEP_3)
	v_cmpx_lt_u32_e64 v0, v48
	s_cbranch_execz .LBB1361_1067
; %bb.1058:
	v_dual_cndmask_b32 v22, v49, v34, s22 :: v_dual_cndmask_b32 v0, v32, v28, s22
	v_cndmask_b32_e64 v1, v33, v29, s22
	s_mov_b32 s12, exec_lo
	s_delay_alu instid0(VALU_DEP_2)
	v_cmpx_lt_u32_e64 v22, v47
	s_cbranch_execz .LBB1361_1066
; %bb.1059:
	s_and_not1_b32 vcc_lo, exec_lo, s26
	s_cbranch_vccnz .LBB1361_1065
; %bb.1060:
	v_mul_u64_e32 v[22:23], s[16:17], v[0:1]
	v_mul_u64_e32 v[24:25], s[16:17], v[4:5]
	s_mov_b32 s13, 0
	s_mov_b64 s[8:9], s[16:17]
                                        ; implicit-def: $sgpr14
                                        ; implicit-def: $sgpr15
                                        ; implicit-def: $sgpr22
                                        ; implicit-def: $sgpr23
	s_delay_alu instid0(VALU_DEP_2) | instskip(NEXT) | instid1(VALU_DEP_2)
	v_lshl_add_u64 v[22:23], v[22:23], 1, s[18:19]
	v_lshl_add_u64 v[24:25], v[24:25], 1, s[18:19]
	s_branch .LBB1361_1062
.LBB1361_1061:                          ;   in Loop: Header=BB1361_1062 Depth=1
	s_or_b32 exec_lo, exec_lo, s27
	s_delay_alu instid0(SALU_CYCLE_1) | instskip(NEXT) | instid1(SALU_CYCLE_1)
	s_and_b32 s27, exec_lo, s15
	s_or_b32 s13, s27, s13
	s_and_not1_b32 s23, s23, exec_lo
	s_and_b32 s7, s7, exec_lo
	s_and_not1_b32 s14, s14, exec_lo
	s_and_b32 s27, s22, exec_lo
	s_or_b32 s23, s23, s7
	s_or_b32 s14, s14, s27
	s_and_not1_b32 exec_lo, exec_lo, s13
	s_cbranch_execz .LBB1361_1064
.LBB1361_1062:                          ; =>This Inner Loop Header: Depth=1
	global_load_u16 v26, v[22:23], off
	global_load_u16 v27, v[24:25], off
	s_and_not1_b32 s22, s22, exec_lo
	s_or_b32 s15, s15, exec_lo
	s_wait_loadcnt 0x0
	v_cmp_le_u16_e32 vcc_lo, v26, v27
	v_cmp_lt_u16_e64 s7, v26, v27
	s_and_b32 s27, vcc_lo, s23
	s_delay_alu instid0(SALU_CYCLE_1) | instskip(NEXT) | instid1(SALU_CYCLE_1)
	s_or_b32 s7, s7, s27
	s_and_b32 s27, s7, exec_lo
	s_delay_alu instid0(SALU_CYCLE_1)
	s_or_b32 s22, s22, s27
	s_mov_b32 s27, exec_lo
	v_cmpx_eq_u16_e64 v26, v27
	s_cbranch_execz .LBB1361_1061
; %bb.1063:                             ;   in Loop: Header=BB1361_1062 Depth=1
	s_add_nc_u64 s[8:9], s[8:9], -1
	v_add_nc_u64_e32 v[22:23], 2, v[22:23]
	s_cmp_eq_u64 s[8:9], 0
	v_add_nc_u64_e32 v[24:25], 2, v[24:25]
	s_cselect_b32 s23, -1, 0
	s_and_not1_b32 s15, s15, exec_lo
	s_and_b32 s23, s23, exec_lo
	s_and_not1_b32 s22, s22, exec_lo
	s_or_b32 s15, s15, s23
                                        ; implicit-def: $sgpr23
	s_branch .LBB1361_1061
.LBB1361_1064:
	s_or_b32 exec_lo, exec_lo, s13
	v_dual_cndmask_b32 v5, v5, v1, s14 :: v_dual_cndmask_b32 v4, v4, v0, s14
.LBB1361_1065:
	s_delay_alu instid0(VALU_DEP_1)
	v_mov_b64_e32 v[0:1], v[4:5]
.LBB1361_1066:
	s_or_b32 exec_lo, exec_lo, s12
	s_delay_alu instid0(VALU_DEP_1)
	v_mov_b64_e32 v[4:5], v[0:1]
.LBB1361_1067:
	s_or_b32 exec_lo, exec_lo, s11
.LBB1361_1068:
	s_delay_alu instid0(SALU_CYCLE_1)
	s_or_b32 exec_lo, exec_lo, s10
	v_and_b32_e32 v26, 0xe0, v45
	s_mov_b32 s12, exec_lo
	; wave barrier
	ds_store_b128 v46, v[14:17]
	ds_store_b128 v46, v[10:13] offset:16
	v_or_b32_e32 v0, 16, v26
	v_lshl_add_u32 v25, v26, 3, v43
	ds_store_b128 v46, v[6:9] offset:32
	ds_store_b128 v46, v[2:5] offset:48
	; wave barrier
	v_min_u32_e32 v47, v44, v0
	v_and_b32_e32 v0, 24, v45
	s_delay_alu instid0(VALU_DEP_2) | instskip(NEXT) | instid1(VALU_DEP_2)
	v_add_min_u32_e64 v48, v47, 16, v44
	v_min_u32_e32 v27, v44, v0
	s_delay_alu instid0(VALU_DEP_2) | instskip(NEXT) | instid1(VALU_DEP_1)
	v_dual_sub_nc_u32 v1, v47, v26 :: v_dual_sub_nc_u32 v0, v48, v47
	v_min_u32_e32 v28, v27, v1
	s_delay_alu instid0(VALU_DEP_2) | instskip(NEXT) | instid1(VALU_DEP_1)
	v_sub_nc_u32_e64 v24, v27, v0 clamp
	v_cmpx_lt_u32_e64 v24, v28
	s_cbranch_execz .LBB1361_1078
; %bb.1069:
	v_lshlrev_b32_e32 v0, 3, v47
	v_lshlrev_b32_e32 v1, 3, v27
	s_lshl_b64 s[8:9], s[16:17], 1
	s_mov_b32 s13, 0
	s_delay_alu instid0(VALU_DEP_1)
	v_add3_u32 v29, v43, v0, v1
	s_branch .LBB1361_1072
.LBB1361_1070:                          ;   in Loop: Header=BB1361_1072 Depth=1
	s_or_b32 exec_lo, exec_lo, s15
.LBB1361_1071:                          ;   in Loop: Header=BB1361_1072 Depth=1
	s_delay_alu instid0(VALU_DEP_1) | instskip(NEXT) | instid1(VALU_DEP_1)
	v_dual_add_nc_u32 v0, 1, v30 :: v_dual_cndmask_b32 v28, v28, v30, s14
	v_cndmask_b32_e64 v24, v0, v24, s14
	s_delay_alu instid0(VALU_DEP_1) | instskip(SKIP_1) | instid1(SALU_CYCLE_1)
	v_cmp_ge_u32_e32 vcc_lo, v24, v28
	s_or_b32 s13, vcc_lo, s13
	s_and_not1_b32 exec_lo, exec_lo, s13
	s_cbranch_execz .LBB1361_1077
.LBB1361_1072:                          ; =>This Loop Header: Depth=1
                                        ;     Child Loop BB1361_1075 Depth 2
	v_add_nc_u32_e32 v0, v28, v24
	s_and_not1_b32 vcc_lo, exec_lo, s26
	s_mov_b32 s14, 0
	s_delay_alu instid0(VALU_DEP_1)
	v_lshrrev_b32_e32 v30, 1, v0
	s_cbranch_vccnz .LBB1361_1071
; %bb.1073:                             ;   in Loop: Header=BB1361_1072 Depth=1
	s_delay_alu instid0(VALU_DEP_1) | instskip(SKIP_3) | instid1(VALU_DEP_2)
	v_not_b32_e32 v0, v30
	v_lshl_add_u32 v1, v30, 3, v25
	s_mov_b32 s15, 0
	s_mov_b64 s[10:11], s[16:17]
                                        ; implicit-def: $sgpr14
                                        ; implicit-def: $sgpr22
                                        ; implicit-def: $sgpr23
                                        ; implicit-def: $sgpr27
	v_lshl_add_u32 v0, v0, 3, v29
	ds_load_b64 v[32:33], v0
	ds_load_b64 v[34:35], v1
	s_wait_dscnt 0x1
	v_mad_nc_u64_u32 v[0:1], s8, v32, s[18:19]
	s_wait_dscnt 0x0
	v_mad_nc_u64_u32 v[22:23], s8, v34, s[18:19]
	s_delay_alu instid0(VALU_DEP_2) | instskip(NEXT) | instid1(VALU_DEP_2)
	v_mad_u32 v1, s9, v32, v1
	v_mad_u32 v23, s9, v34, v23
	s_delay_alu instid0(VALU_DEP_2) | instskip(NEXT) | instid1(VALU_DEP_2)
	v_mad_u32 v1, s8, v33, v1
	v_mad_u32 v23, s8, v35, v23
	s_branch .LBB1361_1075
.LBB1361_1074:                          ;   in Loop: Header=BB1361_1075 Depth=2
	s_or_b32 exec_lo, exec_lo, s28
	s_delay_alu instid0(SALU_CYCLE_1) | instskip(NEXT) | instid1(SALU_CYCLE_1)
	s_and_b32 s28, exec_lo, s22
	s_or_b32 s15, s28, s15
	s_and_not1_b32 s27, s27, exec_lo
	s_and_b32 s7, s7, exec_lo
	s_and_not1_b32 s14, s14, exec_lo
	s_and_b32 s28, s23, exec_lo
	s_or_b32 s27, s27, s7
	s_or_b32 s14, s14, s28
	s_and_not1_b32 exec_lo, exec_lo, s15
	s_cbranch_execz .LBB1361_1070
.LBB1361_1075:                          ;   Parent Loop BB1361_1072 Depth=1
                                        ; =>  This Inner Loop Header: Depth=2
	global_load_u16 v31, v[0:1], off
	global_load_u16 v32, v[22:23], off
	s_and_not1_b32 s23, s23, exec_lo
	s_or_b32 s22, s22, exec_lo
	s_wait_loadcnt 0x0
	v_cmp_le_u16_e32 vcc_lo, v31, v32
	v_cmp_lt_u16_e64 s7, v31, v32
	s_and_b32 s28, vcc_lo, s27
	s_delay_alu instid0(SALU_CYCLE_1) | instskip(NEXT) | instid1(SALU_CYCLE_1)
	s_or_b32 s7, s7, s28
	s_and_b32 s28, s7, exec_lo
	s_delay_alu instid0(SALU_CYCLE_1)
	s_or_b32 s23, s23, s28
	s_mov_b32 s28, exec_lo
	v_cmpx_eq_u16_e64 v31, v32
	s_cbranch_execz .LBB1361_1074
; %bb.1076:                             ;   in Loop: Header=BB1361_1075 Depth=2
	s_add_nc_u64 s[10:11], s[10:11], -1
	v_add_nc_u64_e32 v[0:1], 2, v[0:1]
	s_cmp_eq_u64 s[10:11], 0
	v_add_nc_u64_e32 v[22:23], 2, v[22:23]
	s_cselect_b32 s27, -1, 0
	s_and_not1_b32 s22, s22, exec_lo
	s_and_b32 s27, s27, exec_lo
	s_and_not1_b32 s23, s23, exec_lo
	s_or_b32 s22, s22, s27
                                        ; implicit-def: $sgpr27
	s_branch .LBB1361_1074
.LBB1361_1077:
	s_or_b32 exec_lo, exec_lo, s13
.LBB1361_1078:
	s_delay_alu instid0(SALU_CYCLE_1) | instskip(SKIP_1) | instid1(VALU_DEP_1)
	s_or_b32 exec_lo, exec_lo, s12
	v_dual_add_nc_u32 v0, v47, v27 :: v_dual_add_nc_u32 v22, v24, v26
	v_sub_nc_u32_e32 v23, v0, v24
	s_delay_alu instid0(VALU_DEP_2) | instskip(NEXT) | instid1(VALU_DEP_2)
	v_cmp_le_u32_e32 vcc_lo, v22, v47
	v_cmp_le_u32_e64 s7, v23, v48
	s_or_b32 s7, vcc_lo, s7
	s_delay_alu instid0(SALU_CYCLE_1)
	s_and_saveexec_b32 s10, s7
	s_cbranch_execz .LBB1361_1169
; %bb.1079:
	s_mov_b32 s8, exec_lo
	v_cmp_ge_u32_e32 vcc_lo, v22, v47
                                        ; implicit-def: $vgpr0_vgpr1
	v_cmpx_lt_u32_e64 v22, v47
; %bb.1080:
	v_lshl_add_u32 v0, v24, 3, v25
	ds_load_b64 v[0:1], v0
; %bb.1081:
	s_or_b32 exec_lo, exec_lo, s8
	v_cmp_ge_u32_e64 s11, v23, v48
	s_mov_b32 s8, exec_lo
                                        ; implicit-def: $vgpr2_vgpr3
	v_cmpx_lt_u32_e64 v23, v48
; %bb.1082:
	v_lshl_add_u32 v2, v23, 3, v43
	ds_load_b64 v[2:3], v2
; %bb.1083:
	s_or_b32 exec_lo, exec_lo, s8
	s_nor_b32 s7, vcc_lo, s11
	s_delay_alu instid0(SALU_CYCLE_1)
	s_and_saveexec_b32 s12, s7
	s_cbranch_execz .LBB1361_1092
; %bb.1084:
	s_and_not1_b32 vcc_lo, exec_lo, s26
	s_cbranch_vccnz .LBB1361_1090
; %bb.1085:
	s_wait_dscnt 0x0
	v_mul_u64_e32 v[4:5], s[16:17], v[2:3]
	v_mul_u64_e32 v[6:7], s[16:17], v[0:1]
	s_mov_b32 s13, 0
	s_mov_b64 s[8:9], s[16:17]
                                        ; implicit-def: $sgpr14
                                        ; implicit-def: $sgpr15
                                        ; implicit-def: $sgpr22
                                        ; implicit-def: $sgpr23
	s_delay_alu instid0(VALU_DEP_2) | instskip(NEXT) | instid1(VALU_DEP_2)
	v_lshl_add_u64 v[4:5], v[4:5], 1, s[18:19]
	v_lshl_add_u64 v[6:7], v[6:7], 1, s[18:19]
	s_branch .LBB1361_1087
.LBB1361_1086:                          ;   in Loop: Header=BB1361_1087 Depth=1
	s_or_b32 exec_lo, exec_lo, s27
	s_delay_alu instid0(SALU_CYCLE_1) | instskip(NEXT) | instid1(SALU_CYCLE_1)
	s_and_b32 s27, exec_lo, s15
	s_or_b32 s13, s27, s13
	s_and_not1_b32 s23, s23, exec_lo
	s_and_b32 s7, s7, exec_lo
	s_and_not1_b32 s14, s14, exec_lo
	s_and_b32 s27, s22, exec_lo
	s_or_b32 s23, s23, s7
	s_or_b32 s14, s14, s27
	s_and_not1_b32 exec_lo, exec_lo, s13
	s_cbranch_execz .LBB1361_1089
.LBB1361_1087:                          ; =>This Inner Loop Header: Depth=1
	global_load_u16 v8, v[4:5], off
	global_load_u16 v9, v[6:7], off
	s_and_not1_b32 s22, s22, exec_lo
	s_or_b32 s15, s15, exec_lo
	s_wait_loadcnt 0x0
	v_cmp_le_u16_e32 vcc_lo, v8, v9
	v_cmp_lt_u16_e64 s7, v8, v9
	s_and_b32 s27, vcc_lo, s23
	s_delay_alu instid0(SALU_CYCLE_1) | instskip(NEXT) | instid1(SALU_CYCLE_1)
	s_or_b32 s7, s7, s27
	s_and_b32 s27, s7, exec_lo
	s_delay_alu instid0(SALU_CYCLE_1)
	s_or_b32 s22, s22, s27
	s_mov_b32 s27, exec_lo
	v_cmpx_eq_u16_e64 v8, v9
	s_cbranch_execz .LBB1361_1086
; %bb.1088:                             ;   in Loop: Header=BB1361_1087 Depth=1
	s_add_nc_u64 s[8:9], s[8:9], -1
	v_add_nc_u64_e32 v[4:5], 2, v[4:5]
	s_cmp_eq_u64 s[8:9], 0
	v_add_nc_u64_e32 v[6:7], 2, v[6:7]
	s_cselect_b32 s23, -1, 0
	s_and_not1_b32 s15, s15, exec_lo
	s_and_b32 s23, s23, exec_lo
	s_and_not1_b32 s22, s22, exec_lo
	s_or_b32 s15, s15, s23
                                        ; implicit-def: $sgpr23
	s_branch .LBB1361_1086
.LBB1361_1089:
	s_or_b32 exec_lo, exec_lo, s13
	s_xor_b32 s7, s14, -1
	s_branch .LBB1361_1091
.LBB1361_1090:
	s_mov_b32 s7, -1
.LBB1361_1091:
	s_and_not1_b32 s8, s11, exec_lo
	s_and_b32 s7, s7, exec_lo
	s_delay_alu instid0(SALU_CYCLE_1)
	s_or_b32 s11, s8, s7
.LBB1361_1092:
	s_or_b32 exec_lo, exec_lo, s12
	v_dual_cndmask_b32 v4, v23, v22, s11 :: v_dual_cndmask_b32 v5, v48, v47, s11
	s_mov_b32 s13, -1
	s_mov_b32 s12, -1
	s_mov_b32 s14, exec_lo
	s_delay_alu instid0(VALU_DEP_1) | instskip(NEXT) | instid1(VALU_DEP_1)
	v_add_nc_u32_e32 v4, 1, v4
	v_add_min_u32_e64 v5, v5, -1, v4
	s_delay_alu instid0(VALU_DEP_1)
	v_lshl_add_u32 v5, v5, 3, v43
	ds_load_b64 v[6:7], v5
	s_wait_dscnt 0x0
	v_cndmask_b32_e64 v5, v7, v3, s11
	v_dual_cndmask_b32 v10, v4, v23, s11 :: v_dual_cndmask_b32 v11, v22, v4, s11
	v_dual_cndmask_b32 v4, v6, v2, s11 :: v_dual_cndmask_b32 v15, v1, v7, s11
	v_cndmask_b32_e64 v14, v0, v6, s11
	s_delay_alu instid0(VALU_DEP_3)
	v_cmpx_lt_u32_e64 v10, v48
	s_cbranch_execz .LBB1361_1103
; %bb.1093:
	s_mov_b32 s7, 0
	s_mov_b32 s12, exec_lo
	v_cmpx_lt_u32_e64 v11, v47
	s_cbranch_execz .LBB1361_1102
; %bb.1094:
	s_and_not1_b32 vcc_lo, exec_lo, s26
	s_cbranch_vccnz .LBB1361_1100
; %bb.1095:
	v_mul_u64_e32 v[6:7], s[16:17], v[4:5]
	v_mul_u64_e32 v[8:9], s[16:17], v[14:15]
	s_mov_b32 s15, 0
	s_mov_b64 s[8:9], s[16:17]
                                        ; implicit-def: $sgpr22
                                        ; implicit-def: $sgpr23
                                        ; implicit-def: $sgpr27
                                        ; implicit-def: $sgpr28
	s_delay_alu instid0(VALU_DEP_2) | instskip(NEXT) | instid1(VALU_DEP_2)
	v_lshl_add_u64 v[6:7], v[6:7], 1, s[18:19]
	v_lshl_add_u64 v[8:9], v[8:9], 1, s[18:19]
	s_branch .LBB1361_1097
.LBB1361_1096:                          ;   in Loop: Header=BB1361_1097 Depth=1
	s_or_b32 exec_lo, exec_lo, s29
	s_delay_alu instid0(SALU_CYCLE_1) | instskip(NEXT) | instid1(SALU_CYCLE_1)
	s_and_b32 s29, exec_lo, s23
	s_or_b32 s15, s29, s15
	s_and_not1_b32 s28, s28, exec_lo
	s_and_b32 s7, s7, exec_lo
	s_and_not1_b32 s22, s22, exec_lo
	s_and_b32 s29, s27, exec_lo
	s_or_b32 s28, s28, s7
	s_or_b32 s22, s22, s29
	s_and_not1_b32 exec_lo, exec_lo, s15
	s_cbranch_execz .LBB1361_1099
.LBB1361_1097:                          ; =>This Inner Loop Header: Depth=1
	global_load_u16 v12, v[6:7], off
	global_load_u16 v13, v[8:9], off
	s_and_not1_b32 s27, s27, exec_lo
	s_or_b32 s23, s23, exec_lo
	s_wait_loadcnt 0x0
	v_cmp_le_u16_e32 vcc_lo, v12, v13
	v_cmp_lt_u16_e64 s7, v12, v13
	s_and_b32 s29, vcc_lo, s28
	s_delay_alu instid0(SALU_CYCLE_1) | instskip(NEXT) | instid1(SALU_CYCLE_1)
	s_or_b32 s7, s7, s29
	s_and_b32 s29, s7, exec_lo
	s_delay_alu instid0(SALU_CYCLE_1)
	s_or_b32 s27, s27, s29
	s_mov_b32 s29, exec_lo
	v_cmpx_eq_u16_e64 v12, v13
	s_cbranch_execz .LBB1361_1096
; %bb.1098:                             ;   in Loop: Header=BB1361_1097 Depth=1
	s_add_nc_u64 s[8:9], s[8:9], -1
	v_add_nc_u64_e32 v[6:7], 2, v[6:7]
	s_cmp_eq_u64 s[8:9], 0
	v_add_nc_u64_e32 v[8:9], 2, v[8:9]
	s_cselect_b32 s28, -1, 0
	s_and_not1_b32 s23, s23, exec_lo
	s_and_b32 s28, s28, exec_lo
	s_and_not1_b32 s27, s27, exec_lo
	s_or_b32 s23, s23, s28
                                        ; implicit-def: $sgpr28
	s_branch .LBB1361_1096
.LBB1361_1099:
	s_or_b32 exec_lo, exec_lo, s15
	s_xor_b32 s7, s22, -1
	s_branch .LBB1361_1101
.LBB1361_1100:
	s_mov_b32 s7, -1
.LBB1361_1101:
	s_delay_alu instid0(SALU_CYCLE_1)
	s_and_b32 s7, s7, exec_lo
.LBB1361_1102:
	s_or_b32 exec_lo, exec_lo, s12
	s_delay_alu instid0(SALU_CYCLE_1)
	s_or_not1_b32 s12, s7, exec_lo
.LBB1361_1103:
	s_or_b32 exec_lo, exec_lo, s14
	v_cndmask_b32_e64 v6, v10, v11, s12
	v_cndmask_b32_e64 v7, v48, v47, s12
	s_mov_b32 s14, exec_lo
	s_delay_alu instid0(VALU_DEP_2) | instskip(NEXT) | instid1(VALU_DEP_1)
	v_add_nc_u32_e32 v8, 1, v6
	v_add_min_u32_e64 v6, v7, -1, v8
	v_cndmask_b32_e64 v12, v8, v10, s12
	s_delay_alu instid0(VALU_DEP_2)
	v_lshl_add_u32 v6, v6, 3, v43
	ds_load_b64 v[6:7], v6
	s_wait_dscnt 0x0
	v_dual_cndmask_b32 v13, v11, v8, s12 :: v_dual_cndmask_b32 v16, v14, v6, s12
	v_dual_cndmask_b32 v11, v7, v5, s12 :: v_dual_cndmask_b32 v10, v6, v4, s12
	v_cndmask_b32_e64 v17, v15, v7, s12
	v_cmpx_lt_u32_e64 v12, v48
	s_cbranch_execz .LBB1361_1114
; %bb.1104:
	s_mov_b32 s7, 0
	s_mov_b32 s13, exec_lo
	v_cmpx_lt_u32_e64 v13, v47
	s_cbranch_execz .LBB1361_1113
; %bb.1105:
	s_and_not1_b32 vcc_lo, exec_lo, s26
	s_cbranch_vccnz .LBB1361_1111
; %bb.1106:
	v_mul_u64_e32 v[6:7], s[16:17], v[10:11]
	v_mul_u64_e32 v[8:9], s[16:17], v[16:17]
	s_mov_b32 s15, 0
	s_mov_b64 s[8:9], s[16:17]
                                        ; implicit-def: $sgpr22
                                        ; implicit-def: $sgpr23
                                        ; implicit-def: $sgpr27
                                        ; implicit-def: $sgpr28
	s_delay_alu instid0(VALU_DEP_2) | instskip(NEXT) | instid1(VALU_DEP_2)
	v_lshl_add_u64 v[6:7], v[6:7], 1, s[18:19]
	v_lshl_add_u64 v[8:9], v[8:9], 1, s[18:19]
	s_branch .LBB1361_1108
.LBB1361_1107:                          ;   in Loop: Header=BB1361_1108 Depth=1
	s_or_b32 exec_lo, exec_lo, s29
	s_delay_alu instid0(SALU_CYCLE_1) | instskip(NEXT) | instid1(SALU_CYCLE_1)
	s_and_b32 s29, exec_lo, s23
	s_or_b32 s15, s29, s15
	s_and_not1_b32 s28, s28, exec_lo
	s_and_b32 s7, s7, exec_lo
	s_and_not1_b32 s22, s22, exec_lo
	s_and_b32 s29, s27, exec_lo
	s_or_b32 s28, s28, s7
	s_or_b32 s22, s22, s29
	s_and_not1_b32 exec_lo, exec_lo, s15
	s_cbranch_execz .LBB1361_1110
.LBB1361_1108:                          ; =>This Inner Loop Header: Depth=1
	global_load_u16 v22, v[6:7], off
	global_load_u16 v23, v[8:9], off
	s_and_not1_b32 s27, s27, exec_lo
	s_or_b32 s23, s23, exec_lo
	s_wait_loadcnt 0x0
	v_cmp_le_u16_e32 vcc_lo, v22, v23
	v_cmp_lt_u16_e64 s7, v22, v23
	s_and_b32 s29, vcc_lo, s28
	s_delay_alu instid0(SALU_CYCLE_1) | instskip(NEXT) | instid1(SALU_CYCLE_1)
	s_or_b32 s7, s7, s29
	s_and_b32 s29, s7, exec_lo
	s_delay_alu instid0(SALU_CYCLE_1)
	s_or_b32 s27, s27, s29
	s_mov_b32 s29, exec_lo
	v_cmpx_eq_u16_e64 v22, v23
	s_cbranch_execz .LBB1361_1107
; %bb.1109:                             ;   in Loop: Header=BB1361_1108 Depth=1
	s_add_nc_u64 s[8:9], s[8:9], -1
	v_add_nc_u64_e32 v[6:7], 2, v[6:7]
	s_cmp_eq_u64 s[8:9], 0
	v_add_nc_u64_e32 v[8:9], 2, v[8:9]
	s_cselect_b32 s28, -1, 0
	s_and_not1_b32 s23, s23, exec_lo
	s_and_b32 s28, s28, exec_lo
	s_and_not1_b32 s27, s27, exec_lo
	s_or_b32 s23, s23, s28
                                        ; implicit-def: $sgpr28
	s_branch .LBB1361_1107
.LBB1361_1110:
	s_or_b32 exec_lo, exec_lo, s15
	s_xor_b32 s7, s22, -1
	s_branch .LBB1361_1112
.LBB1361_1111:
	s_mov_b32 s7, -1
.LBB1361_1112:
	s_delay_alu instid0(SALU_CYCLE_1)
	s_and_b32 s7, s7, exec_lo
.LBB1361_1113:
	s_or_b32 exec_lo, exec_lo, s13
	s_delay_alu instid0(SALU_CYCLE_1)
	s_or_not1_b32 s13, s7, exec_lo
.LBB1361_1114:
	s_or_b32 exec_lo, exec_lo, s14
	v_cndmask_b32_e64 v6, v12, v13, s13
	v_cndmask_b32_e64 v7, v48, v47, s13
	s_mov_b32 s15, -1
	s_mov_b32 s14, -1
	s_mov_b32 s22, exec_lo
	v_add_nc_u32_e32 v8, 1, v6
	s_delay_alu instid0(VALU_DEP_1) | instskip(SKIP_1) | instid1(VALU_DEP_2)
	v_add_min_u32_e64 v6, v7, -1, v8
	v_cndmask_b32_e64 v25, v13, v8, s13
	v_lshl_add_u32 v6, v6, 3, v43
	ds_load_b64 v[6:7], v6
	s_wait_dscnt 0x0
	v_dual_cndmask_b32 v24, v8, v12, s13 :: v_dual_cndmask_b32 v13, v7, v11, s13
	v_dual_cndmask_b32 v12, v6, v10, s13 :: v_dual_cndmask_b32 v23, v17, v7, s13
	v_cndmask_b32_e64 v22, v16, v6, s13
	s_delay_alu instid0(VALU_DEP_3)
	v_cmpx_lt_u32_e64 v24, v48
	s_cbranch_execz .LBB1361_1125
; %bb.1115:
	s_mov_b32 s7, 0
	s_mov_b32 s14, exec_lo
	v_cmpx_lt_u32_e64 v25, v47
	s_cbranch_execz .LBB1361_1124
; %bb.1116:
	s_and_not1_b32 vcc_lo, exec_lo, s26
	s_cbranch_vccnz .LBB1361_1122
; %bb.1117:
	v_mul_u64_e32 v[6:7], s[16:17], v[12:13]
	v_mul_u64_e32 v[8:9], s[16:17], v[22:23]
	s_mov_b32 s23, 0
	s_mov_b64 s[8:9], s[16:17]
                                        ; implicit-def: $sgpr27
                                        ; implicit-def: $sgpr28
                                        ; implicit-def: $sgpr29
                                        ; implicit-def: $sgpr30
	s_delay_alu instid0(VALU_DEP_2) | instskip(NEXT) | instid1(VALU_DEP_2)
	v_lshl_add_u64 v[6:7], v[6:7], 1, s[18:19]
	v_lshl_add_u64 v[8:9], v[8:9], 1, s[18:19]
	s_branch .LBB1361_1119
.LBB1361_1118:                          ;   in Loop: Header=BB1361_1119 Depth=1
	s_or_b32 exec_lo, exec_lo, s31
	s_delay_alu instid0(SALU_CYCLE_1) | instskip(NEXT) | instid1(SALU_CYCLE_1)
	s_and_b32 s31, exec_lo, s28
	s_or_b32 s23, s31, s23
	s_and_not1_b32 s30, s30, exec_lo
	s_and_b32 s7, s7, exec_lo
	s_and_not1_b32 s27, s27, exec_lo
	s_and_b32 s31, s29, exec_lo
	s_or_b32 s30, s30, s7
	s_or_b32 s27, s27, s31
	s_and_not1_b32 exec_lo, exec_lo, s23
	s_cbranch_execz .LBB1361_1121
.LBB1361_1119:                          ; =>This Inner Loop Header: Depth=1
	global_load_u16 v26, v[6:7], off
	global_load_u16 v27, v[8:9], off
	s_and_not1_b32 s29, s29, exec_lo
	s_or_b32 s28, s28, exec_lo
	s_wait_loadcnt 0x0
	v_cmp_le_u16_e32 vcc_lo, v26, v27
	v_cmp_lt_u16_e64 s7, v26, v27
	s_and_b32 s31, vcc_lo, s30
	s_delay_alu instid0(SALU_CYCLE_1) | instskip(NEXT) | instid1(SALU_CYCLE_1)
	s_or_b32 s7, s7, s31
	s_and_b32 s31, s7, exec_lo
	s_delay_alu instid0(SALU_CYCLE_1)
	s_or_b32 s29, s29, s31
	s_mov_b32 s31, exec_lo
	v_cmpx_eq_u16_e64 v26, v27
	s_cbranch_execz .LBB1361_1118
; %bb.1120:                             ;   in Loop: Header=BB1361_1119 Depth=1
	s_add_nc_u64 s[8:9], s[8:9], -1
	v_add_nc_u64_e32 v[6:7], 2, v[6:7]
	s_cmp_eq_u64 s[8:9], 0
	v_add_nc_u64_e32 v[8:9], 2, v[8:9]
	s_cselect_b32 s30, -1, 0
	s_and_not1_b32 s28, s28, exec_lo
	s_and_b32 s30, s30, exec_lo
	s_and_not1_b32 s29, s29, exec_lo
	s_or_b32 s28, s28, s30
                                        ; implicit-def: $sgpr30
	s_branch .LBB1361_1118
.LBB1361_1121:
	s_or_b32 exec_lo, exec_lo, s23
	s_xor_b32 s7, s27, -1
	s_branch .LBB1361_1123
.LBB1361_1122:
	s_mov_b32 s7, -1
.LBB1361_1123:
	s_delay_alu instid0(SALU_CYCLE_1)
	s_and_b32 s7, s7, exec_lo
.LBB1361_1124:
	s_or_b32 exec_lo, exec_lo, s14
	s_delay_alu instid0(SALU_CYCLE_1)
	s_or_not1_b32 s14, s7, exec_lo
.LBB1361_1125:
	s_or_b32 exec_lo, exec_lo, s22
	v_cndmask_b32_e64 v6, v24, v25, s14
	v_cndmask_b32_e64 v7, v48, v47, s14
	s_mov_b32 s22, exec_lo
	s_delay_alu instid0(VALU_DEP_2) | instskip(NEXT) | instid1(VALU_DEP_1)
	v_add_nc_u32_e32 v6, 1, v6
	v_add_min_u32_e64 v7, v7, -1, v6
	v_dual_cndmask_b32 v28, v6, v24, s14 :: v_dual_cndmask_b32 v29, v25, v6, s14
	s_delay_alu instid0(VALU_DEP_2)
	v_lshl_add_u32 v7, v7, 3, v43
	ds_load_b64 v[8:9], v7
	s_wait_dscnt 0x0
	v_dual_cndmask_b32 v7, v9, v13, s14 :: v_dual_cndmask_b32 v6, v8, v12, s14
	v_dual_cndmask_b32 v25, v23, v9, s14 :: v_dual_cndmask_b32 v24, v22, v8, s14
	v_cmpx_lt_u32_e64 v28, v48
	s_cbranch_execz .LBB1361_1136
; %bb.1126:
	s_mov_b32 s7, 0
	s_mov_b32 s15, exec_lo
	v_cmpx_lt_u32_e64 v29, v47
	s_cbranch_execz .LBB1361_1135
; %bb.1127:
	s_and_not1_b32 vcc_lo, exec_lo, s26
	s_cbranch_vccnz .LBB1361_1133
; %bb.1128:
	v_mul_u64_e32 v[8:9], s[16:17], v[6:7]
	v_mul_u64_e32 v[26:27], s[16:17], v[24:25]
	s_mov_b32 s23, 0
	s_mov_b64 s[8:9], s[16:17]
                                        ; implicit-def: $sgpr27
                                        ; implicit-def: $sgpr28
                                        ; implicit-def: $sgpr29
                                        ; implicit-def: $sgpr30
	s_delay_alu instid0(VALU_DEP_2) | instskip(NEXT) | instid1(VALU_DEP_2)
	v_lshl_add_u64 v[8:9], v[8:9], 1, s[18:19]
	v_lshl_add_u64 v[26:27], v[26:27], 1, s[18:19]
	s_branch .LBB1361_1130
.LBB1361_1129:                          ;   in Loop: Header=BB1361_1130 Depth=1
	s_or_b32 exec_lo, exec_lo, s31
	s_delay_alu instid0(SALU_CYCLE_1) | instskip(NEXT) | instid1(SALU_CYCLE_1)
	s_and_b32 s31, exec_lo, s28
	s_or_b32 s23, s31, s23
	s_and_not1_b32 s30, s30, exec_lo
	s_and_b32 s7, s7, exec_lo
	s_and_not1_b32 s27, s27, exec_lo
	s_and_b32 s31, s29, exec_lo
	s_or_b32 s30, s30, s7
	s_or_b32 s27, s27, s31
	s_and_not1_b32 exec_lo, exec_lo, s23
	s_cbranch_execz .LBB1361_1132
.LBB1361_1130:                          ; =>This Inner Loop Header: Depth=1
	global_load_u16 v30, v[8:9], off
	global_load_u16 v31, v[26:27], off
	s_and_not1_b32 s29, s29, exec_lo
	s_or_b32 s28, s28, exec_lo
	s_wait_loadcnt 0x0
	v_cmp_le_u16_e32 vcc_lo, v30, v31
	v_cmp_lt_u16_e64 s7, v30, v31
	s_and_b32 s31, vcc_lo, s30
	s_delay_alu instid0(SALU_CYCLE_1) | instskip(NEXT) | instid1(SALU_CYCLE_1)
	s_or_b32 s7, s7, s31
	s_and_b32 s31, s7, exec_lo
	s_delay_alu instid0(SALU_CYCLE_1)
	s_or_b32 s29, s29, s31
	s_mov_b32 s31, exec_lo
	v_cmpx_eq_u16_e64 v30, v31
	s_cbranch_execz .LBB1361_1129
; %bb.1131:                             ;   in Loop: Header=BB1361_1130 Depth=1
	s_add_nc_u64 s[8:9], s[8:9], -1
	v_add_nc_u64_e32 v[8:9], 2, v[8:9]
	s_cmp_eq_u64 s[8:9], 0
	v_add_nc_u64_e32 v[26:27], 2, v[26:27]
	s_cselect_b32 s30, -1, 0
	s_and_not1_b32 s28, s28, exec_lo
	s_and_b32 s30, s30, exec_lo
	s_and_not1_b32 s29, s29, exec_lo
	s_or_b32 s28, s28, s30
                                        ; implicit-def: $sgpr30
	s_branch .LBB1361_1129
.LBB1361_1132:
	s_or_b32 exec_lo, exec_lo, s23
	s_xor_b32 s7, s27, -1
	s_branch .LBB1361_1134
.LBB1361_1133:
	s_mov_b32 s7, -1
.LBB1361_1134:
	s_delay_alu instid0(SALU_CYCLE_1)
	s_and_b32 s7, s7, exec_lo
.LBB1361_1135:
	s_or_b32 exec_lo, exec_lo, s15
	s_delay_alu instid0(SALU_CYCLE_1)
	s_or_not1_b32 s15, s7, exec_lo
.LBB1361_1136:
	s_or_b32 exec_lo, exec_lo, s22
	v_cndmask_b32_e64 v8, v28, v29, s15
	v_cndmask_b32_e64 v9, v48, v47, s15
	s_mov_b32 s22, -1
	s_mov_b32 s23, -1
	s_mov_b32 s27, exec_lo
	v_add_nc_u32_e32 v8, 1, v8
	s_delay_alu instid0(VALU_DEP_1) | instskip(NEXT) | instid1(VALU_DEP_1)
	v_add_min_u32_e64 v9, v9, -1, v8
	v_lshl_add_u32 v9, v9, 3, v43
	ds_load_b64 v[26:27], v9
	v_cndmask_b32_e64 v32, v8, v28, s15
	s_wait_dscnt 0x0
	v_dual_cndmask_b32 v33, v29, v8, s15 :: v_dual_cndmask_b32 v9, v27, v7, s15
	v_dual_cndmask_b32 v8, v26, v6, s15 :: v_dual_cndmask_b32 v27, v25, v27, s15
	v_cndmask_b32_e64 v26, v24, v26, s15
	v_cmpx_lt_u32_e64 v32, v48
	s_cbranch_execz .LBB1361_1147
; %bb.1137:
	s_mov_b32 s7, 0
	s_mov_b32 s23, exec_lo
	v_cmpx_lt_u32_e64 v33, v47
	s_cbranch_execz .LBB1361_1146
; %bb.1138:
	s_and_not1_b32 vcc_lo, exec_lo, s26
	s_cbranch_vccnz .LBB1361_1144
; %bb.1139:
	v_mul_u64_e32 v[28:29], s[16:17], v[8:9]
	v_mul_u64_e32 v[30:31], s[16:17], v[26:27]
	s_mov_b32 s28, 0
	s_mov_b64 s[8:9], s[16:17]
                                        ; implicit-def: $sgpr29
                                        ; implicit-def: $sgpr30
                                        ; implicit-def: $sgpr31
                                        ; implicit-def: $sgpr33
	s_delay_alu instid0(VALU_DEP_2) | instskip(NEXT) | instid1(VALU_DEP_2)
	v_lshl_add_u64 v[28:29], v[28:29], 1, s[18:19]
	v_lshl_add_u64 v[30:31], v[30:31], 1, s[18:19]
	s_branch .LBB1361_1141
.LBB1361_1140:                          ;   in Loop: Header=BB1361_1141 Depth=1
	s_or_b32 exec_lo, exec_lo, s34
	s_delay_alu instid0(SALU_CYCLE_1) | instskip(NEXT) | instid1(SALU_CYCLE_1)
	s_and_b32 s34, exec_lo, s30
	s_or_b32 s28, s34, s28
	s_and_not1_b32 s33, s33, exec_lo
	s_and_b32 s7, s7, exec_lo
	s_and_not1_b32 s29, s29, exec_lo
	s_and_b32 s34, s31, exec_lo
	s_or_b32 s33, s33, s7
	s_or_b32 s29, s29, s34
	s_and_not1_b32 exec_lo, exec_lo, s28
	s_cbranch_execz .LBB1361_1143
.LBB1361_1141:                          ; =>This Inner Loop Header: Depth=1
	global_load_u16 v34, v[28:29], off
	global_load_u16 v35, v[30:31], off
	s_and_not1_b32 s31, s31, exec_lo
	s_or_b32 s30, s30, exec_lo
	s_wait_loadcnt 0x0
	v_cmp_le_u16_e32 vcc_lo, v34, v35
	v_cmp_lt_u16_e64 s7, v34, v35
	s_and_b32 s34, vcc_lo, s33
	s_delay_alu instid0(SALU_CYCLE_1) | instskip(NEXT) | instid1(SALU_CYCLE_1)
	s_or_b32 s7, s7, s34
	s_and_b32 s34, s7, exec_lo
	s_delay_alu instid0(SALU_CYCLE_1)
	s_or_b32 s31, s31, s34
	s_mov_b32 s34, exec_lo
	v_cmpx_eq_u16_e64 v34, v35
	s_cbranch_execz .LBB1361_1140
; %bb.1142:                             ;   in Loop: Header=BB1361_1141 Depth=1
	s_add_nc_u64 s[8:9], s[8:9], -1
	v_add_nc_u64_e32 v[28:29], 2, v[28:29]
	s_cmp_eq_u64 s[8:9], 0
	v_add_nc_u64_e32 v[30:31], 2, v[30:31]
	s_cselect_b32 s33, -1, 0
	s_and_not1_b32 s30, s30, exec_lo
	s_and_b32 s33, s33, exec_lo
	s_and_not1_b32 s31, s31, exec_lo
	s_or_b32 s30, s30, s33
                                        ; implicit-def: $sgpr33
	s_branch .LBB1361_1140
.LBB1361_1143:
	s_or_b32 exec_lo, exec_lo, s28
	s_xor_b32 s7, s29, -1
	s_branch .LBB1361_1145
.LBB1361_1144:
	s_mov_b32 s7, -1
.LBB1361_1145:
	s_delay_alu instid0(SALU_CYCLE_1)
	s_and_b32 s7, s7, exec_lo
.LBB1361_1146:
	s_or_b32 exec_lo, exec_lo, s23
	s_delay_alu instid0(SALU_CYCLE_1)
	s_or_not1_b32 s23, s7, exec_lo
.LBB1361_1147:
	s_or_b32 exec_lo, exec_lo, s27
	v_cndmask_b32_e64 v28, v32, v33, s23
	v_cndmask_b32_e64 v29, v48, v47, s23
	s_mov_b32 s27, exec_lo
	s_delay_alu instid0(VALU_DEP_2) | instskip(NEXT) | instid1(VALU_DEP_1)
	v_add_nc_u32_e32 v28, 1, v28
	v_add_min_u32_e64 v29, v29, -1, v28
	s_delay_alu instid0(VALU_DEP_1)
	v_lshl_add_u32 v29, v29, 3, v43
	ds_load_b64 v[30:31], v29
	v_cndmask_b32_e64 v50, v28, v32, s23
	s_wait_dscnt 0x0
	v_dual_cndmask_b32 v49, v33, v28, s23 :: v_dual_cndmask_b32 v29, v31, v9, s23
	v_dual_cndmask_b32 v28, v30, v8, s23 :: v_dual_cndmask_b32 v31, v27, v31, s23
	v_cndmask_b32_e64 v30, v26, v30, s23
	v_cmpx_lt_u32_e64 v50, v48
	s_cbranch_execz .LBB1361_1158
; %bb.1148:
	s_mov_b32 s7, 0
	s_mov_b32 s22, exec_lo
	v_cmpx_lt_u32_e64 v49, v47
	s_cbranch_execz .LBB1361_1157
; %bb.1149:
	s_and_not1_b32 vcc_lo, exec_lo, s26
	s_cbranch_vccnz .LBB1361_1155
; %bb.1150:
	v_mul_u64_e32 v[32:33], s[16:17], v[28:29]
	v_mul_u64_e32 v[34:35], s[16:17], v[30:31]
	s_mov_b32 s28, 0
	s_mov_b64 s[8:9], s[16:17]
                                        ; implicit-def: $sgpr29
                                        ; implicit-def: $sgpr30
                                        ; implicit-def: $sgpr31
                                        ; implicit-def: $sgpr33
	s_delay_alu instid0(VALU_DEP_2) | instskip(NEXT) | instid1(VALU_DEP_2)
	v_lshl_add_u64 v[32:33], v[32:33], 1, s[18:19]
	v_lshl_add_u64 v[34:35], v[34:35], 1, s[18:19]
	s_branch .LBB1361_1152
.LBB1361_1151:                          ;   in Loop: Header=BB1361_1152 Depth=1
	s_or_b32 exec_lo, exec_lo, s34
	s_delay_alu instid0(SALU_CYCLE_1) | instskip(NEXT) | instid1(SALU_CYCLE_1)
	s_and_b32 s34, exec_lo, s30
	s_or_b32 s28, s34, s28
	s_and_not1_b32 s33, s33, exec_lo
	s_and_b32 s7, s7, exec_lo
	s_and_not1_b32 s29, s29, exec_lo
	s_and_b32 s34, s31, exec_lo
	s_or_b32 s33, s33, s7
	s_or_b32 s29, s29, s34
	s_and_not1_b32 exec_lo, exec_lo, s28
	s_cbranch_execz .LBB1361_1154
.LBB1361_1152:                          ; =>This Inner Loop Header: Depth=1
	global_load_u16 v51, v[32:33], off
	global_load_u16 v52, v[34:35], off
	s_and_not1_b32 s31, s31, exec_lo
	s_or_b32 s30, s30, exec_lo
	s_wait_loadcnt 0x0
	v_cmp_le_u16_e32 vcc_lo, v51, v52
	v_cmp_lt_u16_e64 s7, v51, v52
	s_and_b32 s34, vcc_lo, s33
	s_delay_alu instid0(SALU_CYCLE_1) | instskip(NEXT) | instid1(SALU_CYCLE_1)
	s_or_b32 s7, s7, s34
	s_and_b32 s34, s7, exec_lo
	s_delay_alu instid0(SALU_CYCLE_1)
	s_or_b32 s31, s31, s34
	s_mov_b32 s34, exec_lo
	v_cmpx_eq_u16_e64 v51, v52
	s_cbranch_execz .LBB1361_1151
; %bb.1153:                             ;   in Loop: Header=BB1361_1152 Depth=1
	s_add_nc_u64 s[8:9], s[8:9], -1
	v_add_nc_u64_e32 v[32:33], 2, v[32:33]
	s_cmp_eq_u64 s[8:9], 0
	v_add_nc_u64_e32 v[34:35], 2, v[34:35]
	s_cselect_b32 s33, -1, 0
	s_and_not1_b32 s30, s30, exec_lo
	s_and_b32 s33, s33, exec_lo
	s_and_not1_b32 s31, s31, exec_lo
	s_or_b32 s30, s30, s33
                                        ; implicit-def: $sgpr33
	s_branch .LBB1361_1151
.LBB1361_1154:
	s_or_b32 exec_lo, exec_lo, s28
	s_xor_b32 s7, s29, -1
	s_branch .LBB1361_1156
.LBB1361_1155:
	s_mov_b32 s7, -1
.LBB1361_1156:
	s_delay_alu instid0(SALU_CYCLE_1)
	s_and_b32 s7, s7, exec_lo
.LBB1361_1157:
	s_or_b32 exec_lo, exec_lo, s22
	s_delay_alu instid0(SALU_CYCLE_1)
	s_or_not1_b32 s22, s7, exec_lo
.LBB1361_1158:
	s_or_b32 exec_lo, exec_lo, s27
	v_dual_cndmask_b32 v32, v50, v49, s22 :: v_dual_cndmask_b32 v33, v48, v47, s22
	v_dual_cndmask_b32 v8, v8, v26, s23 :: v_dual_cndmask_b32 v7, v7, v25, s15
	;; [unrolled: 1-line block ×3, first 2 shown]
	s_delay_alu instid0(VALU_DEP_3) | instskip(SKIP_2) | instid1(VALU_DEP_3)
	v_dual_add_nc_u32 v34, 1, v32 :: v_dual_cndmask_b32 v9, v9, v27, s23
	v_dual_cndmask_b32 v12, v12, v22, s14 :: v_dual_cndmask_b32 v11, v11, v17, s13
	v_dual_cndmask_b32 v10, v10, v16, s13 :: v_dual_cndmask_b32 v17, v5, v15, s12
	v_add_min_u32_e64 v32, v33, -1, v34
	v_dual_cndmask_b32 v16, v4, v14, s12 :: v_dual_cndmask_b32 v15, v3, v1, s11
	v_dual_cndmask_b32 v14, v2, v0, s11 :: v_dual_cndmask_b32 v3, v29, v31, s22
	s_delay_alu instid0(VALU_DEP_3)
	v_lshl_add_u32 v32, v32, 3, v43
	s_mov_b32 s11, exec_lo
	ds_load_b64 v[32:33], v32
	v_cndmask_b32_e64 v0, v34, v50, s22
	s_wait_dscnt 0x0
	v_dual_cndmask_b32 v2, v28, v30, s22 :: v_dual_cndmask_b32 v4, v30, v32, s22
	v_cndmask_b32_e64 v5, v31, v33, s22
	s_delay_alu instid0(VALU_DEP_3)
	v_cmpx_lt_u32_e64 v0, v48
	s_cbranch_execz .LBB1361_1168
; %bb.1159:
	v_dual_cndmask_b32 v22, v49, v34, s22 :: v_dual_cndmask_b32 v0, v32, v28, s22
	v_cndmask_b32_e64 v1, v33, v29, s22
	s_mov_b32 s12, exec_lo
	s_delay_alu instid0(VALU_DEP_2)
	v_cmpx_lt_u32_e64 v22, v47
	s_cbranch_execz .LBB1361_1167
; %bb.1160:
	s_and_not1_b32 vcc_lo, exec_lo, s26
	s_cbranch_vccnz .LBB1361_1166
; %bb.1161:
	v_mul_u64_e32 v[22:23], s[16:17], v[0:1]
	v_mul_u64_e32 v[24:25], s[16:17], v[4:5]
	s_mov_b32 s13, 0
	s_mov_b64 s[8:9], s[16:17]
                                        ; implicit-def: $sgpr14
                                        ; implicit-def: $sgpr15
                                        ; implicit-def: $sgpr22
                                        ; implicit-def: $sgpr23
	s_delay_alu instid0(VALU_DEP_2) | instskip(NEXT) | instid1(VALU_DEP_2)
	v_lshl_add_u64 v[22:23], v[22:23], 1, s[18:19]
	v_lshl_add_u64 v[24:25], v[24:25], 1, s[18:19]
	s_branch .LBB1361_1163
.LBB1361_1162:                          ;   in Loop: Header=BB1361_1163 Depth=1
	s_or_b32 exec_lo, exec_lo, s27
	s_delay_alu instid0(SALU_CYCLE_1) | instskip(NEXT) | instid1(SALU_CYCLE_1)
	s_and_b32 s27, exec_lo, s15
	s_or_b32 s13, s27, s13
	s_and_not1_b32 s23, s23, exec_lo
	s_and_b32 s7, s7, exec_lo
	s_and_not1_b32 s14, s14, exec_lo
	s_and_b32 s27, s22, exec_lo
	s_or_b32 s23, s23, s7
	s_or_b32 s14, s14, s27
	s_and_not1_b32 exec_lo, exec_lo, s13
	s_cbranch_execz .LBB1361_1165
.LBB1361_1163:                          ; =>This Inner Loop Header: Depth=1
	global_load_u16 v26, v[22:23], off
	global_load_u16 v27, v[24:25], off
	s_and_not1_b32 s22, s22, exec_lo
	s_or_b32 s15, s15, exec_lo
	s_wait_loadcnt 0x0
	v_cmp_le_u16_e32 vcc_lo, v26, v27
	v_cmp_lt_u16_e64 s7, v26, v27
	s_and_b32 s27, vcc_lo, s23
	s_delay_alu instid0(SALU_CYCLE_1) | instskip(NEXT) | instid1(SALU_CYCLE_1)
	s_or_b32 s7, s7, s27
	s_and_b32 s27, s7, exec_lo
	s_delay_alu instid0(SALU_CYCLE_1)
	s_or_b32 s22, s22, s27
	s_mov_b32 s27, exec_lo
	v_cmpx_eq_u16_e64 v26, v27
	s_cbranch_execz .LBB1361_1162
; %bb.1164:                             ;   in Loop: Header=BB1361_1163 Depth=1
	s_add_nc_u64 s[8:9], s[8:9], -1
	v_add_nc_u64_e32 v[22:23], 2, v[22:23]
	s_cmp_eq_u64 s[8:9], 0
	v_add_nc_u64_e32 v[24:25], 2, v[24:25]
	s_cselect_b32 s23, -1, 0
	s_and_not1_b32 s15, s15, exec_lo
	s_and_b32 s23, s23, exec_lo
	s_and_not1_b32 s22, s22, exec_lo
	s_or_b32 s15, s15, s23
                                        ; implicit-def: $sgpr23
	s_branch .LBB1361_1162
.LBB1361_1165:
	s_or_b32 exec_lo, exec_lo, s13
	v_dual_cndmask_b32 v5, v5, v1, s14 :: v_dual_cndmask_b32 v4, v4, v0, s14
.LBB1361_1166:
	s_delay_alu instid0(VALU_DEP_1)
	v_mov_b64_e32 v[0:1], v[4:5]
.LBB1361_1167:
	s_or_b32 exec_lo, exec_lo, s12
	s_delay_alu instid0(VALU_DEP_1)
	v_mov_b64_e32 v[4:5], v[0:1]
.LBB1361_1168:
	s_or_b32 exec_lo, exec_lo, s11
.LBB1361_1169:
	s_delay_alu instid0(SALU_CYCLE_1)
	s_or_b32 exec_lo, exec_lo, s10
	v_and_b32_e32 v26, 0xc0, v45
	s_mov_b32 s12, exec_lo
	; wave barrier
	ds_store_b128 v46, v[14:17]
	ds_store_b128 v46, v[10:13] offset:16
	v_or_b32_e32 v0, 32, v26
	v_lshl_add_u32 v25, v26, 3, v43
	ds_store_b128 v46, v[6:9] offset:32
	ds_store_b128 v46, v[2:5] offset:48
	; wave barrier
	v_min_u32_e32 v47, v44, v0
	v_and_b32_e32 v0, 56, v45
	s_delay_alu instid0(VALU_DEP_2) | instskip(NEXT) | instid1(VALU_DEP_2)
	v_add_min_u32_e64 v48, v47, 32, v44
	v_min_u32_e32 v27, v44, v0
	s_delay_alu instid0(VALU_DEP_2) | instskip(NEXT) | instid1(VALU_DEP_1)
	v_dual_sub_nc_u32 v1, v47, v26 :: v_dual_sub_nc_u32 v0, v48, v47
	v_min_u32_e32 v28, v27, v1
	s_delay_alu instid0(VALU_DEP_2) | instskip(NEXT) | instid1(VALU_DEP_1)
	v_sub_nc_u32_e64 v24, v27, v0 clamp
	v_cmpx_lt_u32_e64 v24, v28
	s_cbranch_execz .LBB1361_1179
; %bb.1170:
	v_lshlrev_b32_e32 v0, 3, v47
	v_lshlrev_b32_e32 v1, 3, v27
	s_lshl_b64 s[8:9], s[16:17], 1
	s_mov_b32 s13, 0
	s_delay_alu instid0(VALU_DEP_1)
	v_add3_u32 v29, v43, v0, v1
	s_branch .LBB1361_1173
.LBB1361_1171:                          ;   in Loop: Header=BB1361_1173 Depth=1
	s_or_b32 exec_lo, exec_lo, s15
.LBB1361_1172:                          ;   in Loop: Header=BB1361_1173 Depth=1
	s_delay_alu instid0(VALU_DEP_1) | instskip(NEXT) | instid1(VALU_DEP_1)
	v_dual_add_nc_u32 v0, 1, v30 :: v_dual_cndmask_b32 v28, v28, v30, s14
	v_cndmask_b32_e64 v24, v0, v24, s14
	s_delay_alu instid0(VALU_DEP_1) | instskip(SKIP_1) | instid1(SALU_CYCLE_1)
	v_cmp_ge_u32_e32 vcc_lo, v24, v28
	s_or_b32 s13, vcc_lo, s13
	s_and_not1_b32 exec_lo, exec_lo, s13
	s_cbranch_execz .LBB1361_1178
.LBB1361_1173:                          ; =>This Loop Header: Depth=1
                                        ;     Child Loop BB1361_1176 Depth 2
	v_add_nc_u32_e32 v0, v28, v24
	s_and_not1_b32 vcc_lo, exec_lo, s26
	s_mov_b32 s14, 0
	s_delay_alu instid0(VALU_DEP_1)
	v_lshrrev_b32_e32 v30, 1, v0
	s_cbranch_vccnz .LBB1361_1172
; %bb.1174:                             ;   in Loop: Header=BB1361_1173 Depth=1
	s_delay_alu instid0(VALU_DEP_1) | instskip(SKIP_3) | instid1(VALU_DEP_2)
	v_not_b32_e32 v0, v30
	v_lshl_add_u32 v1, v30, 3, v25
	s_mov_b32 s15, 0
	s_mov_b64 s[10:11], s[16:17]
                                        ; implicit-def: $sgpr14
                                        ; implicit-def: $sgpr22
                                        ; implicit-def: $sgpr23
                                        ; implicit-def: $sgpr27
	v_lshl_add_u32 v0, v0, 3, v29
	ds_load_b64 v[32:33], v0
	ds_load_b64 v[34:35], v1
	s_wait_dscnt 0x1
	v_mad_nc_u64_u32 v[0:1], s8, v32, s[18:19]
	s_wait_dscnt 0x0
	v_mad_nc_u64_u32 v[22:23], s8, v34, s[18:19]
	s_delay_alu instid0(VALU_DEP_2) | instskip(NEXT) | instid1(VALU_DEP_2)
	v_mad_u32 v1, s9, v32, v1
	v_mad_u32 v23, s9, v34, v23
	s_delay_alu instid0(VALU_DEP_2) | instskip(NEXT) | instid1(VALU_DEP_2)
	v_mad_u32 v1, s8, v33, v1
	v_mad_u32 v23, s8, v35, v23
	s_branch .LBB1361_1176
.LBB1361_1175:                          ;   in Loop: Header=BB1361_1176 Depth=2
	s_or_b32 exec_lo, exec_lo, s28
	s_delay_alu instid0(SALU_CYCLE_1) | instskip(NEXT) | instid1(SALU_CYCLE_1)
	s_and_b32 s28, exec_lo, s22
	s_or_b32 s15, s28, s15
	s_and_not1_b32 s27, s27, exec_lo
	s_and_b32 s7, s7, exec_lo
	s_and_not1_b32 s14, s14, exec_lo
	s_and_b32 s28, s23, exec_lo
	s_or_b32 s27, s27, s7
	s_or_b32 s14, s14, s28
	s_and_not1_b32 exec_lo, exec_lo, s15
	s_cbranch_execz .LBB1361_1171
.LBB1361_1176:                          ;   Parent Loop BB1361_1173 Depth=1
                                        ; =>  This Inner Loop Header: Depth=2
	global_load_u16 v31, v[0:1], off
	global_load_u16 v32, v[22:23], off
	s_and_not1_b32 s23, s23, exec_lo
	s_or_b32 s22, s22, exec_lo
	s_wait_loadcnt 0x0
	v_cmp_le_u16_e32 vcc_lo, v31, v32
	v_cmp_lt_u16_e64 s7, v31, v32
	s_and_b32 s28, vcc_lo, s27
	s_delay_alu instid0(SALU_CYCLE_1) | instskip(NEXT) | instid1(SALU_CYCLE_1)
	s_or_b32 s7, s7, s28
	s_and_b32 s28, s7, exec_lo
	s_delay_alu instid0(SALU_CYCLE_1)
	s_or_b32 s23, s23, s28
	s_mov_b32 s28, exec_lo
	v_cmpx_eq_u16_e64 v31, v32
	s_cbranch_execz .LBB1361_1175
; %bb.1177:                             ;   in Loop: Header=BB1361_1176 Depth=2
	s_add_nc_u64 s[10:11], s[10:11], -1
	v_add_nc_u64_e32 v[0:1], 2, v[0:1]
	s_cmp_eq_u64 s[10:11], 0
	v_add_nc_u64_e32 v[22:23], 2, v[22:23]
	s_cselect_b32 s27, -1, 0
	s_and_not1_b32 s22, s22, exec_lo
	s_and_b32 s27, s27, exec_lo
	s_and_not1_b32 s23, s23, exec_lo
	s_or_b32 s22, s22, s27
                                        ; implicit-def: $sgpr27
	s_branch .LBB1361_1175
.LBB1361_1178:
	s_or_b32 exec_lo, exec_lo, s13
.LBB1361_1179:
	s_delay_alu instid0(SALU_CYCLE_1) | instskip(SKIP_1) | instid1(VALU_DEP_1)
	s_or_b32 exec_lo, exec_lo, s12
	v_dual_add_nc_u32 v0, v47, v27 :: v_dual_add_nc_u32 v22, v24, v26
	v_sub_nc_u32_e32 v23, v0, v24
	s_delay_alu instid0(VALU_DEP_2) | instskip(NEXT) | instid1(VALU_DEP_2)
	v_cmp_le_u32_e32 vcc_lo, v22, v47
	v_cmp_le_u32_e64 s7, v23, v48
	s_or_b32 s7, vcc_lo, s7
	s_delay_alu instid0(SALU_CYCLE_1)
	s_and_saveexec_b32 s10, s7
	s_cbranch_execz .LBB1361_1270
; %bb.1180:
	s_mov_b32 s8, exec_lo
	v_cmp_ge_u32_e32 vcc_lo, v22, v47
                                        ; implicit-def: $vgpr0_vgpr1
	v_cmpx_lt_u32_e64 v22, v47
; %bb.1181:
	v_lshl_add_u32 v0, v24, 3, v25
	ds_load_b64 v[0:1], v0
; %bb.1182:
	s_or_b32 exec_lo, exec_lo, s8
	v_cmp_ge_u32_e64 s11, v23, v48
	s_mov_b32 s8, exec_lo
                                        ; implicit-def: $vgpr2_vgpr3
	v_cmpx_lt_u32_e64 v23, v48
; %bb.1183:
	v_lshl_add_u32 v2, v23, 3, v43
	ds_load_b64 v[2:3], v2
; %bb.1184:
	s_or_b32 exec_lo, exec_lo, s8
	s_nor_b32 s7, vcc_lo, s11
	s_delay_alu instid0(SALU_CYCLE_1)
	s_and_saveexec_b32 s12, s7
	s_cbranch_execz .LBB1361_1193
; %bb.1185:
	s_and_not1_b32 vcc_lo, exec_lo, s26
	s_cbranch_vccnz .LBB1361_1191
; %bb.1186:
	s_wait_dscnt 0x0
	v_mul_u64_e32 v[4:5], s[16:17], v[2:3]
	v_mul_u64_e32 v[6:7], s[16:17], v[0:1]
	s_mov_b32 s13, 0
	s_mov_b64 s[8:9], s[16:17]
                                        ; implicit-def: $sgpr14
                                        ; implicit-def: $sgpr15
                                        ; implicit-def: $sgpr22
                                        ; implicit-def: $sgpr23
	s_delay_alu instid0(VALU_DEP_2) | instskip(NEXT) | instid1(VALU_DEP_2)
	v_lshl_add_u64 v[4:5], v[4:5], 1, s[18:19]
	v_lshl_add_u64 v[6:7], v[6:7], 1, s[18:19]
	s_branch .LBB1361_1188
.LBB1361_1187:                          ;   in Loop: Header=BB1361_1188 Depth=1
	s_or_b32 exec_lo, exec_lo, s27
	s_delay_alu instid0(SALU_CYCLE_1) | instskip(NEXT) | instid1(SALU_CYCLE_1)
	s_and_b32 s27, exec_lo, s15
	s_or_b32 s13, s27, s13
	s_and_not1_b32 s23, s23, exec_lo
	s_and_b32 s7, s7, exec_lo
	s_and_not1_b32 s14, s14, exec_lo
	s_and_b32 s27, s22, exec_lo
	s_or_b32 s23, s23, s7
	s_or_b32 s14, s14, s27
	s_and_not1_b32 exec_lo, exec_lo, s13
	s_cbranch_execz .LBB1361_1190
.LBB1361_1188:                          ; =>This Inner Loop Header: Depth=1
	global_load_u16 v8, v[4:5], off
	global_load_u16 v9, v[6:7], off
	s_and_not1_b32 s22, s22, exec_lo
	s_or_b32 s15, s15, exec_lo
	s_wait_loadcnt 0x0
	v_cmp_le_u16_e32 vcc_lo, v8, v9
	v_cmp_lt_u16_e64 s7, v8, v9
	s_and_b32 s27, vcc_lo, s23
	s_delay_alu instid0(SALU_CYCLE_1) | instskip(NEXT) | instid1(SALU_CYCLE_1)
	s_or_b32 s7, s7, s27
	s_and_b32 s27, s7, exec_lo
	s_delay_alu instid0(SALU_CYCLE_1)
	s_or_b32 s22, s22, s27
	s_mov_b32 s27, exec_lo
	v_cmpx_eq_u16_e64 v8, v9
	s_cbranch_execz .LBB1361_1187
; %bb.1189:                             ;   in Loop: Header=BB1361_1188 Depth=1
	s_add_nc_u64 s[8:9], s[8:9], -1
	v_add_nc_u64_e32 v[4:5], 2, v[4:5]
	s_cmp_eq_u64 s[8:9], 0
	v_add_nc_u64_e32 v[6:7], 2, v[6:7]
	s_cselect_b32 s23, -1, 0
	s_and_not1_b32 s15, s15, exec_lo
	s_and_b32 s23, s23, exec_lo
	s_and_not1_b32 s22, s22, exec_lo
	s_or_b32 s15, s15, s23
                                        ; implicit-def: $sgpr23
	s_branch .LBB1361_1187
.LBB1361_1190:
	s_or_b32 exec_lo, exec_lo, s13
	s_xor_b32 s7, s14, -1
	s_branch .LBB1361_1192
.LBB1361_1191:
	s_mov_b32 s7, -1
.LBB1361_1192:
	s_and_not1_b32 s8, s11, exec_lo
	s_and_b32 s7, s7, exec_lo
	s_delay_alu instid0(SALU_CYCLE_1)
	s_or_b32 s11, s8, s7
.LBB1361_1193:
	s_or_b32 exec_lo, exec_lo, s12
	v_dual_cndmask_b32 v4, v23, v22, s11 :: v_dual_cndmask_b32 v5, v48, v47, s11
	s_mov_b32 s13, -1
	s_mov_b32 s12, -1
	s_mov_b32 s14, exec_lo
	s_delay_alu instid0(VALU_DEP_1) | instskip(NEXT) | instid1(VALU_DEP_1)
	v_add_nc_u32_e32 v4, 1, v4
	v_add_min_u32_e64 v5, v5, -1, v4
	s_delay_alu instid0(VALU_DEP_1)
	v_lshl_add_u32 v5, v5, 3, v43
	ds_load_b64 v[6:7], v5
	s_wait_dscnt 0x0
	v_cndmask_b32_e64 v5, v7, v3, s11
	v_dual_cndmask_b32 v10, v4, v23, s11 :: v_dual_cndmask_b32 v11, v22, v4, s11
	v_dual_cndmask_b32 v4, v6, v2, s11 :: v_dual_cndmask_b32 v15, v1, v7, s11
	v_cndmask_b32_e64 v14, v0, v6, s11
	s_delay_alu instid0(VALU_DEP_3)
	v_cmpx_lt_u32_e64 v10, v48
	s_cbranch_execz .LBB1361_1204
; %bb.1194:
	s_mov_b32 s7, 0
	s_mov_b32 s12, exec_lo
	v_cmpx_lt_u32_e64 v11, v47
	s_cbranch_execz .LBB1361_1203
; %bb.1195:
	s_and_not1_b32 vcc_lo, exec_lo, s26
	s_cbranch_vccnz .LBB1361_1201
; %bb.1196:
	v_mul_u64_e32 v[6:7], s[16:17], v[4:5]
	v_mul_u64_e32 v[8:9], s[16:17], v[14:15]
	s_mov_b32 s15, 0
	s_mov_b64 s[8:9], s[16:17]
                                        ; implicit-def: $sgpr22
                                        ; implicit-def: $sgpr23
                                        ; implicit-def: $sgpr27
                                        ; implicit-def: $sgpr28
	s_delay_alu instid0(VALU_DEP_2) | instskip(NEXT) | instid1(VALU_DEP_2)
	v_lshl_add_u64 v[6:7], v[6:7], 1, s[18:19]
	v_lshl_add_u64 v[8:9], v[8:9], 1, s[18:19]
	s_branch .LBB1361_1198
.LBB1361_1197:                          ;   in Loop: Header=BB1361_1198 Depth=1
	s_or_b32 exec_lo, exec_lo, s29
	s_delay_alu instid0(SALU_CYCLE_1) | instskip(NEXT) | instid1(SALU_CYCLE_1)
	s_and_b32 s29, exec_lo, s23
	s_or_b32 s15, s29, s15
	s_and_not1_b32 s28, s28, exec_lo
	s_and_b32 s7, s7, exec_lo
	s_and_not1_b32 s22, s22, exec_lo
	s_and_b32 s29, s27, exec_lo
	s_or_b32 s28, s28, s7
	s_or_b32 s22, s22, s29
	s_and_not1_b32 exec_lo, exec_lo, s15
	s_cbranch_execz .LBB1361_1200
.LBB1361_1198:                          ; =>This Inner Loop Header: Depth=1
	global_load_u16 v12, v[6:7], off
	global_load_u16 v13, v[8:9], off
	s_and_not1_b32 s27, s27, exec_lo
	s_or_b32 s23, s23, exec_lo
	s_wait_loadcnt 0x0
	v_cmp_le_u16_e32 vcc_lo, v12, v13
	v_cmp_lt_u16_e64 s7, v12, v13
	s_and_b32 s29, vcc_lo, s28
	s_delay_alu instid0(SALU_CYCLE_1) | instskip(NEXT) | instid1(SALU_CYCLE_1)
	s_or_b32 s7, s7, s29
	s_and_b32 s29, s7, exec_lo
	s_delay_alu instid0(SALU_CYCLE_1)
	s_or_b32 s27, s27, s29
	s_mov_b32 s29, exec_lo
	v_cmpx_eq_u16_e64 v12, v13
	s_cbranch_execz .LBB1361_1197
; %bb.1199:                             ;   in Loop: Header=BB1361_1198 Depth=1
	s_add_nc_u64 s[8:9], s[8:9], -1
	v_add_nc_u64_e32 v[6:7], 2, v[6:7]
	s_cmp_eq_u64 s[8:9], 0
	v_add_nc_u64_e32 v[8:9], 2, v[8:9]
	s_cselect_b32 s28, -1, 0
	s_and_not1_b32 s23, s23, exec_lo
	s_and_b32 s28, s28, exec_lo
	s_and_not1_b32 s27, s27, exec_lo
	s_or_b32 s23, s23, s28
                                        ; implicit-def: $sgpr28
	s_branch .LBB1361_1197
.LBB1361_1200:
	s_or_b32 exec_lo, exec_lo, s15
	s_xor_b32 s7, s22, -1
	s_branch .LBB1361_1202
.LBB1361_1201:
	s_mov_b32 s7, -1
.LBB1361_1202:
	s_delay_alu instid0(SALU_CYCLE_1)
	s_and_b32 s7, s7, exec_lo
.LBB1361_1203:
	s_or_b32 exec_lo, exec_lo, s12
	s_delay_alu instid0(SALU_CYCLE_1)
	s_or_not1_b32 s12, s7, exec_lo
.LBB1361_1204:
	s_or_b32 exec_lo, exec_lo, s14
	v_cndmask_b32_e64 v6, v10, v11, s12
	v_cndmask_b32_e64 v7, v48, v47, s12
	s_mov_b32 s14, exec_lo
	s_delay_alu instid0(VALU_DEP_2) | instskip(NEXT) | instid1(VALU_DEP_1)
	v_add_nc_u32_e32 v8, 1, v6
	v_add_min_u32_e64 v6, v7, -1, v8
	v_cndmask_b32_e64 v12, v8, v10, s12
	s_delay_alu instid0(VALU_DEP_2)
	v_lshl_add_u32 v6, v6, 3, v43
	ds_load_b64 v[6:7], v6
	s_wait_dscnt 0x0
	v_dual_cndmask_b32 v13, v11, v8, s12 :: v_dual_cndmask_b32 v16, v14, v6, s12
	v_dual_cndmask_b32 v11, v7, v5, s12 :: v_dual_cndmask_b32 v10, v6, v4, s12
	v_cndmask_b32_e64 v17, v15, v7, s12
	v_cmpx_lt_u32_e64 v12, v48
	s_cbranch_execz .LBB1361_1215
; %bb.1205:
	s_mov_b32 s7, 0
	s_mov_b32 s13, exec_lo
	v_cmpx_lt_u32_e64 v13, v47
	s_cbranch_execz .LBB1361_1214
; %bb.1206:
	s_and_not1_b32 vcc_lo, exec_lo, s26
	s_cbranch_vccnz .LBB1361_1212
; %bb.1207:
	v_mul_u64_e32 v[6:7], s[16:17], v[10:11]
	v_mul_u64_e32 v[8:9], s[16:17], v[16:17]
	s_mov_b32 s15, 0
	s_mov_b64 s[8:9], s[16:17]
                                        ; implicit-def: $sgpr22
                                        ; implicit-def: $sgpr23
                                        ; implicit-def: $sgpr27
                                        ; implicit-def: $sgpr28
	s_delay_alu instid0(VALU_DEP_2) | instskip(NEXT) | instid1(VALU_DEP_2)
	v_lshl_add_u64 v[6:7], v[6:7], 1, s[18:19]
	v_lshl_add_u64 v[8:9], v[8:9], 1, s[18:19]
	s_branch .LBB1361_1209
.LBB1361_1208:                          ;   in Loop: Header=BB1361_1209 Depth=1
	s_or_b32 exec_lo, exec_lo, s29
	s_delay_alu instid0(SALU_CYCLE_1) | instskip(NEXT) | instid1(SALU_CYCLE_1)
	s_and_b32 s29, exec_lo, s23
	s_or_b32 s15, s29, s15
	s_and_not1_b32 s28, s28, exec_lo
	s_and_b32 s7, s7, exec_lo
	s_and_not1_b32 s22, s22, exec_lo
	s_and_b32 s29, s27, exec_lo
	s_or_b32 s28, s28, s7
	s_or_b32 s22, s22, s29
	s_and_not1_b32 exec_lo, exec_lo, s15
	s_cbranch_execz .LBB1361_1211
.LBB1361_1209:                          ; =>This Inner Loop Header: Depth=1
	global_load_u16 v22, v[6:7], off
	global_load_u16 v23, v[8:9], off
	s_and_not1_b32 s27, s27, exec_lo
	s_or_b32 s23, s23, exec_lo
	s_wait_loadcnt 0x0
	v_cmp_le_u16_e32 vcc_lo, v22, v23
	v_cmp_lt_u16_e64 s7, v22, v23
	s_and_b32 s29, vcc_lo, s28
	s_delay_alu instid0(SALU_CYCLE_1) | instskip(NEXT) | instid1(SALU_CYCLE_1)
	s_or_b32 s7, s7, s29
	s_and_b32 s29, s7, exec_lo
	s_delay_alu instid0(SALU_CYCLE_1)
	s_or_b32 s27, s27, s29
	s_mov_b32 s29, exec_lo
	v_cmpx_eq_u16_e64 v22, v23
	s_cbranch_execz .LBB1361_1208
; %bb.1210:                             ;   in Loop: Header=BB1361_1209 Depth=1
	s_add_nc_u64 s[8:9], s[8:9], -1
	v_add_nc_u64_e32 v[6:7], 2, v[6:7]
	s_cmp_eq_u64 s[8:9], 0
	v_add_nc_u64_e32 v[8:9], 2, v[8:9]
	s_cselect_b32 s28, -1, 0
	s_and_not1_b32 s23, s23, exec_lo
	s_and_b32 s28, s28, exec_lo
	s_and_not1_b32 s27, s27, exec_lo
	s_or_b32 s23, s23, s28
                                        ; implicit-def: $sgpr28
	s_branch .LBB1361_1208
.LBB1361_1211:
	s_or_b32 exec_lo, exec_lo, s15
	s_xor_b32 s7, s22, -1
	s_branch .LBB1361_1213
.LBB1361_1212:
	s_mov_b32 s7, -1
.LBB1361_1213:
	s_delay_alu instid0(SALU_CYCLE_1)
	s_and_b32 s7, s7, exec_lo
.LBB1361_1214:
	s_or_b32 exec_lo, exec_lo, s13
	s_delay_alu instid0(SALU_CYCLE_1)
	s_or_not1_b32 s13, s7, exec_lo
.LBB1361_1215:
	s_or_b32 exec_lo, exec_lo, s14
	v_cndmask_b32_e64 v6, v12, v13, s13
	v_cndmask_b32_e64 v7, v48, v47, s13
	s_mov_b32 s15, -1
	s_mov_b32 s14, -1
	s_mov_b32 s22, exec_lo
	v_add_nc_u32_e32 v8, 1, v6
	s_delay_alu instid0(VALU_DEP_1) | instskip(SKIP_1) | instid1(VALU_DEP_2)
	v_add_min_u32_e64 v6, v7, -1, v8
	v_cndmask_b32_e64 v25, v13, v8, s13
	v_lshl_add_u32 v6, v6, 3, v43
	ds_load_b64 v[6:7], v6
	s_wait_dscnt 0x0
	v_dual_cndmask_b32 v24, v8, v12, s13 :: v_dual_cndmask_b32 v13, v7, v11, s13
	v_dual_cndmask_b32 v12, v6, v10, s13 :: v_dual_cndmask_b32 v23, v17, v7, s13
	v_cndmask_b32_e64 v22, v16, v6, s13
	s_delay_alu instid0(VALU_DEP_3)
	v_cmpx_lt_u32_e64 v24, v48
	s_cbranch_execz .LBB1361_1226
; %bb.1216:
	s_mov_b32 s7, 0
	s_mov_b32 s14, exec_lo
	v_cmpx_lt_u32_e64 v25, v47
	s_cbranch_execz .LBB1361_1225
; %bb.1217:
	s_and_not1_b32 vcc_lo, exec_lo, s26
	s_cbranch_vccnz .LBB1361_1223
; %bb.1218:
	v_mul_u64_e32 v[6:7], s[16:17], v[12:13]
	v_mul_u64_e32 v[8:9], s[16:17], v[22:23]
	s_mov_b32 s23, 0
	s_mov_b64 s[8:9], s[16:17]
                                        ; implicit-def: $sgpr27
                                        ; implicit-def: $sgpr28
                                        ; implicit-def: $sgpr29
                                        ; implicit-def: $sgpr30
	s_delay_alu instid0(VALU_DEP_2) | instskip(NEXT) | instid1(VALU_DEP_2)
	v_lshl_add_u64 v[6:7], v[6:7], 1, s[18:19]
	v_lshl_add_u64 v[8:9], v[8:9], 1, s[18:19]
	s_branch .LBB1361_1220
.LBB1361_1219:                          ;   in Loop: Header=BB1361_1220 Depth=1
	s_or_b32 exec_lo, exec_lo, s31
	s_delay_alu instid0(SALU_CYCLE_1) | instskip(NEXT) | instid1(SALU_CYCLE_1)
	s_and_b32 s31, exec_lo, s28
	s_or_b32 s23, s31, s23
	s_and_not1_b32 s30, s30, exec_lo
	s_and_b32 s7, s7, exec_lo
	s_and_not1_b32 s27, s27, exec_lo
	s_and_b32 s31, s29, exec_lo
	s_or_b32 s30, s30, s7
	s_or_b32 s27, s27, s31
	s_and_not1_b32 exec_lo, exec_lo, s23
	s_cbranch_execz .LBB1361_1222
.LBB1361_1220:                          ; =>This Inner Loop Header: Depth=1
	global_load_u16 v26, v[6:7], off
	global_load_u16 v27, v[8:9], off
	s_and_not1_b32 s29, s29, exec_lo
	s_or_b32 s28, s28, exec_lo
	s_wait_loadcnt 0x0
	v_cmp_le_u16_e32 vcc_lo, v26, v27
	v_cmp_lt_u16_e64 s7, v26, v27
	s_and_b32 s31, vcc_lo, s30
	s_delay_alu instid0(SALU_CYCLE_1) | instskip(NEXT) | instid1(SALU_CYCLE_1)
	s_or_b32 s7, s7, s31
	s_and_b32 s31, s7, exec_lo
	s_delay_alu instid0(SALU_CYCLE_1)
	s_or_b32 s29, s29, s31
	s_mov_b32 s31, exec_lo
	v_cmpx_eq_u16_e64 v26, v27
	s_cbranch_execz .LBB1361_1219
; %bb.1221:                             ;   in Loop: Header=BB1361_1220 Depth=1
	s_add_nc_u64 s[8:9], s[8:9], -1
	v_add_nc_u64_e32 v[6:7], 2, v[6:7]
	s_cmp_eq_u64 s[8:9], 0
	v_add_nc_u64_e32 v[8:9], 2, v[8:9]
	s_cselect_b32 s30, -1, 0
	s_and_not1_b32 s28, s28, exec_lo
	s_and_b32 s30, s30, exec_lo
	s_and_not1_b32 s29, s29, exec_lo
	s_or_b32 s28, s28, s30
                                        ; implicit-def: $sgpr30
	s_branch .LBB1361_1219
.LBB1361_1222:
	s_or_b32 exec_lo, exec_lo, s23
	s_xor_b32 s7, s27, -1
	s_branch .LBB1361_1224
.LBB1361_1223:
	s_mov_b32 s7, -1
.LBB1361_1224:
	s_delay_alu instid0(SALU_CYCLE_1)
	s_and_b32 s7, s7, exec_lo
.LBB1361_1225:
	s_or_b32 exec_lo, exec_lo, s14
	s_delay_alu instid0(SALU_CYCLE_1)
	s_or_not1_b32 s14, s7, exec_lo
.LBB1361_1226:
	s_or_b32 exec_lo, exec_lo, s22
	v_cndmask_b32_e64 v6, v24, v25, s14
	v_cndmask_b32_e64 v7, v48, v47, s14
	s_mov_b32 s22, exec_lo
	s_delay_alu instid0(VALU_DEP_2) | instskip(NEXT) | instid1(VALU_DEP_1)
	v_add_nc_u32_e32 v6, 1, v6
	v_add_min_u32_e64 v7, v7, -1, v6
	v_dual_cndmask_b32 v28, v6, v24, s14 :: v_dual_cndmask_b32 v29, v25, v6, s14
	s_delay_alu instid0(VALU_DEP_2)
	v_lshl_add_u32 v7, v7, 3, v43
	ds_load_b64 v[8:9], v7
	s_wait_dscnt 0x0
	v_dual_cndmask_b32 v7, v9, v13, s14 :: v_dual_cndmask_b32 v6, v8, v12, s14
	v_dual_cndmask_b32 v25, v23, v9, s14 :: v_dual_cndmask_b32 v24, v22, v8, s14
	v_cmpx_lt_u32_e64 v28, v48
	s_cbranch_execz .LBB1361_1237
; %bb.1227:
	s_mov_b32 s7, 0
	s_mov_b32 s15, exec_lo
	v_cmpx_lt_u32_e64 v29, v47
	s_cbranch_execz .LBB1361_1236
; %bb.1228:
	s_and_not1_b32 vcc_lo, exec_lo, s26
	s_cbranch_vccnz .LBB1361_1234
; %bb.1229:
	v_mul_u64_e32 v[8:9], s[16:17], v[6:7]
	v_mul_u64_e32 v[26:27], s[16:17], v[24:25]
	s_mov_b32 s23, 0
	s_mov_b64 s[8:9], s[16:17]
                                        ; implicit-def: $sgpr27
                                        ; implicit-def: $sgpr28
                                        ; implicit-def: $sgpr29
                                        ; implicit-def: $sgpr30
	s_delay_alu instid0(VALU_DEP_2) | instskip(NEXT) | instid1(VALU_DEP_2)
	v_lshl_add_u64 v[8:9], v[8:9], 1, s[18:19]
	v_lshl_add_u64 v[26:27], v[26:27], 1, s[18:19]
	s_branch .LBB1361_1231
.LBB1361_1230:                          ;   in Loop: Header=BB1361_1231 Depth=1
	s_or_b32 exec_lo, exec_lo, s31
	s_delay_alu instid0(SALU_CYCLE_1) | instskip(NEXT) | instid1(SALU_CYCLE_1)
	s_and_b32 s31, exec_lo, s28
	s_or_b32 s23, s31, s23
	s_and_not1_b32 s30, s30, exec_lo
	s_and_b32 s7, s7, exec_lo
	s_and_not1_b32 s27, s27, exec_lo
	s_and_b32 s31, s29, exec_lo
	s_or_b32 s30, s30, s7
	s_or_b32 s27, s27, s31
	s_and_not1_b32 exec_lo, exec_lo, s23
	s_cbranch_execz .LBB1361_1233
.LBB1361_1231:                          ; =>This Inner Loop Header: Depth=1
	global_load_u16 v30, v[8:9], off
	global_load_u16 v31, v[26:27], off
	s_and_not1_b32 s29, s29, exec_lo
	s_or_b32 s28, s28, exec_lo
	s_wait_loadcnt 0x0
	v_cmp_le_u16_e32 vcc_lo, v30, v31
	v_cmp_lt_u16_e64 s7, v30, v31
	s_and_b32 s31, vcc_lo, s30
	s_delay_alu instid0(SALU_CYCLE_1) | instskip(NEXT) | instid1(SALU_CYCLE_1)
	s_or_b32 s7, s7, s31
	s_and_b32 s31, s7, exec_lo
	s_delay_alu instid0(SALU_CYCLE_1)
	s_or_b32 s29, s29, s31
	s_mov_b32 s31, exec_lo
	v_cmpx_eq_u16_e64 v30, v31
	s_cbranch_execz .LBB1361_1230
; %bb.1232:                             ;   in Loop: Header=BB1361_1231 Depth=1
	s_add_nc_u64 s[8:9], s[8:9], -1
	v_add_nc_u64_e32 v[8:9], 2, v[8:9]
	s_cmp_eq_u64 s[8:9], 0
	v_add_nc_u64_e32 v[26:27], 2, v[26:27]
	s_cselect_b32 s30, -1, 0
	s_and_not1_b32 s28, s28, exec_lo
	s_and_b32 s30, s30, exec_lo
	s_and_not1_b32 s29, s29, exec_lo
	s_or_b32 s28, s28, s30
                                        ; implicit-def: $sgpr30
	s_branch .LBB1361_1230
.LBB1361_1233:
	s_or_b32 exec_lo, exec_lo, s23
	s_xor_b32 s7, s27, -1
	s_branch .LBB1361_1235
.LBB1361_1234:
	s_mov_b32 s7, -1
.LBB1361_1235:
	s_delay_alu instid0(SALU_CYCLE_1)
	s_and_b32 s7, s7, exec_lo
.LBB1361_1236:
	s_or_b32 exec_lo, exec_lo, s15
	s_delay_alu instid0(SALU_CYCLE_1)
	s_or_not1_b32 s15, s7, exec_lo
.LBB1361_1237:
	s_or_b32 exec_lo, exec_lo, s22
	v_cndmask_b32_e64 v8, v28, v29, s15
	v_cndmask_b32_e64 v9, v48, v47, s15
	s_mov_b32 s22, -1
	s_mov_b32 s23, -1
	s_mov_b32 s27, exec_lo
	v_add_nc_u32_e32 v8, 1, v8
	s_delay_alu instid0(VALU_DEP_1) | instskip(NEXT) | instid1(VALU_DEP_1)
	v_add_min_u32_e64 v9, v9, -1, v8
	v_lshl_add_u32 v9, v9, 3, v43
	ds_load_b64 v[26:27], v9
	v_cndmask_b32_e64 v32, v8, v28, s15
	s_wait_dscnt 0x0
	v_dual_cndmask_b32 v33, v29, v8, s15 :: v_dual_cndmask_b32 v9, v27, v7, s15
	v_dual_cndmask_b32 v8, v26, v6, s15 :: v_dual_cndmask_b32 v27, v25, v27, s15
	v_cndmask_b32_e64 v26, v24, v26, s15
	v_cmpx_lt_u32_e64 v32, v48
	s_cbranch_execz .LBB1361_1248
; %bb.1238:
	s_mov_b32 s7, 0
	s_mov_b32 s23, exec_lo
	v_cmpx_lt_u32_e64 v33, v47
	s_cbranch_execz .LBB1361_1247
; %bb.1239:
	s_and_not1_b32 vcc_lo, exec_lo, s26
	s_cbranch_vccnz .LBB1361_1245
; %bb.1240:
	v_mul_u64_e32 v[28:29], s[16:17], v[8:9]
	v_mul_u64_e32 v[30:31], s[16:17], v[26:27]
	s_mov_b32 s28, 0
	s_mov_b64 s[8:9], s[16:17]
                                        ; implicit-def: $sgpr29
                                        ; implicit-def: $sgpr30
                                        ; implicit-def: $sgpr31
                                        ; implicit-def: $sgpr33
	s_delay_alu instid0(VALU_DEP_2) | instskip(NEXT) | instid1(VALU_DEP_2)
	v_lshl_add_u64 v[28:29], v[28:29], 1, s[18:19]
	v_lshl_add_u64 v[30:31], v[30:31], 1, s[18:19]
	s_branch .LBB1361_1242
.LBB1361_1241:                          ;   in Loop: Header=BB1361_1242 Depth=1
	s_or_b32 exec_lo, exec_lo, s34
	s_delay_alu instid0(SALU_CYCLE_1) | instskip(NEXT) | instid1(SALU_CYCLE_1)
	s_and_b32 s34, exec_lo, s30
	s_or_b32 s28, s34, s28
	s_and_not1_b32 s33, s33, exec_lo
	s_and_b32 s7, s7, exec_lo
	s_and_not1_b32 s29, s29, exec_lo
	s_and_b32 s34, s31, exec_lo
	s_or_b32 s33, s33, s7
	s_or_b32 s29, s29, s34
	s_and_not1_b32 exec_lo, exec_lo, s28
	s_cbranch_execz .LBB1361_1244
.LBB1361_1242:                          ; =>This Inner Loop Header: Depth=1
	global_load_u16 v34, v[28:29], off
	global_load_u16 v35, v[30:31], off
	s_and_not1_b32 s31, s31, exec_lo
	s_or_b32 s30, s30, exec_lo
	s_wait_loadcnt 0x0
	v_cmp_le_u16_e32 vcc_lo, v34, v35
	v_cmp_lt_u16_e64 s7, v34, v35
	s_and_b32 s34, vcc_lo, s33
	s_delay_alu instid0(SALU_CYCLE_1) | instskip(NEXT) | instid1(SALU_CYCLE_1)
	s_or_b32 s7, s7, s34
	s_and_b32 s34, s7, exec_lo
	s_delay_alu instid0(SALU_CYCLE_1)
	s_or_b32 s31, s31, s34
	s_mov_b32 s34, exec_lo
	v_cmpx_eq_u16_e64 v34, v35
	s_cbranch_execz .LBB1361_1241
; %bb.1243:                             ;   in Loop: Header=BB1361_1242 Depth=1
	s_add_nc_u64 s[8:9], s[8:9], -1
	v_add_nc_u64_e32 v[28:29], 2, v[28:29]
	s_cmp_eq_u64 s[8:9], 0
	v_add_nc_u64_e32 v[30:31], 2, v[30:31]
	s_cselect_b32 s33, -1, 0
	s_and_not1_b32 s30, s30, exec_lo
	s_and_b32 s33, s33, exec_lo
	s_and_not1_b32 s31, s31, exec_lo
	s_or_b32 s30, s30, s33
                                        ; implicit-def: $sgpr33
	s_branch .LBB1361_1241
.LBB1361_1244:
	s_or_b32 exec_lo, exec_lo, s28
	s_xor_b32 s7, s29, -1
	s_branch .LBB1361_1246
.LBB1361_1245:
	s_mov_b32 s7, -1
.LBB1361_1246:
	s_delay_alu instid0(SALU_CYCLE_1)
	s_and_b32 s7, s7, exec_lo
.LBB1361_1247:
	s_or_b32 exec_lo, exec_lo, s23
	s_delay_alu instid0(SALU_CYCLE_1)
	s_or_not1_b32 s23, s7, exec_lo
.LBB1361_1248:
	s_or_b32 exec_lo, exec_lo, s27
	v_cndmask_b32_e64 v28, v32, v33, s23
	v_cndmask_b32_e64 v29, v48, v47, s23
	s_mov_b32 s27, exec_lo
	s_delay_alu instid0(VALU_DEP_2) | instskip(NEXT) | instid1(VALU_DEP_1)
	v_add_nc_u32_e32 v28, 1, v28
	v_add_min_u32_e64 v29, v29, -1, v28
	s_delay_alu instid0(VALU_DEP_1)
	v_lshl_add_u32 v29, v29, 3, v43
	ds_load_b64 v[30:31], v29
	v_cndmask_b32_e64 v50, v28, v32, s23
	s_wait_dscnt 0x0
	v_dual_cndmask_b32 v49, v33, v28, s23 :: v_dual_cndmask_b32 v29, v31, v9, s23
	v_dual_cndmask_b32 v28, v30, v8, s23 :: v_dual_cndmask_b32 v31, v27, v31, s23
	v_cndmask_b32_e64 v30, v26, v30, s23
	v_cmpx_lt_u32_e64 v50, v48
	s_cbranch_execz .LBB1361_1259
; %bb.1249:
	s_mov_b32 s7, 0
	s_mov_b32 s22, exec_lo
	v_cmpx_lt_u32_e64 v49, v47
	s_cbranch_execz .LBB1361_1258
; %bb.1250:
	s_and_not1_b32 vcc_lo, exec_lo, s26
	s_cbranch_vccnz .LBB1361_1256
; %bb.1251:
	v_mul_u64_e32 v[32:33], s[16:17], v[28:29]
	v_mul_u64_e32 v[34:35], s[16:17], v[30:31]
	s_mov_b32 s28, 0
	s_mov_b64 s[8:9], s[16:17]
                                        ; implicit-def: $sgpr29
                                        ; implicit-def: $sgpr30
                                        ; implicit-def: $sgpr31
                                        ; implicit-def: $sgpr33
	s_delay_alu instid0(VALU_DEP_2) | instskip(NEXT) | instid1(VALU_DEP_2)
	v_lshl_add_u64 v[32:33], v[32:33], 1, s[18:19]
	v_lshl_add_u64 v[34:35], v[34:35], 1, s[18:19]
	s_branch .LBB1361_1253
.LBB1361_1252:                          ;   in Loop: Header=BB1361_1253 Depth=1
	s_or_b32 exec_lo, exec_lo, s34
	s_delay_alu instid0(SALU_CYCLE_1) | instskip(NEXT) | instid1(SALU_CYCLE_1)
	s_and_b32 s34, exec_lo, s30
	s_or_b32 s28, s34, s28
	s_and_not1_b32 s33, s33, exec_lo
	s_and_b32 s7, s7, exec_lo
	s_and_not1_b32 s29, s29, exec_lo
	s_and_b32 s34, s31, exec_lo
	s_or_b32 s33, s33, s7
	s_or_b32 s29, s29, s34
	s_and_not1_b32 exec_lo, exec_lo, s28
	s_cbranch_execz .LBB1361_1255
.LBB1361_1253:                          ; =>This Inner Loop Header: Depth=1
	global_load_u16 v51, v[32:33], off
	global_load_u16 v52, v[34:35], off
	s_and_not1_b32 s31, s31, exec_lo
	s_or_b32 s30, s30, exec_lo
	s_wait_loadcnt 0x0
	v_cmp_le_u16_e32 vcc_lo, v51, v52
	v_cmp_lt_u16_e64 s7, v51, v52
	s_and_b32 s34, vcc_lo, s33
	s_delay_alu instid0(SALU_CYCLE_1) | instskip(NEXT) | instid1(SALU_CYCLE_1)
	s_or_b32 s7, s7, s34
	s_and_b32 s34, s7, exec_lo
	s_delay_alu instid0(SALU_CYCLE_1)
	s_or_b32 s31, s31, s34
	s_mov_b32 s34, exec_lo
	v_cmpx_eq_u16_e64 v51, v52
	s_cbranch_execz .LBB1361_1252
; %bb.1254:                             ;   in Loop: Header=BB1361_1253 Depth=1
	s_add_nc_u64 s[8:9], s[8:9], -1
	v_add_nc_u64_e32 v[32:33], 2, v[32:33]
	s_cmp_eq_u64 s[8:9], 0
	v_add_nc_u64_e32 v[34:35], 2, v[34:35]
	s_cselect_b32 s33, -1, 0
	s_and_not1_b32 s30, s30, exec_lo
	s_and_b32 s33, s33, exec_lo
	s_and_not1_b32 s31, s31, exec_lo
	s_or_b32 s30, s30, s33
                                        ; implicit-def: $sgpr33
	s_branch .LBB1361_1252
.LBB1361_1255:
	s_or_b32 exec_lo, exec_lo, s28
	s_xor_b32 s7, s29, -1
	s_branch .LBB1361_1257
.LBB1361_1256:
	s_mov_b32 s7, -1
.LBB1361_1257:
	s_delay_alu instid0(SALU_CYCLE_1)
	s_and_b32 s7, s7, exec_lo
.LBB1361_1258:
	s_or_b32 exec_lo, exec_lo, s22
	s_delay_alu instid0(SALU_CYCLE_1)
	s_or_not1_b32 s22, s7, exec_lo
.LBB1361_1259:
	s_or_b32 exec_lo, exec_lo, s27
	v_dual_cndmask_b32 v32, v50, v49, s22 :: v_dual_cndmask_b32 v33, v48, v47, s22
	v_dual_cndmask_b32 v8, v8, v26, s23 :: v_dual_cndmask_b32 v7, v7, v25, s15
	;; [unrolled: 1-line block ×3, first 2 shown]
	s_delay_alu instid0(VALU_DEP_3) | instskip(SKIP_2) | instid1(VALU_DEP_3)
	v_dual_add_nc_u32 v34, 1, v32 :: v_dual_cndmask_b32 v9, v9, v27, s23
	v_dual_cndmask_b32 v12, v12, v22, s14 :: v_dual_cndmask_b32 v11, v11, v17, s13
	v_dual_cndmask_b32 v10, v10, v16, s13 :: v_dual_cndmask_b32 v17, v5, v15, s12
	v_add_min_u32_e64 v32, v33, -1, v34
	v_dual_cndmask_b32 v16, v4, v14, s12 :: v_dual_cndmask_b32 v15, v3, v1, s11
	v_dual_cndmask_b32 v14, v2, v0, s11 :: v_dual_cndmask_b32 v3, v29, v31, s22
	s_delay_alu instid0(VALU_DEP_3)
	v_lshl_add_u32 v32, v32, 3, v43
	s_mov_b32 s11, exec_lo
	ds_load_b64 v[32:33], v32
	v_cndmask_b32_e64 v0, v34, v50, s22
	s_wait_dscnt 0x0
	v_dual_cndmask_b32 v2, v28, v30, s22 :: v_dual_cndmask_b32 v4, v30, v32, s22
	v_cndmask_b32_e64 v5, v31, v33, s22
	s_delay_alu instid0(VALU_DEP_3)
	v_cmpx_lt_u32_e64 v0, v48
	s_cbranch_execz .LBB1361_1269
; %bb.1260:
	v_dual_cndmask_b32 v22, v49, v34, s22 :: v_dual_cndmask_b32 v0, v32, v28, s22
	v_cndmask_b32_e64 v1, v33, v29, s22
	s_mov_b32 s12, exec_lo
	s_delay_alu instid0(VALU_DEP_2)
	v_cmpx_lt_u32_e64 v22, v47
	s_cbranch_execz .LBB1361_1268
; %bb.1261:
	s_and_not1_b32 vcc_lo, exec_lo, s26
	s_cbranch_vccnz .LBB1361_1267
; %bb.1262:
	v_mul_u64_e32 v[22:23], s[16:17], v[0:1]
	v_mul_u64_e32 v[24:25], s[16:17], v[4:5]
	s_mov_b32 s13, 0
	s_mov_b64 s[8:9], s[16:17]
                                        ; implicit-def: $sgpr14
                                        ; implicit-def: $sgpr15
                                        ; implicit-def: $sgpr22
                                        ; implicit-def: $sgpr23
	s_delay_alu instid0(VALU_DEP_2) | instskip(NEXT) | instid1(VALU_DEP_2)
	v_lshl_add_u64 v[22:23], v[22:23], 1, s[18:19]
	v_lshl_add_u64 v[24:25], v[24:25], 1, s[18:19]
	s_branch .LBB1361_1264
.LBB1361_1263:                          ;   in Loop: Header=BB1361_1264 Depth=1
	s_or_b32 exec_lo, exec_lo, s27
	s_delay_alu instid0(SALU_CYCLE_1) | instskip(NEXT) | instid1(SALU_CYCLE_1)
	s_and_b32 s27, exec_lo, s15
	s_or_b32 s13, s27, s13
	s_and_not1_b32 s23, s23, exec_lo
	s_and_b32 s7, s7, exec_lo
	s_and_not1_b32 s14, s14, exec_lo
	s_and_b32 s27, s22, exec_lo
	s_or_b32 s23, s23, s7
	s_or_b32 s14, s14, s27
	s_and_not1_b32 exec_lo, exec_lo, s13
	s_cbranch_execz .LBB1361_1266
.LBB1361_1264:                          ; =>This Inner Loop Header: Depth=1
	global_load_u16 v26, v[22:23], off
	global_load_u16 v27, v[24:25], off
	s_and_not1_b32 s22, s22, exec_lo
	s_or_b32 s15, s15, exec_lo
	s_wait_loadcnt 0x0
	v_cmp_le_u16_e32 vcc_lo, v26, v27
	v_cmp_lt_u16_e64 s7, v26, v27
	s_and_b32 s27, vcc_lo, s23
	s_delay_alu instid0(SALU_CYCLE_1) | instskip(NEXT) | instid1(SALU_CYCLE_1)
	s_or_b32 s7, s7, s27
	s_and_b32 s27, s7, exec_lo
	s_delay_alu instid0(SALU_CYCLE_1)
	s_or_b32 s22, s22, s27
	s_mov_b32 s27, exec_lo
	v_cmpx_eq_u16_e64 v26, v27
	s_cbranch_execz .LBB1361_1263
; %bb.1265:                             ;   in Loop: Header=BB1361_1264 Depth=1
	s_add_nc_u64 s[8:9], s[8:9], -1
	v_add_nc_u64_e32 v[22:23], 2, v[22:23]
	s_cmp_eq_u64 s[8:9], 0
	v_add_nc_u64_e32 v[24:25], 2, v[24:25]
	s_cselect_b32 s23, -1, 0
	s_and_not1_b32 s15, s15, exec_lo
	s_and_b32 s23, s23, exec_lo
	s_and_not1_b32 s22, s22, exec_lo
	s_or_b32 s15, s15, s23
                                        ; implicit-def: $sgpr23
	s_branch .LBB1361_1263
.LBB1361_1266:
	s_or_b32 exec_lo, exec_lo, s13
	v_dual_cndmask_b32 v5, v5, v1, s14 :: v_dual_cndmask_b32 v4, v4, v0, s14
.LBB1361_1267:
	s_delay_alu instid0(VALU_DEP_1)
	v_mov_b64_e32 v[0:1], v[4:5]
.LBB1361_1268:
	s_or_b32 exec_lo, exec_lo, s12
	s_delay_alu instid0(VALU_DEP_1)
	v_mov_b64_e32 v[4:5], v[0:1]
.LBB1361_1269:
	s_or_b32 exec_lo, exec_lo, s11
.LBB1361_1270:
	s_delay_alu instid0(SALU_CYCLE_1)
	s_or_b32 exec_lo, exec_lo, s10
	v_and_b32_e32 v26, 0x80, v45
	s_mov_b32 s12, exec_lo
	; wave barrier
	ds_store_b128 v46, v[14:17]
	ds_store_b128 v46, v[10:13] offset:16
	v_or_b32_e32 v0, 64, v26
	v_lshl_add_u32 v25, v26, 3, v43
	ds_store_b128 v46, v[6:9] offset:32
	ds_store_b128 v46, v[2:5] offset:48
	; wave barrier
	v_min_u32_e32 v47, v44, v0
	v_and_b32_e32 v0, 0x78, v45
	s_delay_alu instid0(VALU_DEP_2) | instskip(NEXT) | instid1(VALU_DEP_2)
	v_add_min_u32_e64 v45, v47, 64, v44
	v_min_u32_e32 v27, v44, v0
	s_delay_alu instid0(VALU_DEP_2) | instskip(NEXT) | instid1(VALU_DEP_1)
	v_dual_sub_nc_u32 v1, v47, v26 :: v_dual_sub_nc_u32 v0, v45, v47
	v_min_u32_e32 v28, v27, v1
	s_delay_alu instid0(VALU_DEP_2) | instskip(NEXT) | instid1(VALU_DEP_1)
	v_sub_nc_u32_e64 v24, v27, v0 clamp
	v_cmpx_lt_u32_e64 v24, v28
	s_cbranch_execz .LBB1361_1280
; %bb.1271:
	v_lshlrev_b32_e32 v0, 3, v47
	v_lshlrev_b32_e32 v1, 3, v27
	s_lshl_b64 s[8:9], s[16:17], 1
	s_mov_b32 s13, 0
	s_delay_alu instid0(VALU_DEP_1)
	v_add3_u32 v29, v43, v0, v1
	s_branch .LBB1361_1274
.LBB1361_1272:                          ;   in Loop: Header=BB1361_1274 Depth=1
	s_or_b32 exec_lo, exec_lo, s15
.LBB1361_1273:                          ;   in Loop: Header=BB1361_1274 Depth=1
	s_delay_alu instid0(VALU_DEP_1) | instskip(NEXT) | instid1(VALU_DEP_1)
	v_dual_add_nc_u32 v0, 1, v30 :: v_dual_cndmask_b32 v28, v28, v30, s14
	v_cndmask_b32_e64 v24, v0, v24, s14
	s_delay_alu instid0(VALU_DEP_1) | instskip(SKIP_1) | instid1(SALU_CYCLE_1)
	v_cmp_ge_u32_e32 vcc_lo, v24, v28
	s_or_b32 s13, vcc_lo, s13
	s_and_not1_b32 exec_lo, exec_lo, s13
	s_cbranch_execz .LBB1361_1279
.LBB1361_1274:                          ; =>This Loop Header: Depth=1
                                        ;     Child Loop BB1361_1277 Depth 2
	v_add_nc_u32_e32 v0, v28, v24
	s_and_not1_b32 vcc_lo, exec_lo, s26
	s_mov_b32 s14, 0
	s_delay_alu instid0(VALU_DEP_1)
	v_lshrrev_b32_e32 v30, 1, v0
	s_cbranch_vccnz .LBB1361_1273
; %bb.1275:                             ;   in Loop: Header=BB1361_1274 Depth=1
	s_delay_alu instid0(VALU_DEP_1) | instskip(SKIP_3) | instid1(VALU_DEP_2)
	v_not_b32_e32 v0, v30
	v_lshl_add_u32 v1, v30, 3, v25
	s_mov_b32 s15, 0
	s_mov_b64 s[10:11], s[16:17]
                                        ; implicit-def: $sgpr14
                                        ; implicit-def: $sgpr22
                                        ; implicit-def: $sgpr23
                                        ; implicit-def: $sgpr27
	v_lshl_add_u32 v0, v0, 3, v29
	ds_load_b64 v[32:33], v0
	ds_load_b64 v[34:35], v1
	s_wait_dscnt 0x1
	v_mad_nc_u64_u32 v[0:1], s8, v32, s[18:19]
	s_wait_dscnt 0x0
	v_mad_nc_u64_u32 v[22:23], s8, v34, s[18:19]
	s_delay_alu instid0(VALU_DEP_2) | instskip(NEXT) | instid1(VALU_DEP_2)
	v_mad_u32 v1, s9, v32, v1
	v_mad_u32 v23, s9, v34, v23
	s_delay_alu instid0(VALU_DEP_2) | instskip(NEXT) | instid1(VALU_DEP_2)
	v_mad_u32 v1, s8, v33, v1
	v_mad_u32 v23, s8, v35, v23
	s_branch .LBB1361_1277
.LBB1361_1276:                          ;   in Loop: Header=BB1361_1277 Depth=2
	s_or_b32 exec_lo, exec_lo, s28
	s_delay_alu instid0(SALU_CYCLE_1) | instskip(NEXT) | instid1(SALU_CYCLE_1)
	s_and_b32 s28, exec_lo, s22
	s_or_b32 s15, s28, s15
	s_and_not1_b32 s27, s27, exec_lo
	s_and_b32 s7, s7, exec_lo
	s_and_not1_b32 s14, s14, exec_lo
	s_and_b32 s28, s23, exec_lo
	s_or_b32 s27, s27, s7
	s_or_b32 s14, s14, s28
	s_and_not1_b32 exec_lo, exec_lo, s15
	s_cbranch_execz .LBB1361_1272
.LBB1361_1277:                          ;   Parent Loop BB1361_1274 Depth=1
                                        ; =>  This Inner Loop Header: Depth=2
	global_load_u16 v31, v[0:1], off
	global_load_u16 v32, v[22:23], off
	s_and_not1_b32 s23, s23, exec_lo
	s_or_b32 s22, s22, exec_lo
	s_wait_loadcnt 0x0
	v_cmp_le_u16_e32 vcc_lo, v31, v32
	v_cmp_lt_u16_e64 s7, v31, v32
	s_and_b32 s28, vcc_lo, s27
	s_delay_alu instid0(SALU_CYCLE_1) | instskip(NEXT) | instid1(SALU_CYCLE_1)
	s_or_b32 s7, s7, s28
	s_and_b32 s28, s7, exec_lo
	s_delay_alu instid0(SALU_CYCLE_1)
	s_or_b32 s23, s23, s28
	s_mov_b32 s28, exec_lo
	v_cmpx_eq_u16_e64 v31, v32
	s_cbranch_execz .LBB1361_1276
; %bb.1278:                             ;   in Loop: Header=BB1361_1277 Depth=2
	s_add_nc_u64 s[10:11], s[10:11], -1
	v_add_nc_u64_e32 v[0:1], 2, v[0:1]
	s_cmp_eq_u64 s[10:11], 0
	v_add_nc_u64_e32 v[22:23], 2, v[22:23]
	s_cselect_b32 s27, -1, 0
	s_and_not1_b32 s22, s22, exec_lo
	s_and_b32 s27, s27, exec_lo
	s_and_not1_b32 s23, s23, exec_lo
	s_or_b32 s22, s22, s27
                                        ; implicit-def: $sgpr27
	s_branch .LBB1361_1276
.LBB1361_1279:
	s_or_b32 exec_lo, exec_lo, s13
.LBB1361_1280:
	s_delay_alu instid0(SALU_CYCLE_1) | instskip(SKIP_1) | instid1(VALU_DEP_1)
	s_or_b32 exec_lo, exec_lo, s12
	v_dual_add_nc_u32 v0, v47, v27 :: v_dual_add_nc_u32 v22, v24, v26
	v_sub_nc_u32_e32 v23, v0, v24
	s_delay_alu instid0(VALU_DEP_2) | instskip(NEXT) | instid1(VALU_DEP_2)
	v_cmp_le_u32_e32 vcc_lo, v22, v47
	v_cmp_le_u32_e64 s7, v23, v45
	s_or_b32 s7, vcc_lo, s7
	s_delay_alu instid0(SALU_CYCLE_1)
	s_and_saveexec_b32 s10, s7
	s_cbranch_execz .LBB1361_1371
; %bb.1281:
	s_mov_b32 s8, exec_lo
	v_cmp_ge_u32_e32 vcc_lo, v22, v47
                                        ; implicit-def: $vgpr0_vgpr1
	v_cmpx_lt_u32_e64 v22, v47
; %bb.1282:
	v_lshl_add_u32 v0, v24, 3, v25
	ds_load_b64 v[0:1], v0
; %bb.1283:
	s_or_b32 exec_lo, exec_lo, s8
	v_cmp_ge_u32_e64 s11, v23, v45
	s_mov_b32 s8, exec_lo
                                        ; implicit-def: $vgpr2_vgpr3
	v_cmpx_lt_u32_e64 v23, v45
; %bb.1284:
	v_lshl_add_u32 v2, v23, 3, v43
	ds_load_b64 v[2:3], v2
; %bb.1285:
	s_or_b32 exec_lo, exec_lo, s8
	s_nor_b32 s7, vcc_lo, s11
	s_delay_alu instid0(SALU_CYCLE_1)
	s_and_saveexec_b32 s12, s7
	s_cbranch_execz .LBB1361_1294
; %bb.1286:
	s_and_not1_b32 vcc_lo, exec_lo, s26
	s_cbranch_vccnz .LBB1361_1292
; %bb.1287:
	s_wait_dscnt 0x0
	v_mul_u64_e32 v[4:5], s[16:17], v[2:3]
	v_mul_u64_e32 v[6:7], s[16:17], v[0:1]
	s_mov_b32 s13, 0
	s_mov_b64 s[8:9], s[16:17]
                                        ; implicit-def: $sgpr14
                                        ; implicit-def: $sgpr15
                                        ; implicit-def: $sgpr22
                                        ; implicit-def: $sgpr23
	s_delay_alu instid0(VALU_DEP_2) | instskip(NEXT) | instid1(VALU_DEP_2)
	v_lshl_add_u64 v[4:5], v[4:5], 1, s[18:19]
	v_lshl_add_u64 v[6:7], v[6:7], 1, s[18:19]
	s_branch .LBB1361_1289
.LBB1361_1288:                          ;   in Loop: Header=BB1361_1289 Depth=1
	s_or_b32 exec_lo, exec_lo, s27
	s_delay_alu instid0(SALU_CYCLE_1) | instskip(NEXT) | instid1(SALU_CYCLE_1)
	s_and_b32 s27, exec_lo, s15
	s_or_b32 s13, s27, s13
	s_and_not1_b32 s23, s23, exec_lo
	s_and_b32 s7, s7, exec_lo
	s_and_not1_b32 s14, s14, exec_lo
	s_and_b32 s27, s22, exec_lo
	s_or_b32 s23, s23, s7
	s_or_b32 s14, s14, s27
	s_and_not1_b32 exec_lo, exec_lo, s13
	s_cbranch_execz .LBB1361_1291
.LBB1361_1289:                          ; =>This Inner Loop Header: Depth=1
	global_load_u16 v8, v[4:5], off
	global_load_u16 v9, v[6:7], off
	s_and_not1_b32 s22, s22, exec_lo
	s_or_b32 s15, s15, exec_lo
	s_wait_loadcnt 0x0
	v_cmp_le_u16_e32 vcc_lo, v8, v9
	v_cmp_lt_u16_e64 s7, v8, v9
	s_and_b32 s27, vcc_lo, s23
	s_delay_alu instid0(SALU_CYCLE_1) | instskip(NEXT) | instid1(SALU_CYCLE_1)
	s_or_b32 s7, s7, s27
	s_and_b32 s27, s7, exec_lo
	s_delay_alu instid0(SALU_CYCLE_1)
	s_or_b32 s22, s22, s27
	s_mov_b32 s27, exec_lo
	v_cmpx_eq_u16_e64 v8, v9
	s_cbranch_execz .LBB1361_1288
; %bb.1290:                             ;   in Loop: Header=BB1361_1289 Depth=1
	s_add_nc_u64 s[8:9], s[8:9], -1
	v_add_nc_u64_e32 v[4:5], 2, v[4:5]
	s_cmp_eq_u64 s[8:9], 0
	v_add_nc_u64_e32 v[6:7], 2, v[6:7]
	s_cselect_b32 s23, -1, 0
	s_and_not1_b32 s15, s15, exec_lo
	s_and_b32 s23, s23, exec_lo
	s_and_not1_b32 s22, s22, exec_lo
	s_or_b32 s15, s15, s23
                                        ; implicit-def: $sgpr23
	s_branch .LBB1361_1288
.LBB1361_1291:
	s_or_b32 exec_lo, exec_lo, s13
	s_xor_b32 s7, s14, -1
	s_branch .LBB1361_1293
.LBB1361_1292:
	s_mov_b32 s7, -1
.LBB1361_1293:
	s_and_not1_b32 s8, s11, exec_lo
	s_and_b32 s7, s7, exec_lo
	s_delay_alu instid0(SALU_CYCLE_1)
	s_or_b32 s11, s8, s7
.LBB1361_1294:
	s_or_b32 exec_lo, exec_lo, s12
	v_dual_cndmask_b32 v4, v23, v22, s11 :: v_dual_cndmask_b32 v5, v45, v47, s11
	s_mov_b32 s13, -1
	s_mov_b32 s12, -1
	s_mov_b32 s14, exec_lo
	s_delay_alu instid0(VALU_DEP_1) | instskip(NEXT) | instid1(VALU_DEP_1)
	v_add_nc_u32_e32 v4, 1, v4
	v_add_min_u32_e64 v5, v5, -1, v4
	s_delay_alu instid0(VALU_DEP_1)
	v_lshl_add_u32 v5, v5, 3, v43
	ds_load_b64 v[6:7], v5
	s_wait_dscnt 0x0
	v_cndmask_b32_e64 v5, v7, v3, s11
	v_dual_cndmask_b32 v10, v4, v23, s11 :: v_dual_cndmask_b32 v11, v22, v4, s11
	v_dual_cndmask_b32 v4, v6, v2, s11 :: v_dual_cndmask_b32 v15, v1, v7, s11
	v_cndmask_b32_e64 v14, v0, v6, s11
	s_delay_alu instid0(VALU_DEP_3)
	v_cmpx_lt_u32_e64 v10, v45
	s_cbranch_execz .LBB1361_1305
; %bb.1295:
	s_mov_b32 s7, 0
	s_mov_b32 s12, exec_lo
	v_cmpx_lt_u32_e64 v11, v47
	s_cbranch_execz .LBB1361_1304
; %bb.1296:
	s_and_not1_b32 vcc_lo, exec_lo, s26
	s_cbranch_vccnz .LBB1361_1302
; %bb.1297:
	v_mul_u64_e32 v[6:7], s[16:17], v[4:5]
	v_mul_u64_e32 v[8:9], s[16:17], v[14:15]
	s_mov_b32 s15, 0
	s_mov_b64 s[8:9], s[16:17]
                                        ; implicit-def: $sgpr22
                                        ; implicit-def: $sgpr23
                                        ; implicit-def: $sgpr27
                                        ; implicit-def: $sgpr28
	s_delay_alu instid0(VALU_DEP_2) | instskip(NEXT) | instid1(VALU_DEP_2)
	v_lshl_add_u64 v[6:7], v[6:7], 1, s[18:19]
	v_lshl_add_u64 v[8:9], v[8:9], 1, s[18:19]
	s_branch .LBB1361_1299
.LBB1361_1298:                          ;   in Loop: Header=BB1361_1299 Depth=1
	s_or_b32 exec_lo, exec_lo, s29
	s_delay_alu instid0(SALU_CYCLE_1) | instskip(NEXT) | instid1(SALU_CYCLE_1)
	s_and_b32 s29, exec_lo, s23
	s_or_b32 s15, s29, s15
	s_and_not1_b32 s28, s28, exec_lo
	s_and_b32 s7, s7, exec_lo
	s_and_not1_b32 s22, s22, exec_lo
	s_and_b32 s29, s27, exec_lo
	s_or_b32 s28, s28, s7
	s_or_b32 s22, s22, s29
	s_and_not1_b32 exec_lo, exec_lo, s15
	s_cbranch_execz .LBB1361_1301
.LBB1361_1299:                          ; =>This Inner Loop Header: Depth=1
	global_load_u16 v12, v[6:7], off
	global_load_u16 v13, v[8:9], off
	s_and_not1_b32 s27, s27, exec_lo
	s_or_b32 s23, s23, exec_lo
	s_wait_loadcnt 0x0
	v_cmp_le_u16_e32 vcc_lo, v12, v13
	v_cmp_lt_u16_e64 s7, v12, v13
	s_and_b32 s29, vcc_lo, s28
	s_delay_alu instid0(SALU_CYCLE_1) | instskip(NEXT) | instid1(SALU_CYCLE_1)
	s_or_b32 s7, s7, s29
	s_and_b32 s29, s7, exec_lo
	s_delay_alu instid0(SALU_CYCLE_1)
	s_or_b32 s27, s27, s29
	s_mov_b32 s29, exec_lo
	v_cmpx_eq_u16_e64 v12, v13
	s_cbranch_execz .LBB1361_1298
; %bb.1300:                             ;   in Loop: Header=BB1361_1299 Depth=1
	s_add_nc_u64 s[8:9], s[8:9], -1
	v_add_nc_u64_e32 v[6:7], 2, v[6:7]
	s_cmp_eq_u64 s[8:9], 0
	v_add_nc_u64_e32 v[8:9], 2, v[8:9]
	s_cselect_b32 s28, -1, 0
	s_and_not1_b32 s23, s23, exec_lo
	s_and_b32 s28, s28, exec_lo
	s_and_not1_b32 s27, s27, exec_lo
	s_or_b32 s23, s23, s28
                                        ; implicit-def: $sgpr28
	s_branch .LBB1361_1298
.LBB1361_1301:
	s_or_b32 exec_lo, exec_lo, s15
	s_xor_b32 s7, s22, -1
	s_branch .LBB1361_1303
.LBB1361_1302:
	s_mov_b32 s7, -1
.LBB1361_1303:
	s_delay_alu instid0(SALU_CYCLE_1)
	s_and_b32 s7, s7, exec_lo
.LBB1361_1304:
	s_or_b32 exec_lo, exec_lo, s12
	s_delay_alu instid0(SALU_CYCLE_1)
	s_or_not1_b32 s12, s7, exec_lo
.LBB1361_1305:
	s_or_b32 exec_lo, exec_lo, s14
	v_cndmask_b32_e64 v6, v10, v11, s12
	v_cndmask_b32_e64 v7, v45, v47, s12
	s_mov_b32 s14, exec_lo
	s_delay_alu instid0(VALU_DEP_2) | instskip(NEXT) | instid1(VALU_DEP_1)
	v_add_nc_u32_e32 v8, 1, v6
	v_add_min_u32_e64 v6, v7, -1, v8
	v_cndmask_b32_e64 v12, v8, v10, s12
	s_delay_alu instid0(VALU_DEP_2)
	v_lshl_add_u32 v6, v6, 3, v43
	ds_load_b64 v[6:7], v6
	s_wait_dscnt 0x0
	v_dual_cndmask_b32 v13, v11, v8, s12 :: v_dual_cndmask_b32 v16, v14, v6, s12
	v_dual_cndmask_b32 v11, v7, v5, s12 :: v_dual_cndmask_b32 v10, v6, v4, s12
	v_cndmask_b32_e64 v17, v15, v7, s12
	v_cmpx_lt_u32_e64 v12, v45
	s_cbranch_execz .LBB1361_1316
; %bb.1306:
	s_mov_b32 s7, 0
	s_mov_b32 s13, exec_lo
	v_cmpx_lt_u32_e64 v13, v47
	s_cbranch_execz .LBB1361_1315
; %bb.1307:
	s_and_not1_b32 vcc_lo, exec_lo, s26
	s_cbranch_vccnz .LBB1361_1313
; %bb.1308:
	v_mul_u64_e32 v[6:7], s[16:17], v[10:11]
	v_mul_u64_e32 v[8:9], s[16:17], v[16:17]
	s_mov_b32 s15, 0
	s_mov_b64 s[8:9], s[16:17]
                                        ; implicit-def: $sgpr22
                                        ; implicit-def: $sgpr23
                                        ; implicit-def: $sgpr27
                                        ; implicit-def: $sgpr28
	s_delay_alu instid0(VALU_DEP_2) | instskip(NEXT) | instid1(VALU_DEP_2)
	v_lshl_add_u64 v[6:7], v[6:7], 1, s[18:19]
	v_lshl_add_u64 v[8:9], v[8:9], 1, s[18:19]
	s_branch .LBB1361_1310
.LBB1361_1309:                          ;   in Loop: Header=BB1361_1310 Depth=1
	s_or_b32 exec_lo, exec_lo, s29
	s_delay_alu instid0(SALU_CYCLE_1) | instskip(NEXT) | instid1(SALU_CYCLE_1)
	s_and_b32 s29, exec_lo, s23
	s_or_b32 s15, s29, s15
	s_and_not1_b32 s28, s28, exec_lo
	s_and_b32 s7, s7, exec_lo
	s_and_not1_b32 s22, s22, exec_lo
	s_and_b32 s29, s27, exec_lo
	s_or_b32 s28, s28, s7
	s_or_b32 s22, s22, s29
	s_and_not1_b32 exec_lo, exec_lo, s15
	s_cbranch_execz .LBB1361_1312
.LBB1361_1310:                          ; =>This Inner Loop Header: Depth=1
	global_load_u16 v22, v[6:7], off
	global_load_u16 v23, v[8:9], off
	s_and_not1_b32 s27, s27, exec_lo
	s_or_b32 s23, s23, exec_lo
	s_wait_loadcnt 0x0
	v_cmp_le_u16_e32 vcc_lo, v22, v23
	v_cmp_lt_u16_e64 s7, v22, v23
	s_and_b32 s29, vcc_lo, s28
	s_delay_alu instid0(SALU_CYCLE_1) | instskip(NEXT) | instid1(SALU_CYCLE_1)
	s_or_b32 s7, s7, s29
	s_and_b32 s29, s7, exec_lo
	s_delay_alu instid0(SALU_CYCLE_1)
	s_or_b32 s27, s27, s29
	s_mov_b32 s29, exec_lo
	v_cmpx_eq_u16_e64 v22, v23
	s_cbranch_execz .LBB1361_1309
; %bb.1311:                             ;   in Loop: Header=BB1361_1310 Depth=1
	s_add_nc_u64 s[8:9], s[8:9], -1
	v_add_nc_u64_e32 v[6:7], 2, v[6:7]
	s_cmp_eq_u64 s[8:9], 0
	v_add_nc_u64_e32 v[8:9], 2, v[8:9]
	s_cselect_b32 s28, -1, 0
	s_and_not1_b32 s23, s23, exec_lo
	s_and_b32 s28, s28, exec_lo
	s_and_not1_b32 s27, s27, exec_lo
	s_or_b32 s23, s23, s28
                                        ; implicit-def: $sgpr28
	s_branch .LBB1361_1309
.LBB1361_1312:
	s_or_b32 exec_lo, exec_lo, s15
	s_xor_b32 s7, s22, -1
	s_branch .LBB1361_1314
.LBB1361_1313:
	s_mov_b32 s7, -1
.LBB1361_1314:
	s_delay_alu instid0(SALU_CYCLE_1)
	s_and_b32 s7, s7, exec_lo
.LBB1361_1315:
	s_or_b32 exec_lo, exec_lo, s13
	s_delay_alu instid0(SALU_CYCLE_1)
	s_or_not1_b32 s13, s7, exec_lo
.LBB1361_1316:
	s_or_b32 exec_lo, exec_lo, s14
	v_dual_cndmask_b32 v6, v12, v13, s13 :: v_dual_cndmask_b32 v7, v45, v47, s13
	s_mov_b32 s15, -1
	s_mov_b32 s14, -1
	s_mov_b32 s22, exec_lo
	s_delay_alu instid0(VALU_DEP_1) | instskip(NEXT) | instid1(VALU_DEP_1)
	v_add_nc_u32_e32 v8, 1, v6
	v_add_min_u32_e64 v6, v7, -1, v8
	s_delay_alu instid0(VALU_DEP_1)
	v_lshl_add_u32 v6, v6, 3, v43
	ds_load_b64 v[6:7], v6
	s_wait_dscnt 0x0
	v_dual_cndmask_b32 v25, v13, v8, s13 :: v_dual_cndmask_b32 v22, v16, v6, s13
	v_dual_cndmask_b32 v13, v7, v11, s13 :: v_dual_cndmask_b32 v24, v8, v12, s13
	;; [unrolled: 1-line block ×3, first 2 shown]
	s_delay_alu instid0(VALU_DEP_2)
	v_cmpx_lt_u32_e64 v24, v45
	s_cbranch_execz .LBB1361_1327
; %bb.1317:
	s_mov_b32 s7, 0
	s_mov_b32 s14, exec_lo
	v_cmpx_lt_u32_e64 v25, v47
	s_cbranch_execz .LBB1361_1326
; %bb.1318:
	s_and_not1_b32 vcc_lo, exec_lo, s26
	s_cbranch_vccnz .LBB1361_1324
; %bb.1319:
	v_mul_u64_e32 v[6:7], s[16:17], v[12:13]
	v_mul_u64_e32 v[8:9], s[16:17], v[22:23]
	s_mov_b32 s23, 0
	s_mov_b64 s[8:9], s[16:17]
                                        ; implicit-def: $sgpr27
                                        ; implicit-def: $sgpr28
                                        ; implicit-def: $sgpr29
                                        ; implicit-def: $sgpr30
	s_delay_alu instid0(VALU_DEP_2) | instskip(NEXT) | instid1(VALU_DEP_2)
	v_lshl_add_u64 v[6:7], v[6:7], 1, s[18:19]
	v_lshl_add_u64 v[8:9], v[8:9], 1, s[18:19]
	s_branch .LBB1361_1321
.LBB1361_1320:                          ;   in Loop: Header=BB1361_1321 Depth=1
	s_or_b32 exec_lo, exec_lo, s31
	s_delay_alu instid0(SALU_CYCLE_1) | instskip(NEXT) | instid1(SALU_CYCLE_1)
	s_and_b32 s31, exec_lo, s28
	s_or_b32 s23, s31, s23
	s_and_not1_b32 s30, s30, exec_lo
	s_and_b32 s7, s7, exec_lo
	s_and_not1_b32 s27, s27, exec_lo
	s_and_b32 s31, s29, exec_lo
	s_or_b32 s30, s30, s7
	s_or_b32 s27, s27, s31
	s_and_not1_b32 exec_lo, exec_lo, s23
	s_cbranch_execz .LBB1361_1323
.LBB1361_1321:                          ; =>This Inner Loop Header: Depth=1
	global_load_u16 v26, v[6:7], off
	global_load_u16 v27, v[8:9], off
	s_and_not1_b32 s29, s29, exec_lo
	s_or_b32 s28, s28, exec_lo
	s_wait_loadcnt 0x0
	v_cmp_le_u16_e32 vcc_lo, v26, v27
	v_cmp_lt_u16_e64 s7, v26, v27
	s_and_b32 s31, vcc_lo, s30
	s_delay_alu instid0(SALU_CYCLE_1) | instskip(NEXT) | instid1(SALU_CYCLE_1)
	s_or_b32 s7, s7, s31
	s_and_b32 s31, s7, exec_lo
	s_delay_alu instid0(SALU_CYCLE_1)
	s_or_b32 s29, s29, s31
	s_mov_b32 s31, exec_lo
	v_cmpx_eq_u16_e64 v26, v27
	s_cbranch_execz .LBB1361_1320
; %bb.1322:                             ;   in Loop: Header=BB1361_1321 Depth=1
	s_add_nc_u64 s[8:9], s[8:9], -1
	v_add_nc_u64_e32 v[6:7], 2, v[6:7]
	s_cmp_eq_u64 s[8:9], 0
	v_add_nc_u64_e32 v[8:9], 2, v[8:9]
	s_cselect_b32 s30, -1, 0
	s_and_not1_b32 s28, s28, exec_lo
	s_and_b32 s30, s30, exec_lo
	s_and_not1_b32 s29, s29, exec_lo
	s_or_b32 s28, s28, s30
                                        ; implicit-def: $sgpr30
	s_branch .LBB1361_1320
.LBB1361_1323:
	s_or_b32 exec_lo, exec_lo, s23
	s_xor_b32 s7, s27, -1
	s_branch .LBB1361_1325
.LBB1361_1324:
	s_mov_b32 s7, -1
.LBB1361_1325:
	s_delay_alu instid0(SALU_CYCLE_1)
	s_and_b32 s7, s7, exec_lo
.LBB1361_1326:
	s_or_b32 exec_lo, exec_lo, s14
	s_delay_alu instid0(SALU_CYCLE_1)
	s_or_not1_b32 s14, s7, exec_lo
.LBB1361_1327:
	s_or_b32 exec_lo, exec_lo, s22
	v_dual_cndmask_b32 v6, v24, v25, s14 :: v_dual_cndmask_b32 v7, v45, v47, s14
	s_mov_b32 s22, exec_lo
	s_delay_alu instid0(VALU_DEP_1) | instskip(NEXT) | instid1(VALU_DEP_1)
	v_add_nc_u32_e32 v6, 1, v6
	v_add_min_u32_e64 v7, v7, -1, v6
	s_delay_alu instid0(VALU_DEP_1)
	v_lshl_add_u32 v7, v7, 3, v43
	ds_load_b64 v[8:9], v7
	s_wait_dscnt 0x0
	v_dual_cndmask_b32 v7, v9, v13, s14 :: v_dual_cndmask_b32 v28, v6, v24, s14
	v_dual_cndmask_b32 v29, v25, v6, s14 :: v_dual_cndmask_b32 v6, v8, v12, s14
	;; [unrolled: 1-line block ×3, first 2 shown]
	s_delay_alu instid0(VALU_DEP_3)
	v_cmpx_lt_u32_e64 v28, v45
	s_cbranch_execz .LBB1361_1338
; %bb.1328:
	s_mov_b32 s7, 0
	s_mov_b32 s15, exec_lo
	v_cmpx_lt_u32_e64 v29, v47
	s_cbranch_execz .LBB1361_1337
; %bb.1329:
	s_and_not1_b32 vcc_lo, exec_lo, s26
	s_cbranch_vccnz .LBB1361_1335
; %bb.1330:
	v_mul_u64_e32 v[8:9], s[16:17], v[6:7]
	v_mul_u64_e32 v[26:27], s[16:17], v[24:25]
	s_mov_b32 s23, 0
	s_mov_b64 s[8:9], s[16:17]
                                        ; implicit-def: $sgpr27
                                        ; implicit-def: $sgpr28
                                        ; implicit-def: $sgpr29
                                        ; implicit-def: $sgpr30
	s_delay_alu instid0(VALU_DEP_2) | instskip(NEXT) | instid1(VALU_DEP_2)
	v_lshl_add_u64 v[8:9], v[8:9], 1, s[18:19]
	v_lshl_add_u64 v[26:27], v[26:27], 1, s[18:19]
	s_branch .LBB1361_1332
.LBB1361_1331:                          ;   in Loop: Header=BB1361_1332 Depth=1
	s_or_b32 exec_lo, exec_lo, s31
	s_delay_alu instid0(SALU_CYCLE_1) | instskip(NEXT) | instid1(SALU_CYCLE_1)
	s_and_b32 s31, exec_lo, s28
	s_or_b32 s23, s31, s23
	s_and_not1_b32 s30, s30, exec_lo
	s_and_b32 s7, s7, exec_lo
	s_and_not1_b32 s27, s27, exec_lo
	s_and_b32 s31, s29, exec_lo
	s_or_b32 s30, s30, s7
	s_or_b32 s27, s27, s31
	s_and_not1_b32 exec_lo, exec_lo, s23
	s_cbranch_execz .LBB1361_1334
.LBB1361_1332:                          ; =>This Inner Loop Header: Depth=1
	global_load_u16 v30, v[8:9], off
	global_load_u16 v31, v[26:27], off
	s_and_not1_b32 s29, s29, exec_lo
	s_or_b32 s28, s28, exec_lo
	s_wait_loadcnt 0x0
	v_cmp_le_u16_e32 vcc_lo, v30, v31
	v_cmp_lt_u16_e64 s7, v30, v31
	s_and_b32 s31, vcc_lo, s30
	s_delay_alu instid0(SALU_CYCLE_1) | instskip(NEXT) | instid1(SALU_CYCLE_1)
	s_or_b32 s7, s7, s31
	s_and_b32 s31, s7, exec_lo
	s_delay_alu instid0(SALU_CYCLE_1)
	s_or_b32 s29, s29, s31
	s_mov_b32 s31, exec_lo
	v_cmpx_eq_u16_e64 v30, v31
	s_cbranch_execz .LBB1361_1331
; %bb.1333:                             ;   in Loop: Header=BB1361_1332 Depth=1
	s_add_nc_u64 s[8:9], s[8:9], -1
	v_add_nc_u64_e32 v[8:9], 2, v[8:9]
	s_cmp_eq_u64 s[8:9], 0
	v_add_nc_u64_e32 v[26:27], 2, v[26:27]
	s_cselect_b32 s30, -1, 0
	s_and_not1_b32 s28, s28, exec_lo
	s_and_b32 s30, s30, exec_lo
	s_and_not1_b32 s29, s29, exec_lo
	s_or_b32 s28, s28, s30
                                        ; implicit-def: $sgpr30
	s_branch .LBB1361_1331
.LBB1361_1334:
	s_or_b32 exec_lo, exec_lo, s23
	s_xor_b32 s7, s27, -1
	s_branch .LBB1361_1336
.LBB1361_1335:
	s_mov_b32 s7, -1
.LBB1361_1336:
	s_delay_alu instid0(SALU_CYCLE_1)
	s_and_b32 s7, s7, exec_lo
.LBB1361_1337:
	s_or_b32 exec_lo, exec_lo, s15
	s_delay_alu instid0(SALU_CYCLE_1)
	s_or_not1_b32 s15, s7, exec_lo
.LBB1361_1338:
	s_or_b32 exec_lo, exec_lo, s22
	v_dual_cndmask_b32 v8, v28, v29, s15 :: v_dual_cndmask_b32 v9, v45, v47, s15
	s_mov_b32 s22, -1
	s_mov_b32 s23, -1
	s_mov_b32 s27, exec_lo
	s_delay_alu instid0(VALU_DEP_1) | instskip(NEXT) | instid1(VALU_DEP_1)
	v_add_nc_u32_e32 v8, 1, v8
	v_add_min_u32_e64 v9, v9, -1, v8
	s_delay_alu instid0(VALU_DEP_1)
	v_lshl_add_u32 v9, v9, 3, v43
	ds_load_b64 v[26:27], v9
	s_wait_dscnt 0x0
	v_dual_cndmask_b32 v9, v27, v7, s15 :: v_dual_cndmask_b32 v32, v8, v28, s15
	v_dual_cndmask_b32 v33, v29, v8, s15 :: v_dual_cndmask_b32 v8, v26, v6, s15
	;; [unrolled: 1-line block ×3, first 2 shown]
	s_delay_alu instid0(VALU_DEP_3)
	v_cmpx_lt_u32_e64 v32, v45
	s_cbranch_execz .LBB1361_1349
; %bb.1339:
	s_mov_b32 s7, 0
	s_mov_b32 s23, exec_lo
	v_cmpx_lt_u32_e64 v33, v47
	s_cbranch_execz .LBB1361_1348
; %bb.1340:
	s_and_not1_b32 vcc_lo, exec_lo, s26
	s_cbranch_vccnz .LBB1361_1346
; %bb.1341:
	v_mul_u64_e32 v[28:29], s[16:17], v[8:9]
	v_mul_u64_e32 v[30:31], s[16:17], v[26:27]
	s_mov_b32 s28, 0
	s_mov_b64 s[8:9], s[16:17]
                                        ; implicit-def: $sgpr29
                                        ; implicit-def: $sgpr30
                                        ; implicit-def: $sgpr31
                                        ; implicit-def: $sgpr33
	s_delay_alu instid0(VALU_DEP_2) | instskip(NEXT) | instid1(VALU_DEP_2)
	v_lshl_add_u64 v[28:29], v[28:29], 1, s[18:19]
	v_lshl_add_u64 v[30:31], v[30:31], 1, s[18:19]
	s_branch .LBB1361_1343
.LBB1361_1342:                          ;   in Loop: Header=BB1361_1343 Depth=1
	s_or_b32 exec_lo, exec_lo, s34
	s_delay_alu instid0(SALU_CYCLE_1) | instskip(NEXT) | instid1(SALU_CYCLE_1)
	s_and_b32 s34, exec_lo, s30
	s_or_b32 s28, s34, s28
	s_and_not1_b32 s33, s33, exec_lo
	s_and_b32 s7, s7, exec_lo
	s_and_not1_b32 s29, s29, exec_lo
	s_and_b32 s34, s31, exec_lo
	s_or_b32 s33, s33, s7
	s_or_b32 s29, s29, s34
	s_and_not1_b32 exec_lo, exec_lo, s28
	s_cbranch_execz .LBB1361_1345
.LBB1361_1343:                          ; =>This Inner Loop Header: Depth=1
	global_load_u16 v34, v[28:29], off
	global_load_u16 v35, v[30:31], off
	s_and_not1_b32 s31, s31, exec_lo
	s_or_b32 s30, s30, exec_lo
	s_wait_loadcnt 0x0
	v_cmp_le_u16_e32 vcc_lo, v34, v35
	v_cmp_lt_u16_e64 s7, v34, v35
	s_and_b32 s34, vcc_lo, s33
	s_delay_alu instid0(SALU_CYCLE_1) | instskip(NEXT) | instid1(SALU_CYCLE_1)
	s_or_b32 s7, s7, s34
	s_and_b32 s34, s7, exec_lo
	s_delay_alu instid0(SALU_CYCLE_1)
	s_or_b32 s31, s31, s34
	s_mov_b32 s34, exec_lo
	v_cmpx_eq_u16_e64 v34, v35
	s_cbranch_execz .LBB1361_1342
; %bb.1344:                             ;   in Loop: Header=BB1361_1343 Depth=1
	s_add_nc_u64 s[8:9], s[8:9], -1
	v_add_nc_u64_e32 v[28:29], 2, v[28:29]
	s_cmp_eq_u64 s[8:9], 0
	v_add_nc_u64_e32 v[30:31], 2, v[30:31]
	s_cselect_b32 s33, -1, 0
	s_and_not1_b32 s30, s30, exec_lo
	s_and_b32 s33, s33, exec_lo
	s_and_not1_b32 s31, s31, exec_lo
	s_or_b32 s30, s30, s33
                                        ; implicit-def: $sgpr33
	s_branch .LBB1361_1342
.LBB1361_1345:
	s_or_b32 exec_lo, exec_lo, s28
	s_xor_b32 s7, s29, -1
	s_branch .LBB1361_1347
.LBB1361_1346:
	s_mov_b32 s7, -1
.LBB1361_1347:
	s_delay_alu instid0(SALU_CYCLE_1)
	s_and_b32 s7, s7, exec_lo
.LBB1361_1348:
	s_or_b32 exec_lo, exec_lo, s23
	s_delay_alu instid0(SALU_CYCLE_1)
	s_or_not1_b32 s23, s7, exec_lo
.LBB1361_1349:
	s_or_b32 exec_lo, exec_lo, s27
	v_dual_cndmask_b32 v28, v32, v33, s23 :: v_dual_cndmask_b32 v29, v45, v47, s23
	s_mov_b32 s27, exec_lo
	s_delay_alu instid0(VALU_DEP_1) | instskip(NEXT) | instid1(VALU_DEP_1)
	v_add_nc_u32_e32 v28, 1, v28
	v_add_min_u32_e64 v29, v29, -1, v28
	s_delay_alu instid0(VALU_DEP_1)
	v_lshl_add_u32 v29, v29, 3, v43
	ds_load_b64 v[30:31], v29
	s_wait_dscnt 0x0
	v_dual_cndmask_b32 v29, v31, v9, s23 :: v_dual_cndmask_b32 v46, v28, v32, s23
	v_dual_cndmask_b32 v31, v27, v31, s23 :: v_dual_cndmask_b32 v44, v33, v28, s23
	v_cndmask_b32_e64 v28, v30, v8, s23
	v_cndmask_b32_e64 v30, v26, v30, s23
	s_delay_alu instid0(VALU_DEP_4)
	v_cmpx_lt_u32_e64 v46, v45
	s_cbranch_execz .LBB1361_1360
; %bb.1350:
	s_mov_b32 s7, 0
	s_mov_b32 s22, exec_lo
	v_cmpx_lt_u32_e64 v44, v47
	s_cbranch_execz .LBB1361_1359
; %bb.1351:
	s_and_not1_b32 vcc_lo, exec_lo, s26
	s_cbranch_vccnz .LBB1361_1357
; %bb.1352:
	v_mul_u64_e32 v[32:33], s[16:17], v[28:29]
	v_mul_u64_e32 v[34:35], s[16:17], v[30:31]
	s_mov_b32 s28, 0
	s_mov_b64 s[8:9], s[16:17]
                                        ; implicit-def: $sgpr29
                                        ; implicit-def: $sgpr30
                                        ; implicit-def: $sgpr31
                                        ; implicit-def: $sgpr33
	s_delay_alu instid0(VALU_DEP_2) | instskip(NEXT) | instid1(VALU_DEP_2)
	v_lshl_add_u64 v[32:33], v[32:33], 1, s[18:19]
	v_lshl_add_u64 v[34:35], v[34:35], 1, s[18:19]
	s_branch .LBB1361_1354
.LBB1361_1353:                          ;   in Loop: Header=BB1361_1354 Depth=1
	s_or_b32 exec_lo, exec_lo, s34
	s_delay_alu instid0(SALU_CYCLE_1) | instskip(NEXT) | instid1(SALU_CYCLE_1)
	s_and_b32 s34, exec_lo, s30
	s_or_b32 s28, s34, s28
	s_and_not1_b32 s33, s33, exec_lo
	s_and_b32 s7, s7, exec_lo
	s_and_not1_b32 s29, s29, exec_lo
	s_and_b32 s34, s31, exec_lo
	s_or_b32 s33, s33, s7
	s_or_b32 s29, s29, s34
	s_and_not1_b32 exec_lo, exec_lo, s28
	s_cbranch_execz .LBB1361_1356
.LBB1361_1354:                          ; =>This Inner Loop Header: Depth=1
	global_load_u16 v48, v[32:33], off
	global_load_u16 v49, v[34:35], off
	s_and_not1_b32 s31, s31, exec_lo
	s_or_b32 s30, s30, exec_lo
	s_wait_loadcnt 0x0
	v_cmp_le_u16_e32 vcc_lo, v48, v49
	v_cmp_lt_u16_e64 s7, v48, v49
	s_and_b32 s34, vcc_lo, s33
	s_delay_alu instid0(SALU_CYCLE_1) | instskip(NEXT) | instid1(SALU_CYCLE_1)
	s_or_b32 s7, s7, s34
	s_and_b32 s34, s7, exec_lo
	s_delay_alu instid0(SALU_CYCLE_1)
	s_or_b32 s31, s31, s34
	s_mov_b32 s34, exec_lo
	v_cmpx_eq_u16_e64 v48, v49
	s_cbranch_execz .LBB1361_1353
; %bb.1355:                             ;   in Loop: Header=BB1361_1354 Depth=1
	s_add_nc_u64 s[8:9], s[8:9], -1
	v_add_nc_u64_e32 v[32:33], 2, v[32:33]
	s_cmp_eq_u64 s[8:9], 0
	v_add_nc_u64_e32 v[34:35], 2, v[34:35]
	s_cselect_b32 s33, -1, 0
	s_and_not1_b32 s30, s30, exec_lo
	s_and_b32 s33, s33, exec_lo
	s_and_not1_b32 s31, s31, exec_lo
	s_or_b32 s30, s30, s33
                                        ; implicit-def: $sgpr33
	s_branch .LBB1361_1353
.LBB1361_1356:
	s_or_b32 exec_lo, exec_lo, s28
	s_xor_b32 s7, s29, -1
	s_branch .LBB1361_1358
.LBB1361_1357:
	s_mov_b32 s7, -1
.LBB1361_1358:
	s_delay_alu instid0(SALU_CYCLE_1)
	s_and_b32 s7, s7, exec_lo
.LBB1361_1359:
	s_or_b32 exec_lo, exec_lo, s22
	s_delay_alu instid0(SALU_CYCLE_1)
	s_or_not1_b32 s22, s7, exec_lo
.LBB1361_1360:
	s_or_b32 exec_lo, exec_lo, s27
	v_dual_cndmask_b32 v32, v46, v44, s22 :: v_dual_cndmask_b32 v33, v45, v47, s22
	v_dual_cndmask_b32 v8, v8, v26, s23 :: v_dual_cndmask_b32 v7, v7, v25, s15
	;; [unrolled: 1-line block ×3, first 2 shown]
	s_delay_alu instid0(VALU_DEP_3) | instskip(SKIP_2) | instid1(VALU_DEP_3)
	v_dual_add_nc_u32 v34, 1, v32 :: v_dual_cndmask_b32 v9, v9, v27, s23
	v_dual_cndmask_b32 v12, v12, v22, s14 :: v_dual_cndmask_b32 v11, v11, v17, s13
	v_dual_cndmask_b32 v10, v10, v16, s13 :: v_dual_cndmask_b32 v17, v5, v15, s12
	v_add_min_u32_e64 v32, v33, -1, v34
	v_dual_cndmask_b32 v16, v4, v14, s12 :: v_dual_cndmask_b32 v15, v3, v1, s11
	v_dual_cndmask_b32 v14, v2, v0, s11 :: v_dual_cndmask_b32 v3, v29, v31, s22
	s_delay_alu instid0(VALU_DEP_3)
	v_lshl_add_u32 v32, v32, 3, v43
	s_mov_b32 s11, exec_lo
	ds_load_b64 v[32:33], v32
	v_cndmask_b32_e64 v0, v34, v46, s22
	s_wait_dscnt 0x0
	v_dual_cndmask_b32 v2, v28, v30, s22 :: v_dual_cndmask_b32 v4, v30, v32, s22
	v_cndmask_b32_e64 v5, v31, v33, s22
	s_delay_alu instid0(VALU_DEP_3)
	v_cmpx_lt_u32_e64 v0, v45
	s_cbranch_execz .LBB1361_1370
; %bb.1361:
	v_dual_cndmask_b32 v22, v44, v34, s22 :: v_dual_cndmask_b32 v1, v33, v29, s22
	v_cndmask_b32_e64 v0, v32, v28, s22
	s_mov_b32 s12, exec_lo
	s_delay_alu instid0(VALU_DEP_2)
	v_cmpx_lt_u32_e64 v22, v47
	s_cbranch_execz .LBB1361_1369
; %bb.1362:
	s_and_not1_b32 vcc_lo, exec_lo, s26
	s_cbranch_vccnz .LBB1361_1368
; %bb.1363:
	v_mul_u64_e32 v[22:23], s[16:17], v[0:1]
	v_mul_u64_e32 v[24:25], s[16:17], v[4:5]
	s_mov_b32 s13, 0
	s_mov_b64 s[8:9], s[16:17]
                                        ; implicit-def: $sgpr14
                                        ; implicit-def: $sgpr15
                                        ; implicit-def: $sgpr22
                                        ; implicit-def: $sgpr23
	s_delay_alu instid0(VALU_DEP_2) | instskip(NEXT) | instid1(VALU_DEP_2)
	v_lshl_add_u64 v[22:23], v[22:23], 1, s[18:19]
	v_lshl_add_u64 v[24:25], v[24:25], 1, s[18:19]
	s_branch .LBB1361_1365
.LBB1361_1364:                          ;   in Loop: Header=BB1361_1365 Depth=1
	s_or_b32 exec_lo, exec_lo, s27
	s_delay_alu instid0(SALU_CYCLE_1) | instskip(NEXT) | instid1(SALU_CYCLE_1)
	s_and_b32 s27, exec_lo, s15
	s_or_b32 s13, s27, s13
	s_and_not1_b32 s23, s23, exec_lo
	s_and_b32 s7, s7, exec_lo
	s_and_not1_b32 s14, s14, exec_lo
	s_and_b32 s27, s22, exec_lo
	s_or_b32 s23, s23, s7
	s_or_b32 s14, s14, s27
	s_and_not1_b32 exec_lo, exec_lo, s13
	s_cbranch_execz .LBB1361_1367
.LBB1361_1365:                          ; =>This Inner Loop Header: Depth=1
	global_load_u16 v26, v[22:23], off
	global_load_u16 v27, v[24:25], off
	s_and_not1_b32 s22, s22, exec_lo
	s_or_b32 s15, s15, exec_lo
	s_wait_loadcnt 0x0
	v_cmp_le_u16_e32 vcc_lo, v26, v27
	v_cmp_lt_u16_e64 s7, v26, v27
	s_and_b32 s27, vcc_lo, s23
	s_delay_alu instid0(SALU_CYCLE_1) | instskip(NEXT) | instid1(SALU_CYCLE_1)
	s_or_b32 s7, s7, s27
	s_and_b32 s27, s7, exec_lo
	s_delay_alu instid0(SALU_CYCLE_1)
	s_or_b32 s22, s22, s27
	s_mov_b32 s27, exec_lo
	v_cmpx_eq_u16_e64 v26, v27
	s_cbranch_execz .LBB1361_1364
; %bb.1366:                             ;   in Loop: Header=BB1361_1365 Depth=1
	s_add_nc_u64 s[8:9], s[8:9], -1
	v_add_nc_u64_e32 v[22:23], 2, v[22:23]
	s_cmp_eq_u64 s[8:9], 0
	v_add_nc_u64_e32 v[24:25], 2, v[24:25]
	s_cselect_b32 s23, -1, 0
	s_and_not1_b32 s15, s15, exec_lo
	s_and_b32 s23, s23, exec_lo
	s_and_not1_b32 s22, s22, exec_lo
	s_or_b32 s15, s15, s23
                                        ; implicit-def: $sgpr23
	s_branch .LBB1361_1364
.LBB1361_1367:
	s_or_b32 exec_lo, exec_lo, s13
	v_dual_cndmask_b32 v5, v5, v1, s14 :: v_dual_cndmask_b32 v4, v4, v0, s14
.LBB1361_1368:
	s_delay_alu instid0(VALU_DEP_1)
	v_mov_b64_e32 v[0:1], v[4:5]
.LBB1361_1369:
	s_or_b32 exec_lo, exec_lo, s12
	s_delay_alu instid0(VALU_DEP_1)
	v_mov_b64_e32 v[4:5], v[0:1]
.LBB1361_1370:
	s_or_b32 exec_lo, exec_lo, s11
.LBB1361_1371:
	s_delay_alu instid0(SALU_CYCLE_1)
	s_or_b32 exec_lo, exec_lo, s10
	s_cmp_lt_u32 s25, 0x81
	; wave barrier
	s_wait_dscnt 0x0
	s_barrier_signal -1
	s_barrier_wait -1
	s_cbranch_scc1 .LBB1361_1475
; %bb.1372:
	v_lshlrev_b32_e32 v24, 3, v20
	s_lshl_b64 s[8:9], s[16:17], 1
	s_movk_i32 s12, 0x80
	s_branch .LBB1361_1378
.LBB1361_1373:                          ;   in Loop: Header=BB1361_1378 Depth=1
	s_or_b32 exec_lo, exec_lo, s33
	v_dual_cndmask_b32 v5, v5, v7, s34 :: v_dual_cndmask_b32 v4, v4, v6, s34
.LBB1361_1374:                          ;   in Loop: Header=BB1361_1378 Depth=1
	s_delay_alu instid0(VALU_DEP_1)
	v_mov_b64_e32 v[6:7], v[4:5]
.LBB1361_1375:                          ;   in Loop: Header=BB1361_1378 Depth=1
	s_or_b32 exec_lo, exec_lo, s31
	s_delay_alu instid0(VALU_DEP_1)
	v_mov_b64_e32 v[4:5], v[6:7]
.LBB1361_1376:                          ;   in Loop: Header=BB1361_1378 Depth=1
	s_or_b32 exec_lo, exec_lo, s30
	v_dual_cndmask_b32 v9, v35, v44, s29 :: v_dual_cndmask_b32 v6, v32, v34, s27
	v_cndmask_b32_e64 v8, v43, v45, s29
	v_dual_cndmask_b32 v7, v31, v33, s27 :: v_dual_cndmask_b32 v11, v17, v27, s22
	v_dual_cndmask_b32 v13, v12, v13, s23 :: v_dual_cndmask_b32 v10, v23, v28, s22
	;; [unrolled: 1-line block ×3, first 2 shown]
	v_cndmask_b32_e64 v16, v15, v22, s15
	v_dual_cndmask_b32 v15, v3, v1, s14 :: v_dual_cndmask_b32 v14, v2, v0, s14
	v_dual_cndmask_b32 v3, v46, v48, s28 :: v_dual_cndmask_b32 v2, v47, v49, s28
.LBB1361_1377:                          ;   in Loop: Header=BB1361_1378 Depth=1
	s_or_b32 exec_lo, exec_lo, s13
	s_cmp_lt_u32 s12, s25
	s_barrier_signal -1
	s_barrier_wait -1
	s_cbranch_scc0 .LBB1361_1475
.LBB1361_1378:                          ; =>This Loop Header: Depth=1
                                        ;     Child Loop BB1361_1382 Depth 2
                                        ;       Child Loop BB1361_1385 Depth 3
                                        ;     Child Loop BB1361_1397 Depth 2
                                        ;     Child Loop BB1361_1407 Depth 2
                                        ;     Child Loop BB1361_1418 Depth 2
                                        ;     Child Loop BB1361_1429 Depth 2
                                        ;     Child Loop BB1361_1440 Depth 2
                                        ;     Child Loop BB1361_1451 Depth 2
                                        ;     Child Loop BB1361_1462 Depth 2
                                        ;     Child Loop BB1361_1473 Depth 2
	s_mov_b32 s7, s12
	s_lshl_b32 s12, s12, 1
	s_mov_b32 s13, exec_lo
	s_sub_co_i32 s10, 0, s12
	ds_store_b128 v24, v[14:17]
	ds_store_b128 v24, v[10:13] offset:16
	ds_store_b128 v24, v[6:9] offset:32
	;; [unrolled: 1-line block ×3, first 2 shown]
	v_and_b32_e32 v29, s10, v20
	s_add_co_i32 s10, s12, -1
	s_wait_dscnt 0x0
	s_barrier_signal -1
	s_barrier_wait -1
	v_add_min_u32_e64 v25, v29, s7, s25
	s_delay_alu instid0(VALU_DEP_1) | instskip(NEXT) | instid1(VALU_DEP_1)
	v_add_min_u32_e64 v26, v25, s7, s25
	v_dual_sub_nc_u32 v1, v26, v25 :: v_dual_bitop2_b32 v0, s10, v20 bitop3:0x40
	v_lshlrev_b32_e32 v28, 3, v29
	s_delay_alu instid0(VALU_DEP_2) | instskip(SKIP_1) | instid1(VALU_DEP_2)
	v_min_u32_e32 v30, s25, v0
	v_sub_nc_u32_e32 v0, v25, v29
	v_sub_nc_u32_e64 v27, v30, v1 clamp
	s_delay_alu instid0(VALU_DEP_2) | instskip(NEXT) | instid1(VALU_DEP_1)
	v_min_u32_e32 v31, v30, v0
	v_cmpx_lt_u32_e64 v27, v31
	s_cbranch_execz .LBB1361_1388
; %bb.1379:                             ;   in Loop: Header=BB1361_1378 Depth=1
	v_lshlrev_b32_e32 v0, 3, v30
	s_mov_b32 s14, 0
	s_delay_alu instid0(VALU_DEP_1)
	v_lshl_add_u32 v32, v25, 3, v0
	s_branch .LBB1361_1382
.LBB1361_1380:                          ;   in Loop: Header=BB1361_1382 Depth=2
	s_or_b32 exec_lo, exec_lo, s22
.LBB1361_1381:                          ;   in Loop: Header=BB1361_1382 Depth=2
	s_delay_alu instid0(VALU_DEP_1) | instskip(NEXT) | instid1(VALU_DEP_1)
	v_dual_add_nc_u32 v0, 1, v33 :: v_dual_cndmask_b32 v31, v31, v33, s15
	v_cndmask_b32_e64 v27, v0, v27, s15
	s_delay_alu instid0(VALU_DEP_1) | instskip(SKIP_1) | instid1(SALU_CYCLE_1)
	v_cmp_ge_u32_e32 vcc_lo, v27, v31
	s_or_b32 s14, vcc_lo, s14
	s_and_not1_b32 exec_lo, exec_lo, s14
	s_cbranch_execz .LBB1361_1387
.LBB1361_1382:                          ;   Parent Loop BB1361_1378 Depth=1
                                        ; =>  This Loop Header: Depth=2
                                        ;       Child Loop BB1361_1385 Depth 3
	v_add_nc_u32_e32 v0, v31, v27
	s_and_not1_b32 vcc_lo, exec_lo, s26
	s_mov_b32 s15, 0
	s_delay_alu instid0(VALU_DEP_1)
	v_lshrrev_b32_e32 v33, 1, v0
	s_cbranch_vccnz .LBB1361_1381
; %bb.1383:                             ;   in Loop: Header=BB1361_1382 Depth=2
	s_delay_alu instid0(VALU_DEP_1) | instskip(SKIP_3) | instid1(VALU_DEP_2)
	v_not_b32_e32 v0, v33
	v_lshl_add_u32 v1, v33, 3, v28
	s_mov_b32 s22, 0
	s_mov_b64 s[10:11], s[16:17]
                                        ; implicit-def: $sgpr15
                                        ; implicit-def: $sgpr23
                                        ; implicit-def: $sgpr27
                                        ; implicit-def: $sgpr28
	v_lshl_add_u32 v0, v0, 3, v32
	ds_load_b64 v[34:35], v0
	ds_load_b64 v[44:45], v1
	s_wait_dscnt 0x1
	v_mad_nc_u64_u32 v[0:1], s8, v34, s[18:19]
	s_wait_dscnt 0x0
	v_mad_nc_u64_u32 v[22:23], s8, v44, s[18:19]
	s_delay_alu instid0(VALU_DEP_2) | instskip(NEXT) | instid1(VALU_DEP_2)
	v_mad_u32 v1, s9, v34, v1
	v_mad_u32 v23, s9, v44, v23
	s_delay_alu instid0(VALU_DEP_2) | instskip(NEXT) | instid1(VALU_DEP_2)
	v_mad_u32 v1, s8, v35, v1
	v_mad_u32 v23, s8, v45, v23
	s_branch .LBB1361_1385
.LBB1361_1384:                          ;   in Loop: Header=BB1361_1385 Depth=3
	s_or_b32 exec_lo, exec_lo, s29
	s_delay_alu instid0(SALU_CYCLE_1) | instskip(NEXT) | instid1(SALU_CYCLE_1)
	s_and_b32 s29, exec_lo, s23
	s_or_b32 s22, s29, s22
	s_and_not1_b32 s28, s28, exec_lo
	s_and_b32 s7, s7, exec_lo
	s_and_not1_b32 s15, s15, exec_lo
	s_and_b32 s29, s27, exec_lo
	s_or_b32 s28, s28, s7
	s_or_b32 s15, s15, s29
	s_and_not1_b32 exec_lo, exec_lo, s22
	s_cbranch_execz .LBB1361_1380
.LBB1361_1385:                          ;   Parent Loop BB1361_1378 Depth=1
                                        ;     Parent Loop BB1361_1382 Depth=2
                                        ; =>    This Inner Loop Header: Depth=3
	global_load_u16 v34, v[0:1], off
	global_load_u16 v35, v[22:23], off
	s_and_not1_b32 s27, s27, exec_lo
	s_or_b32 s23, s23, exec_lo
	s_wait_loadcnt 0x0
	v_cmp_le_u16_e32 vcc_lo, v34, v35
	v_cmp_lt_u16_e64 s7, v34, v35
	s_and_b32 s29, vcc_lo, s28
	s_delay_alu instid0(SALU_CYCLE_1) | instskip(NEXT) | instid1(SALU_CYCLE_1)
	s_or_b32 s7, s7, s29
	s_and_b32 s29, s7, exec_lo
	s_delay_alu instid0(SALU_CYCLE_1)
	s_or_b32 s27, s27, s29
	s_mov_b32 s29, exec_lo
	v_cmpx_eq_u16_e64 v34, v35
	s_cbranch_execz .LBB1361_1384
; %bb.1386:                             ;   in Loop: Header=BB1361_1385 Depth=3
	s_add_nc_u64 s[10:11], s[10:11], -1
	v_add_nc_u64_e32 v[0:1], 2, v[0:1]
	s_cmp_eq_u64 s[10:11], 0
	v_add_nc_u64_e32 v[22:23], 2, v[22:23]
	s_cselect_b32 s28, -1, 0
	s_and_not1_b32 s23, s23, exec_lo
	s_and_b32 s28, s28, exec_lo
	s_and_not1_b32 s27, s27, exec_lo
	s_or_b32 s23, s23, s28
                                        ; implicit-def: $sgpr28
	s_branch .LBB1361_1384
.LBB1361_1387:                          ;   in Loop: Header=BB1361_1378 Depth=1
	s_or_b32 exec_lo, exec_lo, s14
.LBB1361_1388:                          ;   in Loop: Header=BB1361_1378 Depth=1
	s_delay_alu instid0(SALU_CYCLE_1) | instskip(SKIP_1) | instid1(VALU_DEP_1)
	s_or_b32 exec_lo, exec_lo, s13
	v_dual_sub_nc_u32 v0, v30, v27 :: v_dual_add_nc_u32 v22, v27, v29
	v_add_nc_u32_e32 v23, v0, v25
	s_delay_alu instid0(VALU_DEP_2) | instskip(NEXT) | instid1(VALU_DEP_2)
	v_cmp_le_u32_e32 vcc_lo, v22, v25
	v_cmp_le_u32_e64 s7, v23, v26
	s_or_b32 s7, vcc_lo, s7
	s_delay_alu instid0(SALU_CYCLE_1)
	s_and_saveexec_b32 s13, s7
	s_cbranch_execz .LBB1361_1377
; %bb.1389:                             ;   in Loop: Header=BB1361_1378 Depth=1
	s_mov_b32 s10, exec_lo
	v_cmp_ge_u32_e32 vcc_lo, v22, v25
                                        ; implicit-def: $vgpr0_vgpr1
	v_cmpx_lt_u32_e64 v22, v25
; %bb.1390:                             ;   in Loop: Header=BB1361_1378 Depth=1
	v_lshl_add_u32 v0, v27, 3, v28
	ds_load_b64 v[0:1], v0
; %bb.1391:                             ;   in Loop: Header=BB1361_1378 Depth=1
	s_or_b32 exec_lo, exec_lo, s10
	v_cmp_ge_u32_e64 s14, v23, v26
	s_mov_b32 s10, exec_lo
                                        ; implicit-def: $vgpr2_vgpr3
	v_cmpx_lt_u32_e64 v23, v26
; %bb.1392:                             ;   in Loop: Header=BB1361_1378 Depth=1
	v_lshlrev_b32_e32 v2, 3, v23
	ds_load_b64 v[2:3], v2
; %bb.1393:                             ;   in Loop: Header=BB1361_1378 Depth=1
	s_or_b32 exec_lo, exec_lo, s10
	s_nor_b32 s7, vcc_lo, s14
	s_delay_alu instid0(SALU_CYCLE_1)
	s_and_saveexec_b32 s15, s7
	s_cbranch_execz .LBB1361_1402
; %bb.1394:                             ;   in Loop: Header=BB1361_1378 Depth=1
	s_and_not1_b32 vcc_lo, exec_lo, s26
	s_cbranch_vccnz .LBB1361_1400
; %bb.1395:                             ;   in Loop: Header=BB1361_1378 Depth=1
	s_wait_dscnt 0x0
	v_mad_nc_u64_u32 v[4:5], s8, v2, s[18:19]
	v_mad_nc_u64_u32 v[6:7], s8, v0, s[18:19]
	s_mov_b32 s22, 0
	s_mov_b64 s[10:11], s[16:17]
                                        ; implicit-def: $sgpr23
                                        ; implicit-def: $sgpr27
                                        ; implicit-def: $sgpr28
                                        ; implicit-def: $sgpr29
	s_delay_alu instid0(VALU_DEP_2) | instskip(NEXT) | instid1(VALU_DEP_2)
	v_mad_u32 v5, s9, v2, v5
	v_mad_u32 v7, s9, v0, v7
	s_delay_alu instid0(VALU_DEP_2) | instskip(NEXT) | instid1(VALU_DEP_2)
	v_mad_u32 v5, s8, v3, v5
	v_mad_u32 v7, s8, v1, v7
	s_branch .LBB1361_1397
.LBB1361_1396:                          ;   in Loop: Header=BB1361_1397 Depth=2
	s_or_b32 exec_lo, exec_lo, s30
	s_delay_alu instid0(SALU_CYCLE_1) | instskip(NEXT) | instid1(SALU_CYCLE_1)
	s_and_b32 s30, exec_lo, s27
	s_or_b32 s22, s30, s22
	s_and_not1_b32 s29, s29, exec_lo
	s_and_b32 s7, s7, exec_lo
	s_and_not1_b32 s23, s23, exec_lo
	s_and_b32 s30, s28, exec_lo
	s_or_b32 s29, s29, s7
	s_or_b32 s23, s23, s30
	s_and_not1_b32 exec_lo, exec_lo, s22
	s_cbranch_execz .LBB1361_1399
.LBB1361_1397:                          ;   Parent Loop BB1361_1378 Depth=1
                                        ; =>  This Inner Loop Header: Depth=2
	global_load_u16 v8, v[4:5], off
	global_load_u16 v9, v[6:7], off
	s_and_not1_b32 s28, s28, exec_lo
	s_or_b32 s27, s27, exec_lo
	s_wait_loadcnt 0x0
	v_cmp_le_u16_e32 vcc_lo, v8, v9
	v_cmp_lt_u16_e64 s7, v8, v9
	s_and_b32 s30, vcc_lo, s29
	s_delay_alu instid0(SALU_CYCLE_1) | instskip(NEXT) | instid1(SALU_CYCLE_1)
	s_or_b32 s7, s7, s30
	s_and_b32 s30, s7, exec_lo
	s_delay_alu instid0(SALU_CYCLE_1)
	s_or_b32 s28, s28, s30
	s_mov_b32 s30, exec_lo
	v_cmpx_eq_u16_e64 v8, v9
	s_cbranch_execz .LBB1361_1396
; %bb.1398:                             ;   in Loop: Header=BB1361_1397 Depth=2
	s_add_nc_u64 s[10:11], s[10:11], -1
	v_add_nc_u64_e32 v[4:5], 2, v[4:5]
	s_cmp_eq_u64 s[10:11], 0
	v_add_nc_u64_e32 v[6:7], 2, v[6:7]
	s_cselect_b32 s29, -1, 0
	s_and_not1_b32 s27, s27, exec_lo
	s_and_b32 s29, s29, exec_lo
	s_and_not1_b32 s28, s28, exec_lo
	s_or_b32 s27, s27, s29
                                        ; implicit-def: $sgpr29
	s_branch .LBB1361_1396
.LBB1361_1399:                          ;   in Loop: Header=BB1361_1378 Depth=1
	s_or_b32 exec_lo, exec_lo, s22
	s_xor_b32 s7, s23, -1
	s_branch .LBB1361_1401
.LBB1361_1400:                          ;   in Loop: Header=BB1361_1378 Depth=1
	s_mov_b32 s7, -1
.LBB1361_1401:                          ;   in Loop: Header=BB1361_1378 Depth=1
	s_and_not1_b32 s10, s14, exec_lo
	s_and_b32 s7, s7, exec_lo
	s_delay_alu instid0(SALU_CYCLE_1)
	s_or_b32 s14, s10, s7
.LBB1361_1402:                          ;   in Loop: Header=BB1361_1378 Depth=1
	s_or_b32 exec_lo, exec_lo, s15
	v_dual_cndmask_b32 v4, v23, v22, s14 :: v_dual_cndmask_b32 v5, v26, v25, s14
	s_mov_b32 s22, -1
	s_mov_b32 s15, -1
	s_mov_b32 s23, exec_lo
	s_delay_alu instid0(VALU_DEP_1) | instskip(NEXT) | instid1(VALU_DEP_1)
	v_add_nc_u32_e32 v6, 1, v4
	v_add_min_u32_e64 v4, v5, -1, v6
	s_delay_alu instid0(VALU_DEP_1)
	v_lshlrev_b32_e32 v4, 3, v4
	ds_load_b64 v[4:5], v4
	v_cndmask_b32_e64 v8, v6, v23, s14
	s_wait_dscnt 0x0
	v_dual_cndmask_b32 v9, v22, v6, s14 :: v_dual_cndmask_b32 v14, v5, v3, s14
	v_dual_cndmask_b32 v15, v4, v2, s14 :: v_dual_cndmask_b32 v16, v1, v5, s14
	v_cndmask_b32_e64 v22, v0, v4, s14
	v_cmpx_lt_u32_e64 v8, v26
	s_cbranch_execz .LBB1361_1413
; %bb.1403:                             ;   in Loop: Header=BB1361_1378 Depth=1
	s_mov_b32 s7, 0
	s_mov_b32 s15, exec_lo
	v_cmpx_lt_u32_e64 v9, v25
	s_cbranch_execz .LBB1361_1412
; %bb.1404:                             ;   in Loop: Header=BB1361_1378 Depth=1
	s_and_not1_b32 vcc_lo, exec_lo, s26
	s_cbranch_vccnz .LBB1361_1410
; %bb.1405:                             ;   in Loop: Header=BB1361_1378 Depth=1
	v_mad_nc_u64_u32 v[4:5], s8, v15, s[18:19]
	v_mad_nc_u64_u32 v[6:7], s8, v22, s[18:19]
	s_mov_b32 s27, 0
	s_mov_b64 s[10:11], s[16:17]
                                        ; implicit-def: $sgpr28
                                        ; implicit-def: $sgpr29
                                        ; implicit-def: $sgpr30
                                        ; implicit-def: $sgpr31
	s_delay_alu instid0(VALU_DEP_2) | instskip(NEXT) | instid1(VALU_DEP_2)
	v_mad_u32 v5, s9, v15, v5
	v_mad_u32 v7, s9, v22, v7
	s_delay_alu instid0(VALU_DEP_2) | instskip(NEXT) | instid1(VALU_DEP_2)
	v_mad_u32 v5, s8, v14, v5
	v_mad_u32 v7, s8, v16, v7
	s_branch .LBB1361_1407
.LBB1361_1406:                          ;   in Loop: Header=BB1361_1407 Depth=2
	s_or_b32 exec_lo, exec_lo, s33
	s_delay_alu instid0(SALU_CYCLE_1) | instskip(NEXT) | instid1(SALU_CYCLE_1)
	s_and_b32 s33, exec_lo, s29
	s_or_b32 s27, s33, s27
	s_and_not1_b32 s31, s31, exec_lo
	s_and_b32 s7, s7, exec_lo
	s_and_not1_b32 s28, s28, exec_lo
	s_and_b32 s33, s30, exec_lo
	s_or_b32 s31, s31, s7
	s_or_b32 s28, s28, s33
	s_and_not1_b32 exec_lo, exec_lo, s27
	s_cbranch_execz .LBB1361_1409
.LBB1361_1407:                          ;   Parent Loop BB1361_1378 Depth=1
                                        ; =>  This Inner Loop Header: Depth=2
	global_load_u16 v10, v[4:5], off
	global_load_u16 v11, v[6:7], off
	s_and_not1_b32 s30, s30, exec_lo
	s_or_b32 s29, s29, exec_lo
	s_wait_loadcnt 0x0
	v_cmp_le_u16_e32 vcc_lo, v10, v11
	v_cmp_lt_u16_e64 s7, v10, v11
	s_and_b32 s33, vcc_lo, s31
	s_delay_alu instid0(SALU_CYCLE_1) | instskip(NEXT) | instid1(SALU_CYCLE_1)
	s_or_b32 s7, s7, s33
	s_and_b32 s33, s7, exec_lo
	s_delay_alu instid0(SALU_CYCLE_1)
	s_or_b32 s30, s30, s33
	s_mov_b32 s33, exec_lo
	v_cmpx_eq_u16_e64 v10, v11
	s_cbranch_execz .LBB1361_1406
; %bb.1408:                             ;   in Loop: Header=BB1361_1407 Depth=2
	s_add_nc_u64 s[10:11], s[10:11], -1
	v_add_nc_u64_e32 v[4:5], 2, v[4:5]
	s_cmp_eq_u64 s[10:11], 0
	v_add_nc_u64_e32 v[6:7], 2, v[6:7]
	s_cselect_b32 s31, -1, 0
	s_and_not1_b32 s29, s29, exec_lo
	s_and_b32 s31, s31, exec_lo
	s_and_not1_b32 s30, s30, exec_lo
	s_or_b32 s29, s29, s31
                                        ; implicit-def: $sgpr31
	s_branch .LBB1361_1406
.LBB1361_1409:                          ;   in Loop: Header=BB1361_1378 Depth=1
	s_or_b32 exec_lo, exec_lo, s27
	s_xor_b32 s7, s28, -1
	s_branch .LBB1361_1411
.LBB1361_1410:                          ;   in Loop: Header=BB1361_1378 Depth=1
	s_mov_b32 s7, -1
.LBB1361_1411:                          ;   in Loop: Header=BB1361_1378 Depth=1
	s_delay_alu instid0(SALU_CYCLE_1)
	s_and_b32 s7, s7, exec_lo
.LBB1361_1412:                          ;   in Loop: Header=BB1361_1378 Depth=1
	s_or_b32 exec_lo, exec_lo, s15
	s_delay_alu instid0(SALU_CYCLE_1)
	s_or_not1_b32 s15, s7, exec_lo
.LBB1361_1413:                          ;   in Loop: Header=BB1361_1378 Depth=1
	s_or_b32 exec_lo, exec_lo, s23
	v_cndmask_b32_e64 v4, v8, v9, s15
	v_cndmask_b32_e64 v5, v26, v25, s15
	s_mov_b32 s23, exec_lo
	s_delay_alu instid0(VALU_DEP_2) | instskip(NEXT) | instid1(VALU_DEP_1)
	v_add_nc_u32_e32 v6, 1, v4
	v_add_min_u32_e64 v4, v5, -1, v6
	v_dual_cndmask_b32 v8, v6, v8, s15 :: v_dual_cndmask_b32 v9, v9, v6, s15
	s_delay_alu instid0(VALU_DEP_2)
	v_lshlrev_b32_e32 v4, 3, v4
	ds_load_b64 v[4:5], v4
	s_wait_dscnt 0x0
	v_dual_cndmask_b32 v17, v5, v14, s15 :: v_dual_cndmask_b32 v23, v4, v15, s15
	v_dual_cndmask_b32 v27, v16, v5, s15 :: v_dual_cndmask_b32 v28, v22, v4, s15
	v_cmpx_lt_u32_e64 v8, v26
	s_cbranch_execz .LBB1361_1424
; %bb.1414:                             ;   in Loop: Header=BB1361_1378 Depth=1
	s_mov_b32 s7, 0
	s_mov_b32 s22, exec_lo
	v_cmpx_lt_u32_e64 v9, v25
	s_cbranch_execz .LBB1361_1423
; %bb.1415:                             ;   in Loop: Header=BB1361_1378 Depth=1
	s_and_not1_b32 vcc_lo, exec_lo, s26
	s_cbranch_vccnz .LBB1361_1421
; %bb.1416:                             ;   in Loop: Header=BB1361_1378 Depth=1
	v_mad_nc_u64_u32 v[4:5], s8, v23, s[18:19]
	v_mad_nc_u64_u32 v[6:7], s8, v28, s[18:19]
	s_mov_b32 s27, 0
	s_mov_b64 s[10:11], s[16:17]
                                        ; implicit-def: $sgpr28
                                        ; implicit-def: $sgpr29
                                        ; implicit-def: $sgpr30
                                        ; implicit-def: $sgpr31
	s_delay_alu instid0(VALU_DEP_2) | instskip(NEXT) | instid1(VALU_DEP_2)
	v_mad_u32 v5, s9, v23, v5
	v_mad_u32 v7, s9, v28, v7
	s_delay_alu instid0(VALU_DEP_2) | instskip(NEXT) | instid1(VALU_DEP_2)
	v_mad_u32 v5, s8, v17, v5
	v_mad_u32 v7, s8, v27, v7
	s_branch .LBB1361_1418
.LBB1361_1417:                          ;   in Loop: Header=BB1361_1418 Depth=2
	s_or_b32 exec_lo, exec_lo, s33
	s_delay_alu instid0(SALU_CYCLE_1) | instskip(NEXT) | instid1(SALU_CYCLE_1)
	s_and_b32 s33, exec_lo, s29
	s_or_b32 s27, s33, s27
	s_and_not1_b32 s31, s31, exec_lo
	s_and_b32 s7, s7, exec_lo
	s_and_not1_b32 s28, s28, exec_lo
	s_and_b32 s33, s30, exec_lo
	s_or_b32 s31, s31, s7
	s_or_b32 s28, s28, s33
	s_and_not1_b32 exec_lo, exec_lo, s27
	s_cbranch_execz .LBB1361_1420
.LBB1361_1418:                          ;   Parent Loop BB1361_1378 Depth=1
                                        ; =>  This Inner Loop Header: Depth=2
	global_load_u16 v10, v[4:5], off
	global_load_u16 v11, v[6:7], off
	s_and_not1_b32 s30, s30, exec_lo
	s_or_b32 s29, s29, exec_lo
	s_wait_loadcnt 0x0
	v_cmp_le_u16_e32 vcc_lo, v10, v11
	v_cmp_lt_u16_e64 s7, v10, v11
	s_and_b32 s33, vcc_lo, s31
	s_delay_alu instid0(SALU_CYCLE_1) | instskip(NEXT) | instid1(SALU_CYCLE_1)
	s_or_b32 s7, s7, s33
	s_and_b32 s33, s7, exec_lo
	s_delay_alu instid0(SALU_CYCLE_1)
	s_or_b32 s30, s30, s33
	s_mov_b32 s33, exec_lo
	v_cmpx_eq_u16_e64 v10, v11
	s_cbranch_execz .LBB1361_1417
; %bb.1419:                             ;   in Loop: Header=BB1361_1418 Depth=2
	s_add_nc_u64 s[10:11], s[10:11], -1
	v_add_nc_u64_e32 v[4:5], 2, v[4:5]
	s_cmp_eq_u64 s[10:11], 0
	v_add_nc_u64_e32 v[6:7], 2, v[6:7]
	s_cselect_b32 s31, -1, 0
	s_and_not1_b32 s29, s29, exec_lo
	s_and_b32 s31, s31, exec_lo
	s_and_not1_b32 s30, s30, exec_lo
	s_or_b32 s29, s29, s31
                                        ; implicit-def: $sgpr31
	s_branch .LBB1361_1417
.LBB1361_1420:                          ;   in Loop: Header=BB1361_1378 Depth=1
	s_or_b32 exec_lo, exec_lo, s27
	s_xor_b32 s7, s28, -1
	s_branch .LBB1361_1422
.LBB1361_1421:                          ;   in Loop: Header=BB1361_1378 Depth=1
	s_mov_b32 s7, -1
.LBB1361_1422:                          ;   in Loop: Header=BB1361_1378 Depth=1
	s_delay_alu instid0(SALU_CYCLE_1)
	s_and_b32 s7, s7, exec_lo
.LBB1361_1423:                          ;   in Loop: Header=BB1361_1378 Depth=1
	s_or_b32 exec_lo, exec_lo, s22
	s_delay_alu instid0(SALU_CYCLE_1)
	s_or_not1_b32 s22, s7, exec_lo
.LBB1361_1424:                          ;   in Loop: Header=BB1361_1378 Depth=1
	s_or_b32 exec_lo, exec_lo, s23
	v_cndmask_b32_e64 v4, v8, v9, s22
	v_cndmask_b32_e64 v5, v26, v25, s22
	s_mov_b32 s27, -1
	s_mov_b32 s23, -1
	s_mov_b32 s28, exec_lo
	v_add_nc_u32_e32 v6, 1, v4
	s_delay_alu instid0(VALU_DEP_1) | instskip(SKIP_1) | instid1(VALU_DEP_2)
	v_add_min_u32_e64 v4, v5, -1, v6
	v_dual_cndmask_b32 v8, v6, v8, s22 :: v_dual_cndmask_b32 v9, v9, v6, s22
	v_lshlrev_b32_e32 v4, 3, v4
	ds_load_b64 v[4:5], v4
	s_wait_dscnt 0x0
	v_dual_cndmask_b32 v12, v5, v17, s22 :: v_dual_cndmask_b32 v29, v4, v23, s22
	v_dual_cndmask_b32 v13, v27, v5, s22 :: v_dual_cndmask_b32 v30, v28, v4, s22
	v_cmpx_lt_u32_e64 v8, v26
	s_cbranch_execz .LBB1361_1435
; %bb.1425:                             ;   in Loop: Header=BB1361_1378 Depth=1
	s_mov_b32 s7, 0
	s_mov_b32 s23, exec_lo
	v_cmpx_lt_u32_e64 v9, v25
	s_cbranch_execz .LBB1361_1434
; %bb.1426:                             ;   in Loop: Header=BB1361_1378 Depth=1
	s_and_not1_b32 vcc_lo, exec_lo, s26
	s_cbranch_vccnz .LBB1361_1432
; %bb.1427:                             ;   in Loop: Header=BB1361_1378 Depth=1
	v_mad_nc_u64_u32 v[4:5], s8, v29, s[18:19]
	v_mad_nc_u64_u32 v[6:7], s8, v30, s[18:19]
	s_mov_b32 s29, 0
	s_mov_b64 s[10:11], s[16:17]
                                        ; implicit-def: $sgpr30
                                        ; implicit-def: $sgpr31
                                        ; implicit-def: $sgpr33
                                        ; implicit-def: $sgpr34
	s_delay_alu instid0(VALU_DEP_2) | instskip(NEXT) | instid1(VALU_DEP_2)
	v_mad_u32 v5, s9, v29, v5
	v_mad_u32 v7, s9, v30, v7
	s_delay_alu instid0(VALU_DEP_2) | instskip(NEXT) | instid1(VALU_DEP_2)
	v_mad_u32 v5, s8, v12, v5
	v_mad_u32 v7, s8, v13, v7
	s_branch .LBB1361_1429
.LBB1361_1428:                          ;   in Loop: Header=BB1361_1429 Depth=2
	s_or_b32 exec_lo, exec_lo, s35
	s_delay_alu instid0(SALU_CYCLE_1) | instskip(NEXT) | instid1(SALU_CYCLE_1)
	s_and_b32 s35, exec_lo, s31
	s_or_b32 s29, s35, s29
	s_and_not1_b32 s34, s34, exec_lo
	s_and_b32 s7, s7, exec_lo
	s_and_not1_b32 s30, s30, exec_lo
	s_and_b32 s35, s33, exec_lo
	s_or_b32 s34, s34, s7
	s_or_b32 s30, s30, s35
	s_and_not1_b32 exec_lo, exec_lo, s29
	s_cbranch_execz .LBB1361_1431
.LBB1361_1429:                          ;   Parent Loop BB1361_1378 Depth=1
                                        ; =>  This Inner Loop Header: Depth=2
	global_load_u16 v10, v[4:5], off
	global_load_u16 v11, v[6:7], off
	s_and_not1_b32 s33, s33, exec_lo
	s_or_b32 s31, s31, exec_lo
	s_wait_loadcnt 0x0
	v_cmp_le_u16_e32 vcc_lo, v10, v11
	v_cmp_lt_u16_e64 s7, v10, v11
	s_and_b32 s35, vcc_lo, s34
	s_delay_alu instid0(SALU_CYCLE_1) | instskip(NEXT) | instid1(SALU_CYCLE_1)
	s_or_b32 s7, s7, s35
	s_and_b32 s35, s7, exec_lo
	s_delay_alu instid0(SALU_CYCLE_1)
	s_or_b32 s33, s33, s35
	s_mov_b32 s35, exec_lo
	v_cmpx_eq_u16_e64 v10, v11
	s_cbranch_execz .LBB1361_1428
; %bb.1430:                             ;   in Loop: Header=BB1361_1429 Depth=2
	s_add_nc_u64 s[10:11], s[10:11], -1
	v_add_nc_u64_e32 v[4:5], 2, v[4:5]
	s_cmp_eq_u64 s[10:11], 0
	v_add_nc_u64_e32 v[6:7], 2, v[6:7]
	s_cselect_b32 s34, -1, 0
	s_and_not1_b32 s31, s31, exec_lo
	s_and_b32 s34, s34, exec_lo
	s_and_not1_b32 s33, s33, exec_lo
	s_or_b32 s31, s31, s34
                                        ; implicit-def: $sgpr34
	s_branch .LBB1361_1428
.LBB1361_1431:                          ;   in Loop: Header=BB1361_1378 Depth=1
	s_or_b32 exec_lo, exec_lo, s29
	s_xor_b32 s7, s30, -1
	s_branch .LBB1361_1433
.LBB1361_1432:                          ;   in Loop: Header=BB1361_1378 Depth=1
	s_mov_b32 s7, -1
.LBB1361_1433:                          ;   in Loop: Header=BB1361_1378 Depth=1
	s_delay_alu instid0(SALU_CYCLE_1)
	s_and_b32 s7, s7, exec_lo
.LBB1361_1434:                          ;   in Loop: Header=BB1361_1378 Depth=1
	s_or_b32 exec_lo, exec_lo, s23
	s_delay_alu instid0(SALU_CYCLE_1)
	s_or_not1_b32 s23, s7, exec_lo
.LBB1361_1435:                          ;   in Loop: Header=BB1361_1378 Depth=1
	s_or_b32 exec_lo, exec_lo, s28
	v_cndmask_b32_e64 v4, v8, v9, s23
	v_cndmask_b32_e64 v5, v26, v25, s23
	s_mov_b32 s28, exec_lo
	s_delay_alu instid0(VALU_DEP_2) | instskip(NEXT) | instid1(VALU_DEP_1)
	v_add_nc_u32_e32 v6, 1, v4
	v_add_min_u32_e64 v4, v5, -1, v6
	v_dual_cndmask_b32 v8, v6, v8, s23 :: v_dual_cndmask_b32 v9, v9, v6, s23
	s_delay_alu instid0(VALU_DEP_2)
	v_lshlrev_b32_e32 v4, 3, v4
	ds_load_b64 v[4:5], v4
	s_wait_dscnt 0x0
	v_dual_cndmask_b32 v31, v5, v12, s23 :: v_dual_cndmask_b32 v32, v4, v29, s23
	v_dual_cndmask_b32 v33, v13, v5, s23 :: v_dual_cndmask_b32 v34, v30, v4, s23
	v_cmpx_lt_u32_e64 v8, v26
	s_cbranch_execz .LBB1361_1446
; %bb.1436:                             ;   in Loop: Header=BB1361_1378 Depth=1
	s_mov_b32 s7, 0
	s_mov_b32 s27, exec_lo
	v_cmpx_lt_u32_e64 v9, v25
	s_cbranch_execz .LBB1361_1445
; %bb.1437:                             ;   in Loop: Header=BB1361_1378 Depth=1
	s_and_not1_b32 vcc_lo, exec_lo, s26
	s_cbranch_vccnz .LBB1361_1443
; %bb.1438:                             ;   in Loop: Header=BB1361_1378 Depth=1
	v_mad_nc_u64_u32 v[4:5], s8, v32, s[18:19]
	v_mad_nc_u64_u32 v[6:7], s8, v34, s[18:19]
	s_mov_b32 s29, 0
	s_mov_b64 s[10:11], s[16:17]
                                        ; implicit-def: $sgpr30
                                        ; implicit-def: $sgpr31
                                        ; implicit-def: $sgpr33
                                        ; implicit-def: $sgpr34
	s_delay_alu instid0(VALU_DEP_2) | instskip(NEXT) | instid1(VALU_DEP_2)
	v_mad_u32 v5, s9, v32, v5
	v_mad_u32 v7, s9, v34, v7
	s_delay_alu instid0(VALU_DEP_2) | instskip(NEXT) | instid1(VALU_DEP_2)
	v_mad_u32 v5, s8, v31, v5
	v_mad_u32 v7, s8, v33, v7
	s_branch .LBB1361_1440
.LBB1361_1439:                          ;   in Loop: Header=BB1361_1440 Depth=2
	s_or_b32 exec_lo, exec_lo, s35
	s_delay_alu instid0(SALU_CYCLE_1) | instskip(NEXT) | instid1(SALU_CYCLE_1)
	s_and_b32 s35, exec_lo, s31
	s_or_b32 s29, s35, s29
	s_and_not1_b32 s34, s34, exec_lo
	s_and_b32 s7, s7, exec_lo
	s_and_not1_b32 s30, s30, exec_lo
	s_and_b32 s35, s33, exec_lo
	s_or_b32 s34, s34, s7
	s_or_b32 s30, s30, s35
	s_and_not1_b32 exec_lo, exec_lo, s29
	s_cbranch_execz .LBB1361_1442
.LBB1361_1440:                          ;   Parent Loop BB1361_1378 Depth=1
                                        ; =>  This Inner Loop Header: Depth=2
	global_load_u16 v10, v[4:5], off
	global_load_u16 v11, v[6:7], off
	s_and_not1_b32 s33, s33, exec_lo
	s_or_b32 s31, s31, exec_lo
	s_wait_loadcnt 0x0
	v_cmp_le_u16_e32 vcc_lo, v10, v11
	v_cmp_lt_u16_e64 s7, v10, v11
	s_and_b32 s35, vcc_lo, s34
	s_delay_alu instid0(SALU_CYCLE_1) | instskip(NEXT) | instid1(SALU_CYCLE_1)
	s_or_b32 s7, s7, s35
	s_and_b32 s35, s7, exec_lo
	s_delay_alu instid0(SALU_CYCLE_1)
	s_or_b32 s33, s33, s35
	s_mov_b32 s35, exec_lo
	v_cmpx_eq_u16_e64 v10, v11
	s_cbranch_execz .LBB1361_1439
; %bb.1441:                             ;   in Loop: Header=BB1361_1440 Depth=2
	s_add_nc_u64 s[10:11], s[10:11], -1
	v_add_nc_u64_e32 v[4:5], 2, v[4:5]
	s_cmp_eq_u64 s[10:11], 0
	v_add_nc_u64_e32 v[6:7], 2, v[6:7]
	s_cselect_b32 s34, -1, 0
	s_and_not1_b32 s31, s31, exec_lo
	s_and_b32 s34, s34, exec_lo
	s_and_not1_b32 s33, s33, exec_lo
	s_or_b32 s31, s31, s34
                                        ; implicit-def: $sgpr34
	s_branch .LBB1361_1439
.LBB1361_1442:                          ;   in Loop: Header=BB1361_1378 Depth=1
	s_or_b32 exec_lo, exec_lo, s29
	s_xor_b32 s7, s30, -1
	s_branch .LBB1361_1444
.LBB1361_1443:                          ;   in Loop: Header=BB1361_1378 Depth=1
	s_mov_b32 s7, -1
.LBB1361_1444:                          ;   in Loop: Header=BB1361_1378 Depth=1
	s_delay_alu instid0(SALU_CYCLE_1)
	s_and_b32 s7, s7, exec_lo
.LBB1361_1445:                          ;   in Loop: Header=BB1361_1378 Depth=1
	s_or_b32 exec_lo, exec_lo, s27
	s_delay_alu instid0(SALU_CYCLE_1)
	s_or_not1_b32 s27, s7, exec_lo
.LBB1361_1446:                          ;   in Loop: Header=BB1361_1378 Depth=1
	s_or_b32 exec_lo, exec_lo, s28
	v_cndmask_b32_e64 v4, v8, v9, s27
	v_cndmask_b32_e64 v5, v26, v25, s27
	s_mov_b32 s28, -1
	s_mov_b32 s29, -1
	s_mov_b32 s30, exec_lo
	v_add_nc_u32_e32 v6, 1, v4
	s_delay_alu instid0(VALU_DEP_1) | instskip(SKIP_1) | instid1(VALU_DEP_2)
	v_add_min_u32_e64 v4, v5, -1, v6
	v_dual_cndmask_b32 v8, v6, v8, s27 :: v_dual_cndmask_b32 v9, v9, v6, s27
	v_lshlrev_b32_e32 v4, 3, v4
	ds_load_b64 v[4:5], v4
	s_wait_dscnt 0x0
	v_dual_cndmask_b32 v35, v5, v31, s27 :: v_dual_cndmask_b32 v43, v4, v32, s27
	v_dual_cndmask_b32 v44, v33, v5, s27 :: v_dual_cndmask_b32 v45, v34, v4, s27
	v_cmpx_lt_u32_e64 v8, v26
	s_cbranch_execz .LBB1361_1457
; %bb.1447:                             ;   in Loop: Header=BB1361_1378 Depth=1
	s_mov_b32 s7, 0
	s_mov_b32 s29, exec_lo
	v_cmpx_lt_u32_e64 v9, v25
	s_cbranch_execz .LBB1361_1456
; %bb.1448:                             ;   in Loop: Header=BB1361_1378 Depth=1
	s_and_not1_b32 vcc_lo, exec_lo, s26
	s_cbranch_vccnz .LBB1361_1454
; %bb.1449:                             ;   in Loop: Header=BB1361_1378 Depth=1
	v_mad_nc_u64_u32 v[4:5], s8, v43, s[18:19]
	v_mad_nc_u64_u32 v[6:7], s8, v45, s[18:19]
	s_mov_b32 s31, 0
	s_mov_b64 s[10:11], s[16:17]
                                        ; implicit-def: $sgpr33
                                        ; implicit-def: $sgpr34
                                        ; implicit-def: $sgpr35
                                        ; implicit-def: $sgpr36
	s_delay_alu instid0(VALU_DEP_2) | instskip(NEXT) | instid1(VALU_DEP_2)
	v_mad_u32 v5, s9, v43, v5
	v_mad_u32 v7, s9, v45, v7
	s_delay_alu instid0(VALU_DEP_2) | instskip(NEXT) | instid1(VALU_DEP_2)
	v_mad_u32 v5, s8, v35, v5
	v_mad_u32 v7, s8, v44, v7
	s_branch .LBB1361_1451
.LBB1361_1450:                          ;   in Loop: Header=BB1361_1451 Depth=2
	s_or_b32 exec_lo, exec_lo, s37
	s_delay_alu instid0(SALU_CYCLE_1) | instskip(NEXT) | instid1(SALU_CYCLE_1)
	s_and_b32 s37, exec_lo, s34
	s_or_b32 s31, s37, s31
	s_and_not1_b32 s36, s36, exec_lo
	s_and_b32 s7, s7, exec_lo
	s_and_not1_b32 s33, s33, exec_lo
	s_and_b32 s37, s35, exec_lo
	s_or_b32 s36, s36, s7
	s_or_b32 s33, s33, s37
	s_and_not1_b32 exec_lo, exec_lo, s31
	s_cbranch_execz .LBB1361_1453
.LBB1361_1451:                          ;   Parent Loop BB1361_1378 Depth=1
                                        ; =>  This Inner Loop Header: Depth=2
	global_load_u16 v10, v[4:5], off
	global_load_u16 v11, v[6:7], off
	s_and_not1_b32 s35, s35, exec_lo
	s_or_b32 s34, s34, exec_lo
	s_wait_loadcnt 0x0
	v_cmp_le_u16_e32 vcc_lo, v10, v11
	v_cmp_lt_u16_e64 s7, v10, v11
	s_and_b32 s37, vcc_lo, s36
	s_delay_alu instid0(SALU_CYCLE_1) | instskip(NEXT) | instid1(SALU_CYCLE_1)
	s_or_b32 s7, s7, s37
	s_and_b32 s37, s7, exec_lo
	s_delay_alu instid0(SALU_CYCLE_1)
	s_or_b32 s35, s35, s37
	s_mov_b32 s37, exec_lo
	v_cmpx_eq_u16_e64 v10, v11
	s_cbranch_execz .LBB1361_1450
; %bb.1452:                             ;   in Loop: Header=BB1361_1451 Depth=2
	s_add_nc_u64 s[10:11], s[10:11], -1
	v_add_nc_u64_e32 v[4:5], 2, v[4:5]
	s_cmp_eq_u64 s[10:11], 0
	v_add_nc_u64_e32 v[6:7], 2, v[6:7]
	s_cselect_b32 s36, -1, 0
	s_and_not1_b32 s34, s34, exec_lo
	s_and_b32 s36, s36, exec_lo
	s_and_not1_b32 s35, s35, exec_lo
	s_or_b32 s34, s34, s36
                                        ; implicit-def: $sgpr36
	s_branch .LBB1361_1450
.LBB1361_1453:                          ;   in Loop: Header=BB1361_1378 Depth=1
	s_or_b32 exec_lo, exec_lo, s31
	s_xor_b32 s7, s33, -1
	s_branch .LBB1361_1455
.LBB1361_1454:                          ;   in Loop: Header=BB1361_1378 Depth=1
	s_mov_b32 s7, -1
.LBB1361_1455:                          ;   in Loop: Header=BB1361_1378 Depth=1
	s_delay_alu instid0(SALU_CYCLE_1)
	s_and_b32 s7, s7, exec_lo
.LBB1361_1456:                          ;   in Loop: Header=BB1361_1378 Depth=1
	s_or_b32 exec_lo, exec_lo, s29
	s_delay_alu instid0(SALU_CYCLE_1)
	s_or_not1_b32 s29, s7, exec_lo
.LBB1361_1457:                          ;   in Loop: Header=BB1361_1378 Depth=1
	s_or_b32 exec_lo, exec_lo, s30
	v_cndmask_b32_e64 v4, v8, v9, s29
	v_cndmask_b32_e64 v5, v26, v25, s29
	s_mov_b32 s30, exec_lo
	s_delay_alu instid0(VALU_DEP_2) | instskip(NEXT) | instid1(VALU_DEP_1)
	v_add_nc_u32_e32 v6, 1, v4
	v_add_min_u32_e64 v4, v5, -1, v6
	v_dual_cndmask_b32 v10, v6, v8, s29 :: v_dual_cndmask_b32 v8, v9, v6, s29
	s_delay_alu instid0(VALU_DEP_2)
	v_lshlrev_b32_e32 v4, 3, v4
	ds_load_b64 v[4:5], v4
	s_wait_dscnt 0x0
	v_dual_cndmask_b32 v46, v5, v35, s29 :: v_dual_cndmask_b32 v48, v44, v5, s29
	v_dual_cndmask_b32 v47, v4, v43, s29 :: v_dual_cndmask_b32 v49, v45, v4, s29
	v_cmpx_lt_u32_e64 v10, v26
	s_cbranch_execz .LBB1361_1468
; %bb.1458:                             ;   in Loop: Header=BB1361_1378 Depth=1
	s_mov_b32 s7, 0
	s_mov_b32 s28, exec_lo
	v_cmpx_lt_u32_e64 v8, v25
	s_cbranch_execz .LBB1361_1467
; %bb.1459:                             ;   in Loop: Header=BB1361_1378 Depth=1
	s_and_not1_b32 vcc_lo, exec_lo, s26
	s_cbranch_vccnz .LBB1361_1465
; %bb.1460:                             ;   in Loop: Header=BB1361_1378 Depth=1
	v_mad_nc_u64_u32 v[4:5], s8, v47, s[18:19]
	v_mad_nc_u64_u32 v[6:7], s8, v49, s[18:19]
	s_mov_b32 s31, 0
	s_mov_b64 s[10:11], s[16:17]
                                        ; implicit-def: $sgpr33
                                        ; implicit-def: $sgpr34
                                        ; implicit-def: $sgpr35
                                        ; implicit-def: $sgpr36
	s_delay_alu instid0(VALU_DEP_2) | instskip(NEXT) | instid1(VALU_DEP_2)
	v_mad_u32 v5, s9, v47, v5
	v_mad_u32 v7, s9, v49, v7
	s_delay_alu instid0(VALU_DEP_2) | instskip(NEXT) | instid1(VALU_DEP_2)
	v_mad_u32 v5, s8, v46, v5
	v_mad_u32 v7, s8, v48, v7
	s_branch .LBB1361_1462
.LBB1361_1461:                          ;   in Loop: Header=BB1361_1462 Depth=2
	s_or_b32 exec_lo, exec_lo, s37
	s_delay_alu instid0(SALU_CYCLE_1) | instskip(NEXT) | instid1(SALU_CYCLE_1)
	s_and_b32 s37, exec_lo, s34
	s_or_b32 s31, s37, s31
	s_and_not1_b32 s36, s36, exec_lo
	s_and_b32 s7, s7, exec_lo
	s_and_not1_b32 s33, s33, exec_lo
	s_and_b32 s37, s35, exec_lo
	s_or_b32 s36, s36, s7
	s_or_b32 s33, s33, s37
	s_and_not1_b32 exec_lo, exec_lo, s31
	s_cbranch_execz .LBB1361_1464
.LBB1361_1462:                          ;   Parent Loop BB1361_1378 Depth=1
                                        ; =>  This Inner Loop Header: Depth=2
	global_load_u16 v9, v[4:5], off
	global_load_u16 v11, v[6:7], off
	s_and_not1_b32 s35, s35, exec_lo
	s_or_b32 s34, s34, exec_lo
	s_wait_loadcnt 0x0
	v_cmp_le_u16_e32 vcc_lo, v9, v11
	v_cmp_lt_u16_e64 s7, v9, v11
	s_and_b32 s37, vcc_lo, s36
	s_delay_alu instid0(SALU_CYCLE_1) | instskip(NEXT) | instid1(SALU_CYCLE_1)
	s_or_b32 s7, s7, s37
	s_and_b32 s37, s7, exec_lo
	s_delay_alu instid0(SALU_CYCLE_1)
	s_or_b32 s35, s35, s37
	s_mov_b32 s37, exec_lo
	v_cmpx_eq_u16_e64 v9, v11
	s_cbranch_execz .LBB1361_1461
; %bb.1463:                             ;   in Loop: Header=BB1361_1462 Depth=2
	s_add_nc_u64 s[10:11], s[10:11], -1
	v_add_nc_u64_e32 v[4:5], 2, v[4:5]
	s_cmp_eq_u64 s[10:11], 0
	v_add_nc_u64_e32 v[6:7], 2, v[6:7]
	s_cselect_b32 s36, -1, 0
	s_and_not1_b32 s34, s34, exec_lo
	s_and_b32 s36, s36, exec_lo
	s_and_not1_b32 s35, s35, exec_lo
	s_or_b32 s34, s34, s36
                                        ; implicit-def: $sgpr36
	s_branch .LBB1361_1461
.LBB1361_1464:                          ;   in Loop: Header=BB1361_1378 Depth=1
	s_or_b32 exec_lo, exec_lo, s31
	s_xor_b32 s7, s33, -1
	s_branch .LBB1361_1466
.LBB1361_1465:                          ;   in Loop: Header=BB1361_1378 Depth=1
	s_mov_b32 s7, -1
.LBB1361_1466:                          ;   in Loop: Header=BB1361_1378 Depth=1
	s_delay_alu instid0(SALU_CYCLE_1)
	s_and_b32 s7, s7, exec_lo
.LBB1361_1467:                          ;   in Loop: Header=BB1361_1378 Depth=1
	s_or_b32 exec_lo, exec_lo, s28
	s_delay_alu instid0(SALU_CYCLE_1)
	s_or_not1_b32 s28, s7, exec_lo
.LBB1361_1468:                          ;   in Loop: Header=BB1361_1378 Depth=1
	s_or_b32 exec_lo, exec_lo, s30
	v_cndmask_b32_e64 v4, v10, v8, s28
	v_cndmask_b32_e64 v5, v26, v25, s28
	s_mov_b32 s30, exec_lo
	s_delay_alu instid0(VALU_DEP_2) | instskip(NEXT) | instid1(VALU_DEP_1)
	v_add_nc_u32_e32 v9, 1, v4
	v_add_min_u32_e64 v4, v5, -1, v9
	s_delay_alu instid0(VALU_DEP_1)
	v_dual_cndmask_b32 v10, v9, v10, s28 :: v_dual_lshlrev_b32 v4, 3, v4
	ds_load_b64 v[6:7], v4
	s_wait_dscnt 0x0
	v_dual_cndmask_b32 v5, v48, v7, s28 :: v_dual_cndmask_b32 v4, v49, v6, s28
	v_cmpx_lt_u32_e64 v10, v26
	s_cbranch_execz .LBB1361_1376
; %bb.1469:                             ;   in Loop: Header=BB1361_1378 Depth=1
	v_dual_cndmask_b32 v8, v8, v9, s28 :: v_dual_cndmask_b32 v7, v7, v46, s28
	v_cndmask_b32_e64 v6, v6, v47, s28
	s_mov_b32 s31, exec_lo
	s_delay_alu instid0(VALU_DEP_2)
	v_cmpx_lt_u32_e64 v8, v25
	s_cbranch_execz .LBB1361_1375
; %bb.1470:                             ;   in Loop: Header=BB1361_1378 Depth=1
	s_and_not1_b32 vcc_lo, exec_lo, s26
	s_cbranch_vccnz .LBB1361_1374
; %bb.1471:                             ;   in Loop: Header=BB1361_1378 Depth=1
	v_mad_nc_u64_u32 v[8:9], s8, v6, s[18:19]
	v_mad_nc_u64_u32 v[10:11], s8, v4, s[18:19]
	s_mov_b32 s33, 0
	s_mov_b64 s[10:11], s[16:17]
                                        ; implicit-def: $sgpr34
                                        ; implicit-def: $sgpr35
                                        ; implicit-def: $sgpr36
                                        ; implicit-def: $sgpr37
	s_delay_alu instid0(VALU_DEP_2) | instskip(NEXT) | instid1(VALU_DEP_2)
	v_mad_u32 v9, s9, v6, v9
	v_mad_u32 v11, s9, v4, v11
	s_delay_alu instid0(VALU_DEP_2) | instskip(NEXT) | instid1(VALU_DEP_2)
	v_mad_u32 v9, s8, v7, v9
	v_mad_u32 v11, s8, v5, v11
	s_branch .LBB1361_1473
.LBB1361_1472:                          ;   in Loop: Header=BB1361_1473 Depth=2
	s_or_b32 exec_lo, exec_lo, s38
	s_delay_alu instid0(SALU_CYCLE_1) | instskip(NEXT) | instid1(SALU_CYCLE_1)
	s_and_b32 s38, exec_lo, s35
	s_or_b32 s33, s38, s33
	s_and_not1_b32 s37, s37, exec_lo
	s_and_b32 s7, s7, exec_lo
	s_and_not1_b32 s34, s34, exec_lo
	s_and_b32 s38, s36, exec_lo
	s_or_b32 s37, s37, s7
	s_or_b32 s34, s34, s38
	s_and_not1_b32 exec_lo, exec_lo, s33
	s_cbranch_execz .LBB1361_1373
.LBB1361_1473:                          ;   Parent Loop BB1361_1378 Depth=1
                                        ; =>  This Inner Loop Header: Depth=2
	global_load_u16 v25, v[8:9], off
	global_load_u16 v26, v[10:11], off
	s_and_not1_b32 s36, s36, exec_lo
	s_or_b32 s35, s35, exec_lo
	s_wait_loadcnt 0x0
	v_cmp_le_u16_e32 vcc_lo, v25, v26
	v_cmp_lt_u16_e64 s7, v25, v26
	s_and_b32 s38, vcc_lo, s37
	s_delay_alu instid0(SALU_CYCLE_1) | instskip(NEXT) | instid1(SALU_CYCLE_1)
	s_or_b32 s7, s7, s38
	s_and_b32 s38, s7, exec_lo
	s_delay_alu instid0(SALU_CYCLE_1)
	s_or_b32 s36, s36, s38
	s_mov_b32 s38, exec_lo
	v_cmpx_eq_u16_e64 v25, v26
	s_cbranch_execz .LBB1361_1472
; %bb.1474:                             ;   in Loop: Header=BB1361_1473 Depth=2
	s_add_nc_u64 s[10:11], s[10:11], -1
	v_add_nc_u64_e32 v[8:9], 2, v[8:9]
	s_cmp_eq_u64 s[10:11], 0
	v_add_nc_u64_e32 v[10:11], 2, v[10:11]
	s_cselect_b32 s37, -1, 0
	s_and_not1_b32 s35, s35, exec_lo
	s_and_b32 s37, s37, exec_lo
	s_and_not1_b32 s36, s36, exec_lo
	s_or_b32 s35, s35, s37
                                        ; implicit-def: $sgpr37
	s_branch .LBB1361_1472
.LBB1361_1475:
	s_barrier_signal -1
	s_barrier_wait -1
	ds_store_2addr_b64 v42, v[14:15], v[16:17] offset1:1
	ds_store_2addr_b64 v42, v[10:11], v[12:13] offset0:2 offset1:3
	ds_store_2addr_b64 v42, v[6:7], v[8:9] offset0:4 offset1:5
	;; [unrolled: 1-line block ×3, first 2 shown]
	s_wait_dscnt 0x0
	s_barrier_signal -1
	s_barrier_wait -1
	ds_load_b64 v[14:15], v21 offset:2048
	ds_load_b64 v[12:13], v36 offset:4096
	;; [unrolled: 1-line block ×7, first 2 shown]
	v_mov_b32_e32 v21, 0
	s_delay_alu instid0(VALU_DEP_1)
	v_add_nc_u64_e32 v[4:5], s[20:21], v[20:21]
	s_and_saveexec_b32 s7, s0
	s_cbranch_execnz .LBB1361_1487
; %bb.1476:
	s_or_b32 exec_lo, exec_lo, s7
	s_and_saveexec_b32 s0, s1
	s_cbranch_execnz .LBB1361_1488
.LBB1361_1477:
	s_or_b32 exec_lo, exec_lo, s0
	s_and_saveexec_b32 s0, s2
	s_cbranch_execnz .LBB1361_1489
.LBB1361_1478:
	s_or_b32 exec_lo, exec_lo, s0
	s_and_saveexec_b32 s0, s3
	s_cbranch_execnz .LBB1361_1490
.LBB1361_1479:
	s_or_b32 exec_lo, exec_lo, s0
	s_and_saveexec_b32 s0, s4
	s_cbranch_execnz .LBB1361_1491
.LBB1361_1480:
	s_or_b32 exec_lo, exec_lo, s0
	s_and_saveexec_b32 s0, s5
	s_cbranch_execnz .LBB1361_1492
.LBB1361_1481:
	s_or_b32 exec_lo, exec_lo, s0
	s_and_saveexec_b32 s0, s6
	s_cbranch_execz .LBB1361_1483
.LBB1361_1482:
	s_wait_dscnt 0x1
	global_store_b64 v[4:5], v[0:1], off offset:12288
.LBB1361_1483:
	s_wait_xcnt 0x0
	s_or_b32 exec_lo, exec_lo, s0
	v_mov_b32_e32 v19, v21
.LBB1361_1484:
	s_wait_xcnt 0x0
	s_and_saveexec_b32 s0, s24
	s_cbranch_execz .LBB1361_1486
; %bb.1485:
	s_wait_dscnt 0x1
	v_lshl_add_u64 v[0:1], v[18:19], 3, s[20:21]
	s_wait_dscnt 0x0
	global_store_b64 v[0:1], v[2:3], off offset:14336
.LBB1361_1486:
	s_endpgm
.LBB1361_1487:
	ds_load_b64 v[16:17], v19
	s_wait_dscnt 0x0
	global_store_b64 v[4:5], v[16:17], off
	s_wait_xcnt 0x0
	s_or_b32 exec_lo, exec_lo, s7
	s_and_saveexec_b32 s0, s1
	s_cbranch_execz .LBB1361_1477
.LBB1361_1488:
	s_wait_dscnt 0x6
	global_store_b64 v[4:5], v[14:15], off offset:2048
	s_wait_xcnt 0x0
	s_or_b32 exec_lo, exec_lo, s0
	s_and_saveexec_b32 s0, s2
	s_cbranch_execz .LBB1361_1478
.LBB1361_1489:
	s_wait_dscnt 0x5
	global_store_b64 v[4:5], v[12:13], off offset:4096
	s_wait_xcnt 0x0
	s_or_b32 exec_lo, exec_lo, s0
	s_and_saveexec_b32 s0, s3
	s_cbranch_execz .LBB1361_1479
.LBB1361_1490:
	s_wait_dscnt 0x4
	global_store_b64 v[4:5], v[10:11], off offset:6144
	s_wait_xcnt 0x0
	s_or_b32 exec_lo, exec_lo, s0
	s_and_saveexec_b32 s0, s4
	s_cbranch_execz .LBB1361_1480
.LBB1361_1491:
	s_wait_dscnt 0x3
	global_store_b64 v[4:5], v[8:9], off offset:8192
	s_wait_xcnt 0x0
	s_or_b32 exec_lo, exec_lo, s0
	s_and_saveexec_b32 s0, s5
	s_cbranch_execz .LBB1361_1481
.LBB1361_1492:
	s_wait_dscnt 0x2
	global_store_b64 v[4:5], v[6:7], off offset:10240
	s_wait_xcnt 0x0
	s_or_b32 exec_lo, exec_lo, s0
	s_and_saveexec_b32 s0, s6
	s_cbranch_execnz .LBB1361_1482
	s_branch .LBB1361_1483
	.section	.rodata,"a",@progbits
	.p2align	6, 0x0
	.amdhsa_kernel _ZN7rocprim17ROCPRIM_400000_NS6detail17trampoline_kernelINS0_14default_configENS1_37merge_sort_block_sort_config_selectorIlNS0_10empty_typeEEEZNS1_21merge_sort_block_sortIS3_PlS8_PS5_S9_ZN2at6native12_GLOBAL__N_124unique_dim_cuda_templateItEESt5tupleIJNSA_6TensorESF_SF_EERKSF_lbbbEUlllE_EE10hipError_tT0_T1_T2_T3_mRjT4_P12ihipStream_tbNS1_7vsmem_tEEUlT_E_NS1_11comp_targetILNS1_3genE0ELNS1_11target_archE4294967295ELNS1_3gpuE0ELNS1_3repE0EEENS1_30default_config_static_selectorELNS0_4arch9wavefront6targetE0EEEvSM_
		.amdhsa_group_segment_fixed_size 16896
		.amdhsa_private_segment_fixed_size 0
		.amdhsa_kernarg_size 328
		.amdhsa_user_sgpr_count 2
		.amdhsa_user_sgpr_dispatch_ptr 0
		.amdhsa_user_sgpr_queue_ptr 0
		.amdhsa_user_sgpr_kernarg_segment_ptr 1
		.amdhsa_user_sgpr_dispatch_id 0
		.amdhsa_user_sgpr_kernarg_preload_length 0
		.amdhsa_user_sgpr_kernarg_preload_offset 0
		.amdhsa_user_sgpr_private_segment_size 0
		.amdhsa_wavefront_size32 1
		.amdhsa_uses_dynamic_stack 0
		.amdhsa_enable_private_segment 0
		.amdhsa_system_sgpr_workgroup_id_x 1
		.amdhsa_system_sgpr_workgroup_id_y 1
		.amdhsa_system_sgpr_workgroup_id_z 1
		.amdhsa_system_sgpr_workgroup_info 0
		.amdhsa_system_vgpr_workitem_id 2
		.amdhsa_next_free_vgpr 56
		.amdhsa_next_free_sgpr 39
		.amdhsa_named_barrier_count 0
		.amdhsa_reserve_vcc 1
		.amdhsa_float_round_mode_32 0
		.amdhsa_float_round_mode_16_64 0
		.amdhsa_float_denorm_mode_32 3
		.amdhsa_float_denorm_mode_16_64 3
		.amdhsa_fp16_overflow 0
		.amdhsa_memory_ordered 1
		.amdhsa_forward_progress 1
		.amdhsa_inst_pref_size 255
		.amdhsa_round_robin_scheduling 0
		.amdhsa_exception_fp_ieee_invalid_op 0
		.amdhsa_exception_fp_denorm_src 0
		.amdhsa_exception_fp_ieee_div_zero 0
		.amdhsa_exception_fp_ieee_overflow 0
		.amdhsa_exception_fp_ieee_underflow 0
		.amdhsa_exception_fp_ieee_inexact 0
		.amdhsa_exception_int_div_zero 0
	.end_amdhsa_kernel
	.section	.text._ZN7rocprim17ROCPRIM_400000_NS6detail17trampoline_kernelINS0_14default_configENS1_37merge_sort_block_sort_config_selectorIlNS0_10empty_typeEEEZNS1_21merge_sort_block_sortIS3_PlS8_PS5_S9_ZN2at6native12_GLOBAL__N_124unique_dim_cuda_templateItEESt5tupleIJNSA_6TensorESF_SF_EERKSF_lbbbEUlllE_EE10hipError_tT0_T1_T2_T3_mRjT4_P12ihipStream_tbNS1_7vsmem_tEEUlT_E_NS1_11comp_targetILNS1_3genE0ELNS1_11target_archE4294967295ELNS1_3gpuE0ELNS1_3repE0EEENS1_30default_config_static_selectorELNS0_4arch9wavefront6targetE0EEEvSM_,"axG",@progbits,_ZN7rocprim17ROCPRIM_400000_NS6detail17trampoline_kernelINS0_14default_configENS1_37merge_sort_block_sort_config_selectorIlNS0_10empty_typeEEEZNS1_21merge_sort_block_sortIS3_PlS8_PS5_S9_ZN2at6native12_GLOBAL__N_124unique_dim_cuda_templateItEESt5tupleIJNSA_6TensorESF_SF_EERKSF_lbbbEUlllE_EE10hipError_tT0_T1_T2_T3_mRjT4_P12ihipStream_tbNS1_7vsmem_tEEUlT_E_NS1_11comp_targetILNS1_3genE0ELNS1_11target_archE4294967295ELNS1_3gpuE0ELNS1_3repE0EEENS1_30default_config_static_selectorELNS0_4arch9wavefront6targetE0EEEvSM_,comdat
.Lfunc_end1361:
	.size	_ZN7rocprim17ROCPRIM_400000_NS6detail17trampoline_kernelINS0_14default_configENS1_37merge_sort_block_sort_config_selectorIlNS0_10empty_typeEEEZNS1_21merge_sort_block_sortIS3_PlS8_PS5_S9_ZN2at6native12_GLOBAL__N_124unique_dim_cuda_templateItEESt5tupleIJNSA_6TensorESF_SF_EERKSF_lbbbEUlllE_EE10hipError_tT0_T1_T2_T3_mRjT4_P12ihipStream_tbNS1_7vsmem_tEEUlT_E_NS1_11comp_targetILNS1_3genE0ELNS1_11target_archE4294967295ELNS1_3gpuE0ELNS1_3repE0EEENS1_30default_config_static_selectorELNS0_4arch9wavefront6targetE0EEEvSM_, .Lfunc_end1361-_ZN7rocprim17ROCPRIM_400000_NS6detail17trampoline_kernelINS0_14default_configENS1_37merge_sort_block_sort_config_selectorIlNS0_10empty_typeEEEZNS1_21merge_sort_block_sortIS3_PlS8_PS5_S9_ZN2at6native12_GLOBAL__N_124unique_dim_cuda_templateItEESt5tupleIJNSA_6TensorESF_SF_EERKSF_lbbbEUlllE_EE10hipError_tT0_T1_T2_T3_mRjT4_P12ihipStream_tbNS1_7vsmem_tEEUlT_E_NS1_11comp_targetILNS1_3genE0ELNS1_11target_archE4294967295ELNS1_3gpuE0ELNS1_3repE0EEENS1_30default_config_static_selectorELNS0_4arch9wavefront6targetE0EEEvSM_
                                        ; -- End function
	.set _ZN7rocprim17ROCPRIM_400000_NS6detail17trampoline_kernelINS0_14default_configENS1_37merge_sort_block_sort_config_selectorIlNS0_10empty_typeEEEZNS1_21merge_sort_block_sortIS3_PlS8_PS5_S9_ZN2at6native12_GLOBAL__N_124unique_dim_cuda_templateItEESt5tupleIJNSA_6TensorESF_SF_EERKSF_lbbbEUlllE_EE10hipError_tT0_T1_T2_T3_mRjT4_P12ihipStream_tbNS1_7vsmem_tEEUlT_E_NS1_11comp_targetILNS1_3genE0ELNS1_11target_archE4294967295ELNS1_3gpuE0ELNS1_3repE0EEENS1_30default_config_static_selectorELNS0_4arch9wavefront6targetE0EEEvSM_.num_vgpr, 56
	.set _ZN7rocprim17ROCPRIM_400000_NS6detail17trampoline_kernelINS0_14default_configENS1_37merge_sort_block_sort_config_selectorIlNS0_10empty_typeEEEZNS1_21merge_sort_block_sortIS3_PlS8_PS5_S9_ZN2at6native12_GLOBAL__N_124unique_dim_cuda_templateItEESt5tupleIJNSA_6TensorESF_SF_EERKSF_lbbbEUlllE_EE10hipError_tT0_T1_T2_T3_mRjT4_P12ihipStream_tbNS1_7vsmem_tEEUlT_E_NS1_11comp_targetILNS1_3genE0ELNS1_11target_archE4294967295ELNS1_3gpuE0ELNS1_3repE0EEENS1_30default_config_static_selectorELNS0_4arch9wavefront6targetE0EEEvSM_.num_agpr, 0
	.set _ZN7rocprim17ROCPRIM_400000_NS6detail17trampoline_kernelINS0_14default_configENS1_37merge_sort_block_sort_config_selectorIlNS0_10empty_typeEEEZNS1_21merge_sort_block_sortIS3_PlS8_PS5_S9_ZN2at6native12_GLOBAL__N_124unique_dim_cuda_templateItEESt5tupleIJNSA_6TensorESF_SF_EERKSF_lbbbEUlllE_EE10hipError_tT0_T1_T2_T3_mRjT4_P12ihipStream_tbNS1_7vsmem_tEEUlT_E_NS1_11comp_targetILNS1_3genE0ELNS1_11target_archE4294967295ELNS1_3gpuE0ELNS1_3repE0EEENS1_30default_config_static_selectorELNS0_4arch9wavefront6targetE0EEEvSM_.numbered_sgpr, 39
	.set _ZN7rocprim17ROCPRIM_400000_NS6detail17trampoline_kernelINS0_14default_configENS1_37merge_sort_block_sort_config_selectorIlNS0_10empty_typeEEEZNS1_21merge_sort_block_sortIS3_PlS8_PS5_S9_ZN2at6native12_GLOBAL__N_124unique_dim_cuda_templateItEESt5tupleIJNSA_6TensorESF_SF_EERKSF_lbbbEUlllE_EE10hipError_tT0_T1_T2_T3_mRjT4_P12ihipStream_tbNS1_7vsmem_tEEUlT_E_NS1_11comp_targetILNS1_3genE0ELNS1_11target_archE4294967295ELNS1_3gpuE0ELNS1_3repE0EEENS1_30default_config_static_selectorELNS0_4arch9wavefront6targetE0EEEvSM_.num_named_barrier, 0
	.set _ZN7rocprim17ROCPRIM_400000_NS6detail17trampoline_kernelINS0_14default_configENS1_37merge_sort_block_sort_config_selectorIlNS0_10empty_typeEEEZNS1_21merge_sort_block_sortIS3_PlS8_PS5_S9_ZN2at6native12_GLOBAL__N_124unique_dim_cuda_templateItEESt5tupleIJNSA_6TensorESF_SF_EERKSF_lbbbEUlllE_EE10hipError_tT0_T1_T2_T3_mRjT4_P12ihipStream_tbNS1_7vsmem_tEEUlT_E_NS1_11comp_targetILNS1_3genE0ELNS1_11target_archE4294967295ELNS1_3gpuE0ELNS1_3repE0EEENS1_30default_config_static_selectorELNS0_4arch9wavefront6targetE0EEEvSM_.private_seg_size, 0
	.set _ZN7rocprim17ROCPRIM_400000_NS6detail17trampoline_kernelINS0_14default_configENS1_37merge_sort_block_sort_config_selectorIlNS0_10empty_typeEEEZNS1_21merge_sort_block_sortIS3_PlS8_PS5_S9_ZN2at6native12_GLOBAL__N_124unique_dim_cuda_templateItEESt5tupleIJNSA_6TensorESF_SF_EERKSF_lbbbEUlllE_EE10hipError_tT0_T1_T2_T3_mRjT4_P12ihipStream_tbNS1_7vsmem_tEEUlT_E_NS1_11comp_targetILNS1_3genE0ELNS1_11target_archE4294967295ELNS1_3gpuE0ELNS1_3repE0EEENS1_30default_config_static_selectorELNS0_4arch9wavefront6targetE0EEEvSM_.uses_vcc, 1
	.set _ZN7rocprim17ROCPRIM_400000_NS6detail17trampoline_kernelINS0_14default_configENS1_37merge_sort_block_sort_config_selectorIlNS0_10empty_typeEEEZNS1_21merge_sort_block_sortIS3_PlS8_PS5_S9_ZN2at6native12_GLOBAL__N_124unique_dim_cuda_templateItEESt5tupleIJNSA_6TensorESF_SF_EERKSF_lbbbEUlllE_EE10hipError_tT0_T1_T2_T3_mRjT4_P12ihipStream_tbNS1_7vsmem_tEEUlT_E_NS1_11comp_targetILNS1_3genE0ELNS1_11target_archE4294967295ELNS1_3gpuE0ELNS1_3repE0EEENS1_30default_config_static_selectorELNS0_4arch9wavefront6targetE0EEEvSM_.uses_flat_scratch, 0
	.set _ZN7rocprim17ROCPRIM_400000_NS6detail17trampoline_kernelINS0_14default_configENS1_37merge_sort_block_sort_config_selectorIlNS0_10empty_typeEEEZNS1_21merge_sort_block_sortIS3_PlS8_PS5_S9_ZN2at6native12_GLOBAL__N_124unique_dim_cuda_templateItEESt5tupleIJNSA_6TensorESF_SF_EERKSF_lbbbEUlllE_EE10hipError_tT0_T1_T2_T3_mRjT4_P12ihipStream_tbNS1_7vsmem_tEEUlT_E_NS1_11comp_targetILNS1_3genE0ELNS1_11target_archE4294967295ELNS1_3gpuE0ELNS1_3repE0EEENS1_30default_config_static_selectorELNS0_4arch9wavefront6targetE0EEEvSM_.has_dyn_sized_stack, 0
	.set _ZN7rocprim17ROCPRIM_400000_NS6detail17trampoline_kernelINS0_14default_configENS1_37merge_sort_block_sort_config_selectorIlNS0_10empty_typeEEEZNS1_21merge_sort_block_sortIS3_PlS8_PS5_S9_ZN2at6native12_GLOBAL__N_124unique_dim_cuda_templateItEESt5tupleIJNSA_6TensorESF_SF_EERKSF_lbbbEUlllE_EE10hipError_tT0_T1_T2_T3_mRjT4_P12ihipStream_tbNS1_7vsmem_tEEUlT_E_NS1_11comp_targetILNS1_3genE0ELNS1_11target_archE4294967295ELNS1_3gpuE0ELNS1_3repE0EEENS1_30default_config_static_selectorELNS0_4arch9wavefront6targetE0EEEvSM_.has_recursion, 0
	.set _ZN7rocprim17ROCPRIM_400000_NS6detail17trampoline_kernelINS0_14default_configENS1_37merge_sort_block_sort_config_selectorIlNS0_10empty_typeEEEZNS1_21merge_sort_block_sortIS3_PlS8_PS5_S9_ZN2at6native12_GLOBAL__N_124unique_dim_cuda_templateItEESt5tupleIJNSA_6TensorESF_SF_EERKSF_lbbbEUlllE_EE10hipError_tT0_T1_T2_T3_mRjT4_P12ihipStream_tbNS1_7vsmem_tEEUlT_E_NS1_11comp_targetILNS1_3genE0ELNS1_11target_archE4294967295ELNS1_3gpuE0ELNS1_3repE0EEENS1_30default_config_static_selectorELNS0_4arch9wavefront6targetE0EEEvSM_.has_indirect_call, 0
	.section	.AMDGPU.csdata,"",@progbits
; Kernel info:
; codeLenInByte = 56504
; TotalNumSgprs: 41
; NumVgprs: 56
; ScratchSize: 0
; MemoryBound: 0
; FloatMode: 240
; IeeeMode: 1
; LDSByteSize: 16896 bytes/workgroup (compile time only)
; SGPRBlocks: 0
; VGPRBlocks: 3
; NumSGPRsForWavesPerEU: 41
; NumVGPRsForWavesPerEU: 56
; NamedBarCnt: 0
; Occupancy: 16
; WaveLimiterHint : 1
; COMPUTE_PGM_RSRC2:SCRATCH_EN: 0
; COMPUTE_PGM_RSRC2:USER_SGPR: 2
; COMPUTE_PGM_RSRC2:TRAP_HANDLER: 0
; COMPUTE_PGM_RSRC2:TGID_X_EN: 1
; COMPUTE_PGM_RSRC2:TGID_Y_EN: 1
; COMPUTE_PGM_RSRC2:TGID_Z_EN: 1
; COMPUTE_PGM_RSRC2:TIDIG_COMP_CNT: 2
	.section	.text._ZN7rocprim17ROCPRIM_400000_NS6detail17trampoline_kernelINS0_14default_configENS1_37merge_sort_block_sort_config_selectorIlNS0_10empty_typeEEEZNS1_21merge_sort_block_sortIS3_PlS8_PS5_S9_ZN2at6native12_GLOBAL__N_124unique_dim_cuda_templateItEESt5tupleIJNSA_6TensorESF_SF_EERKSF_lbbbEUlllE_EE10hipError_tT0_T1_T2_T3_mRjT4_P12ihipStream_tbNS1_7vsmem_tEEUlT_E_NS1_11comp_targetILNS1_3genE5ELNS1_11target_archE942ELNS1_3gpuE9ELNS1_3repE0EEENS1_30default_config_static_selectorELNS0_4arch9wavefront6targetE0EEEvSM_,"axG",@progbits,_ZN7rocprim17ROCPRIM_400000_NS6detail17trampoline_kernelINS0_14default_configENS1_37merge_sort_block_sort_config_selectorIlNS0_10empty_typeEEEZNS1_21merge_sort_block_sortIS3_PlS8_PS5_S9_ZN2at6native12_GLOBAL__N_124unique_dim_cuda_templateItEESt5tupleIJNSA_6TensorESF_SF_EERKSF_lbbbEUlllE_EE10hipError_tT0_T1_T2_T3_mRjT4_P12ihipStream_tbNS1_7vsmem_tEEUlT_E_NS1_11comp_targetILNS1_3genE5ELNS1_11target_archE942ELNS1_3gpuE9ELNS1_3repE0EEENS1_30default_config_static_selectorELNS0_4arch9wavefront6targetE0EEEvSM_,comdat
	.globl	_ZN7rocprim17ROCPRIM_400000_NS6detail17trampoline_kernelINS0_14default_configENS1_37merge_sort_block_sort_config_selectorIlNS0_10empty_typeEEEZNS1_21merge_sort_block_sortIS3_PlS8_PS5_S9_ZN2at6native12_GLOBAL__N_124unique_dim_cuda_templateItEESt5tupleIJNSA_6TensorESF_SF_EERKSF_lbbbEUlllE_EE10hipError_tT0_T1_T2_T3_mRjT4_P12ihipStream_tbNS1_7vsmem_tEEUlT_E_NS1_11comp_targetILNS1_3genE5ELNS1_11target_archE942ELNS1_3gpuE9ELNS1_3repE0EEENS1_30default_config_static_selectorELNS0_4arch9wavefront6targetE0EEEvSM_ ; -- Begin function _ZN7rocprim17ROCPRIM_400000_NS6detail17trampoline_kernelINS0_14default_configENS1_37merge_sort_block_sort_config_selectorIlNS0_10empty_typeEEEZNS1_21merge_sort_block_sortIS3_PlS8_PS5_S9_ZN2at6native12_GLOBAL__N_124unique_dim_cuda_templateItEESt5tupleIJNSA_6TensorESF_SF_EERKSF_lbbbEUlllE_EE10hipError_tT0_T1_T2_T3_mRjT4_P12ihipStream_tbNS1_7vsmem_tEEUlT_E_NS1_11comp_targetILNS1_3genE5ELNS1_11target_archE942ELNS1_3gpuE9ELNS1_3repE0EEENS1_30default_config_static_selectorELNS0_4arch9wavefront6targetE0EEEvSM_
	.p2align	8
	.type	_ZN7rocprim17ROCPRIM_400000_NS6detail17trampoline_kernelINS0_14default_configENS1_37merge_sort_block_sort_config_selectorIlNS0_10empty_typeEEEZNS1_21merge_sort_block_sortIS3_PlS8_PS5_S9_ZN2at6native12_GLOBAL__N_124unique_dim_cuda_templateItEESt5tupleIJNSA_6TensorESF_SF_EERKSF_lbbbEUlllE_EE10hipError_tT0_T1_T2_T3_mRjT4_P12ihipStream_tbNS1_7vsmem_tEEUlT_E_NS1_11comp_targetILNS1_3genE5ELNS1_11target_archE942ELNS1_3gpuE9ELNS1_3repE0EEENS1_30default_config_static_selectorELNS0_4arch9wavefront6targetE0EEEvSM_,@function
_ZN7rocprim17ROCPRIM_400000_NS6detail17trampoline_kernelINS0_14default_configENS1_37merge_sort_block_sort_config_selectorIlNS0_10empty_typeEEEZNS1_21merge_sort_block_sortIS3_PlS8_PS5_S9_ZN2at6native12_GLOBAL__N_124unique_dim_cuda_templateItEESt5tupleIJNSA_6TensorESF_SF_EERKSF_lbbbEUlllE_EE10hipError_tT0_T1_T2_T3_mRjT4_P12ihipStream_tbNS1_7vsmem_tEEUlT_E_NS1_11comp_targetILNS1_3genE5ELNS1_11target_archE942ELNS1_3gpuE9ELNS1_3repE0EEENS1_30default_config_static_selectorELNS0_4arch9wavefront6targetE0EEEvSM_: ; @_ZN7rocprim17ROCPRIM_400000_NS6detail17trampoline_kernelINS0_14default_configENS1_37merge_sort_block_sort_config_selectorIlNS0_10empty_typeEEEZNS1_21merge_sort_block_sortIS3_PlS8_PS5_S9_ZN2at6native12_GLOBAL__N_124unique_dim_cuda_templateItEESt5tupleIJNSA_6TensorESF_SF_EERKSF_lbbbEUlllE_EE10hipError_tT0_T1_T2_T3_mRjT4_P12ihipStream_tbNS1_7vsmem_tEEUlT_E_NS1_11comp_targetILNS1_3genE5ELNS1_11target_archE942ELNS1_3gpuE9ELNS1_3repE0EEENS1_30default_config_static_selectorELNS0_4arch9wavefront6targetE0EEEvSM_
; %bb.0:
	.section	.rodata,"a",@progbits
	.p2align	6, 0x0
	.amdhsa_kernel _ZN7rocprim17ROCPRIM_400000_NS6detail17trampoline_kernelINS0_14default_configENS1_37merge_sort_block_sort_config_selectorIlNS0_10empty_typeEEEZNS1_21merge_sort_block_sortIS3_PlS8_PS5_S9_ZN2at6native12_GLOBAL__N_124unique_dim_cuda_templateItEESt5tupleIJNSA_6TensorESF_SF_EERKSF_lbbbEUlllE_EE10hipError_tT0_T1_T2_T3_mRjT4_P12ihipStream_tbNS1_7vsmem_tEEUlT_E_NS1_11comp_targetILNS1_3genE5ELNS1_11target_archE942ELNS1_3gpuE9ELNS1_3repE0EEENS1_30default_config_static_selectorELNS0_4arch9wavefront6targetE0EEEvSM_
		.amdhsa_group_segment_fixed_size 0
		.amdhsa_private_segment_fixed_size 0
		.amdhsa_kernarg_size 72
		.amdhsa_user_sgpr_count 2
		.amdhsa_user_sgpr_dispatch_ptr 0
		.amdhsa_user_sgpr_queue_ptr 0
		.amdhsa_user_sgpr_kernarg_segment_ptr 1
		.amdhsa_user_sgpr_dispatch_id 0
		.amdhsa_user_sgpr_kernarg_preload_length 0
		.amdhsa_user_sgpr_kernarg_preload_offset 0
		.amdhsa_user_sgpr_private_segment_size 0
		.amdhsa_wavefront_size32 1
		.amdhsa_uses_dynamic_stack 0
		.amdhsa_enable_private_segment 0
		.amdhsa_system_sgpr_workgroup_id_x 1
		.amdhsa_system_sgpr_workgroup_id_y 0
		.amdhsa_system_sgpr_workgroup_id_z 0
		.amdhsa_system_sgpr_workgroup_info 0
		.amdhsa_system_vgpr_workitem_id 0
		.amdhsa_next_free_vgpr 1
		.amdhsa_next_free_sgpr 1
		.amdhsa_named_barrier_count 0
		.amdhsa_reserve_vcc 0
		.amdhsa_float_round_mode_32 0
		.amdhsa_float_round_mode_16_64 0
		.amdhsa_float_denorm_mode_32 3
		.amdhsa_float_denorm_mode_16_64 3
		.amdhsa_fp16_overflow 0
		.amdhsa_memory_ordered 1
		.amdhsa_forward_progress 1
		.amdhsa_inst_pref_size 0
		.amdhsa_round_robin_scheduling 0
		.amdhsa_exception_fp_ieee_invalid_op 0
		.amdhsa_exception_fp_denorm_src 0
		.amdhsa_exception_fp_ieee_div_zero 0
		.amdhsa_exception_fp_ieee_overflow 0
		.amdhsa_exception_fp_ieee_underflow 0
		.amdhsa_exception_fp_ieee_inexact 0
		.amdhsa_exception_int_div_zero 0
	.end_amdhsa_kernel
	.section	.text._ZN7rocprim17ROCPRIM_400000_NS6detail17trampoline_kernelINS0_14default_configENS1_37merge_sort_block_sort_config_selectorIlNS0_10empty_typeEEEZNS1_21merge_sort_block_sortIS3_PlS8_PS5_S9_ZN2at6native12_GLOBAL__N_124unique_dim_cuda_templateItEESt5tupleIJNSA_6TensorESF_SF_EERKSF_lbbbEUlllE_EE10hipError_tT0_T1_T2_T3_mRjT4_P12ihipStream_tbNS1_7vsmem_tEEUlT_E_NS1_11comp_targetILNS1_3genE5ELNS1_11target_archE942ELNS1_3gpuE9ELNS1_3repE0EEENS1_30default_config_static_selectorELNS0_4arch9wavefront6targetE0EEEvSM_,"axG",@progbits,_ZN7rocprim17ROCPRIM_400000_NS6detail17trampoline_kernelINS0_14default_configENS1_37merge_sort_block_sort_config_selectorIlNS0_10empty_typeEEEZNS1_21merge_sort_block_sortIS3_PlS8_PS5_S9_ZN2at6native12_GLOBAL__N_124unique_dim_cuda_templateItEESt5tupleIJNSA_6TensorESF_SF_EERKSF_lbbbEUlllE_EE10hipError_tT0_T1_T2_T3_mRjT4_P12ihipStream_tbNS1_7vsmem_tEEUlT_E_NS1_11comp_targetILNS1_3genE5ELNS1_11target_archE942ELNS1_3gpuE9ELNS1_3repE0EEENS1_30default_config_static_selectorELNS0_4arch9wavefront6targetE0EEEvSM_,comdat
.Lfunc_end1362:
	.size	_ZN7rocprim17ROCPRIM_400000_NS6detail17trampoline_kernelINS0_14default_configENS1_37merge_sort_block_sort_config_selectorIlNS0_10empty_typeEEEZNS1_21merge_sort_block_sortIS3_PlS8_PS5_S9_ZN2at6native12_GLOBAL__N_124unique_dim_cuda_templateItEESt5tupleIJNSA_6TensorESF_SF_EERKSF_lbbbEUlllE_EE10hipError_tT0_T1_T2_T3_mRjT4_P12ihipStream_tbNS1_7vsmem_tEEUlT_E_NS1_11comp_targetILNS1_3genE5ELNS1_11target_archE942ELNS1_3gpuE9ELNS1_3repE0EEENS1_30default_config_static_selectorELNS0_4arch9wavefront6targetE0EEEvSM_, .Lfunc_end1362-_ZN7rocprim17ROCPRIM_400000_NS6detail17trampoline_kernelINS0_14default_configENS1_37merge_sort_block_sort_config_selectorIlNS0_10empty_typeEEEZNS1_21merge_sort_block_sortIS3_PlS8_PS5_S9_ZN2at6native12_GLOBAL__N_124unique_dim_cuda_templateItEESt5tupleIJNSA_6TensorESF_SF_EERKSF_lbbbEUlllE_EE10hipError_tT0_T1_T2_T3_mRjT4_P12ihipStream_tbNS1_7vsmem_tEEUlT_E_NS1_11comp_targetILNS1_3genE5ELNS1_11target_archE942ELNS1_3gpuE9ELNS1_3repE0EEENS1_30default_config_static_selectorELNS0_4arch9wavefront6targetE0EEEvSM_
                                        ; -- End function
	.set _ZN7rocprim17ROCPRIM_400000_NS6detail17trampoline_kernelINS0_14default_configENS1_37merge_sort_block_sort_config_selectorIlNS0_10empty_typeEEEZNS1_21merge_sort_block_sortIS3_PlS8_PS5_S9_ZN2at6native12_GLOBAL__N_124unique_dim_cuda_templateItEESt5tupleIJNSA_6TensorESF_SF_EERKSF_lbbbEUlllE_EE10hipError_tT0_T1_T2_T3_mRjT4_P12ihipStream_tbNS1_7vsmem_tEEUlT_E_NS1_11comp_targetILNS1_3genE5ELNS1_11target_archE942ELNS1_3gpuE9ELNS1_3repE0EEENS1_30default_config_static_selectorELNS0_4arch9wavefront6targetE0EEEvSM_.num_vgpr, 0
	.set _ZN7rocprim17ROCPRIM_400000_NS6detail17trampoline_kernelINS0_14default_configENS1_37merge_sort_block_sort_config_selectorIlNS0_10empty_typeEEEZNS1_21merge_sort_block_sortIS3_PlS8_PS5_S9_ZN2at6native12_GLOBAL__N_124unique_dim_cuda_templateItEESt5tupleIJNSA_6TensorESF_SF_EERKSF_lbbbEUlllE_EE10hipError_tT0_T1_T2_T3_mRjT4_P12ihipStream_tbNS1_7vsmem_tEEUlT_E_NS1_11comp_targetILNS1_3genE5ELNS1_11target_archE942ELNS1_3gpuE9ELNS1_3repE0EEENS1_30default_config_static_selectorELNS0_4arch9wavefront6targetE0EEEvSM_.num_agpr, 0
	.set _ZN7rocprim17ROCPRIM_400000_NS6detail17trampoline_kernelINS0_14default_configENS1_37merge_sort_block_sort_config_selectorIlNS0_10empty_typeEEEZNS1_21merge_sort_block_sortIS3_PlS8_PS5_S9_ZN2at6native12_GLOBAL__N_124unique_dim_cuda_templateItEESt5tupleIJNSA_6TensorESF_SF_EERKSF_lbbbEUlllE_EE10hipError_tT0_T1_T2_T3_mRjT4_P12ihipStream_tbNS1_7vsmem_tEEUlT_E_NS1_11comp_targetILNS1_3genE5ELNS1_11target_archE942ELNS1_3gpuE9ELNS1_3repE0EEENS1_30default_config_static_selectorELNS0_4arch9wavefront6targetE0EEEvSM_.numbered_sgpr, 0
	.set _ZN7rocprim17ROCPRIM_400000_NS6detail17trampoline_kernelINS0_14default_configENS1_37merge_sort_block_sort_config_selectorIlNS0_10empty_typeEEEZNS1_21merge_sort_block_sortIS3_PlS8_PS5_S9_ZN2at6native12_GLOBAL__N_124unique_dim_cuda_templateItEESt5tupleIJNSA_6TensorESF_SF_EERKSF_lbbbEUlllE_EE10hipError_tT0_T1_T2_T3_mRjT4_P12ihipStream_tbNS1_7vsmem_tEEUlT_E_NS1_11comp_targetILNS1_3genE5ELNS1_11target_archE942ELNS1_3gpuE9ELNS1_3repE0EEENS1_30default_config_static_selectorELNS0_4arch9wavefront6targetE0EEEvSM_.num_named_barrier, 0
	.set _ZN7rocprim17ROCPRIM_400000_NS6detail17trampoline_kernelINS0_14default_configENS1_37merge_sort_block_sort_config_selectorIlNS0_10empty_typeEEEZNS1_21merge_sort_block_sortIS3_PlS8_PS5_S9_ZN2at6native12_GLOBAL__N_124unique_dim_cuda_templateItEESt5tupleIJNSA_6TensorESF_SF_EERKSF_lbbbEUlllE_EE10hipError_tT0_T1_T2_T3_mRjT4_P12ihipStream_tbNS1_7vsmem_tEEUlT_E_NS1_11comp_targetILNS1_3genE5ELNS1_11target_archE942ELNS1_3gpuE9ELNS1_3repE0EEENS1_30default_config_static_selectorELNS0_4arch9wavefront6targetE0EEEvSM_.private_seg_size, 0
	.set _ZN7rocprim17ROCPRIM_400000_NS6detail17trampoline_kernelINS0_14default_configENS1_37merge_sort_block_sort_config_selectorIlNS0_10empty_typeEEEZNS1_21merge_sort_block_sortIS3_PlS8_PS5_S9_ZN2at6native12_GLOBAL__N_124unique_dim_cuda_templateItEESt5tupleIJNSA_6TensorESF_SF_EERKSF_lbbbEUlllE_EE10hipError_tT0_T1_T2_T3_mRjT4_P12ihipStream_tbNS1_7vsmem_tEEUlT_E_NS1_11comp_targetILNS1_3genE5ELNS1_11target_archE942ELNS1_3gpuE9ELNS1_3repE0EEENS1_30default_config_static_selectorELNS0_4arch9wavefront6targetE0EEEvSM_.uses_vcc, 0
	.set _ZN7rocprim17ROCPRIM_400000_NS6detail17trampoline_kernelINS0_14default_configENS1_37merge_sort_block_sort_config_selectorIlNS0_10empty_typeEEEZNS1_21merge_sort_block_sortIS3_PlS8_PS5_S9_ZN2at6native12_GLOBAL__N_124unique_dim_cuda_templateItEESt5tupleIJNSA_6TensorESF_SF_EERKSF_lbbbEUlllE_EE10hipError_tT0_T1_T2_T3_mRjT4_P12ihipStream_tbNS1_7vsmem_tEEUlT_E_NS1_11comp_targetILNS1_3genE5ELNS1_11target_archE942ELNS1_3gpuE9ELNS1_3repE0EEENS1_30default_config_static_selectorELNS0_4arch9wavefront6targetE0EEEvSM_.uses_flat_scratch, 0
	.set _ZN7rocprim17ROCPRIM_400000_NS6detail17trampoline_kernelINS0_14default_configENS1_37merge_sort_block_sort_config_selectorIlNS0_10empty_typeEEEZNS1_21merge_sort_block_sortIS3_PlS8_PS5_S9_ZN2at6native12_GLOBAL__N_124unique_dim_cuda_templateItEESt5tupleIJNSA_6TensorESF_SF_EERKSF_lbbbEUlllE_EE10hipError_tT0_T1_T2_T3_mRjT4_P12ihipStream_tbNS1_7vsmem_tEEUlT_E_NS1_11comp_targetILNS1_3genE5ELNS1_11target_archE942ELNS1_3gpuE9ELNS1_3repE0EEENS1_30default_config_static_selectorELNS0_4arch9wavefront6targetE0EEEvSM_.has_dyn_sized_stack, 0
	.set _ZN7rocprim17ROCPRIM_400000_NS6detail17trampoline_kernelINS0_14default_configENS1_37merge_sort_block_sort_config_selectorIlNS0_10empty_typeEEEZNS1_21merge_sort_block_sortIS3_PlS8_PS5_S9_ZN2at6native12_GLOBAL__N_124unique_dim_cuda_templateItEESt5tupleIJNSA_6TensorESF_SF_EERKSF_lbbbEUlllE_EE10hipError_tT0_T1_T2_T3_mRjT4_P12ihipStream_tbNS1_7vsmem_tEEUlT_E_NS1_11comp_targetILNS1_3genE5ELNS1_11target_archE942ELNS1_3gpuE9ELNS1_3repE0EEENS1_30default_config_static_selectorELNS0_4arch9wavefront6targetE0EEEvSM_.has_recursion, 0
	.set _ZN7rocprim17ROCPRIM_400000_NS6detail17trampoline_kernelINS0_14default_configENS1_37merge_sort_block_sort_config_selectorIlNS0_10empty_typeEEEZNS1_21merge_sort_block_sortIS3_PlS8_PS5_S9_ZN2at6native12_GLOBAL__N_124unique_dim_cuda_templateItEESt5tupleIJNSA_6TensorESF_SF_EERKSF_lbbbEUlllE_EE10hipError_tT0_T1_T2_T3_mRjT4_P12ihipStream_tbNS1_7vsmem_tEEUlT_E_NS1_11comp_targetILNS1_3genE5ELNS1_11target_archE942ELNS1_3gpuE9ELNS1_3repE0EEENS1_30default_config_static_selectorELNS0_4arch9wavefront6targetE0EEEvSM_.has_indirect_call, 0
	.section	.AMDGPU.csdata,"",@progbits
; Kernel info:
; codeLenInByte = 0
; TotalNumSgprs: 0
; NumVgprs: 0
; ScratchSize: 0
; MemoryBound: 0
; FloatMode: 240
; IeeeMode: 1
; LDSByteSize: 0 bytes/workgroup (compile time only)
; SGPRBlocks: 0
; VGPRBlocks: 0
; NumSGPRsForWavesPerEU: 1
; NumVGPRsForWavesPerEU: 1
; NamedBarCnt: 0
; Occupancy: 16
; WaveLimiterHint : 0
; COMPUTE_PGM_RSRC2:SCRATCH_EN: 0
; COMPUTE_PGM_RSRC2:USER_SGPR: 2
; COMPUTE_PGM_RSRC2:TRAP_HANDLER: 0
; COMPUTE_PGM_RSRC2:TGID_X_EN: 1
; COMPUTE_PGM_RSRC2:TGID_Y_EN: 0
; COMPUTE_PGM_RSRC2:TGID_Z_EN: 0
; COMPUTE_PGM_RSRC2:TIDIG_COMP_CNT: 0
	.section	.text._ZN7rocprim17ROCPRIM_400000_NS6detail17trampoline_kernelINS0_14default_configENS1_37merge_sort_block_sort_config_selectorIlNS0_10empty_typeEEEZNS1_21merge_sort_block_sortIS3_PlS8_PS5_S9_ZN2at6native12_GLOBAL__N_124unique_dim_cuda_templateItEESt5tupleIJNSA_6TensorESF_SF_EERKSF_lbbbEUlllE_EE10hipError_tT0_T1_T2_T3_mRjT4_P12ihipStream_tbNS1_7vsmem_tEEUlT_E_NS1_11comp_targetILNS1_3genE4ELNS1_11target_archE910ELNS1_3gpuE8ELNS1_3repE0EEENS1_30default_config_static_selectorELNS0_4arch9wavefront6targetE0EEEvSM_,"axG",@progbits,_ZN7rocprim17ROCPRIM_400000_NS6detail17trampoline_kernelINS0_14default_configENS1_37merge_sort_block_sort_config_selectorIlNS0_10empty_typeEEEZNS1_21merge_sort_block_sortIS3_PlS8_PS5_S9_ZN2at6native12_GLOBAL__N_124unique_dim_cuda_templateItEESt5tupleIJNSA_6TensorESF_SF_EERKSF_lbbbEUlllE_EE10hipError_tT0_T1_T2_T3_mRjT4_P12ihipStream_tbNS1_7vsmem_tEEUlT_E_NS1_11comp_targetILNS1_3genE4ELNS1_11target_archE910ELNS1_3gpuE8ELNS1_3repE0EEENS1_30default_config_static_selectorELNS0_4arch9wavefront6targetE0EEEvSM_,comdat
	.globl	_ZN7rocprim17ROCPRIM_400000_NS6detail17trampoline_kernelINS0_14default_configENS1_37merge_sort_block_sort_config_selectorIlNS0_10empty_typeEEEZNS1_21merge_sort_block_sortIS3_PlS8_PS5_S9_ZN2at6native12_GLOBAL__N_124unique_dim_cuda_templateItEESt5tupleIJNSA_6TensorESF_SF_EERKSF_lbbbEUlllE_EE10hipError_tT0_T1_T2_T3_mRjT4_P12ihipStream_tbNS1_7vsmem_tEEUlT_E_NS1_11comp_targetILNS1_3genE4ELNS1_11target_archE910ELNS1_3gpuE8ELNS1_3repE0EEENS1_30default_config_static_selectorELNS0_4arch9wavefront6targetE0EEEvSM_ ; -- Begin function _ZN7rocprim17ROCPRIM_400000_NS6detail17trampoline_kernelINS0_14default_configENS1_37merge_sort_block_sort_config_selectorIlNS0_10empty_typeEEEZNS1_21merge_sort_block_sortIS3_PlS8_PS5_S9_ZN2at6native12_GLOBAL__N_124unique_dim_cuda_templateItEESt5tupleIJNSA_6TensorESF_SF_EERKSF_lbbbEUlllE_EE10hipError_tT0_T1_T2_T3_mRjT4_P12ihipStream_tbNS1_7vsmem_tEEUlT_E_NS1_11comp_targetILNS1_3genE4ELNS1_11target_archE910ELNS1_3gpuE8ELNS1_3repE0EEENS1_30default_config_static_selectorELNS0_4arch9wavefront6targetE0EEEvSM_
	.p2align	8
	.type	_ZN7rocprim17ROCPRIM_400000_NS6detail17trampoline_kernelINS0_14default_configENS1_37merge_sort_block_sort_config_selectorIlNS0_10empty_typeEEEZNS1_21merge_sort_block_sortIS3_PlS8_PS5_S9_ZN2at6native12_GLOBAL__N_124unique_dim_cuda_templateItEESt5tupleIJNSA_6TensorESF_SF_EERKSF_lbbbEUlllE_EE10hipError_tT0_T1_T2_T3_mRjT4_P12ihipStream_tbNS1_7vsmem_tEEUlT_E_NS1_11comp_targetILNS1_3genE4ELNS1_11target_archE910ELNS1_3gpuE8ELNS1_3repE0EEENS1_30default_config_static_selectorELNS0_4arch9wavefront6targetE0EEEvSM_,@function
_ZN7rocprim17ROCPRIM_400000_NS6detail17trampoline_kernelINS0_14default_configENS1_37merge_sort_block_sort_config_selectorIlNS0_10empty_typeEEEZNS1_21merge_sort_block_sortIS3_PlS8_PS5_S9_ZN2at6native12_GLOBAL__N_124unique_dim_cuda_templateItEESt5tupleIJNSA_6TensorESF_SF_EERKSF_lbbbEUlllE_EE10hipError_tT0_T1_T2_T3_mRjT4_P12ihipStream_tbNS1_7vsmem_tEEUlT_E_NS1_11comp_targetILNS1_3genE4ELNS1_11target_archE910ELNS1_3gpuE8ELNS1_3repE0EEENS1_30default_config_static_selectorELNS0_4arch9wavefront6targetE0EEEvSM_: ; @_ZN7rocprim17ROCPRIM_400000_NS6detail17trampoline_kernelINS0_14default_configENS1_37merge_sort_block_sort_config_selectorIlNS0_10empty_typeEEEZNS1_21merge_sort_block_sortIS3_PlS8_PS5_S9_ZN2at6native12_GLOBAL__N_124unique_dim_cuda_templateItEESt5tupleIJNSA_6TensorESF_SF_EERKSF_lbbbEUlllE_EE10hipError_tT0_T1_T2_T3_mRjT4_P12ihipStream_tbNS1_7vsmem_tEEUlT_E_NS1_11comp_targetILNS1_3genE4ELNS1_11target_archE910ELNS1_3gpuE8ELNS1_3repE0EEENS1_30default_config_static_selectorELNS0_4arch9wavefront6targetE0EEEvSM_
; %bb.0:
	.section	.rodata,"a",@progbits
	.p2align	6, 0x0
	.amdhsa_kernel _ZN7rocprim17ROCPRIM_400000_NS6detail17trampoline_kernelINS0_14default_configENS1_37merge_sort_block_sort_config_selectorIlNS0_10empty_typeEEEZNS1_21merge_sort_block_sortIS3_PlS8_PS5_S9_ZN2at6native12_GLOBAL__N_124unique_dim_cuda_templateItEESt5tupleIJNSA_6TensorESF_SF_EERKSF_lbbbEUlllE_EE10hipError_tT0_T1_T2_T3_mRjT4_P12ihipStream_tbNS1_7vsmem_tEEUlT_E_NS1_11comp_targetILNS1_3genE4ELNS1_11target_archE910ELNS1_3gpuE8ELNS1_3repE0EEENS1_30default_config_static_selectorELNS0_4arch9wavefront6targetE0EEEvSM_
		.amdhsa_group_segment_fixed_size 0
		.amdhsa_private_segment_fixed_size 0
		.amdhsa_kernarg_size 72
		.amdhsa_user_sgpr_count 2
		.amdhsa_user_sgpr_dispatch_ptr 0
		.amdhsa_user_sgpr_queue_ptr 0
		.amdhsa_user_sgpr_kernarg_segment_ptr 1
		.amdhsa_user_sgpr_dispatch_id 0
		.amdhsa_user_sgpr_kernarg_preload_length 0
		.amdhsa_user_sgpr_kernarg_preload_offset 0
		.amdhsa_user_sgpr_private_segment_size 0
		.amdhsa_wavefront_size32 1
		.amdhsa_uses_dynamic_stack 0
		.amdhsa_enable_private_segment 0
		.amdhsa_system_sgpr_workgroup_id_x 1
		.amdhsa_system_sgpr_workgroup_id_y 0
		.amdhsa_system_sgpr_workgroup_id_z 0
		.amdhsa_system_sgpr_workgroup_info 0
		.amdhsa_system_vgpr_workitem_id 0
		.amdhsa_next_free_vgpr 1
		.amdhsa_next_free_sgpr 1
		.amdhsa_named_barrier_count 0
		.amdhsa_reserve_vcc 0
		.amdhsa_float_round_mode_32 0
		.amdhsa_float_round_mode_16_64 0
		.amdhsa_float_denorm_mode_32 3
		.amdhsa_float_denorm_mode_16_64 3
		.amdhsa_fp16_overflow 0
		.amdhsa_memory_ordered 1
		.amdhsa_forward_progress 1
		.amdhsa_inst_pref_size 0
		.amdhsa_round_robin_scheduling 0
		.amdhsa_exception_fp_ieee_invalid_op 0
		.amdhsa_exception_fp_denorm_src 0
		.amdhsa_exception_fp_ieee_div_zero 0
		.amdhsa_exception_fp_ieee_overflow 0
		.amdhsa_exception_fp_ieee_underflow 0
		.amdhsa_exception_fp_ieee_inexact 0
		.amdhsa_exception_int_div_zero 0
	.end_amdhsa_kernel
	.section	.text._ZN7rocprim17ROCPRIM_400000_NS6detail17trampoline_kernelINS0_14default_configENS1_37merge_sort_block_sort_config_selectorIlNS0_10empty_typeEEEZNS1_21merge_sort_block_sortIS3_PlS8_PS5_S9_ZN2at6native12_GLOBAL__N_124unique_dim_cuda_templateItEESt5tupleIJNSA_6TensorESF_SF_EERKSF_lbbbEUlllE_EE10hipError_tT0_T1_T2_T3_mRjT4_P12ihipStream_tbNS1_7vsmem_tEEUlT_E_NS1_11comp_targetILNS1_3genE4ELNS1_11target_archE910ELNS1_3gpuE8ELNS1_3repE0EEENS1_30default_config_static_selectorELNS0_4arch9wavefront6targetE0EEEvSM_,"axG",@progbits,_ZN7rocprim17ROCPRIM_400000_NS6detail17trampoline_kernelINS0_14default_configENS1_37merge_sort_block_sort_config_selectorIlNS0_10empty_typeEEEZNS1_21merge_sort_block_sortIS3_PlS8_PS5_S9_ZN2at6native12_GLOBAL__N_124unique_dim_cuda_templateItEESt5tupleIJNSA_6TensorESF_SF_EERKSF_lbbbEUlllE_EE10hipError_tT0_T1_T2_T3_mRjT4_P12ihipStream_tbNS1_7vsmem_tEEUlT_E_NS1_11comp_targetILNS1_3genE4ELNS1_11target_archE910ELNS1_3gpuE8ELNS1_3repE0EEENS1_30default_config_static_selectorELNS0_4arch9wavefront6targetE0EEEvSM_,comdat
.Lfunc_end1363:
	.size	_ZN7rocprim17ROCPRIM_400000_NS6detail17trampoline_kernelINS0_14default_configENS1_37merge_sort_block_sort_config_selectorIlNS0_10empty_typeEEEZNS1_21merge_sort_block_sortIS3_PlS8_PS5_S9_ZN2at6native12_GLOBAL__N_124unique_dim_cuda_templateItEESt5tupleIJNSA_6TensorESF_SF_EERKSF_lbbbEUlllE_EE10hipError_tT0_T1_T2_T3_mRjT4_P12ihipStream_tbNS1_7vsmem_tEEUlT_E_NS1_11comp_targetILNS1_3genE4ELNS1_11target_archE910ELNS1_3gpuE8ELNS1_3repE0EEENS1_30default_config_static_selectorELNS0_4arch9wavefront6targetE0EEEvSM_, .Lfunc_end1363-_ZN7rocprim17ROCPRIM_400000_NS6detail17trampoline_kernelINS0_14default_configENS1_37merge_sort_block_sort_config_selectorIlNS0_10empty_typeEEEZNS1_21merge_sort_block_sortIS3_PlS8_PS5_S9_ZN2at6native12_GLOBAL__N_124unique_dim_cuda_templateItEESt5tupleIJNSA_6TensorESF_SF_EERKSF_lbbbEUlllE_EE10hipError_tT0_T1_T2_T3_mRjT4_P12ihipStream_tbNS1_7vsmem_tEEUlT_E_NS1_11comp_targetILNS1_3genE4ELNS1_11target_archE910ELNS1_3gpuE8ELNS1_3repE0EEENS1_30default_config_static_selectorELNS0_4arch9wavefront6targetE0EEEvSM_
                                        ; -- End function
	.set _ZN7rocprim17ROCPRIM_400000_NS6detail17trampoline_kernelINS0_14default_configENS1_37merge_sort_block_sort_config_selectorIlNS0_10empty_typeEEEZNS1_21merge_sort_block_sortIS3_PlS8_PS5_S9_ZN2at6native12_GLOBAL__N_124unique_dim_cuda_templateItEESt5tupleIJNSA_6TensorESF_SF_EERKSF_lbbbEUlllE_EE10hipError_tT0_T1_T2_T3_mRjT4_P12ihipStream_tbNS1_7vsmem_tEEUlT_E_NS1_11comp_targetILNS1_3genE4ELNS1_11target_archE910ELNS1_3gpuE8ELNS1_3repE0EEENS1_30default_config_static_selectorELNS0_4arch9wavefront6targetE0EEEvSM_.num_vgpr, 0
	.set _ZN7rocprim17ROCPRIM_400000_NS6detail17trampoline_kernelINS0_14default_configENS1_37merge_sort_block_sort_config_selectorIlNS0_10empty_typeEEEZNS1_21merge_sort_block_sortIS3_PlS8_PS5_S9_ZN2at6native12_GLOBAL__N_124unique_dim_cuda_templateItEESt5tupleIJNSA_6TensorESF_SF_EERKSF_lbbbEUlllE_EE10hipError_tT0_T1_T2_T3_mRjT4_P12ihipStream_tbNS1_7vsmem_tEEUlT_E_NS1_11comp_targetILNS1_3genE4ELNS1_11target_archE910ELNS1_3gpuE8ELNS1_3repE0EEENS1_30default_config_static_selectorELNS0_4arch9wavefront6targetE0EEEvSM_.num_agpr, 0
	.set _ZN7rocprim17ROCPRIM_400000_NS6detail17trampoline_kernelINS0_14default_configENS1_37merge_sort_block_sort_config_selectorIlNS0_10empty_typeEEEZNS1_21merge_sort_block_sortIS3_PlS8_PS5_S9_ZN2at6native12_GLOBAL__N_124unique_dim_cuda_templateItEESt5tupleIJNSA_6TensorESF_SF_EERKSF_lbbbEUlllE_EE10hipError_tT0_T1_T2_T3_mRjT4_P12ihipStream_tbNS1_7vsmem_tEEUlT_E_NS1_11comp_targetILNS1_3genE4ELNS1_11target_archE910ELNS1_3gpuE8ELNS1_3repE0EEENS1_30default_config_static_selectorELNS0_4arch9wavefront6targetE0EEEvSM_.numbered_sgpr, 0
	.set _ZN7rocprim17ROCPRIM_400000_NS6detail17trampoline_kernelINS0_14default_configENS1_37merge_sort_block_sort_config_selectorIlNS0_10empty_typeEEEZNS1_21merge_sort_block_sortIS3_PlS8_PS5_S9_ZN2at6native12_GLOBAL__N_124unique_dim_cuda_templateItEESt5tupleIJNSA_6TensorESF_SF_EERKSF_lbbbEUlllE_EE10hipError_tT0_T1_T2_T3_mRjT4_P12ihipStream_tbNS1_7vsmem_tEEUlT_E_NS1_11comp_targetILNS1_3genE4ELNS1_11target_archE910ELNS1_3gpuE8ELNS1_3repE0EEENS1_30default_config_static_selectorELNS0_4arch9wavefront6targetE0EEEvSM_.num_named_barrier, 0
	.set _ZN7rocprim17ROCPRIM_400000_NS6detail17trampoline_kernelINS0_14default_configENS1_37merge_sort_block_sort_config_selectorIlNS0_10empty_typeEEEZNS1_21merge_sort_block_sortIS3_PlS8_PS5_S9_ZN2at6native12_GLOBAL__N_124unique_dim_cuda_templateItEESt5tupleIJNSA_6TensorESF_SF_EERKSF_lbbbEUlllE_EE10hipError_tT0_T1_T2_T3_mRjT4_P12ihipStream_tbNS1_7vsmem_tEEUlT_E_NS1_11comp_targetILNS1_3genE4ELNS1_11target_archE910ELNS1_3gpuE8ELNS1_3repE0EEENS1_30default_config_static_selectorELNS0_4arch9wavefront6targetE0EEEvSM_.private_seg_size, 0
	.set _ZN7rocprim17ROCPRIM_400000_NS6detail17trampoline_kernelINS0_14default_configENS1_37merge_sort_block_sort_config_selectorIlNS0_10empty_typeEEEZNS1_21merge_sort_block_sortIS3_PlS8_PS5_S9_ZN2at6native12_GLOBAL__N_124unique_dim_cuda_templateItEESt5tupleIJNSA_6TensorESF_SF_EERKSF_lbbbEUlllE_EE10hipError_tT0_T1_T2_T3_mRjT4_P12ihipStream_tbNS1_7vsmem_tEEUlT_E_NS1_11comp_targetILNS1_3genE4ELNS1_11target_archE910ELNS1_3gpuE8ELNS1_3repE0EEENS1_30default_config_static_selectorELNS0_4arch9wavefront6targetE0EEEvSM_.uses_vcc, 0
	.set _ZN7rocprim17ROCPRIM_400000_NS6detail17trampoline_kernelINS0_14default_configENS1_37merge_sort_block_sort_config_selectorIlNS0_10empty_typeEEEZNS1_21merge_sort_block_sortIS3_PlS8_PS5_S9_ZN2at6native12_GLOBAL__N_124unique_dim_cuda_templateItEESt5tupleIJNSA_6TensorESF_SF_EERKSF_lbbbEUlllE_EE10hipError_tT0_T1_T2_T3_mRjT4_P12ihipStream_tbNS1_7vsmem_tEEUlT_E_NS1_11comp_targetILNS1_3genE4ELNS1_11target_archE910ELNS1_3gpuE8ELNS1_3repE0EEENS1_30default_config_static_selectorELNS0_4arch9wavefront6targetE0EEEvSM_.uses_flat_scratch, 0
	.set _ZN7rocprim17ROCPRIM_400000_NS6detail17trampoline_kernelINS0_14default_configENS1_37merge_sort_block_sort_config_selectorIlNS0_10empty_typeEEEZNS1_21merge_sort_block_sortIS3_PlS8_PS5_S9_ZN2at6native12_GLOBAL__N_124unique_dim_cuda_templateItEESt5tupleIJNSA_6TensorESF_SF_EERKSF_lbbbEUlllE_EE10hipError_tT0_T1_T2_T3_mRjT4_P12ihipStream_tbNS1_7vsmem_tEEUlT_E_NS1_11comp_targetILNS1_3genE4ELNS1_11target_archE910ELNS1_3gpuE8ELNS1_3repE0EEENS1_30default_config_static_selectorELNS0_4arch9wavefront6targetE0EEEvSM_.has_dyn_sized_stack, 0
	.set _ZN7rocprim17ROCPRIM_400000_NS6detail17trampoline_kernelINS0_14default_configENS1_37merge_sort_block_sort_config_selectorIlNS0_10empty_typeEEEZNS1_21merge_sort_block_sortIS3_PlS8_PS5_S9_ZN2at6native12_GLOBAL__N_124unique_dim_cuda_templateItEESt5tupleIJNSA_6TensorESF_SF_EERKSF_lbbbEUlllE_EE10hipError_tT0_T1_T2_T3_mRjT4_P12ihipStream_tbNS1_7vsmem_tEEUlT_E_NS1_11comp_targetILNS1_3genE4ELNS1_11target_archE910ELNS1_3gpuE8ELNS1_3repE0EEENS1_30default_config_static_selectorELNS0_4arch9wavefront6targetE0EEEvSM_.has_recursion, 0
	.set _ZN7rocprim17ROCPRIM_400000_NS6detail17trampoline_kernelINS0_14default_configENS1_37merge_sort_block_sort_config_selectorIlNS0_10empty_typeEEEZNS1_21merge_sort_block_sortIS3_PlS8_PS5_S9_ZN2at6native12_GLOBAL__N_124unique_dim_cuda_templateItEESt5tupleIJNSA_6TensorESF_SF_EERKSF_lbbbEUlllE_EE10hipError_tT0_T1_T2_T3_mRjT4_P12ihipStream_tbNS1_7vsmem_tEEUlT_E_NS1_11comp_targetILNS1_3genE4ELNS1_11target_archE910ELNS1_3gpuE8ELNS1_3repE0EEENS1_30default_config_static_selectorELNS0_4arch9wavefront6targetE0EEEvSM_.has_indirect_call, 0
	.section	.AMDGPU.csdata,"",@progbits
; Kernel info:
; codeLenInByte = 0
; TotalNumSgprs: 0
; NumVgprs: 0
; ScratchSize: 0
; MemoryBound: 0
; FloatMode: 240
; IeeeMode: 1
; LDSByteSize: 0 bytes/workgroup (compile time only)
; SGPRBlocks: 0
; VGPRBlocks: 0
; NumSGPRsForWavesPerEU: 1
; NumVGPRsForWavesPerEU: 1
; NamedBarCnt: 0
; Occupancy: 16
; WaveLimiterHint : 0
; COMPUTE_PGM_RSRC2:SCRATCH_EN: 0
; COMPUTE_PGM_RSRC2:USER_SGPR: 2
; COMPUTE_PGM_RSRC2:TRAP_HANDLER: 0
; COMPUTE_PGM_RSRC2:TGID_X_EN: 1
; COMPUTE_PGM_RSRC2:TGID_Y_EN: 0
; COMPUTE_PGM_RSRC2:TGID_Z_EN: 0
; COMPUTE_PGM_RSRC2:TIDIG_COMP_CNT: 0
	.section	.text._ZN7rocprim17ROCPRIM_400000_NS6detail17trampoline_kernelINS0_14default_configENS1_37merge_sort_block_sort_config_selectorIlNS0_10empty_typeEEEZNS1_21merge_sort_block_sortIS3_PlS8_PS5_S9_ZN2at6native12_GLOBAL__N_124unique_dim_cuda_templateItEESt5tupleIJNSA_6TensorESF_SF_EERKSF_lbbbEUlllE_EE10hipError_tT0_T1_T2_T3_mRjT4_P12ihipStream_tbNS1_7vsmem_tEEUlT_E_NS1_11comp_targetILNS1_3genE3ELNS1_11target_archE908ELNS1_3gpuE7ELNS1_3repE0EEENS1_30default_config_static_selectorELNS0_4arch9wavefront6targetE0EEEvSM_,"axG",@progbits,_ZN7rocprim17ROCPRIM_400000_NS6detail17trampoline_kernelINS0_14default_configENS1_37merge_sort_block_sort_config_selectorIlNS0_10empty_typeEEEZNS1_21merge_sort_block_sortIS3_PlS8_PS5_S9_ZN2at6native12_GLOBAL__N_124unique_dim_cuda_templateItEESt5tupleIJNSA_6TensorESF_SF_EERKSF_lbbbEUlllE_EE10hipError_tT0_T1_T2_T3_mRjT4_P12ihipStream_tbNS1_7vsmem_tEEUlT_E_NS1_11comp_targetILNS1_3genE3ELNS1_11target_archE908ELNS1_3gpuE7ELNS1_3repE0EEENS1_30default_config_static_selectorELNS0_4arch9wavefront6targetE0EEEvSM_,comdat
	.globl	_ZN7rocprim17ROCPRIM_400000_NS6detail17trampoline_kernelINS0_14default_configENS1_37merge_sort_block_sort_config_selectorIlNS0_10empty_typeEEEZNS1_21merge_sort_block_sortIS3_PlS8_PS5_S9_ZN2at6native12_GLOBAL__N_124unique_dim_cuda_templateItEESt5tupleIJNSA_6TensorESF_SF_EERKSF_lbbbEUlllE_EE10hipError_tT0_T1_T2_T3_mRjT4_P12ihipStream_tbNS1_7vsmem_tEEUlT_E_NS1_11comp_targetILNS1_3genE3ELNS1_11target_archE908ELNS1_3gpuE7ELNS1_3repE0EEENS1_30default_config_static_selectorELNS0_4arch9wavefront6targetE0EEEvSM_ ; -- Begin function _ZN7rocprim17ROCPRIM_400000_NS6detail17trampoline_kernelINS0_14default_configENS1_37merge_sort_block_sort_config_selectorIlNS0_10empty_typeEEEZNS1_21merge_sort_block_sortIS3_PlS8_PS5_S9_ZN2at6native12_GLOBAL__N_124unique_dim_cuda_templateItEESt5tupleIJNSA_6TensorESF_SF_EERKSF_lbbbEUlllE_EE10hipError_tT0_T1_T2_T3_mRjT4_P12ihipStream_tbNS1_7vsmem_tEEUlT_E_NS1_11comp_targetILNS1_3genE3ELNS1_11target_archE908ELNS1_3gpuE7ELNS1_3repE0EEENS1_30default_config_static_selectorELNS0_4arch9wavefront6targetE0EEEvSM_
	.p2align	8
	.type	_ZN7rocprim17ROCPRIM_400000_NS6detail17trampoline_kernelINS0_14default_configENS1_37merge_sort_block_sort_config_selectorIlNS0_10empty_typeEEEZNS1_21merge_sort_block_sortIS3_PlS8_PS5_S9_ZN2at6native12_GLOBAL__N_124unique_dim_cuda_templateItEESt5tupleIJNSA_6TensorESF_SF_EERKSF_lbbbEUlllE_EE10hipError_tT0_T1_T2_T3_mRjT4_P12ihipStream_tbNS1_7vsmem_tEEUlT_E_NS1_11comp_targetILNS1_3genE3ELNS1_11target_archE908ELNS1_3gpuE7ELNS1_3repE0EEENS1_30default_config_static_selectorELNS0_4arch9wavefront6targetE0EEEvSM_,@function
_ZN7rocprim17ROCPRIM_400000_NS6detail17trampoline_kernelINS0_14default_configENS1_37merge_sort_block_sort_config_selectorIlNS0_10empty_typeEEEZNS1_21merge_sort_block_sortIS3_PlS8_PS5_S9_ZN2at6native12_GLOBAL__N_124unique_dim_cuda_templateItEESt5tupleIJNSA_6TensorESF_SF_EERKSF_lbbbEUlllE_EE10hipError_tT0_T1_T2_T3_mRjT4_P12ihipStream_tbNS1_7vsmem_tEEUlT_E_NS1_11comp_targetILNS1_3genE3ELNS1_11target_archE908ELNS1_3gpuE7ELNS1_3repE0EEENS1_30default_config_static_selectorELNS0_4arch9wavefront6targetE0EEEvSM_: ; @_ZN7rocprim17ROCPRIM_400000_NS6detail17trampoline_kernelINS0_14default_configENS1_37merge_sort_block_sort_config_selectorIlNS0_10empty_typeEEEZNS1_21merge_sort_block_sortIS3_PlS8_PS5_S9_ZN2at6native12_GLOBAL__N_124unique_dim_cuda_templateItEESt5tupleIJNSA_6TensorESF_SF_EERKSF_lbbbEUlllE_EE10hipError_tT0_T1_T2_T3_mRjT4_P12ihipStream_tbNS1_7vsmem_tEEUlT_E_NS1_11comp_targetILNS1_3genE3ELNS1_11target_archE908ELNS1_3gpuE7ELNS1_3repE0EEENS1_30default_config_static_selectorELNS0_4arch9wavefront6targetE0EEEvSM_
; %bb.0:
	.section	.rodata,"a",@progbits
	.p2align	6, 0x0
	.amdhsa_kernel _ZN7rocprim17ROCPRIM_400000_NS6detail17trampoline_kernelINS0_14default_configENS1_37merge_sort_block_sort_config_selectorIlNS0_10empty_typeEEEZNS1_21merge_sort_block_sortIS3_PlS8_PS5_S9_ZN2at6native12_GLOBAL__N_124unique_dim_cuda_templateItEESt5tupleIJNSA_6TensorESF_SF_EERKSF_lbbbEUlllE_EE10hipError_tT0_T1_T2_T3_mRjT4_P12ihipStream_tbNS1_7vsmem_tEEUlT_E_NS1_11comp_targetILNS1_3genE3ELNS1_11target_archE908ELNS1_3gpuE7ELNS1_3repE0EEENS1_30default_config_static_selectorELNS0_4arch9wavefront6targetE0EEEvSM_
		.amdhsa_group_segment_fixed_size 0
		.amdhsa_private_segment_fixed_size 0
		.amdhsa_kernarg_size 72
		.amdhsa_user_sgpr_count 2
		.amdhsa_user_sgpr_dispatch_ptr 0
		.amdhsa_user_sgpr_queue_ptr 0
		.amdhsa_user_sgpr_kernarg_segment_ptr 1
		.amdhsa_user_sgpr_dispatch_id 0
		.amdhsa_user_sgpr_kernarg_preload_length 0
		.amdhsa_user_sgpr_kernarg_preload_offset 0
		.amdhsa_user_sgpr_private_segment_size 0
		.amdhsa_wavefront_size32 1
		.amdhsa_uses_dynamic_stack 0
		.amdhsa_enable_private_segment 0
		.amdhsa_system_sgpr_workgroup_id_x 1
		.amdhsa_system_sgpr_workgroup_id_y 0
		.amdhsa_system_sgpr_workgroup_id_z 0
		.amdhsa_system_sgpr_workgroup_info 0
		.amdhsa_system_vgpr_workitem_id 0
		.amdhsa_next_free_vgpr 1
		.amdhsa_next_free_sgpr 1
		.amdhsa_named_barrier_count 0
		.amdhsa_reserve_vcc 0
		.amdhsa_float_round_mode_32 0
		.amdhsa_float_round_mode_16_64 0
		.amdhsa_float_denorm_mode_32 3
		.amdhsa_float_denorm_mode_16_64 3
		.amdhsa_fp16_overflow 0
		.amdhsa_memory_ordered 1
		.amdhsa_forward_progress 1
		.amdhsa_inst_pref_size 0
		.amdhsa_round_robin_scheduling 0
		.amdhsa_exception_fp_ieee_invalid_op 0
		.amdhsa_exception_fp_denorm_src 0
		.amdhsa_exception_fp_ieee_div_zero 0
		.amdhsa_exception_fp_ieee_overflow 0
		.amdhsa_exception_fp_ieee_underflow 0
		.amdhsa_exception_fp_ieee_inexact 0
		.amdhsa_exception_int_div_zero 0
	.end_amdhsa_kernel
	.section	.text._ZN7rocprim17ROCPRIM_400000_NS6detail17trampoline_kernelINS0_14default_configENS1_37merge_sort_block_sort_config_selectorIlNS0_10empty_typeEEEZNS1_21merge_sort_block_sortIS3_PlS8_PS5_S9_ZN2at6native12_GLOBAL__N_124unique_dim_cuda_templateItEESt5tupleIJNSA_6TensorESF_SF_EERKSF_lbbbEUlllE_EE10hipError_tT0_T1_T2_T3_mRjT4_P12ihipStream_tbNS1_7vsmem_tEEUlT_E_NS1_11comp_targetILNS1_3genE3ELNS1_11target_archE908ELNS1_3gpuE7ELNS1_3repE0EEENS1_30default_config_static_selectorELNS0_4arch9wavefront6targetE0EEEvSM_,"axG",@progbits,_ZN7rocprim17ROCPRIM_400000_NS6detail17trampoline_kernelINS0_14default_configENS1_37merge_sort_block_sort_config_selectorIlNS0_10empty_typeEEEZNS1_21merge_sort_block_sortIS3_PlS8_PS5_S9_ZN2at6native12_GLOBAL__N_124unique_dim_cuda_templateItEESt5tupleIJNSA_6TensorESF_SF_EERKSF_lbbbEUlllE_EE10hipError_tT0_T1_T2_T3_mRjT4_P12ihipStream_tbNS1_7vsmem_tEEUlT_E_NS1_11comp_targetILNS1_3genE3ELNS1_11target_archE908ELNS1_3gpuE7ELNS1_3repE0EEENS1_30default_config_static_selectorELNS0_4arch9wavefront6targetE0EEEvSM_,comdat
.Lfunc_end1364:
	.size	_ZN7rocprim17ROCPRIM_400000_NS6detail17trampoline_kernelINS0_14default_configENS1_37merge_sort_block_sort_config_selectorIlNS0_10empty_typeEEEZNS1_21merge_sort_block_sortIS3_PlS8_PS5_S9_ZN2at6native12_GLOBAL__N_124unique_dim_cuda_templateItEESt5tupleIJNSA_6TensorESF_SF_EERKSF_lbbbEUlllE_EE10hipError_tT0_T1_T2_T3_mRjT4_P12ihipStream_tbNS1_7vsmem_tEEUlT_E_NS1_11comp_targetILNS1_3genE3ELNS1_11target_archE908ELNS1_3gpuE7ELNS1_3repE0EEENS1_30default_config_static_selectorELNS0_4arch9wavefront6targetE0EEEvSM_, .Lfunc_end1364-_ZN7rocprim17ROCPRIM_400000_NS6detail17trampoline_kernelINS0_14default_configENS1_37merge_sort_block_sort_config_selectorIlNS0_10empty_typeEEEZNS1_21merge_sort_block_sortIS3_PlS8_PS5_S9_ZN2at6native12_GLOBAL__N_124unique_dim_cuda_templateItEESt5tupleIJNSA_6TensorESF_SF_EERKSF_lbbbEUlllE_EE10hipError_tT0_T1_T2_T3_mRjT4_P12ihipStream_tbNS1_7vsmem_tEEUlT_E_NS1_11comp_targetILNS1_3genE3ELNS1_11target_archE908ELNS1_3gpuE7ELNS1_3repE0EEENS1_30default_config_static_selectorELNS0_4arch9wavefront6targetE0EEEvSM_
                                        ; -- End function
	.set _ZN7rocprim17ROCPRIM_400000_NS6detail17trampoline_kernelINS0_14default_configENS1_37merge_sort_block_sort_config_selectorIlNS0_10empty_typeEEEZNS1_21merge_sort_block_sortIS3_PlS8_PS5_S9_ZN2at6native12_GLOBAL__N_124unique_dim_cuda_templateItEESt5tupleIJNSA_6TensorESF_SF_EERKSF_lbbbEUlllE_EE10hipError_tT0_T1_T2_T3_mRjT4_P12ihipStream_tbNS1_7vsmem_tEEUlT_E_NS1_11comp_targetILNS1_3genE3ELNS1_11target_archE908ELNS1_3gpuE7ELNS1_3repE0EEENS1_30default_config_static_selectorELNS0_4arch9wavefront6targetE0EEEvSM_.num_vgpr, 0
	.set _ZN7rocprim17ROCPRIM_400000_NS6detail17trampoline_kernelINS0_14default_configENS1_37merge_sort_block_sort_config_selectorIlNS0_10empty_typeEEEZNS1_21merge_sort_block_sortIS3_PlS8_PS5_S9_ZN2at6native12_GLOBAL__N_124unique_dim_cuda_templateItEESt5tupleIJNSA_6TensorESF_SF_EERKSF_lbbbEUlllE_EE10hipError_tT0_T1_T2_T3_mRjT4_P12ihipStream_tbNS1_7vsmem_tEEUlT_E_NS1_11comp_targetILNS1_3genE3ELNS1_11target_archE908ELNS1_3gpuE7ELNS1_3repE0EEENS1_30default_config_static_selectorELNS0_4arch9wavefront6targetE0EEEvSM_.num_agpr, 0
	.set _ZN7rocprim17ROCPRIM_400000_NS6detail17trampoline_kernelINS0_14default_configENS1_37merge_sort_block_sort_config_selectorIlNS0_10empty_typeEEEZNS1_21merge_sort_block_sortIS3_PlS8_PS5_S9_ZN2at6native12_GLOBAL__N_124unique_dim_cuda_templateItEESt5tupleIJNSA_6TensorESF_SF_EERKSF_lbbbEUlllE_EE10hipError_tT0_T1_T2_T3_mRjT4_P12ihipStream_tbNS1_7vsmem_tEEUlT_E_NS1_11comp_targetILNS1_3genE3ELNS1_11target_archE908ELNS1_3gpuE7ELNS1_3repE0EEENS1_30default_config_static_selectorELNS0_4arch9wavefront6targetE0EEEvSM_.numbered_sgpr, 0
	.set _ZN7rocprim17ROCPRIM_400000_NS6detail17trampoline_kernelINS0_14default_configENS1_37merge_sort_block_sort_config_selectorIlNS0_10empty_typeEEEZNS1_21merge_sort_block_sortIS3_PlS8_PS5_S9_ZN2at6native12_GLOBAL__N_124unique_dim_cuda_templateItEESt5tupleIJNSA_6TensorESF_SF_EERKSF_lbbbEUlllE_EE10hipError_tT0_T1_T2_T3_mRjT4_P12ihipStream_tbNS1_7vsmem_tEEUlT_E_NS1_11comp_targetILNS1_3genE3ELNS1_11target_archE908ELNS1_3gpuE7ELNS1_3repE0EEENS1_30default_config_static_selectorELNS0_4arch9wavefront6targetE0EEEvSM_.num_named_barrier, 0
	.set _ZN7rocprim17ROCPRIM_400000_NS6detail17trampoline_kernelINS0_14default_configENS1_37merge_sort_block_sort_config_selectorIlNS0_10empty_typeEEEZNS1_21merge_sort_block_sortIS3_PlS8_PS5_S9_ZN2at6native12_GLOBAL__N_124unique_dim_cuda_templateItEESt5tupleIJNSA_6TensorESF_SF_EERKSF_lbbbEUlllE_EE10hipError_tT0_T1_T2_T3_mRjT4_P12ihipStream_tbNS1_7vsmem_tEEUlT_E_NS1_11comp_targetILNS1_3genE3ELNS1_11target_archE908ELNS1_3gpuE7ELNS1_3repE0EEENS1_30default_config_static_selectorELNS0_4arch9wavefront6targetE0EEEvSM_.private_seg_size, 0
	.set _ZN7rocprim17ROCPRIM_400000_NS6detail17trampoline_kernelINS0_14default_configENS1_37merge_sort_block_sort_config_selectorIlNS0_10empty_typeEEEZNS1_21merge_sort_block_sortIS3_PlS8_PS5_S9_ZN2at6native12_GLOBAL__N_124unique_dim_cuda_templateItEESt5tupleIJNSA_6TensorESF_SF_EERKSF_lbbbEUlllE_EE10hipError_tT0_T1_T2_T3_mRjT4_P12ihipStream_tbNS1_7vsmem_tEEUlT_E_NS1_11comp_targetILNS1_3genE3ELNS1_11target_archE908ELNS1_3gpuE7ELNS1_3repE0EEENS1_30default_config_static_selectorELNS0_4arch9wavefront6targetE0EEEvSM_.uses_vcc, 0
	.set _ZN7rocprim17ROCPRIM_400000_NS6detail17trampoline_kernelINS0_14default_configENS1_37merge_sort_block_sort_config_selectorIlNS0_10empty_typeEEEZNS1_21merge_sort_block_sortIS3_PlS8_PS5_S9_ZN2at6native12_GLOBAL__N_124unique_dim_cuda_templateItEESt5tupleIJNSA_6TensorESF_SF_EERKSF_lbbbEUlllE_EE10hipError_tT0_T1_T2_T3_mRjT4_P12ihipStream_tbNS1_7vsmem_tEEUlT_E_NS1_11comp_targetILNS1_3genE3ELNS1_11target_archE908ELNS1_3gpuE7ELNS1_3repE0EEENS1_30default_config_static_selectorELNS0_4arch9wavefront6targetE0EEEvSM_.uses_flat_scratch, 0
	.set _ZN7rocprim17ROCPRIM_400000_NS6detail17trampoline_kernelINS0_14default_configENS1_37merge_sort_block_sort_config_selectorIlNS0_10empty_typeEEEZNS1_21merge_sort_block_sortIS3_PlS8_PS5_S9_ZN2at6native12_GLOBAL__N_124unique_dim_cuda_templateItEESt5tupleIJNSA_6TensorESF_SF_EERKSF_lbbbEUlllE_EE10hipError_tT0_T1_T2_T3_mRjT4_P12ihipStream_tbNS1_7vsmem_tEEUlT_E_NS1_11comp_targetILNS1_3genE3ELNS1_11target_archE908ELNS1_3gpuE7ELNS1_3repE0EEENS1_30default_config_static_selectorELNS0_4arch9wavefront6targetE0EEEvSM_.has_dyn_sized_stack, 0
	.set _ZN7rocprim17ROCPRIM_400000_NS6detail17trampoline_kernelINS0_14default_configENS1_37merge_sort_block_sort_config_selectorIlNS0_10empty_typeEEEZNS1_21merge_sort_block_sortIS3_PlS8_PS5_S9_ZN2at6native12_GLOBAL__N_124unique_dim_cuda_templateItEESt5tupleIJNSA_6TensorESF_SF_EERKSF_lbbbEUlllE_EE10hipError_tT0_T1_T2_T3_mRjT4_P12ihipStream_tbNS1_7vsmem_tEEUlT_E_NS1_11comp_targetILNS1_3genE3ELNS1_11target_archE908ELNS1_3gpuE7ELNS1_3repE0EEENS1_30default_config_static_selectorELNS0_4arch9wavefront6targetE0EEEvSM_.has_recursion, 0
	.set _ZN7rocprim17ROCPRIM_400000_NS6detail17trampoline_kernelINS0_14default_configENS1_37merge_sort_block_sort_config_selectorIlNS0_10empty_typeEEEZNS1_21merge_sort_block_sortIS3_PlS8_PS5_S9_ZN2at6native12_GLOBAL__N_124unique_dim_cuda_templateItEESt5tupleIJNSA_6TensorESF_SF_EERKSF_lbbbEUlllE_EE10hipError_tT0_T1_T2_T3_mRjT4_P12ihipStream_tbNS1_7vsmem_tEEUlT_E_NS1_11comp_targetILNS1_3genE3ELNS1_11target_archE908ELNS1_3gpuE7ELNS1_3repE0EEENS1_30default_config_static_selectorELNS0_4arch9wavefront6targetE0EEEvSM_.has_indirect_call, 0
	.section	.AMDGPU.csdata,"",@progbits
; Kernel info:
; codeLenInByte = 0
; TotalNumSgprs: 0
; NumVgprs: 0
; ScratchSize: 0
; MemoryBound: 0
; FloatMode: 240
; IeeeMode: 1
; LDSByteSize: 0 bytes/workgroup (compile time only)
; SGPRBlocks: 0
; VGPRBlocks: 0
; NumSGPRsForWavesPerEU: 1
; NumVGPRsForWavesPerEU: 1
; NamedBarCnt: 0
; Occupancy: 16
; WaveLimiterHint : 0
; COMPUTE_PGM_RSRC2:SCRATCH_EN: 0
; COMPUTE_PGM_RSRC2:USER_SGPR: 2
; COMPUTE_PGM_RSRC2:TRAP_HANDLER: 0
; COMPUTE_PGM_RSRC2:TGID_X_EN: 1
; COMPUTE_PGM_RSRC2:TGID_Y_EN: 0
; COMPUTE_PGM_RSRC2:TGID_Z_EN: 0
; COMPUTE_PGM_RSRC2:TIDIG_COMP_CNT: 0
	.section	.text._ZN7rocprim17ROCPRIM_400000_NS6detail17trampoline_kernelINS0_14default_configENS1_37merge_sort_block_sort_config_selectorIlNS0_10empty_typeEEEZNS1_21merge_sort_block_sortIS3_PlS8_PS5_S9_ZN2at6native12_GLOBAL__N_124unique_dim_cuda_templateItEESt5tupleIJNSA_6TensorESF_SF_EERKSF_lbbbEUlllE_EE10hipError_tT0_T1_T2_T3_mRjT4_P12ihipStream_tbNS1_7vsmem_tEEUlT_E_NS1_11comp_targetILNS1_3genE2ELNS1_11target_archE906ELNS1_3gpuE6ELNS1_3repE0EEENS1_30default_config_static_selectorELNS0_4arch9wavefront6targetE0EEEvSM_,"axG",@progbits,_ZN7rocprim17ROCPRIM_400000_NS6detail17trampoline_kernelINS0_14default_configENS1_37merge_sort_block_sort_config_selectorIlNS0_10empty_typeEEEZNS1_21merge_sort_block_sortIS3_PlS8_PS5_S9_ZN2at6native12_GLOBAL__N_124unique_dim_cuda_templateItEESt5tupleIJNSA_6TensorESF_SF_EERKSF_lbbbEUlllE_EE10hipError_tT0_T1_T2_T3_mRjT4_P12ihipStream_tbNS1_7vsmem_tEEUlT_E_NS1_11comp_targetILNS1_3genE2ELNS1_11target_archE906ELNS1_3gpuE6ELNS1_3repE0EEENS1_30default_config_static_selectorELNS0_4arch9wavefront6targetE0EEEvSM_,comdat
	.globl	_ZN7rocprim17ROCPRIM_400000_NS6detail17trampoline_kernelINS0_14default_configENS1_37merge_sort_block_sort_config_selectorIlNS0_10empty_typeEEEZNS1_21merge_sort_block_sortIS3_PlS8_PS5_S9_ZN2at6native12_GLOBAL__N_124unique_dim_cuda_templateItEESt5tupleIJNSA_6TensorESF_SF_EERKSF_lbbbEUlllE_EE10hipError_tT0_T1_T2_T3_mRjT4_P12ihipStream_tbNS1_7vsmem_tEEUlT_E_NS1_11comp_targetILNS1_3genE2ELNS1_11target_archE906ELNS1_3gpuE6ELNS1_3repE0EEENS1_30default_config_static_selectorELNS0_4arch9wavefront6targetE0EEEvSM_ ; -- Begin function _ZN7rocprim17ROCPRIM_400000_NS6detail17trampoline_kernelINS0_14default_configENS1_37merge_sort_block_sort_config_selectorIlNS0_10empty_typeEEEZNS1_21merge_sort_block_sortIS3_PlS8_PS5_S9_ZN2at6native12_GLOBAL__N_124unique_dim_cuda_templateItEESt5tupleIJNSA_6TensorESF_SF_EERKSF_lbbbEUlllE_EE10hipError_tT0_T1_T2_T3_mRjT4_P12ihipStream_tbNS1_7vsmem_tEEUlT_E_NS1_11comp_targetILNS1_3genE2ELNS1_11target_archE906ELNS1_3gpuE6ELNS1_3repE0EEENS1_30default_config_static_selectorELNS0_4arch9wavefront6targetE0EEEvSM_
	.p2align	8
	.type	_ZN7rocprim17ROCPRIM_400000_NS6detail17trampoline_kernelINS0_14default_configENS1_37merge_sort_block_sort_config_selectorIlNS0_10empty_typeEEEZNS1_21merge_sort_block_sortIS3_PlS8_PS5_S9_ZN2at6native12_GLOBAL__N_124unique_dim_cuda_templateItEESt5tupleIJNSA_6TensorESF_SF_EERKSF_lbbbEUlllE_EE10hipError_tT0_T1_T2_T3_mRjT4_P12ihipStream_tbNS1_7vsmem_tEEUlT_E_NS1_11comp_targetILNS1_3genE2ELNS1_11target_archE906ELNS1_3gpuE6ELNS1_3repE0EEENS1_30default_config_static_selectorELNS0_4arch9wavefront6targetE0EEEvSM_,@function
_ZN7rocprim17ROCPRIM_400000_NS6detail17trampoline_kernelINS0_14default_configENS1_37merge_sort_block_sort_config_selectorIlNS0_10empty_typeEEEZNS1_21merge_sort_block_sortIS3_PlS8_PS5_S9_ZN2at6native12_GLOBAL__N_124unique_dim_cuda_templateItEESt5tupleIJNSA_6TensorESF_SF_EERKSF_lbbbEUlllE_EE10hipError_tT0_T1_T2_T3_mRjT4_P12ihipStream_tbNS1_7vsmem_tEEUlT_E_NS1_11comp_targetILNS1_3genE2ELNS1_11target_archE906ELNS1_3gpuE6ELNS1_3repE0EEENS1_30default_config_static_selectorELNS0_4arch9wavefront6targetE0EEEvSM_: ; @_ZN7rocprim17ROCPRIM_400000_NS6detail17trampoline_kernelINS0_14default_configENS1_37merge_sort_block_sort_config_selectorIlNS0_10empty_typeEEEZNS1_21merge_sort_block_sortIS3_PlS8_PS5_S9_ZN2at6native12_GLOBAL__N_124unique_dim_cuda_templateItEESt5tupleIJNSA_6TensorESF_SF_EERKSF_lbbbEUlllE_EE10hipError_tT0_T1_T2_T3_mRjT4_P12ihipStream_tbNS1_7vsmem_tEEUlT_E_NS1_11comp_targetILNS1_3genE2ELNS1_11target_archE906ELNS1_3gpuE6ELNS1_3repE0EEENS1_30default_config_static_selectorELNS0_4arch9wavefront6targetE0EEEvSM_
; %bb.0:
	.section	.rodata,"a",@progbits
	.p2align	6, 0x0
	.amdhsa_kernel _ZN7rocprim17ROCPRIM_400000_NS6detail17trampoline_kernelINS0_14default_configENS1_37merge_sort_block_sort_config_selectorIlNS0_10empty_typeEEEZNS1_21merge_sort_block_sortIS3_PlS8_PS5_S9_ZN2at6native12_GLOBAL__N_124unique_dim_cuda_templateItEESt5tupleIJNSA_6TensorESF_SF_EERKSF_lbbbEUlllE_EE10hipError_tT0_T1_T2_T3_mRjT4_P12ihipStream_tbNS1_7vsmem_tEEUlT_E_NS1_11comp_targetILNS1_3genE2ELNS1_11target_archE906ELNS1_3gpuE6ELNS1_3repE0EEENS1_30default_config_static_selectorELNS0_4arch9wavefront6targetE0EEEvSM_
		.amdhsa_group_segment_fixed_size 0
		.amdhsa_private_segment_fixed_size 0
		.amdhsa_kernarg_size 72
		.amdhsa_user_sgpr_count 2
		.amdhsa_user_sgpr_dispatch_ptr 0
		.amdhsa_user_sgpr_queue_ptr 0
		.amdhsa_user_sgpr_kernarg_segment_ptr 1
		.amdhsa_user_sgpr_dispatch_id 0
		.amdhsa_user_sgpr_kernarg_preload_length 0
		.amdhsa_user_sgpr_kernarg_preload_offset 0
		.amdhsa_user_sgpr_private_segment_size 0
		.amdhsa_wavefront_size32 1
		.amdhsa_uses_dynamic_stack 0
		.amdhsa_enable_private_segment 0
		.amdhsa_system_sgpr_workgroup_id_x 1
		.amdhsa_system_sgpr_workgroup_id_y 0
		.amdhsa_system_sgpr_workgroup_id_z 0
		.amdhsa_system_sgpr_workgroup_info 0
		.amdhsa_system_vgpr_workitem_id 0
		.amdhsa_next_free_vgpr 1
		.amdhsa_next_free_sgpr 1
		.amdhsa_named_barrier_count 0
		.amdhsa_reserve_vcc 0
		.amdhsa_float_round_mode_32 0
		.amdhsa_float_round_mode_16_64 0
		.amdhsa_float_denorm_mode_32 3
		.amdhsa_float_denorm_mode_16_64 3
		.amdhsa_fp16_overflow 0
		.amdhsa_memory_ordered 1
		.amdhsa_forward_progress 1
		.amdhsa_inst_pref_size 0
		.amdhsa_round_robin_scheduling 0
		.amdhsa_exception_fp_ieee_invalid_op 0
		.amdhsa_exception_fp_denorm_src 0
		.amdhsa_exception_fp_ieee_div_zero 0
		.amdhsa_exception_fp_ieee_overflow 0
		.amdhsa_exception_fp_ieee_underflow 0
		.amdhsa_exception_fp_ieee_inexact 0
		.amdhsa_exception_int_div_zero 0
	.end_amdhsa_kernel
	.section	.text._ZN7rocprim17ROCPRIM_400000_NS6detail17trampoline_kernelINS0_14default_configENS1_37merge_sort_block_sort_config_selectorIlNS0_10empty_typeEEEZNS1_21merge_sort_block_sortIS3_PlS8_PS5_S9_ZN2at6native12_GLOBAL__N_124unique_dim_cuda_templateItEESt5tupleIJNSA_6TensorESF_SF_EERKSF_lbbbEUlllE_EE10hipError_tT0_T1_T2_T3_mRjT4_P12ihipStream_tbNS1_7vsmem_tEEUlT_E_NS1_11comp_targetILNS1_3genE2ELNS1_11target_archE906ELNS1_3gpuE6ELNS1_3repE0EEENS1_30default_config_static_selectorELNS0_4arch9wavefront6targetE0EEEvSM_,"axG",@progbits,_ZN7rocprim17ROCPRIM_400000_NS6detail17trampoline_kernelINS0_14default_configENS1_37merge_sort_block_sort_config_selectorIlNS0_10empty_typeEEEZNS1_21merge_sort_block_sortIS3_PlS8_PS5_S9_ZN2at6native12_GLOBAL__N_124unique_dim_cuda_templateItEESt5tupleIJNSA_6TensorESF_SF_EERKSF_lbbbEUlllE_EE10hipError_tT0_T1_T2_T3_mRjT4_P12ihipStream_tbNS1_7vsmem_tEEUlT_E_NS1_11comp_targetILNS1_3genE2ELNS1_11target_archE906ELNS1_3gpuE6ELNS1_3repE0EEENS1_30default_config_static_selectorELNS0_4arch9wavefront6targetE0EEEvSM_,comdat
.Lfunc_end1365:
	.size	_ZN7rocprim17ROCPRIM_400000_NS6detail17trampoline_kernelINS0_14default_configENS1_37merge_sort_block_sort_config_selectorIlNS0_10empty_typeEEEZNS1_21merge_sort_block_sortIS3_PlS8_PS5_S9_ZN2at6native12_GLOBAL__N_124unique_dim_cuda_templateItEESt5tupleIJNSA_6TensorESF_SF_EERKSF_lbbbEUlllE_EE10hipError_tT0_T1_T2_T3_mRjT4_P12ihipStream_tbNS1_7vsmem_tEEUlT_E_NS1_11comp_targetILNS1_3genE2ELNS1_11target_archE906ELNS1_3gpuE6ELNS1_3repE0EEENS1_30default_config_static_selectorELNS0_4arch9wavefront6targetE0EEEvSM_, .Lfunc_end1365-_ZN7rocprim17ROCPRIM_400000_NS6detail17trampoline_kernelINS0_14default_configENS1_37merge_sort_block_sort_config_selectorIlNS0_10empty_typeEEEZNS1_21merge_sort_block_sortIS3_PlS8_PS5_S9_ZN2at6native12_GLOBAL__N_124unique_dim_cuda_templateItEESt5tupleIJNSA_6TensorESF_SF_EERKSF_lbbbEUlllE_EE10hipError_tT0_T1_T2_T3_mRjT4_P12ihipStream_tbNS1_7vsmem_tEEUlT_E_NS1_11comp_targetILNS1_3genE2ELNS1_11target_archE906ELNS1_3gpuE6ELNS1_3repE0EEENS1_30default_config_static_selectorELNS0_4arch9wavefront6targetE0EEEvSM_
                                        ; -- End function
	.set _ZN7rocprim17ROCPRIM_400000_NS6detail17trampoline_kernelINS0_14default_configENS1_37merge_sort_block_sort_config_selectorIlNS0_10empty_typeEEEZNS1_21merge_sort_block_sortIS3_PlS8_PS5_S9_ZN2at6native12_GLOBAL__N_124unique_dim_cuda_templateItEESt5tupleIJNSA_6TensorESF_SF_EERKSF_lbbbEUlllE_EE10hipError_tT0_T1_T2_T3_mRjT4_P12ihipStream_tbNS1_7vsmem_tEEUlT_E_NS1_11comp_targetILNS1_3genE2ELNS1_11target_archE906ELNS1_3gpuE6ELNS1_3repE0EEENS1_30default_config_static_selectorELNS0_4arch9wavefront6targetE0EEEvSM_.num_vgpr, 0
	.set _ZN7rocprim17ROCPRIM_400000_NS6detail17trampoline_kernelINS0_14default_configENS1_37merge_sort_block_sort_config_selectorIlNS0_10empty_typeEEEZNS1_21merge_sort_block_sortIS3_PlS8_PS5_S9_ZN2at6native12_GLOBAL__N_124unique_dim_cuda_templateItEESt5tupleIJNSA_6TensorESF_SF_EERKSF_lbbbEUlllE_EE10hipError_tT0_T1_T2_T3_mRjT4_P12ihipStream_tbNS1_7vsmem_tEEUlT_E_NS1_11comp_targetILNS1_3genE2ELNS1_11target_archE906ELNS1_3gpuE6ELNS1_3repE0EEENS1_30default_config_static_selectorELNS0_4arch9wavefront6targetE0EEEvSM_.num_agpr, 0
	.set _ZN7rocprim17ROCPRIM_400000_NS6detail17trampoline_kernelINS0_14default_configENS1_37merge_sort_block_sort_config_selectorIlNS0_10empty_typeEEEZNS1_21merge_sort_block_sortIS3_PlS8_PS5_S9_ZN2at6native12_GLOBAL__N_124unique_dim_cuda_templateItEESt5tupleIJNSA_6TensorESF_SF_EERKSF_lbbbEUlllE_EE10hipError_tT0_T1_T2_T3_mRjT4_P12ihipStream_tbNS1_7vsmem_tEEUlT_E_NS1_11comp_targetILNS1_3genE2ELNS1_11target_archE906ELNS1_3gpuE6ELNS1_3repE0EEENS1_30default_config_static_selectorELNS0_4arch9wavefront6targetE0EEEvSM_.numbered_sgpr, 0
	.set _ZN7rocprim17ROCPRIM_400000_NS6detail17trampoline_kernelINS0_14default_configENS1_37merge_sort_block_sort_config_selectorIlNS0_10empty_typeEEEZNS1_21merge_sort_block_sortIS3_PlS8_PS5_S9_ZN2at6native12_GLOBAL__N_124unique_dim_cuda_templateItEESt5tupleIJNSA_6TensorESF_SF_EERKSF_lbbbEUlllE_EE10hipError_tT0_T1_T2_T3_mRjT4_P12ihipStream_tbNS1_7vsmem_tEEUlT_E_NS1_11comp_targetILNS1_3genE2ELNS1_11target_archE906ELNS1_3gpuE6ELNS1_3repE0EEENS1_30default_config_static_selectorELNS0_4arch9wavefront6targetE0EEEvSM_.num_named_barrier, 0
	.set _ZN7rocprim17ROCPRIM_400000_NS6detail17trampoline_kernelINS0_14default_configENS1_37merge_sort_block_sort_config_selectorIlNS0_10empty_typeEEEZNS1_21merge_sort_block_sortIS3_PlS8_PS5_S9_ZN2at6native12_GLOBAL__N_124unique_dim_cuda_templateItEESt5tupleIJNSA_6TensorESF_SF_EERKSF_lbbbEUlllE_EE10hipError_tT0_T1_T2_T3_mRjT4_P12ihipStream_tbNS1_7vsmem_tEEUlT_E_NS1_11comp_targetILNS1_3genE2ELNS1_11target_archE906ELNS1_3gpuE6ELNS1_3repE0EEENS1_30default_config_static_selectorELNS0_4arch9wavefront6targetE0EEEvSM_.private_seg_size, 0
	.set _ZN7rocprim17ROCPRIM_400000_NS6detail17trampoline_kernelINS0_14default_configENS1_37merge_sort_block_sort_config_selectorIlNS0_10empty_typeEEEZNS1_21merge_sort_block_sortIS3_PlS8_PS5_S9_ZN2at6native12_GLOBAL__N_124unique_dim_cuda_templateItEESt5tupleIJNSA_6TensorESF_SF_EERKSF_lbbbEUlllE_EE10hipError_tT0_T1_T2_T3_mRjT4_P12ihipStream_tbNS1_7vsmem_tEEUlT_E_NS1_11comp_targetILNS1_3genE2ELNS1_11target_archE906ELNS1_3gpuE6ELNS1_3repE0EEENS1_30default_config_static_selectorELNS0_4arch9wavefront6targetE0EEEvSM_.uses_vcc, 0
	.set _ZN7rocprim17ROCPRIM_400000_NS6detail17trampoline_kernelINS0_14default_configENS1_37merge_sort_block_sort_config_selectorIlNS0_10empty_typeEEEZNS1_21merge_sort_block_sortIS3_PlS8_PS5_S9_ZN2at6native12_GLOBAL__N_124unique_dim_cuda_templateItEESt5tupleIJNSA_6TensorESF_SF_EERKSF_lbbbEUlllE_EE10hipError_tT0_T1_T2_T3_mRjT4_P12ihipStream_tbNS1_7vsmem_tEEUlT_E_NS1_11comp_targetILNS1_3genE2ELNS1_11target_archE906ELNS1_3gpuE6ELNS1_3repE0EEENS1_30default_config_static_selectorELNS0_4arch9wavefront6targetE0EEEvSM_.uses_flat_scratch, 0
	.set _ZN7rocprim17ROCPRIM_400000_NS6detail17trampoline_kernelINS0_14default_configENS1_37merge_sort_block_sort_config_selectorIlNS0_10empty_typeEEEZNS1_21merge_sort_block_sortIS3_PlS8_PS5_S9_ZN2at6native12_GLOBAL__N_124unique_dim_cuda_templateItEESt5tupleIJNSA_6TensorESF_SF_EERKSF_lbbbEUlllE_EE10hipError_tT0_T1_T2_T3_mRjT4_P12ihipStream_tbNS1_7vsmem_tEEUlT_E_NS1_11comp_targetILNS1_3genE2ELNS1_11target_archE906ELNS1_3gpuE6ELNS1_3repE0EEENS1_30default_config_static_selectorELNS0_4arch9wavefront6targetE0EEEvSM_.has_dyn_sized_stack, 0
	.set _ZN7rocprim17ROCPRIM_400000_NS6detail17trampoline_kernelINS0_14default_configENS1_37merge_sort_block_sort_config_selectorIlNS0_10empty_typeEEEZNS1_21merge_sort_block_sortIS3_PlS8_PS5_S9_ZN2at6native12_GLOBAL__N_124unique_dim_cuda_templateItEESt5tupleIJNSA_6TensorESF_SF_EERKSF_lbbbEUlllE_EE10hipError_tT0_T1_T2_T3_mRjT4_P12ihipStream_tbNS1_7vsmem_tEEUlT_E_NS1_11comp_targetILNS1_3genE2ELNS1_11target_archE906ELNS1_3gpuE6ELNS1_3repE0EEENS1_30default_config_static_selectorELNS0_4arch9wavefront6targetE0EEEvSM_.has_recursion, 0
	.set _ZN7rocprim17ROCPRIM_400000_NS6detail17trampoline_kernelINS0_14default_configENS1_37merge_sort_block_sort_config_selectorIlNS0_10empty_typeEEEZNS1_21merge_sort_block_sortIS3_PlS8_PS5_S9_ZN2at6native12_GLOBAL__N_124unique_dim_cuda_templateItEESt5tupleIJNSA_6TensorESF_SF_EERKSF_lbbbEUlllE_EE10hipError_tT0_T1_T2_T3_mRjT4_P12ihipStream_tbNS1_7vsmem_tEEUlT_E_NS1_11comp_targetILNS1_3genE2ELNS1_11target_archE906ELNS1_3gpuE6ELNS1_3repE0EEENS1_30default_config_static_selectorELNS0_4arch9wavefront6targetE0EEEvSM_.has_indirect_call, 0
	.section	.AMDGPU.csdata,"",@progbits
; Kernel info:
; codeLenInByte = 0
; TotalNumSgprs: 0
; NumVgprs: 0
; ScratchSize: 0
; MemoryBound: 0
; FloatMode: 240
; IeeeMode: 1
; LDSByteSize: 0 bytes/workgroup (compile time only)
; SGPRBlocks: 0
; VGPRBlocks: 0
; NumSGPRsForWavesPerEU: 1
; NumVGPRsForWavesPerEU: 1
; NamedBarCnt: 0
; Occupancy: 16
; WaveLimiterHint : 0
; COMPUTE_PGM_RSRC2:SCRATCH_EN: 0
; COMPUTE_PGM_RSRC2:USER_SGPR: 2
; COMPUTE_PGM_RSRC2:TRAP_HANDLER: 0
; COMPUTE_PGM_RSRC2:TGID_X_EN: 1
; COMPUTE_PGM_RSRC2:TGID_Y_EN: 0
; COMPUTE_PGM_RSRC2:TGID_Z_EN: 0
; COMPUTE_PGM_RSRC2:TIDIG_COMP_CNT: 0
	.section	.text._ZN7rocprim17ROCPRIM_400000_NS6detail17trampoline_kernelINS0_14default_configENS1_37merge_sort_block_sort_config_selectorIlNS0_10empty_typeEEEZNS1_21merge_sort_block_sortIS3_PlS8_PS5_S9_ZN2at6native12_GLOBAL__N_124unique_dim_cuda_templateItEESt5tupleIJNSA_6TensorESF_SF_EERKSF_lbbbEUlllE_EE10hipError_tT0_T1_T2_T3_mRjT4_P12ihipStream_tbNS1_7vsmem_tEEUlT_E_NS1_11comp_targetILNS1_3genE10ELNS1_11target_archE1201ELNS1_3gpuE5ELNS1_3repE0EEENS1_30default_config_static_selectorELNS0_4arch9wavefront6targetE0EEEvSM_,"axG",@progbits,_ZN7rocprim17ROCPRIM_400000_NS6detail17trampoline_kernelINS0_14default_configENS1_37merge_sort_block_sort_config_selectorIlNS0_10empty_typeEEEZNS1_21merge_sort_block_sortIS3_PlS8_PS5_S9_ZN2at6native12_GLOBAL__N_124unique_dim_cuda_templateItEESt5tupleIJNSA_6TensorESF_SF_EERKSF_lbbbEUlllE_EE10hipError_tT0_T1_T2_T3_mRjT4_P12ihipStream_tbNS1_7vsmem_tEEUlT_E_NS1_11comp_targetILNS1_3genE10ELNS1_11target_archE1201ELNS1_3gpuE5ELNS1_3repE0EEENS1_30default_config_static_selectorELNS0_4arch9wavefront6targetE0EEEvSM_,comdat
	.globl	_ZN7rocprim17ROCPRIM_400000_NS6detail17trampoline_kernelINS0_14default_configENS1_37merge_sort_block_sort_config_selectorIlNS0_10empty_typeEEEZNS1_21merge_sort_block_sortIS3_PlS8_PS5_S9_ZN2at6native12_GLOBAL__N_124unique_dim_cuda_templateItEESt5tupleIJNSA_6TensorESF_SF_EERKSF_lbbbEUlllE_EE10hipError_tT0_T1_T2_T3_mRjT4_P12ihipStream_tbNS1_7vsmem_tEEUlT_E_NS1_11comp_targetILNS1_3genE10ELNS1_11target_archE1201ELNS1_3gpuE5ELNS1_3repE0EEENS1_30default_config_static_selectorELNS0_4arch9wavefront6targetE0EEEvSM_ ; -- Begin function _ZN7rocprim17ROCPRIM_400000_NS6detail17trampoline_kernelINS0_14default_configENS1_37merge_sort_block_sort_config_selectorIlNS0_10empty_typeEEEZNS1_21merge_sort_block_sortIS3_PlS8_PS5_S9_ZN2at6native12_GLOBAL__N_124unique_dim_cuda_templateItEESt5tupleIJNSA_6TensorESF_SF_EERKSF_lbbbEUlllE_EE10hipError_tT0_T1_T2_T3_mRjT4_P12ihipStream_tbNS1_7vsmem_tEEUlT_E_NS1_11comp_targetILNS1_3genE10ELNS1_11target_archE1201ELNS1_3gpuE5ELNS1_3repE0EEENS1_30default_config_static_selectorELNS0_4arch9wavefront6targetE0EEEvSM_
	.p2align	8
	.type	_ZN7rocprim17ROCPRIM_400000_NS6detail17trampoline_kernelINS0_14default_configENS1_37merge_sort_block_sort_config_selectorIlNS0_10empty_typeEEEZNS1_21merge_sort_block_sortIS3_PlS8_PS5_S9_ZN2at6native12_GLOBAL__N_124unique_dim_cuda_templateItEESt5tupleIJNSA_6TensorESF_SF_EERKSF_lbbbEUlllE_EE10hipError_tT0_T1_T2_T3_mRjT4_P12ihipStream_tbNS1_7vsmem_tEEUlT_E_NS1_11comp_targetILNS1_3genE10ELNS1_11target_archE1201ELNS1_3gpuE5ELNS1_3repE0EEENS1_30default_config_static_selectorELNS0_4arch9wavefront6targetE0EEEvSM_,@function
_ZN7rocprim17ROCPRIM_400000_NS6detail17trampoline_kernelINS0_14default_configENS1_37merge_sort_block_sort_config_selectorIlNS0_10empty_typeEEEZNS1_21merge_sort_block_sortIS3_PlS8_PS5_S9_ZN2at6native12_GLOBAL__N_124unique_dim_cuda_templateItEESt5tupleIJNSA_6TensorESF_SF_EERKSF_lbbbEUlllE_EE10hipError_tT0_T1_T2_T3_mRjT4_P12ihipStream_tbNS1_7vsmem_tEEUlT_E_NS1_11comp_targetILNS1_3genE10ELNS1_11target_archE1201ELNS1_3gpuE5ELNS1_3repE0EEENS1_30default_config_static_selectorELNS0_4arch9wavefront6targetE0EEEvSM_: ; @_ZN7rocprim17ROCPRIM_400000_NS6detail17trampoline_kernelINS0_14default_configENS1_37merge_sort_block_sort_config_selectorIlNS0_10empty_typeEEEZNS1_21merge_sort_block_sortIS3_PlS8_PS5_S9_ZN2at6native12_GLOBAL__N_124unique_dim_cuda_templateItEESt5tupleIJNSA_6TensorESF_SF_EERKSF_lbbbEUlllE_EE10hipError_tT0_T1_T2_T3_mRjT4_P12ihipStream_tbNS1_7vsmem_tEEUlT_E_NS1_11comp_targetILNS1_3genE10ELNS1_11target_archE1201ELNS1_3gpuE5ELNS1_3repE0EEENS1_30default_config_static_selectorELNS0_4arch9wavefront6targetE0EEEvSM_
; %bb.0:
	.section	.rodata,"a",@progbits
	.p2align	6, 0x0
	.amdhsa_kernel _ZN7rocprim17ROCPRIM_400000_NS6detail17trampoline_kernelINS0_14default_configENS1_37merge_sort_block_sort_config_selectorIlNS0_10empty_typeEEEZNS1_21merge_sort_block_sortIS3_PlS8_PS5_S9_ZN2at6native12_GLOBAL__N_124unique_dim_cuda_templateItEESt5tupleIJNSA_6TensorESF_SF_EERKSF_lbbbEUlllE_EE10hipError_tT0_T1_T2_T3_mRjT4_P12ihipStream_tbNS1_7vsmem_tEEUlT_E_NS1_11comp_targetILNS1_3genE10ELNS1_11target_archE1201ELNS1_3gpuE5ELNS1_3repE0EEENS1_30default_config_static_selectorELNS0_4arch9wavefront6targetE0EEEvSM_
		.amdhsa_group_segment_fixed_size 0
		.amdhsa_private_segment_fixed_size 0
		.amdhsa_kernarg_size 72
		.amdhsa_user_sgpr_count 2
		.amdhsa_user_sgpr_dispatch_ptr 0
		.amdhsa_user_sgpr_queue_ptr 0
		.amdhsa_user_sgpr_kernarg_segment_ptr 1
		.amdhsa_user_sgpr_dispatch_id 0
		.amdhsa_user_sgpr_kernarg_preload_length 0
		.amdhsa_user_sgpr_kernarg_preload_offset 0
		.amdhsa_user_sgpr_private_segment_size 0
		.amdhsa_wavefront_size32 1
		.amdhsa_uses_dynamic_stack 0
		.amdhsa_enable_private_segment 0
		.amdhsa_system_sgpr_workgroup_id_x 1
		.amdhsa_system_sgpr_workgroup_id_y 0
		.amdhsa_system_sgpr_workgroup_id_z 0
		.amdhsa_system_sgpr_workgroup_info 0
		.amdhsa_system_vgpr_workitem_id 0
		.amdhsa_next_free_vgpr 1
		.amdhsa_next_free_sgpr 1
		.amdhsa_named_barrier_count 0
		.amdhsa_reserve_vcc 0
		.amdhsa_float_round_mode_32 0
		.amdhsa_float_round_mode_16_64 0
		.amdhsa_float_denorm_mode_32 3
		.amdhsa_float_denorm_mode_16_64 3
		.amdhsa_fp16_overflow 0
		.amdhsa_memory_ordered 1
		.amdhsa_forward_progress 1
		.amdhsa_inst_pref_size 0
		.amdhsa_round_robin_scheduling 0
		.amdhsa_exception_fp_ieee_invalid_op 0
		.amdhsa_exception_fp_denorm_src 0
		.amdhsa_exception_fp_ieee_div_zero 0
		.amdhsa_exception_fp_ieee_overflow 0
		.amdhsa_exception_fp_ieee_underflow 0
		.amdhsa_exception_fp_ieee_inexact 0
		.amdhsa_exception_int_div_zero 0
	.end_amdhsa_kernel
	.section	.text._ZN7rocprim17ROCPRIM_400000_NS6detail17trampoline_kernelINS0_14default_configENS1_37merge_sort_block_sort_config_selectorIlNS0_10empty_typeEEEZNS1_21merge_sort_block_sortIS3_PlS8_PS5_S9_ZN2at6native12_GLOBAL__N_124unique_dim_cuda_templateItEESt5tupleIJNSA_6TensorESF_SF_EERKSF_lbbbEUlllE_EE10hipError_tT0_T1_T2_T3_mRjT4_P12ihipStream_tbNS1_7vsmem_tEEUlT_E_NS1_11comp_targetILNS1_3genE10ELNS1_11target_archE1201ELNS1_3gpuE5ELNS1_3repE0EEENS1_30default_config_static_selectorELNS0_4arch9wavefront6targetE0EEEvSM_,"axG",@progbits,_ZN7rocprim17ROCPRIM_400000_NS6detail17trampoline_kernelINS0_14default_configENS1_37merge_sort_block_sort_config_selectorIlNS0_10empty_typeEEEZNS1_21merge_sort_block_sortIS3_PlS8_PS5_S9_ZN2at6native12_GLOBAL__N_124unique_dim_cuda_templateItEESt5tupleIJNSA_6TensorESF_SF_EERKSF_lbbbEUlllE_EE10hipError_tT0_T1_T2_T3_mRjT4_P12ihipStream_tbNS1_7vsmem_tEEUlT_E_NS1_11comp_targetILNS1_3genE10ELNS1_11target_archE1201ELNS1_3gpuE5ELNS1_3repE0EEENS1_30default_config_static_selectorELNS0_4arch9wavefront6targetE0EEEvSM_,comdat
.Lfunc_end1366:
	.size	_ZN7rocprim17ROCPRIM_400000_NS6detail17trampoline_kernelINS0_14default_configENS1_37merge_sort_block_sort_config_selectorIlNS0_10empty_typeEEEZNS1_21merge_sort_block_sortIS3_PlS8_PS5_S9_ZN2at6native12_GLOBAL__N_124unique_dim_cuda_templateItEESt5tupleIJNSA_6TensorESF_SF_EERKSF_lbbbEUlllE_EE10hipError_tT0_T1_T2_T3_mRjT4_P12ihipStream_tbNS1_7vsmem_tEEUlT_E_NS1_11comp_targetILNS1_3genE10ELNS1_11target_archE1201ELNS1_3gpuE5ELNS1_3repE0EEENS1_30default_config_static_selectorELNS0_4arch9wavefront6targetE0EEEvSM_, .Lfunc_end1366-_ZN7rocprim17ROCPRIM_400000_NS6detail17trampoline_kernelINS0_14default_configENS1_37merge_sort_block_sort_config_selectorIlNS0_10empty_typeEEEZNS1_21merge_sort_block_sortIS3_PlS8_PS5_S9_ZN2at6native12_GLOBAL__N_124unique_dim_cuda_templateItEESt5tupleIJNSA_6TensorESF_SF_EERKSF_lbbbEUlllE_EE10hipError_tT0_T1_T2_T3_mRjT4_P12ihipStream_tbNS1_7vsmem_tEEUlT_E_NS1_11comp_targetILNS1_3genE10ELNS1_11target_archE1201ELNS1_3gpuE5ELNS1_3repE0EEENS1_30default_config_static_selectorELNS0_4arch9wavefront6targetE0EEEvSM_
                                        ; -- End function
	.set _ZN7rocprim17ROCPRIM_400000_NS6detail17trampoline_kernelINS0_14default_configENS1_37merge_sort_block_sort_config_selectorIlNS0_10empty_typeEEEZNS1_21merge_sort_block_sortIS3_PlS8_PS5_S9_ZN2at6native12_GLOBAL__N_124unique_dim_cuda_templateItEESt5tupleIJNSA_6TensorESF_SF_EERKSF_lbbbEUlllE_EE10hipError_tT0_T1_T2_T3_mRjT4_P12ihipStream_tbNS1_7vsmem_tEEUlT_E_NS1_11comp_targetILNS1_3genE10ELNS1_11target_archE1201ELNS1_3gpuE5ELNS1_3repE0EEENS1_30default_config_static_selectorELNS0_4arch9wavefront6targetE0EEEvSM_.num_vgpr, 0
	.set _ZN7rocprim17ROCPRIM_400000_NS6detail17trampoline_kernelINS0_14default_configENS1_37merge_sort_block_sort_config_selectorIlNS0_10empty_typeEEEZNS1_21merge_sort_block_sortIS3_PlS8_PS5_S9_ZN2at6native12_GLOBAL__N_124unique_dim_cuda_templateItEESt5tupleIJNSA_6TensorESF_SF_EERKSF_lbbbEUlllE_EE10hipError_tT0_T1_T2_T3_mRjT4_P12ihipStream_tbNS1_7vsmem_tEEUlT_E_NS1_11comp_targetILNS1_3genE10ELNS1_11target_archE1201ELNS1_3gpuE5ELNS1_3repE0EEENS1_30default_config_static_selectorELNS0_4arch9wavefront6targetE0EEEvSM_.num_agpr, 0
	.set _ZN7rocprim17ROCPRIM_400000_NS6detail17trampoline_kernelINS0_14default_configENS1_37merge_sort_block_sort_config_selectorIlNS0_10empty_typeEEEZNS1_21merge_sort_block_sortIS3_PlS8_PS5_S9_ZN2at6native12_GLOBAL__N_124unique_dim_cuda_templateItEESt5tupleIJNSA_6TensorESF_SF_EERKSF_lbbbEUlllE_EE10hipError_tT0_T1_T2_T3_mRjT4_P12ihipStream_tbNS1_7vsmem_tEEUlT_E_NS1_11comp_targetILNS1_3genE10ELNS1_11target_archE1201ELNS1_3gpuE5ELNS1_3repE0EEENS1_30default_config_static_selectorELNS0_4arch9wavefront6targetE0EEEvSM_.numbered_sgpr, 0
	.set _ZN7rocprim17ROCPRIM_400000_NS6detail17trampoline_kernelINS0_14default_configENS1_37merge_sort_block_sort_config_selectorIlNS0_10empty_typeEEEZNS1_21merge_sort_block_sortIS3_PlS8_PS5_S9_ZN2at6native12_GLOBAL__N_124unique_dim_cuda_templateItEESt5tupleIJNSA_6TensorESF_SF_EERKSF_lbbbEUlllE_EE10hipError_tT0_T1_T2_T3_mRjT4_P12ihipStream_tbNS1_7vsmem_tEEUlT_E_NS1_11comp_targetILNS1_3genE10ELNS1_11target_archE1201ELNS1_3gpuE5ELNS1_3repE0EEENS1_30default_config_static_selectorELNS0_4arch9wavefront6targetE0EEEvSM_.num_named_barrier, 0
	.set _ZN7rocprim17ROCPRIM_400000_NS6detail17trampoline_kernelINS0_14default_configENS1_37merge_sort_block_sort_config_selectorIlNS0_10empty_typeEEEZNS1_21merge_sort_block_sortIS3_PlS8_PS5_S9_ZN2at6native12_GLOBAL__N_124unique_dim_cuda_templateItEESt5tupleIJNSA_6TensorESF_SF_EERKSF_lbbbEUlllE_EE10hipError_tT0_T1_T2_T3_mRjT4_P12ihipStream_tbNS1_7vsmem_tEEUlT_E_NS1_11comp_targetILNS1_3genE10ELNS1_11target_archE1201ELNS1_3gpuE5ELNS1_3repE0EEENS1_30default_config_static_selectorELNS0_4arch9wavefront6targetE0EEEvSM_.private_seg_size, 0
	.set _ZN7rocprim17ROCPRIM_400000_NS6detail17trampoline_kernelINS0_14default_configENS1_37merge_sort_block_sort_config_selectorIlNS0_10empty_typeEEEZNS1_21merge_sort_block_sortIS3_PlS8_PS5_S9_ZN2at6native12_GLOBAL__N_124unique_dim_cuda_templateItEESt5tupleIJNSA_6TensorESF_SF_EERKSF_lbbbEUlllE_EE10hipError_tT0_T1_T2_T3_mRjT4_P12ihipStream_tbNS1_7vsmem_tEEUlT_E_NS1_11comp_targetILNS1_3genE10ELNS1_11target_archE1201ELNS1_3gpuE5ELNS1_3repE0EEENS1_30default_config_static_selectorELNS0_4arch9wavefront6targetE0EEEvSM_.uses_vcc, 0
	.set _ZN7rocprim17ROCPRIM_400000_NS6detail17trampoline_kernelINS0_14default_configENS1_37merge_sort_block_sort_config_selectorIlNS0_10empty_typeEEEZNS1_21merge_sort_block_sortIS3_PlS8_PS5_S9_ZN2at6native12_GLOBAL__N_124unique_dim_cuda_templateItEESt5tupleIJNSA_6TensorESF_SF_EERKSF_lbbbEUlllE_EE10hipError_tT0_T1_T2_T3_mRjT4_P12ihipStream_tbNS1_7vsmem_tEEUlT_E_NS1_11comp_targetILNS1_3genE10ELNS1_11target_archE1201ELNS1_3gpuE5ELNS1_3repE0EEENS1_30default_config_static_selectorELNS0_4arch9wavefront6targetE0EEEvSM_.uses_flat_scratch, 0
	.set _ZN7rocprim17ROCPRIM_400000_NS6detail17trampoline_kernelINS0_14default_configENS1_37merge_sort_block_sort_config_selectorIlNS0_10empty_typeEEEZNS1_21merge_sort_block_sortIS3_PlS8_PS5_S9_ZN2at6native12_GLOBAL__N_124unique_dim_cuda_templateItEESt5tupleIJNSA_6TensorESF_SF_EERKSF_lbbbEUlllE_EE10hipError_tT0_T1_T2_T3_mRjT4_P12ihipStream_tbNS1_7vsmem_tEEUlT_E_NS1_11comp_targetILNS1_3genE10ELNS1_11target_archE1201ELNS1_3gpuE5ELNS1_3repE0EEENS1_30default_config_static_selectorELNS0_4arch9wavefront6targetE0EEEvSM_.has_dyn_sized_stack, 0
	.set _ZN7rocprim17ROCPRIM_400000_NS6detail17trampoline_kernelINS0_14default_configENS1_37merge_sort_block_sort_config_selectorIlNS0_10empty_typeEEEZNS1_21merge_sort_block_sortIS3_PlS8_PS5_S9_ZN2at6native12_GLOBAL__N_124unique_dim_cuda_templateItEESt5tupleIJNSA_6TensorESF_SF_EERKSF_lbbbEUlllE_EE10hipError_tT0_T1_T2_T3_mRjT4_P12ihipStream_tbNS1_7vsmem_tEEUlT_E_NS1_11comp_targetILNS1_3genE10ELNS1_11target_archE1201ELNS1_3gpuE5ELNS1_3repE0EEENS1_30default_config_static_selectorELNS0_4arch9wavefront6targetE0EEEvSM_.has_recursion, 0
	.set _ZN7rocprim17ROCPRIM_400000_NS6detail17trampoline_kernelINS0_14default_configENS1_37merge_sort_block_sort_config_selectorIlNS0_10empty_typeEEEZNS1_21merge_sort_block_sortIS3_PlS8_PS5_S9_ZN2at6native12_GLOBAL__N_124unique_dim_cuda_templateItEESt5tupleIJNSA_6TensorESF_SF_EERKSF_lbbbEUlllE_EE10hipError_tT0_T1_T2_T3_mRjT4_P12ihipStream_tbNS1_7vsmem_tEEUlT_E_NS1_11comp_targetILNS1_3genE10ELNS1_11target_archE1201ELNS1_3gpuE5ELNS1_3repE0EEENS1_30default_config_static_selectorELNS0_4arch9wavefront6targetE0EEEvSM_.has_indirect_call, 0
	.section	.AMDGPU.csdata,"",@progbits
; Kernel info:
; codeLenInByte = 0
; TotalNumSgprs: 0
; NumVgprs: 0
; ScratchSize: 0
; MemoryBound: 0
; FloatMode: 240
; IeeeMode: 1
; LDSByteSize: 0 bytes/workgroup (compile time only)
; SGPRBlocks: 0
; VGPRBlocks: 0
; NumSGPRsForWavesPerEU: 1
; NumVGPRsForWavesPerEU: 1
; NamedBarCnt: 0
; Occupancy: 16
; WaveLimiterHint : 0
; COMPUTE_PGM_RSRC2:SCRATCH_EN: 0
; COMPUTE_PGM_RSRC2:USER_SGPR: 2
; COMPUTE_PGM_RSRC2:TRAP_HANDLER: 0
; COMPUTE_PGM_RSRC2:TGID_X_EN: 1
; COMPUTE_PGM_RSRC2:TGID_Y_EN: 0
; COMPUTE_PGM_RSRC2:TGID_Z_EN: 0
; COMPUTE_PGM_RSRC2:TIDIG_COMP_CNT: 0
	.section	.text._ZN7rocprim17ROCPRIM_400000_NS6detail17trampoline_kernelINS0_14default_configENS1_37merge_sort_block_sort_config_selectorIlNS0_10empty_typeEEEZNS1_21merge_sort_block_sortIS3_PlS8_PS5_S9_ZN2at6native12_GLOBAL__N_124unique_dim_cuda_templateItEESt5tupleIJNSA_6TensorESF_SF_EERKSF_lbbbEUlllE_EE10hipError_tT0_T1_T2_T3_mRjT4_P12ihipStream_tbNS1_7vsmem_tEEUlT_E_NS1_11comp_targetILNS1_3genE10ELNS1_11target_archE1200ELNS1_3gpuE4ELNS1_3repE0EEENS1_30default_config_static_selectorELNS0_4arch9wavefront6targetE0EEEvSM_,"axG",@progbits,_ZN7rocprim17ROCPRIM_400000_NS6detail17trampoline_kernelINS0_14default_configENS1_37merge_sort_block_sort_config_selectorIlNS0_10empty_typeEEEZNS1_21merge_sort_block_sortIS3_PlS8_PS5_S9_ZN2at6native12_GLOBAL__N_124unique_dim_cuda_templateItEESt5tupleIJNSA_6TensorESF_SF_EERKSF_lbbbEUlllE_EE10hipError_tT0_T1_T2_T3_mRjT4_P12ihipStream_tbNS1_7vsmem_tEEUlT_E_NS1_11comp_targetILNS1_3genE10ELNS1_11target_archE1200ELNS1_3gpuE4ELNS1_3repE0EEENS1_30default_config_static_selectorELNS0_4arch9wavefront6targetE0EEEvSM_,comdat
	.globl	_ZN7rocprim17ROCPRIM_400000_NS6detail17trampoline_kernelINS0_14default_configENS1_37merge_sort_block_sort_config_selectorIlNS0_10empty_typeEEEZNS1_21merge_sort_block_sortIS3_PlS8_PS5_S9_ZN2at6native12_GLOBAL__N_124unique_dim_cuda_templateItEESt5tupleIJNSA_6TensorESF_SF_EERKSF_lbbbEUlllE_EE10hipError_tT0_T1_T2_T3_mRjT4_P12ihipStream_tbNS1_7vsmem_tEEUlT_E_NS1_11comp_targetILNS1_3genE10ELNS1_11target_archE1200ELNS1_3gpuE4ELNS1_3repE0EEENS1_30default_config_static_selectorELNS0_4arch9wavefront6targetE0EEEvSM_ ; -- Begin function _ZN7rocprim17ROCPRIM_400000_NS6detail17trampoline_kernelINS0_14default_configENS1_37merge_sort_block_sort_config_selectorIlNS0_10empty_typeEEEZNS1_21merge_sort_block_sortIS3_PlS8_PS5_S9_ZN2at6native12_GLOBAL__N_124unique_dim_cuda_templateItEESt5tupleIJNSA_6TensorESF_SF_EERKSF_lbbbEUlllE_EE10hipError_tT0_T1_T2_T3_mRjT4_P12ihipStream_tbNS1_7vsmem_tEEUlT_E_NS1_11comp_targetILNS1_3genE10ELNS1_11target_archE1200ELNS1_3gpuE4ELNS1_3repE0EEENS1_30default_config_static_selectorELNS0_4arch9wavefront6targetE0EEEvSM_
	.p2align	8
	.type	_ZN7rocprim17ROCPRIM_400000_NS6detail17trampoline_kernelINS0_14default_configENS1_37merge_sort_block_sort_config_selectorIlNS0_10empty_typeEEEZNS1_21merge_sort_block_sortIS3_PlS8_PS5_S9_ZN2at6native12_GLOBAL__N_124unique_dim_cuda_templateItEESt5tupleIJNSA_6TensorESF_SF_EERKSF_lbbbEUlllE_EE10hipError_tT0_T1_T2_T3_mRjT4_P12ihipStream_tbNS1_7vsmem_tEEUlT_E_NS1_11comp_targetILNS1_3genE10ELNS1_11target_archE1200ELNS1_3gpuE4ELNS1_3repE0EEENS1_30default_config_static_selectorELNS0_4arch9wavefront6targetE0EEEvSM_,@function
_ZN7rocprim17ROCPRIM_400000_NS6detail17trampoline_kernelINS0_14default_configENS1_37merge_sort_block_sort_config_selectorIlNS0_10empty_typeEEEZNS1_21merge_sort_block_sortIS3_PlS8_PS5_S9_ZN2at6native12_GLOBAL__N_124unique_dim_cuda_templateItEESt5tupleIJNSA_6TensorESF_SF_EERKSF_lbbbEUlllE_EE10hipError_tT0_T1_T2_T3_mRjT4_P12ihipStream_tbNS1_7vsmem_tEEUlT_E_NS1_11comp_targetILNS1_3genE10ELNS1_11target_archE1200ELNS1_3gpuE4ELNS1_3repE0EEENS1_30default_config_static_selectorELNS0_4arch9wavefront6targetE0EEEvSM_: ; @_ZN7rocprim17ROCPRIM_400000_NS6detail17trampoline_kernelINS0_14default_configENS1_37merge_sort_block_sort_config_selectorIlNS0_10empty_typeEEEZNS1_21merge_sort_block_sortIS3_PlS8_PS5_S9_ZN2at6native12_GLOBAL__N_124unique_dim_cuda_templateItEESt5tupleIJNSA_6TensorESF_SF_EERKSF_lbbbEUlllE_EE10hipError_tT0_T1_T2_T3_mRjT4_P12ihipStream_tbNS1_7vsmem_tEEUlT_E_NS1_11comp_targetILNS1_3genE10ELNS1_11target_archE1200ELNS1_3gpuE4ELNS1_3repE0EEENS1_30default_config_static_selectorELNS0_4arch9wavefront6targetE0EEEvSM_
; %bb.0:
	.section	.rodata,"a",@progbits
	.p2align	6, 0x0
	.amdhsa_kernel _ZN7rocprim17ROCPRIM_400000_NS6detail17trampoline_kernelINS0_14default_configENS1_37merge_sort_block_sort_config_selectorIlNS0_10empty_typeEEEZNS1_21merge_sort_block_sortIS3_PlS8_PS5_S9_ZN2at6native12_GLOBAL__N_124unique_dim_cuda_templateItEESt5tupleIJNSA_6TensorESF_SF_EERKSF_lbbbEUlllE_EE10hipError_tT0_T1_T2_T3_mRjT4_P12ihipStream_tbNS1_7vsmem_tEEUlT_E_NS1_11comp_targetILNS1_3genE10ELNS1_11target_archE1200ELNS1_3gpuE4ELNS1_3repE0EEENS1_30default_config_static_selectorELNS0_4arch9wavefront6targetE0EEEvSM_
		.amdhsa_group_segment_fixed_size 0
		.amdhsa_private_segment_fixed_size 0
		.amdhsa_kernarg_size 72
		.amdhsa_user_sgpr_count 2
		.amdhsa_user_sgpr_dispatch_ptr 0
		.amdhsa_user_sgpr_queue_ptr 0
		.amdhsa_user_sgpr_kernarg_segment_ptr 1
		.amdhsa_user_sgpr_dispatch_id 0
		.amdhsa_user_sgpr_kernarg_preload_length 0
		.amdhsa_user_sgpr_kernarg_preload_offset 0
		.amdhsa_user_sgpr_private_segment_size 0
		.amdhsa_wavefront_size32 1
		.amdhsa_uses_dynamic_stack 0
		.amdhsa_enable_private_segment 0
		.amdhsa_system_sgpr_workgroup_id_x 1
		.amdhsa_system_sgpr_workgroup_id_y 0
		.amdhsa_system_sgpr_workgroup_id_z 0
		.amdhsa_system_sgpr_workgroup_info 0
		.amdhsa_system_vgpr_workitem_id 0
		.amdhsa_next_free_vgpr 1
		.amdhsa_next_free_sgpr 1
		.amdhsa_named_barrier_count 0
		.amdhsa_reserve_vcc 0
		.amdhsa_float_round_mode_32 0
		.amdhsa_float_round_mode_16_64 0
		.amdhsa_float_denorm_mode_32 3
		.amdhsa_float_denorm_mode_16_64 3
		.amdhsa_fp16_overflow 0
		.amdhsa_memory_ordered 1
		.amdhsa_forward_progress 1
		.amdhsa_inst_pref_size 0
		.amdhsa_round_robin_scheduling 0
		.amdhsa_exception_fp_ieee_invalid_op 0
		.amdhsa_exception_fp_denorm_src 0
		.amdhsa_exception_fp_ieee_div_zero 0
		.amdhsa_exception_fp_ieee_overflow 0
		.amdhsa_exception_fp_ieee_underflow 0
		.amdhsa_exception_fp_ieee_inexact 0
		.amdhsa_exception_int_div_zero 0
	.end_amdhsa_kernel
	.section	.text._ZN7rocprim17ROCPRIM_400000_NS6detail17trampoline_kernelINS0_14default_configENS1_37merge_sort_block_sort_config_selectorIlNS0_10empty_typeEEEZNS1_21merge_sort_block_sortIS3_PlS8_PS5_S9_ZN2at6native12_GLOBAL__N_124unique_dim_cuda_templateItEESt5tupleIJNSA_6TensorESF_SF_EERKSF_lbbbEUlllE_EE10hipError_tT0_T1_T2_T3_mRjT4_P12ihipStream_tbNS1_7vsmem_tEEUlT_E_NS1_11comp_targetILNS1_3genE10ELNS1_11target_archE1200ELNS1_3gpuE4ELNS1_3repE0EEENS1_30default_config_static_selectorELNS0_4arch9wavefront6targetE0EEEvSM_,"axG",@progbits,_ZN7rocprim17ROCPRIM_400000_NS6detail17trampoline_kernelINS0_14default_configENS1_37merge_sort_block_sort_config_selectorIlNS0_10empty_typeEEEZNS1_21merge_sort_block_sortIS3_PlS8_PS5_S9_ZN2at6native12_GLOBAL__N_124unique_dim_cuda_templateItEESt5tupleIJNSA_6TensorESF_SF_EERKSF_lbbbEUlllE_EE10hipError_tT0_T1_T2_T3_mRjT4_P12ihipStream_tbNS1_7vsmem_tEEUlT_E_NS1_11comp_targetILNS1_3genE10ELNS1_11target_archE1200ELNS1_3gpuE4ELNS1_3repE0EEENS1_30default_config_static_selectorELNS0_4arch9wavefront6targetE0EEEvSM_,comdat
.Lfunc_end1367:
	.size	_ZN7rocprim17ROCPRIM_400000_NS6detail17trampoline_kernelINS0_14default_configENS1_37merge_sort_block_sort_config_selectorIlNS0_10empty_typeEEEZNS1_21merge_sort_block_sortIS3_PlS8_PS5_S9_ZN2at6native12_GLOBAL__N_124unique_dim_cuda_templateItEESt5tupleIJNSA_6TensorESF_SF_EERKSF_lbbbEUlllE_EE10hipError_tT0_T1_T2_T3_mRjT4_P12ihipStream_tbNS1_7vsmem_tEEUlT_E_NS1_11comp_targetILNS1_3genE10ELNS1_11target_archE1200ELNS1_3gpuE4ELNS1_3repE0EEENS1_30default_config_static_selectorELNS0_4arch9wavefront6targetE0EEEvSM_, .Lfunc_end1367-_ZN7rocprim17ROCPRIM_400000_NS6detail17trampoline_kernelINS0_14default_configENS1_37merge_sort_block_sort_config_selectorIlNS0_10empty_typeEEEZNS1_21merge_sort_block_sortIS3_PlS8_PS5_S9_ZN2at6native12_GLOBAL__N_124unique_dim_cuda_templateItEESt5tupleIJNSA_6TensorESF_SF_EERKSF_lbbbEUlllE_EE10hipError_tT0_T1_T2_T3_mRjT4_P12ihipStream_tbNS1_7vsmem_tEEUlT_E_NS1_11comp_targetILNS1_3genE10ELNS1_11target_archE1200ELNS1_3gpuE4ELNS1_3repE0EEENS1_30default_config_static_selectorELNS0_4arch9wavefront6targetE0EEEvSM_
                                        ; -- End function
	.set _ZN7rocprim17ROCPRIM_400000_NS6detail17trampoline_kernelINS0_14default_configENS1_37merge_sort_block_sort_config_selectorIlNS0_10empty_typeEEEZNS1_21merge_sort_block_sortIS3_PlS8_PS5_S9_ZN2at6native12_GLOBAL__N_124unique_dim_cuda_templateItEESt5tupleIJNSA_6TensorESF_SF_EERKSF_lbbbEUlllE_EE10hipError_tT0_T1_T2_T3_mRjT4_P12ihipStream_tbNS1_7vsmem_tEEUlT_E_NS1_11comp_targetILNS1_3genE10ELNS1_11target_archE1200ELNS1_3gpuE4ELNS1_3repE0EEENS1_30default_config_static_selectorELNS0_4arch9wavefront6targetE0EEEvSM_.num_vgpr, 0
	.set _ZN7rocprim17ROCPRIM_400000_NS6detail17trampoline_kernelINS0_14default_configENS1_37merge_sort_block_sort_config_selectorIlNS0_10empty_typeEEEZNS1_21merge_sort_block_sortIS3_PlS8_PS5_S9_ZN2at6native12_GLOBAL__N_124unique_dim_cuda_templateItEESt5tupleIJNSA_6TensorESF_SF_EERKSF_lbbbEUlllE_EE10hipError_tT0_T1_T2_T3_mRjT4_P12ihipStream_tbNS1_7vsmem_tEEUlT_E_NS1_11comp_targetILNS1_3genE10ELNS1_11target_archE1200ELNS1_3gpuE4ELNS1_3repE0EEENS1_30default_config_static_selectorELNS0_4arch9wavefront6targetE0EEEvSM_.num_agpr, 0
	.set _ZN7rocprim17ROCPRIM_400000_NS6detail17trampoline_kernelINS0_14default_configENS1_37merge_sort_block_sort_config_selectorIlNS0_10empty_typeEEEZNS1_21merge_sort_block_sortIS3_PlS8_PS5_S9_ZN2at6native12_GLOBAL__N_124unique_dim_cuda_templateItEESt5tupleIJNSA_6TensorESF_SF_EERKSF_lbbbEUlllE_EE10hipError_tT0_T1_T2_T3_mRjT4_P12ihipStream_tbNS1_7vsmem_tEEUlT_E_NS1_11comp_targetILNS1_3genE10ELNS1_11target_archE1200ELNS1_3gpuE4ELNS1_3repE0EEENS1_30default_config_static_selectorELNS0_4arch9wavefront6targetE0EEEvSM_.numbered_sgpr, 0
	.set _ZN7rocprim17ROCPRIM_400000_NS6detail17trampoline_kernelINS0_14default_configENS1_37merge_sort_block_sort_config_selectorIlNS0_10empty_typeEEEZNS1_21merge_sort_block_sortIS3_PlS8_PS5_S9_ZN2at6native12_GLOBAL__N_124unique_dim_cuda_templateItEESt5tupleIJNSA_6TensorESF_SF_EERKSF_lbbbEUlllE_EE10hipError_tT0_T1_T2_T3_mRjT4_P12ihipStream_tbNS1_7vsmem_tEEUlT_E_NS1_11comp_targetILNS1_3genE10ELNS1_11target_archE1200ELNS1_3gpuE4ELNS1_3repE0EEENS1_30default_config_static_selectorELNS0_4arch9wavefront6targetE0EEEvSM_.num_named_barrier, 0
	.set _ZN7rocprim17ROCPRIM_400000_NS6detail17trampoline_kernelINS0_14default_configENS1_37merge_sort_block_sort_config_selectorIlNS0_10empty_typeEEEZNS1_21merge_sort_block_sortIS3_PlS8_PS5_S9_ZN2at6native12_GLOBAL__N_124unique_dim_cuda_templateItEESt5tupleIJNSA_6TensorESF_SF_EERKSF_lbbbEUlllE_EE10hipError_tT0_T1_T2_T3_mRjT4_P12ihipStream_tbNS1_7vsmem_tEEUlT_E_NS1_11comp_targetILNS1_3genE10ELNS1_11target_archE1200ELNS1_3gpuE4ELNS1_3repE0EEENS1_30default_config_static_selectorELNS0_4arch9wavefront6targetE0EEEvSM_.private_seg_size, 0
	.set _ZN7rocprim17ROCPRIM_400000_NS6detail17trampoline_kernelINS0_14default_configENS1_37merge_sort_block_sort_config_selectorIlNS0_10empty_typeEEEZNS1_21merge_sort_block_sortIS3_PlS8_PS5_S9_ZN2at6native12_GLOBAL__N_124unique_dim_cuda_templateItEESt5tupleIJNSA_6TensorESF_SF_EERKSF_lbbbEUlllE_EE10hipError_tT0_T1_T2_T3_mRjT4_P12ihipStream_tbNS1_7vsmem_tEEUlT_E_NS1_11comp_targetILNS1_3genE10ELNS1_11target_archE1200ELNS1_3gpuE4ELNS1_3repE0EEENS1_30default_config_static_selectorELNS0_4arch9wavefront6targetE0EEEvSM_.uses_vcc, 0
	.set _ZN7rocprim17ROCPRIM_400000_NS6detail17trampoline_kernelINS0_14default_configENS1_37merge_sort_block_sort_config_selectorIlNS0_10empty_typeEEEZNS1_21merge_sort_block_sortIS3_PlS8_PS5_S9_ZN2at6native12_GLOBAL__N_124unique_dim_cuda_templateItEESt5tupleIJNSA_6TensorESF_SF_EERKSF_lbbbEUlllE_EE10hipError_tT0_T1_T2_T3_mRjT4_P12ihipStream_tbNS1_7vsmem_tEEUlT_E_NS1_11comp_targetILNS1_3genE10ELNS1_11target_archE1200ELNS1_3gpuE4ELNS1_3repE0EEENS1_30default_config_static_selectorELNS0_4arch9wavefront6targetE0EEEvSM_.uses_flat_scratch, 0
	.set _ZN7rocprim17ROCPRIM_400000_NS6detail17trampoline_kernelINS0_14default_configENS1_37merge_sort_block_sort_config_selectorIlNS0_10empty_typeEEEZNS1_21merge_sort_block_sortIS3_PlS8_PS5_S9_ZN2at6native12_GLOBAL__N_124unique_dim_cuda_templateItEESt5tupleIJNSA_6TensorESF_SF_EERKSF_lbbbEUlllE_EE10hipError_tT0_T1_T2_T3_mRjT4_P12ihipStream_tbNS1_7vsmem_tEEUlT_E_NS1_11comp_targetILNS1_3genE10ELNS1_11target_archE1200ELNS1_3gpuE4ELNS1_3repE0EEENS1_30default_config_static_selectorELNS0_4arch9wavefront6targetE0EEEvSM_.has_dyn_sized_stack, 0
	.set _ZN7rocprim17ROCPRIM_400000_NS6detail17trampoline_kernelINS0_14default_configENS1_37merge_sort_block_sort_config_selectorIlNS0_10empty_typeEEEZNS1_21merge_sort_block_sortIS3_PlS8_PS5_S9_ZN2at6native12_GLOBAL__N_124unique_dim_cuda_templateItEESt5tupleIJNSA_6TensorESF_SF_EERKSF_lbbbEUlllE_EE10hipError_tT0_T1_T2_T3_mRjT4_P12ihipStream_tbNS1_7vsmem_tEEUlT_E_NS1_11comp_targetILNS1_3genE10ELNS1_11target_archE1200ELNS1_3gpuE4ELNS1_3repE0EEENS1_30default_config_static_selectorELNS0_4arch9wavefront6targetE0EEEvSM_.has_recursion, 0
	.set _ZN7rocprim17ROCPRIM_400000_NS6detail17trampoline_kernelINS0_14default_configENS1_37merge_sort_block_sort_config_selectorIlNS0_10empty_typeEEEZNS1_21merge_sort_block_sortIS3_PlS8_PS5_S9_ZN2at6native12_GLOBAL__N_124unique_dim_cuda_templateItEESt5tupleIJNSA_6TensorESF_SF_EERKSF_lbbbEUlllE_EE10hipError_tT0_T1_T2_T3_mRjT4_P12ihipStream_tbNS1_7vsmem_tEEUlT_E_NS1_11comp_targetILNS1_3genE10ELNS1_11target_archE1200ELNS1_3gpuE4ELNS1_3repE0EEENS1_30default_config_static_selectorELNS0_4arch9wavefront6targetE0EEEvSM_.has_indirect_call, 0
	.section	.AMDGPU.csdata,"",@progbits
; Kernel info:
; codeLenInByte = 0
; TotalNumSgprs: 0
; NumVgprs: 0
; ScratchSize: 0
; MemoryBound: 0
; FloatMode: 240
; IeeeMode: 1
; LDSByteSize: 0 bytes/workgroup (compile time only)
; SGPRBlocks: 0
; VGPRBlocks: 0
; NumSGPRsForWavesPerEU: 1
; NumVGPRsForWavesPerEU: 1
; NamedBarCnt: 0
; Occupancy: 16
; WaveLimiterHint : 0
; COMPUTE_PGM_RSRC2:SCRATCH_EN: 0
; COMPUTE_PGM_RSRC2:USER_SGPR: 2
; COMPUTE_PGM_RSRC2:TRAP_HANDLER: 0
; COMPUTE_PGM_RSRC2:TGID_X_EN: 1
; COMPUTE_PGM_RSRC2:TGID_Y_EN: 0
; COMPUTE_PGM_RSRC2:TGID_Z_EN: 0
; COMPUTE_PGM_RSRC2:TIDIG_COMP_CNT: 0
	.section	.text._ZN7rocprim17ROCPRIM_400000_NS6detail17trampoline_kernelINS0_14default_configENS1_37merge_sort_block_sort_config_selectorIlNS0_10empty_typeEEEZNS1_21merge_sort_block_sortIS3_PlS8_PS5_S9_ZN2at6native12_GLOBAL__N_124unique_dim_cuda_templateItEESt5tupleIJNSA_6TensorESF_SF_EERKSF_lbbbEUlllE_EE10hipError_tT0_T1_T2_T3_mRjT4_P12ihipStream_tbNS1_7vsmem_tEEUlT_E_NS1_11comp_targetILNS1_3genE9ELNS1_11target_archE1100ELNS1_3gpuE3ELNS1_3repE0EEENS1_30default_config_static_selectorELNS0_4arch9wavefront6targetE0EEEvSM_,"axG",@progbits,_ZN7rocprim17ROCPRIM_400000_NS6detail17trampoline_kernelINS0_14default_configENS1_37merge_sort_block_sort_config_selectorIlNS0_10empty_typeEEEZNS1_21merge_sort_block_sortIS3_PlS8_PS5_S9_ZN2at6native12_GLOBAL__N_124unique_dim_cuda_templateItEESt5tupleIJNSA_6TensorESF_SF_EERKSF_lbbbEUlllE_EE10hipError_tT0_T1_T2_T3_mRjT4_P12ihipStream_tbNS1_7vsmem_tEEUlT_E_NS1_11comp_targetILNS1_3genE9ELNS1_11target_archE1100ELNS1_3gpuE3ELNS1_3repE0EEENS1_30default_config_static_selectorELNS0_4arch9wavefront6targetE0EEEvSM_,comdat
	.globl	_ZN7rocprim17ROCPRIM_400000_NS6detail17trampoline_kernelINS0_14default_configENS1_37merge_sort_block_sort_config_selectorIlNS0_10empty_typeEEEZNS1_21merge_sort_block_sortIS3_PlS8_PS5_S9_ZN2at6native12_GLOBAL__N_124unique_dim_cuda_templateItEESt5tupleIJNSA_6TensorESF_SF_EERKSF_lbbbEUlllE_EE10hipError_tT0_T1_T2_T3_mRjT4_P12ihipStream_tbNS1_7vsmem_tEEUlT_E_NS1_11comp_targetILNS1_3genE9ELNS1_11target_archE1100ELNS1_3gpuE3ELNS1_3repE0EEENS1_30default_config_static_selectorELNS0_4arch9wavefront6targetE0EEEvSM_ ; -- Begin function _ZN7rocprim17ROCPRIM_400000_NS6detail17trampoline_kernelINS0_14default_configENS1_37merge_sort_block_sort_config_selectorIlNS0_10empty_typeEEEZNS1_21merge_sort_block_sortIS3_PlS8_PS5_S9_ZN2at6native12_GLOBAL__N_124unique_dim_cuda_templateItEESt5tupleIJNSA_6TensorESF_SF_EERKSF_lbbbEUlllE_EE10hipError_tT0_T1_T2_T3_mRjT4_P12ihipStream_tbNS1_7vsmem_tEEUlT_E_NS1_11comp_targetILNS1_3genE9ELNS1_11target_archE1100ELNS1_3gpuE3ELNS1_3repE0EEENS1_30default_config_static_selectorELNS0_4arch9wavefront6targetE0EEEvSM_
	.p2align	8
	.type	_ZN7rocprim17ROCPRIM_400000_NS6detail17trampoline_kernelINS0_14default_configENS1_37merge_sort_block_sort_config_selectorIlNS0_10empty_typeEEEZNS1_21merge_sort_block_sortIS3_PlS8_PS5_S9_ZN2at6native12_GLOBAL__N_124unique_dim_cuda_templateItEESt5tupleIJNSA_6TensorESF_SF_EERKSF_lbbbEUlllE_EE10hipError_tT0_T1_T2_T3_mRjT4_P12ihipStream_tbNS1_7vsmem_tEEUlT_E_NS1_11comp_targetILNS1_3genE9ELNS1_11target_archE1100ELNS1_3gpuE3ELNS1_3repE0EEENS1_30default_config_static_selectorELNS0_4arch9wavefront6targetE0EEEvSM_,@function
_ZN7rocprim17ROCPRIM_400000_NS6detail17trampoline_kernelINS0_14default_configENS1_37merge_sort_block_sort_config_selectorIlNS0_10empty_typeEEEZNS1_21merge_sort_block_sortIS3_PlS8_PS5_S9_ZN2at6native12_GLOBAL__N_124unique_dim_cuda_templateItEESt5tupleIJNSA_6TensorESF_SF_EERKSF_lbbbEUlllE_EE10hipError_tT0_T1_T2_T3_mRjT4_P12ihipStream_tbNS1_7vsmem_tEEUlT_E_NS1_11comp_targetILNS1_3genE9ELNS1_11target_archE1100ELNS1_3gpuE3ELNS1_3repE0EEENS1_30default_config_static_selectorELNS0_4arch9wavefront6targetE0EEEvSM_: ; @_ZN7rocprim17ROCPRIM_400000_NS6detail17trampoline_kernelINS0_14default_configENS1_37merge_sort_block_sort_config_selectorIlNS0_10empty_typeEEEZNS1_21merge_sort_block_sortIS3_PlS8_PS5_S9_ZN2at6native12_GLOBAL__N_124unique_dim_cuda_templateItEESt5tupleIJNSA_6TensorESF_SF_EERKSF_lbbbEUlllE_EE10hipError_tT0_T1_T2_T3_mRjT4_P12ihipStream_tbNS1_7vsmem_tEEUlT_E_NS1_11comp_targetILNS1_3genE9ELNS1_11target_archE1100ELNS1_3gpuE3ELNS1_3repE0EEENS1_30default_config_static_selectorELNS0_4arch9wavefront6targetE0EEEvSM_
; %bb.0:
	.section	.rodata,"a",@progbits
	.p2align	6, 0x0
	.amdhsa_kernel _ZN7rocprim17ROCPRIM_400000_NS6detail17trampoline_kernelINS0_14default_configENS1_37merge_sort_block_sort_config_selectorIlNS0_10empty_typeEEEZNS1_21merge_sort_block_sortIS3_PlS8_PS5_S9_ZN2at6native12_GLOBAL__N_124unique_dim_cuda_templateItEESt5tupleIJNSA_6TensorESF_SF_EERKSF_lbbbEUlllE_EE10hipError_tT0_T1_T2_T3_mRjT4_P12ihipStream_tbNS1_7vsmem_tEEUlT_E_NS1_11comp_targetILNS1_3genE9ELNS1_11target_archE1100ELNS1_3gpuE3ELNS1_3repE0EEENS1_30default_config_static_selectorELNS0_4arch9wavefront6targetE0EEEvSM_
		.amdhsa_group_segment_fixed_size 0
		.amdhsa_private_segment_fixed_size 0
		.amdhsa_kernarg_size 72
		.amdhsa_user_sgpr_count 2
		.amdhsa_user_sgpr_dispatch_ptr 0
		.amdhsa_user_sgpr_queue_ptr 0
		.amdhsa_user_sgpr_kernarg_segment_ptr 1
		.amdhsa_user_sgpr_dispatch_id 0
		.amdhsa_user_sgpr_kernarg_preload_length 0
		.amdhsa_user_sgpr_kernarg_preload_offset 0
		.amdhsa_user_sgpr_private_segment_size 0
		.amdhsa_wavefront_size32 1
		.amdhsa_uses_dynamic_stack 0
		.amdhsa_enable_private_segment 0
		.amdhsa_system_sgpr_workgroup_id_x 1
		.amdhsa_system_sgpr_workgroup_id_y 0
		.amdhsa_system_sgpr_workgroup_id_z 0
		.amdhsa_system_sgpr_workgroup_info 0
		.amdhsa_system_vgpr_workitem_id 0
		.amdhsa_next_free_vgpr 1
		.amdhsa_next_free_sgpr 1
		.amdhsa_named_barrier_count 0
		.amdhsa_reserve_vcc 0
		.amdhsa_float_round_mode_32 0
		.amdhsa_float_round_mode_16_64 0
		.amdhsa_float_denorm_mode_32 3
		.amdhsa_float_denorm_mode_16_64 3
		.amdhsa_fp16_overflow 0
		.amdhsa_memory_ordered 1
		.amdhsa_forward_progress 1
		.amdhsa_inst_pref_size 0
		.amdhsa_round_robin_scheduling 0
		.amdhsa_exception_fp_ieee_invalid_op 0
		.amdhsa_exception_fp_denorm_src 0
		.amdhsa_exception_fp_ieee_div_zero 0
		.amdhsa_exception_fp_ieee_overflow 0
		.amdhsa_exception_fp_ieee_underflow 0
		.amdhsa_exception_fp_ieee_inexact 0
		.amdhsa_exception_int_div_zero 0
	.end_amdhsa_kernel
	.section	.text._ZN7rocprim17ROCPRIM_400000_NS6detail17trampoline_kernelINS0_14default_configENS1_37merge_sort_block_sort_config_selectorIlNS0_10empty_typeEEEZNS1_21merge_sort_block_sortIS3_PlS8_PS5_S9_ZN2at6native12_GLOBAL__N_124unique_dim_cuda_templateItEESt5tupleIJNSA_6TensorESF_SF_EERKSF_lbbbEUlllE_EE10hipError_tT0_T1_T2_T3_mRjT4_P12ihipStream_tbNS1_7vsmem_tEEUlT_E_NS1_11comp_targetILNS1_3genE9ELNS1_11target_archE1100ELNS1_3gpuE3ELNS1_3repE0EEENS1_30default_config_static_selectorELNS0_4arch9wavefront6targetE0EEEvSM_,"axG",@progbits,_ZN7rocprim17ROCPRIM_400000_NS6detail17trampoline_kernelINS0_14default_configENS1_37merge_sort_block_sort_config_selectorIlNS0_10empty_typeEEEZNS1_21merge_sort_block_sortIS3_PlS8_PS5_S9_ZN2at6native12_GLOBAL__N_124unique_dim_cuda_templateItEESt5tupleIJNSA_6TensorESF_SF_EERKSF_lbbbEUlllE_EE10hipError_tT0_T1_T2_T3_mRjT4_P12ihipStream_tbNS1_7vsmem_tEEUlT_E_NS1_11comp_targetILNS1_3genE9ELNS1_11target_archE1100ELNS1_3gpuE3ELNS1_3repE0EEENS1_30default_config_static_selectorELNS0_4arch9wavefront6targetE0EEEvSM_,comdat
.Lfunc_end1368:
	.size	_ZN7rocprim17ROCPRIM_400000_NS6detail17trampoline_kernelINS0_14default_configENS1_37merge_sort_block_sort_config_selectorIlNS0_10empty_typeEEEZNS1_21merge_sort_block_sortIS3_PlS8_PS5_S9_ZN2at6native12_GLOBAL__N_124unique_dim_cuda_templateItEESt5tupleIJNSA_6TensorESF_SF_EERKSF_lbbbEUlllE_EE10hipError_tT0_T1_T2_T3_mRjT4_P12ihipStream_tbNS1_7vsmem_tEEUlT_E_NS1_11comp_targetILNS1_3genE9ELNS1_11target_archE1100ELNS1_3gpuE3ELNS1_3repE0EEENS1_30default_config_static_selectorELNS0_4arch9wavefront6targetE0EEEvSM_, .Lfunc_end1368-_ZN7rocprim17ROCPRIM_400000_NS6detail17trampoline_kernelINS0_14default_configENS1_37merge_sort_block_sort_config_selectorIlNS0_10empty_typeEEEZNS1_21merge_sort_block_sortIS3_PlS8_PS5_S9_ZN2at6native12_GLOBAL__N_124unique_dim_cuda_templateItEESt5tupleIJNSA_6TensorESF_SF_EERKSF_lbbbEUlllE_EE10hipError_tT0_T1_T2_T3_mRjT4_P12ihipStream_tbNS1_7vsmem_tEEUlT_E_NS1_11comp_targetILNS1_3genE9ELNS1_11target_archE1100ELNS1_3gpuE3ELNS1_3repE0EEENS1_30default_config_static_selectorELNS0_4arch9wavefront6targetE0EEEvSM_
                                        ; -- End function
	.set _ZN7rocprim17ROCPRIM_400000_NS6detail17trampoline_kernelINS0_14default_configENS1_37merge_sort_block_sort_config_selectorIlNS0_10empty_typeEEEZNS1_21merge_sort_block_sortIS3_PlS8_PS5_S9_ZN2at6native12_GLOBAL__N_124unique_dim_cuda_templateItEESt5tupleIJNSA_6TensorESF_SF_EERKSF_lbbbEUlllE_EE10hipError_tT0_T1_T2_T3_mRjT4_P12ihipStream_tbNS1_7vsmem_tEEUlT_E_NS1_11comp_targetILNS1_3genE9ELNS1_11target_archE1100ELNS1_3gpuE3ELNS1_3repE0EEENS1_30default_config_static_selectorELNS0_4arch9wavefront6targetE0EEEvSM_.num_vgpr, 0
	.set _ZN7rocprim17ROCPRIM_400000_NS6detail17trampoline_kernelINS0_14default_configENS1_37merge_sort_block_sort_config_selectorIlNS0_10empty_typeEEEZNS1_21merge_sort_block_sortIS3_PlS8_PS5_S9_ZN2at6native12_GLOBAL__N_124unique_dim_cuda_templateItEESt5tupleIJNSA_6TensorESF_SF_EERKSF_lbbbEUlllE_EE10hipError_tT0_T1_T2_T3_mRjT4_P12ihipStream_tbNS1_7vsmem_tEEUlT_E_NS1_11comp_targetILNS1_3genE9ELNS1_11target_archE1100ELNS1_3gpuE3ELNS1_3repE0EEENS1_30default_config_static_selectorELNS0_4arch9wavefront6targetE0EEEvSM_.num_agpr, 0
	.set _ZN7rocprim17ROCPRIM_400000_NS6detail17trampoline_kernelINS0_14default_configENS1_37merge_sort_block_sort_config_selectorIlNS0_10empty_typeEEEZNS1_21merge_sort_block_sortIS3_PlS8_PS5_S9_ZN2at6native12_GLOBAL__N_124unique_dim_cuda_templateItEESt5tupleIJNSA_6TensorESF_SF_EERKSF_lbbbEUlllE_EE10hipError_tT0_T1_T2_T3_mRjT4_P12ihipStream_tbNS1_7vsmem_tEEUlT_E_NS1_11comp_targetILNS1_3genE9ELNS1_11target_archE1100ELNS1_3gpuE3ELNS1_3repE0EEENS1_30default_config_static_selectorELNS0_4arch9wavefront6targetE0EEEvSM_.numbered_sgpr, 0
	.set _ZN7rocprim17ROCPRIM_400000_NS6detail17trampoline_kernelINS0_14default_configENS1_37merge_sort_block_sort_config_selectorIlNS0_10empty_typeEEEZNS1_21merge_sort_block_sortIS3_PlS8_PS5_S9_ZN2at6native12_GLOBAL__N_124unique_dim_cuda_templateItEESt5tupleIJNSA_6TensorESF_SF_EERKSF_lbbbEUlllE_EE10hipError_tT0_T1_T2_T3_mRjT4_P12ihipStream_tbNS1_7vsmem_tEEUlT_E_NS1_11comp_targetILNS1_3genE9ELNS1_11target_archE1100ELNS1_3gpuE3ELNS1_3repE0EEENS1_30default_config_static_selectorELNS0_4arch9wavefront6targetE0EEEvSM_.num_named_barrier, 0
	.set _ZN7rocprim17ROCPRIM_400000_NS6detail17trampoline_kernelINS0_14default_configENS1_37merge_sort_block_sort_config_selectorIlNS0_10empty_typeEEEZNS1_21merge_sort_block_sortIS3_PlS8_PS5_S9_ZN2at6native12_GLOBAL__N_124unique_dim_cuda_templateItEESt5tupleIJNSA_6TensorESF_SF_EERKSF_lbbbEUlllE_EE10hipError_tT0_T1_T2_T3_mRjT4_P12ihipStream_tbNS1_7vsmem_tEEUlT_E_NS1_11comp_targetILNS1_3genE9ELNS1_11target_archE1100ELNS1_3gpuE3ELNS1_3repE0EEENS1_30default_config_static_selectorELNS0_4arch9wavefront6targetE0EEEvSM_.private_seg_size, 0
	.set _ZN7rocprim17ROCPRIM_400000_NS6detail17trampoline_kernelINS0_14default_configENS1_37merge_sort_block_sort_config_selectorIlNS0_10empty_typeEEEZNS1_21merge_sort_block_sortIS3_PlS8_PS5_S9_ZN2at6native12_GLOBAL__N_124unique_dim_cuda_templateItEESt5tupleIJNSA_6TensorESF_SF_EERKSF_lbbbEUlllE_EE10hipError_tT0_T1_T2_T3_mRjT4_P12ihipStream_tbNS1_7vsmem_tEEUlT_E_NS1_11comp_targetILNS1_3genE9ELNS1_11target_archE1100ELNS1_3gpuE3ELNS1_3repE0EEENS1_30default_config_static_selectorELNS0_4arch9wavefront6targetE0EEEvSM_.uses_vcc, 0
	.set _ZN7rocprim17ROCPRIM_400000_NS6detail17trampoline_kernelINS0_14default_configENS1_37merge_sort_block_sort_config_selectorIlNS0_10empty_typeEEEZNS1_21merge_sort_block_sortIS3_PlS8_PS5_S9_ZN2at6native12_GLOBAL__N_124unique_dim_cuda_templateItEESt5tupleIJNSA_6TensorESF_SF_EERKSF_lbbbEUlllE_EE10hipError_tT0_T1_T2_T3_mRjT4_P12ihipStream_tbNS1_7vsmem_tEEUlT_E_NS1_11comp_targetILNS1_3genE9ELNS1_11target_archE1100ELNS1_3gpuE3ELNS1_3repE0EEENS1_30default_config_static_selectorELNS0_4arch9wavefront6targetE0EEEvSM_.uses_flat_scratch, 0
	.set _ZN7rocprim17ROCPRIM_400000_NS6detail17trampoline_kernelINS0_14default_configENS1_37merge_sort_block_sort_config_selectorIlNS0_10empty_typeEEEZNS1_21merge_sort_block_sortIS3_PlS8_PS5_S9_ZN2at6native12_GLOBAL__N_124unique_dim_cuda_templateItEESt5tupleIJNSA_6TensorESF_SF_EERKSF_lbbbEUlllE_EE10hipError_tT0_T1_T2_T3_mRjT4_P12ihipStream_tbNS1_7vsmem_tEEUlT_E_NS1_11comp_targetILNS1_3genE9ELNS1_11target_archE1100ELNS1_3gpuE3ELNS1_3repE0EEENS1_30default_config_static_selectorELNS0_4arch9wavefront6targetE0EEEvSM_.has_dyn_sized_stack, 0
	.set _ZN7rocprim17ROCPRIM_400000_NS6detail17trampoline_kernelINS0_14default_configENS1_37merge_sort_block_sort_config_selectorIlNS0_10empty_typeEEEZNS1_21merge_sort_block_sortIS3_PlS8_PS5_S9_ZN2at6native12_GLOBAL__N_124unique_dim_cuda_templateItEESt5tupleIJNSA_6TensorESF_SF_EERKSF_lbbbEUlllE_EE10hipError_tT0_T1_T2_T3_mRjT4_P12ihipStream_tbNS1_7vsmem_tEEUlT_E_NS1_11comp_targetILNS1_3genE9ELNS1_11target_archE1100ELNS1_3gpuE3ELNS1_3repE0EEENS1_30default_config_static_selectorELNS0_4arch9wavefront6targetE0EEEvSM_.has_recursion, 0
	.set _ZN7rocprim17ROCPRIM_400000_NS6detail17trampoline_kernelINS0_14default_configENS1_37merge_sort_block_sort_config_selectorIlNS0_10empty_typeEEEZNS1_21merge_sort_block_sortIS3_PlS8_PS5_S9_ZN2at6native12_GLOBAL__N_124unique_dim_cuda_templateItEESt5tupleIJNSA_6TensorESF_SF_EERKSF_lbbbEUlllE_EE10hipError_tT0_T1_T2_T3_mRjT4_P12ihipStream_tbNS1_7vsmem_tEEUlT_E_NS1_11comp_targetILNS1_3genE9ELNS1_11target_archE1100ELNS1_3gpuE3ELNS1_3repE0EEENS1_30default_config_static_selectorELNS0_4arch9wavefront6targetE0EEEvSM_.has_indirect_call, 0
	.section	.AMDGPU.csdata,"",@progbits
; Kernel info:
; codeLenInByte = 0
; TotalNumSgprs: 0
; NumVgprs: 0
; ScratchSize: 0
; MemoryBound: 0
; FloatMode: 240
; IeeeMode: 1
; LDSByteSize: 0 bytes/workgroup (compile time only)
; SGPRBlocks: 0
; VGPRBlocks: 0
; NumSGPRsForWavesPerEU: 1
; NumVGPRsForWavesPerEU: 1
; NamedBarCnt: 0
; Occupancy: 16
; WaveLimiterHint : 0
; COMPUTE_PGM_RSRC2:SCRATCH_EN: 0
; COMPUTE_PGM_RSRC2:USER_SGPR: 2
; COMPUTE_PGM_RSRC2:TRAP_HANDLER: 0
; COMPUTE_PGM_RSRC2:TGID_X_EN: 1
; COMPUTE_PGM_RSRC2:TGID_Y_EN: 0
; COMPUTE_PGM_RSRC2:TGID_Z_EN: 0
; COMPUTE_PGM_RSRC2:TIDIG_COMP_CNT: 0
	.section	.text._ZN7rocprim17ROCPRIM_400000_NS6detail17trampoline_kernelINS0_14default_configENS1_37merge_sort_block_sort_config_selectorIlNS0_10empty_typeEEEZNS1_21merge_sort_block_sortIS3_PlS8_PS5_S9_ZN2at6native12_GLOBAL__N_124unique_dim_cuda_templateItEESt5tupleIJNSA_6TensorESF_SF_EERKSF_lbbbEUlllE_EE10hipError_tT0_T1_T2_T3_mRjT4_P12ihipStream_tbNS1_7vsmem_tEEUlT_E_NS1_11comp_targetILNS1_3genE8ELNS1_11target_archE1030ELNS1_3gpuE2ELNS1_3repE0EEENS1_30default_config_static_selectorELNS0_4arch9wavefront6targetE0EEEvSM_,"axG",@progbits,_ZN7rocprim17ROCPRIM_400000_NS6detail17trampoline_kernelINS0_14default_configENS1_37merge_sort_block_sort_config_selectorIlNS0_10empty_typeEEEZNS1_21merge_sort_block_sortIS3_PlS8_PS5_S9_ZN2at6native12_GLOBAL__N_124unique_dim_cuda_templateItEESt5tupleIJNSA_6TensorESF_SF_EERKSF_lbbbEUlllE_EE10hipError_tT0_T1_T2_T3_mRjT4_P12ihipStream_tbNS1_7vsmem_tEEUlT_E_NS1_11comp_targetILNS1_3genE8ELNS1_11target_archE1030ELNS1_3gpuE2ELNS1_3repE0EEENS1_30default_config_static_selectorELNS0_4arch9wavefront6targetE0EEEvSM_,comdat
	.globl	_ZN7rocprim17ROCPRIM_400000_NS6detail17trampoline_kernelINS0_14default_configENS1_37merge_sort_block_sort_config_selectorIlNS0_10empty_typeEEEZNS1_21merge_sort_block_sortIS3_PlS8_PS5_S9_ZN2at6native12_GLOBAL__N_124unique_dim_cuda_templateItEESt5tupleIJNSA_6TensorESF_SF_EERKSF_lbbbEUlllE_EE10hipError_tT0_T1_T2_T3_mRjT4_P12ihipStream_tbNS1_7vsmem_tEEUlT_E_NS1_11comp_targetILNS1_3genE8ELNS1_11target_archE1030ELNS1_3gpuE2ELNS1_3repE0EEENS1_30default_config_static_selectorELNS0_4arch9wavefront6targetE0EEEvSM_ ; -- Begin function _ZN7rocprim17ROCPRIM_400000_NS6detail17trampoline_kernelINS0_14default_configENS1_37merge_sort_block_sort_config_selectorIlNS0_10empty_typeEEEZNS1_21merge_sort_block_sortIS3_PlS8_PS5_S9_ZN2at6native12_GLOBAL__N_124unique_dim_cuda_templateItEESt5tupleIJNSA_6TensorESF_SF_EERKSF_lbbbEUlllE_EE10hipError_tT0_T1_T2_T3_mRjT4_P12ihipStream_tbNS1_7vsmem_tEEUlT_E_NS1_11comp_targetILNS1_3genE8ELNS1_11target_archE1030ELNS1_3gpuE2ELNS1_3repE0EEENS1_30default_config_static_selectorELNS0_4arch9wavefront6targetE0EEEvSM_
	.p2align	8
	.type	_ZN7rocprim17ROCPRIM_400000_NS6detail17trampoline_kernelINS0_14default_configENS1_37merge_sort_block_sort_config_selectorIlNS0_10empty_typeEEEZNS1_21merge_sort_block_sortIS3_PlS8_PS5_S9_ZN2at6native12_GLOBAL__N_124unique_dim_cuda_templateItEESt5tupleIJNSA_6TensorESF_SF_EERKSF_lbbbEUlllE_EE10hipError_tT0_T1_T2_T3_mRjT4_P12ihipStream_tbNS1_7vsmem_tEEUlT_E_NS1_11comp_targetILNS1_3genE8ELNS1_11target_archE1030ELNS1_3gpuE2ELNS1_3repE0EEENS1_30default_config_static_selectorELNS0_4arch9wavefront6targetE0EEEvSM_,@function
_ZN7rocprim17ROCPRIM_400000_NS6detail17trampoline_kernelINS0_14default_configENS1_37merge_sort_block_sort_config_selectorIlNS0_10empty_typeEEEZNS1_21merge_sort_block_sortIS3_PlS8_PS5_S9_ZN2at6native12_GLOBAL__N_124unique_dim_cuda_templateItEESt5tupleIJNSA_6TensorESF_SF_EERKSF_lbbbEUlllE_EE10hipError_tT0_T1_T2_T3_mRjT4_P12ihipStream_tbNS1_7vsmem_tEEUlT_E_NS1_11comp_targetILNS1_3genE8ELNS1_11target_archE1030ELNS1_3gpuE2ELNS1_3repE0EEENS1_30default_config_static_selectorELNS0_4arch9wavefront6targetE0EEEvSM_: ; @_ZN7rocprim17ROCPRIM_400000_NS6detail17trampoline_kernelINS0_14default_configENS1_37merge_sort_block_sort_config_selectorIlNS0_10empty_typeEEEZNS1_21merge_sort_block_sortIS3_PlS8_PS5_S9_ZN2at6native12_GLOBAL__N_124unique_dim_cuda_templateItEESt5tupleIJNSA_6TensorESF_SF_EERKSF_lbbbEUlllE_EE10hipError_tT0_T1_T2_T3_mRjT4_P12ihipStream_tbNS1_7vsmem_tEEUlT_E_NS1_11comp_targetILNS1_3genE8ELNS1_11target_archE1030ELNS1_3gpuE2ELNS1_3repE0EEENS1_30default_config_static_selectorELNS0_4arch9wavefront6targetE0EEEvSM_
; %bb.0:
	.section	.rodata,"a",@progbits
	.p2align	6, 0x0
	.amdhsa_kernel _ZN7rocprim17ROCPRIM_400000_NS6detail17trampoline_kernelINS0_14default_configENS1_37merge_sort_block_sort_config_selectorIlNS0_10empty_typeEEEZNS1_21merge_sort_block_sortIS3_PlS8_PS5_S9_ZN2at6native12_GLOBAL__N_124unique_dim_cuda_templateItEESt5tupleIJNSA_6TensorESF_SF_EERKSF_lbbbEUlllE_EE10hipError_tT0_T1_T2_T3_mRjT4_P12ihipStream_tbNS1_7vsmem_tEEUlT_E_NS1_11comp_targetILNS1_3genE8ELNS1_11target_archE1030ELNS1_3gpuE2ELNS1_3repE0EEENS1_30default_config_static_selectorELNS0_4arch9wavefront6targetE0EEEvSM_
		.amdhsa_group_segment_fixed_size 0
		.amdhsa_private_segment_fixed_size 0
		.amdhsa_kernarg_size 72
		.amdhsa_user_sgpr_count 2
		.amdhsa_user_sgpr_dispatch_ptr 0
		.amdhsa_user_sgpr_queue_ptr 0
		.amdhsa_user_sgpr_kernarg_segment_ptr 1
		.amdhsa_user_sgpr_dispatch_id 0
		.amdhsa_user_sgpr_kernarg_preload_length 0
		.amdhsa_user_sgpr_kernarg_preload_offset 0
		.amdhsa_user_sgpr_private_segment_size 0
		.amdhsa_wavefront_size32 1
		.amdhsa_uses_dynamic_stack 0
		.amdhsa_enable_private_segment 0
		.amdhsa_system_sgpr_workgroup_id_x 1
		.amdhsa_system_sgpr_workgroup_id_y 0
		.amdhsa_system_sgpr_workgroup_id_z 0
		.amdhsa_system_sgpr_workgroup_info 0
		.amdhsa_system_vgpr_workitem_id 0
		.amdhsa_next_free_vgpr 1
		.amdhsa_next_free_sgpr 1
		.amdhsa_named_barrier_count 0
		.amdhsa_reserve_vcc 0
		.amdhsa_float_round_mode_32 0
		.amdhsa_float_round_mode_16_64 0
		.amdhsa_float_denorm_mode_32 3
		.amdhsa_float_denorm_mode_16_64 3
		.amdhsa_fp16_overflow 0
		.amdhsa_memory_ordered 1
		.amdhsa_forward_progress 1
		.amdhsa_inst_pref_size 0
		.amdhsa_round_robin_scheduling 0
		.amdhsa_exception_fp_ieee_invalid_op 0
		.amdhsa_exception_fp_denorm_src 0
		.amdhsa_exception_fp_ieee_div_zero 0
		.amdhsa_exception_fp_ieee_overflow 0
		.amdhsa_exception_fp_ieee_underflow 0
		.amdhsa_exception_fp_ieee_inexact 0
		.amdhsa_exception_int_div_zero 0
	.end_amdhsa_kernel
	.section	.text._ZN7rocprim17ROCPRIM_400000_NS6detail17trampoline_kernelINS0_14default_configENS1_37merge_sort_block_sort_config_selectorIlNS0_10empty_typeEEEZNS1_21merge_sort_block_sortIS3_PlS8_PS5_S9_ZN2at6native12_GLOBAL__N_124unique_dim_cuda_templateItEESt5tupleIJNSA_6TensorESF_SF_EERKSF_lbbbEUlllE_EE10hipError_tT0_T1_T2_T3_mRjT4_P12ihipStream_tbNS1_7vsmem_tEEUlT_E_NS1_11comp_targetILNS1_3genE8ELNS1_11target_archE1030ELNS1_3gpuE2ELNS1_3repE0EEENS1_30default_config_static_selectorELNS0_4arch9wavefront6targetE0EEEvSM_,"axG",@progbits,_ZN7rocprim17ROCPRIM_400000_NS6detail17trampoline_kernelINS0_14default_configENS1_37merge_sort_block_sort_config_selectorIlNS0_10empty_typeEEEZNS1_21merge_sort_block_sortIS3_PlS8_PS5_S9_ZN2at6native12_GLOBAL__N_124unique_dim_cuda_templateItEESt5tupleIJNSA_6TensorESF_SF_EERKSF_lbbbEUlllE_EE10hipError_tT0_T1_T2_T3_mRjT4_P12ihipStream_tbNS1_7vsmem_tEEUlT_E_NS1_11comp_targetILNS1_3genE8ELNS1_11target_archE1030ELNS1_3gpuE2ELNS1_3repE0EEENS1_30default_config_static_selectorELNS0_4arch9wavefront6targetE0EEEvSM_,comdat
.Lfunc_end1369:
	.size	_ZN7rocprim17ROCPRIM_400000_NS6detail17trampoline_kernelINS0_14default_configENS1_37merge_sort_block_sort_config_selectorIlNS0_10empty_typeEEEZNS1_21merge_sort_block_sortIS3_PlS8_PS5_S9_ZN2at6native12_GLOBAL__N_124unique_dim_cuda_templateItEESt5tupleIJNSA_6TensorESF_SF_EERKSF_lbbbEUlllE_EE10hipError_tT0_T1_T2_T3_mRjT4_P12ihipStream_tbNS1_7vsmem_tEEUlT_E_NS1_11comp_targetILNS1_3genE8ELNS1_11target_archE1030ELNS1_3gpuE2ELNS1_3repE0EEENS1_30default_config_static_selectorELNS0_4arch9wavefront6targetE0EEEvSM_, .Lfunc_end1369-_ZN7rocprim17ROCPRIM_400000_NS6detail17trampoline_kernelINS0_14default_configENS1_37merge_sort_block_sort_config_selectorIlNS0_10empty_typeEEEZNS1_21merge_sort_block_sortIS3_PlS8_PS5_S9_ZN2at6native12_GLOBAL__N_124unique_dim_cuda_templateItEESt5tupleIJNSA_6TensorESF_SF_EERKSF_lbbbEUlllE_EE10hipError_tT0_T1_T2_T3_mRjT4_P12ihipStream_tbNS1_7vsmem_tEEUlT_E_NS1_11comp_targetILNS1_3genE8ELNS1_11target_archE1030ELNS1_3gpuE2ELNS1_3repE0EEENS1_30default_config_static_selectorELNS0_4arch9wavefront6targetE0EEEvSM_
                                        ; -- End function
	.set _ZN7rocprim17ROCPRIM_400000_NS6detail17trampoline_kernelINS0_14default_configENS1_37merge_sort_block_sort_config_selectorIlNS0_10empty_typeEEEZNS1_21merge_sort_block_sortIS3_PlS8_PS5_S9_ZN2at6native12_GLOBAL__N_124unique_dim_cuda_templateItEESt5tupleIJNSA_6TensorESF_SF_EERKSF_lbbbEUlllE_EE10hipError_tT0_T1_T2_T3_mRjT4_P12ihipStream_tbNS1_7vsmem_tEEUlT_E_NS1_11comp_targetILNS1_3genE8ELNS1_11target_archE1030ELNS1_3gpuE2ELNS1_3repE0EEENS1_30default_config_static_selectorELNS0_4arch9wavefront6targetE0EEEvSM_.num_vgpr, 0
	.set _ZN7rocprim17ROCPRIM_400000_NS6detail17trampoline_kernelINS0_14default_configENS1_37merge_sort_block_sort_config_selectorIlNS0_10empty_typeEEEZNS1_21merge_sort_block_sortIS3_PlS8_PS5_S9_ZN2at6native12_GLOBAL__N_124unique_dim_cuda_templateItEESt5tupleIJNSA_6TensorESF_SF_EERKSF_lbbbEUlllE_EE10hipError_tT0_T1_T2_T3_mRjT4_P12ihipStream_tbNS1_7vsmem_tEEUlT_E_NS1_11comp_targetILNS1_3genE8ELNS1_11target_archE1030ELNS1_3gpuE2ELNS1_3repE0EEENS1_30default_config_static_selectorELNS0_4arch9wavefront6targetE0EEEvSM_.num_agpr, 0
	.set _ZN7rocprim17ROCPRIM_400000_NS6detail17trampoline_kernelINS0_14default_configENS1_37merge_sort_block_sort_config_selectorIlNS0_10empty_typeEEEZNS1_21merge_sort_block_sortIS3_PlS8_PS5_S9_ZN2at6native12_GLOBAL__N_124unique_dim_cuda_templateItEESt5tupleIJNSA_6TensorESF_SF_EERKSF_lbbbEUlllE_EE10hipError_tT0_T1_T2_T3_mRjT4_P12ihipStream_tbNS1_7vsmem_tEEUlT_E_NS1_11comp_targetILNS1_3genE8ELNS1_11target_archE1030ELNS1_3gpuE2ELNS1_3repE0EEENS1_30default_config_static_selectorELNS0_4arch9wavefront6targetE0EEEvSM_.numbered_sgpr, 0
	.set _ZN7rocprim17ROCPRIM_400000_NS6detail17trampoline_kernelINS0_14default_configENS1_37merge_sort_block_sort_config_selectorIlNS0_10empty_typeEEEZNS1_21merge_sort_block_sortIS3_PlS8_PS5_S9_ZN2at6native12_GLOBAL__N_124unique_dim_cuda_templateItEESt5tupleIJNSA_6TensorESF_SF_EERKSF_lbbbEUlllE_EE10hipError_tT0_T1_T2_T3_mRjT4_P12ihipStream_tbNS1_7vsmem_tEEUlT_E_NS1_11comp_targetILNS1_3genE8ELNS1_11target_archE1030ELNS1_3gpuE2ELNS1_3repE0EEENS1_30default_config_static_selectorELNS0_4arch9wavefront6targetE0EEEvSM_.num_named_barrier, 0
	.set _ZN7rocprim17ROCPRIM_400000_NS6detail17trampoline_kernelINS0_14default_configENS1_37merge_sort_block_sort_config_selectorIlNS0_10empty_typeEEEZNS1_21merge_sort_block_sortIS3_PlS8_PS5_S9_ZN2at6native12_GLOBAL__N_124unique_dim_cuda_templateItEESt5tupleIJNSA_6TensorESF_SF_EERKSF_lbbbEUlllE_EE10hipError_tT0_T1_T2_T3_mRjT4_P12ihipStream_tbNS1_7vsmem_tEEUlT_E_NS1_11comp_targetILNS1_3genE8ELNS1_11target_archE1030ELNS1_3gpuE2ELNS1_3repE0EEENS1_30default_config_static_selectorELNS0_4arch9wavefront6targetE0EEEvSM_.private_seg_size, 0
	.set _ZN7rocprim17ROCPRIM_400000_NS6detail17trampoline_kernelINS0_14default_configENS1_37merge_sort_block_sort_config_selectorIlNS0_10empty_typeEEEZNS1_21merge_sort_block_sortIS3_PlS8_PS5_S9_ZN2at6native12_GLOBAL__N_124unique_dim_cuda_templateItEESt5tupleIJNSA_6TensorESF_SF_EERKSF_lbbbEUlllE_EE10hipError_tT0_T1_T2_T3_mRjT4_P12ihipStream_tbNS1_7vsmem_tEEUlT_E_NS1_11comp_targetILNS1_3genE8ELNS1_11target_archE1030ELNS1_3gpuE2ELNS1_3repE0EEENS1_30default_config_static_selectorELNS0_4arch9wavefront6targetE0EEEvSM_.uses_vcc, 0
	.set _ZN7rocprim17ROCPRIM_400000_NS6detail17trampoline_kernelINS0_14default_configENS1_37merge_sort_block_sort_config_selectorIlNS0_10empty_typeEEEZNS1_21merge_sort_block_sortIS3_PlS8_PS5_S9_ZN2at6native12_GLOBAL__N_124unique_dim_cuda_templateItEESt5tupleIJNSA_6TensorESF_SF_EERKSF_lbbbEUlllE_EE10hipError_tT0_T1_T2_T3_mRjT4_P12ihipStream_tbNS1_7vsmem_tEEUlT_E_NS1_11comp_targetILNS1_3genE8ELNS1_11target_archE1030ELNS1_3gpuE2ELNS1_3repE0EEENS1_30default_config_static_selectorELNS0_4arch9wavefront6targetE0EEEvSM_.uses_flat_scratch, 0
	.set _ZN7rocprim17ROCPRIM_400000_NS6detail17trampoline_kernelINS0_14default_configENS1_37merge_sort_block_sort_config_selectorIlNS0_10empty_typeEEEZNS1_21merge_sort_block_sortIS3_PlS8_PS5_S9_ZN2at6native12_GLOBAL__N_124unique_dim_cuda_templateItEESt5tupleIJNSA_6TensorESF_SF_EERKSF_lbbbEUlllE_EE10hipError_tT0_T1_T2_T3_mRjT4_P12ihipStream_tbNS1_7vsmem_tEEUlT_E_NS1_11comp_targetILNS1_3genE8ELNS1_11target_archE1030ELNS1_3gpuE2ELNS1_3repE0EEENS1_30default_config_static_selectorELNS0_4arch9wavefront6targetE0EEEvSM_.has_dyn_sized_stack, 0
	.set _ZN7rocprim17ROCPRIM_400000_NS6detail17trampoline_kernelINS0_14default_configENS1_37merge_sort_block_sort_config_selectorIlNS0_10empty_typeEEEZNS1_21merge_sort_block_sortIS3_PlS8_PS5_S9_ZN2at6native12_GLOBAL__N_124unique_dim_cuda_templateItEESt5tupleIJNSA_6TensorESF_SF_EERKSF_lbbbEUlllE_EE10hipError_tT0_T1_T2_T3_mRjT4_P12ihipStream_tbNS1_7vsmem_tEEUlT_E_NS1_11comp_targetILNS1_3genE8ELNS1_11target_archE1030ELNS1_3gpuE2ELNS1_3repE0EEENS1_30default_config_static_selectorELNS0_4arch9wavefront6targetE0EEEvSM_.has_recursion, 0
	.set _ZN7rocprim17ROCPRIM_400000_NS6detail17trampoline_kernelINS0_14default_configENS1_37merge_sort_block_sort_config_selectorIlNS0_10empty_typeEEEZNS1_21merge_sort_block_sortIS3_PlS8_PS5_S9_ZN2at6native12_GLOBAL__N_124unique_dim_cuda_templateItEESt5tupleIJNSA_6TensorESF_SF_EERKSF_lbbbEUlllE_EE10hipError_tT0_T1_T2_T3_mRjT4_P12ihipStream_tbNS1_7vsmem_tEEUlT_E_NS1_11comp_targetILNS1_3genE8ELNS1_11target_archE1030ELNS1_3gpuE2ELNS1_3repE0EEENS1_30default_config_static_selectorELNS0_4arch9wavefront6targetE0EEEvSM_.has_indirect_call, 0
	.section	.AMDGPU.csdata,"",@progbits
; Kernel info:
; codeLenInByte = 0
; TotalNumSgprs: 0
; NumVgprs: 0
; ScratchSize: 0
; MemoryBound: 0
; FloatMode: 240
; IeeeMode: 1
; LDSByteSize: 0 bytes/workgroup (compile time only)
; SGPRBlocks: 0
; VGPRBlocks: 0
; NumSGPRsForWavesPerEU: 1
; NumVGPRsForWavesPerEU: 1
; NamedBarCnt: 0
; Occupancy: 16
; WaveLimiterHint : 0
; COMPUTE_PGM_RSRC2:SCRATCH_EN: 0
; COMPUTE_PGM_RSRC2:USER_SGPR: 2
; COMPUTE_PGM_RSRC2:TRAP_HANDLER: 0
; COMPUTE_PGM_RSRC2:TGID_X_EN: 1
; COMPUTE_PGM_RSRC2:TGID_Y_EN: 0
; COMPUTE_PGM_RSRC2:TGID_Z_EN: 0
; COMPUTE_PGM_RSRC2:TIDIG_COMP_CNT: 0
	.section	.text._ZN7rocprim17ROCPRIM_400000_NS6detail17trampoline_kernelINS0_14default_configENS1_38merge_sort_block_merge_config_selectorIlNS0_10empty_typeEEEZZNS1_27merge_sort_block_merge_implIS3_PlPS5_mZN2at6native12_GLOBAL__N_124unique_dim_cuda_templateItEESt5tupleIJNSA_6TensorESF_SF_EERKSF_lbbbEUlllE_EE10hipError_tT0_T1_T2_jT3_P12ihipStream_tbPNSt15iterator_traitsISL_E10value_typeEPNSR_ISM_E10value_typeEPSN_NS1_7vsmem_tEENKUlT_SL_SM_SN_E_clIS8_S8_S9_S9_EESK_S10_SL_SM_SN_EUlS10_E_NS1_11comp_targetILNS1_3genE0ELNS1_11target_archE4294967295ELNS1_3gpuE0ELNS1_3repE0EEENS1_48merge_mergepath_partition_config_static_selectorELNS0_4arch9wavefront6targetE0EEEvSM_,"axG",@progbits,_ZN7rocprim17ROCPRIM_400000_NS6detail17trampoline_kernelINS0_14default_configENS1_38merge_sort_block_merge_config_selectorIlNS0_10empty_typeEEEZZNS1_27merge_sort_block_merge_implIS3_PlPS5_mZN2at6native12_GLOBAL__N_124unique_dim_cuda_templateItEESt5tupleIJNSA_6TensorESF_SF_EERKSF_lbbbEUlllE_EE10hipError_tT0_T1_T2_jT3_P12ihipStream_tbPNSt15iterator_traitsISL_E10value_typeEPNSR_ISM_E10value_typeEPSN_NS1_7vsmem_tEENKUlT_SL_SM_SN_E_clIS8_S8_S9_S9_EESK_S10_SL_SM_SN_EUlS10_E_NS1_11comp_targetILNS1_3genE0ELNS1_11target_archE4294967295ELNS1_3gpuE0ELNS1_3repE0EEENS1_48merge_mergepath_partition_config_static_selectorELNS0_4arch9wavefront6targetE0EEEvSM_,comdat
	.globl	_ZN7rocprim17ROCPRIM_400000_NS6detail17trampoline_kernelINS0_14default_configENS1_38merge_sort_block_merge_config_selectorIlNS0_10empty_typeEEEZZNS1_27merge_sort_block_merge_implIS3_PlPS5_mZN2at6native12_GLOBAL__N_124unique_dim_cuda_templateItEESt5tupleIJNSA_6TensorESF_SF_EERKSF_lbbbEUlllE_EE10hipError_tT0_T1_T2_jT3_P12ihipStream_tbPNSt15iterator_traitsISL_E10value_typeEPNSR_ISM_E10value_typeEPSN_NS1_7vsmem_tEENKUlT_SL_SM_SN_E_clIS8_S8_S9_S9_EESK_S10_SL_SM_SN_EUlS10_E_NS1_11comp_targetILNS1_3genE0ELNS1_11target_archE4294967295ELNS1_3gpuE0ELNS1_3repE0EEENS1_48merge_mergepath_partition_config_static_selectorELNS0_4arch9wavefront6targetE0EEEvSM_ ; -- Begin function _ZN7rocprim17ROCPRIM_400000_NS6detail17trampoline_kernelINS0_14default_configENS1_38merge_sort_block_merge_config_selectorIlNS0_10empty_typeEEEZZNS1_27merge_sort_block_merge_implIS3_PlPS5_mZN2at6native12_GLOBAL__N_124unique_dim_cuda_templateItEESt5tupleIJNSA_6TensorESF_SF_EERKSF_lbbbEUlllE_EE10hipError_tT0_T1_T2_jT3_P12ihipStream_tbPNSt15iterator_traitsISL_E10value_typeEPNSR_ISM_E10value_typeEPSN_NS1_7vsmem_tEENKUlT_SL_SM_SN_E_clIS8_S8_S9_S9_EESK_S10_SL_SM_SN_EUlS10_E_NS1_11comp_targetILNS1_3genE0ELNS1_11target_archE4294967295ELNS1_3gpuE0ELNS1_3repE0EEENS1_48merge_mergepath_partition_config_static_selectorELNS0_4arch9wavefront6targetE0EEEvSM_
	.p2align	8
	.type	_ZN7rocprim17ROCPRIM_400000_NS6detail17trampoline_kernelINS0_14default_configENS1_38merge_sort_block_merge_config_selectorIlNS0_10empty_typeEEEZZNS1_27merge_sort_block_merge_implIS3_PlPS5_mZN2at6native12_GLOBAL__N_124unique_dim_cuda_templateItEESt5tupleIJNSA_6TensorESF_SF_EERKSF_lbbbEUlllE_EE10hipError_tT0_T1_T2_jT3_P12ihipStream_tbPNSt15iterator_traitsISL_E10value_typeEPNSR_ISM_E10value_typeEPSN_NS1_7vsmem_tEENKUlT_SL_SM_SN_E_clIS8_S8_S9_S9_EESK_S10_SL_SM_SN_EUlS10_E_NS1_11comp_targetILNS1_3genE0ELNS1_11target_archE4294967295ELNS1_3gpuE0ELNS1_3repE0EEENS1_48merge_mergepath_partition_config_static_selectorELNS0_4arch9wavefront6targetE0EEEvSM_,@function
_ZN7rocprim17ROCPRIM_400000_NS6detail17trampoline_kernelINS0_14default_configENS1_38merge_sort_block_merge_config_selectorIlNS0_10empty_typeEEEZZNS1_27merge_sort_block_merge_implIS3_PlPS5_mZN2at6native12_GLOBAL__N_124unique_dim_cuda_templateItEESt5tupleIJNSA_6TensorESF_SF_EERKSF_lbbbEUlllE_EE10hipError_tT0_T1_T2_jT3_P12ihipStream_tbPNSt15iterator_traitsISL_E10value_typeEPNSR_ISM_E10value_typeEPSN_NS1_7vsmem_tEENKUlT_SL_SM_SN_E_clIS8_S8_S9_S9_EESK_S10_SL_SM_SN_EUlS10_E_NS1_11comp_targetILNS1_3genE0ELNS1_11target_archE4294967295ELNS1_3gpuE0ELNS1_3repE0EEENS1_48merge_mergepath_partition_config_static_selectorELNS0_4arch9wavefront6targetE0EEEvSM_: ; @_ZN7rocprim17ROCPRIM_400000_NS6detail17trampoline_kernelINS0_14default_configENS1_38merge_sort_block_merge_config_selectorIlNS0_10empty_typeEEEZZNS1_27merge_sort_block_merge_implIS3_PlPS5_mZN2at6native12_GLOBAL__N_124unique_dim_cuda_templateItEESt5tupleIJNSA_6TensorESF_SF_EERKSF_lbbbEUlllE_EE10hipError_tT0_T1_T2_jT3_P12ihipStream_tbPNSt15iterator_traitsISL_E10value_typeEPNSR_ISM_E10value_typeEPSN_NS1_7vsmem_tEENKUlT_SL_SM_SN_E_clIS8_S8_S9_S9_EESK_S10_SL_SM_SN_EUlS10_E_NS1_11comp_targetILNS1_3genE0ELNS1_11target_archE4294967295ELNS1_3gpuE0ELNS1_3repE0EEENS1_48merge_mergepath_partition_config_static_selectorELNS0_4arch9wavefront6targetE0EEEvSM_
; %bb.0:
	s_load_b32 s2, s[0:1], 0x0
	s_bfe_u32 s3, ttmp6, 0x4000c
	s_and_b32 s4, ttmp6, 15
	s_add_co_i32 s3, s3, 1
	s_getreg_b32 s5, hwreg(HW_REG_IB_STS2, 6, 4)
	s_mul_i32 s3, ttmp9, s3
	s_delay_alu instid0(SALU_CYCLE_1) | instskip(SKIP_2) | instid1(SALU_CYCLE_1)
	s_add_co_i32 s4, s4, s3
	s_cmp_eq_u32 s5, 0
	s_cselect_b32 s3, ttmp9, s4
	v_lshl_or_b32 v16, s3, 7, v0
	s_wait_kmcnt 0x0
	s_delay_alu instid0(VALU_DEP_1)
	v_cmp_gt_u32_e32 vcc_lo, s2, v16
	s_and_saveexec_b32 s2, vcc_lo
	s_cbranch_execz .LBB1370_12
; %bb.1:
	s_load_b128 s[4:7], s[0:1], 0x8
	s_wait_kmcnt 0x0
	s_lshr_b64 s[2:3], s[4:5], 9
	s_delay_alu instid0(SALU_CYCLE_1) | instskip(NEXT) | instid1(SALU_CYCLE_1)
	s_and_b32 s2, s2, -2
	s_sub_co_i32 s3, 0, s2
	s_delay_alu instid0(SALU_CYCLE_1) | instskip(SKIP_1) | instid1(VALU_DEP_1)
	v_dual_mov_b32 v3, 0 :: v_dual_bitop2_b32 v2, s3, v16 bitop3:0x40
	s_add_co_i32 s2, s2, -1
	v_lshlrev_b64_e32 v[0:1], 10, v[2:3]
	v_and_b32_e32 v2, s2, v16
	s_delay_alu instid0(VALU_DEP_1) | instskip(NEXT) | instid1(VALU_DEP_3)
	v_lshlrev_b64_e32 v[2:3], 10, v[2:3]
	v_add_nc_u64_e32 v[4:5], s[4:5], v[0:1]
	v_min_u64 v[0:1], s[6:7], v[0:1]
	s_delay_alu instid0(VALU_DEP_2) | instskip(NEXT) | instid1(VALU_DEP_1)
	v_min_u64 v[6:7], s[6:7], v[4:5]
	v_add_nc_u64_e32 v[4:5], s[4:5], v[6:7]
	s_delay_alu instid0(VALU_DEP_1) | instskip(SKIP_3) | instid1(VALU_DEP_1)
	v_min_u64 v[4:5], s[6:7], v[4:5]
	s_load_b256 s[4:11], s[0:1], 0x18
	s_wait_xcnt 0x0
	s_mov_b32 s1, exec_lo
	v_sub_nc_u64_e32 v[8:9], v[4:5], v[0:1]
	s_delay_alu instid0(VALU_DEP_1) | instskip(SKIP_2) | instid1(VALU_DEP_2)
	v_min_u64 v[8:9], v[8:9], v[2:3]
	v_sub_nc_u64_e32 v[2:3], v[4:5], v[6:7]
	v_sub_nc_u64_e32 v[4:5], v[6:7], v[0:1]
	v_max_u64 v[10:11], v[8:9], v[2:3]
	s_delay_alu instid0(VALU_DEP_2) | instskip(NEXT) | instid1(VALU_DEP_2)
	v_min_u64 v[4:5], v[8:9], v[4:5]
	v_sub_nc_u64_e32 v[2:3], v[10:11], v[2:3]
	s_delay_alu instid0(VALU_DEP_1)
	v_cmpx_lt_u64_e64 v[2:3], v[4:5]
	s_cbranch_execz .LBB1370_11
; %bb.2:
	s_wait_kmcnt 0x0
	v_lshl_add_u64 v[10:11], v[6:7], 3, s[4:5]
	v_cmp_gt_i64_e64 s12, s[6:7], 0
	v_lshl_add_u64 v[6:7], v[0:1], 3, s[4:5]
	s_lshl_b64 s[2:3], s[6:7], 1
	s_mov_b32 s13, 0
	v_lshl_add_u64 v[8:9], v[8:9], 3, v[10:11]
	s_branch .LBB1370_5
.LBB1370_3:                             ;   in Loop: Header=BB1370_5 Depth=1
	s_or_b32 exec_lo, exec_lo, s15
.LBB1370_4:                             ;   in Loop: Header=BB1370_5 Depth=1
	s_delay_alu instid0(VALU_DEP_1) | instskip(SKIP_1) | instid1(VALU_DEP_2)
	v_add_nc_u64_e32 v[12:13], 1, v[10:11]
	v_dual_cndmask_b32 v5, v5, v11, s14 :: v_dual_cndmask_b32 v4, v4, v10, s14
	v_dual_cndmask_b32 v3, v13, v3, s14 :: v_dual_cndmask_b32 v2, v12, v2, s14
	s_delay_alu instid0(VALU_DEP_1) | instskip(SKIP_1) | instid1(SALU_CYCLE_1)
	v_cmp_ge_u64_e32 vcc_lo, v[2:3], v[4:5]
	s_or_b32 s13, vcc_lo, s13
	s_and_not1_b32 exec_lo, exec_lo, s13
	s_cbranch_execz .LBB1370_10
.LBB1370_5:                             ; =>This Loop Header: Depth=1
                                        ;     Child Loop BB1370_8 Depth 2
	v_add_nc_u64_e32 v[10:11], v[4:5], v[2:3]
	s_and_not1_b32 vcc_lo, exec_lo, s12
	s_mov_b32 s14, 0
	s_delay_alu instid0(VALU_DEP_1)
	v_lshrrev_b64 v[10:11], 1, v[10:11]
	s_cbranch_vccnz .LBB1370_4
; %bb.6:                                ;   in Loop: Header=BB1370_5 Depth=1
	s_delay_alu instid0(VALU_DEP_1) | instskip(NEXT) | instid1(VALU_DEP_2)
	v_not_b32_e32 v13, v11
	v_not_b32_e32 v12, v10
	v_lshl_add_u64 v[14:15], v[10:11], 3, v[6:7]
	s_mov_b32 s15, 0
	s_mov_b64 s[4:5], s[6:7]
                                        ; implicit-def: $sgpr14
                                        ; implicit-def: $sgpr16
                                        ; implicit-def: $sgpr17
                                        ; implicit-def: $sgpr18
	s_delay_alu instid0(VALU_DEP_2)
	v_lshl_add_u64 v[12:13], v[12:13], 3, v[8:9]
	s_clause 0x1
	global_load_b64 v[18:19], v[12:13], off
	global_load_b64 v[20:21], v[14:15], off
	s_wait_loadcnt 0x1
	s_wait_xcnt 0x1
	v_mad_nc_u64_u32 v[12:13], s2, v18, s[8:9]
	s_wait_loadcnt 0x0
	v_mad_nc_u64_u32 v[14:15], s2, v20, s[8:9]
	s_delay_alu instid0(VALU_DEP_2) | instskip(NEXT) | instid1(VALU_DEP_2)
	v_mad_u32 v13, s3, v18, v13
	v_mad_u32 v15, s3, v20, v15
	s_delay_alu instid0(VALU_DEP_2) | instskip(NEXT) | instid1(VALU_DEP_2)
	v_mad_u32 v13, s2, v19, v13
	v_mad_u32 v15, s2, v21, v15
	s_branch .LBB1370_8
.LBB1370_7:                             ;   in Loop: Header=BB1370_8 Depth=2
	s_or_b32 exec_lo, exec_lo, s19
	s_delay_alu instid0(SALU_CYCLE_1) | instskip(NEXT) | instid1(SALU_CYCLE_1)
	s_and_b32 s19, exec_lo, s16
	s_or_b32 s15, s19, s15
	s_and_not1_b32 s18, s18, exec_lo
	s_and_b32 s0, s0, exec_lo
	s_and_not1_b32 s14, s14, exec_lo
	s_and_b32 s19, s17, exec_lo
	s_or_b32 s18, s18, s0
	s_or_b32 s14, s14, s19
	s_and_not1_b32 exec_lo, exec_lo, s15
	s_cbranch_execz .LBB1370_3
.LBB1370_8:                             ;   Parent Loop BB1370_5 Depth=1
                                        ; =>  This Inner Loop Header: Depth=2
	global_load_u16 v17, v[12:13], off
	global_load_u16 v18, v[14:15], off
	s_and_not1_b32 s17, s17, exec_lo
	s_or_b32 s16, s16, exec_lo
	s_wait_loadcnt 0x0
	v_cmp_le_u16_e32 vcc_lo, v17, v18
	v_cmp_lt_u16_e64 s0, v17, v18
	s_and_b32 s19, vcc_lo, s18
	s_delay_alu instid0(SALU_CYCLE_1) | instskip(NEXT) | instid1(SALU_CYCLE_1)
	s_or_b32 s0, s0, s19
	s_and_b32 s19, s0, exec_lo
	s_delay_alu instid0(SALU_CYCLE_1)
	s_or_b32 s17, s17, s19
	s_mov_b32 s19, exec_lo
	v_cmpx_eq_u16_e64 v17, v18
	s_cbranch_execz .LBB1370_7
; %bb.9:                                ;   in Loop: Header=BB1370_8 Depth=2
	s_add_nc_u64 s[4:5], s[4:5], -1
	v_add_nc_u64_e32 v[12:13], 2, v[12:13]
	s_cmp_eq_u64 s[4:5], 0
	v_add_nc_u64_e32 v[14:15], 2, v[14:15]
	s_cselect_b32 s18, -1, 0
	s_and_not1_b32 s16, s16, exec_lo
	s_and_b32 s18, s18, exec_lo
	s_and_not1_b32 s17, s17, exec_lo
	s_or_b32 s16, s16, s18
                                        ; implicit-def: $sgpr18
	s_branch .LBB1370_7
.LBB1370_10:
	s_or_b32 exec_lo, exec_lo, s13
.LBB1370_11:
	s_delay_alu instid0(SALU_CYCLE_1)
	s_or_b32 exec_lo, exec_lo, s1
	v_add_nc_u64_e32 v[0:1], v[2:3], v[0:1]
	s_wait_kmcnt 0x0
	global_store_b64 v16, v[0:1], s[10:11] scale_offset
.LBB1370_12:
	s_endpgm
	.section	.rodata,"a",@progbits
	.p2align	6, 0x0
	.amdhsa_kernel _ZN7rocprim17ROCPRIM_400000_NS6detail17trampoline_kernelINS0_14default_configENS1_38merge_sort_block_merge_config_selectorIlNS0_10empty_typeEEEZZNS1_27merge_sort_block_merge_implIS3_PlPS5_mZN2at6native12_GLOBAL__N_124unique_dim_cuda_templateItEESt5tupleIJNSA_6TensorESF_SF_EERKSF_lbbbEUlllE_EE10hipError_tT0_T1_T2_jT3_P12ihipStream_tbPNSt15iterator_traitsISL_E10value_typeEPNSR_ISM_E10value_typeEPSN_NS1_7vsmem_tEENKUlT_SL_SM_SN_E_clIS8_S8_S9_S9_EESK_S10_SL_SM_SN_EUlS10_E_NS1_11comp_targetILNS1_3genE0ELNS1_11target_archE4294967295ELNS1_3gpuE0ELNS1_3repE0EEENS1_48merge_mergepath_partition_config_static_selectorELNS0_4arch9wavefront6targetE0EEEvSM_
		.amdhsa_group_segment_fixed_size 0
		.amdhsa_private_segment_fixed_size 0
		.amdhsa_kernarg_size 56
		.amdhsa_user_sgpr_count 2
		.amdhsa_user_sgpr_dispatch_ptr 0
		.amdhsa_user_sgpr_queue_ptr 0
		.amdhsa_user_sgpr_kernarg_segment_ptr 1
		.amdhsa_user_sgpr_dispatch_id 0
		.amdhsa_user_sgpr_kernarg_preload_length 0
		.amdhsa_user_sgpr_kernarg_preload_offset 0
		.amdhsa_user_sgpr_private_segment_size 0
		.amdhsa_wavefront_size32 1
		.amdhsa_uses_dynamic_stack 0
		.amdhsa_enable_private_segment 0
		.amdhsa_system_sgpr_workgroup_id_x 1
		.amdhsa_system_sgpr_workgroup_id_y 0
		.amdhsa_system_sgpr_workgroup_id_z 0
		.amdhsa_system_sgpr_workgroup_info 0
		.amdhsa_system_vgpr_workitem_id 0
		.amdhsa_next_free_vgpr 22
		.amdhsa_next_free_sgpr 20
		.amdhsa_named_barrier_count 0
		.amdhsa_reserve_vcc 1
		.amdhsa_float_round_mode_32 0
		.amdhsa_float_round_mode_16_64 0
		.amdhsa_float_denorm_mode_32 3
		.amdhsa_float_denorm_mode_16_64 3
		.amdhsa_fp16_overflow 0
		.amdhsa_memory_ordered 1
		.amdhsa_forward_progress 1
		.amdhsa_inst_pref_size 6
		.amdhsa_round_robin_scheduling 0
		.amdhsa_exception_fp_ieee_invalid_op 0
		.amdhsa_exception_fp_denorm_src 0
		.amdhsa_exception_fp_ieee_div_zero 0
		.amdhsa_exception_fp_ieee_overflow 0
		.amdhsa_exception_fp_ieee_underflow 0
		.amdhsa_exception_fp_ieee_inexact 0
		.amdhsa_exception_int_div_zero 0
	.end_amdhsa_kernel
	.section	.text._ZN7rocprim17ROCPRIM_400000_NS6detail17trampoline_kernelINS0_14default_configENS1_38merge_sort_block_merge_config_selectorIlNS0_10empty_typeEEEZZNS1_27merge_sort_block_merge_implIS3_PlPS5_mZN2at6native12_GLOBAL__N_124unique_dim_cuda_templateItEESt5tupleIJNSA_6TensorESF_SF_EERKSF_lbbbEUlllE_EE10hipError_tT0_T1_T2_jT3_P12ihipStream_tbPNSt15iterator_traitsISL_E10value_typeEPNSR_ISM_E10value_typeEPSN_NS1_7vsmem_tEENKUlT_SL_SM_SN_E_clIS8_S8_S9_S9_EESK_S10_SL_SM_SN_EUlS10_E_NS1_11comp_targetILNS1_3genE0ELNS1_11target_archE4294967295ELNS1_3gpuE0ELNS1_3repE0EEENS1_48merge_mergepath_partition_config_static_selectorELNS0_4arch9wavefront6targetE0EEEvSM_,"axG",@progbits,_ZN7rocprim17ROCPRIM_400000_NS6detail17trampoline_kernelINS0_14default_configENS1_38merge_sort_block_merge_config_selectorIlNS0_10empty_typeEEEZZNS1_27merge_sort_block_merge_implIS3_PlPS5_mZN2at6native12_GLOBAL__N_124unique_dim_cuda_templateItEESt5tupleIJNSA_6TensorESF_SF_EERKSF_lbbbEUlllE_EE10hipError_tT0_T1_T2_jT3_P12ihipStream_tbPNSt15iterator_traitsISL_E10value_typeEPNSR_ISM_E10value_typeEPSN_NS1_7vsmem_tEENKUlT_SL_SM_SN_E_clIS8_S8_S9_S9_EESK_S10_SL_SM_SN_EUlS10_E_NS1_11comp_targetILNS1_3genE0ELNS1_11target_archE4294967295ELNS1_3gpuE0ELNS1_3repE0EEENS1_48merge_mergepath_partition_config_static_selectorELNS0_4arch9wavefront6targetE0EEEvSM_,comdat
.Lfunc_end1370:
	.size	_ZN7rocprim17ROCPRIM_400000_NS6detail17trampoline_kernelINS0_14default_configENS1_38merge_sort_block_merge_config_selectorIlNS0_10empty_typeEEEZZNS1_27merge_sort_block_merge_implIS3_PlPS5_mZN2at6native12_GLOBAL__N_124unique_dim_cuda_templateItEESt5tupleIJNSA_6TensorESF_SF_EERKSF_lbbbEUlllE_EE10hipError_tT0_T1_T2_jT3_P12ihipStream_tbPNSt15iterator_traitsISL_E10value_typeEPNSR_ISM_E10value_typeEPSN_NS1_7vsmem_tEENKUlT_SL_SM_SN_E_clIS8_S8_S9_S9_EESK_S10_SL_SM_SN_EUlS10_E_NS1_11comp_targetILNS1_3genE0ELNS1_11target_archE4294967295ELNS1_3gpuE0ELNS1_3repE0EEENS1_48merge_mergepath_partition_config_static_selectorELNS0_4arch9wavefront6targetE0EEEvSM_, .Lfunc_end1370-_ZN7rocprim17ROCPRIM_400000_NS6detail17trampoline_kernelINS0_14default_configENS1_38merge_sort_block_merge_config_selectorIlNS0_10empty_typeEEEZZNS1_27merge_sort_block_merge_implIS3_PlPS5_mZN2at6native12_GLOBAL__N_124unique_dim_cuda_templateItEESt5tupleIJNSA_6TensorESF_SF_EERKSF_lbbbEUlllE_EE10hipError_tT0_T1_T2_jT3_P12ihipStream_tbPNSt15iterator_traitsISL_E10value_typeEPNSR_ISM_E10value_typeEPSN_NS1_7vsmem_tEENKUlT_SL_SM_SN_E_clIS8_S8_S9_S9_EESK_S10_SL_SM_SN_EUlS10_E_NS1_11comp_targetILNS1_3genE0ELNS1_11target_archE4294967295ELNS1_3gpuE0ELNS1_3repE0EEENS1_48merge_mergepath_partition_config_static_selectorELNS0_4arch9wavefront6targetE0EEEvSM_
                                        ; -- End function
	.set _ZN7rocprim17ROCPRIM_400000_NS6detail17trampoline_kernelINS0_14default_configENS1_38merge_sort_block_merge_config_selectorIlNS0_10empty_typeEEEZZNS1_27merge_sort_block_merge_implIS3_PlPS5_mZN2at6native12_GLOBAL__N_124unique_dim_cuda_templateItEESt5tupleIJNSA_6TensorESF_SF_EERKSF_lbbbEUlllE_EE10hipError_tT0_T1_T2_jT3_P12ihipStream_tbPNSt15iterator_traitsISL_E10value_typeEPNSR_ISM_E10value_typeEPSN_NS1_7vsmem_tEENKUlT_SL_SM_SN_E_clIS8_S8_S9_S9_EESK_S10_SL_SM_SN_EUlS10_E_NS1_11comp_targetILNS1_3genE0ELNS1_11target_archE4294967295ELNS1_3gpuE0ELNS1_3repE0EEENS1_48merge_mergepath_partition_config_static_selectorELNS0_4arch9wavefront6targetE0EEEvSM_.num_vgpr, 22
	.set _ZN7rocprim17ROCPRIM_400000_NS6detail17trampoline_kernelINS0_14default_configENS1_38merge_sort_block_merge_config_selectorIlNS0_10empty_typeEEEZZNS1_27merge_sort_block_merge_implIS3_PlPS5_mZN2at6native12_GLOBAL__N_124unique_dim_cuda_templateItEESt5tupleIJNSA_6TensorESF_SF_EERKSF_lbbbEUlllE_EE10hipError_tT0_T1_T2_jT3_P12ihipStream_tbPNSt15iterator_traitsISL_E10value_typeEPNSR_ISM_E10value_typeEPSN_NS1_7vsmem_tEENKUlT_SL_SM_SN_E_clIS8_S8_S9_S9_EESK_S10_SL_SM_SN_EUlS10_E_NS1_11comp_targetILNS1_3genE0ELNS1_11target_archE4294967295ELNS1_3gpuE0ELNS1_3repE0EEENS1_48merge_mergepath_partition_config_static_selectorELNS0_4arch9wavefront6targetE0EEEvSM_.num_agpr, 0
	.set _ZN7rocprim17ROCPRIM_400000_NS6detail17trampoline_kernelINS0_14default_configENS1_38merge_sort_block_merge_config_selectorIlNS0_10empty_typeEEEZZNS1_27merge_sort_block_merge_implIS3_PlPS5_mZN2at6native12_GLOBAL__N_124unique_dim_cuda_templateItEESt5tupleIJNSA_6TensorESF_SF_EERKSF_lbbbEUlllE_EE10hipError_tT0_T1_T2_jT3_P12ihipStream_tbPNSt15iterator_traitsISL_E10value_typeEPNSR_ISM_E10value_typeEPSN_NS1_7vsmem_tEENKUlT_SL_SM_SN_E_clIS8_S8_S9_S9_EESK_S10_SL_SM_SN_EUlS10_E_NS1_11comp_targetILNS1_3genE0ELNS1_11target_archE4294967295ELNS1_3gpuE0ELNS1_3repE0EEENS1_48merge_mergepath_partition_config_static_selectorELNS0_4arch9wavefront6targetE0EEEvSM_.numbered_sgpr, 20
	.set _ZN7rocprim17ROCPRIM_400000_NS6detail17trampoline_kernelINS0_14default_configENS1_38merge_sort_block_merge_config_selectorIlNS0_10empty_typeEEEZZNS1_27merge_sort_block_merge_implIS3_PlPS5_mZN2at6native12_GLOBAL__N_124unique_dim_cuda_templateItEESt5tupleIJNSA_6TensorESF_SF_EERKSF_lbbbEUlllE_EE10hipError_tT0_T1_T2_jT3_P12ihipStream_tbPNSt15iterator_traitsISL_E10value_typeEPNSR_ISM_E10value_typeEPSN_NS1_7vsmem_tEENKUlT_SL_SM_SN_E_clIS8_S8_S9_S9_EESK_S10_SL_SM_SN_EUlS10_E_NS1_11comp_targetILNS1_3genE0ELNS1_11target_archE4294967295ELNS1_3gpuE0ELNS1_3repE0EEENS1_48merge_mergepath_partition_config_static_selectorELNS0_4arch9wavefront6targetE0EEEvSM_.num_named_barrier, 0
	.set _ZN7rocprim17ROCPRIM_400000_NS6detail17trampoline_kernelINS0_14default_configENS1_38merge_sort_block_merge_config_selectorIlNS0_10empty_typeEEEZZNS1_27merge_sort_block_merge_implIS3_PlPS5_mZN2at6native12_GLOBAL__N_124unique_dim_cuda_templateItEESt5tupleIJNSA_6TensorESF_SF_EERKSF_lbbbEUlllE_EE10hipError_tT0_T1_T2_jT3_P12ihipStream_tbPNSt15iterator_traitsISL_E10value_typeEPNSR_ISM_E10value_typeEPSN_NS1_7vsmem_tEENKUlT_SL_SM_SN_E_clIS8_S8_S9_S9_EESK_S10_SL_SM_SN_EUlS10_E_NS1_11comp_targetILNS1_3genE0ELNS1_11target_archE4294967295ELNS1_3gpuE0ELNS1_3repE0EEENS1_48merge_mergepath_partition_config_static_selectorELNS0_4arch9wavefront6targetE0EEEvSM_.private_seg_size, 0
	.set _ZN7rocprim17ROCPRIM_400000_NS6detail17trampoline_kernelINS0_14default_configENS1_38merge_sort_block_merge_config_selectorIlNS0_10empty_typeEEEZZNS1_27merge_sort_block_merge_implIS3_PlPS5_mZN2at6native12_GLOBAL__N_124unique_dim_cuda_templateItEESt5tupleIJNSA_6TensorESF_SF_EERKSF_lbbbEUlllE_EE10hipError_tT0_T1_T2_jT3_P12ihipStream_tbPNSt15iterator_traitsISL_E10value_typeEPNSR_ISM_E10value_typeEPSN_NS1_7vsmem_tEENKUlT_SL_SM_SN_E_clIS8_S8_S9_S9_EESK_S10_SL_SM_SN_EUlS10_E_NS1_11comp_targetILNS1_3genE0ELNS1_11target_archE4294967295ELNS1_3gpuE0ELNS1_3repE0EEENS1_48merge_mergepath_partition_config_static_selectorELNS0_4arch9wavefront6targetE0EEEvSM_.uses_vcc, 1
	.set _ZN7rocprim17ROCPRIM_400000_NS6detail17trampoline_kernelINS0_14default_configENS1_38merge_sort_block_merge_config_selectorIlNS0_10empty_typeEEEZZNS1_27merge_sort_block_merge_implIS3_PlPS5_mZN2at6native12_GLOBAL__N_124unique_dim_cuda_templateItEESt5tupleIJNSA_6TensorESF_SF_EERKSF_lbbbEUlllE_EE10hipError_tT0_T1_T2_jT3_P12ihipStream_tbPNSt15iterator_traitsISL_E10value_typeEPNSR_ISM_E10value_typeEPSN_NS1_7vsmem_tEENKUlT_SL_SM_SN_E_clIS8_S8_S9_S9_EESK_S10_SL_SM_SN_EUlS10_E_NS1_11comp_targetILNS1_3genE0ELNS1_11target_archE4294967295ELNS1_3gpuE0ELNS1_3repE0EEENS1_48merge_mergepath_partition_config_static_selectorELNS0_4arch9wavefront6targetE0EEEvSM_.uses_flat_scratch, 0
	.set _ZN7rocprim17ROCPRIM_400000_NS6detail17trampoline_kernelINS0_14default_configENS1_38merge_sort_block_merge_config_selectorIlNS0_10empty_typeEEEZZNS1_27merge_sort_block_merge_implIS3_PlPS5_mZN2at6native12_GLOBAL__N_124unique_dim_cuda_templateItEESt5tupleIJNSA_6TensorESF_SF_EERKSF_lbbbEUlllE_EE10hipError_tT0_T1_T2_jT3_P12ihipStream_tbPNSt15iterator_traitsISL_E10value_typeEPNSR_ISM_E10value_typeEPSN_NS1_7vsmem_tEENKUlT_SL_SM_SN_E_clIS8_S8_S9_S9_EESK_S10_SL_SM_SN_EUlS10_E_NS1_11comp_targetILNS1_3genE0ELNS1_11target_archE4294967295ELNS1_3gpuE0ELNS1_3repE0EEENS1_48merge_mergepath_partition_config_static_selectorELNS0_4arch9wavefront6targetE0EEEvSM_.has_dyn_sized_stack, 0
	.set _ZN7rocprim17ROCPRIM_400000_NS6detail17trampoline_kernelINS0_14default_configENS1_38merge_sort_block_merge_config_selectorIlNS0_10empty_typeEEEZZNS1_27merge_sort_block_merge_implIS3_PlPS5_mZN2at6native12_GLOBAL__N_124unique_dim_cuda_templateItEESt5tupleIJNSA_6TensorESF_SF_EERKSF_lbbbEUlllE_EE10hipError_tT0_T1_T2_jT3_P12ihipStream_tbPNSt15iterator_traitsISL_E10value_typeEPNSR_ISM_E10value_typeEPSN_NS1_7vsmem_tEENKUlT_SL_SM_SN_E_clIS8_S8_S9_S9_EESK_S10_SL_SM_SN_EUlS10_E_NS1_11comp_targetILNS1_3genE0ELNS1_11target_archE4294967295ELNS1_3gpuE0ELNS1_3repE0EEENS1_48merge_mergepath_partition_config_static_selectorELNS0_4arch9wavefront6targetE0EEEvSM_.has_recursion, 0
	.set _ZN7rocprim17ROCPRIM_400000_NS6detail17trampoline_kernelINS0_14default_configENS1_38merge_sort_block_merge_config_selectorIlNS0_10empty_typeEEEZZNS1_27merge_sort_block_merge_implIS3_PlPS5_mZN2at6native12_GLOBAL__N_124unique_dim_cuda_templateItEESt5tupleIJNSA_6TensorESF_SF_EERKSF_lbbbEUlllE_EE10hipError_tT0_T1_T2_jT3_P12ihipStream_tbPNSt15iterator_traitsISL_E10value_typeEPNSR_ISM_E10value_typeEPSN_NS1_7vsmem_tEENKUlT_SL_SM_SN_E_clIS8_S8_S9_S9_EESK_S10_SL_SM_SN_EUlS10_E_NS1_11comp_targetILNS1_3genE0ELNS1_11target_archE4294967295ELNS1_3gpuE0ELNS1_3repE0EEENS1_48merge_mergepath_partition_config_static_selectorELNS0_4arch9wavefront6targetE0EEEvSM_.has_indirect_call, 0
	.section	.AMDGPU.csdata,"",@progbits
; Kernel info:
; codeLenInByte = 744
; TotalNumSgprs: 22
; NumVgprs: 22
; ScratchSize: 0
; MemoryBound: 0
; FloatMode: 240
; IeeeMode: 1
; LDSByteSize: 0 bytes/workgroup (compile time only)
; SGPRBlocks: 0
; VGPRBlocks: 1
; NumSGPRsForWavesPerEU: 22
; NumVGPRsForWavesPerEU: 22
; NamedBarCnt: 0
; Occupancy: 16
; WaveLimiterHint : 0
; COMPUTE_PGM_RSRC2:SCRATCH_EN: 0
; COMPUTE_PGM_RSRC2:USER_SGPR: 2
; COMPUTE_PGM_RSRC2:TRAP_HANDLER: 0
; COMPUTE_PGM_RSRC2:TGID_X_EN: 1
; COMPUTE_PGM_RSRC2:TGID_Y_EN: 0
; COMPUTE_PGM_RSRC2:TGID_Z_EN: 0
; COMPUTE_PGM_RSRC2:TIDIG_COMP_CNT: 0
	.section	.text._ZN7rocprim17ROCPRIM_400000_NS6detail17trampoline_kernelINS0_14default_configENS1_38merge_sort_block_merge_config_selectorIlNS0_10empty_typeEEEZZNS1_27merge_sort_block_merge_implIS3_PlPS5_mZN2at6native12_GLOBAL__N_124unique_dim_cuda_templateItEESt5tupleIJNSA_6TensorESF_SF_EERKSF_lbbbEUlllE_EE10hipError_tT0_T1_T2_jT3_P12ihipStream_tbPNSt15iterator_traitsISL_E10value_typeEPNSR_ISM_E10value_typeEPSN_NS1_7vsmem_tEENKUlT_SL_SM_SN_E_clIS8_S8_S9_S9_EESK_S10_SL_SM_SN_EUlS10_E_NS1_11comp_targetILNS1_3genE10ELNS1_11target_archE1201ELNS1_3gpuE5ELNS1_3repE0EEENS1_48merge_mergepath_partition_config_static_selectorELNS0_4arch9wavefront6targetE0EEEvSM_,"axG",@progbits,_ZN7rocprim17ROCPRIM_400000_NS6detail17trampoline_kernelINS0_14default_configENS1_38merge_sort_block_merge_config_selectorIlNS0_10empty_typeEEEZZNS1_27merge_sort_block_merge_implIS3_PlPS5_mZN2at6native12_GLOBAL__N_124unique_dim_cuda_templateItEESt5tupleIJNSA_6TensorESF_SF_EERKSF_lbbbEUlllE_EE10hipError_tT0_T1_T2_jT3_P12ihipStream_tbPNSt15iterator_traitsISL_E10value_typeEPNSR_ISM_E10value_typeEPSN_NS1_7vsmem_tEENKUlT_SL_SM_SN_E_clIS8_S8_S9_S9_EESK_S10_SL_SM_SN_EUlS10_E_NS1_11comp_targetILNS1_3genE10ELNS1_11target_archE1201ELNS1_3gpuE5ELNS1_3repE0EEENS1_48merge_mergepath_partition_config_static_selectorELNS0_4arch9wavefront6targetE0EEEvSM_,comdat
	.globl	_ZN7rocprim17ROCPRIM_400000_NS6detail17trampoline_kernelINS0_14default_configENS1_38merge_sort_block_merge_config_selectorIlNS0_10empty_typeEEEZZNS1_27merge_sort_block_merge_implIS3_PlPS5_mZN2at6native12_GLOBAL__N_124unique_dim_cuda_templateItEESt5tupleIJNSA_6TensorESF_SF_EERKSF_lbbbEUlllE_EE10hipError_tT0_T1_T2_jT3_P12ihipStream_tbPNSt15iterator_traitsISL_E10value_typeEPNSR_ISM_E10value_typeEPSN_NS1_7vsmem_tEENKUlT_SL_SM_SN_E_clIS8_S8_S9_S9_EESK_S10_SL_SM_SN_EUlS10_E_NS1_11comp_targetILNS1_3genE10ELNS1_11target_archE1201ELNS1_3gpuE5ELNS1_3repE0EEENS1_48merge_mergepath_partition_config_static_selectorELNS0_4arch9wavefront6targetE0EEEvSM_ ; -- Begin function _ZN7rocprim17ROCPRIM_400000_NS6detail17trampoline_kernelINS0_14default_configENS1_38merge_sort_block_merge_config_selectorIlNS0_10empty_typeEEEZZNS1_27merge_sort_block_merge_implIS3_PlPS5_mZN2at6native12_GLOBAL__N_124unique_dim_cuda_templateItEESt5tupleIJNSA_6TensorESF_SF_EERKSF_lbbbEUlllE_EE10hipError_tT0_T1_T2_jT3_P12ihipStream_tbPNSt15iterator_traitsISL_E10value_typeEPNSR_ISM_E10value_typeEPSN_NS1_7vsmem_tEENKUlT_SL_SM_SN_E_clIS8_S8_S9_S9_EESK_S10_SL_SM_SN_EUlS10_E_NS1_11comp_targetILNS1_3genE10ELNS1_11target_archE1201ELNS1_3gpuE5ELNS1_3repE0EEENS1_48merge_mergepath_partition_config_static_selectorELNS0_4arch9wavefront6targetE0EEEvSM_
	.p2align	8
	.type	_ZN7rocprim17ROCPRIM_400000_NS6detail17trampoline_kernelINS0_14default_configENS1_38merge_sort_block_merge_config_selectorIlNS0_10empty_typeEEEZZNS1_27merge_sort_block_merge_implIS3_PlPS5_mZN2at6native12_GLOBAL__N_124unique_dim_cuda_templateItEESt5tupleIJNSA_6TensorESF_SF_EERKSF_lbbbEUlllE_EE10hipError_tT0_T1_T2_jT3_P12ihipStream_tbPNSt15iterator_traitsISL_E10value_typeEPNSR_ISM_E10value_typeEPSN_NS1_7vsmem_tEENKUlT_SL_SM_SN_E_clIS8_S8_S9_S9_EESK_S10_SL_SM_SN_EUlS10_E_NS1_11comp_targetILNS1_3genE10ELNS1_11target_archE1201ELNS1_3gpuE5ELNS1_3repE0EEENS1_48merge_mergepath_partition_config_static_selectorELNS0_4arch9wavefront6targetE0EEEvSM_,@function
_ZN7rocprim17ROCPRIM_400000_NS6detail17trampoline_kernelINS0_14default_configENS1_38merge_sort_block_merge_config_selectorIlNS0_10empty_typeEEEZZNS1_27merge_sort_block_merge_implIS3_PlPS5_mZN2at6native12_GLOBAL__N_124unique_dim_cuda_templateItEESt5tupleIJNSA_6TensorESF_SF_EERKSF_lbbbEUlllE_EE10hipError_tT0_T1_T2_jT3_P12ihipStream_tbPNSt15iterator_traitsISL_E10value_typeEPNSR_ISM_E10value_typeEPSN_NS1_7vsmem_tEENKUlT_SL_SM_SN_E_clIS8_S8_S9_S9_EESK_S10_SL_SM_SN_EUlS10_E_NS1_11comp_targetILNS1_3genE10ELNS1_11target_archE1201ELNS1_3gpuE5ELNS1_3repE0EEENS1_48merge_mergepath_partition_config_static_selectorELNS0_4arch9wavefront6targetE0EEEvSM_: ; @_ZN7rocprim17ROCPRIM_400000_NS6detail17trampoline_kernelINS0_14default_configENS1_38merge_sort_block_merge_config_selectorIlNS0_10empty_typeEEEZZNS1_27merge_sort_block_merge_implIS3_PlPS5_mZN2at6native12_GLOBAL__N_124unique_dim_cuda_templateItEESt5tupleIJNSA_6TensorESF_SF_EERKSF_lbbbEUlllE_EE10hipError_tT0_T1_T2_jT3_P12ihipStream_tbPNSt15iterator_traitsISL_E10value_typeEPNSR_ISM_E10value_typeEPSN_NS1_7vsmem_tEENKUlT_SL_SM_SN_E_clIS8_S8_S9_S9_EESK_S10_SL_SM_SN_EUlS10_E_NS1_11comp_targetILNS1_3genE10ELNS1_11target_archE1201ELNS1_3gpuE5ELNS1_3repE0EEENS1_48merge_mergepath_partition_config_static_selectorELNS0_4arch9wavefront6targetE0EEEvSM_
; %bb.0:
	.section	.rodata,"a",@progbits
	.p2align	6, 0x0
	.amdhsa_kernel _ZN7rocprim17ROCPRIM_400000_NS6detail17trampoline_kernelINS0_14default_configENS1_38merge_sort_block_merge_config_selectorIlNS0_10empty_typeEEEZZNS1_27merge_sort_block_merge_implIS3_PlPS5_mZN2at6native12_GLOBAL__N_124unique_dim_cuda_templateItEESt5tupleIJNSA_6TensorESF_SF_EERKSF_lbbbEUlllE_EE10hipError_tT0_T1_T2_jT3_P12ihipStream_tbPNSt15iterator_traitsISL_E10value_typeEPNSR_ISM_E10value_typeEPSN_NS1_7vsmem_tEENKUlT_SL_SM_SN_E_clIS8_S8_S9_S9_EESK_S10_SL_SM_SN_EUlS10_E_NS1_11comp_targetILNS1_3genE10ELNS1_11target_archE1201ELNS1_3gpuE5ELNS1_3repE0EEENS1_48merge_mergepath_partition_config_static_selectorELNS0_4arch9wavefront6targetE0EEEvSM_
		.amdhsa_group_segment_fixed_size 0
		.amdhsa_private_segment_fixed_size 0
		.amdhsa_kernarg_size 56
		.amdhsa_user_sgpr_count 2
		.amdhsa_user_sgpr_dispatch_ptr 0
		.amdhsa_user_sgpr_queue_ptr 0
		.amdhsa_user_sgpr_kernarg_segment_ptr 1
		.amdhsa_user_sgpr_dispatch_id 0
		.amdhsa_user_sgpr_kernarg_preload_length 0
		.amdhsa_user_sgpr_kernarg_preload_offset 0
		.amdhsa_user_sgpr_private_segment_size 0
		.amdhsa_wavefront_size32 1
		.amdhsa_uses_dynamic_stack 0
		.amdhsa_enable_private_segment 0
		.amdhsa_system_sgpr_workgroup_id_x 1
		.amdhsa_system_sgpr_workgroup_id_y 0
		.amdhsa_system_sgpr_workgroup_id_z 0
		.amdhsa_system_sgpr_workgroup_info 0
		.amdhsa_system_vgpr_workitem_id 0
		.amdhsa_next_free_vgpr 1
		.amdhsa_next_free_sgpr 1
		.amdhsa_named_barrier_count 0
		.amdhsa_reserve_vcc 0
		.amdhsa_float_round_mode_32 0
		.amdhsa_float_round_mode_16_64 0
		.amdhsa_float_denorm_mode_32 3
		.amdhsa_float_denorm_mode_16_64 3
		.amdhsa_fp16_overflow 0
		.amdhsa_memory_ordered 1
		.amdhsa_forward_progress 1
		.amdhsa_inst_pref_size 0
		.amdhsa_round_robin_scheduling 0
		.amdhsa_exception_fp_ieee_invalid_op 0
		.amdhsa_exception_fp_denorm_src 0
		.amdhsa_exception_fp_ieee_div_zero 0
		.amdhsa_exception_fp_ieee_overflow 0
		.amdhsa_exception_fp_ieee_underflow 0
		.amdhsa_exception_fp_ieee_inexact 0
		.amdhsa_exception_int_div_zero 0
	.end_amdhsa_kernel
	.section	.text._ZN7rocprim17ROCPRIM_400000_NS6detail17trampoline_kernelINS0_14default_configENS1_38merge_sort_block_merge_config_selectorIlNS0_10empty_typeEEEZZNS1_27merge_sort_block_merge_implIS3_PlPS5_mZN2at6native12_GLOBAL__N_124unique_dim_cuda_templateItEESt5tupleIJNSA_6TensorESF_SF_EERKSF_lbbbEUlllE_EE10hipError_tT0_T1_T2_jT3_P12ihipStream_tbPNSt15iterator_traitsISL_E10value_typeEPNSR_ISM_E10value_typeEPSN_NS1_7vsmem_tEENKUlT_SL_SM_SN_E_clIS8_S8_S9_S9_EESK_S10_SL_SM_SN_EUlS10_E_NS1_11comp_targetILNS1_3genE10ELNS1_11target_archE1201ELNS1_3gpuE5ELNS1_3repE0EEENS1_48merge_mergepath_partition_config_static_selectorELNS0_4arch9wavefront6targetE0EEEvSM_,"axG",@progbits,_ZN7rocprim17ROCPRIM_400000_NS6detail17trampoline_kernelINS0_14default_configENS1_38merge_sort_block_merge_config_selectorIlNS0_10empty_typeEEEZZNS1_27merge_sort_block_merge_implIS3_PlPS5_mZN2at6native12_GLOBAL__N_124unique_dim_cuda_templateItEESt5tupleIJNSA_6TensorESF_SF_EERKSF_lbbbEUlllE_EE10hipError_tT0_T1_T2_jT3_P12ihipStream_tbPNSt15iterator_traitsISL_E10value_typeEPNSR_ISM_E10value_typeEPSN_NS1_7vsmem_tEENKUlT_SL_SM_SN_E_clIS8_S8_S9_S9_EESK_S10_SL_SM_SN_EUlS10_E_NS1_11comp_targetILNS1_3genE10ELNS1_11target_archE1201ELNS1_3gpuE5ELNS1_3repE0EEENS1_48merge_mergepath_partition_config_static_selectorELNS0_4arch9wavefront6targetE0EEEvSM_,comdat
.Lfunc_end1371:
	.size	_ZN7rocprim17ROCPRIM_400000_NS6detail17trampoline_kernelINS0_14default_configENS1_38merge_sort_block_merge_config_selectorIlNS0_10empty_typeEEEZZNS1_27merge_sort_block_merge_implIS3_PlPS5_mZN2at6native12_GLOBAL__N_124unique_dim_cuda_templateItEESt5tupleIJNSA_6TensorESF_SF_EERKSF_lbbbEUlllE_EE10hipError_tT0_T1_T2_jT3_P12ihipStream_tbPNSt15iterator_traitsISL_E10value_typeEPNSR_ISM_E10value_typeEPSN_NS1_7vsmem_tEENKUlT_SL_SM_SN_E_clIS8_S8_S9_S9_EESK_S10_SL_SM_SN_EUlS10_E_NS1_11comp_targetILNS1_3genE10ELNS1_11target_archE1201ELNS1_3gpuE5ELNS1_3repE0EEENS1_48merge_mergepath_partition_config_static_selectorELNS0_4arch9wavefront6targetE0EEEvSM_, .Lfunc_end1371-_ZN7rocprim17ROCPRIM_400000_NS6detail17trampoline_kernelINS0_14default_configENS1_38merge_sort_block_merge_config_selectorIlNS0_10empty_typeEEEZZNS1_27merge_sort_block_merge_implIS3_PlPS5_mZN2at6native12_GLOBAL__N_124unique_dim_cuda_templateItEESt5tupleIJNSA_6TensorESF_SF_EERKSF_lbbbEUlllE_EE10hipError_tT0_T1_T2_jT3_P12ihipStream_tbPNSt15iterator_traitsISL_E10value_typeEPNSR_ISM_E10value_typeEPSN_NS1_7vsmem_tEENKUlT_SL_SM_SN_E_clIS8_S8_S9_S9_EESK_S10_SL_SM_SN_EUlS10_E_NS1_11comp_targetILNS1_3genE10ELNS1_11target_archE1201ELNS1_3gpuE5ELNS1_3repE0EEENS1_48merge_mergepath_partition_config_static_selectorELNS0_4arch9wavefront6targetE0EEEvSM_
                                        ; -- End function
	.set _ZN7rocprim17ROCPRIM_400000_NS6detail17trampoline_kernelINS0_14default_configENS1_38merge_sort_block_merge_config_selectorIlNS0_10empty_typeEEEZZNS1_27merge_sort_block_merge_implIS3_PlPS5_mZN2at6native12_GLOBAL__N_124unique_dim_cuda_templateItEESt5tupleIJNSA_6TensorESF_SF_EERKSF_lbbbEUlllE_EE10hipError_tT0_T1_T2_jT3_P12ihipStream_tbPNSt15iterator_traitsISL_E10value_typeEPNSR_ISM_E10value_typeEPSN_NS1_7vsmem_tEENKUlT_SL_SM_SN_E_clIS8_S8_S9_S9_EESK_S10_SL_SM_SN_EUlS10_E_NS1_11comp_targetILNS1_3genE10ELNS1_11target_archE1201ELNS1_3gpuE5ELNS1_3repE0EEENS1_48merge_mergepath_partition_config_static_selectorELNS0_4arch9wavefront6targetE0EEEvSM_.num_vgpr, 0
	.set _ZN7rocprim17ROCPRIM_400000_NS6detail17trampoline_kernelINS0_14default_configENS1_38merge_sort_block_merge_config_selectorIlNS0_10empty_typeEEEZZNS1_27merge_sort_block_merge_implIS3_PlPS5_mZN2at6native12_GLOBAL__N_124unique_dim_cuda_templateItEESt5tupleIJNSA_6TensorESF_SF_EERKSF_lbbbEUlllE_EE10hipError_tT0_T1_T2_jT3_P12ihipStream_tbPNSt15iterator_traitsISL_E10value_typeEPNSR_ISM_E10value_typeEPSN_NS1_7vsmem_tEENKUlT_SL_SM_SN_E_clIS8_S8_S9_S9_EESK_S10_SL_SM_SN_EUlS10_E_NS1_11comp_targetILNS1_3genE10ELNS1_11target_archE1201ELNS1_3gpuE5ELNS1_3repE0EEENS1_48merge_mergepath_partition_config_static_selectorELNS0_4arch9wavefront6targetE0EEEvSM_.num_agpr, 0
	.set _ZN7rocprim17ROCPRIM_400000_NS6detail17trampoline_kernelINS0_14default_configENS1_38merge_sort_block_merge_config_selectorIlNS0_10empty_typeEEEZZNS1_27merge_sort_block_merge_implIS3_PlPS5_mZN2at6native12_GLOBAL__N_124unique_dim_cuda_templateItEESt5tupleIJNSA_6TensorESF_SF_EERKSF_lbbbEUlllE_EE10hipError_tT0_T1_T2_jT3_P12ihipStream_tbPNSt15iterator_traitsISL_E10value_typeEPNSR_ISM_E10value_typeEPSN_NS1_7vsmem_tEENKUlT_SL_SM_SN_E_clIS8_S8_S9_S9_EESK_S10_SL_SM_SN_EUlS10_E_NS1_11comp_targetILNS1_3genE10ELNS1_11target_archE1201ELNS1_3gpuE5ELNS1_3repE0EEENS1_48merge_mergepath_partition_config_static_selectorELNS0_4arch9wavefront6targetE0EEEvSM_.numbered_sgpr, 0
	.set _ZN7rocprim17ROCPRIM_400000_NS6detail17trampoline_kernelINS0_14default_configENS1_38merge_sort_block_merge_config_selectorIlNS0_10empty_typeEEEZZNS1_27merge_sort_block_merge_implIS3_PlPS5_mZN2at6native12_GLOBAL__N_124unique_dim_cuda_templateItEESt5tupleIJNSA_6TensorESF_SF_EERKSF_lbbbEUlllE_EE10hipError_tT0_T1_T2_jT3_P12ihipStream_tbPNSt15iterator_traitsISL_E10value_typeEPNSR_ISM_E10value_typeEPSN_NS1_7vsmem_tEENKUlT_SL_SM_SN_E_clIS8_S8_S9_S9_EESK_S10_SL_SM_SN_EUlS10_E_NS1_11comp_targetILNS1_3genE10ELNS1_11target_archE1201ELNS1_3gpuE5ELNS1_3repE0EEENS1_48merge_mergepath_partition_config_static_selectorELNS0_4arch9wavefront6targetE0EEEvSM_.num_named_barrier, 0
	.set _ZN7rocprim17ROCPRIM_400000_NS6detail17trampoline_kernelINS0_14default_configENS1_38merge_sort_block_merge_config_selectorIlNS0_10empty_typeEEEZZNS1_27merge_sort_block_merge_implIS3_PlPS5_mZN2at6native12_GLOBAL__N_124unique_dim_cuda_templateItEESt5tupleIJNSA_6TensorESF_SF_EERKSF_lbbbEUlllE_EE10hipError_tT0_T1_T2_jT3_P12ihipStream_tbPNSt15iterator_traitsISL_E10value_typeEPNSR_ISM_E10value_typeEPSN_NS1_7vsmem_tEENKUlT_SL_SM_SN_E_clIS8_S8_S9_S9_EESK_S10_SL_SM_SN_EUlS10_E_NS1_11comp_targetILNS1_3genE10ELNS1_11target_archE1201ELNS1_3gpuE5ELNS1_3repE0EEENS1_48merge_mergepath_partition_config_static_selectorELNS0_4arch9wavefront6targetE0EEEvSM_.private_seg_size, 0
	.set _ZN7rocprim17ROCPRIM_400000_NS6detail17trampoline_kernelINS0_14default_configENS1_38merge_sort_block_merge_config_selectorIlNS0_10empty_typeEEEZZNS1_27merge_sort_block_merge_implIS3_PlPS5_mZN2at6native12_GLOBAL__N_124unique_dim_cuda_templateItEESt5tupleIJNSA_6TensorESF_SF_EERKSF_lbbbEUlllE_EE10hipError_tT0_T1_T2_jT3_P12ihipStream_tbPNSt15iterator_traitsISL_E10value_typeEPNSR_ISM_E10value_typeEPSN_NS1_7vsmem_tEENKUlT_SL_SM_SN_E_clIS8_S8_S9_S9_EESK_S10_SL_SM_SN_EUlS10_E_NS1_11comp_targetILNS1_3genE10ELNS1_11target_archE1201ELNS1_3gpuE5ELNS1_3repE0EEENS1_48merge_mergepath_partition_config_static_selectorELNS0_4arch9wavefront6targetE0EEEvSM_.uses_vcc, 0
	.set _ZN7rocprim17ROCPRIM_400000_NS6detail17trampoline_kernelINS0_14default_configENS1_38merge_sort_block_merge_config_selectorIlNS0_10empty_typeEEEZZNS1_27merge_sort_block_merge_implIS3_PlPS5_mZN2at6native12_GLOBAL__N_124unique_dim_cuda_templateItEESt5tupleIJNSA_6TensorESF_SF_EERKSF_lbbbEUlllE_EE10hipError_tT0_T1_T2_jT3_P12ihipStream_tbPNSt15iterator_traitsISL_E10value_typeEPNSR_ISM_E10value_typeEPSN_NS1_7vsmem_tEENKUlT_SL_SM_SN_E_clIS8_S8_S9_S9_EESK_S10_SL_SM_SN_EUlS10_E_NS1_11comp_targetILNS1_3genE10ELNS1_11target_archE1201ELNS1_3gpuE5ELNS1_3repE0EEENS1_48merge_mergepath_partition_config_static_selectorELNS0_4arch9wavefront6targetE0EEEvSM_.uses_flat_scratch, 0
	.set _ZN7rocprim17ROCPRIM_400000_NS6detail17trampoline_kernelINS0_14default_configENS1_38merge_sort_block_merge_config_selectorIlNS0_10empty_typeEEEZZNS1_27merge_sort_block_merge_implIS3_PlPS5_mZN2at6native12_GLOBAL__N_124unique_dim_cuda_templateItEESt5tupleIJNSA_6TensorESF_SF_EERKSF_lbbbEUlllE_EE10hipError_tT0_T1_T2_jT3_P12ihipStream_tbPNSt15iterator_traitsISL_E10value_typeEPNSR_ISM_E10value_typeEPSN_NS1_7vsmem_tEENKUlT_SL_SM_SN_E_clIS8_S8_S9_S9_EESK_S10_SL_SM_SN_EUlS10_E_NS1_11comp_targetILNS1_3genE10ELNS1_11target_archE1201ELNS1_3gpuE5ELNS1_3repE0EEENS1_48merge_mergepath_partition_config_static_selectorELNS0_4arch9wavefront6targetE0EEEvSM_.has_dyn_sized_stack, 0
	.set _ZN7rocprim17ROCPRIM_400000_NS6detail17trampoline_kernelINS0_14default_configENS1_38merge_sort_block_merge_config_selectorIlNS0_10empty_typeEEEZZNS1_27merge_sort_block_merge_implIS3_PlPS5_mZN2at6native12_GLOBAL__N_124unique_dim_cuda_templateItEESt5tupleIJNSA_6TensorESF_SF_EERKSF_lbbbEUlllE_EE10hipError_tT0_T1_T2_jT3_P12ihipStream_tbPNSt15iterator_traitsISL_E10value_typeEPNSR_ISM_E10value_typeEPSN_NS1_7vsmem_tEENKUlT_SL_SM_SN_E_clIS8_S8_S9_S9_EESK_S10_SL_SM_SN_EUlS10_E_NS1_11comp_targetILNS1_3genE10ELNS1_11target_archE1201ELNS1_3gpuE5ELNS1_3repE0EEENS1_48merge_mergepath_partition_config_static_selectorELNS0_4arch9wavefront6targetE0EEEvSM_.has_recursion, 0
	.set _ZN7rocprim17ROCPRIM_400000_NS6detail17trampoline_kernelINS0_14default_configENS1_38merge_sort_block_merge_config_selectorIlNS0_10empty_typeEEEZZNS1_27merge_sort_block_merge_implIS3_PlPS5_mZN2at6native12_GLOBAL__N_124unique_dim_cuda_templateItEESt5tupleIJNSA_6TensorESF_SF_EERKSF_lbbbEUlllE_EE10hipError_tT0_T1_T2_jT3_P12ihipStream_tbPNSt15iterator_traitsISL_E10value_typeEPNSR_ISM_E10value_typeEPSN_NS1_7vsmem_tEENKUlT_SL_SM_SN_E_clIS8_S8_S9_S9_EESK_S10_SL_SM_SN_EUlS10_E_NS1_11comp_targetILNS1_3genE10ELNS1_11target_archE1201ELNS1_3gpuE5ELNS1_3repE0EEENS1_48merge_mergepath_partition_config_static_selectorELNS0_4arch9wavefront6targetE0EEEvSM_.has_indirect_call, 0
	.section	.AMDGPU.csdata,"",@progbits
; Kernel info:
; codeLenInByte = 0
; TotalNumSgprs: 0
; NumVgprs: 0
; ScratchSize: 0
; MemoryBound: 0
; FloatMode: 240
; IeeeMode: 1
; LDSByteSize: 0 bytes/workgroup (compile time only)
; SGPRBlocks: 0
; VGPRBlocks: 0
; NumSGPRsForWavesPerEU: 1
; NumVGPRsForWavesPerEU: 1
; NamedBarCnt: 0
; Occupancy: 16
; WaveLimiterHint : 0
; COMPUTE_PGM_RSRC2:SCRATCH_EN: 0
; COMPUTE_PGM_RSRC2:USER_SGPR: 2
; COMPUTE_PGM_RSRC2:TRAP_HANDLER: 0
; COMPUTE_PGM_RSRC2:TGID_X_EN: 1
; COMPUTE_PGM_RSRC2:TGID_Y_EN: 0
; COMPUTE_PGM_RSRC2:TGID_Z_EN: 0
; COMPUTE_PGM_RSRC2:TIDIG_COMP_CNT: 0
	.section	.text._ZN7rocprim17ROCPRIM_400000_NS6detail17trampoline_kernelINS0_14default_configENS1_38merge_sort_block_merge_config_selectorIlNS0_10empty_typeEEEZZNS1_27merge_sort_block_merge_implIS3_PlPS5_mZN2at6native12_GLOBAL__N_124unique_dim_cuda_templateItEESt5tupleIJNSA_6TensorESF_SF_EERKSF_lbbbEUlllE_EE10hipError_tT0_T1_T2_jT3_P12ihipStream_tbPNSt15iterator_traitsISL_E10value_typeEPNSR_ISM_E10value_typeEPSN_NS1_7vsmem_tEENKUlT_SL_SM_SN_E_clIS8_S8_S9_S9_EESK_S10_SL_SM_SN_EUlS10_E_NS1_11comp_targetILNS1_3genE5ELNS1_11target_archE942ELNS1_3gpuE9ELNS1_3repE0EEENS1_48merge_mergepath_partition_config_static_selectorELNS0_4arch9wavefront6targetE0EEEvSM_,"axG",@progbits,_ZN7rocprim17ROCPRIM_400000_NS6detail17trampoline_kernelINS0_14default_configENS1_38merge_sort_block_merge_config_selectorIlNS0_10empty_typeEEEZZNS1_27merge_sort_block_merge_implIS3_PlPS5_mZN2at6native12_GLOBAL__N_124unique_dim_cuda_templateItEESt5tupleIJNSA_6TensorESF_SF_EERKSF_lbbbEUlllE_EE10hipError_tT0_T1_T2_jT3_P12ihipStream_tbPNSt15iterator_traitsISL_E10value_typeEPNSR_ISM_E10value_typeEPSN_NS1_7vsmem_tEENKUlT_SL_SM_SN_E_clIS8_S8_S9_S9_EESK_S10_SL_SM_SN_EUlS10_E_NS1_11comp_targetILNS1_3genE5ELNS1_11target_archE942ELNS1_3gpuE9ELNS1_3repE0EEENS1_48merge_mergepath_partition_config_static_selectorELNS0_4arch9wavefront6targetE0EEEvSM_,comdat
	.globl	_ZN7rocprim17ROCPRIM_400000_NS6detail17trampoline_kernelINS0_14default_configENS1_38merge_sort_block_merge_config_selectorIlNS0_10empty_typeEEEZZNS1_27merge_sort_block_merge_implIS3_PlPS5_mZN2at6native12_GLOBAL__N_124unique_dim_cuda_templateItEESt5tupleIJNSA_6TensorESF_SF_EERKSF_lbbbEUlllE_EE10hipError_tT0_T1_T2_jT3_P12ihipStream_tbPNSt15iterator_traitsISL_E10value_typeEPNSR_ISM_E10value_typeEPSN_NS1_7vsmem_tEENKUlT_SL_SM_SN_E_clIS8_S8_S9_S9_EESK_S10_SL_SM_SN_EUlS10_E_NS1_11comp_targetILNS1_3genE5ELNS1_11target_archE942ELNS1_3gpuE9ELNS1_3repE0EEENS1_48merge_mergepath_partition_config_static_selectorELNS0_4arch9wavefront6targetE0EEEvSM_ ; -- Begin function _ZN7rocprim17ROCPRIM_400000_NS6detail17trampoline_kernelINS0_14default_configENS1_38merge_sort_block_merge_config_selectorIlNS0_10empty_typeEEEZZNS1_27merge_sort_block_merge_implIS3_PlPS5_mZN2at6native12_GLOBAL__N_124unique_dim_cuda_templateItEESt5tupleIJNSA_6TensorESF_SF_EERKSF_lbbbEUlllE_EE10hipError_tT0_T1_T2_jT3_P12ihipStream_tbPNSt15iterator_traitsISL_E10value_typeEPNSR_ISM_E10value_typeEPSN_NS1_7vsmem_tEENKUlT_SL_SM_SN_E_clIS8_S8_S9_S9_EESK_S10_SL_SM_SN_EUlS10_E_NS1_11comp_targetILNS1_3genE5ELNS1_11target_archE942ELNS1_3gpuE9ELNS1_3repE0EEENS1_48merge_mergepath_partition_config_static_selectorELNS0_4arch9wavefront6targetE0EEEvSM_
	.p2align	8
	.type	_ZN7rocprim17ROCPRIM_400000_NS6detail17trampoline_kernelINS0_14default_configENS1_38merge_sort_block_merge_config_selectorIlNS0_10empty_typeEEEZZNS1_27merge_sort_block_merge_implIS3_PlPS5_mZN2at6native12_GLOBAL__N_124unique_dim_cuda_templateItEESt5tupleIJNSA_6TensorESF_SF_EERKSF_lbbbEUlllE_EE10hipError_tT0_T1_T2_jT3_P12ihipStream_tbPNSt15iterator_traitsISL_E10value_typeEPNSR_ISM_E10value_typeEPSN_NS1_7vsmem_tEENKUlT_SL_SM_SN_E_clIS8_S8_S9_S9_EESK_S10_SL_SM_SN_EUlS10_E_NS1_11comp_targetILNS1_3genE5ELNS1_11target_archE942ELNS1_3gpuE9ELNS1_3repE0EEENS1_48merge_mergepath_partition_config_static_selectorELNS0_4arch9wavefront6targetE0EEEvSM_,@function
_ZN7rocprim17ROCPRIM_400000_NS6detail17trampoline_kernelINS0_14default_configENS1_38merge_sort_block_merge_config_selectorIlNS0_10empty_typeEEEZZNS1_27merge_sort_block_merge_implIS3_PlPS5_mZN2at6native12_GLOBAL__N_124unique_dim_cuda_templateItEESt5tupleIJNSA_6TensorESF_SF_EERKSF_lbbbEUlllE_EE10hipError_tT0_T1_T2_jT3_P12ihipStream_tbPNSt15iterator_traitsISL_E10value_typeEPNSR_ISM_E10value_typeEPSN_NS1_7vsmem_tEENKUlT_SL_SM_SN_E_clIS8_S8_S9_S9_EESK_S10_SL_SM_SN_EUlS10_E_NS1_11comp_targetILNS1_3genE5ELNS1_11target_archE942ELNS1_3gpuE9ELNS1_3repE0EEENS1_48merge_mergepath_partition_config_static_selectorELNS0_4arch9wavefront6targetE0EEEvSM_: ; @_ZN7rocprim17ROCPRIM_400000_NS6detail17trampoline_kernelINS0_14default_configENS1_38merge_sort_block_merge_config_selectorIlNS0_10empty_typeEEEZZNS1_27merge_sort_block_merge_implIS3_PlPS5_mZN2at6native12_GLOBAL__N_124unique_dim_cuda_templateItEESt5tupleIJNSA_6TensorESF_SF_EERKSF_lbbbEUlllE_EE10hipError_tT0_T1_T2_jT3_P12ihipStream_tbPNSt15iterator_traitsISL_E10value_typeEPNSR_ISM_E10value_typeEPSN_NS1_7vsmem_tEENKUlT_SL_SM_SN_E_clIS8_S8_S9_S9_EESK_S10_SL_SM_SN_EUlS10_E_NS1_11comp_targetILNS1_3genE5ELNS1_11target_archE942ELNS1_3gpuE9ELNS1_3repE0EEENS1_48merge_mergepath_partition_config_static_selectorELNS0_4arch9wavefront6targetE0EEEvSM_
; %bb.0:
	.section	.rodata,"a",@progbits
	.p2align	6, 0x0
	.amdhsa_kernel _ZN7rocprim17ROCPRIM_400000_NS6detail17trampoline_kernelINS0_14default_configENS1_38merge_sort_block_merge_config_selectorIlNS0_10empty_typeEEEZZNS1_27merge_sort_block_merge_implIS3_PlPS5_mZN2at6native12_GLOBAL__N_124unique_dim_cuda_templateItEESt5tupleIJNSA_6TensorESF_SF_EERKSF_lbbbEUlllE_EE10hipError_tT0_T1_T2_jT3_P12ihipStream_tbPNSt15iterator_traitsISL_E10value_typeEPNSR_ISM_E10value_typeEPSN_NS1_7vsmem_tEENKUlT_SL_SM_SN_E_clIS8_S8_S9_S9_EESK_S10_SL_SM_SN_EUlS10_E_NS1_11comp_targetILNS1_3genE5ELNS1_11target_archE942ELNS1_3gpuE9ELNS1_3repE0EEENS1_48merge_mergepath_partition_config_static_selectorELNS0_4arch9wavefront6targetE0EEEvSM_
		.amdhsa_group_segment_fixed_size 0
		.amdhsa_private_segment_fixed_size 0
		.amdhsa_kernarg_size 56
		.amdhsa_user_sgpr_count 2
		.amdhsa_user_sgpr_dispatch_ptr 0
		.amdhsa_user_sgpr_queue_ptr 0
		.amdhsa_user_sgpr_kernarg_segment_ptr 1
		.amdhsa_user_sgpr_dispatch_id 0
		.amdhsa_user_sgpr_kernarg_preload_length 0
		.amdhsa_user_sgpr_kernarg_preload_offset 0
		.amdhsa_user_sgpr_private_segment_size 0
		.amdhsa_wavefront_size32 1
		.amdhsa_uses_dynamic_stack 0
		.amdhsa_enable_private_segment 0
		.amdhsa_system_sgpr_workgroup_id_x 1
		.amdhsa_system_sgpr_workgroup_id_y 0
		.amdhsa_system_sgpr_workgroup_id_z 0
		.amdhsa_system_sgpr_workgroup_info 0
		.amdhsa_system_vgpr_workitem_id 0
		.amdhsa_next_free_vgpr 1
		.amdhsa_next_free_sgpr 1
		.amdhsa_named_barrier_count 0
		.amdhsa_reserve_vcc 0
		.amdhsa_float_round_mode_32 0
		.amdhsa_float_round_mode_16_64 0
		.amdhsa_float_denorm_mode_32 3
		.amdhsa_float_denorm_mode_16_64 3
		.amdhsa_fp16_overflow 0
		.amdhsa_memory_ordered 1
		.amdhsa_forward_progress 1
		.amdhsa_inst_pref_size 0
		.amdhsa_round_robin_scheduling 0
		.amdhsa_exception_fp_ieee_invalid_op 0
		.amdhsa_exception_fp_denorm_src 0
		.amdhsa_exception_fp_ieee_div_zero 0
		.amdhsa_exception_fp_ieee_overflow 0
		.amdhsa_exception_fp_ieee_underflow 0
		.amdhsa_exception_fp_ieee_inexact 0
		.amdhsa_exception_int_div_zero 0
	.end_amdhsa_kernel
	.section	.text._ZN7rocprim17ROCPRIM_400000_NS6detail17trampoline_kernelINS0_14default_configENS1_38merge_sort_block_merge_config_selectorIlNS0_10empty_typeEEEZZNS1_27merge_sort_block_merge_implIS3_PlPS5_mZN2at6native12_GLOBAL__N_124unique_dim_cuda_templateItEESt5tupleIJNSA_6TensorESF_SF_EERKSF_lbbbEUlllE_EE10hipError_tT0_T1_T2_jT3_P12ihipStream_tbPNSt15iterator_traitsISL_E10value_typeEPNSR_ISM_E10value_typeEPSN_NS1_7vsmem_tEENKUlT_SL_SM_SN_E_clIS8_S8_S9_S9_EESK_S10_SL_SM_SN_EUlS10_E_NS1_11comp_targetILNS1_3genE5ELNS1_11target_archE942ELNS1_3gpuE9ELNS1_3repE0EEENS1_48merge_mergepath_partition_config_static_selectorELNS0_4arch9wavefront6targetE0EEEvSM_,"axG",@progbits,_ZN7rocprim17ROCPRIM_400000_NS6detail17trampoline_kernelINS0_14default_configENS1_38merge_sort_block_merge_config_selectorIlNS0_10empty_typeEEEZZNS1_27merge_sort_block_merge_implIS3_PlPS5_mZN2at6native12_GLOBAL__N_124unique_dim_cuda_templateItEESt5tupleIJNSA_6TensorESF_SF_EERKSF_lbbbEUlllE_EE10hipError_tT0_T1_T2_jT3_P12ihipStream_tbPNSt15iterator_traitsISL_E10value_typeEPNSR_ISM_E10value_typeEPSN_NS1_7vsmem_tEENKUlT_SL_SM_SN_E_clIS8_S8_S9_S9_EESK_S10_SL_SM_SN_EUlS10_E_NS1_11comp_targetILNS1_3genE5ELNS1_11target_archE942ELNS1_3gpuE9ELNS1_3repE0EEENS1_48merge_mergepath_partition_config_static_selectorELNS0_4arch9wavefront6targetE0EEEvSM_,comdat
.Lfunc_end1372:
	.size	_ZN7rocprim17ROCPRIM_400000_NS6detail17trampoline_kernelINS0_14default_configENS1_38merge_sort_block_merge_config_selectorIlNS0_10empty_typeEEEZZNS1_27merge_sort_block_merge_implIS3_PlPS5_mZN2at6native12_GLOBAL__N_124unique_dim_cuda_templateItEESt5tupleIJNSA_6TensorESF_SF_EERKSF_lbbbEUlllE_EE10hipError_tT0_T1_T2_jT3_P12ihipStream_tbPNSt15iterator_traitsISL_E10value_typeEPNSR_ISM_E10value_typeEPSN_NS1_7vsmem_tEENKUlT_SL_SM_SN_E_clIS8_S8_S9_S9_EESK_S10_SL_SM_SN_EUlS10_E_NS1_11comp_targetILNS1_3genE5ELNS1_11target_archE942ELNS1_3gpuE9ELNS1_3repE0EEENS1_48merge_mergepath_partition_config_static_selectorELNS0_4arch9wavefront6targetE0EEEvSM_, .Lfunc_end1372-_ZN7rocprim17ROCPRIM_400000_NS6detail17trampoline_kernelINS0_14default_configENS1_38merge_sort_block_merge_config_selectorIlNS0_10empty_typeEEEZZNS1_27merge_sort_block_merge_implIS3_PlPS5_mZN2at6native12_GLOBAL__N_124unique_dim_cuda_templateItEESt5tupleIJNSA_6TensorESF_SF_EERKSF_lbbbEUlllE_EE10hipError_tT0_T1_T2_jT3_P12ihipStream_tbPNSt15iterator_traitsISL_E10value_typeEPNSR_ISM_E10value_typeEPSN_NS1_7vsmem_tEENKUlT_SL_SM_SN_E_clIS8_S8_S9_S9_EESK_S10_SL_SM_SN_EUlS10_E_NS1_11comp_targetILNS1_3genE5ELNS1_11target_archE942ELNS1_3gpuE9ELNS1_3repE0EEENS1_48merge_mergepath_partition_config_static_selectorELNS0_4arch9wavefront6targetE0EEEvSM_
                                        ; -- End function
	.set _ZN7rocprim17ROCPRIM_400000_NS6detail17trampoline_kernelINS0_14default_configENS1_38merge_sort_block_merge_config_selectorIlNS0_10empty_typeEEEZZNS1_27merge_sort_block_merge_implIS3_PlPS5_mZN2at6native12_GLOBAL__N_124unique_dim_cuda_templateItEESt5tupleIJNSA_6TensorESF_SF_EERKSF_lbbbEUlllE_EE10hipError_tT0_T1_T2_jT3_P12ihipStream_tbPNSt15iterator_traitsISL_E10value_typeEPNSR_ISM_E10value_typeEPSN_NS1_7vsmem_tEENKUlT_SL_SM_SN_E_clIS8_S8_S9_S9_EESK_S10_SL_SM_SN_EUlS10_E_NS1_11comp_targetILNS1_3genE5ELNS1_11target_archE942ELNS1_3gpuE9ELNS1_3repE0EEENS1_48merge_mergepath_partition_config_static_selectorELNS0_4arch9wavefront6targetE0EEEvSM_.num_vgpr, 0
	.set _ZN7rocprim17ROCPRIM_400000_NS6detail17trampoline_kernelINS0_14default_configENS1_38merge_sort_block_merge_config_selectorIlNS0_10empty_typeEEEZZNS1_27merge_sort_block_merge_implIS3_PlPS5_mZN2at6native12_GLOBAL__N_124unique_dim_cuda_templateItEESt5tupleIJNSA_6TensorESF_SF_EERKSF_lbbbEUlllE_EE10hipError_tT0_T1_T2_jT3_P12ihipStream_tbPNSt15iterator_traitsISL_E10value_typeEPNSR_ISM_E10value_typeEPSN_NS1_7vsmem_tEENKUlT_SL_SM_SN_E_clIS8_S8_S9_S9_EESK_S10_SL_SM_SN_EUlS10_E_NS1_11comp_targetILNS1_3genE5ELNS1_11target_archE942ELNS1_3gpuE9ELNS1_3repE0EEENS1_48merge_mergepath_partition_config_static_selectorELNS0_4arch9wavefront6targetE0EEEvSM_.num_agpr, 0
	.set _ZN7rocprim17ROCPRIM_400000_NS6detail17trampoline_kernelINS0_14default_configENS1_38merge_sort_block_merge_config_selectorIlNS0_10empty_typeEEEZZNS1_27merge_sort_block_merge_implIS3_PlPS5_mZN2at6native12_GLOBAL__N_124unique_dim_cuda_templateItEESt5tupleIJNSA_6TensorESF_SF_EERKSF_lbbbEUlllE_EE10hipError_tT0_T1_T2_jT3_P12ihipStream_tbPNSt15iterator_traitsISL_E10value_typeEPNSR_ISM_E10value_typeEPSN_NS1_7vsmem_tEENKUlT_SL_SM_SN_E_clIS8_S8_S9_S9_EESK_S10_SL_SM_SN_EUlS10_E_NS1_11comp_targetILNS1_3genE5ELNS1_11target_archE942ELNS1_3gpuE9ELNS1_3repE0EEENS1_48merge_mergepath_partition_config_static_selectorELNS0_4arch9wavefront6targetE0EEEvSM_.numbered_sgpr, 0
	.set _ZN7rocprim17ROCPRIM_400000_NS6detail17trampoline_kernelINS0_14default_configENS1_38merge_sort_block_merge_config_selectorIlNS0_10empty_typeEEEZZNS1_27merge_sort_block_merge_implIS3_PlPS5_mZN2at6native12_GLOBAL__N_124unique_dim_cuda_templateItEESt5tupleIJNSA_6TensorESF_SF_EERKSF_lbbbEUlllE_EE10hipError_tT0_T1_T2_jT3_P12ihipStream_tbPNSt15iterator_traitsISL_E10value_typeEPNSR_ISM_E10value_typeEPSN_NS1_7vsmem_tEENKUlT_SL_SM_SN_E_clIS8_S8_S9_S9_EESK_S10_SL_SM_SN_EUlS10_E_NS1_11comp_targetILNS1_3genE5ELNS1_11target_archE942ELNS1_3gpuE9ELNS1_3repE0EEENS1_48merge_mergepath_partition_config_static_selectorELNS0_4arch9wavefront6targetE0EEEvSM_.num_named_barrier, 0
	.set _ZN7rocprim17ROCPRIM_400000_NS6detail17trampoline_kernelINS0_14default_configENS1_38merge_sort_block_merge_config_selectorIlNS0_10empty_typeEEEZZNS1_27merge_sort_block_merge_implIS3_PlPS5_mZN2at6native12_GLOBAL__N_124unique_dim_cuda_templateItEESt5tupleIJNSA_6TensorESF_SF_EERKSF_lbbbEUlllE_EE10hipError_tT0_T1_T2_jT3_P12ihipStream_tbPNSt15iterator_traitsISL_E10value_typeEPNSR_ISM_E10value_typeEPSN_NS1_7vsmem_tEENKUlT_SL_SM_SN_E_clIS8_S8_S9_S9_EESK_S10_SL_SM_SN_EUlS10_E_NS1_11comp_targetILNS1_3genE5ELNS1_11target_archE942ELNS1_3gpuE9ELNS1_3repE0EEENS1_48merge_mergepath_partition_config_static_selectorELNS0_4arch9wavefront6targetE0EEEvSM_.private_seg_size, 0
	.set _ZN7rocprim17ROCPRIM_400000_NS6detail17trampoline_kernelINS0_14default_configENS1_38merge_sort_block_merge_config_selectorIlNS0_10empty_typeEEEZZNS1_27merge_sort_block_merge_implIS3_PlPS5_mZN2at6native12_GLOBAL__N_124unique_dim_cuda_templateItEESt5tupleIJNSA_6TensorESF_SF_EERKSF_lbbbEUlllE_EE10hipError_tT0_T1_T2_jT3_P12ihipStream_tbPNSt15iterator_traitsISL_E10value_typeEPNSR_ISM_E10value_typeEPSN_NS1_7vsmem_tEENKUlT_SL_SM_SN_E_clIS8_S8_S9_S9_EESK_S10_SL_SM_SN_EUlS10_E_NS1_11comp_targetILNS1_3genE5ELNS1_11target_archE942ELNS1_3gpuE9ELNS1_3repE0EEENS1_48merge_mergepath_partition_config_static_selectorELNS0_4arch9wavefront6targetE0EEEvSM_.uses_vcc, 0
	.set _ZN7rocprim17ROCPRIM_400000_NS6detail17trampoline_kernelINS0_14default_configENS1_38merge_sort_block_merge_config_selectorIlNS0_10empty_typeEEEZZNS1_27merge_sort_block_merge_implIS3_PlPS5_mZN2at6native12_GLOBAL__N_124unique_dim_cuda_templateItEESt5tupleIJNSA_6TensorESF_SF_EERKSF_lbbbEUlllE_EE10hipError_tT0_T1_T2_jT3_P12ihipStream_tbPNSt15iterator_traitsISL_E10value_typeEPNSR_ISM_E10value_typeEPSN_NS1_7vsmem_tEENKUlT_SL_SM_SN_E_clIS8_S8_S9_S9_EESK_S10_SL_SM_SN_EUlS10_E_NS1_11comp_targetILNS1_3genE5ELNS1_11target_archE942ELNS1_3gpuE9ELNS1_3repE0EEENS1_48merge_mergepath_partition_config_static_selectorELNS0_4arch9wavefront6targetE0EEEvSM_.uses_flat_scratch, 0
	.set _ZN7rocprim17ROCPRIM_400000_NS6detail17trampoline_kernelINS0_14default_configENS1_38merge_sort_block_merge_config_selectorIlNS0_10empty_typeEEEZZNS1_27merge_sort_block_merge_implIS3_PlPS5_mZN2at6native12_GLOBAL__N_124unique_dim_cuda_templateItEESt5tupleIJNSA_6TensorESF_SF_EERKSF_lbbbEUlllE_EE10hipError_tT0_T1_T2_jT3_P12ihipStream_tbPNSt15iterator_traitsISL_E10value_typeEPNSR_ISM_E10value_typeEPSN_NS1_7vsmem_tEENKUlT_SL_SM_SN_E_clIS8_S8_S9_S9_EESK_S10_SL_SM_SN_EUlS10_E_NS1_11comp_targetILNS1_3genE5ELNS1_11target_archE942ELNS1_3gpuE9ELNS1_3repE0EEENS1_48merge_mergepath_partition_config_static_selectorELNS0_4arch9wavefront6targetE0EEEvSM_.has_dyn_sized_stack, 0
	.set _ZN7rocprim17ROCPRIM_400000_NS6detail17trampoline_kernelINS0_14default_configENS1_38merge_sort_block_merge_config_selectorIlNS0_10empty_typeEEEZZNS1_27merge_sort_block_merge_implIS3_PlPS5_mZN2at6native12_GLOBAL__N_124unique_dim_cuda_templateItEESt5tupleIJNSA_6TensorESF_SF_EERKSF_lbbbEUlllE_EE10hipError_tT0_T1_T2_jT3_P12ihipStream_tbPNSt15iterator_traitsISL_E10value_typeEPNSR_ISM_E10value_typeEPSN_NS1_7vsmem_tEENKUlT_SL_SM_SN_E_clIS8_S8_S9_S9_EESK_S10_SL_SM_SN_EUlS10_E_NS1_11comp_targetILNS1_3genE5ELNS1_11target_archE942ELNS1_3gpuE9ELNS1_3repE0EEENS1_48merge_mergepath_partition_config_static_selectorELNS0_4arch9wavefront6targetE0EEEvSM_.has_recursion, 0
	.set _ZN7rocprim17ROCPRIM_400000_NS6detail17trampoline_kernelINS0_14default_configENS1_38merge_sort_block_merge_config_selectorIlNS0_10empty_typeEEEZZNS1_27merge_sort_block_merge_implIS3_PlPS5_mZN2at6native12_GLOBAL__N_124unique_dim_cuda_templateItEESt5tupleIJNSA_6TensorESF_SF_EERKSF_lbbbEUlllE_EE10hipError_tT0_T1_T2_jT3_P12ihipStream_tbPNSt15iterator_traitsISL_E10value_typeEPNSR_ISM_E10value_typeEPSN_NS1_7vsmem_tEENKUlT_SL_SM_SN_E_clIS8_S8_S9_S9_EESK_S10_SL_SM_SN_EUlS10_E_NS1_11comp_targetILNS1_3genE5ELNS1_11target_archE942ELNS1_3gpuE9ELNS1_3repE0EEENS1_48merge_mergepath_partition_config_static_selectorELNS0_4arch9wavefront6targetE0EEEvSM_.has_indirect_call, 0
	.section	.AMDGPU.csdata,"",@progbits
; Kernel info:
; codeLenInByte = 0
; TotalNumSgprs: 0
; NumVgprs: 0
; ScratchSize: 0
; MemoryBound: 0
; FloatMode: 240
; IeeeMode: 1
; LDSByteSize: 0 bytes/workgroup (compile time only)
; SGPRBlocks: 0
; VGPRBlocks: 0
; NumSGPRsForWavesPerEU: 1
; NumVGPRsForWavesPerEU: 1
; NamedBarCnt: 0
; Occupancy: 16
; WaveLimiterHint : 0
; COMPUTE_PGM_RSRC2:SCRATCH_EN: 0
; COMPUTE_PGM_RSRC2:USER_SGPR: 2
; COMPUTE_PGM_RSRC2:TRAP_HANDLER: 0
; COMPUTE_PGM_RSRC2:TGID_X_EN: 1
; COMPUTE_PGM_RSRC2:TGID_Y_EN: 0
; COMPUTE_PGM_RSRC2:TGID_Z_EN: 0
; COMPUTE_PGM_RSRC2:TIDIG_COMP_CNT: 0
	.section	.text._ZN7rocprim17ROCPRIM_400000_NS6detail17trampoline_kernelINS0_14default_configENS1_38merge_sort_block_merge_config_selectorIlNS0_10empty_typeEEEZZNS1_27merge_sort_block_merge_implIS3_PlPS5_mZN2at6native12_GLOBAL__N_124unique_dim_cuda_templateItEESt5tupleIJNSA_6TensorESF_SF_EERKSF_lbbbEUlllE_EE10hipError_tT0_T1_T2_jT3_P12ihipStream_tbPNSt15iterator_traitsISL_E10value_typeEPNSR_ISM_E10value_typeEPSN_NS1_7vsmem_tEENKUlT_SL_SM_SN_E_clIS8_S8_S9_S9_EESK_S10_SL_SM_SN_EUlS10_E_NS1_11comp_targetILNS1_3genE4ELNS1_11target_archE910ELNS1_3gpuE8ELNS1_3repE0EEENS1_48merge_mergepath_partition_config_static_selectorELNS0_4arch9wavefront6targetE0EEEvSM_,"axG",@progbits,_ZN7rocprim17ROCPRIM_400000_NS6detail17trampoline_kernelINS0_14default_configENS1_38merge_sort_block_merge_config_selectorIlNS0_10empty_typeEEEZZNS1_27merge_sort_block_merge_implIS3_PlPS5_mZN2at6native12_GLOBAL__N_124unique_dim_cuda_templateItEESt5tupleIJNSA_6TensorESF_SF_EERKSF_lbbbEUlllE_EE10hipError_tT0_T1_T2_jT3_P12ihipStream_tbPNSt15iterator_traitsISL_E10value_typeEPNSR_ISM_E10value_typeEPSN_NS1_7vsmem_tEENKUlT_SL_SM_SN_E_clIS8_S8_S9_S9_EESK_S10_SL_SM_SN_EUlS10_E_NS1_11comp_targetILNS1_3genE4ELNS1_11target_archE910ELNS1_3gpuE8ELNS1_3repE0EEENS1_48merge_mergepath_partition_config_static_selectorELNS0_4arch9wavefront6targetE0EEEvSM_,comdat
	.globl	_ZN7rocprim17ROCPRIM_400000_NS6detail17trampoline_kernelINS0_14default_configENS1_38merge_sort_block_merge_config_selectorIlNS0_10empty_typeEEEZZNS1_27merge_sort_block_merge_implIS3_PlPS5_mZN2at6native12_GLOBAL__N_124unique_dim_cuda_templateItEESt5tupleIJNSA_6TensorESF_SF_EERKSF_lbbbEUlllE_EE10hipError_tT0_T1_T2_jT3_P12ihipStream_tbPNSt15iterator_traitsISL_E10value_typeEPNSR_ISM_E10value_typeEPSN_NS1_7vsmem_tEENKUlT_SL_SM_SN_E_clIS8_S8_S9_S9_EESK_S10_SL_SM_SN_EUlS10_E_NS1_11comp_targetILNS1_3genE4ELNS1_11target_archE910ELNS1_3gpuE8ELNS1_3repE0EEENS1_48merge_mergepath_partition_config_static_selectorELNS0_4arch9wavefront6targetE0EEEvSM_ ; -- Begin function _ZN7rocprim17ROCPRIM_400000_NS6detail17trampoline_kernelINS0_14default_configENS1_38merge_sort_block_merge_config_selectorIlNS0_10empty_typeEEEZZNS1_27merge_sort_block_merge_implIS3_PlPS5_mZN2at6native12_GLOBAL__N_124unique_dim_cuda_templateItEESt5tupleIJNSA_6TensorESF_SF_EERKSF_lbbbEUlllE_EE10hipError_tT0_T1_T2_jT3_P12ihipStream_tbPNSt15iterator_traitsISL_E10value_typeEPNSR_ISM_E10value_typeEPSN_NS1_7vsmem_tEENKUlT_SL_SM_SN_E_clIS8_S8_S9_S9_EESK_S10_SL_SM_SN_EUlS10_E_NS1_11comp_targetILNS1_3genE4ELNS1_11target_archE910ELNS1_3gpuE8ELNS1_3repE0EEENS1_48merge_mergepath_partition_config_static_selectorELNS0_4arch9wavefront6targetE0EEEvSM_
	.p2align	8
	.type	_ZN7rocprim17ROCPRIM_400000_NS6detail17trampoline_kernelINS0_14default_configENS1_38merge_sort_block_merge_config_selectorIlNS0_10empty_typeEEEZZNS1_27merge_sort_block_merge_implIS3_PlPS5_mZN2at6native12_GLOBAL__N_124unique_dim_cuda_templateItEESt5tupleIJNSA_6TensorESF_SF_EERKSF_lbbbEUlllE_EE10hipError_tT0_T1_T2_jT3_P12ihipStream_tbPNSt15iterator_traitsISL_E10value_typeEPNSR_ISM_E10value_typeEPSN_NS1_7vsmem_tEENKUlT_SL_SM_SN_E_clIS8_S8_S9_S9_EESK_S10_SL_SM_SN_EUlS10_E_NS1_11comp_targetILNS1_3genE4ELNS1_11target_archE910ELNS1_3gpuE8ELNS1_3repE0EEENS1_48merge_mergepath_partition_config_static_selectorELNS0_4arch9wavefront6targetE0EEEvSM_,@function
_ZN7rocprim17ROCPRIM_400000_NS6detail17trampoline_kernelINS0_14default_configENS1_38merge_sort_block_merge_config_selectorIlNS0_10empty_typeEEEZZNS1_27merge_sort_block_merge_implIS3_PlPS5_mZN2at6native12_GLOBAL__N_124unique_dim_cuda_templateItEESt5tupleIJNSA_6TensorESF_SF_EERKSF_lbbbEUlllE_EE10hipError_tT0_T1_T2_jT3_P12ihipStream_tbPNSt15iterator_traitsISL_E10value_typeEPNSR_ISM_E10value_typeEPSN_NS1_7vsmem_tEENKUlT_SL_SM_SN_E_clIS8_S8_S9_S9_EESK_S10_SL_SM_SN_EUlS10_E_NS1_11comp_targetILNS1_3genE4ELNS1_11target_archE910ELNS1_3gpuE8ELNS1_3repE0EEENS1_48merge_mergepath_partition_config_static_selectorELNS0_4arch9wavefront6targetE0EEEvSM_: ; @_ZN7rocprim17ROCPRIM_400000_NS6detail17trampoline_kernelINS0_14default_configENS1_38merge_sort_block_merge_config_selectorIlNS0_10empty_typeEEEZZNS1_27merge_sort_block_merge_implIS3_PlPS5_mZN2at6native12_GLOBAL__N_124unique_dim_cuda_templateItEESt5tupleIJNSA_6TensorESF_SF_EERKSF_lbbbEUlllE_EE10hipError_tT0_T1_T2_jT3_P12ihipStream_tbPNSt15iterator_traitsISL_E10value_typeEPNSR_ISM_E10value_typeEPSN_NS1_7vsmem_tEENKUlT_SL_SM_SN_E_clIS8_S8_S9_S9_EESK_S10_SL_SM_SN_EUlS10_E_NS1_11comp_targetILNS1_3genE4ELNS1_11target_archE910ELNS1_3gpuE8ELNS1_3repE0EEENS1_48merge_mergepath_partition_config_static_selectorELNS0_4arch9wavefront6targetE0EEEvSM_
; %bb.0:
	.section	.rodata,"a",@progbits
	.p2align	6, 0x0
	.amdhsa_kernel _ZN7rocprim17ROCPRIM_400000_NS6detail17trampoline_kernelINS0_14default_configENS1_38merge_sort_block_merge_config_selectorIlNS0_10empty_typeEEEZZNS1_27merge_sort_block_merge_implIS3_PlPS5_mZN2at6native12_GLOBAL__N_124unique_dim_cuda_templateItEESt5tupleIJNSA_6TensorESF_SF_EERKSF_lbbbEUlllE_EE10hipError_tT0_T1_T2_jT3_P12ihipStream_tbPNSt15iterator_traitsISL_E10value_typeEPNSR_ISM_E10value_typeEPSN_NS1_7vsmem_tEENKUlT_SL_SM_SN_E_clIS8_S8_S9_S9_EESK_S10_SL_SM_SN_EUlS10_E_NS1_11comp_targetILNS1_3genE4ELNS1_11target_archE910ELNS1_3gpuE8ELNS1_3repE0EEENS1_48merge_mergepath_partition_config_static_selectorELNS0_4arch9wavefront6targetE0EEEvSM_
		.amdhsa_group_segment_fixed_size 0
		.amdhsa_private_segment_fixed_size 0
		.amdhsa_kernarg_size 56
		.amdhsa_user_sgpr_count 2
		.amdhsa_user_sgpr_dispatch_ptr 0
		.amdhsa_user_sgpr_queue_ptr 0
		.amdhsa_user_sgpr_kernarg_segment_ptr 1
		.amdhsa_user_sgpr_dispatch_id 0
		.amdhsa_user_sgpr_kernarg_preload_length 0
		.amdhsa_user_sgpr_kernarg_preload_offset 0
		.amdhsa_user_sgpr_private_segment_size 0
		.amdhsa_wavefront_size32 1
		.amdhsa_uses_dynamic_stack 0
		.amdhsa_enable_private_segment 0
		.amdhsa_system_sgpr_workgroup_id_x 1
		.amdhsa_system_sgpr_workgroup_id_y 0
		.amdhsa_system_sgpr_workgroup_id_z 0
		.amdhsa_system_sgpr_workgroup_info 0
		.amdhsa_system_vgpr_workitem_id 0
		.amdhsa_next_free_vgpr 1
		.amdhsa_next_free_sgpr 1
		.amdhsa_named_barrier_count 0
		.amdhsa_reserve_vcc 0
		.amdhsa_float_round_mode_32 0
		.amdhsa_float_round_mode_16_64 0
		.amdhsa_float_denorm_mode_32 3
		.amdhsa_float_denorm_mode_16_64 3
		.amdhsa_fp16_overflow 0
		.amdhsa_memory_ordered 1
		.amdhsa_forward_progress 1
		.amdhsa_inst_pref_size 0
		.amdhsa_round_robin_scheduling 0
		.amdhsa_exception_fp_ieee_invalid_op 0
		.amdhsa_exception_fp_denorm_src 0
		.amdhsa_exception_fp_ieee_div_zero 0
		.amdhsa_exception_fp_ieee_overflow 0
		.amdhsa_exception_fp_ieee_underflow 0
		.amdhsa_exception_fp_ieee_inexact 0
		.amdhsa_exception_int_div_zero 0
	.end_amdhsa_kernel
	.section	.text._ZN7rocprim17ROCPRIM_400000_NS6detail17trampoline_kernelINS0_14default_configENS1_38merge_sort_block_merge_config_selectorIlNS0_10empty_typeEEEZZNS1_27merge_sort_block_merge_implIS3_PlPS5_mZN2at6native12_GLOBAL__N_124unique_dim_cuda_templateItEESt5tupleIJNSA_6TensorESF_SF_EERKSF_lbbbEUlllE_EE10hipError_tT0_T1_T2_jT3_P12ihipStream_tbPNSt15iterator_traitsISL_E10value_typeEPNSR_ISM_E10value_typeEPSN_NS1_7vsmem_tEENKUlT_SL_SM_SN_E_clIS8_S8_S9_S9_EESK_S10_SL_SM_SN_EUlS10_E_NS1_11comp_targetILNS1_3genE4ELNS1_11target_archE910ELNS1_3gpuE8ELNS1_3repE0EEENS1_48merge_mergepath_partition_config_static_selectorELNS0_4arch9wavefront6targetE0EEEvSM_,"axG",@progbits,_ZN7rocprim17ROCPRIM_400000_NS6detail17trampoline_kernelINS0_14default_configENS1_38merge_sort_block_merge_config_selectorIlNS0_10empty_typeEEEZZNS1_27merge_sort_block_merge_implIS3_PlPS5_mZN2at6native12_GLOBAL__N_124unique_dim_cuda_templateItEESt5tupleIJNSA_6TensorESF_SF_EERKSF_lbbbEUlllE_EE10hipError_tT0_T1_T2_jT3_P12ihipStream_tbPNSt15iterator_traitsISL_E10value_typeEPNSR_ISM_E10value_typeEPSN_NS1_7vsmem_tEENKUlT_SL_SM_SN_E_clIS8_S8_S9_S9_EESK_S10_SL_SM_SN_EUlS10_E_NS1_11comp_targetILNS1_3genE4ELNS1_11target_archE910ELNS1_3gpuE8ELNS1_3repE0EEENS1_48merge_mergepath_partition_config_static_selectorELNS0_4arch9wavefront6targetE0EEEvSM_,comdat
.Lfunc_end1373:
	.size	_ZN7rocprim17ROCPRIM_400000_NS6detail17trampoline_kernelINS0_14default_configENS1_38merge_sort_block_merge_config_selectorIlNS0_10empty_typeEEEZZNS1_27merge_sort_block_merge_implIS3_PlPS5_mZN2at6native12_GLOBAL__N_124unique_dim_cuda_templateItEESt5tupleIJNSA_6TensorESF_SF_EERKSF_lbbbEUlllE_EE10hipError_tT0_T1_T2_jT3_P12ihipStream_tbPNSt15iterator_traitsISL_E10value_typeEPNSR_ISM_E10value_typeEPSN_NS1_7vsmem_tEENKUlT_SL_SM_SN_E_clIS8_S8_S9_S9_EESK_S10_SL_SM_SN_EUlS10_E_NS1_11comp_targetILNS1_3genE4ELNS1_11target_archE910ELNS1_3gpuE8ELNS1_3repE0EEENS1_48merge_mergepath_partition_config_static_selectorELNS0_4arch9wavefront6targetE0EEEvSM_, .Lfunc_end1373-_ZN7rocprim17ROCPRIM_400000_NS6detail17trampoline_kernelINS0_14default_configENS1_38merge_sort_block_merge_config_selectorIlNS0_10empty_typeEEEZZNS1_27merge_sort_block_merge_implIS3_PlPS5_mZN2at6native12_GLOBAL__N_124unique_dim_cuda_templateItEESt5tupleIJNSA_6TensorESF_SF_EERKSF_lbbbEUlllE_EE10hipError_tT0_T1_T2_jT3_P12ihipStream_tbPNSt15iterator_traitsISL_E10value_typeEPNSR_ISM_E10value_typeEPSN_NS1_7vsmem_tEENKUlT_SL_SM_SN_E_clIS8_S8_S9_S9_EESK_S10_SL_SM_SN_EUlS10_E_NS1_11comp_targetILNS1_3genE4ELNS1_11target_archE910ELNS1_3gpuE8ELNS1_3repE0EEENS1_48merge_mergepath_partition_config_static_selectorELNS0_4arch9wavefront6targetE0EEEvSM_
                                        ; -- End function
	.set _ZN7rocprim17ROCPRIM_400000_NS6detail17trampoline_kernelINS0_14default_configENS1_38merge_sort_block_merge_config_selectorIlNS0_10empty_typeEEEZZNS1_27merge_sort_block_merge_implIS3_PlPS5_mZN2at6native12_GLOBAL__N_124unique_dim_cuda_templateItEESt5tupleIJNSA_6TensorESF_SF_EERKSF_lbbbEUlllE_EE10hipError_tT0_T1_T2_jT3_P12ihipStream_tbPNSt15iterator_traitsISL_E10value_typeEPNSR_ISM_E10value_typeEPSN_NS1_7vsmem_tEENKUlT_SL_SM_SN_E_clIS8_S8_S9_S9_EESK_S10_SL_SM_SN_EUlS10_E_NS1_11comp_targetILNS1_3genE4ELNS1_11target_archE910ELNS1_3gpuE8ELNS1_3repE0EEENS1_48merge_mergepath_partition_config_static_selectorELNS0_4arch9wavefront6targetE0EEEvSM_.num_vgpr, 0
	.set _ZN7rocprim17ROCPRIM_400000_NS6detail17trampoline_kernelINS0_14default_configENS1_38merge_sort_block_merge_config_selectorIlNS0_10empty_typeEEEZZNS1_27merge_sort_block_merge_implIS3_PlPS5_mZN2at6native12_GLOBAL__N_124unique_dim_cuda_templateItEESt5tupleIJNSA_6TensorESF_SF_EERKSF_lbbbEUlllE_EE10hipError_tT0_T1_T2_jT3_P12ihipStream_tbPNSt15iterator_traitsISL_E10value_typeEPNSR_ISM_E10value_typeEPSN_NS1_7vsmem_tEENKUlT_SL_SM_SN_E_clIS8_S8_S9_S9_EESK_S10_SL_SM_SN_EUlS10_E_NS1_11comp_targetILNS1_3genE4ELNS1_11target_archE910ELNS1_3gpuE8ELNS1_3repE0EEENS1_48merge_mergepath_partition_config_static_selectorELNS0_4arch9wavefront6targetE0EEEvSM_.num_agpr, 0
	.set _ZN7rocprim17ROCPRIM_400000_NS6detail17trampoline_kernelINS0_14default_configENS1_38merge_sort_block_merge_config_selectorIlNS0_10empty_typeEEEZZNS1_27merge_sort_block_merge_implIS3_PlPS5_mZN2at6native12_GLOBAL__N_124unique_dim_cuda_templateItEESt5tupleIJNSA_6TensorESF_SF_EERKSF_lbbbEUlllE_EE10hipError_tT0_T1_T2_jT3_P12ihipStream_tbPNSt15iterator_traitsISL_E10value_typeEPNSR_ISM_E10value_typeEPSN_NS1_7vsmem_tEENKUlT_SL_SM_SN_E_clIS8_S8_S9_S9_EESK_S10_SL_SM_SN_EUlS10_E_NS1_11comp_targetILNS1_3genE4ELNS1_11target_archE910ELNS1_3gpuE8ELNS1_3repE0EEENS1_48merge_mergepath_partition_config_static_selectorELNS0_4arch9wavefront6targetE0EEEvSM_.numbered_sgpr, 0
	.set _ZN7rocprim17ROCPRIM_400000_NS6detail17trampoline_kernelINS0_14default_configENS1_38merge_sort_block_merge_config_selectorIlNS0_10empty_typeEEEZZNS1_27merge_sort_block_merge_implIS3_PlPS5_mZN2at6native12_GLOBAL__N_124unique_dim_cuda_templateItEESt5tupleIJNSA_6TensorESF_SF_EERKSF_lbbbEUlllE_EE10hipError_tT0_T1_T2_jT3_P12ihipStream_tbPNSt15iterator_traitsISL_E10value_typeEPNSR_ISM_E10value_typeEPSN_NS1_7vsmem_tEENKUlT_SL_SM_SN_E_clIS8_S8_S9_S9_EESK_S10_SL_SM_SN_EUlS10_E_NS1_11comp_targetILNS1_3genE4ELNS1_11target_archE910ELNS1_3gpuE8ELNS1_3repE0EEENS1_48merge_mergepath_partition_config_static_selectorELNS0_4arch9wavefront6targetE0EEEvSM_.num_named_barrier, 0
	.set _ZN7rocprim17ROCPRIM_400000_NS6detail17trampoline_kernelINS0_14default_configENS1_38merge_sort_block_merge_config_selectorIlNS0_10empty_typeEEEZZNS1_27merge_sort_block_merge_implIS3_PlPS5_mZN2at6native12_GLOBAL__N_124unique_dim_cuda_templateItEESt5tupleIJNSA_6TensorESF_SF_EERKSF_lbbbEUlllE_EE10hipError_tT0_T1_T2_jT3_P12ihipStream_tbPNSt15iterator_traitsISL_E10value_typeEPNSR_ISM_E10value_typeEPSN_NS1_7vsmem_tEENKUlT_SL_SM_SN_E_clIS8_S8_S9_S9_EESK_S10_SL_SM_SN_EUlS10_E_NS1_11comp_targetILNS1_3genE4ELNS1_11target_archE910ELNS1_3gpuE8ELNS1_3repE0EEENS1_48merge_mergepath_partition_config_static_selectorELNS0_4arch9wavefront6targetE0EEEvSM_.private_seg_size, 0
	.set _ZN7rocprim17ROCPRIM_400000_NS6detail17trampoline_kernelINS0_14default_configENS1_38merge_sort_block_merge_config_selectorIlNS0_10empty_typeEEEZZNS1_27merge_sort_block_merge_implIS3_PlPS5_mZN2at6native12_GLOBAL__N_124unique_dim_cuda_templateItEESt5tupleIJNSA_6TensorESF_SF_EERKSF_lbbbEUlllE_EE10hipError_tT0_T1_T2_jT3_P12ihipStream_tbPNSt15iterator_traitsISL_E10value_typeEPNSR_ISM_E10value_typeEPSN_NS1_7vsmem_tEENKUlT_SL_SM_SN_E_clIS8_S8_S9_S9_EESK_S10_SL_SM_SN_EUlS10_E_NS1_11comp_targetILNS1_3genE4ELNS1_11target_archE910ELNS1_3gpuE8ELNS1_3repE0EEENS1_48merge_mergepath_partition_config_static_selectorELNS0_4arch9wavefront6targetE0EEEvSM_.uses_vcc, 0
	.set _ZN7rocprim17ROCPRIM_400000_NS6detail17trampoline_kernelINS0_14default_configENS1_38merge_sort_block_merge_config_selectorIlNS0_10empty_typeEEEZZNS1_27merge_sort_block_merge_implIS3_PlPS5_mZN2at6native12_GLOBAL__N_124unique_dim_cuda_templateItEESt5tupleIJNSA_6TensorESF_SF_EERKSF_lbbbEUlllE_EE10hipError_tT0_T1_T2_jT3_P12ihipStream_tbPNSt15iterator_traitsISL_E10value_typeEPNSR_ISM_E10value_typeEPSN_NS1_7vsmem_tEENKUlT_SL_SM_SN_E_clIS8_S8_S9_S9_EESK_S10_SL_SM_SN_EUlS10_E_NS1_11comp_targetILNS1_3genE4ELNS1_11target_archE910ELNS1_3gpuE8ELNS1_3repE0EEENS1_48merge_mergepath_partition_config_static_selectorELNS0_4arch9wavefront6targetE0EEEvSM_.uses_flat_scratch, 0
	.set _ZN7rocprim17ROCPRIM_400000_NS6detail17trampoline_kernelINS0_14default_configENS1_38merge_sort_block_merge_config_selectorIlNS0_10empty_typeEEEZZNS1_27merge_sort_block_merge_implIS3_PlPS5_mZN2at6native12_GLOBAL__N_124unique_dim_cuda_templateItEESt5tupleIJNSA_6TensorESF_SF_EERKSF_lbbbEUlllE_EE10hipError_tT0_T1_T2_jT3_P12ihipStream_tbPNSt15iterator_traitsISL_E10value_typeEPNSR_ISM_E10value_typeEPSN_NS1_7vsmem_tEENKUlT_SL_SM_SN_E_clIS8_S8_S9_S9_EESK_S10_SL_SM_SN_EUlS10_E_NS1_11comp_targetILNS1_3genE4ELNS1_11target_archE910ELNS1_3gpuE8ELNS1_3repE0EEENS1_48merge_mergepath_partition_config_static_selectorELNS0_4arch9wavefront6targetE0EEEvSM_.has_dyn_sized_stack, 0
	.set _ZN7rocprim17ROCPRIM_400000_NS6detail17trampoline_kernelINS0_14default_configENS1_38merge_sort_block_merge_config_selectorIlNS0_10empty_typeEEEZZNS1_27merge_sort_block_merge_implIS3_PlPS5_mZN2at6native12_GLOBAL__N_124unique_dim_cuda_templateItEESt5tupleIJNSA_6TensorESF_SF_EERKSF_lbbbEUlllE_EE10hipError_tT0_T1_T2_jT3_P12ihipStream_tbPNSt15iterator_traitsISL_E10value_typeEPNSR_ISM_E10value_typeEPSN_NS1_7vsmem_tEENKUlT_SL_SM_SN_E_clIS8_S8_S9_S9_EESK_S10_SL_SM_SN_EUlS10_E_NS1_11comp_targetILNS1_3genE4ELNS1_11target_archE910ELNS1_3gpuE8ELNS1_3repE0EEENS1_48merge_mergepath_partition_config_static_selectorELNS0_4arch9wavefront6targetE0EEEvSM_.has_recursion, 0
	.set _ZN7rocprim17ROCPRIM_400000_NS6detail17trampoline_kernelINS0_14default_configENS1_38merge_sort_block_merge_config_selectorIlNS0_10empty_typeEEEZZNS1_27merge_sort_block_merge_implIS3_PlPS5_mZN2at6native12_GLOBAL__N_124unique_dim_cuda_templateItEESt5tupleIJNSA_6TensorESF_SF_EERKSF_lbbbEUlllE_EE10hipError_tT0_T1_T2_jT3_P12ihipStream_tbPNSt15iterator_traitsISL_E10value_typeEPNSR_ISM_E10value_typeEPSN_NS1_7vsmem_tEENKUlT_SL_SM_SN_E_clIS8_S8_S9_S9_EESK_S10_SL_SM_SN_EUlS10_E_NS1_11comp_targetILNS1_3genE4ELNS1_11target_archE910ELNS1_3gpuE8ELNS1_3repE0EEENS1_48merge_mergepath_partition_config_static_selectorELNS0_4arch9wavefront6targetE0EEEvSM_.has_indirect_call, 0
	.section	.AMDGPU.csdata,"",@progbits
; Kernel info:
; codeLenInByte = 0
; TotalNumSgprs: 0
; NumVgprs: 0
; ScratchSize: 0
; MemoryBound: 0
; FloatMode: 240
; IeeeMode: 1
; LDSByteSize: 0 bytes/workgroup (compile time only)
; SGPRBlocks: 0
; VGPRBlocks: 0
; NumSGPRsForWavesPerEU: 1
; NumVGPRsForWavesPerEU: 1
; NamedBarCnt: 0
; Occupancy: 16
; WaveLimiterHint : 0
; COMPUTE_PGM_RSRC2:SCRATCH_EN: 0
; COMPUTE_PGM_RSRC2:USER_SGPR: 2
; COMPUTE_PGM_RSRC2:TRAP_HANDLER: 0
; COMPUTE_PGM_RSRC2:TGID_X_EN: 1
; COMPUTE_PGM_RSRC2:TGID_Y_EN: 0
; COMPUTE_PGM_RSRC2:TGID_Z_EN: 0
; COMPUTE_PGM_RSRC2:TIDIG_COMP_CNT: 0
	.section	.text._ZN7rocprim17ROCPRIM_400000_NS6detail17trampoline_kernelINS0_14default_configENS1_38merge_sort_block_merge_config_selectorIlNS0_10empty_typeEEEZZNS1_27merge_sort_block_merge_implIS3_PlPS5_mZN2at6native12_GLOBAL__N_124unique_dim_cuda_templateItEESt5tupleIJNSA_6TensorESF_SF_EERKSF_lbbbEUlllE_EE10hipError_tT0_T1_T2_jT3_P12ihipStream_tbPNSt15iterator_traitsISL_E10value_typeEPNSR_ISM_E10value_typeEPSN_NS1_7vsmem_tEENKUlT_SL_SM_SN_E_clIS8_S8_S9_S9_EESK_S10_SL_SM_SN_EUlS10_E_NS1_11comp_targetILNS1_3genE3ELNS1_11target_archE908ELNS1_3gpuE7ELNS1_3repE0EEENS1_48merge_mergepath_partition_config_static_selectorELNS0_4arch9wavefront6targetE0EEEvSM_,"axG",@progbits,_ZN7rocprim17ROCPRIM_400000_NS6detail17trampoline_kernelINS0_14default_configENS1_38merge_sort_block_merge_config_selectorIlNS0_10empty_typeEEEZZNS1_27merge_sort_block_merge_implIS3_PlPS5_mZN2at6native12_GLOBAL__N_124unique_dim_cuda_templateItEESt5tupleIJNSA_6TensorESF_SF_EERKSF_lbbbEUlllE_EE10hipError_tT0_T1_T2_jT3_P12ihipStream_tbPNSt15iterator_traitsISL_E10value_typeEPNSR_ISM_E10value_typeEPSN_NS1_7vsmem_tEENKUlT_SL_SM_SN_E_clIS8_S8_S9_S9_EESK_S10_SL_SM_SN_EUlS10_E_NS1_11comp_targetILNS1_3genE3ELNS1_11target_archE908ELNS1_3gpuE7ELNS1_3repE0EEENS1_48merge_mergepath_partition_config_static_selectorELNS0_4arch9wavefront6targetE0EEEvSM_,comdat
	.globl	_ZN7rocprim17ROCPRIM_400000_NS6detail17trampoline_kernelINS0_14default_configENS1_38merge_sort_block_merge_config_selectorIlNS0_10empty_typeEEEZZNS1_27merge_sort_block_merge_implIS3_PlPS5_mZN2at6native12_GLOBAL__N_124unique_dim_cuda_templateItEESt5tupleIJNSA_6TensorESF_SF_EERKSF_lbbbEUlllE_EE10hipError_tT0_T1_T2_jT3_P12ihipStream_tbPNSt15iterator_traitsISL_E10value_typeEPNSR_ISM_E10value_typeEPSN_NS1_7vsmem_tEENKUlT_SL_SM_SN_E_clIS8_S8_S9_S9_EESK_S10_SL_SM_SN_EUlS10_E_NS1_11comp_targetILNS1_3genE3ELNS1_11target_archE908ELNS1_3gpuE7ELNS1_3repE0EEENS1_48merge_mergepath_partition_config_static_selectorELNS0_4arch9wavefront6targetE0EEEvSM_ ; -- Begin function _ZN7rocprim17ROCPRIM_400000_NS6detail17trampoline_kernelINS0_14default_configENS1_38merge_sort_block_merge_config_selectorIlNS0_10empty_typeEEEZZNS1_27merge_sort_block_merge_implIS3_PlPS5_mZN2at6native12_GLOBAL__N_124unique_dim_cuda_templateItEESt5tupleIJNSA_6TensorESF_SF_EERKSF_lbbbEUlllE_EE10hipError_tT0_T1_T2_jT3_P12ihipStream_tbPNSt15iterator_traitsISL_E10value_typeEPNSR_ISM_E10value_typeEPSN_NS1_7vsmem_tEENKUlT_SL_SM_SN_E_clIS8_S8_S9_S9_EESK_S10_SL_SM_SN_EUlS10_E_NS1_11comp_targetILNS1_3genE3ELNS1_11target_archE908ELNS1_3gpuE7ELNS1_3repE0EEENS1_48merge_mergepath_partition_config_static_selectorELNS0_4arch9wavefront6targetE0EEEvSM_
	.p2align	8
	.type	_ZN7rocprim17ROCPRIM_400000_NS6detail17trampoline_kernelINS0_14default_configENS1_38merge_sort_block_merge_config_selectorIlNS0_10empty_typeEEEZZNS1_27merge_sort_block_merge_implIS3_PlPS5_mZN2at6native12_GLOBAL__N_124unique_dim_cuda_templateItEESt5tupleIJNSA_6TensorESF_SF_EERKSF_lbbbEUlllE_EE10hipError_tT0_T1_T2_jT3_P12ihipStream_tbPNSt15iterator_traitsISL_E10value_typeEPNSR_ISM_E10value_typeEPSN_NS1_7vsmem_tEENKUlT_SL_SM_SN_E_clIS8_S8_S9_S9_EESK_S10_SL_SM_SN_EUlS10_E_NS1_11comp_targetILNS1_3genE3ELNS1_11target_archE908ELNS1_3gpuE7ELNS1_3repE0EEENS1_48merge_mergepath_partition_config_static_selectorELNS0_4arch9wavefront6targetE0EEEvSM_,@function
_ZN7rocprim17ROCPRIM_400000_NS6detail17trampoline_kernelINS0_14default_configENS1_38merge_sort_block_merge_config_selectorIlNS0_10empty_typeEEEZZNS1_27merge_sort_block_merge_implIS3_PlPS5_mZN2at6native12_GLOBAL__N_124unique_dim_cuda_templateItEESt5tupleIJNSA_6TensorESF_SF_EERKSF_lbbbEUlllE_EE10hipError_tT0_T1_T2_jT3_P12ihipStream_tbPNSt15iterator_traitsISL_E10value_typeEPNSR_ISM_E10value_typeEPSN_NS1_7vsmem_tEENKUlT_SL_SM_SN_E_clIS8_S8_S9_S9_EESK_S10_SL_SM_SN_EUlS10_E_NS1_11comp_targetILNS1_3genE3ELNS1_11target_archE908ELNS1_3gpuE7ELNS1_3repE0EEENS1_48merge_mergepath_partition_config_static_selectorELNS0_4arch9wavefront6targetE0EEEvSM_: ; @_ZN7rocprim17ROCPRIM_400000_NS6detail17trampoline_kernelINS0_14default_configENS1_38merge_sort_block_merge_config_selectorIlNS0_10empty_typeEEEZZNS1_27merge_sort_block_merge_implIS3_PlPS5_mZN2at6native12_GLOBAL__N_124unique_dim_cuda_templateItEESt5tupleIJNSA_6TensorESF_SF_EERKSF_lbbbEUlllE_EE10hipError_tT0_T1_T2_jT3_P12ihipStream_tbPNSt15iterator_traitsISL_E10value_typeEPNSR_ISM_E10value_typeEPSN_NS1_7vsmem_tEENKUlT_SL_SM_SN_E_clIS8_S8_S9_S9_EESK_S10_SL_SM_SN_EUlS10_E_NS1_11comp_targetILNS1_3genE3ELNS1_11target_archE908ELNS1_3gpuE7ELNS1_3repE0EEENS1_48merge_mergepath_partition_config_static_selectorELNS0_4arch9wavefront6targetE0EEEvSM_
; %bb.0:
	.section	.rodata,"a",@progbits
	.p2align	6, 0x0
	.amdhsa_kernel _ZN7rocprim17ROCPRIM_400000_NS6detail17trampoline_kernelINS0_14default_configENS1_38merge_sort_block_merge_config_selectorIlNS0_10empty_typeEEEZZNS1_27merge_sort_block_merge_implIS3_PlPS5_mZN2at6native12_GLOBAL__N_124unique_dim_cuda_templateItEESt5tupleIJNSA_6TensorESF_SF_EERKSF_lbbbEUlllE_EE10hipError_tT0_T1_T2_jT3_P12ihipStream_tbPNSt15iterator_traitsISL_E10value_typeEPNSR_ISM_E10value_typeEPSN_NS1_7vsmem_tEENKUlT_SL_SM_SN_E_clIS8_S8_S9_S9_EESK_S10_SL_SM_SN_EUlS10_E_NS1_11comp_targetILNS1_3genE3ELNS1_11target_archE908ELNS1_3gpuE7ELNS1_3repE0EEENS1_48merge_mergepath_partition_config_static_selectorELNS0_4arch9wavefront6targetE0EEEvSM_
		.amdhsa_group_segment_fixed_size 0
		.amdhsa_private_segment_fixed_size 0
		.amdhsa_kernarg_size 56
		.amdhsa_user_sgpr_count 2
		.amdhsa_user_sgpr_dispatch_ptr 0
		.amdhsa_user_sgpr_queue_ptr 0
		.amdhsa_user_sgpr_kernarg_segment_ptr 1
		.amdhsa_user_sgpr_dispatch_id 0
		.amdhsa_user_sgpr_kernarg_preload_length 0
		.amdhsa_user_sgpr_kernarg_preload_offset 0
		.amdhsa_user_sgpr_private_segment_size 0
		.amdhsa_wavefront_size32 1
		.amdhsa_uses_dynamic_stack 0
		.amdhsa_enable_private_segment 0
		.amdhsa_system_sgpr_workgroup_id_x 1
		.amdhsa_system_sgpr_workgroup_id_y 0
		.amdhsa_system_sgpr_workgroup_id_z 0
		.amdhsa_system_sgpr_workgroup_info 0
		.amdhsa_system_vgpr_workitem_id 0
		.amdhsa_next_free_vgpr 1
		.amdhsa_next_free_sgpr 1
		.amdhsa_named_barrier_count 0
		.amdhsa_reserve_vcc 0
		.amdhsa_float_round_mode_32 0
		.amdhsa_float_round_mode_16_64 0
		.amdhsa_float_denorm_mode_32 3
		.amdhsa_float_denorm_mode_16_64 3
		.amdhsa_fp16_overflow 0
		.amdhsa_memory_ordered 1
		.amdhsa_forward_progress 1
		.amdhsa_inst_pref_size 0
		.amdhsa_round_robin_scheduling 0
		.amdhsa_exception_fp_ieee_invalid_op 0
		.amdhsa_exception_fp_denorm_src 0
		.amdhsa_exception_fp_ieee_div_zero 0
		.amdhsa_exception_fp_ieee_overflow 0
		.amdhsa_exception_fp_ieee_underflow 0
		.amdhsa_exception_fp_ieee_inexact 0
		.amdhsa_exception_int_div_zero 0
	.end_amdhsa_kernel
	.section	.text._ZN7rocprim17ROCPRIM_400000_NS6detail17trampoline_kernelINS0_14default_configENS1_38merge_sort_block_merge_config_selectorIlNS0_10empty_typeEEEZZNS1_27merge_sort_block_merge_implIS3_PlPS5_mZN2at6native12_GLOBAL__N_124unique_dim_cuda_templateItEESt5tupleIJNSA_6TensorESF_SF_EERKSF_lbbbEUlllE_EE10hipError_tT0_T1_T2_jT3_P12ihipStream_tbPNSt15iterator_traitsISL_E10value_typeEPNSR_ISM_E10value_typeEPSN_NS1_7vsmem_tEENKUlT_SL_SM_SN_E_clIS8_S8_S9_S9_EESK_S10_SL_SM_SN_EUlS10_E_NS1_11comp_targetILNS1_3genE3ELNS1_11target_archE908ELNS1_3gpuE7ELNS1_3repE0EEENS1_48merge_mergepath_partition_config_static_selectorELNS0_4arch9wavefront6targetE0EEEvSM_,"axG",@progbits,_ZN7rocprim17ROCPRIM_400000_NS6detail17trampoline_kernelINS0_14default_configENS1_38merge_sort_block_merge_config_selectorIlNS0_10empty_typeEEEZZNS1_27merge_sort_block_merge_implIS3_PlPS5_mZN2at6native12_GLOBAL__N_124unique_dim_cuda_templateItEESt5tupleIJNSA_6TensorESF_SF_EERKSF_lbbbEUlllE_EE10hipError_tT0_T1_T2_jT3_P12ihipStream_tbPNSt15iterator_traitsISL_E10value_typeEPNSR_ISM_E10value_typeEPSN_NS1_7vsmem_tEENKUlT_SL_SM_SN_E_clIS8_S8_S9_S9_EESK_S10_SL_SM_SN_EUlS10_E_NS1_11comp_targetILNS1_3genE3ELNS1_11target_archE908ELNS1_3gpuE7ELNS1_3repE0EEENS1_48merge_mergepath_partition_config_static_selectorELNS0_4arch9wavefront6targetE0EEEvSM_,comdat
.Lfunc_end1374:
	.size	_ZN7rocprim17ROCPRIM_400000_NS6detail17trampoline_kernelINS0_14default_configENS1_38merge_sort_block_merge_config_selectorIlNS0_10empty_typeEEEZZNS1_27merge_sort_block_merge_implIS3_PlPS5_mZN2at6native12_GLOBAL__N_124unique_dim_cuda_templateItEESt5tupleIJNSA_6TensorESF_SF_EERKSF_lbbbEUlllE_EE10hipError_tT0_T1_T2_jT3_P12ihipStream_tbPNSt15iterator_traitsISL_E10value_typeEPNSR_ISM_E10value_typeEPSN_NS1_7vsmem_tEENKUlT_SL_SM_SN_E_clIS8_S8_S9_S9_EESK_S10_SL_SM_SN_EUlS10_E_NS1_11comp_targetILNS1_3genE3ELNS1_11target_archE908ELNS1_3gpuE7ELNS1_3repE0EEENS1_48merge_mergepath_partition_config_static_selectorELNS0_4arch9wavefront6targetE0EEEvSM_, .Lfunc_end1374-_ZN7rocprim17ROCPRIM_400000_NS6detail17trampoline_kernelINS0_14default_configENS1_38merge_sort_block_merge_config_selectorIlNS0_10empty_typeEEEZZNS1_27merge_sort_block_merge_implIS3_PlPS5_mZN2at6native12_GLOBAL__N_124unique_dim_cuda_templateItEESt5tupleIJNSA_6TensorESF_SF_EERKSF_lbbbEUlllE_EE10hipError_tT0_T1_T2_jT3_P12ihipStream_tbPNSt15iterator_traitsISL_E10value_typeEPNSR_ISM_E10value_typeEPSN_NS1_7vsmem_tEENKUlT_SL_SM_SN_E_clIS8_S8_S9_S9_EESK_S10_SL_SM_SN_EUlS10_E_NS1_11comp_targetILNS1_3genE3ELNS1_11target_archE908ELNS1_3gpuE7ELNS1_3repE0EEENS1_48merge_mergepath_partition_config_static_selectorELNS0_4arch9wavefront6targetE0EEEvSM_
                                        ; -- End function
	.set _ZN7rocprim17ROCPRIM_400000_NS6detail17trampoline_kernelINS0_14default_configENS1_38merge_sort_block_merge_config_selectorIlNS0_10empty_typeEEEZZNS1_27merge_sort_block_merge_implIS3_PlPS5_mZN2at6native12_GLOBAL__N_124unique_dim_cuda_templateItEESt5tupleIJNSA_6TensorESF_SF_EERKSF_lbbbEUlllE_EE10hipError_tT0_T1_T2_jT3_P12ihipStream_tbPNSt15iterator_traitsISL_E10value_typeEPNSR_ISM_E10value_typeEPSN_NS1_7vsmem_tEENKUlT_SL_SM_SN_E_clIS8_S8_S9_S9_EESK_S10_SL_SM_SN_EUlS10_E_NS1_11comp_targetILNS1_3genE3ELNS1_11target_archE908ELNS1_3gpuE7ELNS1_3repE0EEENS1_48merge_mergepath_partition_config_static_selectorELNS0_4arch9wavefront6targetE0EEEvSM_.num_vgpr, 0
	.set _ZN7rocprim17ROCPRIM_400000_NS6detail17trampoline_kernelINS0_14default_configENS1_38merge_sort_block_merge_config_selectorIlNS0_10empty_typeEEEZZNS1_27merge_sort_block_merge_implIS3_PlPS5_mZN2at6native12_GLOBAL__N_124unique_dim_cuda_templateItEESt5tupleIJNSA_6TensorESF_SF_EERKSF_lbbbEUlllE_EE10hipError_tT0_T1_T2_jT3_P12ihipStream_tbPNSt15iterator_traitsISL_E10value_typeEPNSR_ISM_E10value_typeEPSN_NS1_7vsmem_tEENKUlT_SL_SM_SN_E_clIS8_S8_S9_S9_EESK_S10_SL_SM_SN_EUlS10_E_NS1_11comp_targetILNS1_3genE3ELNS1_11target_archE908ELNS1_3gpuE7ELNS1_3repE0EEENS1_48merge_mergepath_partition_config_static_selectorELNS0_4arch9wavefront6targetE0EEEvSM_.num_agpr, 0
	.set _ZN7rocprim17ROCPRIM_400000_NS6detail17trampoline_kernelINS0_14default_configENS1_38merge_sort_block_merge_config_selectorIlNS0_10empty_typeEEEZZNS1_27merge_sort_block_merge_implIS3_PlPS5_mZN2at6native12_GLOBAL__N_124unique_dim_cuda_templateItEESt5tupleIJNSA_6TensorESF_SF_EERKSF_lbbbEUlllE_EE10hipError_tT0_T1_T2_jT3_P12ihipStream_tbPNSt15iterator_traitsISL_E10value_typeEPNSR_ISM_E10value_typeEPSN_NS1_7vsmem_tEENKUlT_SL_SM_SN_E_clIS8_S8_S9_S9_EESK_S10_SL_SM_SN_EUlS10_E_NS1_11comp_targetILNS1_3genE3ELNS1_11target_archE908ELNS1_3gpuE7ELNS1_3repE0EEENS1_48merge_mergepath_partition_config_static_selectorELNS0_4arch9wavefront6targetE0EEEvSM_.numbered_sgpr, 0
	.set _ZN7rocprim17ROCPRIM_400000_NS6detail17trampoline_kernelINS0_14default_configENS1_38merge_sort_block_merge_config_selectorIlNS0_10empty_typeEEEZZNS1_27merge_sort_block_merge_implIS3_PlPS5_mZN2at6native12_GLOBAL__N_124unique_dim_cuda_templateItEESt5tupleIJNSA_6TensorESF_SF_EERKSF_lbbbEUlllE_EE10hipError_tT0_T1_T2_jT3_P12ihipStream_tbPNSt15iterator_traitsISL_E10value_typeEPNSR_ISM_E10value_typeEPSN_NS1_7vsmem_tEENKUlT_SL_SM_SN_E_clIS8_S8_S9_S9_EESK_S10_SL_SM_SN_EUlS10_E_NS1_11comp_targetILNS1_3genE3ELNS1_11target_archE908ELNS1_3gpuE7ELNS1_3repE0EEENS1_48merge_mergepath_partition_config_static_selectorELNS0_4arch9wavefront6targetE0EEEvSM_.num_named_barrier, 0
	.set _ZN7rocprim17ROCPRIM_400000_NS6detail17trampoline_kernelINS0_14default_configENS1_38merge_sort_block_merge_config_selectorIlNS0_10empty_typeEEEZZNS1_27merge_sort_block_merge_implIS3_PlPS5_mZN2at6native12_GLOBAL__N_124unique_dim_cuda_templateItEESt5tupleIJNSA_6TensorESF_SF_EERKSF_lbbbEUlllE_EE10hipError_tT0_T1_T2_jT3_P12ihipStream_tbPNSt15iterator_traitsISL_E10value_typeEPNSR_ISM_E10value_typeEPSN_NS1_7vsmem_tEENKUlT_SL_SM_SN_E_clIS8_S8_S9_S9_EESK_S10_SL_SM_SN_EUlS10_E_NS1_11comp_targetILNS1_3genE3ELNS1_11target_archE908ELNS1_3gpuE7ELNS1_3repE0EEENS1_48merge_mergepath_partition_config_static_selectorELNS0_4arch9wavefront6targetE0EEEvSM_.private_seg_size, 0
	.set _ZN7rocprim17ROCPRIM_400000_NS6detail17trampoline_kernelINS0_14default_configENS1_38merge_sort_block_merge_config_selectorIlNS0_10empty_typeEEEZZNS1_27merge_sort_block_merge_implIS3_PlPS5_mZN2at6native12_GLOBAL__N_124unique_dim_cuda_templateItEESt5tupleIJNSA_6TensorESF_SF_EERKSF_lbbbEUlllE_EE10hipError_tT0_T1_T2_jT3_P12ihipStream_tbPNSt15iterator_traitsISL_E10value_typeEPNSR_ISM_E10value_typeEPSN_NS1_7vsmem_tEENKUlT_SL_SM_SN_E_clIS8_S8_S9_S9_EESK_S10_SL_SM_SN_EUlS10_E_NS1_11comp_targetILNS1_3genE3ELNS1_11target_archE908ELNS1_3gpuE7ELNS1_3repE0EEENS1_48merge_mergepath_partition_config_static_selectorELNS0_4arch9wavefront6targetE0EEEvSM_.uses_vcc, 0
	.set _ZN7rocprim17ROCPRIM_400000_NS6detail17trampoline_kernelINS0_14default_configENS1_38merge_sort_block_merge_config_selectorIlNS0_10empty_typeEEEZZNS1_27merge_sort_block_merge_implIS3_PlPS5_mZN2at6native12_GLOBAL__N_124unique_dim_cuda_templateItEESt5tupleIJNSA_6TensorESF_SF_EERKSF_lbbbEUlllE_EE10hipError_tT0_T1_T2_jT3_P12ihipStream_tbPNSt15iterator_traitsISL_E10value_typeEPNSR_ISM_E10value_typeEPSN_NS1_7vsmem_tEENKUlT_SL_SM_SN_E_clIS8_S8_S9_S9_EESK_S10_SL_SM_SN_EUlS10_E_NS1_11comp_targetILNS1_3genE3ELNS1_11target_archE908ELNS1_3gpuE7ELNS1_3repE0EEENS1_48merge_mergepath_partition_config_static_selectorELNS0_4arch9wavefront6targetE0EEEvSM_.uses_flat_scratch, 0
	.set _ZN7rocprim17ROCPRIM_400000_NS6detail17trampoline_kernelINS0_14default_configENS1_38merge_sort_block_merge_config_selectorIlNS0_10empty_typeEEEZZNS1_27merge_sort_block_merge_implIS3_PlPS5_mZN2at6native12_GLOBAL__N_124unique_dim_cuda_templateItEESt5tupleIJNSA_6TensorESF_SF_EERKSF_lbbbEUlllE_EE10hipError_tT0_T1_T2_jT3_P12ihipStream_tbPNSt15iterator_traitsISL_E10value_typeEPNSR_ISM_E10value_typeEPSN_NS1_7vsmem_tEENKUlT_SL_SM_SN_E_clIS8_S8_S9_S9_EESK_S10_SL_SM_SN_EUlS10_E_NS1_11comp_targetILNS1_3genE3ELNS1_11target_archE908ELNS1_3gpuE7ELNS1_3repE0EEENS1_48merge_mergepath_partition_config_static_selectorELNS0_4arch9wavefront6targetE0EEEvSM_.has_dyn_sized_stack, 0
	.set _ZN7rocprim17ROCPRIM_400000_NS6detail17trampoline_kernelINS0_14default_configENS1_38merge_sort_block_merge_config_selectorIlNS0_10empty_typeEEEZZNS1_27merge_sort_block_merge_implIS3_PlPS5_mZN2at6native12_GLOBAL__N_124unique_dim_cuda_templateItEESt5tupleIJNSA_6TensorESF_SF_EERKSF_lbbbEUlllE_EE10hipError_tT0_T1_T2_jT3_P12ihipStream_tbPNSt15iterator_traitsISL_E10value_typeEPNSR_ISM_E10value_typeEPSN_NS1_7vsmem_tEENKUlT_SL_SM_SN_E_clIS8_S8_S9_S9_EESK_S10_SL_SM_SN_EUlS10_E_NS1_11comp_targetILNS1_3genE3ELNS1_11target_archE908ELNS1_3gpuE7ELNS1_3repE0EEENS1_48merge_mergepath_partition_config_static_selectorELNS0_4arch9wavefront6targetE0EEEvSM_.has_recursion, 0
	.set _ZN7rocprim17ROCPRIM_400000_NS6detail17trampoline_kernelINS0_14default_configENS1_38merge_sort_block_merge_config_selectorIlNS0_10empty_typeEEEZZNS1_27merge_sort_block_merge_implIS3_PlPS5_mZN2at6native12_GLOBAL__N_124unique_dim_cuda_templateItEESt5tupleIJNSA_6TensorESF_SF_EERKSF_lbbbEUlllE_EE10hipError_tT0_T1_T2_jT3_P12ihipStream_tbPNSt15iterator_traitsISL_E10value_typeEPNSR_ISM_E10value_typeEPSN_NS1_7vsmem_tEENKUlT_SL_SM_SN_E_clIS8_S8_S9_S9_EESK_S10_SL_SM_SN_EUlS10_E_NS1_11comp_targetILNS1_3genE3ELNS1_11target_archE908ELNS1_3gpuE7ELNS1_3repE0EEENS1_48merge_mergepath_partition_config_static_selectorELNS0_4arch9wavefront6targetE0EEEvSM_.has_indirect_call, 0
	.section	.AMDGPU.csdata,"",@progbits
; Kernel info:
; codeLenInByte = 0
; TotalNumSgprs: 0
; NumVgprs: 0
; ScratchSize: 0
; MemoryBound: 0
; FloatMode: 240
; IeeeMode: 1
; LDSByteSize: 0 bytes/workgroup (compile time only)
; SGPRBlocks: 0
; VGPRBlocks: 0
; NumSGPRsForWavesPerEU: 1
; NumVGPRsForWavesPerEU: 1
; NamedBarCnt: 0
; Occupancy: 16
; WaveLimiterHint : 0
; COMPUTE_PGM_RSRC2:SCRATCH_EN: 0
; COMPUTE_PGM_RSRC2:USER_SGPR: 2
; COMPUTE_PGM_RSRC2:TRAP_HANDLER: 0
; COMPUTE_PGM_RSRC2:TGID_X_EN: 1
; COMPUTE_PGM_RSRC2:TGID_Y_EN: 0
; COMPUTE_PGM_RSRC2:TGID_Z_EN: 0
; COMPUTE_PGM_RSRC2:TIDIG_COMP_CNT: 0
	.section	.text._ZN7rocprim17ROCPRIM_400000_NS6detail17trampoline_kernelINS0_14default_configENS1_38merge_sort_block_merge_config_selectorIlNS0_10empty_typeEEEZZNS1_27merge_sort_block_merge_implIS3_PlPS5_mZN2at6native12_GLOBAL__N_124unique_dim_cuda_templateItEESt5tupleIJNSA_6TensorESF_SF_EERKSF_lbbbEUlllE_EE10hipError_tT0_T1_T2_jT3_P12ihipStream_tbPNSt15iterator_traitsISL_E10value_typeEPNSR_ISM_E10value_typeEPSN_NS1_7vsmem_tEENKUlT_SL_SM_SN_E_clIS8_S8_S9_S9_EESK_S10_SL_SM_SN_EUlS10_E_NS1_11comp_targetILNS1_3genE2ELNS1_11target_archE906ELNS1_3gpuE6ELNS1_3repE0EEENS1_48merge_mergepath_partition_config_static_selectorELNS0_4arch9wavefront6targetE0EEEvSM_,"axG",@progbits,_ZN7rocprim17ROCPRIM_400000_NS6detail17trampoline_kernelINS0_14default_configENS1_38merge_sort_block_merge_config_selectorIlNS0_10empty_typeEEEZZNS1_27merge_sort_block_merge_implIS3_PlPS5_mZN2at6native12_GLOBAL__N_124unique_dim_cuda_templateItEESt5tupleIJNSA_6TensorESF_SF_EERKSF_lbbbEUlllE_EE10hipError_tT0_T1_T2_jT3_P12ihipStream_tbPNSt15iterator_traitsISL_E10value_typeEPNSR_ISM_E10value_typeEPSN_NS1_7vsmem_tEENKUlT_SL_SM_SN_E_clIS8_S8_S9_S9_EESK_S10_SL_SM_SN_EUlS10_E_NS1_11comp_targetILNS1_3genE2ELNS1_11target_archE906ELNS1_3gpuE6ELNS1_3repE0EEENS1_48merge_mergepath_partition_config_static_selectorELNS0_4arch9wavefront6targetE0EEEvSM_,comdat
	.globl	_ZN7rocprim17ROCPRIM_400000_NS6detail17trampoline_kernelINS0_14default_configENS1_38merge_sort_block_merge_config_selectorIlNS0_10empty_typeEEEZZNS1_27merge_sort_block_merge_implIS3_PlPS5_mZN2at6native12_GLOBAL__N_124unique_dim_cuda_templateItEESt5tupleIJNSA_6TensorESF_SF_EERKSF_lbbbEUlllE_EE10hipError_tT0_T1_T2_jT3_P12ihipStream_tbPNSt15iterator_traitsISL_E10value_typeEPNSR_ISM_E10value_typeEPSN_NS1_7vsmem_tEENKUlT_SL_SM_SN_E_clIS8_S8_S9_S9_EESK_S10_SL_SM_SN_EUlS10_E_NS1_11comp_targetILNS1_3genE2ELNS1_11target_archE906ELNS1_3gpuE6ELNS1_3repE0EEENS1_48merge_mergepath_partition_config_static_selectorELNS0_4arch9wavefront6targetE0EEEvSM_ ; -- Begin function _ZN7rocprim17ROCPRIM_400000_NS6detail17trampoline_kernelINS0_14default_configENS1_38merge_sort_block_merge_config_selectorIlNS0_10empty_typeEEEZZNS1_27merge_sort_block_merge_implIS3_PlPS5_mZN2at6native12_GLOBAL__N_124unique_dim_cuda_templateItEESt5tupleIJNSA_6TensorESF_SF_EERKSF_lbbbEUlllE_EE10hipError_tT0_T1_T2_jT3_P12ihipStream_tbPNSt15iterator_traitsISL_E10value_typeEPNSR_ISM_E10value_typeEPSN_NS1_7vsmem_tEENKUlT_SL_SM_SN_E_clIS8_S8_S9_S9_EESK_S10_SL_SM_SN_EUlS10_E_NS1_11comp_targetILNS1_3genE2ELNS1_11target_archE906ELNS1_3gpuE6ELNS1_3repE0EEENS1_48merge_mergepath_partition_config_static_selectorELNS0_4arch9wavefront6targetE0EEEvSM_
	.p2align	8
	.type	_ZN7rocprim17ROCPRIM_400000_NS6detail17trampoline_kernelINS0_14default_configENS1_38merge_sort_block_merge_config_selectorIlNS0_10empty_typeEEEZZNS1_27merge_sort_block_merge_implIS3_PlPS5_mZN2at6native12_GLOBAL__N_124unique_dim_cuda_templateItEESt5tupleIJNSA_6TensorESF_SF_EERKSF_lbbbEUlllE_EE10hipError_tT0_T1_T2_jT3_P12ihipStream_tbPNSt15iterator_traitsISL_E10value_typeEPNSR_ISM_E10value_typeEPSN_NS1_7vsmem_tEENKUlT_SL_SM_SN_E_clIS8_S8_S9_S9_EESK_S10_SL_SM_SN_EUlS10_E_NS1_11comp_targetILNS1_3genE2ELNS1_11target_archE906ELNS1_3gpuE6ELNS1_3repE0EEENS1_48merge_mergepath_partition_config_static_selectorELNS0_4arch9wavefront6targetE0EEEvSM_,@function
_ZN7rocprim17ROCPRIM_400000_NS6detail17trampoline_kernelINS0_14default_configENS1_38merge_sort_block_merge_config_selectorIlNS0_10empty_typeEEEZZNS1_27merge_sort_block_merge_implIS3_PlPS5_mZN2at6native12_GLOBAL__N_124unique_dim_cuda_templateItEESt5tupleIJNSA_6TensorESF_SF_EERKSF_lbbbEUlllE_EE10hipError_tT0_T1_T2_jT3_P12ihipStream_tbPNSt15iterator_traitsISL_E10value_typeEPNSR_ISM_E10value_typeEPSN_NS1_7vsmem_tEENKUlT_SL_SM_SN_E_clIS8_S8_S9_S9_EESK_S10_SL_SM_SN_EUlS10_E_NS1_11comp_targetILNS1_3genE2ELNS1_11target_archE906ELNS1_3gpuE6ELNS1_3repE0EEENS1_48merge_mergepath_partition_config_static_selectorELNS0_4arch9wavefront6targetE0EEEvSM_: ; @_ZN7rocprim17ROCPRIM_400000_NS6detail17trampoline_kernelINS0_14default_configENS1_38merge_sort_block_merge_config_selectorIlNS0_10empty_typeEEEZZNS1_27merge_sort_block_merge_implIS3_PlPS5_mZN2at6native12_GLOBAL__N_124unique_dim_cuda_templateItEESt5tupleIJNSA_6TensorESF_SF_EERKSF_lbbbEUlllE_EE10hipError_tT0_T1_T2_jT3_P12ihipStream_tbPNSt15iterator_traitsISL_E10value_typeEPNSR_ISM_E10value_typeEPSN_NS1_7vsmem_tEENKUlT_SL_SM_SN_E_clIS8_S8_S9_S9_EESK_S10_SL_SM_SN_EUlS10_E_NS1_11comp_targetILNS1_3genE2ELNS1_11target_archE906ELNS1_3gpuE6ELNS1_3repE0EEENS1_48merge_mergepath_partition_config_static_selectorELNS0_4arch9wavefront6targetE0EEEvSM_
; %bb.0:
	.section	.rodata,"a",@progbits
	.p2align	6, 0x0
	.amdhsa_kernel _ZN7rocprim17ROCPRIM_400000_NS6detail17trampoline_kernelINS0_14default_configENS1_38merge_sort_block_merge_config_selectorIlNS0_10empty_typeEEEZZNS1_27merge_sort_block_merge_implIS3_PlPS5_mZN2at6native12_GLOBAL__N_124unique_dim_cuda_templateItEESt5tupleIJNSA_6TensorESF_SF_EERKSF_lbbbEUlllE_EE10hipError_tT0_T1_T2_jT3_P12ihipStream_tbPNSt15iterator_traitsISL_E10value_typeEPNSR_ISM_E10value_typeEPSN_NS1_7vsmem_tEENKUlT_SL_SM_SN_E_clIS8_S8_S9_S9_EESK_S10_SL_SM_SN_EUlS10_E_NS1_11comp_targetILNS1_3genE2ELNS1_11target_archE906ELNS1_3gpuE6ELNS1_3repE0EEENS1_48merge_mergepath_partition_config_static_selectorELNS0_4arch9wavefront6targetE0EEEvSM_
		.amdhsa_group_segment_fixed_size 0
		.amdhsa_private_segment_fixed_size 0
		.amdhsa_kernarg_size 56
		.amdhsa_user_sgpr_count 2
		.amdhsa_user_sgpr_dispatch_ptr 0
		.amdhsa_user_sgpr_queue_ptr 0
		.amdhsa_user_sgpr_kernarg_segment_ptr 1
		.amdhsa_user_sgpr_dispatch_id 0
		.amdhsa_user_sgpr_kernarg_preload_length 0
		.amdhsa_user_sgpr_kernarg_preload_offset 0
		.amdhsa_user_sgpr_private_segment_size 0
		.amdhsa_wavefront_size32 1
		.amdhsa_uses_dynamic_stack 0
		.amdhsa_enable_private_segment 0
		.amdhsa_system_sgpr_workgroup_id_x 1
		.amdhsa_system_sgpr_workgroup_id_y 0
		.amdhsa_system_sgpr_workgroup_id_z 0
		.amdhsa_system_sgpr_workgroup_info 0
		.amdhsa_system_vgpr_workitem_id 0
		.amdhsa_next_free_vgpr 1
		.amdhsa_next_free_sgpr 1
		.amdhsa_named_barrier_count 0
		.amdhsa_reserve_vcc 0
		.amdhsa_float_round_mode_32 0
		.amdhsa_float_round_mode_16_64 0
		.amdhsa_float_denorm_mode_32 3
		.amdhsa_float_denorm_mode_16_64 3
		.amdhsa_fp16_overflow 0
		.amdhsa_memory_ordered 1
		.amdhsa_forward_progress 1
		.amdhsa_inst_pref_size 0
		.amdhsa_round_robin_scheduling 0
		.amdhsa_exception_fp_ieee_invalid_op 0
		.amdhsa_exception_fp_denorm_src 0
		.amdhsa_exception_fp_ieee_div_zero 0
		.amdhsa_exception_fp_ieee_overflow 0
		.amdhsa_exception_fp_ieee_underflow 0
		.amdhsa_exception_fp_ieee_inexact 0
		.amdhsa_exception_int_div_zero 0
	.end_amdhsa_kernel
	.section	.text._ZN7rocprim17ROCPRIM_400000_NS6detail17trampoline_kernelINS0_14default_configENS1_38merge_sort_block_merge_config_selectorIlNS0_10empty_typeEEEZZNS1_27merge_sort_block_merge_implIS3_PlPS5_mZN2at6native12_GLOBAL__N_124unique_dim_cuda_templateItEESt5tupleIJNSA_6TensorESF_SF_EERKSF_lbbbEUlllE_EE10hipError_tT0_T1_T2_jT3_P12ihipStream_tbPNSt15iterator_traitsISL_E10value_typeEPNSR_ISM_E10value_typeEPSN_NS1_7vsmem_tEENKUlT_SL_SM_SN_E_clIS8_S8_S9_S9_EESK_S10_SL_SM_SN_EUlS10_E_NS1_11comp_targetILNS1_3genE2ELNS1_11target_archE906ELNS1_3gpuE6ELNS1_3repE0EEENS1_48merge_mergepath_partition_config_static_selectorELNS0_4arch9wavefront6targetE0EEEvSM_,"axG",@progbits,_ZN7rocprim17ROCPRIM_400000_NS6detail17trampoline_kernelINS0_14default_configENS1_38merge_sort_block_merge_config_selectorIlNS0_10empty_typeEEEZZNS1_27merge_sort_block_merge_implIS3_PlPS5_mZN2at6native12_GLOBAL__N_124unique_dim_cuda_templateItEESt5tupleIJNSA_6TensorESF_SF_EERKSF_lbbbEUlllE_EE10hipError_tT0_T1_T2_jT3_P12ihipStream_tbPNSt15iterator_traitsISL_E10value_typeEPNSR_ISM_E10value_typeEPSN_NS1_7vsmem_tEENKUlT_SL_SM_SN_E_clIS8_S8_S9_S9_EESK_S10_SL_SM_SN_EUlS10_E_NS1_11comp_targetILNS1_3genE2ELNS1_11target_archE906ELNS1_3gpuE6ELNS1_3repE0EEENS1_48merge_mergepath_partition_config_static_selectorELNS0_4arch9wavefront6targetE0EEEvSM_,comdat
.Lfunc_end1375:
	.size	_ZN7rocprim17ROCPRIM_400000_NS6detail17trampoline_kernelINS0_14default_configENS1_38merge_sort_block_merge_config_selectorIlNS0_10empty_typeEEEZZNS1_27merge_sort_block_merge_implIS3_PlPS5_mZN2at6native12_GLOBAL__N_124unique_dim_cuda_templateItEESt5tupleIJNSA_6TensorESF_SF_EERKSF_lbbbEUlllE_EE10hipError_tT0_T1_T2_jT3_P12ihipStream_tbPNSt15iterator_traitsISL_E10value_typeEPNSR_ISM_E10value_typeEPSN_NS1_7vsmem_tEENKUlT_SL_SM_SN_E_clIS8_S8_S9_S9_EESK_S10_SL_SM_SN_EUlS10_E_NS1_11comp_targetILNS1_3genE2ELNS1_11target_archE906ELNS1_3gpuE6ELNS1_3repE0EEENS1_48merge_mergepath_partition_config_static_selectorELNS0_4arch9wavefront6targetE0EEEvSM_, .Lfunc_end1375-_ZN7rocprim17ROCPRIM_400000_NS6detail17trampoline_kernelINS0_14default_configENS1_38merge_sort_block_merge_config_selectorIlNS0_10empty_typeEEEZZNS1_27merge_sort_block_merge_implIS3_PlPS5_mZN2at6native12_GLOBAL__N_124unique_dim_cuda_templateItEESt5tupleIJNSA_6TensorESF_SF_EERKSF_lbbbEUlllE_EE10hipError_tT0_T1_T2_jT3_P12ihipStream_tbPNSt15iterator_traitsISL_E10value_typeEPNSR_ISM_E10value_typeEPSN_NS1_7vsmem_tEENKUlT_SL_SM_SN_E_clIS8_S8_S9_S9_EESK_S10_SL_SM_SN_EUlS10_E_NS1_11comp_targetILNS1_3genE2ELNS1_11target_archE906ELNS1_3gpuE6ELNS1_3repE0EEENS1_48merge_mergepath_partition_config_static_selectorELNS0_4arch9wavefront6targetE0EEEvSM_
                                        ; -- End function
	.set _ZN7rocprim17ROCPRIM_400000_NS6detail17trampoline_kernelINS0_14default_configENS1_38merge_sort_block_merge_config_selectorIlNS0_10empty_typeEEEZZNS1_27merge_sort_block_merge_implIS3_PlPS5_mZN2at6native12_GLOBAL__N_124unique_dim_cuda_templateItEESt5tupleIJNSA_6TensorESF_SF_EERKSF_lbbbEUlllE_EE10hipError_tT0_T1_T2_jT3_P12ihipStream_tbPNSt15iterator_traitsISL_E10value_typeEPNSR_ISM_E10value_typeEPSN_NS1_7vsmem_tEENKUlT_SL_SM_SN_E_clIS8_S8_S9_S9_EESK_S10_SL_SM_SN_EUlS10_E_NS1_11comp_targetILNS1_3genE2ELNS1_11target_archE906ELNS1_3gpuE6ELNS1_3repE0EEENS1_48merge_mergepath_partition_config_static_selectorELNS0_4arch9wavefront6targetE0EEEvSM_.num_vgpr, 0
	.set _ZN7rocprim17ROCPRIM_400000_NS6detail17trampoline_kernelINS0_14default_configENS1_38merge_sort_block_merge_config_selectorIlNS0_10empty_typeEEEZZNS1_27merge_sort_block_merge_implIS3_PlPS5_mZN2at6native12_GLOBAL__N_124unique_dim_cuda_templateItEESt5tupleIJNSA_6TensorESF_SF_EERKSF_lbbbEUlllE_EE10hipError_tT0_T1_T2_jT3_P12ihipStream_tbPNSt15iterator_traitsISL_E10value_typeEPNSR_ISM_E10value_typeEPSN_NS1_7vsmem_tEENKUlT_SL_SM_SN_E_clIS8_S8_S9_S9_EESK_S10_SL_SM_SN_EUlS10_E_NS1_11comp_targetILNS1_3genE2ELNS1_11target_archE906ELNS1_3gpuE6ELNS1_3repE0EEENS1_48merge_mergepath_partition_config_static_selectorELNS0_4arch9wavefront6targetE0EEEvSM_.num_agpr, 0
	.set _ZN7rocprim17ROCPRIM_400000_NS6detail17trampoline_kernelINS0_14default_configENS1_38merge_sort_block_merge_config_selectorIlNS0_10empty_typeEEEZZNS1_27merge_sort_block_merge_implIS3_PlPS5_mZN2at6native12_GLOBAL__N_124unique_dim_cuda_templateItEESt5tupleIJNSA_6TensorESF_SF_EERKSF_lbbbEUlllE_EE10hipError_tT0_T1_T2_jT3_P12ihipStream_tbPNSt15iterator_traitsISL_E10value_typeEPNSR_ISM_E10value_typeEPSN_NS1_7vsmem_tEENKUlT_SL_SM_SN_E_clIS8_S8_S9_S9_EESK_S10_SL_SM_SN_EUlS10_E_NS1_11comp_targetILNS1_3genE2ELNS1_11target_archE906ELNS1_3gpuE6ELNS1_3repE0EEENS1_48merge_mergepath_partition_config_static_selectorELNS0_4arch9wavefront6targetE0EEEvSM_.numbered_sgpr, 0
	.set _ZN7rocprim17ROCPRIM_400000_NS6detail17trampoline_kernelINS0_14default_configENS1_38merge_sort_block_merge_config_selectorIlNS0_10empty_typeEEEZZNS1_27merge_sort_block_merge_implIS3_PlPS5_mZN2at6native12_GLOBAL__N_124unique_dim_cuda_templateItEESt5tupleIJNSA_6TensorESF_SF_EERKSF_lbbbEUlllE_EE10hipError_tT0_T1_T2_jT3_P12ihipStream_tbPNSt15iterator_traitsISL_E10value_typeEPNSR_ISM_E10value_typeEPSN_NS1_7vsmem_tEENKUlT_SL_SM_SN_E_clIS8_S8_S9_S9_EESK_S10_SL_SM_SN_EUlS10_E_NS1_11comp_targetILNS1_3genE2ELNS1_11target_archE906ELNS1_3gpuE6ELNS1_3repE0EEENS1_48merge_mergepath_partition_config_static_selectorELNS0_4arch9wavefront6targetE0EEEvSM_.num_named_barrier, 0
	.set _ZN7rocprim17ROCPRIM_400000_NS6detail17trampoline_kernelINS0_14default_configENS1_38merge_sort_block_merge_config_selectorIlNS0_10empty_typeEEEZZNS1_27merge_sort_block_merge_implIS3_PlPS5_mZN2at6native12_GLOBAL__N_124unique_dim_cuda_templateItEESt5tupleIJNSA_6TensorESF_SF_EERKSF_lbbbEUlllE_EE10hipError_tT0_T1_T2_jT3_P12ihipStream_tbPNSt15iterator_traitsISL_E10value_typeEPNSR_ISM_E10value_typeEPSN_NS1_7vsmem_tEENKUlT_SL_SM_SN_E_clIS8_S8_S9_S9_EESK_S10_SL_SM_SN_EUlS10_E_NS1_11comp_targetILNS1_3genE2ELNS1_11target_archE906ELNS1_3gpuE6ELNS1_3repE0EEENS1_48merge_mergepath_partition_config_static_selectorELNS0_4arch9wavefront6targetE0EEEvSM_.private_seg_size, 0
	.set _ZN7rocprim17ROCPRIM_400000_NS6detail17trampoline_kernelINS0_14default_configENS1_38merge_sort_block_merge_config_selectorIlNS0_10empty_typeEEEZZNS1_27merge_sort_block_merge_implIS3_PlPS5_mZN2at6native12_GLOBAL__N_124unique_dim_cuda_templateItEESt5tupleIJNSA_6TensorESF_SF_EERKSF_lbbbEUlllE_EE10hipError_tT0_T1_T2_jT3_P12ihipStream_tbPNSt15iterator_traitsISL_E10value_typeEPNSR_ISM_E10value_typeEPSN_NS1_7vsmem_tEENKUlT_SL_SM_SN_E_clIS8_S8_S9_S9_EESK_S10_SL_SM_SN_EUlS10_E_NS1_11comp_targetILNS1_3genE2ELNS1_11target_archE906ELNS1_3gpuE6ELNS1_3repE0EEENS1_48merge_mergepath_partition_config_static_selectorELNS0_4arch9wavefront6targetE0EEEvSM_.uses_vcc, 0
	.set _ZN7rocprim17ROCPRIM_400000_NS6detail17trampoline_kernelINS0_14default_configENS1_38merge_sort_block_merge_config_selectorIlNS0_10empty_typeEEEZZNS1_27merge_sort_block_merge_implIS3_PlPS5_mZN2at6native12_GLOBAL__N_124unique_dim_cuda_templateItEESt5tupleIJNSA_6TensorESF_SF_EERKSF_lbbbEUlllE_EE10hipError_tT0_T1_T2_jT3_P12ihipStream_tbPNSt15iterator_traitsISL_E10value_typeEPNSR_ISM_E10value_typeEPSN_NS1_7vsmem_tEENKUlT_SL_SM_SN_E_clIS8_S8_S9_S9_EESK_S10_SL_SM_SN_EUlS10_E_NS1_11comp_targetILNS1_3genE2ELNS1_11target_archE906ELNS1_3gpuE6ELNS1_3repE0EEENS1_48merge_mergepath_partition_config_static_selectorELNS0_4arch9wavefront6targetE0EEEvSM_.uses_flat_scratch, 0
	.set _ZN7rocprim17ROCPRIM_400000_NS6detail17trampoline_kernelINS0_14default_configENS1_38merge_sort_block_merge_config_selectorIlNS0_10empty_typeEEEZZNS1_27merge_sort_block_merge_implIS3_PlPS5_mZN2at6native12_GLOBAL__N_124unique_dim_cuda_templateItEESt5tupleIJNSA_6TensorESF_SF_EERKSF_lbbbEUlllE_EE10hipError_tT0_T1_T2_jT3_P12ihipStream_tbPNSt15iterator_traitsISL_E10value_typeEPNSR_ISM_E10value_typeEPSN_NS1_7vsmem_tEENKUlT_SL_SM_SN_E_clIS8_S8_S9_S9_EESK_S10_SL_SM_SN_EUlS10_E_NS1_11comp_targetILNS1_3genE2ELNS1_11target_archE906ELNS1_3gpuE6ELNS1_3repE0EEENS1_48merge_mergepath_partition_config_static_selectorELNS0_4arch9wavefront6targetE0EEEvSM_.has_dyn_sized_stack, 0
	.set _ZN7rocprim17ROCPRIM_400000_NS6detail17trampoline_kernelINS0_14default_configENS1_38merge_sort_block_merge_config_selectorIlNS0_10empty_typeEEEZZNS1_27merge_sort_block_merge_implIS3_PlPS5_mZN2at6native12_GLOBAL__N_124unique_dim_cuda_templateItEESt5tupleIJNSA_6TensorESF_SF_EERKSF_lbbbEUlllE_EE10hipError_tT0_T1_T2_jT3_P12ihipStream_tbPNSt15iterator_traitsISL_E10value_typeEPNSR_ISM_E10value_typeEPSN_NS1_7vsmem_tEENKUlT_SL_SM_SN_E_clIS8_S8_S9_S9_EESK_S10_SL_SM_SN_EUlS10_E_NS1_11comp_targetILNS1_3genE2ELNS1_11target_archE906ELNS1_3gpuE6ELNS1_3repE0EEENS1_48merge_mergepath_partition_config_static_selectorELNS0_4arch9wavefront6targetE0EEEvSM_.has_recursion, 0
	.set _ZN7rocprim17ROCPRIM_400000_NS6detail17trampoline_kernelINS0_14default_configENS1_38merge_sort_block_merge_config_selectorIlNS0_10empty_typeEEEZZNS1_27merge_sort_block_merge_implIS3_PlPS5_mZN2at6native12_GLOBAL__N_124unique_dim_cuda_templateItEESt5tupleIJNSA_6TensorESF_SF_EERKSF_lbbbEUlllE_EE10hipError_tT0_T1_T2_jT3_P12ihipStream_tbPNSt15iterator_traitsISL_E10value_typeEPNSR_ISM_E10value_typeEPSN_NS1_7vsmem_tEENKUlT_SL_SM_SN_E_clIS8_S8_S9_S9_EESK_S10_SL_SM_SN_EUlS10_E_NS1_11comp_targetILNS1_3genE2ELNS1_11target_archE906ELNS1_3gpuE6ELNS1_3repE0EEENS1_48merge_mergepath_partition_config_static_selectorELNS0_4arch9wavefront6targetE0EEEvSM_.has_indirect_call, 0
	.section	.AMDGPU.csdata,"",@progbits
; Kernel info:
; codeLenInByte = 0
; TotalNumSgprs: 0
; NumVgprs: 0
; ScratchSize: 0
; MemoryBound: 0
; FloatMode: 240
; IeeeMode: 1
; LDSByteSize: 0 bytes/workgroup (compile time only)
; SGPRBlocks: 0
; VGPRBlocks: 0
; NumSGPRsForWavesPerEU: 1
; NumVGPRsForWavesPerEU: 1
; NamedBarCnt: 0
; Occupancy: 16
; WaveLimiterHint : 0
; COMPUTE_PGM_RSRC2:SCRATCH_EN: 0
; COMPUTE_PGM_RSRC2:USER_SGPR: 2
; COMPUTE_PGM_RSRC2:TRAP_HANDLER: 0
; COMPUTE_PGM_RSRC2:TGID_X_EN: 1
; COMPUTE_PGM_RSRC2:TGID_Y_EN: 0
; COMPUTE_PGM_RSRC2:TGID_Z_EN: 0
; COMPUTE_PGM_RSRC2:TIDIG_COMP_CNT: 0
	.section	.text._ZN7rocprim17ROCPRIM_400000_NS6detail17trampoline_kernelINS0_14default_configENS1_38merge_sort_block_merge_config_selectorIlNS0_10empty_typeEEEZZNS1_27merge_sort_block_merge_implIS3_PlPS5_mZN2at6native12_GLOBAL__N_124unique_dim_cuda_templateItEESt5tupleIJNSA_6TensorESF_SF_EERKSF_lbbbEUlllE_EE10hipError_tT0_T1_T2_jT3_P12ihipStream_tbPNSt15iterator_traitsISL_E10value_typeEPNSR_ISM_E10value_typeEPSN_NS1_7vsmem_tEENKUlT_SL_SM_SN_E_clIS8_S8_S9_S9_EESK_S10_SL_SM_SN_EUlS10_E_NS1_11comp_targetILNS1_3genE9ELNS1_11target_archE1100ELNS1_3gpuE3ELNS1_3repE0EEENS1_48merge_mergepath_partition_config_static_selectorELNS0_4arch9wavefront6targetE0EEEvSM_,"axG",@progbits,_ZN7rocprim17ROCPRIM_400000_NS6detail17trampoline_kernelINS0_14default_configENS1_38merge_sort_block_merge_config_selectorIlNS0_10empty_typeEEEZZNS1_27merge_sort_block_merge_implIS3_PlPS5_mZN2at6native12_GLOBAL__N_124unique_dim_cuda_templateItEESt5tupleIJNSA_6TensorESF_SF_EERKSF_lbbbEUlllE_EE10hipError_tT0_T1_T2_jT3_P12ihipStream_tbPNSt15iterator_traitsISL_E10value_typeEPNSR_ISM_E10value_typeEPSN_NS1_7vsmem_tEENKUlT_SL_SM_SN_E_clIS8_S8_S9_S9_EESK_S10_SL_SM_SN_EUlS10_E_NS1_11comp_targetILNS1_3genE9ELNS1_11target_archE1100ELNS1_3gpuE3ELNS1_3repE0EEENS1_48merge_mergepath_partition_config_static_selectorELNS0_4arch9wavefront6targetE0EEEvSM_,comdat
	.globl	_ZN7rocprim17ROCPRIM_400000_NS6detail17trampoline_kernelINS0_14default_configENS1_38merge_sort_block_merge_config_selectorIlNS0_10empty_typeEEEZZNS1_27merge_sort_block_merge_implIS3_PlPS5_mZN2at6native12_GLOBAL__N_124unique_dim_cuda_templateItEESt5tupleIJNSA_6TensorESF_SF_EERKSF_lbbbEUlllE_EE10hipError_tT0_T1_T2_jT3_P12ihipStream_tbPNSt15iterator_traitsISL_E10value_typeEPNSR_ISM_E10value_typeEPSN_NS1_7vsmem_tEENKUlT_SL_SM_SN_E_clIS8_S8_S9_S9_EESK_S10_SL_SM_SN_EUlS10_E_NS1_11comp_targetILNS1_3genE9ELNS1_11target_archE1100ELNS1_3gpuE3ELNS1_3repE0EEENS1_48merge_mergepath_partition_config_static_selectorELNS0_4arch9wavefront6targetE0EEEvSM_ ; -- Begin function _ZN7rocprim17ROCPRIM_400000_NS6detail17trampoline_kernelINS0_14default_configENS1_38merge_sort_block_merge_config_selectorIlNS0_10empty_typeEEEZZNS1_27merge_sort_block_merge_implIS3_PlPS5_mZN2at6native12_GLOBAL__N_124unique_dim_cuda_templateItEESt5tupleIJNSA_6TensorESF_SF_EERKSF_lbbbEUlllE_EE10hipError_tT0_T1_T2_jT3_P12ihipStream_tbPNSt15iterator_traitsISL_E10value_typeEPNSR_ISM_E10value_typeEPSN_NS1_7vsmem_tEENKUlT_SL_SM_SN_E_clIS8_S8_S9_S9_EESK_S10_SL_SM_SN_EUlS10_E_NS1_11comp_targetILNS1_3genE9ELNS1_11target_archE1100ELNS1_3gpuE3ELNS1_3repE0EEENS1_48merge_mergepath_partition_config_static_selectorELNS0_4arch9wavefront6targetE0EEEvSM_
	.p2align	8
	.type	_ZN7rocprim17ROCPRIM_400000_NS6detail17trampoline_kernelINS0_14default_configENS1_38merge_sort_block_merge_config_selectorIlNS0_10empty_typeEEEZZNS1_27merge_sort_block_merge_implIS3_PlPS5_mZN2at6native12_GLOBAL__N_124unique_dim_cuda_templateItEESt5tupleIJNSA_6TensorESF_SF_EERKSF_lbbbEUlllE_EE10hipError_tT0_T1_T2_jT3_P12ihipStream_tbPNSt15iterator_traitsISL_E10value_typeEPNSR_ISM_E10value_typeEPSN_NS1_7vsmem_tEENKUlT_SL_SM_SN_E_clIS8_S8_S9_S9_EESK_S10_SL_SM_SN_EUlS10_E_NS1_11comp_targetILNS1_3genE9ELNS1_11target_archE1100ELNS1_3gpuE3ELNS1_3repE0EEENS1_48merge_mergepath_partition_config_static_selectorELNS0_4arch9wavefront6targetE0EEEvSM_,@function
_ZN7rocprim17ROCPRIM_400000_NS6detail17trampoline_kernelINS0_14default_configENS1_38merge_sort_block_merge_config_selectorIlNS0_10empty_typeEEEZZNS1_27merge_sort_block_merge_implIS3_PlPS5_mZN2at6native12_GLOBAL__N_124unique_dim_cuda_templateItEESt5tupleIJNSA_6TensorESF_SF_EERKSF_lbbbEUlllE_EE10hipError_tT0_T1_T2_jT3_P12ihipStream_tbPNSt15iterator_traitsISL_E10value_typeEPNSR_ISM_E10value_typeEPSN_NS1_7vsmem_tEENKUlT_SL_SM_SN_E_clIS8_S8_S9_S9_EESK_S10_SL_SM_SN_EUlS10_E_NS1_11comp_targetILNS1_3genE9ELNS1_11target_archE1100ELNS1_3gpuE3ELNS1_3repE0EEENS1_48merge_mergepath_partition_config_static_selectorELNS0_4arch9wavefront6targetE0EEEvSM_: ; @_ZN7rocprim17ROCPRIM_400000_NS6detail17trampoline_kernelINS0_14default_configENS1_38merge_sort_block_merge_config_selectorIlNS0_10empty_typeEEEZZNS1_27merge_sort_block_merge_implIS3_PlPS5_mZN2at6native12_GLOBAL__N_124unique_dim_cuda_templateItEESt5tupleIJNSA_6TensorESF_SF_EERKSF_lbbbEUlllE_EE10hipError_tT0_T1_T2_jT3_P12ihipStream_tbPNSt15iterator_traitsISL_E10value_typeEPNSR_ISM_E10value_typeEPSN_NS1_7vsmem_tEENKUlT_SL_SM_SN_E_clIS8_S8_S9_S9_EESK_S10_SL_SM_SN_EUlS10_E_NS1_11comp_targetILNS1_3genE9ELNS1_11target_archE1100ELNS1_3gpuE3ELNS1_3repE0EEENS1_48merge_mergepath_partition_config_static_selectorELNS0_4arch9wavefront6targetE0EEEvSM_
; %bb.0:
	.section	.rodata,"a",@progbits
	.p2align	6, 0x0
	.amdhsa_kernel _ZN7rocprim17ROCPRIM_400000_NS6detail17trampoline_kernelINS0_14default_configENS1_38merge_sort_block_merge_config_selectorIlNS0_10empty_typeEEEZZNS1_27merge_sort_block_merge_implIS3_PlPS5_mZN2at6native12_GLOBAL__N_124unique_dim_cuda_templateItEESt5tupleIJNSA_6TensorESF_SF_EERKSF_lbbbEUlllE_EE10hipError_tT0_T1_T2_jT3_P12ihipStream_tbPNSt15iterator_traitsISL_E10value_typeEPNSR_ISM_E10value_typeEPSN_NS1_7vsmem_tEENKUlT_SL_SM_SN_E_clIS8_S8_S9_S9_EESK_S10_SL_SM_SN_EUlS10_E_NS1_11comp_targetILNS1_3genE9ELNS1_11target_archE1100ELNS1_3gpuE3ELNS1_3repE0EEENS1_48merge_mergepath_partition_config_static_selectorELNS0_4arch9wavefront6targetE0EEEvSM_
		.amdhsa_group_segment_fixed_size 0
		.amdhsa_private_segment_fixed_size 0
		.amdhsa_kernarg_size 56
		.amdhsa_user_sgpr_count 2
		.amdhsa_user_sgpr_dispatch_ptr 0
		.amdhsa_user_sgpr_queue_ptr 0
		.amdhsa_user_sgpr_kernarg_segment_ptr 1
		.amdhsa_user_sgpr_dispatch_id 0
		.amdhsa_user_sgpr_kernarg_preload_length 0
		.amdhsa_user_sgpr_kernarg_preload_offset 0
		.amdhsa_user_sgpr_private_segment_size 0
		.amdhsa_wavefront_size32 1
		.amdhsa_uses_dynamic_stack 0
		.amdhsa_enable_private_segment 0
		.amdhsa_system_sgpr_workgroup_id_x 1
		.amdhsa_system_sgpr_workgroup_id_y 0
		.amdhsa_system_sgpr_workgroup_id_z 0
		.amdhsa_system_sgpr_workgroup_info 0
		.amdhsa_system_vgpr_workitem_id 0
		.amdhsa_next_free_vgpr 1
		.amdhsa_next_free_sgpr 1
		.amdhsa_named_barrier_count 0
		.amdhsa_reserve_vcc 0
		.amdhsa_float_round_mode_32 0
		.amdhsa_float_round_mode_16_64 0
		.amdhsa_float_denorm_mode_32 3
		.amdhsa_float_denorm_mode_16_64 3
		.amdhsa_fp16_overflow 0
		.amdhsa_memory_ordered 1
		.amdhsa_forward_progress 1
		.amdhsa_inst_pref_size 0
		.amdhsa_round_robin_scheduling 0
		.amdhsa_exception_fp_ieee_invalid_op 0
		.amdhsa_exception_fp_denorm_src 0
		.amdhsa_exception_fp_ieee_div_zero 0
		.amdhsa_exception_fp_ieee_overflow 0
		.amdhsa_exception_fp_ieee_underflow 0
		.amdhsa_exception_fp_ieee_inexact 0
		.amdhsa_exception_int_div_zero 0
	.end_amdhsa_kernel
	.section	.text._ZN7rocprim17ROCPRIM_400000_NS6detail17trampoline_kernelINS0_14default_configENS1_38merge_sort_block_merge_config_selectorIlNS0_10empty_typeEEEZZNS1_27merge_sort_block_merge_implIS3_PlPS5_mZN2at6native12_GLOBAL__N_124unique_dim_cuda_templateItEESt5tupleIJNSA_6TensorESF_SF_EERKSF_lbbbEUlllE_EE10hipError_tT0_T1_T2_jT3_P12ihipStream_tbPNSt15iterator_traitsISL_E10value_typeEPNSR_ISM_E10value_typeEPSN_NS1_7vsmem_tEENKUlT_SL_SM_SN_E_clIS8_S8_S9_S9_EESK_S10_SL_SM_SN_EUlS10_E_NS1_11comp_targetILNS1_3genE9ELNS1_11target_archE1100ELNS1_3gpuE3ELNS1_3repE0EEENS1_48merge_mergepath_partition_config_static_selectorELNS0_4arch9wavefront6targetE0EEEvSM_,"axG",@progbits,_ZN7rocprim17ROCPRIM_400000_NS6detail17trampoline_kernelINS0_14default_configENS1_38merge_sort_block_merge_config_selectorIlNS0_10empty_typeEEEZZNS1_27merge_sort_block_merge_implIS3_PlPS5_mZN2at6native12_GLOBAL__N_124unique_dim_cuda_templateItEESt5tupleIJNSA_6TensorESF_SF_EERKSF_lbbbEUlllE_EE10hipError_tT0_T1_T2_jT3_P12ihipStream_tbPNSt15iterator_traitsISL_E10value_typeEPNSR_ISM_E10value_typeEPSN_NS1_7vsmem_tEENKUlT_SL_SM_SN_E_clIS8_S8_S9_S9_EESK_S10_SL_SM_SN_EUlS10_E_NS1_11comp_targetILNS1_3genE9ELNS1_11target_archE1100ELNS1_3gpuE3ELNS1_3repE0EEENS1_48merge_mergepath_partition_config_static_selectorELNS0_4arch9wavefront6targetE0EEEvSM_,comdat
.Lfunc_end1376:
	.size	_ZN7rocprim17ROCPRIM_400000_NS6detail17trampoline_kernelINS0_14default_configENS1_38merge_sort_block_merge_config_selectorIlNS0_10empty_typeEEEZZNS1_27merge_sort_block_merge_implIS3_PlPS5_mZN2at6native12_GLOBAL__N_124unique_dim_cuda_templateItEESt5tupleIJNSA_6TensorESF_SF_EERKSF_lbbbEUlllE_EE10hipError_tT0_T1_T2_jT3_P12ihipStream_tbPNSt15iterator_traitsISL_E10value_typeEPNSR_ISM_E10value_typeEPSN_NS1_7vsmem_tEENKUlT_SL_SM_SN_E_clIS8_S8_S9_S9_EESK_S10_SL_SM_SN_EUlS10_E_NS1_11comp_targetILNS1_3genE9ELNS1_11target_archE1100ELNS1_3gpuE3ELNS1_3repE0EEENS1_48merge_mergepath_partition_config_static_selectorELNS0_4arch9wavefront6targetE0EEEvSM_, .Lfunc_end1376-_ZN7rocprim17ROCPRIM_400000_NS6detail17trampoline_kernelINS0_14default_configENS1_38merge_sort_block_merge_config_selectorIlNS0_10empty_typeEEEZZNS1_27merge_sort_block_merge_implIS3_PlPS5_mZN2at6native12_GLOBAL__N_124unique_dim_cuda_templateItEESt5tupleIJNSA_6TensorESF_SF_EERKSF_lbbbEUlllE_EE10hipError_tT0_T1_T2_jT3_P12ihipStream_tbPNSt15iterator_traitsISL_E10value_typeEPNSR_ISM_E10value_typeEPSN_NS1_7vsmem_tEENKUlT_SL_SM_SN_E_clIS8_S8_S9_S9_EESK_S10_SL_SM_SN_EUlS10_E_NS1_11comp_targetILNS1_3genE9ELNS1_11target_archE1100ELNS1_3gpuE3ELNS1_3repE0EEENS1_48merge_mergepath_partition_config_static_selectorELNS0_4arch9wavefront6targetE0EEEvSM_
                                        ; -- End function
	.set _ZN7rocprim17ROCPRIM_400000_NS6detail17trampoline_kernelINS0_14default_configENS1_38merge_sort_block_merge_config_selectorIlNS0_10empty_typeEEEZZNS1_27merge_sort_block_merge_implIS3_PlPS5_mZN2at6native12_GLOBAL__N_124unique_dim_cuda_templateItEESt5tupleIJNSA_6TensorESF_SF_EERKSF_lbbbEUlllE_EE10hipError_tT0_T1_T2_jT3_P12ihipStream_tbPNSt15iterator_traitsISL_E10value_typeEPNSR_ISM_E10value_typeEPSN_NS1_7vsmem_tEENKUlT_SL_SM_SN_E_clIS8_S8_S9_S9_EESK_S10_SL_SM_SN_EUlS10_E_NS1_11comp_targetILNS1_3genE9ELNS1_11target_archE1100ELNS1_3gpuE3ELNS1_3repE0EEENS1_48merge_mergepath_partition_config_static_selectorELNS0_4arch9wavefront6targetE0EEEvSM_.num_vgpr, 0
	.set _ZN7rocprim17ROCPRIM_400000_NS6detail17trampoline_kernelINS0_14default_configENS1_38merge_sort_block_merge_config_selectorIlNS0_10empty_typeEEEZZNS1_27merge_sort_block_merge_implIS3_PlPS5_mZN2at6native12_GLOBAL__N_124unique_dim_cuda_templateItEESt5tupleIJNSA_6TensorESF_SF_EERKSF_lbbbEUlllE_EE10hipError_tT0_T1_T2_jT3_P12ihipStream_tbPNSt15iterator_traitsISL_E10value_typeEPNSR_ISM_E10value_typeEPSN_NS1_7vsmem_tEENKUlT_SL_SM_SN_E_clIS8_S8_S9_S9_EESK_S10_SL_SM_SN_EUlS10_E_NS1_11comp_targetILNS1_3genE9ELNS1_11target_archE1100ELNS1_3gpuE3ELNS1_3repE0EEENS1_48merge_mergepath_partition_config_static_selectorELNS0_4arch9wavefront6targetE0EEEvSM_.num_agpr, 0
	.set _ZN7rocprim17ROCPRIM_400000_NS6detail17trampoline_kernelINS0_14default_configENS1_38merge_sort_block_merge_config_selectorIlNS0_10empty_typeEEEZZNS1_27merge_sort_block_merge_implIS3_PlPS5_mZN2at6native12_GLOBAL__N_124unique_dim_cuda_templateItEESt5tupleIJNSA_6TensorESF_SF_EERKSF_lbbbEUlllE_EE10hipError_tT0_T1_T2_jT3_P12ihipStream_tbPNSt15iterator_traitsISL_E10value_typeEPNSR_ISM_E10value_typeEPSN_NS1_7vsmem_tEENKUlT_SL_SM_SN_E_clIS8_S8_S9_S9_EESK_S10_SL_SM_SN_EUlS10_E_NS1_11comp_targetILNS1_3genE9ELNS1_11target_archE1100ELNS1_3gpuE3ELNS1_3repE0EEENS1_48merge_mergepath_partition_config_static_selectorELNS0_4arch9wavefront6targetE0EEEvSM_.numbered_sgpr, 0
	.set _ZN7rocprim17ROCPRIM_400000_NS6detail17trampoline_kernelINS0_14default_configENS1_38merge_sort_block_merge_config_selectorIlNS0_10empty_typeEEEZZNS1_27merge_sort_block_merge_implIS3_PlPS5_mZN2at6native12_GLOBAL__N_124unique_dim_cuda_templateItEESt5tupleIJNSA_6TensorESF_SF_EERKSF_lbbbEUlllE_EE10hipError_tT0_T1_T2_jT3_P12ihipStream_tbPNSt15iterator_traitsISL_E10value_typeEPNSR_ISM_E10value_typeEPSN_NS1_7vsmem_tEENKUlT_SL_SM_SN_E_clIS8_S8_S9_S9_EESK_S10_SL_SM_SN_EUlS10_E_NS1_11comp_targetILNS1_3genE9ELNS1_11target_archE1100ELNS1_3gpuE3ELNS1_3repE0EEENS1_48merge_mergepath_partition_config_static_selectorELNS0_4arch9wavefront6targetE0EEEvSM_.num_named_barrier, 0
	.set _ZN7rocprim17ROCPRIM_400000_NS6detail17trampoline_kernelINS0_14default_configENS1_38merge_sort_block_merge_config_selectorIlNS0_10empty_typeEEEZZNS1_27merge_sort_block_merge_implIS3_PlPS5_mZN2at6native12_GLOBAL__N_124unique_dim_cuda_templateItEESt5tupleIJNSA_6TensorESF_SF_EERKSF_lbbbEUlllE_EE10hipError_tT0_T1_T2_jT3_P12ihipStream_tbPNSt15iterator_traitsISL_E10value_typeEPNSR_ISM_E10value_typeEPSN_NS1_7vsmem_tEENKUlT_SL_SM_SN_E_clIS8_S8_S9_S9_EESK_S10_SL_SM_SN_EUlS10_E_NS1_11comp_targetILNS1_3genE9ELNS1_11target_archE1100ELNS1_3gpuE3ELNS1_3repE0EEENS1_48merge_mergepath_partition_config_static_selectorELNS0_4arch9wavefront6targetE0EEEvSM_.private_seg_size, 0
	.set _ZN7rocprim17ROCPRIM_400000_NS6detail17trampoline_kernelINS0_14default_configENS1_38merge_sort_block_merge_config_selectorIlNS0_10empty_typeEEEZZNS1_27merge_sort_block_merge_implIS3_PlPS5_mZN2at6native12_GLOBAL__N_124unique_dim_cuda_templateItEESt5tupleIJNSA_6TensorESF_SF_EERKSF_lbbbEUlllE_EE10hipError_tT0_T1_T2_jT3_P12ihipStream_tbPNSt15iterator_traitsISL_E10value_typeEPNSR_ISM_E10value_typeEPSN_NS1_7vsmem_tEENKUlT_SL_SM_SN_E_clIS8_S8_S9_S9_EESK_S10_SL_SM_SN_EUlS10_E_NS1_11comp_targetILNS1_3genE9ELNS1_11target_archE1100ELNS1_3gpuE3ELNS1_3repE0EEENS1_48merge_mergepath_partition_config_static_selectorELNS0_4arch9wavefront6targetE0EEEvSM_.uses_vcc, 0
	.set _ZN7rocprim17ROCPRIM_400000_NS6detail17trampoline_kernelINS0_14default_configENS1_38merge_sort_block_merge_config_selectorIlNS0_10empty_typeEEEZZNS1_27merge_sort_block_merge_implIS3_PlPS5_mZN2at6native12_GLOBAL__N_124unique_dim_cuda_templateItEESt5tupleIJNSA_6TensorESF_SF_EERKSF_lbbbEUlllE_EE10hipError_tT0_T1_T2_jT3_P12ihipStream_tbPNSt15iterator_traitsISL_E10value_typeEPNSR_ISM_E10value_typeEPSN_NS1_7vsmem_tEENKUlT_SL_SM_SN_E_clIS8_S8_S9_S9_EESK_S10_SL_SM_SN_EUlS10_E_NS1_11comp_targetILNS1_3genE9ELNS1_11target_archE1100ELNS1_3gpuE3ELNS1_3repE0EEENS1_48merge_mergepath_partition_config_static_selectorELNS0_4arch9wavefront6targetE0EEEvSM_.uses_flat_scratch, 0
	.set _ZN7rocprim17ROCPRIM_400000_NS6detail17trampoline_kernelINS0_14default_configENS1_38merge_sort_block_merge_config_selectorIlNS0_10empty_typeEEEZZNS1_27merge_sort_block_merge_implIS3_PlPS5_mZN2at6native12_GLOBAL__N_124unique_dim_cuda_templateItEESt5tupleIJNSA_6TensorESF_SF_EERKSF_lbbbEUlllE_EE10hipError_tT0_T1_T2_jT3_P12ihipStream_tbPNSt15iterator_traitsISL_E10value_typeEPNSR_ISM_E10value_typeEPSN_NS1_7vsmem_tEENKUlT_SL_SM_SN_E_clIS8_S8_S9_S9_EESK_S10_SL_SM_SN_EUlS10_E_NS1_11comp_targetILNS1_3genE9ELNS1_11target_archE1100ELNS1_3gpuE3ELNS1_3repE0EEENS1_48merge_mergepath_partition_config_static_selectorELNS0_4arch9wavefront6targetE0EEEvSM_.has_dyn_sized_stack, 0
	.set _ZN7rocprim17ROCPRIM_400000_NS6detail17trampoline_kernelINS0_14default_configENS1_38merge_sort_block_merge_config_selectorIlNS0_10empty_typeEEEZZNS1_27merge_sort_block_merge_implIS3_PlPS5_mZN2at6native12_GLOBAL__N_124unique_dim_cuda_templateItEESt5tupleIJNSA_6TensorESF_SF_EERKSF_lbbbEUlllE_EE10hipError_tT0_T1_T2_jT3_P12ihipStream_tbPNSt15iterator_traitsISL_E10value_typeEPNSR_ISM_E10value_typeEPSN_NS1_7vsmem_tEENKUlT_SL_SM_SN_E_clIS8_S8_S9_S9_EESK_S10_SL_SM_SN_EUlS10_E_NS1_11comp_targetILNS1_3genE9ELNS1_11target_archE1100ELNS1_3gpuE3ELNS1_3repE0EEENS1_48merge_mergepath_partition_config_static_selectorELNS0_4arch9wavefront6targetE0EEEvSM_.has_recursion, 0
	.set _ZN7rocprim17ROCPRIM_400000_NS6detail17trampoline_kernelINS0_14default_configENS1_38merge_sort_block_merge_config_selectorIlNS0_10empty_typeEEEZZNS1_27merge_sort_block_merge_implIS3_PlPS5_mZN2at6native12_GLOBAL__N_124unique_dim_cuda_templateItEESt5tupleIJNSA_6TensorESF_SF_EERKSF_lbbbEUlllE_EE10hipError_tT0_T1_T2_jT3_P12ihipStream_tbPNSt15iterator_traitsISL_E10value_typeEPNSR_ISM_E10value_typeEPSN_NS1_7vsmem_tEENKUlT_SL_SM_SN_E_clIS8_S8_S9_S9_EESK_S10_SL_SM_SN_EUlS10_E_NS1_11comp_targetILNS1_3genE9ELNS1_11target_archE1100ELNS1_3gpuE3ELNS1_3repE0EEENS1_48merge_mergepath_partition_config_static_selectorELNS0_4arch9wavefront6targetE0EEEvSM_.has_indirect_call, 0
	.section	.AMDGPU.csdata,"",@progbits
; Kernel info:
; codeLenInByte = 0
; TotalNumSgprs: 0
; NumVgprs: 0
; ScratchSize: 0
; MemoryBound: 0
; FloatMode: 240
; IeeeMode: 1
; LDSByteSize: 0 bytes/workgroup (compile time only)
; SGPRBlocks: 0
; VGPRBlocks: 0
; NumSGPRsForWavesPerEU: 1
; NumVGPRsForWavesPerEU: 1
; NamedBarCnt: 0
; Occupancy: 16
; WaveLimiterHint : 0
; COMPUTE_PGM_RSRC2:SCRATCH_EN: 0
; COMPUTE_PGM_RSRC2:USER_SGPR: 2
; COMPUTE_PGM_RSRC2:TRAP_HANDLER: 0
; COMPUTE_PGM_RSRC2:TGID_X_EN: 1
; COMPUTE_PGM_RSRC2:TGID_Y_EN: 0
; COMPUTE_PGM_RSRC2:TGID_Z_EN: 0
; COMPUTE_PGM_RSRC2:TIDIG_COMP_CNT: 0
	.section	.text._ZN7rocprim17ROCPRIM_400000_NS6detail17trampoline_kernelINS0_14default_configENS1_38merge_sort_block_merge_config_selectorIlNS0_10empty_typeEEEZZNS1_27merge_sort_block_merge_implIS3_PlPS5_mZN2at6native12_GLOBAL__N_124unique_dim_cuda_templateItEESt5tupleIJNSA_6TensorESF_SF_EERKSF_lbbbEUlllE_EE10hipError_tT0_T1_T2_jT3_P12ihipStream_tbPNSt15iterator_traitsISL_E10value_typeEPNSR_ISM_E10value_typeEPSN_NS1_7vsmem_tEENKUlT_SL_SM_SN_E_clIS8_S8_S9_S9_EESK_S10_SL_SM_SN_EUlS10_E_NS1_11comp_targetILNS1_3genE8ELNS1_11target_archE1030ELNS1_3gpuE2ELNS1_3repE0EEENS1_48merge_mergepath_partition_config_static_selectorELNS0_4arch9wavefront6targetE0EEEvSM_,"axG",@progbits,_ZN7rocprim17ROCPRIM_400000_NS6detail17trampoline_kernelINS0_14default_configENS1_38merge_sort_block_merge_config_selectorIlNS0_10empty_typeEEEZZNS1_27merge_sort_block_merge_implIS3_PlPS5_mZN2at6native12_GLOBAL__N_124unique_dim_cuda_templateItEESt5tupleIJNSA_6TensorESF_SF_EERKSF_lbbbEUlllE_EE10hipError_tT0_T1_T2_jT3_P12ihipStream_tbPNSt15iterator_traitsISL_E10value_typeEPNSR_ISM_E10value_typeEPSN_NS1_7vsmem_tEENKUlT_SL_SM_SN_E_clIS8_S8_S9_S9_EESK_S10_SL_SM_SN_EUlS10_E_NS1_11comp_targetILNS1_3genE8ELNS1_11target_archE1030ELNS1_3gpuE2ELNS1_3repE0EEENS1_48merge_mergepath_partition_config_static_selectorELNS0_4arch9wavefront6targetE0EEEvSM_,comdat
	.globl	_ZN7rocprim17ROCPRIM_400000_NS6detail17trampoline_kernelINS0_14default_configENS1_38merge_sort_block_merge_config_selectorIlNS0_10empty_typeEEEZZNS1_27merge_sort_block_merge_implIS3_PlPS5_mZN2at6native12_GLOBAL__N_124unique_dim_cuda_templateItEESt5tupleIJNSA_6TensorESF_SF_EERKSF_lbbbEUlllE_EE10hipError_tT0_T1_T2_jT3_P12ihipStream_tbPNSt15iterator_traitsISL_E10value_typeEPNSR_ISM_E10value_typeEPSN_NS1_7vsmem_tEENKUlT_SL_SM_SN_E_clIS8_S8_S9_S9_EESK_S10_SL_SM_SN_EUlS10_E_NS1_11comp_targetILNS1_3genE8ELNS1_11target_archE1030ELNS1_3gpuE2ELNS1_3repE0EEENS1_48merge_mergepath_partition_config_static_selectorELNS0_4arch9wavefront6targetE0EEEvSM_ ; -- Begin function _ZN7rocprim17ROCPRIM_400000_NS6detail17trampoline_kernelINS0_14default_configENS1_38merge_sort_block_merge_config_selectorIlNS0_10empty_typeEEEZZNS1_27merge_sort_block_merge_implIS3_PlPS5_mZN2at6native12_GLOBAL__N_124unique_dim_cuda_templateItEESt5tupleIJNSA_6TensorESF_SF_EERKSF_lbbbEUlllE_EE10hipError_tT0_T1_T2_jT3_P12ihipStream_tbPNSt15iterator_traitsISL_E10value_typeEPNSR_ISM_E10value_typeEPSN_NS1_7vsmem_tEENKUlT_SL_SM_SN_E_clIS8_S8_S9_S9_EESK_S10_SL_SM_SN_EUlS10_E_NS1_11comp_targetILNS1_3genE8ELNS1_11target_archE1030ELNS1_3gpuE2ELNS1_3repE0EEENS1_48merge_mergepath_partition_config_static_selectorELNS0_4arch9wavefront6targetE0EEEvSM_
	.p2align	8
	.type	_ZN7rocprim17ROCPRIM_400000_NS6detail17trampoline_kernelINS0_14default_configENS1_38merge_sort_block_merge_config_selectorIlNS0_10empty_typeEEEZZNS1_27merge_sort_block_merge_implIS3_PlPS5_mZN2at6native12_GLOBAL__N_124unique_dim_cuda_templateItEESt5tupleIJNSA_6TensorESF_SF_EERKSF_lbbbEUlllE_EE10hipError_tT0_T1_T2_jT3_P12ihipStream_tbPNSt15iterator_traitsISL_E10value_typeEPNSR_ISM_E10value_typeEPSN_NS1_7vsmem_tEENKUlT_SL_SM_SN_E_clIS8_S8_S9_S9_EESK_S10_SL_SM_SN_EUlS10_E_NS1_11comp_targetILNS1_3genE8ELNS1_11target_archE1030ELNS1_3gpuE2ELNS1_3repE0EEENS1_48merge_mergepath_partition_config_static_selectorELNS0_4arch9wavefront6targetE0EEEvSM_,@function
_ZN7rocprim17ROCPRIM_400000_NS6detail17trampoline_kernelINS0_14default_configENS1_38merge_sort_block_merge_config_selectorIlNS0_10empty_typeEEEZZNS1_27merge_sort_block_merge_implIS3_PlPS5_mZN2at6native12_GLOBAL__N_124unique_dim_cuda_templateItEESt5tupleIJNSA_6TensorESF_SF_EERKSF_lbbbEUlllE_EE10hipError_tT0_T1_T2_jT3_P12ihipStream_tbPNSt15iterator_traitsISL_E10value_typeEPNSR_ISM_E10value_typeEPSN_NS1_7vsmem_tEENKUlT_SL_SM_SN_E_clIS8_S8_S9_S9_EESK_S10_SL_SM_SN_EUlS10_E_NS1_11comp_targetILNS1_3genE8ELNS1_11target_archE1030ELNS1_3gpuE2ELNS1_3repE0EEENS1_48merge_mergepath_partition_config_static_selectorELNS0_4arch9wavefront6targetE0EEEvSM_: ; @_ZN7rocprim17ROCPRIM_400000_NS6detail17trampoline_kernelINS0_14default_configENS1_38merge_sort_block_merge_config_selectorIlNS0_10empty_typeEEEZZNS1_27merge_sort_block_merge_implIS3_PlPS5_mZN2at6native12_GLOBAL__N_124unique_dim_cuda_templateItEESt5tupleIJNSA_6TensorESF_SF_EERKSF_lbbbEUlllE_EE10hipError_tT0_T1_T2_jT3_P12ihipStream_tbPNSt15iterator_traitsISL_E10value_typeEPNSR_ISM_E10value_typeEPSN_NS1_7vsmem_tEENKUlT_SL_SM_SN_E_clIS8_S8_S9_S9_EESK_S10_SL_SM_SN_EUlS10_E_NS1_11comp_targetILNS1_3genE8ELNS1_11target_archE1030ELNS1_3gpuE2ELNS1_3repE0EEENS1_48merge_mergepath_partition_config_static_selectorELNS0_4arch9wavefront6targetE0EEEvSM_
; %bb.0:
	.section	.rodata,"a",@progbits
	.p2align	6, 0x0
	.amdhsa_kernel _ZN7rocprim17ROCPRIM_400000_NS6detail17trampoline_kernelINS0_14default_configENS1_38merge_sort_block_merge_config_selectorIlNS0_10empty_typeEEEZZNS1_27merge_sort_block_merge_implIS3_PlPS5_mZN2at6native12_GLOBAL__N_124unique_dim_cuda_templateItEESt5tupleIJNSA_6TensorESF_SF_EERKSF_lbbbEUlllE_EE10hipError_tT0_T1_T2_jT3_P12ihipStream_tbPNSt15iterator_traitsISL_E10value_typeEPNSR_ISM_E10value_typeEPSN_NS1_7vsmem_tEENKUlT_SL_SM_SN_E_clIS8_S8_S9_S9_EESK_S10_SL_SM_SN_EUlS10_E_NS1_11comp_targetILNS1_3genE8ELNS1_11target_archE1030ELNS1_3gpuE2ELNS1_3repE0EEENS1_48merge_mergepath_partition_config_static_selectorELNS0_4arch9wavefront6targetE0EEEvSM_
		.amdhsa_group_segment_fixed_size 0
		.amdhsa_private_segment_fixed_size 0
		.amdhsa_kernarg_size 56
		.amdhsa_user_sgpr_count 2
		.amdhsa_user_sgpr_dispatch_ptr 0
		.amdhsa_user_sgpr_queue_ptr 0
		.amdhsa_user_sgpr_kernarg_segment_ptr 1
		.amdhsa_user_sgpr_dispatch_id 0
		.amdhsa_user_sgpr_kernarg_preload_length 0
		.amdhsa_user_sgpr_kernarg_preload_offset 0
		.amdhsa_user_sgpr_private_segment_size 0
		.amdhsa_wavefront_size32 1
		.amdhsa_uses_dynamic_stack 0
		.amdhsa_enable_private_segment 0
		.amdhsa_system_sgpr_workgroup_id_x 1
		.amdhsa_system_sgpr_workgroup_id_y 0
		.amdhsa_system_sgpr_workgroup_id_z 0
		.amdhsa_system_sgpr_workgroup_info 0
		.amdhsa_system_vgpr_workitem_id 0
		.amdhsa_next_free_vgpr 1
		.amdhsa_next_free_sgpr 1
		.amdhsa_named_barrier_count 0
		.amdhsa_reserve_vcc 0
		.amdhsa_float_round_mode_32 0
		.amdhsa_float_round_mode_16_64 0
		.amdhsa_float_denorm_mode_32 3
		.amdhsa_float_denorm_mode_16_64 3
		.amdhsa_fp16_overflow 0
		.amdhsa_memory_ordered 1
		.amdhsa_forward_progress 1
		.amdhsa_inst_pref_size 0
		.amdhsa_round_robin_scheduling 0
		.amdhsa_exception_fp_ieee_invalid_op 0
		.amdhsa_exception_fp_denorm_src 0
		.amdhsa_exception_fp_ieee_div_zero 0
		.amdhsa_exception_fp_ieee_overflow 0
		.amdhsa_exception_fp_ieee_underflow 0
		.amdhsa_exception_fp_ieee_inexact 0
		.amdhsa_exception_int_div_zero 0
	.end_amdhsa_kernel
	.section	.text._ZN7rocprim17ROCPRIM_400000_NS6detail17trampoline_kernelINS0_14default_configENS1_38merge_sort_block_merge_config_selectorIlNS0_10empty_typeEEEZZNS1_27merge_sort_block_merge_implIS3_PlPS5_mZN2at6native12_GLOBAL__N_124unique_dim_cuda_templateItEESt5tupleIJNSA_6TensorESF_SF_EERKSF_lbbbEUlllE_EE10hipError_tT0_T1_T2_jT3_P12ihipStream_tbPNSt15iterator_traitsISL_E10value_typeEPNSR_ISM_E10value_typeEPSN_NS1_7vsmem_tEENKUlT_SL_SM_SN_E_clIS8_S8_S9_S9_EESK_S10_SL_SM_SN_EUlS10_E_NS1_11comp_targetILNS1_3genE8ELNS1_11target_archE1030ELNS1_3gpuE2ELNS1_3repE0EEENS1_48merge_mergepath_partition_config_static_selectorELNS0_4arch9wavefront6targetE0EEEvSM_,"axG",@progbits,_ZN7rocprim17ROCPRIM_400000_NS6detail17trampoline_kernelINS0_14default_configENS1_38merge_sort_block_merge_config_selectorIlNS0_10empty_typeEEEZZNS1_27merge_sort_block_merge_implIS3_PlPS5_mZN2at6native12_GLOBAL__N_124unique_dim_cuda_templateItEESt5tupleIJNSA_6TensorESF_SF_EERKSF_lbbbEUlllE_EE10hipError_tT0_T1_T2_jT3_P12ihipStream_tbPNSt15iterator_traitsISL_E10value_typeEPNSR_ISM_E10value_typeEPSN_NS1_7vsmem_tEENKUlT_SL_SM_SN_E_clIS8_S8_S9_S9_EESK_S10_SL_SM_SN_EUlS10_E_NS1_11comp_targetILNS1_3genE8ELNS1_11target_archE1030ELNS1_3gpuE2ELNS1_3repE0EEENS1_48merge_mergepath_partition_config_static_selectorELNS0_4arch9wavefront6targetE0EEEvSM_,comdat
.Lfunc_end1377:
	.size	_ZN7rocprim17ROCPRIM_400000_NS6detail17trampoline_kernelINS0_14default_configENS1_38merge_sort_block_merge_config_selectorIlNS0_10empty_typeEEEZZNS1_27merge_sort_block_merge_implIS3_PlPS5_mZN2at6native12_GLOBAL__N_124unique_dim_cuda_templateItEESt5tupleIJNSA_6TensorESF_SF_EERKSF_lbbbEUlllE_EE10hipError_tT0_T1_T2_jT3_P12ihipStream_tbPNSt15iterator_traitsISL_E10value_typeEPNSR_ISM_E10value_typeEPSN_NS1_7vsmem_tEENKUlT_SL_SM_SN_E_clIS8_S8_S9_S9_EESK_S10_SL_SM_SN_EUlS10_E_NS1_11comp_targetILNS1_3genE8ELNS1_11target_archE1030ELNS1_3gpuE2ELNS1_3repE0EEENS1_48merge_mergepath_partition_config_static_selectorELNS0_4arch9wavefront6targetE0EEEvSM_, .Lfunc_end1377-_ZN7rocprim17ROCPRIM_400000_NS6detail17trampoline_kernelINS0_14default_configENS1_38merge_sort_block_merge_config_selectorIlNS0_10empty_typeEEEZZNS1_27merge_sort_block_merge_implIS3_PlPS5_mZN2at6native12_GLOBAL__N_124unique_dim_cuda_templateItEESt5tupleIJNSA_6TensorESF_SF_EERKSF_lbbbEUlllE_EE10hipError_tT0_T1_T2_jT3_P12ihipStream_tbPNSt15iterator_traitsISL_E10value_typeEPNSR_ISM_E10value_typeEPSN_NS1_7vsmem_tEENKUlT_SL_SM_SN_E_clIS8_S8_S9_S9_EESK_S10_SL_SM_SN_EUlS10_E_NS1_11comp_targetILNS1_3genE8ELNS1_11target_archE1030ELNS1_3gpuE2ELNS1_3repE0EEENS1_48merge_mergepath_partition_config_static_selectorELNS0_4arch9wavefront6targetE0EEEvSM_
                                        ; -- End function
	.set _ZN7rocprim17ROCPRIM_400000_NS6detail17trampoline_kernelINS0_14default_configENS1_38merge_sort_block_merge_config_selectorIlNS0_10empty_typeEEEZZNS1_27merge_sort_block_merge_implIS3_PlPS5_mZN2at6native12_GLOBAL__N_124unique_dim_cuda_templateItEESt5tupleIJNSA_6TensorESF_SF_EERKSF_lbbbEUlllE_EE10hipError_tT0_T1_T2_jT3_P12ihipStream_tbPNSt15iterator_traitsISL_E10value_typeEPNSR_ISM_E10value_typeEPSN_NS1_7vsmem_tEENKUlT_SL_SM_SN_E_clIS8_S8_S9_S9_EESK_S10_SL_SM_SN_EUlS10_E_NS1_11comp_targetILNS1_3genE8ELNS1_11target_archE1030ELNS1_3gpuE2ELNS1_3repE0EEENS1_48merge_mergepath_partition_config_static_selectorELNS0_4arch9wavefront6targetE0EEEvSM_.num_vgpr, 0
	.set _ZN7rocprim17ROCPRIM_400000_NS6detail17trampoline_kernelINS0_14default_configENS1_38merge_sort_block_merge_config_selectorIlNS0_10empty_typeEEEZZNS1_27merge_sort_block_merge_implIS3_PlPS5_mZN2at6native12_GLOBAL__N_124unique_dim_cuda_templateItEESt5tupleIJNSA_6TensorESF_SF_EERKSF_lbbbEUlllE_EE10hipError_tT0_T1_T2_jT3_P12ihipStream_tbPNSt15iterator_traitsISL_E10value_typeEPNSR_ISM_E10value_typeEPSN_NS1_7vsmem_tEENKUlT_SL_SM_SN_E_clIS8_S8_S9_S9_EESK_S10_SL_SM_SN_EUlS10_E_NS1_11comp_targetILNS1_3genE8ELNS1_11target_archE1030ELNS1_3gpuE2ELNS1_3repE0EEENS1_48merge_mergepath_partition_config_static_selectorELNS0_4arch9wavefront6targetE0EEEvSM_.num_agpr, 0
	.set _ZN7rocprim17ROCPRIM_400000_NS6detail17trampoline_kernelINS0_14default_configENS1_38merge_sort_block_merge_config_selectorIlNS0_10empty_typeEEEZZNS1_27merge_sort_block_merge_implIS3_PlPS5_mZN2at6native12_GLOBAL__N_124unique_dim_cuda_templateItEESt5tupleIJNSA_6TensorESF_SF_EERKSF_lbbbEUlllE_EE10hipError_tT0_T1_T2_jT3_P12ihipStream_tbPNSt15iterator_traitsISL_E10value_typeEPNSR_ISM_E10value_typeEPSN_NS1_7vsmem_tEENKUlT_SL_SM_SN_E_clIS8_S8_S9_S9_EESK_S10_SL_SM_SN_EUlS10_E_NS1_11comp_targetILNS1_3genE8ELNS1_11target_archE1030ELNS1_3gpuE2ELNS1_3repE0EEENS1_48merge_mergepath_partition_config_static_selectorELNS0_4arch9wavefront6targetE0EEEvSM_.numbered_sgpr, 0
	.set _ZN7rocprim17ROCPRIM_400000_NS6detail17trampoline_kernelINS0_14default_configENS1_38merge_sort_block_merge_config_selectorIlNS0_10empty_typeEEEZZNS1_27merge_sort_block_merge_implIS3_PlPS5_mZN2at6native12_GLOBAL__N_124unique_dim_cuda_templateItEESt5tupleIJNSA_6TensorESF_SF_EERKSF_lbbbEUlllE_EE10hipError_tT0_T1_T2_jT3_P12ihipStream_tbPNSt15iterator_traitsISL_E10value_typeEPNSR_ISM_E10value_typeEPSN_NS1_7vsmem_tEENKUlT_SL_SM_SN_E_clIS8_S8_S9_S9_EESK_S10_SL_SM_SN_EUlS10_E_NS1_11comp_targetILNS1_3genE8ELNS1_11target_archE1030ELNS1_3gpuE2ELNS1_3repE0EEENS1_48merge_mergepath_partition_config_static_selectorELNS0_4arch9wavefront6targetE0EEEvSM_.num_named_barrier, 0
	.set _ZN7rocprim17ROCPRIM_400000_NS6detail17trampoline_kernelINS0_14default_configENS1_38merge_sort_block_merge_config_selectorIlNS0_10empty_typeEEEZZNS1_27merge_sort_block_merge_implIS3_PlPS5_mZN2at6native12_GLOBAL__N_124unique_dim_cuda_templateItEESt5tupleIJNSA_6TensorESF_SF_EERKSF_lbbbEUlllE_EE10hipError_tT0_T1_T2_jT3_P12ihipStream_tbPNSt15iterator_traitsISL_E10value_typeEPNSR_ISM_E10value_typeEPSN_NS1_7vsmem_tEENKUlT_SL_SM_SN_E_clIS8_S8_S9_S9_EESK_S10_SL_SM_SN_EUlS10_E_NS1_11comp_targetILNS1_3genE8ELNS1_11target_archE1030ELNS1_3gpuE2ELNS1_3repE0EEENS1_48merge_mergepath_partition_config_static_selectorELNS0_4arch9wavefront6targetE0EEEvSM_.private_seg_size, 0
	.set _ZN7rocprim17ROCPRIM_400000_NS6detail17trampoline_kernelINS0_14default_configENS1_38merge_sort_block_merge_config_selectorIlNS0_10empty_typeEEEZZNS1_27merge_sort_block_merge_implIS3_PlPS5_mZN2at6native12_GLOBAL__N_124unique_dim_cuda_templateItEESt5tupleIJNSA_6TensorESF_SF_EERKSF_lbbbEUlllE_EE10hipError_tT0_T1_T2_jT3_P12ihipStream_tbPNSt15iterator_traitsISL_E10value_typeEPNSR_ISM_E10value_typeEPSN_NS1_7vsmem_tEENKUlT_SL_SM_SN_E_clIS8_S8_S9_S9_EESK_S10_SL_SM_SN_EUlS10_E_NS1_11comp_targetILNS1_3genE8ELNS1_11target_archE1030ELNS1_3gpuE2ELNS1_3repE0EEENS1_48merge_mergepath_partition_config_static_selectorELNS0_4arch9wavefront6targetE0EEEvSM_.uses_vcc, 0
	.set _ZN7rocprim17ROCPRIM_400000_NS6detail17trampoline_kernelINS0_14default_configENS1_38merge_sort_block_merge_config_selectorIlNS0_10empty_typeEEEZZNS1_27merge_sort_block_merge_implIS3_PlPS5_mZN2at6native12_GLOBAL__N_124unique_dim_cuda_templateItEESt5tupleIJNSA_6TensorESF_SF_EERKSF_lbbbEUlllE_EE10hipError_tT0_T1_T2_jT3_P12ihipStream_tbPNSt15iterator_traitsISL_E10value_typeEPNSR_ISM_E10value_typeEPSN_NS1_7vsmem_tEENKUlT_SL_SM_SN_E_clIS8_S8_S9_S9_EESK_S10_SL_SM_SN_EUlS10_E_NS1_11comp_targetILNS1_3genE8ELNS1_11target_archE1030ELNS1_3gpuE2ELNS1_3repE0EEENS1_48merge_mergepath_partition_config_static_selectorELNS0_4arch9wavefront6targetE0EEEvSM_.uses_flat_scratch, 0
	.set _ZN7rocprim17ROCPRIM_400000_NS6detail17trampoline_kernelINS0_14default_configENS1_38merge_sort_block_merge_config_selectorIlNS0_10empty_typeEEEZZNS1_27merge_sort_block_merge_implIS3_PlPS5_mZN2at6native12_GLOBAL__N_124unique_dim_cuda_templateItEESt5tupleIJNSA_6TensorESF_SF_EERKSF_lbbbEUlllE_EE10hipError_tT0_T1_T2_jT3_P12ihipStream_tbPNSt15iterator_traitsISL_E10value_typeEPNSR_ISM_E10value_typeEPSN_NS1_7vsmem_tEENKUlT_SL_SM_SN_E_clIS8_S8_S9_S9_EESK_S10_SL_SM_SN_EUlS10_E_NS1_11comp_targetILNS1_3genE8ELNS1_11target_archE1030ELNS1_3gpuE2ELNS1_3repE0EEENS1_48merge_mergepath_partition_config_static_selectorELNS0_4arch9wavefront6targetE0EEEvSM_.has_dyn_sized_stack, 0
	.set _ZN7rocprim17ROCPRIM_400000_NS6detail17trampoline_kernelINS0_14default_configENS1_38merge_sort_block_merge_config_selectorIlNS0_10empty_typeEEEZZNS1_27merge_sort_block_merge_implIS3_PlPS5_mZN2at6native12_GLOBAL__N_124unique_dim_cuda_templateItEESt5tupleIJNSA_6TensorESF_SF_EERKSF_lbbbEUlllE_EE10hipError_tT0_T1_T2_jT3_P12ihipStream_tbPNSt15iterator_traitsISL_E10value_typeEPNSR_ISM_E10value_typeEPSN_NS1_7vsmem_tEENKUlT_SL_SM_SN_E_clIS8_S8_S9_S9_EESK_S10_SL_SM_SN_EUlS10_E_NS1_11comp_targetILNS1_3genE8ELNS1_11target_archE1030ELNS1_3gpuE2ELNS1_3repE0EEENS1_48merge_mergepath_partition_config_static_selectorELNS0_4arch9wavefront6targetE0EEEvSM_.has_recursion, 0
	.set _ZN7rocprim17ROCPRIM_400000_NS6detail17trampoline_kernelINS0_14default_configENS1_38merge_sort_block_merge_config_selectorIlNS0_10empty_typeEEEZZNS1_27merge_sort_block_merge_implIS3_PlPS5_mZN2at6native12_GLOBAL__N_124unique_dim_cuda_templateItEESt5tupleIJNSA_6TensorESF_SF_EERKSF_lbbbEUlllE_EE10hipError_tT0_T1_T2_jT3_P12ihipStream_tbPNSt15iterator_traitsISL_E10value_typeEPNSR_ISM_E10value_typeEPSN_NS1_7vsmem_tEENKUlT_SL_SM_SN_E_clIS8_S8_S9_S9_EESK_S10_SL_SM_SN_EUlS10_E_NS1_11comp_targetILNS1_3genE8ELNS1_11target_archE1030ELNS1_3gpuE2ELNS1_3repE0EEENS1_48merge_mergepath_partition_config_static_selectorELNS0_4arch9wavefront6targetE0EEEvSM_.has_indirect_call, 0
	.section	.AMDGPU.csdata,"",@progbits
; Kernel info:
; codeLenInByte = 0
; TotalNumSgprs: 0
; NumVgprs: 0
; ScratchSize: 0
; MemoryBound: 0
; FloatMode: 240
; IeeeMode: 1
; LDSByteSize: 0 bytes/workgroup (compile time only)
; SGPRBlocks: 0
; VGPRBlocks: 0
; NumSGPRsForWavesPerEU: 1
; NumVGPRsForWavesPerEU: 1
; NamedBarCnt: 0
; Occupancy: 16
; WaveLimiterHint : 0
; COMPUTE_PGM_RSRC2:SCRATCH_EN: 0
; COMPUTE_PGM_RSRC2:USER_SGPR: 2
; COMPUTE_PGM_RSRC2:TRAP_HANDLER: 0
; COMPUTE_PGM_RSRC2:TGID_X_EN: 1
; COMPUTE_PGM_RSRC2:TGID_Y_EN: 0
; COMPUTE_PGM_RSRC2:TGID_Z_EN: 0
; COMPUTE_PGM_RSRC2:TIDIG_COMP_CNT: 0
	.section	.text._ZN7rocprim17ROCPRIM_400000_NS6detail17trampoline_kernelINS0_14default_configENS1_38merge_sort_block_merge_config_selectorIlNS0_10empty_typeEEEZZNS1_27merge_sort_block_merge_implIS3_PlPS5_mZN2at6native12_GLOBAL__N_124unique_dim_cuda_templateItEESt5tupleIJNSA_6TensorESF_SF_EERKSF_lbbbEUlllE_EE10hipError_tT0_T1_T2_jT3_P12ihipStream_tbPNSt15iterator_traitsISL_E10value_typeEPNSR_ISM_E10value_typeEPSN_NS1_7vsmem_tEENKUlT_SL_SM_SN_E_clIS8_S8_S9_S9_EESK_S10_SL_SM_SN_EUlS10_E0_NS1_11comp_targetILNS1_3genE0ELNS1_11target_archE4294967295ELNS1_3gpuE0ELNS1_3repE0EEENS1_38merge_mergepath_config_static_selectorELNS0_4arch9wavefront6targetE0EEEvSM_,"axG",@progbits,_ZN7rocprim17ROCPRIM_400000_NS6detail17trampoline_kernelINS0_14default_configENS1_38merge_sort_block_merge_config_selectorIlNS0_10empty_typeEEEZZNS1_27merge_sort_block_merge_implIS3_PlPS5_mZN2at6native12_GLOBAL__N_124unique_dim_cuda_templateItEESt5tupleIJNSA_6TensorESF_SF_EERKSF_lbbbEUlllE_EE10hipError_tT0_T1_T2_jT3_P12ihipStream_tbPNSt15iterator_traitsISL_E10value_typeEPNSR_ISM_E10value_typeEPSN_NS1_7vsmem_tEENKUlT_SL_SM_SN_E_clIS8_S8_S9_S9_EESK_S10_SL_SM_SN_EUlS10_E0_NS1_11comp_targetILNS1_3genE0ELNS1_11target_archE4294967295ELNS1_3gpuE0ELNS1_3repE0EEENS1_38merge_mergepath_config_static_selectorELNS0_4arch9wavefront6targetE0EEEvSM_,comdat
	.globl	_ZN7rocprim17ROCPRIM_400000_NS6detail17trampoline_kernelINS0_14default_configENS1_38merge_sort_block_merge_config_selectorIlNS0_10empty_typeEEEZZNS1_27merge_sort_block_merge_implIS3_PlPS5_mZN2at6native12_GLOBAL__N_124unique_dim_cuda_templateItEESt5tupleIJNSA_6TensorESF_SF_EERKSF_lbbbEUlllE_EE10hipError_tT0_T1_T2_jT3_P12ihipStream_tbPNSt15iterator_traitsISL_E10value_typeEPNSR_ISM_E10value_typeEPSN_NS1_7vsmem_tEENKUlT_SL_SM_SN_E_clIS8_S8_S9_S9_EESK_S10_SL_SM_SN_EUlS10_E0_NS1_11comp_targetILNS1_3genE0ELNS1_11target_archE4294967295ELNS1_3gpuE0ELNS1_3repE0EEENS1_38merge_mergepath_config_static_selectorELNS0_4arch9wavefront6targetE0EEEvSM_ ; -- Begin function _ZN7rocprim17ROCPRIM_400000_NS6detail17trampoline_kernelINS0_14default_configENS1_38merge_sort_block_merge_config_selectorIlNS0_10empty_typeEEEZZNS1_27merge_sort_block_merge_implIS3_PlPS5_mZN2at6native12_GLOBAL__N_124unique_dim_cuda_templateItEESt5tupleIJNSA_6TensorESF_SF_EERKSF_lbbbEUlllE_EE10hipError_tT0_T1_T2_jT3_P12ihipStream_tbPNSt15iterator_traitsISL_E10value_typeEPNSR_ISM_E10value_typeEPSN_NS1_7vsmem_tEENKUlT_SL_SM_SN_E_clIS8_S8_S9_S9_EESK_S10_SL_SM_SN_EUlS10_E0_NS1_11comp_targetILNS1_3genE0ELNS1_11target_archE4294967295ELNS1_3gpuE0ELNS1_3repE0EEENS1_38merge_mergepath_config_static_selectorELNS0_4arch9wavefront6targetE0EEEvSM_
	.p2align	8
	.type	_ZN7rocprim17ROCPRIM_400000_NS6detail17trampoline_kernelINS0_14default_configENS1_38merge_sort_block_merge_config_selectorIlNS0_10empty_typeEEEZZNS1_27merge_sort_block_merge_implIS3_PlPS5_mZN2at6native12_GLOBAL__N_124unique_dim_cuda_templateItEESt5tupleIJNSA_6TensorESF_SF_EERKSF_lbbbEUlllE_EE10hipError_tT0_T1_T2_jT3_P12ihipStream_tbPNSt15iterator_traitsISL_E10value_typeEPNSR_ISM_E10value_typeEPSN_NS1_7vsmem_tEENKUlT_SL_SM_SN_E_clIS8_S8_S9_S9_EESK_S10_SL_SM_SN_EUlS10_E0_NS1_11comp_targetILNS1_3genE0ELNS1_11target_archE4294967295ELNS1_3gpuE0ELNS1_3repE0EEENS1_38merge_mergepath_config_static_selectorELNS0_4arch9wavefront6targetE0EEEvSM_,@function
_ZN7rocprim17ROCPRIM_400000_NS6detail17trampoline_kernelINS0_14default_configENS1_38merge_sort_block_merge_config_selectorIlNS0_10empty_typeEEEZZNS1_27merge_sort_block_merge_implIS3_PlPS5_mZN2at6native12_GLOBAL__N_124unique_dim_cuda_templateItEESt5tupleIJNSA_6TensorESF_SF_EERKSF_lbbbEUlllE_EE10hipError_tT0_T1_T2_jT3_P12ihipStream_tbPNSt15iterator_traitsISL_E10value_typeEPNSR_ISM_E10value_typeEPSN_NS1_7vsmem_tEENKUlT_SL_SM_SN_E_clIS8_S8_S9_S9_EESK_S10_SL_SM_SN_EUlS10_E0_NS1_11comp_targetILNS1_3genE0ELNS1_11target_archE4294967295ELNS1_3gpuE0ELNS1_3repE0EEENS1_38merge_mergepath_config_static_selectorELNS0_4arch9wavefront6targetE0EEEvSM_: ; @_ZN7rocprim17ROCPRIM_400000_NS6detail17trampoline_kernelINS0_14default_configENS1_38merge_sort_block_merge_config_selectorIlNS0_10empty_typeEEEZZNS1_27merge_sort_block_merge_implIS3_PlPS5_mZN2at6native12_GLOBAL__N_124unique_dim_cuda_templateItEESt5tupleIJNSA_6TensorESF_SF_EERKSF_lbbbEUlllE_EE10hipError_tT0_T1_T2_jT3_P12ihipStream_tbPNSt15iterator_traitsISL_E10value_typeEPNSR_ISM_E10value_typeEPSN_NS1_7vsmem_tEENKUlT_SL_SM_SN_E_clIS8_S8_S9_S9_EESK_S10_SL_SM_SN_EUlS10_E0_NS1_11comp_targetILNS1_3genE0ELNS1_11target_archE4294967295ELNS1_3gpuE0ELNS1_3repE0EEENS1_38merge_mergepath_config_static_selectorELNS0_4arch9wavefront6targetE0EEEvSM_
; %bb.0:
	s_bfe_u32 s2, ttmp6, 0x40010
	s_and_b32 s4, ttmp7, 0xffff
	s_add_co_i32 s5, s2, 1
	s_clause 0x1
	s_load_b32 s6, s[0:1], 0x38
	s_load_b64 s[2:3], s[0:1], 0x58
	s_bfe_u32 s8, ttmp6, 0x4000c
	s_mul_i32 s5, s4, s5
	s_bfe_u32 s7, ttmp6, 0x40004
	s_add_co_i32 s8, s8, 1
	s_bfe_u32 s9, ttmp6, 0x40014
	s_add_co_i32 s7, s7, s5
	s_and_b32 s5, ttmp6, 15
	s_mul_i32 s8, ttmp9, s8
	s_lshr_b32 s10, ttmp7, 16
	s_add_co_i32 s9, s9, 1
	s_add_co_i32 s5, s5, s8
	s_mul_i32 s8, s10, s9
	s_bfe_u32 s9, ttmp6, 0x40008
	s_getreg_b32 s11, hwreg(HW_REG_IB_STS2, 6, 4)
	s_add_co_i32 s9, s9, s8
	s_cmp_eq_u32 s11, 0
	s_mov_b32 s19, 0
	s_cselect_b32 s8, s10, s9
	s_cselect_b32 s4, s4, s7
	s_wait_kmcnt 0x0
	s_mul_i32 s8, s3, s8
	s_cselect_b32 s3, ttmp9, s5
	s_add_co_i32 s4, s8, s4
	s_delay_alu instid0(SALU_CYCLE_1) | instskip(NEXT) | instid1(SALU_CYCLE_1)
	s_mul_i32 s4, s4, s2
	s_add_co_i32 s18, s4, s3
	s_delay_alu instid0(SALU_CYCLE_1)
	s_cmp_ge_u32 s18, s6
	s_cbranch_scc1 .LBB1378_139
; %bb.1:
	s_clause 0x1
	s_load_b64 s[4:5], s[0:1], 0x50
	s_load_b128 s[8:11], s[0:1], 0x28
	s_lshl_b64 s[6:7], s[18:19], 3
	s_mov_b32 s23, s19
	s_add_nc_u64 s[20:21], s[0:1], 0x58
	s_wait_kmcnt 0x0
	s_add_nc_u64 s[16:17], s[4:5], s[6:7]
	s_load_b128 s[12:15], s[16:17], 0x0
	s_load_b128 s[4:7], s[0:1], 0x8
	s_wait_xcnt 0x0
	s_lshr_b64 s[16:17], s[10:11], 9
	s_delay_alu instid0(SALU_CYCLE_1) | instskip(NEXT) | instid1(SALU_CYCLE_1)
	s_and_b32 s16, s16, -2
	s_sub_co_i32 s30, 0, s16
	s_lshl_b64 s[16:17], s[18:19], 10
	s_and_b32 s22, s18, s30
	s_or_b32 s30, s18, s30
	s_lshl_b64 s[24:25], s[22:23], 10
	s_lshl_b64 s[22:23], s[22:23], 11
	s_sub_nc_u64 s[28:29], s[16:17], s[24:25]
	s_add_nc_u64 s[26:27], s[22:23], s[10:11]
	s_cmp_lg_u32 s30, -1
	s_add_nc_u64 s[22:23], s[26:27], s[28:29]
	s_mov_b32 s28, -1
	s_cbranch_scc0 .LBB1378_3
; %bb.2:
	s_wait_kmcnt 0x0
	s_sub_nc_u64 s[10:11], s[22:23], s[14:15]
	v_mov_b64_e32 v[2:3], s[14:15]
	s_add_nc_u64 s[10:11], s[10:11], 0x400
	s_branch .LBB1378_4
.LBB1378_3:
	s_wait_kmcnt 0x0
	s_sub_nc_u64 s[14:15], s[26:27], s[24:25]
	s_delay_alu instid0(SALU_CYCLE_1)
	v_min_u64 v[2:3], s[8:9], s[14:15]
	s_add_nc_u64 s[10:11], s[14:15], s[10:11]
.LBB1378_4:
	v_mov_b32_e32 v21, 0
	v_min_u64 v[4:5], s[8:9], s[10:11]
	s_sub_nc_u64 s[10:11], s[22:23], s[12:13]
	v_lshlrev_b32_e32 v20, 3, v0
	v_min_u64 v[6:7], s[8:9], s[10:11]
	global_load_b32 v1, v21, s[20:21] offset:14
	s_lshr_b64 s[10:11], s[8:9], 10
	s_delay_alu instid0(SALU_CYCLE_1)
	s_cmp_lg_u64 s[10:11], s[18:19]
	s_cselect_b32 s9, -1, 0
	s_lshl_b64 s[14:15], s[12:13], 3
	s_cmp_lt_u32 s3, s2
	s_mov_b32 s3, 0
	s_cselect_b32 s2, 12, 18
	s_cmp_eq_u64 s[10:11], s[18:19]
	s_add_nc_u64 s[2:3], s[20:21], s[2:3]
	s_add_nc_u64 s[10:11], s[4:5], s[14:15]
	s_load_u16 s2, s[2:3], 0x0
	v_lshlrev_b64_e32 v[8:9], 3, v[6:7]
	v_sub_nc_u32_e32 v24, v4, v6
	s_delay_alu instid0(VALU_DEP_2) | instskip(SKIP_3) | instid1(VALU_DEP_1)
	v_add_nc_u64_e32 v[22:23], s[4:5], v[8:9]
	s_wait_loadcnt 0x0
	v_lshrrev_b32_e32 v3, 16, v1
	v_and_b32_e32 v1, 0xffff, v1
	v_mul_lo_u32 v1, v1, v3
	s_wait_kmcnt 0x0
	s_delay_alu instid0(VALU_DEP_1)
	v_mul_lo_u32 v25, v1, s2
	v_subrev_nc_u32_e32 v1, s12, v2
	s_cbranch_scc1 .LBB1378_6
; %bb.5:
	s_delay_alu instid0(VALU_DEP_1) | instskip(SKIP_3) | instid1(VALU_DEP_3)
	v_sub_co_u32 v4, vcc_lo, v0, v1
	v_dual_mov_b32 v5, v21 :: v_dual_mov_b32 v7, v21
	v_add_nc_u64_e32 v[2:3], s[10:11], v[20:21]
	v_dual_mov_b32 v17, v21 :: v_dual_mov_b32 v19, v21
	v_lshl_add_u64 v[4:5], v[4:5], 3, v[22:23]
	v_add_nc_u32_e32 v6, v25, v0
	s_delay_alu instid0(VALU_DEP_2) | instskip(NEXT) | instid1(VALU_DEP_2)
	v_dual_add_nc_u32 v36, v1, v24 :: v_dual_cndmask_b32 v2, v4, v2, vcc_lo
	v_lshl_add_u64 v[8:9], v[6:7], 3, s[10:11]
	v_sub_co_u32 v10, s2, v6, v1
	v_dual_mov_b32 v11, v21 :: v_dual_add_nc_u32 v6, v6, v25
	v_cndmask_b32_e32 v3, v5, v3, vcc_lo
	s_delay_alu instid0(VALU_DEP_2) | instskip(NEXT) | instid1(VALU_DEP_3)
	v_lshl_add_u64 v[4:5], v[10:11], 3, v[22:23]
	v_lshl_add_u64 v[10:11], v[6:7], 3, s[10:11]
	v_sub_co_u32 v12, vcc_lo, v6, v1
	s_delay_alu instid0(VALU_DEP_3) | instskip(SKIP_3) | instid1(VALU_DEP_4)
	v_dual_mov_b32 v13, v21 :: v_dual_cndmask_b32 v4, v4, v8, s2
	v_add_nc_u32_e32 v6, v6, v25
	v_cndmask_b32_e64 v5, v5, v9, s2
	v_mov_b32_e32 v15, v21
	v_lshl_add_u64 v[8:9], v[12:13], 3, v[22:23]
	global_load_b64 v[2:3], v[2:3], off
	v_lshl_add_u64 v[12:13], v[6:7], 3, s[10:11]
	v_sub_co_u32 v14, s2, v6, v1
	v_dual_cndmask_b32 v9, v9, v11 :: v_dual_add_nc_u32 v6, v6, v25
	v_cndmask_b32_e32 v8, v8, v10, vcc_lo
	s_delay_alu instid0(VALU_DEP_3) | instskip(SKIP_4) | instid1(VALU_DEP_3)
	v_lshl_add_u64 v[10:11], v[14:15], 3, v[22:23]
	global_load_b64 v[4:5], v[4:5], off
	v_add_nc_u32_e32 v18, v6, v25
	v_sub_co_u32 v16, vcc_lo, v6, v1
	v_dual_cndmask_b32 v27, v11, v13, s2 :: v_dual_cndmask_b32 v26, v10, v12, s2
	v_dual_mov_b32 v13, v21 :: v_dual_add_nc_u32 v12, v18, v25
	v_lshl_add_u64 v[14:15], v[6:7], 3, s[10:11]
	global_load_b64 v[6:7], v[8:9], off
	s_wait_xcnt 0x0
	v_lshl_add_u64 v[8:9], v[16:17], 3, v[22:23]
	v_lshl_add_u64 v[10:11], v[18:19], 3, s[10:11]
	v_sub_co_u32 v16, s2, v18, v1
	s_delay_alu instid0(VALU_DEP_3) | instskip(SKIP_2) | instid1(VALU_DEP_3)
	v_dual_cndmask_b32 v33, v9, v15 :: v_dual_add_nc_u32 v18, v12, v25
	v_lshl_add_u64 v[28:29], v[12:13], 3, s[10:11]
	v_sub_co_u32 v12, s3, v12, v1
	v_lshl_add_u64 v[30:31], v[18:19], 3, s[10:11]
	v_sub_co_u32 v18, s4, v18, v1
	v_lshl_add_u64 v[16:17], v[16:17], 3, v[22:23]
	s_delay_alu instid0(VALU_DEP_4) | instskip(SKIP_1) | instid1(VALU_DEP_4)
	v_lshl_add_u64 v[12:13], v[12:13], 3, v[22:23]
	v_cndmask_b32_e32 v32, v8, v14, vcc_lo
	v_lshl_add_u64 v[8:9], v[18:19], 3, v[22:23]
	s_delay_alu instid0(VALU_DEP_4) | instskip(NEXT) | instid1(VALU_DEP_4)
	v_dual_cndmask_b32 v19, v17, v11, s2 :: v_dual_cndmask_b32 v18, v16, v10, s2
	v_dual_cndmask_b32 v29, v13, v29, s3 :: v_dual_cndmask_b32 v28, v12, v28, s3
	s_delay_alu instid0(VALU_DEP_3)
	v_dual_cndmask_b32 v31, v9, v31, s4 :: v_dual_cndmask_b32 v30, v8, v30, s4
	global_load_b64 v[8:9], v[26:27], off
	global_load_b64 v[10:11], v[32:33], off
	;; [unrolled: 1-line block ×5, first 2 shown]
	s_cbranch_execz .LBB1378_7
	s_branch .LBB1378_24
.LBB1378_6:
                                        ; implicit-def: $vgpr2_vgpr3_vgpr4_vgpr5_vgpr6_vgpr7_vgpr8_vgpr9_vgpr10_vgpr11_vgpr12_vgpr13_vgpr14_vgpr15_vgpr16_vgpr17
                                        ; implicit-def: $vgpr36
	s_and_not1_b32 vcc_lo, exec_lo, s28
	s_cbranch_vccnz .LBB1378_24
.LBB1378_7:
	s_wait_loadcnt 0x7
	v_dual_add_nc_u32 v36, v1, v24 :: v_dual_mov_b32 v2, 0
	s_mov_b32 s2, exec_lo
	s_wait_loadcnt 0x6
	s_delay_alu instid0(VALU_DEP_1)
	v_dual_mov_b32 v3, v2 :: v_dual_mov_b32 v4, v2
	s_wait_loadcnt 0x5
	v_dual_mov_b32 v5, v2 :: v_dual_mov_b32 v6, v2
	s_wait_loadcnt 0x4
	;; [unrolled: 2-line block ×6, first 2 shown]
	v_dual_mov_b32 v15, v2 :: v_dual_mov_b32 v16, v2
	v_mov_b32_e32 v17, v2
	v_cmpx_lt_u32_e64 v0, v36
	s_cbranch_execz .LBB1378_9
; %bb.8:
	v_dual_mov_b32 v21, v2 :: v_dual_mov_b32 v5, v2
	v_sub_co_u32 v4, vcc_lo, v0, v1
	v_dual_mov_b32 v18, v2 :: v_dual_mov_b32 v19, v2
	s_delay_alu instid0(VALU_DEP_3) | instskip(NEXT) | instid1(VALU_DEP_3)
	v_add_nc_u64_e32 v[6:7], s[10:11], v[20:21]
	v_lshl_add_u64 v[4:5], v[4:5], 3, v[22:23]
	v_dual_mov_b32 v8, v2 :: v_dual_mov_b32 v9, v2
	v_dual_mov_b32 v10, v2 :: v_dual_mov_b32 v11, v2
	;; [unrolled: 1-line block ×3, first 2 shown]
	s_delay_alu instid0(VALU_DEP_4)
	v_dual_cndmask_b32 v5, v5, v7 :: v_dual_cndmask_b32 v4, v4, v6
	v_dual_mov_b32 v6, v2 :: v_dual_mov_b32 v7, v2
	v_dual_mov_b32 v14, v2 :: v_dual_mov_b32 v15, v2
	global_load_b64 v[4:5], v[4:5], off
	v_dual_mov_b32 v16, v2 :: v_dual_mov_b32 v17, v2
	s_wait_loadcnt 0x0
	v_mov_b64_e32 v[2:3], v[4:5]
	v_mov_b64_e32 v[4:5], v[6:7]
	;; [unrolled: 1-line block ×8, first 2 shown]
.LBB1378_9:
	s_or_b32 exec_lo, exec_lo, s2
	v_add_nc_u32_e32 v18, v25, v0
	s_mov_b32 s2, exec_lo
	s_delay_alu instid0(VALU_DEP_1)
	v_cmpx_lt_u32_e64 v18, v36
	s_cbranch_execz .LBB1378_11
; %bb.10:
	v_sub_co_u32 v26, vcc_lo, v18, v1
	v_mov_b32_e32 v19, 0
	s_delay_alu instid0(VALU_DEP_1) | instskip(SKIP_1) | instid1(VALU_DEP_1)
	v_lshl_add_u64 v[4:5], v[18:19], 3, s[10:11]
	v_mov_b32_e32 v27, v19
	v_lshl_add_u64 v[26:27], v[26:27], 3, v[22:23]
	s_delay_alu instid0(VALU_DEP_1)
	v_dual_cndmask_b32 v5, v27, v5 :: v_dual_cndmask_b32 v4, v26, v4
	global_load_b64 v[4:5], v[4:5], off
.LBB1378_11:
	s_wait_xcnt 0x0
	s_or_b32 exec_lo, exec_lo, s2
	v_add_nc_u32_e32 v18, v18, v25
	s_mov_b32 s2, exec_lo
	s_delay_alu instid0(VALU_DEP_1)
	v_cmpx_lt_u32_e64 v18, v36
	s_cbranch_execz .LBB1378_13
; %bb.12:
	v_sub_co_u32 v26, vcc_lo, v18, v1
	v_mov_b32_e32 v19, 0
	s_delay_alu instid0(VALU_DEP_1) | instskip(SKIP_1) | instid1(VALU_DEP_1)
	v_lshl_add_u64 v[6:7], v[18:19], 3, s[10:11]
	v_mov_b32_e32 v27, v19
	v_lshl_add_u64 v[26:27], v[26:27], 3, v[22:23]
	s_delay_alu instid0(VALU_DEP_1)
	v_dual_cndmask_b32 v7, v27, v7 :: v_dual_cndmask_b32 v6, v26, v6
	global_load_b64 v[6:7], v[6:7], off
.LBB1378_13:
	s_wait_xcnt 0x0
	;; [unrolled: 18-line block ×6, first 2 shown]
	s_or_b32 exec_lo, exec_lo, s2
	v_add_nc_u32_e32 v18, v18, v25
	s_mov_b32 s2, exec_lo
	s_delay_alu instid0(VALU_DEP_1)
	v_cmpx_lt_u32_e64 v18, v36
	s_cbranch_execz .LBB1378_23
; %bb.22:
	v_mov_b32_e32 v19, 0
	s_delay_alu instid0(VALU_DEP_1) | instskip(SKIP_1) | instid1(VALU_DEP_1)
	v_lshl_add_u64 v[16:17], v[18:19], 3, s[10:11]
	v_sub_co_u32 v18, vcc_lo, v18, v1
	v_lshl_add_u64 v[18:19], v[18:19], 3, v[22:23]
	s_delay_alu instid0(VALU_DEP_1)
	v_dual_cndmask_b32 v17, v19, v17 :: v_dual_cndmask_b32 v16, v18, v16
	global_load_b64 v[16:17], v[16:17], off
.LBB1378_23:
	s_wait_xcnt 0x0
	s_or_b32 exec_lo, exec_lo, s2
.LBB1378_24:
	s_load_b128 s[12:15], s[0:1], 0x40
	v_min_u32_e32 v25, v36, v20
	s_wait_xcnt 0x0
	s_mov_b32 s1, exec_lo
	s_wait_loadcnt 0x0
	ds_store_2addr_stride64_b64 v20, v[2:3], v[4:5] offset1:2
	ds_store_2addr_stride64_b64 v20, v[6:7], v[8:9] offset0:4 offset1:6
	ds_store_2addr_stride64_b64 v20, v[10:11], v[12:13] offset0:8 offset1:10
	;; [unrolled: 1-line block ×3, first 2 shown]
	s_wait_dscnt 0x0
	s_barrier_signal -1
	v_sub_nc_u32_e64 v21, v25, v24 clamp
	v_min_u32_e32 v24, v25, v1
	s_barrier_wait -1
	s_delay_alu instid0(VALU_DEP_1)
	v_cmpx_lt_u32_e64 v21, v24
	s_cbranch_execz .LBB1378_34
; %bb.25:
	v_lshlrev_b32_e32 v18, 3, v25
	s_wait_kmcnt 0x0
	v_cmp_gt_i64_e64 s10, s[12:13], 0
	s_lshl_b64 s[2:3], s[12:13], 1
	s_mov_b32 s11, 0
	v_lshl_add_u32 v26, v1, 3, v18
	s_branch .LBB1378_28
.LBB1378_26:                            ;   in Loop: Header=BB1378_28 Depth=1
	s_or_b32 exec_lo, exec_lo, s19
.LBB1378_27:                            ;   in Loop: Header=BB1378_28 Depth=1
	s_delay_alu instid0(VALU_DEP_1) | instskip(NEXT) | instid1(VALU_DEP_1)
	v_dual_add_nc_u32 v18, 1, v27 :: v_dual_cndmask_b32 v24, v24, v27, s18
	v_cndmask_b32_e64 v21, v18, v21, s18
	s_delay_alu instid0(VALU_DEP_1) | instskip(SKIP_1) | instid1(SALU_CYCLE_1)
	v_cmp_ge_u32_e32 vcc_lo, v21, v24
	s_or_b32 s11, vcc_lo, s11
	s_and_not1_b32 exec_lo, exec_lo, s11
	s_cbranch_execz .LBB1378_33
.LBB1378_28:                            ; =>This Loop Header: Depth=1
                                        ;     Child Loop BB1378_31 Depth 2
	v_add_nc_u32_e32 v18, v24, v21
	s_and_not1_b32 vcc_lo, exec_lo, s10
	s_mov_b32 s18, 0
	s_delay_alu instid0(VALU_DEP_1)
	v_lshrrev_b32_e32 v27, 1, v18
	s_cbranch_vccnz .LBB1378_27
; %bb.29:                               ;   in Loop: Header=BB1378_28 Depth=1
	s_delay_alu instid0(VALU_DEP_1) | instskip(SKIP_3) | instid1(VALU_DEP_2)
	v_not_b32_e32 v18, v27
	v_lshlrev_b32_e32 v19, 3, v27
	s_mov_b32 s19, 0
	s_mov_b64 s[4:5], s[12:13]
                                        ; implicit-def: $sgpr18
                                        ; implicit-def: $sgpr20
                                        ; implicit-def: $sgpr21
                                        ; implicit-def: $sgpr22
	v_lshl_add_u32 v18, v18, 3, v26
	ds_load_b64 v[28:29], v18
	ds_load_b64 v[30:31], v19
	s_wait_dscnt 0x1
	v_mad_nc_u64_u32 v[18:19], s2, v28, s[14:15]
	s_wait_dscnt 0x0
	v_mad_nc_u64_u32 v[22:23], s2, v30, s[14:15]
	s_delay_alu instid0(VALU_DEP_2) | instskip(NEXT) | instid1(VALU_DEP_2)
	v_mad_u32 v19, s3, v28, v19
	v_mad_u32 v23, s3, v30, v23
	s_delay_alu instid0(VALU_DEP_2) | instskip(NEXT) | instid1(VALU_DEP_2)
	v_mad_u32 v19, s2, v29, v19
	v_mad_u32 v23, s2, v31, v23
	s_branch .LBB1378_31
.LBB1378_30:                            ;   in Loop: Header=BB1378_31 Depth=2
	s_or_b32 exec_lo, exec_lo, s23
	s_delay_alu instid0(SALU_CYCLE_1) | instskip(NEXT) | instid1(SALU_CYCLE_1)
	s_and_b32 s23, exec_lo, s20
	s_or_b32 s19, s23, s19
	s_and_not1_b32 s22, s22, exec_lo
	s_and_b32 s0, s0, exec_lo
	s_and_not1_b32 s18, s18, exec_lo
	s_and_b32 s23, s21, exec_lo
	s_or_b32 s22, s22, s0
	s_or_b32 s18, s18, s23
	s_and_not1_b32 exec_lo, exec_lo, s19
	s_cbranch_execz .LBB1378_26
.LBB1378_31:                            ;   Parent Loop BB1378_28 Depth=1
                                        ; =>  This Inner Loop Header: Depth=2
	global_load_u16 v28, v[18:19], off
	global_load_u16 v29, v[22:23], off
	s_and_not1_b32 s21, s21, exec_lo
	s_or_b32 s20, s20, exec_lo
	s_wait_loadcnt 0x0
	v_cmp_le_u16_e32 vcc_lo, v28, v29
	v_cmp_lt_u16_e64 s0, v28, v29
	s_and_b32 s23, vcc_lo, s22
	s_delay_alu instid0(SALU_CYCLE_1) | instskip(NEXT) | instid1(SALU_CYCLE_1)
	s_or_b32 s0, s0, s23
	s_and_b32 s23, s0, exec_lo
	s_delay_alu instid0(SALU_CYCLE_1)
	s_or_b32 s21, s21, s23
	s_mov_b32 s23, exec_lo
	v_cmpx_eq_u16_e64 v28, v29
	s_cbranch_execz .LBB1378_30
; %bb.32:                               ;   in Loop: Header=BB1378_31 Depth=2
	s_add_nc_u64 s[4:5], s[4:5], -1
	v_add_nc_u64_e32 v[18:19], 2, v[18:19]
	s_cmp_eq_u64 s[4:5], 0
	v_add_nc_u64_e32 v[22:23], 2, v[22:23]
	s_cselect_b32 s22, -1, 0
	s_and_not1_b32 s20, s20, exec_lo
	s_and_b32 s22, s22, exec_lo
	s_and_not1_b32 s21, s21, exec_lo
	s_or_b32 s20, s20, s22
                                        ; implicit-def: $sgpr22
	s_branch .LBB1378_30
.LBB1378_33:
	s_or_b32 exec_lo, exec_lo, s11
.LBB1378_34:
	s_delay_alu instid0(SALU_CYCLE_1) | instskip(SKIP_2) | instid1(VALU_DEP_2)
	s_or_b32 exec_lo, exec_lo, s1
	v_sub_nc_u32_e32 v18, v25, v21
	v_cmp_le_u32_e32 vcc_lo, v21, v1
	v_add_nc_u32_e32 v18, v18, v1
	s_delay_alu instid0(VALU_DEP_1) | instskip(SKIP_1) | instid1(SALU_CYCLE_1)
	v_cmp_le_u32_e64 s0, v18, v36
	s_or_b32 s0, vcc_lo, s0
	s_and_saveexec_b32 s1, s0
	s_cbranch_execz .LBB1378_125
; %bb.35:
	s_mov_b32 s2, exec_lo
	v_cmp_ge_u32_e32 vcc_lo, v21, v1
                                        ; implicit-def: $vgpr2_vgpr3
	v_cmpx_lt_u32_e64 v21, v1
; %bb.36:
	v_lshlrev_b32_e32 v2, 3, v21
	ds_load_b64 v[2:3], v2
; %bb.37:
	s_or_b32 exec_lo, exec_lo, s2
	v_cmp_ge_u32_e64 s5, v18, v36
	s_mov_b32 s2, exec_lo
                                        ; implicit-def: $vgpr14_vgpr15
	v_cmpx_lt_u32_e64 v18, v36
; %bb.38:
	v_lshlrev_b32_e32 v4, 3, v18
	ds_load_b64 v[14:15], v4
; %bb.39:
	s_or_b32 exec_lo, exec_lo, s2
	s_wait_kmcnt 0x0
	v_cmp_gt_i64_e64 s4, s[12:13], 0
	s_nor_b32 s0, vcc_lo, s5
	s_delay_alu instid0(SALU_CYCLE_1)
	s_and_saveexec_b32 s10, s0
	s_cbranch_execz .LBB1378_48
; %bb.40:
	s_and_not1_b32 vcc_lo, exec_lo, s4
	s_cbranch_vccnz .LBB1378_46
; %bb.41:
	s_wait_dscnt 0x0
	v_mul_u64_e32 v[4:5], s[12:13], v[14:15]
	v_mul_u64_e32 v[6:7], s[12:13], v[2:3]
	s_mov_b32 s11, 0
	s_mov_b64 s[2:3], s[12:13]
                                        ; implicit-def: $sgpr18
                                        ; implicit-def: $sgpr19
                                        ; implicit-def: $sgpr20
                                        ; implicit-def: $sgpr21
	s_delay_alu instid0(VALU_DEP_2) | instskip(NEXT) | instid1(VALU_DEP_2)
	v_lshl_add_u64 v[4:5], v[4:5], 1, s[14:15]
	v_lshl_add_u64 v[6:7], v[6:7], 1, s[14:15]
	s_branch .LBB1378_43
.LBB1378_42:                            ;   in Loop: Header=BB1378_43 Depth=1
	s_or_b32 exec_lo, exec_lo, s22
	s_delay_alu instid0(SALU_CYCLE_1) | instskip(NEXT) | instid1(SALU_CYCLE_1)
	s_and_b32 s22, exec_lo, s19
	s_or_b32 s11, s22, s11
	s_and_not1_b32 s21, s21, exec_lo
	s_and_b32 s0, s0, exec_lo
	s_and_not1_b32 s18, s18, exec_lo
	s_and_b32 s22, s20, exec_lo
	s_or_b32 s21, s21, s0
	s_or_b32 s18, s18, s22
	s_and_not1_b32 exec_lo, exec_lo, s11
	s_cbranch_execz .LBB1378_45
.LBB1378_43:                            ; =>This Inner Loop Header: Depth=1
	global_load_u16 v8, v[4:5], off
	global_load_u16 v9, v[6:7], off
	s_and_not1_b32 s20, s20, exec_lo
	s_or_b32 s19, s19, exec_lo
	s_wait_loadcnt 0x0
	v_cmp_le_u16_e32 vcc_lo, v8, v9
	v_cmp_lt_u16_e64 s0, v8, v9
	s_and_b32 s22, vcc_lo, s21
	s_delay_alu instid0(SALU_CYCLE_1) | instskip(NEXT) | instid1(SALU_CYCLE_1)
	s_or_b32 s0, s0, s22
	s_and_b32 s22, s0, exec_lo
	s_delay_alu instid0(SALU_CYCLE_1)
	s_or_b32 s20, s20, s22
	s_mov_b32 s22, exec_lo
	v_cmpx_eq_u16_e64 v8, v9
	s_cbranch_execz .LBB1378_42
; %bb.44:                               ;   in Loop: Header=BB1378_43 Depth=1
	s_add_nc_u64 s[2:3], s[2:3], -1
	v_add_nc_u64_e32 v[4:5], 2, v[4:5]
	s_cmp_eq_u64 s[2:3], 0
	v_add_nc_u64_e32 v[6:7], 2, v[6:7]
	s_cselect_b32 s21, -1, 0
	s_and_not1_b32 s19, s19, exec_lo
	s_and_b32 s21, s21, exec_lo
	s_and_not1_b32 s20, s20, exec_lo
	s_or_b32 s19, s19, s21
                                        ; implicit-def: $sgpr21
	s_branch .LBB1378_42
.LBB1378_45:
	s_or_b32 exec_lo, exec_lo, s11
	s_xor_b32 s0, s18, -1
	s_branch .LBB1378_47
.LBB1378_46:
	s_mov_b32 s0, -1
.LBB1378_47:
	s_and_not1_b32 s2, s5, exec_lo
	s_and_b32 s0, s0, exec_lo
	s_delay_alu instid0(SALU_CYCLE_1)
	s_or_b32 s5, s2, s0
.LBB1378_48:
	s_or_b32 exec_lo, exec_lo, s10
	v_cndmask_b32_e64 v4, v18, v21, s5
	v_cndmask_b32_e64 v5, v36, v1, s5
	s_mov_b32 s11, -1
	s_mov_b32 s10, -1
	s_mov_b32 s18, exec_lo
	v_add_nc_u32_e32 v4, 1, v4
	s_delay_alu instid0(VALU_DEP_1) | instskip(NEXT) | instid1(VALU_DEP_1)
	v_add_min_u32_e64 v5, v5, -1, v4
	v_dual_cndmask_b32 v10, v4, v18, s5 :: v_dual_lshlrev_b32 v5, 3, v5
	ds_load_b64 v[6:7], v5
	s_wait_dscnt 0x0
	v_dual_cndmask_b32 v11, v21, v4, s5 :: v_dual_cndmask_b32 v4, v6, v14, s5
	v_cndmask_b32_e64 v5, v7, v15, s5
	v_dual_cndmask_b32 v17, v3, v7, s5 :: v_dual_cndmask_b32 v16, v2, v6, s5
	v_cmpx_lt_u32_e64 v10, v36
	s_cbranch_execz .LBB1378_59
; %bb.49:
	s_mov_b32 s0, 0
	s_mov_b32 s10, exec_lo
	v_cmpx_lt_u32_e64 v11, v1
	s_cbranch_execz .LBB1378_58
; %bb.50:
	s_and_not1_b32 vcc_lo, exec_lo, s4
	s_cbranch_vccnz .LBB1378_56
; %bb.51:
	v_mul_u64_e32 v[6:7], s[12:13], v[4:5]
	v_mul_u64_e32 v[8:9], s[12:13], v[16:17]
	s_mov_b32 s19, 0
	s_mov_b64 s[2:3], s[12:13]
                                        ; implicit-def: $sgpr20
                                        ; implicit-def: $sgpr21
                                        ; implicit-def: $sgpr22
                                        ; implicit-def: $sgpr23
	s_delay_alu instid0(VALU_DEP_2) | instskip(NEXT) | instid1(VALU_DEP_2)
	v_lshl_add_u64 v[6:7], v[6:7], 1, s[14:15]
	v_lshl_add_u64 v[8:9], v[8:9], 1, s[14:15]
	s_branch .LBB1378_53
.LBB1378_52:                            ;   in Loop: Header=BB1378_53 Depth=1
	s_or_b32 exec_lo, exec_lo, s24
	s_delay_alu instid0(SALU_CYCLE_1) | instskip(NEXT) | instid1(SALU_CYCLE_1)
	s_and_b32 s24, exec_lo, s21
	s_or_b32 s19, s24, s19
	s_and_not1_b32 s23, s23, exec_lo
	s_and_b32 s0, s0, exec_lo
	s_and_not1_b32 s20, s20, exec_lo
	s_and_b32 s24, s22, exec_lo
	s_or_b32 s23, s23, s0
	s_or_b32 s20, s20, s24
	s_and_not1_b32 exec_lo, exec_lo, s19
	s_cbranch_execz .LBB1378_55
.LBB1378_53:                            ; =>This Inner Loop Header: Depth=1
	global_load_u16 v12, v[6:7], off
	global_load_u16 v13, v[8:9], off
	s_and_not1_b32 s22, s22, exec_lo
	s_or_b32 s21, s21, exec_lo
	s_wait_loadcnt 0x0
	v_cmp_le_u16_e32 vcc_lo, v12, v13
	v_cmp_lt_u16_e64 s0, v12, v13
	s_and_b32 s24, vcc_lo, s23
	s_delay_alu instid0(SALU_CYCLE_1) | instskip(NEXT) | instid1(SALU_CYCLE_1)
	s_or_b32 s0, s0, s24
	s_and_b32 s24, s0, exec_lo
	s_delay_alu instid0(SALU_CYCLE_1)
	s_or_b32 s22, s22, s24
	s_mov_b32 s24, exec_lo
	v_cmpx_eq_u16_e64 v12, v13
	s_cbranch_execz .LBB1378_52
; %bb.54:                               ;   in Loop: Header=BB1378_53 Depth=1
	s_add_nc_u64 s[2:3], s[2:3], -1
	v_add_nc_u64_e32 v[6:7], 2, v[6:7]
	s_cmp_eq_u64 s[2:3], 0
	v_add_nc_u64_e32 v[8:9], 2, v[8:9]
	s_cselect_b32 s23, -1, 0
	s_and_not1_b32 s21, s21, exec_lo
	s_and_b32 s23, s23, exec_lo
	s_and_not1_b32 s22, s22, exec_lo
	s_or_b32 s21, s21, s23
                                        ; implicit-def: $sgpr23
	s_branch .LBB1378_52
.LBB1378_55:
	s_or_b32 exec_lo, exec_lo, s19
	s_xor_b32 s0, s20, -1
	s_branch .LBB1378_57
.LBB1378_56:
	s_mov_b32 s0, -1
.LBB1378_57:
	s_delay_alu instid0(SALU_CYCLE_1)
	s_and_b32 s0, s0, exec_lo
.LBB1378_58:
	s_or_b32 exec_lo, exec_lo, s10
	s_delay_alu instid0(SALU_CYCLE_1)
	s_or_not1_b32 s10, s0, exec_lo
.LBB1378_59:
	s_or_b32 exec_lo, exec_lo, s18
	v_dual_cndmask_b32 v6, v10, v11, s10 :: v_dual_cndmask_b32 v7, v36, v1, s10
	s_mov_b32 s18, exec_lo
	s_delay_alu instid0(VALU_DEP_1) | instskip(NEXT) | instid1(VALU_DEP_1)
	v_add_nc_u32_e32 v6, 1, v6
	v_add_min_u32_e64 v7, v7, -1, v6
	s_delay_alu instid0(VALU_DEP_1)
	v_lshlrev_b32_e32 v7, 3, v7
	ds_load_b64 v[8:9], v7
	v_cndmask_b32_e64 v12, v6, v10, s10
	s_wait_dscnt 0x0
	v_dual_cndmask_b32 v13, v11, v6, s10 :: v_dual_cndmask_b32 v6, v8, v4, s10
	v_cndmask_b32_e64 v7, v9, v5, s10
	v_dual_cndmask_b32 v19, v17, v9, s10 :: v_dual_cndmask_b32 v18, v16, v8, s10
	v_cmpx_lt_u32_e64 v12, v36
	s_cbranch_execz .LBB1378_70
; %bb.60:
	s_mov_b32 s0, 0
	s_mov_b32 s11, exec_lo
	v_cmpx_lt_u32_e64 v13, v1
	s_cbranch_execz .LBB1378_69
; %bb.61:
	s_and_not1_b32 vcc_lo, exec_lo, s4
	s_cbranch_vccnz .LBB1378_67
; %bb.62:
	v_mul_u64_e32 v[8:9], s[12:13], v[6:7]
	v_mul_u64_e32 v[10:11], s[12:13], v[18:19]
	s_mov_b32 s19, 0
	s_mov_b64 s[2:3], s[12:13]
                                        ; implicit-def: $sgpr20
                                        ; implicit-def: $sgpr21
                                        ; implicit-def: $sgpr22
                                        ; implicit-def: $sgpr23
	s_delay_alu instid0(VALU_DEP_2) | instskip(NEXT) | instid1(VALU_DEP_2)
	v_lshl_add_u64 v[8:9], v[8:9], 1, s[14:15]
	v_lshl_add_u64 v[10:11], v[10:11], 1, s[14:15]
	s_branch .LBB1378_64
.LBB1378_63:                            ;   in Loop: Header=BB1378_64 Depth=1
	s_or_b32 exec_lo, exec_lo, s24
	s_delay_alu instid0(SALU_CYCLE_1) | instskip(NEXT) | instid1(SALU_CYCLE_1)
	s_and_b32 s24, exec_lo, s21
	s_or_b32 s19, s24, s19
	s_and_not1_b32 s23, s23, exec_lo
	s_and_b32 s0, s0, exec_lo
	s_and_not1_b32 s20, s20, exec_lo
	s_and_b32 s24, s22, exec_lo
	s_or_b32 s23, s23, s0
	s_or_b32 s20, s20, s24
	s_and_not1_b32 exec_lo, exec_lo, s19
	s_cbranch_execz .LBB1378_66
.LBB1378_64:                            ; =>This Inner Loop Header: Depth=1
	global_load_u16 v21, v[8:9], off
	global_load_u16 v22, v[10:11], off
	s_and_not1_b32 s22, s22, exec_lo
	s_or_b32 s21, s21, exec_lo
	s_wait_loadcnt 0x0
	v_cmp_le_u16_e32 vcc_lo, v21, v22
	v_cmp_lt_u16_e64 s0, v21, v22
	s_and_b32 s24, vcc_lo, s23
	s_delay_alu instid0(SALU_CYCLE_1) | instskip(NEXT) | instid1(SALU_CYCLE_1)
	s_or_b32 s0, s0, s24
	s_and_b32 s24, s0, exec_lo
	s_delay_alu instid0(SALU_CYCLE_1)
	s_or_b32 s22, s22, s24
	s_mov_b32 s24, exec_lo
	v_cmpx_eq_u16_e64 v21, v22
	s_cbranch_execz .LBB1378_63
; %bb.65:                               ;   in Loop: Header=BB1378_64 Depth=1
	s_add_nc_u64 s[2:3], s[2:3], -1
	v_add_nc_u64_e32 v[8:9], 2, v[8:9]
	s_cmp_eq_u64 s[2:3], 0
	v_add_nc_u64_e32 v[10:11], 2, v[10:11]
	s_cselect_b32 s23, -1, 0
	s_and_not1_b32 s21, s21, exec_lo
	s_and_b32 s23, s23, exec_lo
	s_and_not1_b32 s22, s22, exec_lo
	s_or_b32 s21, s21, s23
                                        ; implicit-def: $sgpr23
	s_branch .LBB1378_63
.LBB1378_66:
	s_or_b32 exec_lo, exec_lo, s19
	s_xor_b32 s0, s20, -1
	s_branch .LBB1378_68
.LBB1378_67:
	s_mov_b32 s0, -1
.LBB1378_68:
	s_delay_alu instid0(SALU_CYCLE_1)
	s_and_b32 s0, s0, exec_lo
.LBB1378_69:
	s_or_b32 exec_lo, exec_lo, s11
	s_delay_alu instid0(SALU_CYCLE_1)
	s_or_not1_b32 s11, s0, exec_lo
.LBB1378_70:
	s_or_b32 exec_lo, exec_lo, s18
	v_cndmask_b32_e64 v8, v12, v13, s11
	v_cndmask_b32_e64 v9, v36, v1, s11
	s_mov_b32 s19, -1
	s_mov_b32 s18, -1
	s_mov_b32 s20, exec_lo
	v_add_nc_u32_e32 v8, 1, v8
	s_delay_alu instid0(VALU_DEP_1) | instskip(NEXT) | instid1(VALU_DEP_1)
	v_add_min_u32_e64 v9, v9, -1, v8
	v_dual_cndmask_b32 v21, v8, v12, s11 :: v_dual_lshlrev_b32 v9, 3, v9
	ds_load_b64 v[10:11], v9
	s_wait_dscnt 0x0
	v_dual_cndmask_b32 v24, v13, v8, s11 :: v_dual_cndmask_b32 v8, v10, v6, s11
	v_cndmask_b32_e64 v9, v11, v7, s11
	v_dual_cndmask_b32 v23, v19, v11, s11 :: v_dual_cndmask_b32 v22, v18, v10, s11
	v_cmpx_lt_u32_e64 v21, v36
	s_cbranch_execz .LBB1378_81
; %bb.71:
	s_mov_b32 s0, 0
	s_mov_b32 s18, exec_lo
	v_cmpx_lt_u32_e64 v24, v1
	s_cbranch_execz .LBB1378_80
; %bb.72:
	s_and_not1_b32 vcc_lo, exec_lo, s4
	s_cbranch_vccnz .LBB1378_78
; %bb.73:
	v_mul_u64_e32 v[10:11], s[12:13], v[8:9]
	v_mul_u64_e32 v[12:13], s[12:13], v[22:23]
	s_mov_b32 s21, 0
	s_mov_b64 s[2:3], s[12:13]
                                        ; implicit-def: $sgpr22
                                        ; implicit-def: $sgpr23
                                        ; implicit-def: $sgpr24
                                        ; implicit-def: $sgpr25
	s_delay_alu instid0(VALU_DEP_2) | instskip(NEXT) | instid1(VALU_DEP_2)
	v_lshl_add_u64 v[10:11], v[10:11], 1, s[14:15]
	v_lshl_add_u64 v[12:13], v[12:13], 1, s[14:15]
	s_branch .LBB1378_75
.LBB1378_74:                            ;   in Loop: Header=BB1378_75 Depth=1
	s_or_b32 exec_lo, exec_lo, s26
	s_delay_alu instid0(SALU_CYCLE_1) | instskip(NEXT) | instid1(SALU_CYCLE_1)
	s_and_b32 s26, exec_lo, s23
	s_or_b32 s21, s26, s21
	s_and_not1_b32 s25, s25, exec_lo
	s_and_b32 s0, s0, exec_lo
	s_and_not1_b32 s22, s22, exec_lo
	s_and_b32 s26, s24, exec_lo
	s_or_b32 s25, s25, s0
	s_or_b32 s22, s22, s26
	s_and_not1_b32 exec_lo, exec_lo, s21
	s_cbranch_execz .LBB1378_77
.LBB1378_75:                            ; =>This Inner Loop Header: Depth=1
	global_load_u16 v25, v[10:11], off
	global_load_u16 v26, v[12:13], off
	s_and_not1_b32 s24, s24, exec_lo
	s_or_b32 s23, s23, exec_lo
	s_wait_loadcnt 0x0
	v_cmp_le_u16_e32 vcc_lo, v25, v26
	v_cmp_lt_u16_e64 s0, v25, v26
	s_and_b32 s26, vcc_lo, s25
	s_delay_alu instid0(SALU_CYCLE_1) | instskip(NEXT) | instid1(SALU_CYCLE_1)
	s_or_b32 s0, s0, s26
	s_and_b32 s26, s0, exec_lo
	s_delay_alu instid0(SALU_CYCLE_1)
	s_or_b32 s24, s24, s26
	s_mov_b32 s26, exec_lo
	v_cmpx_eq_u16_e64 v25, v26
	s_cbranch_execz .LBB1378_74
; %bb.76:                               ;   in Loop: Header=BB1378_75 Depth=1
	s_add_nc_u64 s[2:3], s[2:3], -1
	v_add_nc_u64_e32 v[10:11], 2, v[10:11]
	s_cmp_eq_u64 s[2:3], 0
	v_add_nc_u64_e32 v[12:13], 2, v[12:13]
	s_cselect_b32 s25, -1, 0
	s_and_not1_b32 s23, s23, exec_lo
	s_and_b32 s25, s25, exec_lo
	s_and_not1_b32 s24, s24, exec_lo
	s_or_b32 s23, s23, s25
                                        ; implicit-def: $sgpr25
	s_branch .LBB1378_74
.LBB1378_77:
	s_or_b32 exec_lo, exec_lo, s21
	s_xor_b32 s0, s22, -1
	s_branch .LBB1378_79
.LBB1378_78:
	s_mov_b32 s0, -1
.LBB1378_79:
	s_delay_alu instid0(SALU_CYCLE_1)
	s_and_b32 s0, s0, exec_lo
.LBB1378_80:
	s_or_b32 exec_lo, exec_lo, s18
	s_delay_alu instid0(SALU_CYCLE_1)
	s_or_not1_b32 s18, s0, exec_lo
.LBB1378_81:
	s_or_b32 exec_lo, exec_lo, s20
	v_dual_cndmask_b32 v10, v21, v24, s18 :: v_dual_cndmask_b32 v11, v36, v1, s18
	s_mov_b32 s20, exec_lo
	s_delay_alu instid0(VALU_DEP_1) | instskip(NEXT) | instid1(VALU_DEP_1)
	v_add_nc_u32_e32 v10, 1, v10
	v_add_min_u32_e64 v11, v11, -1, v10
	s_delay_alu instid0(VALU_DEP_1)
	v_dual_lshlrev_b32 v11, 3, v11 :: v_dual_cndmask_b32 v21, v10, v21, s18
	v_cndmask_b32_e64 v28, v24, v10, s18
	ds_load_b64 v[12:13], v11
	s_wait_dscnt 0x0
	v_dual_cndmask_b32 v11, v13, v9, s18 :: v_dual_cndmask_b32 v10, v12, v8, s18
	v_dual_cndmask_b32 v25, v23, v13, s18 :: v_dual_cndmask_b32 v24, v22, v12, s18
	v_cmpx_lt_u32_e64 v21, v36
	s_cbranch_execz .LBB1378_92
; %bb.82:
	s_mov_b32 s0, 0
	s_mov_b32 s19, exec_lo
	v_cmpx_lt_u32_e64 v28, v1
	s_cbranch_execz .LBB1378_91
; %bb.83:
	s_and_not1_b32 vcc_lo, exec_lo, s4
	s_cbranch_vccnz .LBB1378_89
; %bb.84:
	v_mul_u64_e32 v[12:13], s[12:13], v[10:11]
	v_mul_u64_e32 v[26:27], s[12:13], v[24:25]
	s_mov_b32 s21, 0
	s_mov_b64 s[2:3], s[12:13]
                                        ; implicit-def: $sgpr22
                                        ; implicit-def: $sgpr23
                                        ; implicit-def: $sgpr24
                                        ; implicit-def: $sgpr25
	s_delay_alu instid0(VALU_DEP_2) | instskip(NEXT) | instid1(VALU_DEP_2)
	v_lshl_add_u64 v[12:13], v[12:13], 1, s[14:15]
	v_lshl_add_u64 v[26:27], v[26:27], 1, s[14:15]
	s_branch .LBB1378_86
.LBB1378_85:                            ;   in Loop: Header=BB1378_86 Depth=1
	s_or_b32 exec_lo, exec_lo, s26
	s_delay_alu instid0(SALU_CYCLE_1) | instskip(NEXT) | instid1(SALU_CYCLE_1)
	s_and_b32 s26, exec_lo, s23
	s_or_b32 s21, s26, s21
	s_and_not1_b32 s25, s25, exec_lo
	s_and_b32 s0, s0, exec_lo
	s_and_not1_b32 s22, s22, exec_lo
	s_and_b32 s26, s24, exec_lo
	s_or_b32 s25, s25, s0
	s_or_b32 s22, s22, s26
	s_and_not1_b32 exec_lo, exec_lo, s21
	s_cbranch_execz .LBB1378_88
.LBB1378_86:                            ; =>This Inner Loop Header: Depth=1
	global_load_u16 v29, v[12:13], off
	global_load_u16 v30, v[26:27], off
	s_and_not1_b32 s24, s24, exec_lo
	s_or_b32 s23, s23, exec_lo
	s_wait_loadcnt 0x0
	v_cmp_le_u16_e32 vcc_lo, v29, v30
	v_cmp_lt_u16_e64 s0, v29, v30
	s_and_b32 s26, vcc_lo, s25
	s_delay_alu instid0(SALU_CYCLE_1) | instskip(NEXT) | instid1(SALU_CYCLE_1)
	s_or_b32 s0, s0, s26
	s_and_b32 s26, s0, exec_lo
	s_delay_alu instid0(SALU_CYCLE_1)
	s_or_b32 s24, s24, s26
	s_mov_b32 s26, exec_lo
	v_cmpx_eq_u16_e64 v29, v30
	s_cbranch_execz .LBB1378_85
; %bb.87:                               ;   in Loop: Header=BB1378_86 Depth=1
	s_add_nc_u64 s[2:3], s[2:3], -1
	v_add_nc_u64_e32 v[12:13], 2, v[12:13]
	s_cmp_eq_u64 s[2:3], 0
	v_add_nc_u64_e32 v[26:27], 2, v[26:27]
	s_cselect_b32 s25, -1, 0
	s_and_not1_b32 s23, s23, exec_lo
	s_and_b32 s25, s25, exec_lo
	s_and_not1_b32 s24, s24, exec_lo
	s_or_b32 s23, s23, s25
                                        ; implicit-def: $sgpr25
	s_branch .LBB1378_85
.LBB1378_88:
	s_or_b32 exec_lo, exec_lo, s21
	s_xor_b32 s0, s22, -1
	s_branch .LBB1378_90
.LBB1378_89:
	s_mov_b32 s0, -1
.LBB1378_90:
	s_delay_alu instid0(SALU_CYCLE_1)
	s_and_b32 s0, s0, exec_lo
.LBB1378_91:
	s_or_b32 exec_lo, exec_lo, s19
	s_delay_alu instid0(SALU_CYCLE_1)
	s_or_not1_b32 s19, s0, exec_lo
.LBB1378_92:
	s_or_b32 exec_lo, exec_lo, s20
	v_dual_cndmask_b32 v12, v21, v28, s19 :: v_dual_cndmask_b32 v13, v36, v1, s19
	s_mov_b32 s20, -1
	s_mov_b32 s21, -1
	s_mov_b32 s22, exec_lo
	s_delay_alu instid0(VALU_DEP_1) | instskip(NEXT) | instid1(VALU_DEP_1)
	v_add_nc_u32_e32 v12, 1, v12
	v_add_min_u32_e64 v13, v13, -1, v12
	s_delay_alu instid0(VALU_DEP_1)
	v_lshlrev_b32_e32 v13, 3, v13
	ds_load_b64 v[26:27], v13
	v_cndmask_b32_e64 v21, v12, v21, s19
	s_wait_dscnt 0x0
	v_dual_cndmask_b32 v32, v28, v12, s19 :: v_dual_cndmask_b32 v12, v26, v10, s19
	v_cndmask_b32_e64 v13, v27, v11, s19
	v_dual_cndmask_b32 v27, v25, v27, s19 :: v_dual_cndmask_b32 v26, v24, v26, s19
	v_cmpx_lt_u32_e64 v21, v36
	s_cbranch_execz .LBB1378_103
; %bb.93:
	s_mov_b32 s0, 0
	s_mov_b32 s21, exec_lo
	v_cmpx_lt_u32_e64 v32, v1
	s_cbranch_execz .LBB1378_102
; %bb.94:
	s_and_not1_b32 vcc_lo, exec_lo, s4
	s_cbranch_vccnz .LBB1378_100
; %bb.95:
	v_mul_u64_e32 v[28:29], s[12:13], v[12:13]
	v_mul_u64_e32 v[30:31], s[12:13], v[26:27]
	s_mov_b32 s23, 0
	s_mov_b64 s[2:3], s[12:13]
                                        ; implicit-def: $sgpr24
                                        ; implicit-def: $sgpr25
                                        ; implicit-def: $sgpr26
                                        ; implicit-def: $sgpr27
	s_delay_alu instid0(VALU_DEP_2) | instskip(NEXT) | instid1(VALU_DEP_2)
	v_lshl_add_u64 v[28:29], v[28:29], 1, s[14:15]
	v_lshl_add_u64 v[30:31], v[30:31], 1, s[14:15]
	s_branch .LBB1378_97
.LBB1378_96:                            ;   in Loop: Header=BB1378_97 Depth=1
	s_or_b32 exec_lo, exec_lo, s28
	s_delay_alu instid0(SALU_CYCLE_1) | instskip(NEXT) | instid1(SALU_CYCLE_1)
	s_and_b32 s28, exec_lo, s25
	s_or_b32 s23, s28, s23
	s_and_not1_b32 s27, s27, exec_lo
	s_and_b32 s0, s0, exec_lo
	s_and_not1_b32 s24, s24, exec_lo
	s_and_b32 s28, s26, exec_lo
	s_or_b32 s27, s27, s0
	s_or_b32 s24, s24, s28
	s_and_not1_b32 exec_lo, exec_lo, s23
	s_cbranch_execz .LBB1378_99
.LBB1378_97:                            ; =>This Inner Loop Header: Depth=1
	global_load_u16 v33, v[28:29], off
	global_load_u16 v34, v[30:31], off
	s_and_not1_b32 s26, s26, exec_lo
	s_or_b32 s25, s25, exec_lo
	s_wait_loadcnt 0x0
	v_cmp_le_u16_e32 vcc_lo, v33, v34
	v_cmp_lt_u16_e64 s0, v33, v34
	s_and_b32 s28, vcc_lo, s27
	s_delay_alu instid0(SALU_CYCLE_1) | instskip(NEXT) | instid1(SALU_CYCLE_1)
	s_or_b32 s0, s0, s28
	s_and_b32 s28, s0, exec_lo
	s_delay_alu instid0(SALU_CYCLE_1)
	s_or_b32 s26, s26, s28
	s_mov_b32 s28, exec_lo
	v_cmpx_eq_u16_e64 v33, v34
	s_cbranch_execz .LBB1378_96
; %bb.98:                               ;   in Loop: Header=BB1378_97 Depth=1
	s_add_nc_u64 s[2:3], s[2:3], -1
	v_add_nc_u64_e32 v[28:29], 2, v[28:29]
	s_cmp_eq_u64 s[2:3], 0
	v_add_nc_u64_e32 v[30:31], 2, v[30:31]
	s_cselect_b32 s27, -1, 0
	s_and_not1_b32 s25, s25, exec_lo
	s_and_b32 s27, s27, exec_lo
	s_and_not1_b32 s26, s26, exec_lo
	s_or_b32 s25, s25, s27
                                        ; implicit-def: $sgpr27
	s_branch .LBB1378_96
.LBB1378_99:
	s_or_b32 exec_lo, exec_lo, s23
	s_xor_b32 s0, s24, -1
	s_branch .LBB1378_101
.LBB1378_100:
	s_mov_b32 s0, -1
.LBB1378_101:
	s_delay_alu instid0(SALU_CYCLE_1)
	s_and_b32 s0, s0, exec_lo
.LBB1378_102:
	s_or_b32 exec_lo, exec_lo, s21
	s_delay_alu instid0(SALU_CYCLE_1)
	s_or_not1_b32 s21, s0, exec_lo
.LBB1378_103:
	s_or_b32 exec_lo, exec_lo, s22
	v_dual_cndmask_b32 v28, v21, v32, s21 :: v_dual_cndmask_b32 v29, v36, v1, s21
	s_mov_b32 s22, exec_lo
	s_delay_alu instid0(VALU_DEP_1) | instskip(NEXT) | instid1(VALU_DEP_1)
	v_add_nc_u32_e32 v28, 1, v28
	v_add_min_u32_e64 v29, v29, -1, v28
	s_delay_alu instid0(VALU_DEP_1)
	v_lshlrev_b32_e32 v29, 3, v29
	ds_load_b64 v[30:31], v29
	v_cndmask_b32_e64 v37, v28, v21, s21
	s_wait_dscnt 0x0
	v_dual_cndmask_b32 v21, v32, v28, s21 :: v_dual_cndmask_b32 v29, v31, v13, s21
	v_dual_cndmask_b32 v28, v30, v12, s21 :: v_dual_cndmask_b32 v31, v27, v31, s21
	v_cndmask_b32_e64 v30, v26, v30, s21
	v_cmpx_lt_u32_e64 v37, v36
	s_cbranch_execz .LBB1378_114
; %bb.104:
	s_mov_b32 s0, 0
	s_mov_b32 s20, exec_lo
	v_cmpx_lt_u32_e64 v21, v1
	s_cbranch_execz .LBB1378_113
; %bb.105:
	s_and_not1_b32 vcc_lo, exec_lo, s4
	s_cbranch_vccnz .LBB1378_111
; %bb.106:
	v_mul_u64_e32 v[32:33], s[12:13], v[28:29]
	v_mul_u64_e32 v[34:35], s[12:13], v[30:31]
	s_mov_b32 s23, 0
	s_mov_b64 s[2:3], s[12:13]
                                        ; implicit-def: $sgpr24
                                        ; implicit-def: $sgpr25
                                        ; implicit-def: $sgpr26
                                        ; implicit-def: $sgpr27
	s_delay_alu instid0(VALU_DEP_2) | instskip(NEXT) | instid1(VALU_DEP_2)
	v_lshl_add_u64 v[32:33], v[32:33], 1, s[14:15]
	v_lshl_add_u64 v[34:35], v[34:35], 1, s[14:15]
	s_branch .LBB1378_108
.LBB1378_107:                           ;   in Loop: Header=BB1378_108 Depth=1
	s_or_b32 exec_lo, exec_lo, s28
	s_delay_alu instid0(SALU_CYCLE_1) | instskip(NEXT) | instid1(SALU_CYCLE_1)
	s_and_b32 s28, exec_lo, s25
	s_or_b32 s23, s28, s23
	s_and_not1_b32 s27, s27, exec_lo
	s_and_b32 s0, s0, exec_lo
	s_and_not1_b32 s24, s24, exec_lo
	s_and_b32 s28, s26, exec_lo
	s_or_b32 s27, s27, s0
	s_or_b32 s24, s24, s28
	s_and_not1_b32 exec_lo, exec_lo, s23
	s_cbranch_execz .LBB1378_110
.LBB1378_108:                           ; =>This Inner Loop Header: Depth=1
	global_load_u16 v38, v[32:33], off
	global_load_u16 v39, v[34:35], off
	s_and_not1_b32 s26, s26, exec_lo
	s_or_b32 s25, s25, exec_lo
	s_wait_loadcnt 0x0
	v_cmp_le_u16_e32 vcc_lo, v38, v39
	v_cmp_lt_u16_e64 s0, v38, v39
	s_and_b32 s28, vcc_lo, s27
	s_delay_alu instid0(SALU_CYCLE_1) | instskip(NEXT) | instid1(SALU_CYCLE_1)
	s_or_b32 s0, s0, s28
	s_and_b32 s28, s0, exec_lo
	s_delay_alu instid0(SALU_CYCLE_1)
	s_or_b32 s26, s26, s28
	s_mov_b32 s28, exec_lo
	v_cmpx_eq_u16_e64 v38, v39
	s_cbranch_execz .LBB1378_107
; %bb.109:                              ;   in Loop: Header=BB1378_108 Depth=1
	s_add_nc_u64 s[2:3], s[2:3], -1
	v_add_nc_u64_e32 v[32:33], 2, v[32:33]
	s_cmp_eq_u64 s[2:3], 0
	v_add_nc_u64_e32 v[34:35], 2, v[34:35]
	s_cselect_b32 s27, -1, 0
	s_and_not1_b32 s25, s25, exec_lo
	s_and_b32 s27, s27, exec_lo
	s_and_not1_b32 s26, s26, exec_lo
	s_or_b32 s25, s25, s27
                                        ; implicit-def: $sgpr27
	s_branch .LBB1378_107
.LBB1378_110:
	s_or_b32 exec_lo, exec_lo, s23
	s_xor_b32 s0, s24, -1
	s_branch .LBB1378_112
.LBB1378_111:
	s_mov_b32 s0, -1
.LBB1378_112:
	s_delay_alu instid0(SALU_CYCLE_1)
	s_and_b32 s0, s0, exec_lo
.LBB1378_113:
	s_or_b32 exec_lo, exec_lo, s20
	s_delay_alu instid0(SALU_CYCLE_1)
	s_or_not1_b32 s20, s0, exec_lo
.LBB1378_114:
	s_or_b32 exec_lo, exec_lo, s22
	v_dual_cndmask_b32 v32, v37, v21, s20 :: v_dual_cndmask_b32 v12, v12, v26, s21
	v_cndmask_b32_e64 v33, v36, v1, s20
	v_dual_cndmask_b32 v11, v11, v25, s19 :: v_dual_cndmask_b32 v10, v10, v24, s19
	s_delay_alu instid0(VALU_DEP_3) | instskip(SKIP_2) | instid1(VALU_DEP_3)
	v_dual_add_nc_u32 v34, 1, v32 :: v_dual_cndmask_b32 v9, v9, v23, s18
	v_dual_cndmask_b32 v8, v8, v22, s18 :: v_dual_cndmask_b32 v7, v7, v19, s11
	v_cndmask_b32_e64 v6, v6, v18, s11
	v_add_min_u32_e64 v32, v33, -1, v34
	v_dual_cndmask_b32 v5, v5, v17, s10 :: v_dual_cndmask_b32 v4, v4, v16, s10
	v_dual_cndmask_b32 v3, v15, v3, s5 :: v_dual_cndmask_b32 v2, v14, v2, s5
	s_delay_alu instid0(VALU_DEP_3)
	v_dual_lshlrev_b32 v32, 3, v32 :: v_dual_cndmask_b32 v13, v13, v27, s21
	v_dual_cndmask_b32 v18, v34, v37, s20 :: v_dual_cndmask_b32 v15, v29, v31, s20
	s_mov_b32 s2, exec_lo
	ds_load_b64 v[32:33], v32
	s_wait_dscnt 0x0
	v_dual_cndmask_b32 v14, v28, v30, s20 :: v_dual_cndmask_b32 v17, v31, v33, s20
	v_cndmask_b32_e64 v16, v30, v32, s20
	v_cmpx_lt_u32_e64 v18, v36
	s_cbranch_execz .LBB1378_124
; %bb.115:
	v_dual_cndmask_b32 v21, v21, v34, s20 :: v_dual_cndmask_b32 v18, v32, v28, s20
	v_cndmask_b32_e64 v19, v33, v29, s20
	s_mov_b32 s3, exec_lo
	s_delay_alu instid0(VALU_DEP_2)
	v_cmpx_lt_u32_e64 v21, v1
	s_cbranch_execz .LBB1378_123
; %bb.116:
	s_and_not1_b32 vcc_lo, exec_lo, s4
	s_cbranch_vccnz .LBB1378_122
; %bb.117:
	v_mul_u64_e32 v[22:23], s[12:13], v[18:19]
	v_mul_u64_e32 v[24:25], s[12:13], v[16:17]
	s_mov_b32 s4, 0
                                        ; implicit-def: $sgpr5
                                        ; implicit-def: $sgpr10
                                        ; implicit-def: $sgpr11
	s_delay_alu instid0(VALU_DEP_2) | instskip(NEXT) | instid1(VALU_DEP_2)
	v_lshl_add_u64 v[22:23], v[22:23], 1, s[14:15]
	v_lshl_add_u64 v[24:25], v[24:25], 1, s[14:15]
                                        ; implicit-def: $sgpr14
	s_branch .LBB1378_119
.LBB1378_118:                           ;   in Loop: Header=BB1378_119 Depth=1
	s_or_b32 exec_lo, exec_lo, s15
	s_delay_alu instid0(SALU_CYCLE_1) | instskip(NEXT) | instid1(SALU_CYCLE_1)
	s_and_b32 s15, exec_lo, s10
	s_or_b32 s4, s15, s4
	s_and_not1_b32 s14, s14, exec_lo
	s_and_b32 s0, s0, exec_lo
	s_and_not1_b32 s5, s5, exec_lo
	s_and_b32 s15, s11, exec_lo
	s_or_b32 s14, s14, s0
	s_or_b32 s5, s5, s15
	s_and_not1_b32 exec_lo, exec_lo, s4
	s_cbranch_execz .LBB1378_121
.LBB1378_119:                           ; =>This Inner Loop Header: Depth=1
	global_load_u16 v1, v[22:23], off
	global_load_u16 v21, v[24:25], off
	s_and_not1_b32 s11, s11, exec_lo
	s_or_b32 s10, s10, exec_lo
	s_wait_loadcnt 0x0
	v_cmp_le_u16_e32 vcc_lo, v1, v21
	v_cmp_lt_u16_e64 s0, v1, v21
	s_and_b32 s15, vcc_lo, s14
	s_delay_alu instid0(SALU_CYCLE_1) | instskip(NEXT) | instid1(SALU_CYCLE_1)
	s_or_b32 s0, s0, s15
	s_and_b32 s15, s0, exec_lo
	s_delay_alu instid0(SALU_CYCLE_1)
	s_or_b32 s11, s11, s15
	s_mov_b32 s15, exec_lo
	v_cmpx_eq_u16_e64 v1, v21
	s_cbranch_execz .LBB1378_118
; %bb.120:                              ;   in Loop: Header=BB1378_119 Depth=1
	s_add_nc_u64 s[12:13], s[12:13], -1
	v_add_nc_u64_e32 v[22:23], 2, v[22:23]
	s_cmp_eq_u64 s[12:13], 0
	v_add_nc_u64_e32 v[24:25], 2, v[24:25]
	s_cselect_b32 s14, -1, 0
	s_and_not1_b32 s10, s10, exec_lo
	s_and_b32 s14, s14, exec_lo
	s_and_not1_b32 s11, s11, exec_lo
	s_or_b32 s10, s10, s14
                                        ; implicit-def: $sgpr14
	s_branch .LBB1378_118
.LBB1378_121:
	s_or_b32 exec_lo, exec_lo, s4
	v_dual_cndmask_b32 v17, v17, v19, s5 :: v_dual_cndmask_b32 v16, v16, v18, s5
.LBB1378_122:
	s_delay_alu instid0(VALU_DEP_1)
	v_mov_b64_e32 v[18:19], v[16:17]
.LBB1378_123:
	s_or_b32 exec_lo, exec_lo, s3
	s_delay_alu instid0(VALU_DEP_1)
	v_mov_b64_e32 v[16:17], v[18:19]
.LBB1378_124:
	s_or_b32 exec_lo, exec_lo, s2
.LBB1378_125:
	s_delay_alu instid0(SALU_CYCLE_1) | instskip(SKIP_4) | instid1(VALU_DEP_4)
	s_or_b32 exec_lo, exec_lo, s1
	v_or_b32_e32 v25, 0x80, v0
	v_lshrrev_b32_e32 v1, 2, v0
	v_or_b32_e32 v22, 0x100, v0
	v_lshlrev_b32_e32 v18, 3, v20
	v_lshrrev_b32_e32 v19, 2, v25
	s_barrier_signal -1
	s_delay_alu instid0(VALU_DEP_3) | instskip(NEXT) | instid1(VALU_DEP_3)
	v_lshrrev_b32_e32 v21, 2, v22
	v_lshl_add_u32 v18, v1, 3, v18
	s_barrier_wait -1
	s_barrier_signal -1
	s_barrier_wait -1
	ds_store_2addr_b64 v18, v[2:3], v[4:5] offset1:1
	ds_store_2addr_b64 v18, v[6:7], v[8:9] offset0:2 offset1:3
	v_and_b32_e32 v2, 56, v19
	v_and_b32_e32 v1, 24, v1
	v_or_b32_e32 v24, 0x180, v0
	v_and_b32_e32 v3, 0x58, v21
	v_or_b32_e32 v23, 0x200, v0
	s_delay_alu instid0(VALU_DEP_4) | instskip(NEXT) | instid1(VALU_DEP_4)
	v_dual_add_nc_u32 v6, v2, v20 :: v_dual_add_nc_u32 v26, v1, v20
	v_lshrrev_b32_e32 v1, 2, v24
	ds_store_2addr_b64 v18, v[10:11], v[12:13] offset0:4 offset1:5
	ds_store_2addr_b64 v18, v[14:15], v[16:17] offset0:6 offset1:7
	v_or_b32_e32 v19, 0x280, v0
	v_add_nc_u32_e32 v7, v3, v20
	v_or_b32_e32 v18, 0x300, v0
	v_lshrrev_b32_e32 v3, 2, v23
	v_and_b32_e32 v2, 0x78, v1
	v_or_b32_e32 v1, 0x380, v0
	s_delay_alu instid0(VALU_DEP_4) | instskip(NEXT) | instid1(VALU_DEP_4)
	v_dual_lshrrev_b32 v4, 2, v19 :: v_dual_lshrrev_b32 v5, 2, v18
	v_and_b32_e32 v3, 0x98, v3
	s_delay_alu instid0(VALU_DEP_3)
	v_dual_add_nc_u32 v8, v2, v20 :: v_dual_lshrrev_b32 v2, 2, v1
	v_mov_b32_e32 v21, 0
	s_lshl_b64 s[0:1], s[16:17], 3
	v_and_b32_e32 v4, 0xb8, v4
	v_and_b32_e32 v5, 0xd8, v5
	;; [unrolled: 1-line block ×3, first 2 shown]
	s_add_nc_u64 s[0:1], s[6:7], s[0:1]
	s_delay_alu instid0(VALU_DEP_3) | instskip(SKIP_1) | instid1(VALU_DEP_3)
	v_dual_add_nc_u32 v9, v3, v20 :: v_dual_add_nc_u32 v27, v4, v20
	v_add_nc_u64_e32 v[2:3], s[0:1], v[20:21]
	v_dual_add_nc_u32 v28, v5, v20 :: v_dual_add_nc_u32 v20, v10, v20
	s_and_b32 vcc_lo, exec_lo, s9
	s_wait_dscnt 0x0
	s_cbranch_vccz .LBB1378_127
; %bb.126:
	s_barrier_signal -1
	s_barrier_wait -1
	ds_load_b64 v[10:11], v26
	ds_load_b64 v[12:13], v6 offset:1024
	ds_load_b64 v[14:15], v7 offset:2048
	;; [unrolled: 1-line block ×7, first 2 shown]
	s_mov_b32 s0, -1
	s_wait_dscnt 0x7
	global_store_b64 v[2:3], v[10:11], off
	s_wait_dscnt 0x6
	global_store_b64 v[2:3], v[12:13], off offset:1024
	s_wait_dscnt 0x5
	global_store_b64 v[2:3], v[14:15], off offset:2048
	;; [unrolled: 2-line block ×6, first 2 shown]
	s_cbranch_execz .LBB1378_128
	s_branch .LBB1378_137
.LBB1378_127:
	s_mov_b32 s0, 0
                                        ; implicit-def: $vgpr4_vgpr5
.LBB1378_128:
	s_barrier_signal -1
	s_barrier_wait -1
	s_wait_storecnt_dscnt 0x0
	s_wait_xcnt 0x3
	ds_load_b64 v[16:17], v6 offset:1024
	ds_load_b64 v[14:15], v7 offset:2048
	;; [unrolled: 1-line block ×7, first 2 shown]
	s_sub_co_i32 s0, s8, s16
	s_mov_b32 s1, exec_lo
	s_wait_xcnt 0x0
	v_cmpx_gt_u32_e64 s0, v0
	s_cbranch_execnz .LBB1378_140
; %bb.129:
	s_or_b32 exec_lo, exec_lo, s1
	s_delay_alu instid0(SALU_CYCLE_1)
	s_mov_b32 s1, exec_lo
	v_cmpx_gt_u32_e64 s0, v25
	s_cbranch_execnz .LBB1378_141
.LBB1378_130:
	s_or_b32 exec_lo, exec_lo, s1
	s_delay_alu instid0(SALU_CYCLE_1)
	s_mov_b32 s1, exec_lo
	v_cmpx_gt_u32_e64 s0, v22
	s_cbranch_execnz .LBB1378_142
.LBB1378_131:
	s_or_b32 exec_lo, exec_lo, s1
	s_delay_alu instid0(SALU_CYCLE_1)
	s_mov_b32 s1, exec_lo
	v_cmpx_gt_u32_e64 s0, v24
	s_cbranch_execnz .LBB1378_143
.LBB1378_132:
	s_or_b32 exec_lo, exec_lo, s1
	s_delay_alu instid0(SALU_CYCLE_1)
	s_mov_b32 s1, exec_lo
	v_cmpx_gt_u32_e64 s0, v23
	s_cbranch_execnz .LBB1378_144
.LBB1378_133:
	s_or_b32 exec_lo, exec_lo, s1
	s_delay_alu instid0(SALU_CYCLE_1)
	s_mov_b32 s1, exec_lo
	v_cmpx_gt_u32_e64 s0, v19
	s_cbranch_execnz .LBB1378_145
.LBB1378_134:
	s_or_b32 exec_lo, exec_lo, s1
	s_delay_alu instid0(SALU_CYCLE_1)
	s_mov_b32 s1, exec_lo
	v_cmpx_gt_u32_e64 s0, v18
	s_cbranch_execz .LBB1378_136
.LBB1378_135:
	s_wait_dscnt 0x1
	global_store_b64 v[2:3], v[6:7], off offset:6144
.LBB1378_136:
	s_wait_xcnt 0x0
	s_or_b32 exec_lo, exec_lo, s1
	v_cmp_gt_u32_e64 s0, s0, v1
.LBB1378_137:
	s_wait_xcnt 0x0
	s_delay_alu instid0(VALU_DEP_1)
	s_and_saveexec_b32 s1, s0
	s_cbranch_execz .LBB1378_139
; %bb.138:
	s_wait_dscnt 0x0
	global_store_b64 v[2:3], v[4:5], off offset:7168
.LBB1378_139:
	s_endpgm
.LBB1378_140:
	ds_load_b64 v[20:21], v26
	s_wait_dscnt 0x0
	global_store_b64 v[2:3], v[20:21], off
	s_wait_xcnt 0x0
	s_or_b32 exec_lo, exec_lo, s1
	s_delay_alu instid0(SALU_CYCLE_1)
	s_mov_b32 s1, exec_lo
	v_cmpx_gt_u32_e64 s0, v25
	s_cbranch_execz .LBB1378_130
.LBB1378_141:
	s_wait_dscnt 0x6
	global_store_b64 v[2:3], v[16:17], off offset:1024
	s_wait_xcnt 0x0
	s_or_b32 exec_lo, exec_lo, s1
	s_delay_alu instid0(SALU_CYCLE_1)
	s_mov_b32 s1, exec_lo
	v_cmpx_gt_u32_e64 s0, v22
	s_cbranch_execz .LBB1378_131
.LBB1378_142:
	s_wait_dscnt 0x5
	global_store_b64 v[2:3], v[14:15], off offset:2048
	s_wait_xcnt 0x0
	s_or_b32 exec_lo, exec_lo, s1
	s_delay_alu instid0(SALU_CYCLE_1)
	s_mov_b32 s1, exec_lo
	v_cmpx_gt_u32_e64 s0, v24
	s_cbranch_execz .LBB1378_132
.LBB1378_143:
	s_wait_dscnt 0x4
	global_store_b64 v[2:3], v[12:13], off offset:3072
	s_wait_xcnt 0x0
	s_or_b32 exec_lo, exec_lo, s1
	s_delay_alu instid0(SALU_CYCLE_1)
	s_mov_b32 s1, exec_lo
	v_cmpx_gt_u32_e64 s0, v23
	s_cbranch_execz .LBB1378_133
.LBB1378_144:
	s_wait_dscnt 0x3
	global_store_b64 v[2:3], v[10:11], off offset:4096
	s_wait_xcnt 0x0
	s_or_b32 exec_lo, exec_lo, s1
	s_delay_alu instid0(SALU_CYCLE_1)
	s_mov_b32 s1, exec_lo
	v_cmpx_gt_u32_e64 s0, v19
	s_cbranch_execz .LBB1378_134
.LBB1378_145:
	s_wait_dscnt 0x2
	global_store_b64 v[2:3], v[8:9], off offset:5120
	s_wait_xcnt 0x0
	s_or_b32 exec_lo, exec_lo, s1
	s_delay_alu instid0(SALU_CYCLE_1)
	s_mov_b32 s1, exec_lo
	v_cmpx_gt_u32_e64 s0, v18
	s_cbranch_execnz .LBB1378_135
	s_branch .LBB1378_136
	.section	.rodata,"a",@progbits
	.p2align	6, 0x0
	.amdhsa_kernel _ZN7rocprim17ROCPRIM_400000_NS6detail17trampoline_kernelINS0_14default_configENS1_38merge_sort_block_merge_config_selectorIlNS0_10empty_typeEEEZZNS1_27merge_sort_block_merge_implIS3_PlPS5_mZN2at6native12_GLOBAL__N_124unique_dim_cuda_templateItEESt5tupleIJNSA_6TensorESF_SF_EERKSF_lbbbEUlllE_EE10hipError_tT0_T1_T2_jT3_P12ihipStream_tbPNSt15iterator_traitsISL_E10value_typeEPNSR_ISM_E10value_typeEPSN_NS1_7vsmem_tEENKUlT_SL_SM_SN_E_clIS8_S8_S9_S9_EESK_S10_SL_SM_SN_EUlS10_E0_NS1_11comp_targetILNS1_3genE0ELNS1_11target_archE4294967295ELNS1_3gpuE0ELNS1_3repE0EEENS1_38merge_mergepath_config_static_selectorELNS0_4arch9wavefront6targetE0EEEvSM_
		.amdhsa_group_segment_fixed_size 8448
		.amdhsa_private_segment_fixed_size 0
		.amdhsa_kernarg_size 344
		.amdhsa_user_sgpr_count 2
		.amdhsa_user_sgpr_dispatch_ptr 0
		.amdhsa_user_sgpr_queue_ptr 0
		.amdhsa_user_sgpr_kernarg_segment_ptr 1
		.amdhsa_user_sgpr_dispatch_id 0
		.amdhsa_user_sgpr_kernarg_preload_length 0
		.amdhsa_user_sgpr_kernarg_preload_offset 0
		.amdhsa_user_sgpr_private_segment_size 0
		.amdhsa_wavefront_size32 1
		.amdhsa_uses_dynamic_stack 0
		.amdhsa_enable_private_segment 0
		.amdhsa_system_sgpr_workgroup_id_x 1
		.amdhsa_system_sgpr_workgroup_id_y 1
		.amdhsa_system_sgpr_workgroup_id_z 1
		.amdhsa_system_sgpr_workgroup_info 0
		.amdhsa_system_vgpr_workitem_id 0
		.amdhsa_next_free_vgpr 40
		.amdhsa_next_free_sgpr 31
		.amdhsa_named_barrier_count 0
		.amdhsa_reserve_vcc 1
		.amdhsa_float_round_mode_32 0
		.amdhsa_float_round_mode_16_64 0
		.amdhsa_float_denorm_mode_32 3
		.amdhsa_float_denorm_mode_16_64 3
		.amdhsa_fp16_overflow 0
		.amdhsa_memory_ordered 1
		.amdhsa_forward_progress 1
		.amdhsa_inst_pref_size 53
		.amdhsa_round_robin_scheduling 0
		.amdhsa_exception_fp_ieee_invalid_op 0
		.amdhsa_exception_fp_denorm_src 0
		.amdhsa_exception_fp_ieee_div_zero 0
		.amdhsa_exception_fp_ieee_overflow 0
		.amdhsa_exception_fp_ieee_underflow 0
		.amdhsa_exception_fp_ieee_inexact 0
		.amdhsa_exception_int_div_zero 0
	.end_amdhsa_kernel
	.section	.text._ZN7rocprim17ROCPRIM_400000_NS6detail17trampoline_kernelINS0_14default_configENS1_38merge_sort_block_merge_config_selectorIlNS0_10empty_typeEEEZZNS1_27merge_sort_block_merge_implIS3_PlPS5_mZN2at6native12_GLOBAL__N_124unique_dim_cuda_templateItEESt5tupleIJNSA_6TensorESF_SF_EERKSF_lbbbEUlllE_EE10hipError_tT0_T1_T2_jT3_P12ihipStream_tbPNSt15iterator_traitsISL_E10value_typeEPNSR_ISM_E10value_typeEPSN_NS1_7vsmem_tEENKUlT_SL_SM_SN_E_clIS8_S8_S9_S9_EESK_S10_SL_SM_SN_EUlS10_E0_NS1_11comp_targetILNS1_3genE0ELNS1_11target_archE4294967295ELNS1_3gpuE0ELNS1_3repE0EEENS1_38merge_mergepath_config_static_selectorELNS0_4arch9wavefront6targetE0EEEvSM_,"axG",@progbits,_ZN7rocprim17ROCPRIM_400000_NS6detail17trampoline_kernelINS0_14default_configENS1_38merge_sort_block_merge_config_selectorIlNS0_10empty_typeEEEZZNS1_27merge_sort_block_merge_implIS3_PlPS5_mZN2at6native12_GLOBAL__N_124unique_dim_cuda_templateItEESt5tupleIJNSA_6TensorESF_SF_EERKSF_lbbbEUlllE_EE10hipError_tT0_T1_T2_jT3_P12ihipStream_tbPNSt15iterator_traitsISL_E10value_typeEPNSR_ISM_E10value_typeEPSN_NS1_7vsmem_tEENKUlT_SL_SM_SN_E_clIS8_S8_S9_S9_EESK_S10_SL_SM_SN_EUlS10_E0_NS1_11comp_targetILNS1_3genE0ELNS1_11target_archE4294967295ELNS1_3gpuE0ELNS1_3repE0EEENS1_38merge_mergepath_config_static_selectorELNS0_4arch9wavefront6targetE0EEEvSM_,comdat
.Lfunc_end1378:
	.size	_ZN7rocprim17ROCPRIM_400000_NS6detail17trampoline_kernelINS0_14default_configENS1_38merge_sort_block_merge_config_selectorIlNS0_10empty_typeEEEZZNS1_27merge_sort_block_merge_implIS3_PlPS5_mZN2at6native12_GLOBAL__N_124unique_dim_cuda_templateItEESt5tupleIJNSA_6TensorESF_SF_EERKSF_lbbbEUlllE_EE10hipError_tT0_T1_T2_jT3_P12ihipStream_tbPNSt15iterator_traitsISL_E10value_typeEPNSR_ISM_E10value_typeEPSN_NS1_7vsmem_tEENKUlT_SL_SM_SN_E_clIS8_S8_S9_S9_EESK_S10_SL_SM_SN_EUlS10_E0_NS1_11comp_targetILNS1_3genE0ELNS1_11target_archE4294967295ELNS1_3gpuE0ELNS1_3repE0EEENS1_38merge_mergepath_config_static_selectorELNS0_4arch9wavefront6targetE0EEEvSM_, .Lfunc_end1378-_ZN7rocprim17ROCPRIM_400000_NS6detail17trampoline_kernelINS0_14default_configENS1_38merge_sort_block_merge_config_selectorIlNS0_10empty_typeEEEZZNS1_27merge_sort_block_merge_implIS3_PlPS5_mZN2at6native12_GLOBAL__N_124unique_dim_cuda_templateItEESt5tupleIJNSA_6TensorESF_SF_EERKSF_lbbbEUlllE_EE10hipError_tT0_T1_T2_jT3_P12ihipStream_tbPNSt15iterator_traitsISL_E10value_typeEPNSR_ISM_E10value_typeEPSN_NS1_7vsmem_tEENKUlT_SL_SM_SN_E_clIS8_S8_S9_S9_EESK_S10_SL_SM_SN_EUlS10_E0_NS1_11comp_targetILNS1_3genE0ELNS1_11target_archE4294967295ELNS1_3gpuE0ELNS1_3repE0EEENS1_38merge_mergepath_config_static_selectorELNS0_4arch9wavefront6targetE0EEEvSM_
                                        ; -- End function
	.set _ZN7rocprim17ROCPRIM_400000_NS6detail17trampoline_kernelINS0_14default_configENS1_38merge_sort_block_merge_config_selectorIlNS0_10empty_typeEEEZZNS1_27merge_sort_block_merge_implIS3_PlPS5_mZN2at6native12_GLOBAL__N_124unique_dim_cuda_templateItEESt5tupleIJNSA_6TensorESF_SF_EERKSF_lbbbEUlllE_EE10hipError_tT0_T1_T2_jT3_P12ihipStream_tbPNSt15iterator_traitsISL_E10value_typeEPNSR_ISM_E10value_typeEPSN_NS1_7vsmem_tEENKUlT_SL_SM_SN_E_clIS8_S8_S9_S9_EESK_S10_SL_SM_SN_EUlS10_E0_NS1_11comp_targetILNS1_3genE0ELNS1_11target_archE4294967295ELNS1_3gpuE0ELNS1_3repE0EEENS1_38merge_mergepath_config_static_selectorELNS0_4arch9wavefront6targetE0EEEvSM_.num_vgpr, 40
	.set _ZN7rocprim17ROCPRIM_400000_NS6detail17trampoline_kernelINS0_14default_configENS1_38merge_sort_block_merge_config_selectorIlNS0_10empty_typeEEEZZNS1_27merge_sort_block_merge_implIS3_PlPS5_mZN2at6native12_GLOBAL__N_124unique_dim_cuda_templateItEESt5tupleIJNSA_6TensorESF_SF_EERKSF_lbbbEUlllE_EE10hipError_tT0_T1_T2_jT3_P12ihipStream_tbPNSt15iterator_traitsISL_E10value_typeEPNSR_ISM_E10value_typeEPSN_NS1_7vsmem_tEENKUlT_SL_SM_SN_E_clIS8_S8_S9_S9_EESK_S10_SL_SM_SN_EUlS10_E0_NS1_11comp_targetILNS1_3genE0ELNS1_11target_archE4294967295ELNS1_3gpuE0ELNS1_3repE0EEENS1_38merge_mergepath_config_static_selectorELNS0_4arch9wavefront6targetE0EEEvSM_.num_agpr, 0
	.set _ZN7rocprim17ROCPRIM_400000_NS6detail17trampoline_kernelINS0_14default_configENS1_38merge_sort_block_merge_config_selectorIlNS0_10empty_typeEEEZZNS1_27merge_sort_block_merge_implIS3_PlPS5_mZN2at6native12_GLOBAL__N_124unique_dim_cuda_templateItEESt5tupleIJNSA_6TensorESF_SF_EERKSF_lbbbEUlllE_EE10hipError_tT0_T1_T2_jT3_P12ihipStream_tbPNSt15iterator_traitsISL_E10value_typeEPNSR_ISM_E10value_typeEPSN_NS1_7vsmem_tEENKUlT_SL_SM_SN_E_clIS8_S8_S9_S9_EESK_S10_SL_SM_SN_EUlS10_E0_NS1_11comp_targetILNS1_3genE0ELNS1_11target_archE4294967295ELNS1_3gpuE0ELNS1_3repE0EEENS1_38merge_mergepath_config_static_selectorELNS0_4arch9wavefront6targetE0EEEvSM_.numbered_sgpr, 31
	.set _ZN7rocprim17ROCPRIM_400000_NS6detail17trampoline_kernelINS0_14default_configENS1_38merge_sort_block_merge_config_selectorIlNS0_10empty_typeEEEZZNS1_27merge_sort_block_merge_implIS3_PlPS5_mZN2at6native12_GLOBAL__N_124unique_dim_cuda_templateItEESt5tupleIJNSA_6TensorESF_SF_EERKSF_lbbbEUlllE_EE10hipError_tT0_T1_T2_jT3_P12ihipStream_tbPNSt15iterator_traitsISL_E10value_typeEPNSR_ISM_E10value_typeEPSN_NS1_7vsmem_tEENKUlT_SL_SM_SN_E_clIS8_S8_S9_S9_EESK_S10_SL_SM_SN_EUlS10_E0_NS1_11comp_targetILNS1_3genE0ELNS1_11target_archE4294967295ELNS1_3gpuE0ELNS1_3repE0EEENS1_38merge_mergepath_config_static_selectorELNS0_4arch9wavefront6targetE0EEEvSM_.num_named_barrier, 0
	.set _ZN7rocprim17ROCPRIM_400000_NS6detail17trampoline_kernelINS0_14default_configENS1_38merge_sort_block_merge_config_selectorIlNS0_10empty_typeEEEZZNS1_27merge_sort_block_merge_implIS3_PlPS5_mZN2at6native12_GLOBAL__N_124unique_dim_cuda_templateItEESt5tupleIJNSA_6TensorESF_SF_EERKSF_lbbbEUlllE_EE10hipError_tT0_T1_T2_jT3_P12ihipStream_tbPNSt15iterator_traitsISL_E10value_typeEPNSR_ISM_E10value_typeEPSN_NS1_7vsmem_tEENKUlT_SL_SM_SN_E_clIS8_S8_S9_S9_EESK_S10_SL_SM_SN_EUlS10_E0_NS1_11comp_targetILNS1_3genE0ELNS1_11target_archE4294967295ELNS1_3gpuE0ELNS1_3repE0EEENS1_38merge_mergepath_config_static_selectorELNS0_4arch9wavefront6targetE0EEEvSM_.private_seg_size, 0
	.set _ZN7rocprim17ROCPRIM_400000_NS6detail17trampoline_kernelINS0_14default_configENS1_38merge_sort_block_merge_config_selectorIlNS0_10empty_typeEEEZZNS1_27merge_sort_block_merge_implIS3_PlPS5_mZN2at6native12_GLOBAL__N_124unique_dim_cuda_templateItEESt5tupleIJNSA_6TensorESF_SF_EERKSF_lbbbEUlllE_EE10hipError_tT0_T1_T2_jT3_P12ihipStream_tbPNSt15iterator_traitsISL_E10value_typeEPNSR_ISM_E10value_typeEPSN_NS1_7vsmem_tEENKUlT_SL_SM_SN_E_clIS8_S8_S9_S9_EESK_S10_SL_SM_SN_EUlS10_E0_NS1_11comp_targetILNS1_3genE0ELNS1_11target_archE4294967295ELNS1_3gpuE0ELNS1_3repE0EEENS1_38merge_mergepath_config_static_selectorELNS0_4arch9wavefront6targetE0EEEvSM_.uses_vcc, 1
	.set _ZN7rocprim17ROCPRIM_400000_NS6detail17trampoline_kernelINS0_14default_configENS1_38merge_sort_block_merge_config_selectorIlNS0_10empty_typeEEEZZNS1_27merge_sort_block_merge_implIS3_PlPS5_mZN2at6native12_GLOBAL__N_124unique_dim_cuda_templateItEESt5tupleIJNSA_6TensorESF_SF_EERKSF_lbbbEUlllE_EE10hipError_tT0_T1_T2_jT3_P12ihipStream_tbPNSt15iterator_traitsISL_E10value_typeEPNSR_ISM_E10value_typeEPSN_NS1_7vsmem_tEENKUlT_SL_SM_SN_E_clIS8_S8_S9_S9_EESK_S10_SL_SM_SN_EUlS10_E0_NS1_11comp_targetILNS1_3genE0ELNS1_11target_archE4294967295ELNS1_3gpuE0ELNS1_3repE0EEENS1_38merge_mergepath_config_static_selectorELNS0_4arch9wavefront6targetE0EEEvSM_.uses_flat_scratch, 0
	.set _ZN7rocprim17ROCPRIM_400000_NS6detail17trampoline_kernelINS0_14default_configENS1_38merge_sort_block_merge_config_selectorIlNS0_10empty_typeEEEZZNS1_27merge_sort_block_merge_implIS3_PlPS5_mZN2at6native12_GLOBAL__N_124unique_dim_cuda_templateItEESt5tupleIJNSA_6TensorESF_SF_EERKSF_lbbbEUlllE_EE10hipError_tT0_T1_T2_jT3_P12ihipStream_tbPNSt15iterator_traitsISL_E10value_typeEPNSR_ISM_E10value_typeEPSN_NS1_7vsmem_tEENKUlT_SL_SM_SN_E_clIS8_S8_S9_S9_EESK_S10_SL_SM_SN_EUlS10_E0_NS1_11comp_targetILNS1_3genE0ELNS1_11target_archE4294967295ELNS1_3gpuE0ELNS1_3repE0EEENS1_38merge_mergepath_config_static_selectorELNS0_4arch9wavefront6targetE0EEEvSM_.has_dyn_sized_stack, 0
	.set _ZN7rocprim17ROCPRIM_400000_NS6detail17trampoline_kernelINS0_14default_configENS1_38merge_sort_block_merge_config_selectorIlNS0_10empty_typeEEEZZNS1_27merge_sort_block_merge_implIS3_PlPS5_mZN2at6native12_GLOBAL__N_124unique_dim_cuda_templateItEESt5tupleIJNSA_6TensorESF_SF_EERKSF_lbbbEUlllE_EE10hipError_tT0_T1_T2_jT3_P12ihipStream_tbPNSt15iterator_traitsISL_E10value_typeEPNSR_ISM_E10value_typeEPSN_NS1_7vsmem_tEENKUlT_SL_SM_SN_E_clIS8_S8_S9_S9_EESK_S10_SL_SM_SN_EUlS10_E0_NS1_11comp_targetILNS1_3genE0ELNS1_11target_archE4294967295ELNS1_3gpuE0ELNS1_3repE0EEENS1_38merge_mergepath_config_static_selectorELNS0_4arch9wavefront6targetE0EEEvSM_.has_recursion, 0
	.set _ZN7rocprim17ROCPRIM_400000_NS6detail17trampoline_kernelINS0_14default_configENS1_38merge_sort_block_merge_config_selectorIlNS0_10empty_typeEEEZZNS1_27merge_sort_block_merge_implIS3_PlPS5_mZN2at6native12_GLOBAL__N_124unique_dim_cuda_templateItEESt5tupleIJNSA_6TensorESF_SF_EERKSF_lbbbEUlllE_EE10hipError_tT0_T1_T2_jT3_P12ihipStream_tbPNSt15iterator_traitsISL_E10value_typeEPNSR_ISM_E10value_typeEPSN_NS1_7vsmem_tEENKUlT_SL_SM_SN_E_clIS8_S8_S9_S9_EESK_S10_SL_SM_SN_EUlS10_E0_NS1_11comp_targetILNS1_3genE0ELNS1_11target_archE4294967295ELNS1_3gpuE0ELNS1_3repE0EEENS1_38merge_mergepath_config_static_selectorELNS0_4arch9wavefront6targetE0EEEvSM_.has_indirect_call, 0
	.section	.AMDGPU.csdata,"",@progbits
; Kernel info:
; codeLenInByte = 6748
; TotalNumSgprs: 33
; NumVgprs: 40
; ScratchSize: 0
; MemoryBound: 0
; FloatMode: 240
; IeeeMode: 1
; LDSByteSize: 8448 bytes/workgroup (compile time only)
; SGPRBlocks: 0
; VGPRBlocks: 2
; NumSGPRsForWavesPerEU: 33
; NumVGPRsForWavesPerEU: 40
; NamedBarCnt: 0
; Occupancy: 16
; WaveLimiterHint : 1
; COMPUTE_PGM_RSRC2:SCRATCH_EN: 0
; COMPUTE_PGM_RSRC2:USER_SGPR: 2
; COMPUTE_PGM_RSRC2:TRAP_HANDLER: 0
; COMPUTE_PGM_RSRC2:TGID_X_EN: 1
; COMPUTE_PGM_RSRC2:TGID_Y_EN: 1
; COMPUTE_PGM_RSRC2:TGID_Z_EN: 1
; COMPUTE_PGM_RSRC2:TIDIG_COMP_CNT: 0
	.section	.text._ZN7rocprim17ROCPRIM_400000_NS6detail17trampoline_kernelINS0_14default_configENS1_38merge_sort_block_merge_config_selectorIlNS0_10empty_typeEEEZZNS1_27merge_sort_block_merge_implIS3_PlPS5_mZN2at6native12_GLOBAL__N_124unique_dim_cuda_templateItEESt5tupleIJNSA_6TensorESF_SF_EERKSF_lbbbEUlllE_EE10hipError_tT0_T1_T2_jT3_P12ihipStream_tbPNSt15iterator_traitsISL_E10value_typeEPNSR_ISM_E10value_typeEPSN_NS1_7vsmem_tEENKUlT_SL_SM_SN_E_clIS8_S8_S9_S9_EESK_S10_SL_SM_SN_EUlS10_E0_NS1_11comp_targetILNS1_3genE10ELNS1_11target_archE1201ELNS1_3gpuE5ELNS1_3repE0EEENS1_38merge_mergepath_config_static_selectorELNS0_4arch9wavefront6targetE0EEEvSM_,"axG",@progbits,_ZN7rocprim17ROCPRIM_400000_NS6detail17trampoline_kernelINS0_14default_configENS1_38merge_sort_block_merge_config_selectorIlNS0_10empty_typeEEEZZNS1_27merge_sort_block_merge_implIS3_PlPS5_mZN2at6native12_GLOBAL__N_124unique_dim_cuda_templateItEESt5tupleIJNSA_6TensorESF_SF_EERKSF_lbbbEUlllE_EE10hipError_tT0_T1_T2_jT3_P12ihipStream_tbPNSt15iterator_traitsISL_E10value_typeEPNSR_ISM_E10value_typeEPSN_NS1_7vsmem_tEENKUlT_SL_SM_SN_E_clIS8_S8_S9_S9_EESK_S10_SL_SM_SN_EUlS10_E0_NS1_11comp_targetILNS1_3genE10ELNS1_11target_archE1201ELNS1_3gpuE5ELNS1_3repE0EEENS1_38merge_mergepath_config_static_selectorELNS0_4arch9wavefront6targetE0EEEvSM_,comdat
	.globl	_ZN7rocprim17ROCPRIM_400000_NS6detail17trampoline_kernelINS0_14default_configENS1_38merge_sort_block_merge_config_selectorIlNS0_10empty_typeEEEZZNS1_27merge_sort_block_merge_implIS3_PlPS5_mZN2at6native12_GLOBAL__N_124unique_dim_cuda_templateItEESt5tupleIJNSA_6TensorESF_SF_EERKSF_lbbbEUlllE_EE10hipError_tT0_T1_T2_jT3_P12ihipStream_tbPNSt15iterator_traitsISL_E10value_typeEPNSR_ISM_E10value_typeEPSN_NS1_7vsmem_tEENKUlT_SL_SM_SN_E_clIS8_S8_S9_S9_EESK_S10_SL_SM_SN_EUlS10_E0_NS1_11comp_targetILNS1_3genE10ELNS1_11target_archE1201ELNS1_3gpuE5ELNS1_3repE0EEENS1_38merge_mergepath_config_static_selectorELNS0_4arch9wavefront6targetE0EEEvSM_ ; -- Begin function _ZN7rocprim17ROCPRIM_400000_NS6detail17trampoline_kernelINS0_14default_configENS1_38merge_sort_block_merge_config_selectorIlNS0_10empty_typeEEEZZNS1_27merge_sort_block_merge_implIS3_PlPS5_mZN2at6native12_GLOBAL__N_124unique_dim_cuda_templateItEESt5tupleIJNSA_6TensorESF_SF_EERKSF_lbbbEUlllE_EE10hipError_tT0_T1_T2_jT3_P12ihipStream_tbPNSt15iterator_traitsISL_E10value_typeEPNSR_ISM_E10value_typeEPSN_NS1_7vsmem_tEENKUlT_SL_SM_SN_E_clIS8_S8_S9_S9_EESK_S10_SL_SM_SN_EUlS10_E0_NS1_11comp_targetILNS1_3genE10ELNS1_11target_archE1201ELNS1_3gpuE5ELNS1_3repE0EEENS1_38merge_mergepath_config_static_selectorELNS0_4arch9wavefront6targetE0EEEvSM_
	.p2align	8
	.type	_ZN7rocprim17ROCPRIM_400000_NS6detail17trampoline_kernelINS0_14default_configENS1_38merge_sort_block_merge_config_selectorIlNS0_10empty_typeEEEZZNS1_27merge_sort_block_merge_implIS3_PlPS5_mZN2at6native12_GLOBAL__N_124unique_dim_cuda_templateItEESt5tupleIJNSA_6TensorESF_SF_EERKSF_lbbbEUlllE_EE10hipError_tT0_T1_T2_jT3_P12ihipStream_tbPNSt15iterator_traitsISL_E10value_typeEPNSR_ISM_E10value_typeEPSN_NS1_7vsmem_tEENKUlT_SL_SM_SN_E_clIS8_S8_S9_S9_EESK_S10_SL_SM_SN_EUlS10_E0_NS1_11comp_targetILNS1_3genE10ELNS1_11target_archE1201ELNS1_3gpuE5ELNS1_3repE0EEENS1_38merge_mergepath_config_static_selectorELNS0_4arch9wavefront6targetE0EEEvSM_,@function
_ZN7rocprim17ROCPRIM_400000_NS6detail17trampoline_kernelINS0_14default_configENS1_38merge_sort_block_merge_config_selectorIlNS0_10empty_typeEEEZZNS1_27merge_sort_block_merge_implIS3_PlPS5_mZN2at6native12_GLOBAL__N_124unique_dim_cuda_templateItEESt5tupleIJNSA_6TensorESF_SF_EERKSF_lbbbEUlllE_EE10hipError_tT0_T1_T2_jT3_P12ihipStream_tbPNSt15iterator_traitsISL_E10value_typeEPNSR_ISM_E10value_typeEPSN_NS1_7vsmem_tEENKUlT_SL_SM_SN_E_clIS8_S8_S9_S9_EESK_S10_SL_SM_SN_EUlS10_E0_NS1_11comp_targetILNS1_3genE10ELNS1_11target_archE1201ELNS1_3gpuE5ELNS1_3repE0EEENS1_38merge_mergepath_config_static_selectorELNS0_4arch9wavefront6targetE0EEEvSM_: ; @_ZN7rocprim17ROCPRIM_400000_NS6detail17trampoline_kernelINS0_14default_configENS1_38merge_sort_block_merge_config_selectorIlNS0_10empty_typeEEEZZNS1_27merge_sort_block_merge_implIS3_PlPS5_mZN2at6native12_GLOBAL__N_124unique_dim_cuda_templateItEESt5tupleIJNSA_6TensorESF_SF_EERKSF_lbbbEUlllE_EE10hipError_tT0_T1_T2_jT3_P12ihipStream_tbPNSt15iterator_traitsISL_E10value_typeEPNSR_ISM_E10value_typeEPSN_NS1_7vsmem_tEENKUlT_SL_SM_SN_E_clIS8_S8_S9_S9_EESK_S10_SL_SM_SN_EUlS10_E0_NS1_11comp_targetILNS1_3genE10ELNS1_11target_archE1201ELNS1_3gpuE5ELNS1_3repE0EEENS1_38merge_mergepath_config_static_selectorELNS0_4arch9wavefront6targetE0EEEvSM_
; %bb.0:
	.section	.rodata,"a",@progbits
	.p2align	6, 0x0
	.amdhsa_kernel _ZN7rocprim17ROCPRIM_400000_NS6detail17trampoline_kernelINS0_14default_configENS1_38merge_sort_block_merge_config_selectorIlNS0_10empty_typeEEEZZNS1_27merge_sort_block_merge_implIS3_PlPS5_mZN2at6native12_GLOBAL__N_124unique_dim_cuda_templateItEESt5tupleIJNSA_6TensorESF_SF_EERKSF_lbbbEUlllE_EE10hipError_tT0_T1_T2_jT3_P12ihipStream_tbPNSt15iterator_traitsISL_E10value_typeEPNSR_ISM_E10value_typeEPSN_NS1_7vsmem_tEENKUlT_SL_SM_SN_E_clIS8_S8_S9_S9_EESK_S10_SL_SM_SN_EUlS10_E0_NS1_11comp_targetILNS1_3genE10ELNS1_11target_archE1201ELNS1_3gpuE5ELNS1_3repE0EEENS1_38merge_mergepath_config_static_selectorELNS0_4arch9wavefront6targetE0EEEvSM_
		.amdhsa_group_segment_fixed_size 0
		.amdhsa_private_segment_fixed_size 0
		.amdhsa_kernarg_size 88
		.amdhsa_user_sgpr_count 2
		.amdhsa_user_sgpr_dispatch_ptr 0
		.amdhsa_user_sgpr_queue_ptr 0
		.amdhsa_user_sgpr_kernarg_segment_ptr 1
		.amdhsa_user_sgpr_dispatch_id 0
		.amdhsa_user_sgpr_kernarg_preload_length 0
		.amdhsa_user_sgpr_kernarg_preload_offset 0
		.amdhsa_user_sgpr_private_segment_size 0
		.amdhsa_wavefront_size32 1
		.amdhsa_uses_dynamic_stack 0
		.amdhsa_enable_private_segment 0
		.amdhsa_system_sgpr_workgroup_id_x 1
		.amdhsa_system_sgpr_workgroup_id_y 0
		.amdhsa_system_sgpr_workgroup_id_z 0
		.amdhsa_system_sgpr_workgroup_info 0
		.amdhsa_system_vgpr_workitem_id 0
		.amdhsa_next_free_vgpr 1
		.amdhsa_next_free_sgpr 1
		.amdhsa_named_barrier_count 0
		.amdhsa_reserve_vcc 0
		.amdhsa_float_round_mode_32 0
		.amdhsa_float_round_mode_16_64 0
		.amdhsa_float_denorm_mode_32 3
		.amdhsa_float_denorm_mode_16_64 3
		.amdhsa_fp16_overflow 0
		.amdhsa_memory_ordered 1
		.amdhsa_forward_progress 1
		.amdhsa_inst_pref_size 0
		.amdhsa_round_robin_scheduling 0
		.amdhsa_exception_fp_ieee_invalid_op 0
		.amdhsa_exception_fp_denorm_src 0
		.amdhsa_exception_fp_ieee_div_zero 0
		.amdhsa_exception_fp_ieee_overflow 0
		.amdhsa_exception_fp_ieee_underflow 0
		.amdhsa_exception_fp_ieee_inexact 0
		.amdhsa_exception_int_div_zero 0
	.end_amdhsa_kernel
	.section	.text._ZN7rocprim17ROCPRIM_400000_NS6detail17trampoline_kernelINS0_14default_configENS1_38merge_sort_block_merge_config_selectorIlNS0_10empty_typeEEEZZNS1_27merge_sort_block_merge_implIS3_PlPS5_mZN2at6native12_GLOBAL__N_124unique_dim_cuda_templateItEESt5tupleIJNSA_6TensorESF_SF_EERKSF_lbbbEUlllE_EE10hipError_tT0_T1_T2_jT3_P12ihipStream_tbPNSt15iterator_traitsISL_E10value_typeEPNSR_ISM_E10value_typeEPSN_NS1_7vsmem_tEENKUlT_SL_SM_SN_E_clIS8_S8_S9_S9_EESK_S10_SL_SM_SN_EUlS10_E0_NS1_11comp_targetILNS1_3genE10ELNS1_11target_archE1201ELNS1_3gpuE5ELNS1_3repE0EEENS1_38merge_mergepath_config_static_selectorELNS0_4arch9wavefront6targetE0EEEvSM_,"axG",@progbits,_ZN7rocprim17ROCPRIM_400000_NS6detail17trampoline_kernelINS0_14default_configENS1_38merge_sort_block_merge_config_selectorIlNS0_10empty_typeEEEZZNS1_27merge_sort_block_merge_implIS3_PlPS5_mZN2at6native12_GLOBAL__N_124unique_dim_cuda_templateItEESt5tupleIJNSA_6TensorESF_SF_EERKSF_lbbbEUlllE_EE10hipError_tT0_T1_T2_jT3_P12ihipStream_tbPNSt15iterator_traitsISL_E10value_typeEPNSR_ISM_E10value_typeEPSN_NS1_7vsmem_tEENKUlT_SL_SM_SN_E_clIS8_S8_S9_S9_EESK_S10_SL_SM_SN_EUlS10_E0_NS1_11comp_targetILNS1_3genE10ELNS1_11target_archE1201ELNS1_3gpuE5ELNS1_3repE0EEENS1_38merge_mergepath_config_static_selectorELNS0_4arch9wavefront6targetE0EEEvSM_,comdat
.Lfunc_end1379:
	.size	_ZN7rocprim17ROCPRIM_400000_NS6detail17trampoline_kernelINS0_14default_configENS1_38merge_sort_block_merge_config_selectorIlNS0_10empty_typeEEEZZNS1_27merge_sort_block_merge_implIS3_PlPS5_mZN2at6native12_GLOBAL__N_124unique_dim_cuda_templateItEESt5tupleIJNSA_6TensorESF_SF_EERKSF_lbbbEUlllE_EE10hipError_tT0_T1_T2_jT3_P12ihipStream_tbPNSt15iterator_traitsISL_E10value_typeEPNSR_ISM_E10value_typeEPSN_NS1_7vsmem_tEENKUlT_SL_SM_SN_E_clIS8_S8_S9_S9_EESK_S10_SL_SM_SN_EUlS10_E0_NS1_11comp_targetILNS1_3genE10ELNS1_11target_archE1201ELNS1_3gpuE5ELNS1_3repE0EEENS1_38merge_mergepath_config_static_selectorELNS0_4arch9wavefront6targetE0EEEvSM_, .Lfunc_end1379-_ZN7rocprim17ROCPRIM_400000_NS6detail17trampoline_kernelINS0_14default_configENS1_38merge_sort_block_merge_config_selectorIlNS0_10empty_typeEEEZZNS1_27merge_sort_block_merge_implIS3_PlPS5_mZN2at6native12_GLOBAL__N_124unique_dim_cuda_templateItEESt5tupleIJNSA_6TensorESF_SF_EERKSF_lbbbEUlllE_EE10hipError_tT0_T1_T2_jT3_P12ihipStream_tbPNSt15iterator_traitsISL_E10value_typeEPNSR_ISM_E10value_typeEPSN_NS1_7vsmem_tEENKUlT_SL_SM_SN_E_clIS8_S8_S9_S9_EESK_S10_SL_SM_SN_EUlS10_E0_NS1_11comp_targetILNS1_3genE10ELNS1_11target_archE1201ELNS1_3gpuE5ELNS1_3repE0EEENS1_38merge_mergepath_config_static_selectorELNS0_4arch9wavefront6targetE0EEEvSM_
                                        ; -- End function
	.set _ZN7rocprim17ROCPRIM_400000_NS6detail17trampoline_kernelINS0_14default_configENS1_38merge_sort_block_merge_config_selectorIlNS0_10empty_typeEEEZZNS1_27merge_sort_block_merge_implIS3_PlPS5_mZN2at6native12_GLOBAL__N_124unique_dim_cuda_templateItEESt5tupleIJNSA_6TensorESF_SF_EERKSF_lbbbEUlllE_EE10hipError_tT0_T1_T2_jT3_P12ihipStream_tbPNSt15iterator_traitsISL_E10value_typeEPNSR_ISM_E10value_typeEPSN_NS1_7vsmem_tEENKUlT_SL_SM_SN_E_clIS8_S8_S9_S9_EESK_S10_SL_SM_SN_EUlS10_E0_NS1_11comp_targetILNS1_3genE10ELNS1_11target_archE1201ELNS1_3gpuE5ELNS1_3repE0EEENS1_38merge_mergepath_config_static_selectorELNS0_4arch9wavefront6targetE0EEEvSM_.num_vgpr, 0
	.set _ZN7rocprim17ROCPRIM_400000_NS6detail17trampoline_kernelINS0_14default_configENS1_38merge_sort_block_merge_config_selectorIlNS0_10empty_typeEEEZZNS1_27merge_sort_block_merge_implIS3_PlPS5_mZN2at6native12_GLOBAL__N_124unique_dim_cuda_templateItEESt5tupleIJNSA_6TensorESF_SF_EERKSF_lbbbEUlllE_EE10hipError_tT0_T1_T2_jT3_P12ihipStream_tbPNSt15iterator_traitsISL_E10value_typeEPNSR_ISM_E10value_typeEPSN_NS1_7vsmem_tEENKUlT_SL_SM_SN_E_clIS8_S8_S9_S9_EESK_S10_SL_SM_SN_EUlS10_E0_NS1_11comp_targetILNS1_3genE10ELNS1_11target_archE1201ELNS1_3gpuE5ELNS1_3repE0EEENS1_38merge_mergepath_config_static_selectorELNS0_4arch9wavefront6targetE0EEEvSM_.num_agpr, 0
	.set _ZN7rocprim17ROCPRIM_400000_NS6detail17trampoline_kernelINS0_14default_configENS1_38merge_sort_block_merge_config_selectorIlNS0_10empty_typeEEEZZNS1_27merge_sort_block_merge_implIS3_PlPS5_mZN2at6native12_GLOBAL__N_124unique_dim_cuda_templateItEESt5tupleIJNSA_6TensorESF_SF_EERKSF_lbbbEUlllE_EE10hipError_tT0_T1_T2_jT3_P12ihipStream_tbPNSt15iterator_traitsISL_E10value_typeEPNSR_ISM_E10value_typeEPSN_NS1_7vsmem_tEENKUlT_SL_SM_SN_E_clIS8_S8_S9_S9_EESK_S10_SL_SM_SN_EUlS10_E0_NS1_11comp_targetILNS1_3genE10ELNS1_11target_archE1201ELNS1_3gpuE5ELNS1_3repE0EEENS1_38merge_mergepath_config_static_selectorELNS0_4arch9wavefront6targetE0EEEvSM_.numbered_sgpr, 0
	.set _ZN7rocprim17ROCPRIM_400000_NS6detail17trampoline_kernelINS0_14default_configENS1_38merge_sort_block_merge_config_selectorIlNS0_10empty_typeEEEZZNS1_27merge_sort_block_merge_implIS3_PlPS5_mZN2at6native12_GLOBAL__N_124unique_dim_cuda_templateItEESt5tupleIJNSA_6TensorESF_SF_EERKSF_lbbbEUlllE_EE10hipError_tT0_T1_T2_jT3_P12ihipStream_tbPNSt15iterator_traitsISL_E10value_typeEPNSR_ISM_E10value_typeEPSN_NS1_7vsmem_tEENKUlT_SL_SM_SN_E_clIS8_S8_S9_S9_EESK_S10_SL_SM_SN_EUlS10_E0_NS1_11comp_targetILNS1_3genE10ELNS1_11target_archE1201ELNS1_3gpuE5ELNS1_3repE0EEENS1_38merge_mergepath_config_static_selectorELNS0_4arch9wavefront6targetE0EEEvSM_.num_named_barrier, 0
	.set _ZN7rocprim17ROCPRIM_400000_NS6detail17trampoline_kernelINS0_14default_configENS1_38merge_sort_block_merge_config_selectorIlNS0_10empty_typeEEEZZNS1_27merge_sort_block_merge_implIS3_PlPS5_mZN2at6native12_GLOBAL__N_124unique_dim_cuda_templateItEESt5tupleIJNSA_6TensorESF_SF_EERKSF_lbbbEUlllE_EE10hipError_tT0_T1_T2_jT3_P12ihipStream_tbPNSt15iterator_traitsISL_E10value_typeEPNSR_ISM_E10value_typeEPSN_NS1_7vsmem_tEENKUlT_SL_SM_SN_E_clIS8_S8_S9_S9_EESK_S10_SL_SM_SN_EUlS10_E0_NS1_11comp_targetILNS1_3genE10ELNS1_11target_archE1201ELNS1_3gpuE5ELNS1_3repE0EEENS1_38merge_mergepath_config_static_selectorELNS0_4arch9wavefront6targetE0EEEvSM_.private_seg_size, 0
	.set _ZN7rocprim17ROCPRIM_400000_NS6detail17trampoline_kernelINS0_14default_configENS1_38merge_sort_block_merge_config_selectorIlNS0_10empty_typeEEEZZNS1_27merge_sort_block_merge_implIS3_PlPS5_mZN2at6native12_GLOBAL__N_124unique_dim_cuda_templateItEESt5tupleIJNSA_6TensorESF_SF_EERKSF_lbbbEUlllE_EE10hipError_tT0_T1_T2_jT3_P12ihipStream_tbPNSt15iterator_traitsISL_E10value_typeEPNSR_ISM_E10value_typeEPSN_NS1_7vsmem_tEENKUlT_SL_SM_SN_E_clIS8_S8_S9_S9_EESK_S10_SL_SM_SN_EUlS10_E0_NS1_11comp_targetILNS1_3genE10ELNS1_11target_archE1201ELNS1_3gpuE5ELNS1_3repE0EEENS1_38merge_mergepath_config_static_selectorELNS0_4arch9wavefront6targetE0EEEvSM_.uses_vcc, 0
	.set _ZN7rocprim17ROCPRIM_400000_NS6detail17trampoline_kernelINS0_14default_configENS1_38merge_sort_block_merge_config_selectorIlNS0_10empty_typeEEEZZNS1_27merge_sort_block_merge_implIS3_PlPS5_mZN2at6native12_GLOBAL__N_124unique_dim_cuda_templateItEESt5tupleIJNSA_6TensorESF_SF_EERKSF_lbbbEUlllE_EE10hipError_tT0_T1_T2_jT3_P12ihipStream_tbPNSt15iterator_traitsISL_E10value_typeEPNSR_ISM_E10value_typeEPSN_NS1_7vsmem_tEENKUlT_SL_SM_SN_E_clIS8_S8_S9_S9_EESK_S10_SL_SM_SN_EUlS10_E0_NS1_11comp_targetILNS1_3genE10ELNS1_11target_archE1201ELNS1_3gpuE5ELNS1_3repE0EEENS1_38merge_mergepath_config_static_selectorELNS0_4arch9wavefront6targetE0EEEvSM_.uses_flat_scratch, 0
	.set _ZN7rocprim17ROCPRIM_400000_NS6detail17trampoline_kernelINS0_14default_configENS1_38merge_sort_block_merge_config_selectorIlNS0_10empty_typeEEEZZNS1_27merge_sort_block_merge_implIS3_PlPS5_mZN2at6native12_GLOBAL__N_124unique_dim_cuda_templateItEESt5tupleIJNSA_6TensorESF_SF_EERKSF_lbbbEUlllE_EE10hipError_tT0_T1_T2_jT3_P12ihipStream_tbPNSt15iterator_traitsISL_E10value_typeEPNSR_ISM_E10value_typeEPSN_NS1_7vsmem_tEENKUlT_SL_SM_SN_E_clIS8_S8_S9_S9_EESK_S10_SL_SM_SN_EUlS10_E0_NS1_11comp_targetILNS1_3genE10ELNS1_11target_archE1201ELNS1_3gpuE5ELNS1_3repE0EEENS1_38merge_mergepath_config_static_selectorELNS0_4arch9wavefront6targetE0EEEvSM_.has_dyn_sized_stack, 0
	.set _ZN7rocprim17ROCPRIM_400000_NS6detail17trampoline_kernelINS0_14default_configENS1_38merge_sort_block_merge_config_selectorIlNS0_10empty_typeEEEZZNS1_27merge_sort_block_merge_implIS3_PlPS5_mZN2at6native12_GLOBAL__N_124unique_dim_cuda_templateItEESt5tupleIJNSA_6TensorESF_SF_EERKSF_lbbbEUlllE_EE10hipError_tT0_T1_T2_jT3_P12ihipStream_tbPNSt15iterator_traitsISL_E10value_typeEPNSR_ISM_E10value_typeEPSN_NS1_7vsmem_tEENKUlT_SL_SM_SN_E_clIS8_S8_S9_S9_EESK_S10_SL_SM_SN_EUlS10_E0_NS1_11comp_targetILNS1_3genE10ELNS1_11target_archE1201ELNS1_3gpuE5ELNS1_3repE0EEENS1_38merge_mergepath_config_static_selectorELNS0_4arch9wavefront6targetE0EEEvSM_.has_recursion, 0
	.set _ZN7rocprim17ROCPRIM_400000_NS6detail17trampoline_kernelINS0_14default_configENS1_38merge_sort_block_merge_config_selectorIlNS0_10empty_typeEEEZZNS1_27merge_sort_block_merge_implIS3_PlPS5_mZN2at6native12_GLOBAL__N_124unique_dim_cuda_templateItEESt5tupleIJNSA_6TensorESF_SF_EERKSF_lbbbEUlllE_EE10hipError_tT0_T1_T2_jT3_P12ihipStream_tbPNSt15iterator_traitsISL_E10value_typeEPNSR_ISM_E10value_typeEPSN_NS1_7vsmem_tEENKUlT_SL_SM_SN_E_clIS8_S8_S9_S9_EESK_S10_SL_SM_SN_EUlS10_E0_NS1_11comp_targetILNS1_3genE10ELNS1_11target_archE1201ELNS1_3gpuE5ELNS1_3repE0EEENS1_38merge_mergepath_config_static_selectorELNS0_4arch9wavefront6targetE0EEEvSM_.has_indirect_call, 0
	.section	.AMDGPU.csdata,"",@progbits
; Kernel info:
; codeLenInByte = 0
; TotalNumSgprs: 0
; NumVgprs: 0
; ScratchSize: 0
; MemoryBound: 0
; FloatMode: 240
; IeeeMode: 1
; LDSByteSize: 0 bytes/workgroup (compile time only)
; SGPRBlocks: 0
; VGPRBlocks: 0
; NumSGPRsForWavesPerEU: 1
; NumVGPRsForWavesPerEU: 1
; NamedBarCnt: 0
; Occupancy: 16
; WaveLimiterHint : 0
; COMPUTE_PGM_RSRC2:SCRATCH_EN: 0
; COMPUTE_PGM_RSRC2:USER_SGPR: 2
; COMPUTE_PGM_RSRC2:TRAP_HANDLER: 0
; COMPUTE_PGM_RSRC2:TGID_X_EN: 1
; COMPUTE_PGM_RSRC2:TGID_Y_EN: 0
; COMPUTE_PGM_RSRC2:TGID_Z_EN: 0
; COMPUTE_PGM_RSRC2:TIDIG_COMP_CNT: 0
	.section	.text._ZN7rocprim17ROCPRIM_400000_NS6detail17trampoline_kernelINS0_14default_configENS1_38merge_sort_block_merge_config_selectorIlNS0_10empty_typeEEEZZNS1_27merge_sort_block_merge_implIS3_PlPS5_mZN2at6native12_GLOBAL__N_124unique_dim_cuda_templateItEESt5tupleIJNSA_6TensorESF_SF_EERKSF_lbbbEUlllE_EE10hipError_tT0_T1_T2_jT3_P12ihipStream_tbPNSt15iterator_traitsISL_E10value_typeEPNSR_ISM_E10value_typeEPSN_NS1_7vsmem_tEENKUlT_SL_SM_SN_E_clIS8_S8_S9_S9_EESK_S10_SL_SM_SN_EUlS10_E0_NS1_11comp_targetILNS1_3genE5ELNS1_11target_archE942ELNS1_3gpuE9ELNS1_3repE0EEENS1_38merge_mergepath_config_static_selectorELNS0_4arch9wavefront6targetE0EEEvSM_,"axG",@progbits,_ZN7rocprim17ROCPRIM_400000_NS6detail17trampoline_kernelINS0_14default_configENS1_38merge_sort_block_merge_config_selectorIlNS0_10empty_typeEEEZZNS1_27merge_sort_block_merge_implIS3_PlPS5_mZN2at6native12_GLOBAL__N_124unique_dim_cuda_templateItEESt5tupleIJNSA_6TensorESF_SF_EERKSF_lbbbEUlllE_EE10hipError_tT0_T1_T2_jT3_P12ihipStream_tbPNSt15iterator_traitsISL_E10value_typeEPNSR_ISM_E10value_typeEPSN_NS1_7vsmem_tEENKUlT_SL_SM_SN_E_clIS8_S8_S9_S9_EESK_S10_SL_SM_SN_EUlS10_E0_NS1_11comp_targetILNS1_3genE5ELNS1_11target_archE942ELNS1_3gpuE9ELNS1_3repE0EEENS1_38merge_mergepath_config_static_selectorELNS0_4arch9wavefront6targetE0EEEvSM_,comdat
	.globl	_ZN7rocprim17ROCPRIM_400000_NS6detail17trampoline_kernelINS0_14default_configENS1_38merge_sort_block_merge_config_selectorIlNS0_10empty_typeEEEZZNS1_27merge_sort_block_merge_implIS3_PlPS5_mZN2at6native12_GLOBAL__N_124unique_dim_cuda_templateItEESt5tupleIJNSA_6TensorESF_SF_EERKSF_lbbbEUlllE_EE10hipError_tT0_T1_T2_jT3_P12ihipStream_tbPNSt15iterator_traitsISL_E10value_typeEPNSR_ISM_E10value_typeEPSN_NS1_7vsmem_tEENKUlT_SL_SM_SN_E_clIS8_S8_S9_S9_EESK_S10_SL_SM_SN_EUlS10_E0_NS1_11comp_targetILNS1_3genE5ELNS1_11target_archE942ELNS1_3gpuE9ELNS1_3repE0EEENS1_38merge_mergepath_config_static_selectorELNS0_4arch9wavefront6targetE0EEEvSM_ ; -- Begin function _ZN7rocprim17ROCPRIM_400000_NS6detail17trampoline_kernelINS0_14default_configENS1_38merge_sort_block_merge_config_selectorIlNS0_10empty_typeEEEZZNS1_27merge_sort_block_merge_implIS3_PlPS5_mZN2at6native12_GLOBAL__N_124unique_dim_cuda_templateItEESt5tupleIJNSA_6TensorESF_SF_EERKSF_lbbbEUlllE_EE10hipError_tT0_T1_T2_jT3_P12ihipStream_tbPNSt15iterator_traitsISL_E10value_typeEPNSR_ISM_E10value_typeEPSN_NS1_7vsmem_tEENKUlT_SL_SM_SN_E_clIS8_S8_S9_S9_EESK_S10_SL_SM_SN_EUlS10_E0_NS1_11comp_targetILNS1_3genE5ELNS1_11target_archE942ELNS1_3gpuE9ELNS1_3repE0EEENS1_38merge_mergepath_config_static_selectorELNS0_4arch9wavefront6targetE0EEEvSM_
	.p2align	8
	.type	_ZN7rocprim17ROCPRIM_400000_NS6detail17trampoline_kernelINS0_14default_configENS1_38merge_sort_block_merge_config_selectorIlNS0_10empty_typeEEEZZNS1_27merge_sort_block_merge_implIS3_PlPS5_mZN2at6native12_GLOBAL__N_124unique_dim_cuda_templateItEESt5tupleIJNSA_6TensorESF_SF_EERKSF_lbbbEUlllE_EE10hipError_tT0_T1_T2_jT3_P12ihipStream_tbPNSt15iterator_traitsISL_E10value_typeEPNSR_ISM_E10value_typeEPSN_NS1_7vsmem_tEENKUlT_SL_SM_SN_E_clIS8_S8_S9_S9_EESK_S10_SL_SM_SN_EUlS10_E0_NS1_11comp_targetILNS1_3genE5ELNS1_11target_archE942ELNS1_3gpuE9ELNS1_3repE0EEENS1_38merge_mergepath_config_static_selectorELNS0_4arch9wavefront6targetE0EEEvSM_,@function
_ZN7rocprim17ROCPRIM_400000_NS6detail17trampoline_kernelINS0_14default_configENS1_38merge_sort_block_merge_config_selectorIlNS0_10empty_typeEEEZZNS1_27merge_sort_block_merge_implIS3_PlPS5_mZN2at6native12_GLOBAL__N_124unique_dim_cuda_templateItEESt5tupleIJNSA_6TensorESF_SF_EERKSF_lbbbEUlllE_EE10hipError_tT0_T1_T2_jT3_P12ihipStream_tbPNSt15iterator_traitsISL_E10value_typeEPNSR_ISM_E10value_typeEPSN_NS1_7vsmem_tEENKUlT_SL_SM_SN_E_clIS8_S8_S9_S9_EESK_S10_SL_SM_SN_EUlS10_E0_NS1_11comp_targetILNS1_3genE5ELNS1_11target_archE942ELNS1_3gpuE9ELNS1_3repE0EEENS1_38merge_mergepath_config_static_selectorELNS0_4arch9wavefront6targetE0EEEvSM_: ; @_ZN7rocprim17ROCPRIM_400000_NS6detail17trampoline_kernelINS0_14default_configENS1_38merge_sort_block_merge_config_selectorIlNS0_10empty_typeEEEZZNS1_27merge_sort_block_merge_implIS3_PlPS5_mZN2at6native12_GLOBAL__N_124unique_dim_cuda_templateItEESt5tupleIJNSA_6TensorESF_SF_EERKSF_lbbbEUlllE_EE10hipError_tT0_T1_T2_jT3_P12ihipStream_tbPNSt15iterator_traitsISL_E10value_typeEPNSR_ISM_E10value_typeEPSN_NS1_7vsmem_tEENKUlT_SL_SM_SN_E_clIS8_S8_S9_S9_EESK_S10_SL_SM_SN_EUlS10_E0_NS1_11comp_targetILNS1_3genE5ELNS1_11target_archE942ELNS1_3gpuE9ELNS1_3repE0EEENS1_38merge_mergepath_config_static_selectorELNS0_4arch9wavefront6targetE0EEEvSM_
; %bb.0:
	.section	.rodata,"a",@progbits
	.p2align	6, 0x0
	.amdhsa_kernel _ZN7rocprim17ROCPRIM_400000_NS6detail17trampoline_kernelINS0_14default_configENS1_38merge_sort_block_merge_config_selectorIlNS0_10empty_typeEEEZZNS1_27merge_sort_block_merge_implIS3_PlPS5_mZN2at6native12_GLOBAL__N_124unique_dim_cuda_templateItEESt5tupleIJNSA_6TensorESF_SF_EERKSF_lbbbEUlllE_EE10hipError_tT0_T1_T2_jT3_P12ihipStream_tbPNSt15iterator_traitsISL_E10value_typeEPNSR_ISM_E10value_typeEPSN_NS1_7vsmem_tEENKUlT_SL_SM_SN_E_clIS8_S8_S9_S9_EESK_S10_SL_SM_SN_EUlS10_E0_NS1_11comp_targetILNS1_3genE5ELNS1_11target_archE942ELNS1_3gpuE9ELNS1_3repE0EEENS1_38merge_mergepath_config_static_selectorELNS0_4arch9wavefront6targetE0EEEvSM_
		.amdhsa_group_segment_fixed_size 0
		.amdhsa_private_segment_fixed_size 0
		.amdhsa_kernarg_size 88
		.amdhsa_user_sgpr_count 2
		.amdhsa_user_sgpr_dispatch_ptr 0
		.amdhsa_user_sgpr_queue_ptr 0
		.amdhsa_user_sgpr_kernarg_segment_ptr 1
		.amdhsa_user_sgpr_dispatch_id 0
		.amdhsa_user_sgpr_kernarg_preload_length 0
		.amdhsa_user_sgpr_kernarg_preload_offset 0
		.amdhsa_user_sgpr_private_segment_size 0
		.amdhsa_wavefront_size32 1
		.amdhsa_uses_dynamic_stack 0
		.amdhsa_enable_private_segment 0
		.amdhsa_system_sgpr_workgroup_id_x 1
		.amdhsa_system_sgpr_workgroup_id_y 0
		.amdhsa_system_sgpr_workgroup_id_z 0
		.amdhsa_system_sgpr_workgroup_info 0
		.amdhsa_system_vgpr_workitem_id 0
		.amdhsa_next_free_vgpr 1
		.amdhsa_next_free_sgpr 1
		.amdhsa_named_barrier_count 0
		.amdhsa_reserve_vcc 0
		.amdhsa_float_round_mode_32 0
		.amdhsa_float_round_mode_16_64 0
		.amdhsa_float_denorm_mode_32 3
		.amdhsa_float_denorm_mode_16_64 3
		.amdhsa_fp16_overflow 0
		.amdhsa_memory_ordered 1
		.amdhsa_forward_progress 1
		.amdhsa_inst_pref_size 0
		.amdhsa_round_robin_scheduling 0
		.amdhsa_exception_fp_ieee_invalid_op 0
		.amdhsa_exception_fp_denorm_src 0
		.amdhsa_exception_fp_ieee_div_zero 0
		.amdhsa_exception_fp_ieee_overflow 0
		.amdhsa_exception_fp_ieee_underflow 0
		.amdhsa_exception_fp_ieee_inexact 0
		.amdhsa_exception_int_div_zero 0
	.end_amdhsa_kernel
	.section	.text._ZN7rocprim17ROCPRIM_400000_NS6detail17trampoline_kernelINS0_14default_configENS1_38merge_sort_block_merge_config_selectorIlNS0_10empty_typeEEEZZNS1_27merge_sort_block_merge_implIS3_PlPS5_mZN2at6native12_GLOBAL__N_124unique_dim_cuda_templateItEESt5tupleIJNSA_6TensorESF_SF_EERKSF_lbbbEUlllE_EE10hipError_tT0_T1_T2_jT3_P12ihipStream_tbPNSt15iterator_traitsISL_E10value_typeEPNSR_ISM_E10value_typeEPSN_NS1_7vsmem_tEENKUlT_SL_SM_SN_E_clIS8_S8_S9_S9_EESK_S10_SL_SM_SN_EUlS10_E0_NS1_11comp_targetILNS1_3genE5ELNS1_11target_archE942ELNS1_3gpuE9ELNS1_3repE0EEENS1_38merge_mergepath_config_static_selectorELNS0_4arch9wavefront6targetE0EEEvSM_,"axG",@progbits,_ZN7rocprim17ROCPRIM_400000_NS6detail17trampoline_kernelINS0_14default_configENS1_38merge_sort_block_merge_config_selectorIlNS0_10empty_typeEEEZZNS1_27merge_sort_block_merge_implIS3_PlPS5_mZN2at6native12_GLOBAL__N_124unique_dim_cuda_templateItEESt5tupleIJNSA_6TensorESF_SF_EERKSF_lbbbEUlllE_EE10hipError_tT0_T1_T2_jT3_P12ihipStream_tbPNSt15iterator_traitsISL_E10value_typeEPNSR_ISM_E10value_typeEPSN_NS1_7vsmem_tEENKUlT_SL_SM_SN_E_clIS8_S8_S9_S9_EESK_S10_SL_SM_SN_EUlS10_E0_NS1_11comp_targetILNS1_3genE5ELNS1_11target_archE942ELNS1_3gpuE9ELNS1_3repE0EEENS1_38merge_mergepath_config_static_selectorELNS0_4arch9wavefront6targetE0EEEvSM_,comdat
.Lfunc_end1380:
	.size	_ZN7rocprim17ROCPRIM_400000_NS6detail17trampoline_kernelINS0_14default_configENS1_38merge_sort_block_merge_config_selectorIlNS0_10empty_typeEEEZZNS1_27merge_sort_block_merge_implIS3_PlPS5_mZN2at6native12_GLOBAL__N_124unique_dim_cuda_templateItEESt5tupleIJNSA_6TensorESF_SF_EERKSF_lbbbEUlllE_EE10hipError_tT0_T1_T2_jT3_P12ihipStream_tbPNSt15iterator_traitsISL_E10value_typeEPNSR_ISM_E10value_typeEPSN_NS1_7vsmem_tEENKUlT_SL_SM_SN_E_clIS8_S8_S9_S9_EESK_S10_SL_SM_SN_EUlS10_E0_NS1_11comp_targetILNS1_3genE5ELNS1_11target_archE942ELNS1_3gpuE9ELNS1_3repE0EEENS1_38merge_mergepath_config_static_selectorELNS0_4arch9wavefront6targetE0EEEvSM_, .Lfunc_end1380-_ZN7rocprim17ROCPRIM_400000_NS6detail17trampoline_kernelINS0_14default_configENS1_38merge_sort_block_merge_config_selectorIlNS0_10empty_typeEEEZZNS1_27merge_sort_block_merge_implIS3_PlPS5_mZN2at6native12_GLOBAL__N_124unique_dim_cuda_templateItEESt5tupleIJNSA_6TensorESF_SF_EERKSF_lbbbEUlllE_EE10hipError_tT0_T1_T2_jT3_P12ihipStream_tbPNSt15iterator_traitsISL_E10value_typeEPNSR_ISM_E10value_typeEPSN_NS1_7vsmem_tEENKUlT_SL_SM_SN_E_clIS8_S8_S9_S9_EESK_S10_SL_SM_SN_EUlS10_E0_NS1_11comp_targetILNS1_3genE5ELNS1_11target_archE942ELNS1_3gpuE9ELNS1_3repE0EEENS1_38merge_mergepath_config_static_selectorELNS0_4arch9wavefront6targetE0EEEvSM_
                                        ; -- End function
	.set _ZN7rocprim17ROCPRIM_400000_NS6detail17trampoline_kernelINS0_14default_configENS1_38merge_sort_block_merge_config_selectorIlNS0_10empty_typeEEEZZNS1_27merge_sort_block_merge_implIS3_PlPS5_mZN2at6native12_GLOBAL__N_124unique_dim_cuda_templateItEESt5tupleIJNSA_6TensorESF_SF_EERKSF_lbbbEUlllE_EE10hipError_tT0_T1_T2_jT3_P12ihipStream_tbPNSt15iterator_traitsISL_E10value_typeEPNSR_ISM_E10value_typeEPSN_NS1_7vsmem_tEENKUlT_SL_SM_SN_E_clIS8_S8_S9_S9_EESK_S10_SL_SM_SN_EUlS10_E0_NS1_11comp_targetILNS1_3genE5ELNS1_11target_archE942ELNS1_3gpuE9ELNS1_3repE0EEENS1_38merge_mergepath_config_static_selectorELNS0_4arch9wavefront6targetE0EEEvSM_.num_vgpr, 0
	.set _ZN7rocprim17ROCPRIM_400000_NS6detail17trampoline_kernelINS0_14default_configENS1_38merge_sort_block_merge_config_selectorIlNS0_10empty_typeEEEZZNS1_27merge_sort_block_merge_implIS3_PlPS5_mZN2at6native12_GLOBAL__N_124unique_dim_cuda_templateItEESt5tupleIJNSA_6TensorESF_SF_EERKSF_lbbbEUlllE_EE10hipError_tT0_T1_T2_jT3_P12ihipStream_tbPNSt15iterator_traitsISL_E10value_typeEPNSR_ISM_E10value_typeEPSN_NS1_7vsmem_tEENKUlT_SL_SM_SN_E_clIS8_S8_S9_S9_EESK_S10_SL_SM_SN_EUlS10_E0_NS1_11comp_targetILNS1_3genE5ELNS1_11target_archE942ELNS1_3gpuE9ELNS1_3repE0EEENS1_38merge_mergepath_config_static_selectorELNS0_4arch9wavefront6targetE0EEEvSM_.num_agpr, 0
	.set _ZN7rocprim17ROCPRIM_400000_NS6detail17trampoline_kernelINS0_14default_configENS1_38merge_sort_block_merge_config_selectorIlNS0_10empty_typeEEEZZNS1_27merge_sort_block_merge_implIS3_PlPS5_mZN2at6native12_GLOBAL__N_124unique_dim_cuda_templateItEESt5tupleIJNSA_6TensorESF_SF_EERKSF_lbbbEUlllE_EE10hipError_tT0_T1_T2_jT3_P12ihipStream_tbPNSt15iterator_traitsISL_E10value_typeEPNSR_ISM_E10value_typeEPSN_NS1_7vsmem_tEENKUlT_SL_SM_SN_E_clIS8_S8_S9_S9_EESK_S10_SL_SM_SN_EUlS10_E0_NS1_11comp_targetILNS1_3genE5ELNS1_11target_archE942ELNS1_3gpuE9ELNS1_3repE0EEENS1_38merge_mergepath_config_static_selectorELNS0_4arch9wavefront6targetE0EEEvSM_.numbered_sgpr, 0
	.set _ZN7rocprim17ROCPRIM_400000_NS6detail17trampoline_kernelINS0_14default_configENS1_38merge_sort_block_merge_config_selectorIlNS0_10empty_typeEEEZZNS1_27merge_sort_block_merge_implIS3_PlPS5_mZN2at6native12_GLOBAL__N_124unique_dim_cuda_templateItEESt5tupleIJNSA_6TensorESF_SF_EERKSF_lbbbEUlllE_EE10hipError_tT0_T1_T2_jT3_P12ihipStream_tbPNSt15iterator_traitsISL_E10value_typeEPNSR_ISM_E10value_typeEPSN_NS1_7vsmem_tEENKUlT_SL_SM_SN_E_clIS8_S8_S9_S9_EESK_S10_SL_SM_SN_EUlS10_E0_NS1_11comp_targetILNS1_3genE5ELNS1_11target_archE942ELNS1_3gpuE9ELNS1_3repE0EEENS1_38merge_mergepath_config_static_selectorELNS0_4arch9wavefront6targetE0EEEvSM_.num_named_barrier, 0
	.set _ZN7rocprim17ROCPRIM_400000_NS6detail17trampoline_kernelINS0_14default_configENS1_38merge_sort_block_merge_config_selectorIlNS0_10empty_typeEEEZZNS1_27merge_sort_block_merge_implIS3_PlPS5_mZN2at6native12_GLOBAL__N_124unique_dim_cuda_templateItEESt5tupleIJNSA_6TensorESF_SF_EERKSF_lbbbEUlllE_EE10hipError_tT0_T1_T2_jT3_P12ihipStream_tbPNSt15iterator_traitsISL_E10value_typeEPNSR_ISM_E10value_typeEPSN_NS1_7vsmem_tEENKUlT_SL_SM_SN_E_clIS8_S8_S9_S9_EESK_S10_SL_SM_SN_EUlS10_E0_NS1_11comp_targetILNS1_3genE5ELNS1_11target_archE942ELNS1_3gpuE9ELNS1_3repE0EEENS1_38merge_mergepath_config_static_selectorELNS0_4arch9wavefront6targetE0EEEvSM_.private_seg_size, 0
	.set _ZN7rocprim17ROCPRIM_400000_NS6detail17trampoline_kernelINS0_14default_configENS1_38merge_sort_block_merge_config_selectorIlNS0_10empty_typeEEEZZNS1_27merge_sort_block_merge_implIS3_PlPS5_mZN2at6native12_GLOBAL__N_124unique_dim_cuda_templateItEESt5tupleIJNSA_6TensorESF_SF_EERKSF_lbbbEUlllE_EE10hipError_tT0_T1_T2_jT3_P12ihipStream_tbPNSt15iterator_traitsISL_E10value_typeEPNSR_ISM_E10value_typeEPSN_NS1_7vsmem_tEENKUlT_SL_SM_SN_E_clIS8_S8_S9_S9_EESK_S10_SL_SM_SN_EUlS10_E0_NS1_11comp_targetILNS1_3genE5ELNS1_11target_archE942ELNS1_3gpuE9ELNS1_3repE0EEENS1_38merge_mergepath_config_static_selectorELNS0_4arch9wavefront6targetE0EEEvSM_.uses_vcc, 0
	.set _ZN7rocprim17ROCPRIM_400000_NS6detail17trampoline_kernelINS0_14default_configENS1_38merge_sort_block_merge_config_selectorIlNS0_10empty_typeEEEZZNS1_27merge_sort_block_merge_implIS3_PlPS5_mZN2at6native12_GLOBAL__N_124unique_dim_cuda_templateItEESt5tupleIJNSA_6TensorESF_SF_EERKSF_lbbbEUlllE_EE10hipError_tT0_T1_T2_jT3_P12ihipStream_tbPNSt15iterator_traitsISL_E10value_typeEPNSR_ISM_E10value_typeEPSN_NS1_7vsmem_tEENKUlT_SL_SM_SN_E_clIS8_S8_S9_S9_EESK_S10_SL_SM_SN_EUlS10_E0_NS1_11comp_targetILNS1_3genE5ELNS1_11target_archE942ELNS1_3gpuE9ELNS1_3repE0EEENS1_38merge_mergepath_config_static_selectorELNS0_4arch9wavefront6targetE0EEEvSM_.uses_flat_scratch, 0
	.set _ZN7rocprim17ROCPRIM_400000_NS6detail17trampoline_kernelINS0_14default_configENS1_38merge_sort_block_merge_config_selectorIlNS0_10empty_typeEEEZZNS1_27merge_sort_block_merge_implIS3_PlPS5_mZN2at6native12_GLOBAL__N_124unique_dim_cuda_templateItEESt5tupleIJNSA_6TensorESF_SF_EERKSF_lbbbEUlllE_EE10hipError_tT0_T1_T2_jT3_P12ihipStream_tbPNSt15iterator_traitsISL_E10value_typeEPNSR_ISM_E10value_typeEPSN_NS1_7vsmem_tEENKUlT_SL_SM_SN_E_clIS8_S8_S9_S9_EESK_S10_SL_SM_SN_EUlS10_E0_NS1_11comp_targetILNS1_3genE5ELNS1_11target_archE942ELNS1_3gpuE9ELNS1_3repE0EEENS1_38merge_mergepath_config_static_selectorELNS0_4arch9wavefront6targetE0EEEvSM_.has_dyn_sized_stack, 0
	.set _ZN7rocprim17ROCPRIM_400000_NS6detail17trampoline_kernelINS0_14default_configENS1_38merge_sort_block_merge_config_selectorIlNS0_10empty_typeEEEZZNS1_27merge_sort_block_merge_implIS3_PlPS5_mZN2at6native12_GLOBAL__N_124unique_dim_cuda_templateItEESt5tupleIJNSA_6TensorESF_SF_EERKSF_lbbbEUlllE_EE10hipError_tT0_T1_T2_jT3_P12ihipStream_tbPNSt15iterator_traitsISL_E10value_typeEPNSR_ISM_E10value_typeEPSN_NS1_7vsmem_tEENKUlT_SL_SM_SN_E_clIS8_S8_S9_S9_EESK_S10_SL_SM_SN_EUlS10_E0_NS1_11comp_targetILNS1_3genE5ELNS1_11target_archE942ELNS1_3gpuE9ELNS1_3repE0EEENS1_38merge_mergepath_config_static_selectorELNS0_4arch9wavefront6targetE0EEEvSM_.has_recursion, 0
	.set _ZN7rocprim17ROCPRIM_400000_NS6detail17trampoline_kernelINS0_14default_configENS1_38merge_sort_block_merge_config_selectorIlNS0_10empty_typeEEEZZNS1_27merge_sort_block_merge_implIS3_PlPS5_mZN2at6native12_GLOBAL__N_124unique_dim_cuda_templateItEESt5tupleIJNSA_6TensorESF_SF_EERKSF_lbbbEUlllE_EE10hipError_tT0_T1_T2_jT3_P12ihipStream_tbPNSt15iterator_traitsISL_E10value_typeEPNSR_ISM_E10value_typeEPSN_NS1_7vsmem_tEENKUlT_SL_SM_SN_E_clIS8_S8_S9_S9_EESK_S10_SL_SM_SN_EUlS10_E0_NS1_11comp_targetILNS1_3genE5ELNS1_11target_archE942ELNS1_3gpuE9ELNS1_3repE0EEENS1_38merge_mergepath_config_static_selectorELNS0_4arch9wavefront6targetE0EEEvSM_.has_indirect_call, 0
	.section	.AMDGPU.csdata,"",@progbits
; Kernel info:
; codeLenInByte = 0
; TotalNumSgprs: 0
; NumVgprs: 0
; ScratchSize: 0
; MemoryBound: 0
; FloatMode: 240
; IeeeMode: 1
; LDSByteSize: 0 bytes/workgroup (compile time only)
; SGPRBlocks: 0
; VGPRBlocks: 0
; NumSGPRsForWavesPerEU: 1
; NumVGPRsForWavesPerEU: 1
; NamedBarCnt: 0
; Occupancy: 16
; WaveLimiterHint : 0
; COMPUTE_PGM_RSRC2:SCRATCH_EN: 0
; COMPUTE_PGM_RSRC2:USER_SGPR: 2
; COMPUTE_PGM_RSRC2:TRAP_HANDLER: 0
; COMPUTE_PGM_RSRC2:TGID_X_EN: 1
; COMPUTE_PGM_RSRC2:TGID_Y_EN: 0
; COMPUTE_PGM_RSRC2:TGID_Z_EN: 0
; COMPUTE_PGM_RSRC2:TIDIG_COMP_CNT: 0
	.section	.text._ZN7rocprim17ROCPRIM_400000_NS6detail17trampoline_kernelINS0_14default_configENS1_38merge_sort_block_merge_config_selectorIlNS0_10empty_typeEEEZZNS1_27merge_sort_block_merge_implIS3_PlPS5_mZN2at6native12_GLOBAL__N_124unique_dim_cuda_templateItEESt5tupleIJNSA_6TensorESF_SF_EERKSF_lbbbEUlllE_EE10hipError_tT0_T1_T2_jT3_P12ihipStream_tbPNSt15iterator_traitsISL_E10value_typeEPNSR_ISM_E10value_typeEPSN_NS1_7vsmem_tEENKUlT_SL_SM_SN_E_clIS8_S8_S9_S9_EESK_S10_SL_SM_SN_EUlS10_E0_NS1_11comp_targetILNS1_3genE4ELNS1_11target_archE910ELNS1_3gpuE8ELNS1_3repE0EEENS1_38merge_mergepath_config_static_selectorELNS0_4arch9wavefront6targetE0EEEvSM_,"axG",@progbits,_ZN7rocprim17ROCPRIM_400000_NS6detail17trampoline_kernelINS0_14default_configENS1_38merge_sort_block_merge_config_selectorIlNS0_10empty_typeEEEZZNS1_27merge_sort_block_merge_implIS3_PlPS5_mZN2at6native12_GLOBAL__N_124unique_dim_cuda_templateItEESt5tupleIJNSA_6TensorESF_SF_EERKSF_lbbbEUlllE_EE10hipError_tT0_T1_T2_jT3_P12ihipStream_tbPNSt15iterator_traitsISL_E10value_typeEPNSR_ISM_E10value_typeEPSN_NS1_7vsmem_tEENKUlT_SL_SM_SN_E_clIS8_S8_S9_S9_EESK_S10_SL_SM_SN_EUlS10_E0_NS1_11comp_targetILNS1_3genE4ELNS1_11target_archE910ELNS1_3gpuE8ELNS1_3repE0EEENS1_38merge_mergepath_config_static_selectorELNS0_4arch9wavefront6targetE0EEEvSM_,comdat
	.globl	_ZN7rocprim17ROCPRIM_400000_NS6detail17trampoline_kernelINS0_14default_configENS1_38merge_sort_block_merge_config_selectorIlNS0_10empty_typeEEEZZNS1_27merge_sort_block_merge_implIS3_PlPS5_mZN2at6native12_GLOBAL__N_124unique_dim_cuda_templateItEESt5tupleIJNSA_6TensorESF_SF_EERKSF_lbbbEUlllE_EE10hipError_tT0_T1_T2_jT3_P12ihipStream_tbPNSt15iterator_traitsISL_E10value_typeEPNSR_ISM_E10value_typeEPSN_NS1_7vsmem_tEENKUlT_SL_SM_SN_E_clIS8_S8_S9_S9_EESK_S10_SL_SM_SN_EUlS10_E0_NS1_11comp_targetILNS1_3genE4ELNS1_11target_archE910ELNS1_3gpuE8ELNS1_3repE0EEENS1_38merge_mergepath_config_static_selectorELNS0_4arch9wavefront6targetE0EEEvSM_ ; -- Begin function _ZN7rocprim17ROCPRIM_400000_NS6detail17trampoline_kernelINS0_14default_configENS1_38merge_sort_block_merge_config_selectorIlNS0_10empty_typeEEEZZNS1_27merge_sort_block_merge_implIS3_PlPS5_mZN2at6native12_GLOBAL__N_124unique_dim_cuda_templateItEESt5tupleIJNSA_6TensorESF_SF_EERKSF_lbbbEUlllE_EE10hipError_tT0_T1_T2_jT3_P12ihipStream_tbPNSt15iterator_traitsISL_E10value_typeEPNSR_ISM_E10value_typeEPSN_NS1_7vsmem_tEENKUlT_SL_SM_SN_E_clIS8_S8_S9_S9_EESK_S10_SL_SM_SN_EUlS10_E0_NS1_11comp_targetILNS1_3genE4ELNS1_11target_archE910ELNS1_3gpuE8ELNS1_3repE0EEENS1_38merge_mergepath_config_static_selectorELNS0_4arch9wavefront6targetE0EEEvSM_
	.p2align	8
	.type	_ZN7rocprim17ROCPRIM_400000_NS6detail17trampoline_kernelINS0_14default_configENS1_38merge_sort_block_merge_config_selectorIlNS0_10empty_typeEEEZZNS1_27merge_sort_block_merge_implIS3_PlPS5_mZN2at6native12_GLOBAL__N_124unique_dim_cuda_templateItEESt5tupleIJNSA_6TensorESF_SF_EERKSF_lbbbEUlllE_EE10hipError_tT0_T1_T2_jT3_P12ihipStream_tbPNSt15iterator_traitsISL_E10value_typeEPNSR_ISM_E10value_typeEPSN_NS1_7vsmem_tEENKUlT_SL_SM_SN_E_clIS8_S8_S9_S9_EESK_S10_SL_SM_SN_EUlS10_E0_NS1_11comp_targetILNS1_3genE4ELNS1_11target_archE910ELNS1_3gpuE8ELNS1_3repE0EEENS1_38merge_mergepath_config_static_selectorELNS0_4arch9wavefront6targetE0EEEvSM_,@function
_ZN7rocprim17ROCPRIM_400000_NS6detail17trampoline_kernelINS0_14default_configENS1_38merge_sort_block_merge_config_selectorIlNS0_10empty_typeEEEZZNS1_27merge_sort_block_merge_implIS3_PlPS5_mZN2at6native12_GLOBAL__N_124unique_dim_cuda_templateItEESt5tupleIJNSA_6TensorESF_SF_EERKSF_lbbbEUlllE_EE10hipError_tT0_T1_T2_jT3_P12ihipStream_tbPNSt15iterator_traitsISL_E10value_typeEPNSR_ISM_E10value_typeEPSN_NS1_7vsmem_tEENKUlT_SL_SM_SN_E_clIS8_S8_S9_S9_EESK_S10_SL_SM_SN_EUlS10_E0_NS1_11comp_targetILNS1_3genE4ELNS1_11target_archE910ELNS1_3gpuE8ELNS1_3repE0EEENS1_38merge_mergepath_config_static_selectorELNS0_4arch9wavefront6targetE0EEEvSM_: ; @_ZN7rocprim17ROCPRIM_400000_NS6detail17trampoline_kernelINS0_14default_configENS1_38merge_sort_block_merge_config_selectorIlNS0_10empty_typeEEEZZNS1_27merge_sort_block_merge_implIS3_PlPS5_mZN2at6native12_GLOBAL__N_124unique_dim_cuda_templateItEESt5tupleIJNSA_6TensorESF_SF_EERKSF_lbbbEUlllE_EE10hipError_tT0_T1_T2_jT3_P12ihipStream_tbPNSt15iterator_traitsISL_E10value_typeEPNSR_ISM_E10value_typeEPSN_NS1_7vsmem_tEENKUlT_SL_SM_SN_E_clIS8_S8_S9_S9_EESK_S10_SL_SM_SN_EUlS10_E0_NS1_11comp_targetILNS1_3genE4ELNS1_11target_archE910ELNS1_3gpuE8ELNS1_3repE0EEENS1_38merge_mergepath_config_static_selectorELNS0_4arch9wavefront6targetE0EEEvSM_
; %bb.0:
	.section	.rodata,"a",@progbits
	.p2align	6, 0x0
	.amdhsa_kernel _ZN7rocprim17ROCPRIM_400000_NS6detail17trampoline_kernelINS0_14default_configENS1_38merge_sort_block_merge_config_selectorIlNS0_10empty_typeEEEZZNS1_27merge_sort_block_merge_implIS3_PlPS5_mZN2at6native12_GLOBAL__N_124unique_dim_cuda_templateItEESt5tupleIJNSA_6TensorESF_SF_EERKSF_lbbbEUlllE_EE10hipError_tT0_T1_T2_jT3_P12ihipStream_tbPNSt15iterator_traitsISL_E10value_typeEPNSR_ISM_E10value_typeEPSN_NS1_7vsmem_tEENKUlT_SL_SM_SN_E_clIS8_S8_S9_S9_EESK_S10_SL_SM_SN_EUlS10_E0_NS1_11comp_targetILNS1_3genE4ELNS1_11target_archE910ELNS1_3gpuE8ELNS1_3repE0EEENS1_38merge_mergepath_config_static_selectorELNS0_4arch9wavefront6targetE0EEEvSM_
		.amdhsa_group_segment_fixed_size 0
		.amdhsa_private_segment_fixed_size 0
		.amdhsa_kernarg_size 88
		.amdhsa_user_sgpr_count 2
		.amdhsa_user_sgpr_dispatch_ptr 0
		.amdhsa_user_sgpr_queue_ptr 0
		.amdhsa_user_sgpr_kernarg_segment_ptr 1
		.amdhsa_user_sgpr_dispatch_id 0
		.amdhsa_user_sgpr_kernarg_preload_length 0
		.amdhsa_user_sgpr_kernarg_preload_offset 0
		.amdhsa_user_sgpr_private_segment_size 0
		.amdhsa_wavefront_size32 1
		.amdhsa_uses_dynamic_stack 0
		.amdhsa_enable_private_segment 0
		.amdhsa_system_sgpr_workgroup_id_x 1
		.amdhsa_system_sgpr_workgroup_id_y 0
		.amdhsa_system_sgpr_workgroup_id_z 0
		.amdhsa_system_sgpr_workgroup_info 0
		.amdhsa_system_vgpr_workitem_id 0
		.amdhsa_next_free_vgpr 1
		.amdhsa_next_free_sgpr 1
		.amdhsa_named_barrier_count 0
		.amdhsa_reserve_vcc 0
		.amdhsa_float_round_mode_32 0
		.amdhsa_float_round_mode_16_64 0
		.amdhsa_float_denorm_mode_32 3
		.amdhsa_float_denorm_mode_16_64 3
		.amdhsa_fp16_overflow 0
		.amdhsa_memory_ordered 1
		.amdhsa_forward_progress 1
		.amdhsa_inst_pref_size 0
		.amdhsa_round_robin_scheduling 0
		.amdhsa_exception_fp_ieee_invalid_op 0
		.amdhsa_exception_fp_denorm_src 0
		.amdhsa_exception_fp_ieee_div_zero 0
		.amdhsa_exception_fp_ieee_overflow 0
		.amdhsa_exception_fp_ieee_underflow 0
		.amdhsa_exception_fp_ieee_inexact 0
		.amdhsa_exception_int_div_zero 0
	.end_amdhsa_kernel
	.section	.text._ZN7rocprim17ROCPRIM_400000_NS6detail17trampoline_kernelINS0_14default_configENS1_38merge_sort_block_merge_config_selectorIlNS0_10empty_typeEEEZZNS1_27merge_sort_block_merge_implIS3_PlPS5_mZN2at6native12_GLOBAL__N_124unique_dim_cuda_templateItEESt5tupleIJNSA_6TensorESF_SF_EERKSF_lbbbEUlllE_EE10hipError_tT0_T1_T2_jT3_P12ihipStream_tbPNSt15iterator_traitsISL_E10value_typeEPNSR_ISM_E10value_typeEPSN_NS1_7vsmem_tEENKUlT_SL_SM_SN_E_clIS8_S8_S9_S9_EESK_S10_SL_SM_SN_EUlS10_E0_NS1_11comp_targetILNS1_3genE4ELNS1_11target_archE910ELNS1_3gpuE8ELNS1_3repE0EEENS1_38merge_mergepath_config_static_selectorELNS0_4arch9wavefront6targetE0EEEvSM_,"axG",@progbits,_ZN7rocprim17ROCPRIM_400000_NS6detail17trampoline_kernelINS0_14default_configENS1_38merge_sort_block_merge_config_selectorIlNS0_10empty_typeEEEZZNS1_27merge_sort_block_merge_implIS3_PlPS5_mZN2at6native12_GLOBAL__N_124unique_dim_cuda_templateItEESt5tupleIJNSA_6TensorESF_SF_EERKSF_lbbbEUlllE_EE10hipError_tT0_T1_T2_jT3_P12ihipStream_tbPNSt15iterator_traitsISL_E10value_typeEPNSR_ISM_E10value_typeEPSN_NS1_7vsmem_tEENKUlT_SL_SM_SN_E_clIS8_S8_S9_S9_EESK_S10_SL_SM_SN_EUlS10_E0_NS1_11comp_targetILNS1_3genE4ELNS1_11target_archE910ELNS1_3gpuE8ELNS1_3repE0EEENS1_38merge_mergepath_config_static_selectorELNS0_4arch9wavefront6targetE0EEEvSM_,comdat
.Lfunc_end1381:
	.size	_ZN7rocprim17ROCPRIM_400000_NS6detail17trampoline_kernelINS0_14default_configENS1_38merge_sort_block_merge_config_selectorIlNS0_10empty_typeEEEZZNS1_27merge_sort_block_merge_implIS3_PlPS5_mZN2at6native12_GLOBAL__N_124unique_dim_cuda_templateItEESt5tupleIJNSA_6TensorESF_SF_EERKSF_lbbbEUlllE_EE10hipError_tT0_T1_T2_jT3_P12ihipStream_tbPNSt15iterator_traitsISL_E10value_typeEPNSR_ISM_E10value_typeEPSN_NS1_7vsmem_tEENKUlT_SL_SM_SN_E_clIS8_S8_S9_S9_EESK_S10_SL_SM_SN_EUlS10_E0_NS1_11comp_targetILNS1_3genE4ELNS1_11target_archE910ELNS1_3gpuE8ELNS1_3repE0EEENS1_38merge_mergepath_config_static_selectorELNS0_4arch9wavefront6targetE0EEEvSM_, .Lfunc_end1381-_ZN7rocprim17ROCPRIM_400000_NS6detail17trampoline_kernelINS0_14default_configENS1_38merge_sort_block_merge_config_selectorIlNS0_10empty_typeEEEZZNS1_27merge_sort_block_merge_implIS3_PlPS5_mZN2at6native12_GLOBAL__N_124unique_dim_cuda_templateItEESt5tupleIJNSA_6TensorESF_SF_EERKSF_lbbbEUlllE_EE10hipError_tT0_T1_T2_jT3_P12ihipStream_tbPNSt15iterator_traitsISL_E10value_typeEPNSR_ISM_E10value_typeEPSN_NS1_7vsmem_tEENKUlT_SL_SM_SN_E_clIS8_S8_S9_S9_EESK_S10_SL_SM_SN_EUlS10_E0_NS1_11comp_targetILNS1_3genE4ELNS1_11target_archE910ELNS1_3gpuE8ELNS1_3repE0EEENS1_38merge_mergepath_config_static_selectorELNS0_4arch9wavefront6targetE0EEEvSM_
                                        ; -- End function
	.set _ZN7rocprim17ROCPRIM_400000_NS6detail17trampoline_kernelINS0_14default_configENS1_38merge_sort_block_merge_config_selectorIlNS0_10empty_typeEEEZZNS1_27merge_sort_block_merge_implIS3_PlPS5_mZN2at6native12_GLOBAL__N_124unique_dim_cuda_templateItEESt5tupleIJNSA_6TensorESF_SF_EERKSF_lbbbEUlllE_EE10hipError_tT0_T1_T2_jT3_P12ihipStream_tbPNSt15iterator_traitsISL_E10value_typeEPNSR_ISM_E10value_typeEPSN_NS1_7vsmem_tEENKUlT_SL_SM_SN_E_clIS8_S8_S9_S9_EESK_S10_SL_SM_SN_EUlS10_E0_NS1_11comp_targetILNS1_3genE4ELNS1_11target_archE910ELNS1_3gpuE8ELNS1_3repE0EEENS1_38merge_mergepath_config_static_selectorELNS0_4arch9wavefront6targetE0EEEvSM_.num_vgpr, 0
	.set _ZN7rocprim17ROCPRIM_400000_NS6detail17trampoline_kernelINS0_14default_configENS1_38merge_sort_block_merge_config_selectorIlNS0_10empty_typeEEEZZNS1_27merge_sort_block_merge_implIS3_PlPS5_mZN2at6native12_GLOBAL__N_124unique_dim_cuda_templateItEESt5tupleIJNSA_6TensorESF_SF_EERKSF_lbbbEUlllE_EE10hipError_tT0_T1_T2_jT3_P12ihipStream_tbPNSt15iterator_traitsISL_E10value_typeEPNSR_ISM_E10value_typeEPSN_NS1_7vsmem_tEENKUlT_SL_SM_SN_E_clIS8_S8_S9_S9_EESK_S10_SL_SM_SN_EUlS10_E0_NS1_11comp_targetILNS1_3genE4ELNS1_11target_archE910ELNS1_3gpuE8ELNS1_3repE0EEENS1_38merge_mergepath_config_static_selectorELNS0_4arch9wavefront6targetE0EEEvSM_.num_agpr, 0
	.set _ZN7rocprim17ROCPRIM_400000_NS6detail17trampoline_kernelINS0_14default_configENS1_38merge_sort_block_merge_config_selectorIlNS0_10empty_typeEEEZZNS1_27merge_sort_block_merge_implIS3_PlPS5_mZN2at6native12_GLOBAL__N_124unique_dim_cuda_templateItEESt5tupleIJNSA_6TensorESF_SF_EERKSF_lbbbEUlllE_EE10hipError_tT0_T1_T2_jT3_P12ihipStream_tbPNSt15iterator_traitsISL_E10value_typeEPNSR_ISM_E10value_typeEPSN_NS1_7vsmem_tEENKUlT_SL_SM_SN_E_clIS8_S8_S9_S9_EESK_S10_SL_SM_SN_EUlS10_E0_NS1_11comp_targetILNS1_3genE4ELNS1_11target_archE910ELNS1_3gpuE8ELNS1_3repE0EEENS1_38merge_mergepath_config_static_selectorELNS0_4arch9wavefront6targetE0EEEvSM_.numbered_sgpr, 0
	.set _ZN7rocprim17ROCPRIM_400000_NS6detail17trampoline_kernelINS0_14default_configENS1_38merge_sort_block_merge_config_selectorIlNS0_10empty_typeEEEZZNS1_27merge_sort_block_merge_implIS3_PlPS5_mZN2at6native12_GLOBAL__N_124unique_dim_cuda_templateItEESt5tupleIJNSA_6TensorESF_SF_EERKSF_lbbbEUlllE_EE10hipError_tT0_T1_T2_jT3_P12ihipStream_tbPNSt15iterator_traitsISL_E10value_typeEPNSR_ISM_E10value_typeEPSN_NS1_7vsmem_tEENKUlT_SL_SM_SN_E_clIS8_S8_S9_S9_EESK_S10_SL_SM_SN_EUlS10_E0_NS1_11comp_targetILNS1_3genE4ELNS1_11target_archE910ELNS1_3gpuE8ELNS1_3repE0EEENS1_38merge_mergepath_config_static_selectorELNS0_4arch9wavefront6targetE0EEEvSM_.num_named_barrier, 0
	.set _ZN7rocprim17ROCPRIM_400000_NS6detail17trampoline_kernelINS0_14default_configENS1_38merge_sort_block_merge_config_selectorIlNS0_10empty_typeEEEZZNS1_27merge_sort_block_merge_implIS3_PlPS5_mZN2at6native12_GLOBAL__N_124unique_dim_cuda_templateItEESt5tupleIJNSA_6TensorESF_SF_EERKSF_lbbbEUlllE_EE10hipError_tT0_T1_T2_jT3_P12ihipStream_tbPNSt15iterator_traitsISL_E10value_typeEPNSR_ISM_E10value_typeEPSN_NS1_7vsmem_tEENKUlT_SL_SM_SN_E_clIS8_S8_S9_S9_EESK_S10_SL_SM_SN_EUlS10_E0_NS1_11comp_targetILNS1_3genE4ELNS1_11target_archE910ELNS1_3gpuE8ELNS1_3repE0EEENS1_38merge_mergepath_config_static_selectorELNS0_4arch9wavefront6targetE0EEEvSM_.private_seg_size, 0
	.set _ZN7rocprim17ROCPRIM_400000_NS6detail17trampoline_kernelINS0_14default_configENS1_38merge_sort_block_merge_config_selectorIlNS0_10empty_typeEEEZZNS1_27merge_sort_block_merge_implIS3_PlPS5_mZN2at6native12_GLOBAL__N_124unique_dim_cuda_templateItEESt5tupleIJNSA_6TensorESF_SF_EERKSF_lbbbEUlllE_EE10hipError_tT0_T1_T2_jT3_P12ihipStream_tbPNSt15iterator_traitsISL_E10value_typeEPNSR_ISM_E10value_typeEPSN_NS1_7vsmem_tEENKUlT_SL_SM_SN_E_clIS8_S8_S9_S9_EESK_S10_SL_SM_SN_EUlS10_E0_NS1_11comp_targetILNS1_3genE4ELNS1_11target_archE910ELNS1_3gpuE8ELNS1_3repE0EEENS1_38merge_mergepath_config_static_selectorELNS0_4arch9wavefront6targetE0EEEvSM_.uses_vcc, 0
	.set _ZN7rocprim17ROCPRIM_400000_NS6detail17trampoline_kernelINS0_14default_configENS1_38merge_sort_block_merge_config_selectorIlNS0_10empty_typeEEEZZNS1_27merge_sort_block_merge_implIS3_PlPS5_mZN2at6native12_GLOBAL__N_124unique_dim_cuda_templateItEESt5tupleIJNSA_6TensorESF_SF_EERKSF_lbbbEUlllE_EE10hipError_tT0_T1_T2_jT3_P12ihipStream_tbPNSt15iterator_traitsISL_E10value_typeEPNSR_ISM_E10value_typeEPSN_NS1_7vsmem_tEENKUlT_SL_SM_SN_E_clIS8_S8_S9_S9_EESK_S10_SL_SM_SN_EUlS10_E0_NS1_11comp_targetILNS1_3genE4ELNS1_11target_archE910ELNS1_3gpuE8ELNS1_3repE0EEENS1_38merge_mergepath_config_static_selectorELNS0_4arch9wavefront6targetE0EEEvSM_.uses_flat_scratch, 0
	.set _ZN7rocprim17ROCPRIM_400000_NS6detail17trampoline_kernelINS0_14default_configENS1_38merge_sort_block_merge_config_selectorIlNS0_10empty_typeEEEZZNS1_27merge_sort_block_merge_implIS3_PlPS5_mZN2at6native12_GLOBAL__N_124unique_dim_cuda_templateItEESt5tupleIJNSA_6TensorESF_SF_EERKSF_lbbbEUlllE_EE10hipError_tT0_T1_T2_jT3_P12ihipStream_tbPNSt15iterator_traitsISL_E10value_typeEPNSR_ISM_E10value_typeEPSN_NS1_7vsmem_tEENKUlT_SL_SM_SN_E_clIS8_S8_S9_S9_EESK_S10_SL_SM_SN_EUlS10_E0_NS1_11comp_targetILNS1_3genE4ELNS1_11target_archE910ELNS1_3gpuE8ELNS1_3repE0EEENS1_38merge_mergepath_config_static_selectorELNS0_4arch9wavefront6targetE0EEEvSM_.has_dyn_sized_stack, 0
	.set _ZN7rocprim17ROCPRIM_400000_NS6detail17trampoline_kernelINS0_14default_configENS1_38merge_sort_block_merge_config_selectorIlNS0_10empty_typeEEEZZNS1_27merge_sort_block_merge_implIS3_PlPS5_mZN2at6native12_GLOBAL__N_124unique_dim_cuda_templateItEESt5tupleIJNSA_6TensorESF_SF_EERKSF_lbbbEUlllE_EE10hipError_tT0_T1_T2_jT3_P12ihipStream_tbPNSt15iterator_traitsISL_E10value_typeEPNSR_ISM_E10value_typeEPSN_NS1_7vsmem_tEENKUlT_SL_SM_SN_E_clIS8_S8_S9_S9_EESK_S10_SL_SM_SN_EUlS10_E0_NS1_11comp_targetILNS1_3genE4ELNS1_11target_archE910ELNS1_3gpuE8ELNS1_3repE0EEENS1_38merge_mergepath_config_static_selectorELNS0_4arch9wavefront6targetE0EEEvSM_.has_recursion, 0
	.set _ZN7rocprim17ROCPRIM_400000_NS6detail17trampoline_kernelINS0_14default_configENS1_38merge_sort_block_merge_config_selectorIlNS0_10empty_typeEEEZZNS1_27merge_sort_block_merge_implIS3_PlPS5_mZN2at6native12_GLOBAL__N_124unique_dim_cuda_templateItEESt5tupleIJNSA_6TensorESF_SF_EERKSF_lbbbEUlllE_EE10hipError_tT0_T1_T2_jT3_P12ihipStream_tbPNSt15iterator_traitsISL_E10value_typeEPNSR_ISM_E10value_typeEPSN_NS1_7vsmem_tEENKUlT_SL_SM_SN_E_clIS8_S8_S9_S9_EESK_S10_SL_SM_SN_EUlS10_E0_NS1_11comp_targetILNS1_3genE4ELNS1_11target_archE910ELNS1_3gpuE8ELNS1_3repE0EEENS1_38merge_mergepath_config_static_selectorELNS0_4arch9wavefront6targetE0EEEvSM_.has_indirect_call, 0
	.section	.AMDGPU.csdata,"",@progbits
; Kernel info:
; codeLenInByte = 0
; TotalNumSgprs: 0
; NumVgprs: 0
; ScratchSize: 0
; MemoryBound: 0
; FloatMode: 240
; IeeeMode: 1
; LDSByteSize: 0 bytes/workgroup (compile time only)
; SGPRBlocks: 0
; VGPRBlocks: 0
; NumSGPRsForWavesPerEU: 1
; NumVGPRsForWavesPerEU: 1
; NamedBarCnt: 0
; Occupancy: 16
; WaveLimiterHint : 0
; COMPUTE_PGM_RSRC2:SCRATCH_EN: 0
; COMPUTE_PGM_RSRC2:USER_SGPR: 2
; COMPUTE_PGM_RSRC2:TRAP_HANDLER: 0
; COMPUTE_PGM_RSRC2:TGID_X_EN: 1
; COMPUTE_PGM_RSRC2:TGID_Y_EN: 0
; COMPUTE_PGM_RSRC2:TGID_Z_EN: 0
; COMPUTE_PGM_RSRC2:TIDIG_COMP_CNT: 0
	.section	.text._ZN7rocprim17ROCPRIM_400000_NS6detail17trampoline_kernelINS0_14default_configENS1_38merge_sort_block_merge_config_selectorIlNS0_10empty_typeEEEZZNS1_27merge_sort_block_merge_implIS3_PlPS5_mZN2at6native12_GLOBAL__N_124unique_dim_cuda_templateItEESt5tupleIJNSA_6TensorESF_SF_EERKSF_lbbbEUlllE_EE10hipError_tT0_T1_T2_jT3_P12ihipStream_tbPNSt15iterator_traitsISL_E10value_typeEPNSR_ISM_E10value_typeEPSN_NS1_7vsmem_tEENKUlT_SL_SM_SN_E_clIS8_S8_S9_S9_EESK_S10_SL_SM_SN_EUlS10_E0_NS1_11comp_targetILNS1_3genE3ELNS1_11target_archE908ELNS1_3gpuE7ELNS1_3repE0EEENS1_38merge_mergepath_config_static_selectorELNS0_4arch9wavefront6targetE0EEEvSM_,"axG",@progbits,_ZN7rocprim17ROCPRIM_400000_NS6detail17trampoline_kernelINS0_14default_configENS1_38merge_sort_block_merge_config_selectorIlNS0_10empty_typeEEEZZNS1_27merge_sort_block_merge_implIS3_PlPS5_mZN2at6native12_GLOBAL__N_124unique_dim_cuda_templateItEESt5tupleIJNSA_6TensorESF_SF_EERKSF_lbbbEUlllE_EE10hipError_tT0_T1_T2_jT3_P12ihipStream_tbPNSt15iterator_traitsISL_E10value_typeEPNSR_ISM_E10value_typeEPSN_NS1_7vsmem_tEENKUlT_SL_SM_SN_E_clIS8_S8_S9_S9_EESK_S10_SL_SM_SN_EUlS10_E0_NS1_11comp_targetILNS1_3genE3ELNS1_11target_archE908ELNS1_3gpuE7ELNS1_3repE0EEENS1_38merge_mergepath_config_static_selectorELNS0_4arch9wavefront6targetE0EEEvSM_,comdat
	.globl	_ZN7rocprim17ROCPRIM_400000_NS6detail17trampoline_kernelINS0_14default_configENS1_38merge_sort_block_merge_config_selectorIlNS0_10empty_typeEEEZZNS1_27merge_sort_block_merge_implIS3_PlPS5_mZN2at6native12_GLOBAL__N_124unique_dim_cuda_templateItEESt5tupleIJNSA_6TensorESF_SF_EERKSF_lbbbEUlllE_EE10hipError_tT0_T1_T2_jT3_P12ihipStream_tbPNSt15iterator_traitsISL_E10value_typeEPNSR_ISM_E10value_typeEPSN_NS1_7vsmem_tEENKUlT_SL_SM_SN_E_clIS8_S8_S9_S9_EESK_S10_SL_SM_SN_EUlS10_E0_NS1_11comp_targetILNS1_3genE3ELNS1_11target_archE908ELNS1_3gpuE7ELNS1_3repE0EEENS1_38merge_mergepath_config_static_selectorELNS0_4arch9wavefront6targetE0EEEvSM_ ; -- Begin function _ZN7rocprim17ROCPRIM_400000_NS6detail17trampoline_kernelINS0_14default_configENS1_38merge_sort_block_merge_config_selectorIlNS0_10empty_typeEEEZZNS1_27merge_sort_block_merge_implIS3_PlPS5_mZN2at6native12_GLOBAL__N_124unique_dim_cuda_templateItEESt5tupleIJNSA_6TensorESF_SF_EERKSF_lbbbEUlllE_EE10hipError_tT0_T1_T2_jT3_P12ihipStream_tbPNSt15iterator_traitsISL_E10value_typeEPNSR_ISM_E10value_typeEPSN_NS1_7vsmem_tEENKUlT_SL_SM_SN_E_clIS8_S8_S9_S9_EESK_S10_SL_SM_SN_EUlS10_E0_NS1_11comp_targetILNS1_3genE3ELNS1_11target_archE908ELNS1_3gpuE7ELNS1_3repE0EEENS1_38merge_mergepath_config_static_selectorELNS0_4arch9wavefront6targetE0EEEvSM_
	.p2align	8
	.type	_ZN7rocprim17ROCPRIM_400000_NS6detail17trampoline_kernelINS0_14default_configENS1_38merge_sort_block_merge_config_selectorIlNS0_10empty_typeEEEZZNS1_27merge_sort_block_merge_implIS3_PlPS5_mZN2at6native12_GLOBAL__N_124unique_dim_cuda_templateItEESt5tupleIJNSA_6TensorESF_SF_EERKSF_lbbbEUlllE_EE10hipError_tT0_T1_T2_jT3_P12ihipStream_tbPNSt15iterator_traitsISL_E10value_typeEPNSR_ISM_E10value_typeEPSN_NS1_7vsmem_tEENKUlT_SL_SM_SN_E_clIS8_S8_S9_S9_EESK_S10_SL_SM_SN_EUlS10_E0_NS1_11comp_targetILNS1_3genE3ELNS1_11target_archE908ELNS1_3gpuE7ELNS1_3repE0EEENS1_38merge_mergepath_config_static_selectorELNS0_4arch9wavefront6targetE0EEEvSM_,@function
_ZN7rocprim17ROCPRIM_400000_NS6detail17trampoline_kernelINS0_14default_configENS1_38merge_sort_block_merge_config_selectorIlNS0_10empty_typeEEEZZNS1_27merge_sort_block_merge_implIS3_PlPS5_mZN2at6native12_GLOBAL__N_124unique_dim_cuda_templateItEESt5tupleIJNSA_6TensorESF_SF_EERKSF_lbbbEUlllE_EE10hipError_tT0_T1_T2_jT3_P12ihipStream_tbPNSt15iterator_traitsISL_E10value_typeEPNSR_ISM_E10value_typeEPSN_NS1_7vsmem_tEENKUlT_SL_SM_SN_E_clIS8_S8_S9_S9_EESK_S10_SL_SM_SN_EUlS10_E0_NS1_11comp_targetILNS1_3genE3ELNS1_11target_archE908ELNS1_3gpuE7ELNS1_3repE0EEENS1_38merge_mergepath_config_static_selectorELNS0_4arch9wavefront6targetE0EEEvSM_: ; @_ZN7rocprim17ROCPRIM_400000_NS6detail17trampoline_kernelINS0_14default_configENS1_38merge_sort_block_merge_config_selectorIlNS0_10empty_typeEEEZZNS1_27merge_sort_block_merge_implIS3_PlPS5_mZN2at6native12_GLOBAL__N_124unique_dim_cuda_templateItEESt5tupleIJNSA_6TensorESF_SF_EERKSF_lbbbEUlllE_EE10hipError_tT0_T1_T2_jT3_P12ihipStream_tbPNSt15iterator_traitsISL_E10value_typeEPNSR_ISM_E10value_typeEPSN_NS1_7vsmem_tEENKUlT_SL_SM_SN_E_clIS8_S8_S9_S9_EESK_S10_SL_SM_SN_EUlS10_E0_NS1_11comp_targetILNS1_3genE3ELNS1_11target_archE908ELNS1_3gpuE7ELNS1_3repE0EEENS1_38merge_mergepath_config_static_selectorELNS0_4arch9wavefront6targetE0EEEvSM_
; %bb.0:
	.section	.rodata,"a",@progbits
	.p2align	6, 0x0
	.amdhsa_kernel _ZN7rocprim17ROCPRIM_400000_NS6detail17trampoline_kernelINS0_14default_configENS1_38merge_sort_block_merge_config_selectorIlNS0_10empty_typeEEEZZNS1_27merge_sort_block_merge_implIS3_PlPS5_mZN2at6native12_GLOBAL__N_124unique_dim_cuda_templateItEESt5tupleIJNSA_6TensorESF_SF_EERKSF_lbbbEUlllE_EE10hipError_tT0_T1_T2_jT3_P12ihipStream_tbPNSt15iterator_traitsISL_E10value_typeEPNSR_ISM_E10value_typeEPSN_NS1_7vsmem_tEENKUlT_SL_SM_SN_E_clIS8_S8_S9_S9_EESK_S10_SL_SM_SN_EUlS10_E0_NS1_11comp_targetILNS1_3genE3ELNS1_11target_archE908ELNS1_3gpuE7ELNS1_3repE0EEENS1_38merge_mergepath_config_static_selectorELNS0_4arch9wavefront6targetE0EEEvSM_
		.amdhsa_group_segment_fixed_size 0
		.amdhsa_private_segment_fixed_size 0
		.amdhsa_kernarg_size 88
		.amdhsa_user_sgpr_count 2
		.amdhsa_user_sgpr_dispatch_ptr 0
		.amdhsa_user_sgpr_queue_ptr 0
		.amdhsa_user_sgpr_kernarg_segment_ptr 1
		.amdhsa_user_sgpr_dispatch_id 0
		.amdhsa_user_sgpr_kernarg_preload_length 0
		.amdhsa_user_sgpr_kernarg_preload_offset 0
		.amdhsa_user_sgpr_private_segment_size 0
		.amdhsa_wavefront_size32 1
		.amdhsa_uses_dynamic_stack 0
		.amdhsa_enable_private_segment 0
		.amdhsa_system_sgpr_workgroup_id_x 1
		.amdhsa_system_sgpr_workgroup_id_y 0
		.amdhsa_system_sgpr_workgroup_id_z 0
		.amdhsa_system_sgpr_workgroup_info 0
		.amdhsa_system_vgpr_workitem_id 0
		.amdhsa_next_free_vgpr 1
		.amdhsa_next_free_sgpr 1
		.amdhsa_named_barrier_count 0
		.amdhsa_reserve_vcc 0
		.amdhsa_float_round_mode_32 0
		.amdhsa_float_round_mode_16_64 0
		.amdhsa_float_denorm_mode_32 3
		.amdhsa_float_denorm_mode_16_64 3
		.amdhsa_fp16_overflow 0
		.amdhsa_memory_ordered 1
		.amdhsa_forward_progress 1
		.amdhsa_inst_pref_size 0
		.amdhsa_round_robin_scheduling 0
		.amdhsa_exception_fp_ieee_invalid_op 0
		.amdhsa_exception_fp_denorm_src 0
		.amdhsa_exception_fp_ieee_div_zero 0
		.amdhsa_exception_fp_ieee_overflow 0
		.amdhsa_exception_fp_ieee_underflow 0
		.amdhsa_exception_fp_ieee_inexact 0
		.amdhsa_exception_int_div_zero 0
	.end_amdhsa_kernel
	.section	.text._ZN7rocprim17ROCPRIM_400000_NS6detail17trampoline_kernelINS0_14default_configENS1_38merge_sort_block_merge_config_selectorIlNS0_10empty_typeEEEZZNS1_27merge_sort_block_merge_implIS3_PlPS5_mZN2at6native12_GLOBAL__N_124unique_dim_cuda_templateItEESt5tupleIJNSA_6TensorESF_SF_EERKSF_lbbbEUlllE_EE10hipError_tT0_T1_T2_jT3_P12ihipStream_tbPNSt15iterator_traitsISL_E10value_typeEPNSR_ISM_E10value_typeEPSN_NS1_7vsmem_tEENKUlT_SL_SM_SN_E_clIS8_S8_S9_S9_EESK_S10_SL_SM_SN_EUlS10_E0_NS1_11comp_targetILNS1_3genE3ELNS1_11target_archE908ELNS1_3gpuE7ELNS1_3repE0EEENS1_38merge_mergepath_config_static_selectorELNS0_4arch9wavefront6targetE0EEEvSM_,"axG",@progbits,_ZN7rocprim17ROCPRIM_400000_NS6detail17trampoline_kernelINS0_14default_configENS1_38merge_sort_block_merge_config_selectorIlNS0_10empty_typeEEEZZNS1_27merge_sort_block_merge_implIS3_PlPS5_mZN2at6native12_GLOBAL__N_124unique_dim_cuda_templateItEESt5tupleIJNSA_6TensorESF_SF_EERKSF_lbbbEUlllE_EE10hipError_tT0_T1_T2_jT3_P12ihipStream_tbPNSt15iterator_traitsISL_E10value_typeEPNSR_ISM_E10value_typeEPSN_NS1_7vsmem_tEENKUlT_SL_SM_SN_E_clIS8_S8_S9_S9_EESK_S10_SL_SM_SN_EUlS10_E0_NS1_11comp_targetILNS1_3genE3ELNS1_11target_archE908ELNS1_3gpuE7ELNS1_3repE0EEENS1_38merge_mergepath_config_static_selectorELNS0_4arch9wavefront6targetE0EEEvSM_,comdat
.Lfunc_end1382:
	.size	_ZN7rocprim17ROCPRIM_400000_NS6detail17trampoline_kernelINS0_14default_configENS1_38merge_sort_block_merge_config_selectorIlNS0_10empty_typeEEEZZNS1_27merge_sort_block_merge_implIS3_PlPS5_mZN2at6native12_GLOBAL__N_124unique_dim_cuda_templateItEESt5tupleIJNSA_6TensorESF_SF_EERKSF_lbbbEUlllE_EE10hipError_tT0_T1_T2_jT3_P12ihipStream_tbPNSt15iterator_traitsISL_E10value_typeEPNSR_ISM_E10value_typeEPSN_NS1_7vsmem_tEENKUlT_SL_SM_SN_E_clIS8_S8_S9_S9_EESK_S10_SL_SM_SN_EUlS10_E0_NS1_11comp_targetILNS1_3genE3ELNS1_11target_archE908ELNS1_3gpuE7ELNS1_3repE0EEENS1_38merge_mergepath_config_static_selectorELNS0_4arch9wavefront6targetE0EEEvSM_, .Lfunc_end1382-_ZN7rocprim17ROCPRIM_400000_NS6detail17trampoline_kernelINS0_14default_configENS1_38merge_sort_block_merge_config_selectorIlNS0_10empty_typeEEEZZNS1_27merge_sort_block_merge_implIS3_PlPS5_mZN2at6native12_GLOBAL__N_124unique_dim_cuda_templateItEESt5tupleIJNSA_6TensorESF_SF_EERKSF_lbbbEUlllE_EE10hipError_tT0_T1_T2_jT3_P12ihipStream_tbPNSt15iterator_traitsISL_E10value_typeEPNSR_ISM_E10value_typeEPSN_NS1_7vsmem_tEENKUlT_SL_SM_SN_E_clIS8_S8_S9_S9_EESK_S10_SL_SM_SN_EUlS10_E0_NS1_11comp_targetILNS1_3genE3ELNS1_11target_archE908ELNS1_3gpuE7ELNS1_3repE0EEENS1_38merge_mergepath_config_static_selectorELNS0_4arch9wavefront6targetE0EEEvSM_
                                        ; -- End function
	.set _ZN7rocprim17ROCPRIM_400000_NS6detail17trampoline_kernelINS0_14default_configENS1_38merge_sort_block_merge_config_selectorIlNS0_10empty_typeEEEZZNS1_27merge_sort_block_merge_implIS3_PlPS5_mZN2at6native12_GLOBAL__N_124unique_dim_cuda_templateItEESt5tupleIJNSA_6TensorESF_SF_EERKSF_lbbbEUlllE_EE10hipError_tT0_T1_T2_jT3_P12ihipStream_tbPNSt15iterator_traitsISL_E10value_typeEPNSR_ISM_E10value_typeEPSN_NS1_7vsmem_tEENKUlT_SL_SM_SN_E_clIS8_S8_S9_S9_EESK_S10_SL_SM_SN_EUlS10_E0_NS1_11comp_targetILNS1_3genE3ELNS1_11target_archE908ELNS1_3gpuE7ELNS1_3repE0EEENS1_38merge_mergepath_config_static_selectorELNS0_4arch9wavefront6targetE0EEEvSM_.num_vgpr, 0
	.set _ZN7rocprim17ROCPRIM_400000_NS6detail17trampoline_kernelINS0_14default_configENS1_38merge_sort_block_merge_config_selectorIlNS0_10empty_typeEEEZZNS1_27merge_sort_block_merge_implIS3_PlPS5_mZN2at6native12_GLOBAL__N_124unique_dim_cuda_templateItEESt5tupleIJNSA_6TensorESF_SF_EERKSF_lbbbEUlllE_EE10hipError_tT0_T1_T2_jT3_P12ihipStream_tbPNSt15iterator_traitsISL_E10value_typeEPNSR_ISM_E10value_typeEPSN_NS1_7vsmem_tEENKUlT_SL_SM_SN_E_clIS8_S8_S9_S9_EESK_S10_SL_SM_SN_EUlS10_E0_NS1_11comp_targetILNS1_3genE3ELNS1_11target_archE908ELNS1_3gpuE7ELNS1_3repE0EEENS1_38merge_mergepath_config_static_selectorELNS0_4arch9wavefront6targetE0EEEvSM_.num_agpr, 0
	.set _ZN7rocprim17ROCPRIM_400000_NS6detail17trampoline_kernelINS0_14default_configENS1_38merge_sort_block_merge_config_selectorIlNS0_10empty_typeEEEZZNS1_27merge_sort_block_merge_implIS3_PlPS5_mZN2at6native12_GLOBAL__N_124unique_dim_cuda_templateItEESt5tupleIJNSA_6TensorESF_SF_EERKSF_lbbbEUlllE_EE10hipError_tT0_T1_T2_jT3_P12ihipStream_tbPNSt15iterator_traitsISL_E10value_typeEPNSR_ISM_E10value_typeEPSN_NS1_7vsmem_tEENKUlT_SL_SM_SN_E_clIS8_S8_S9_S9_EESK_S10_SL_SM_SN_EUlS10_E0_NS1_11comp_targetILNS1_3genE3ELNS1_11target_archE908ELNS1_3gpuE7ELNS1_3repE0EEENS1_38merge_mergepath_config_static_selectorELNS0_4arch9wavefront6targetE0EEEvSM_.numbered_sgpr, 0
	.set _ZN7rocprim17ROCPRIM_400000_NS6detail17trampoline_kernelINS0_14default_configENS1_38merge_sort_block_merge_config_selectorIlNS0_10empty_typeEEEZZNS1_27merge_sort_block_merge_implIS3_PlPS5_mZN2at6native12_GLOBAL__N_124unique_dim_cuda_templateItEESt5tupleIJNSA_6TensorESF_SF_EERKSF_lbbbEUlllE_EE10hipError_tT0_T1_T2_jT3_P12ihipStream_tbPNSt15iterator_traitsISL_E10value_typeEPNSR_ISM_E10value_typeEPSN_NS1_7vsmem_tEENKUlT_SL_SM_SN_E_clIS8_S8_S9_S9_EESK_S10_SL_SM_SN_EUlS10_E0_NS1_11comp_targetILNS1_3genE3ELNS1_11target_archE908ELNS1_3gpuE7ELNS1_3repE0EEENS1_38merge_mergepath_config_static_selectorELNS0_4arch9wavefront6targetE0EEEvSM_.num_named_barrier, 0
	.set _ZN7rocprim17ROCPRIM_400000_NS6detail17trampoline_kernelINS0_14default_configENS1_38merge_sort_block_merge_config_selectorIlNS0_10empty_typeEEEZZNS1_27merge_sort_block_merge_implIS3_PlPS5_mZN2at6native12_GLOBAL__N_124unique_dim_cuda_templateItEESt5tupleIJNSA_6TensorESF_SF_EERKSF_lbbbEUlllE_EE10hipError_tT0_T1_T2_jT3_P12ihipStream_tbPNSt15iterator_traitsISL_E10value_typeEPNSR_ISM_E10value_typeEPSN_NS1_7vsmem_tEENKUlT_SL_SM_SN_E_clIS8_S8_S9_S9_EESK_S10_SL_SM_SN_EUlS10_E0_NS1_11comp_targetILNS1_3genE3ELNS1_11target_archE908ELNS1_3gpuE7ELNS1_3repE0EEENS1_38merge_mergepath_config_static_selectorELNS0_4arch9wavefront6targetE0EEEvSM_.private_seg_size, 0
	.set _ZN7rocprim17ROCPRIM_400000_NS6detail17trampoline_kernelINS0_14default_configENS1_38merge_sort_block_merge_config_selectorIlNS0_10empty_typeEEEZZNS1_27merge_sort_block_merge_implIS3_PlPS5_mZN2at6native12_GLOBAL__N_124unique_dim_cuda_templateItEESt5tupleIJNSA_6TensorESF_SF_EERKSF_lbbbEUlllE_EE10hipError_tT0_T1_T2_jT3_P12ihipStream_tbPNSt15iterator_traitsISL_E10value_typeEPNSR_ISM_E10value_typeEPSN_NS1_7vsmem_tEENKUlT_SL_SM_SN_E_clIS8_S8_S9_S9_EESK_S10_SL_SM_SN_EUlS10_E0_NS1_11comp_targetILNS1_3genE3ELNS1_11target_archE908ELNS1_3gpuE7ELNS1_3repE0EEENS1_38merge_mergepath_config_static_selectorELNS0_4arch9wavefront6targetE0EEEvSM_.uses_vcc, 0
	.set _ZN7rocprim17ROCPRIM_400000_NS6detail17trampoline_kernelINS0_14default_configENS1_38merge_sort_block_merge_config_selectorIlNS0_10empty_typeEEEZZNS1_27merge_sort_block_merge_implIS3_PlPS5_mZN2at6native12_GLOBAL__N_124unique_dim_cuda_templateItEESt5tupleIJNSA_6TensorESF_SF_EERKSF_lbbbEUlllE_EE10hipError_tT0_T1_T2_jT3_P12ihipStream_tbPNSt15iterator_traitsISL_E10value_typeEPNSR_ISM_E10value_typeEPSN_NS1_7vsmem_tEENKUlT_SL_SM_SN_E_clIS8_S8_S9_S9_EESK_S10_SL_SM_SN_EUlS10_E0_NS1_11comp_targetILNS1_3genE3ELNS1_11target_archE908ELNS1_3gpuE7ELNS1_3repE0EEENS1_38merge_mergepath_config_static_selectorELNS0_4arch9wavefront6targetE0EEEvSM_.uses_flat_scratch, 0
	.set _ZN7rocprim17ROCPRIM_400000_NS6detail17trampoline_kernelINS0_14default_configENS1_38merge_sort_block_merge_config_selectorIlNS0_10empty_typeEEEZZNS1_27merge_sort_block_merge_implIS3_PlPS5_mZN2at6native12_GLOBAL__N_124unique_dim_cuda_templateItEESt5tupleIJNSA_6TensorESF_SF_EERKSF_lbbbEUlllE_EE10hipError_tT0_T1_T2_jT3_P12ihipStream_tbPNSt15iterator_traitsISL_E10value_typeEPNSR_ISM_E10value_typeEPSN_NS1_7vsmem_tEENKUlT_SL_SM_SN_E_clIS8_S8_S9_S9_EESK_S10_SL_SM_SN_EUlS10_E0_NS1_11comp_targetILNS1_3genE3ELNS1_11target_archE908ELNS1_3gpuE7ELNS1_3repE0EEENS1_38merge_mergepath_config_static_selectorELNS0_4arch9wavefront6targetE0EEEvSM_.has_dyn_sized_stack, 0
	.set _ZN7rocprim17ROCPRIM_400000_NS6detail17trampoline_kernelINS0_14default_configENS1_38merge_sort_block_merge_config_selectorIlNS0_10empty_typeEEEZZNS1_27merge_sort_block_merge_implIS3_PlPS5_mZN2at6native12_GLOBAL__N_124unique_dim_cuda_templateItEESt5tupleIJNSA_6TensorESF_SF_EERKSF_lbbbEUlllE_EE10hipError_tT0_T1_T2_jT3_P12ihipStream_tbPNSt15iterator_traitsISL_E10value_typeEPNSR_ISM_E10value_typeEPSN_NS1_7vsmem_tEENKUlT_SL_SM_SN_E_clIS8_S8_S9_S9_EESK_S10_SL_SM_SN_EUlS10_E0_NS1_11comp_targetILNS1_3genE3ELNS1_11target_archE908ELNS1_3gpuE7ELNS1_3repE0EEENS1_38merge_mergepath_config_static_selectorELNS0_4arch9wavefront6targetE0EEEvSM_.has_recursion, 0
	.set _ZN7rocprim17ROCPRIM_400000_NS6detail17trampoline_kernelINS0_14default_configENS1_38merge_sort_block_merge_config_selectorIlNS0_10empty_typeEEEZZNS1_27merge_sort_block_merge_implIS3_PlPS5_mZN2at6native12_GLOBAL__N_124unique_dim_cuda_templateItEESt5tupleIJNSA_6TensorESF_SF_EERKSF_lbbbEUlllE_EE10hipError_tT0_T1_T2_jT3_P12ihipStream_tbPNSt15iterator_traitsISL_E10value_typeEPNSR_ISM_E10value_typeEPSN_NS1_7vsmem_tEENKUlT_SL_SM_SN_E_clIS8_S8_S9_S9_EESK_S10_SL_SM_SN_EUlS10_E0_NS1_11comp_targetILNS1_3genE3ELNS1_11target_archE908ELNS1_3gpuE7ELNS1_3repE0EEENS1_38merge_mergepath_config_static_selectorELNS0_4arch9wavefront6targetE0EEEvSM_.has_indirect_call, 0
	.section	.AMDGPU.csdata,"",@progbits
; Kernel info:
; codeLenInByte = 0
; TotalNumSgprs: 0
; NumVgprs: 0
; ScratchSize: 0
; MemoryBound: 0
; FloatMode: 240
; IeeeMode: 1
; LDSByteSize: 0 bytes/workgroup (compile time only)
; SGPRBlocks: 0
; VGPRBlocks: 0
; NumSGPRsForWavesPerEU: 1
; NumVGPRsForWavesPerEU: 1
; NamedBarCnt: 0
; Occupancy: 16
; WaveLimiterHint : 0
; COMPUTE_PGM_RSRC2:SCRATCH_EN: 0
; COMPUTE_PGM_RSRC2:USER_SGPR: 2
; COMPUTE_PGM_RSRC2:TRAP_HANDLER: 0
; COMPUTE_PGM_RSRC2:TGID_X_EN: 1
; COMPUTE_PGM_RSRC2:TGID_Y_EN: 0
; COMPUTE_PGM_RSRC2:TGID_Z_EN: 0
; COMPUTE_PGM_RSRC2:TIDIG_COMP_CNT: 0
	.section	.text._ZN7rocprim17ROCPRIM_400000_NS6detail17trampoline_kernelINS0_14default_configENS1_38merge_sort_block_merge_config_selectorIlNS0_10empty_typeEEEZZNS1_27merge_sort_block_merge_implIS3_PlPS5_mZN2at6native12_GLOBAL__N_124unique_dim_cuda_templateItEESt5tupleIJNSA_6TensorESF_SF_EERKSF_lbbbEUlllE_EE10hipError_tT0_T1_T2_jT3_P12ihipStream_tbPNSt15iterator_traitsISL_E10value_typeEPNSR_ISM_E10value_typeEPSN_NS1_7vsmem_tEENKUlT_SL_SM_SN_E_clIS8_S8_S9_S9_EESK_S10_SL_SM_SN_EUlS10_E0_NS1_11comp_targetILNS1_3genE2ELNS1_11target_archE906ELNS1_3gpuE6ELNS1_3repE0EEENS1_38merge_mergepath_config_static_selectorELNS0_4arch9wavefront6targetE0EEEvSM_,"axG",@progbits,_ZN7rocprim17ROCPRIM_400000_NS6detail17trampoline_kernelINS0_14default_configENS1_38merge_sort_block_merge_config_selectorIlNS0_10empty_typeEEEZZNS1_27merge_sort_block_merge_implIS3_PlPS5_mZN2at6native12_GLOBAL__N_124unique_dim_cuda_templateItEESt5tupleIJNSA_6TensorESF_SF_EERKSF_lbbbEUlllE_EE10hipError_tT0_T1_T2_jT3_P12ihipStream_tbPNSt15iterator_traitsISL_E10value_typeEPNSR_ISM_E10value_typeEPSN_NS1_7vsmem_tEENKUlT_SL_SM_SN_E_clIS8_S8_S9_S9_EESK_S10_SL_SM_SN_EUlS10_E0_NS1_11comp_targetILNS1_3genE2ELNS1_11target_archE906ELNS1_3gpuE6ELNS1_3repE0EEENS1_38merge_mergepath_config_static_selectorELNS0_4arch9wavefront6targetE0EEEvSM_,comdat
	.globl	_ZN7rocprim17ROCPRIM_400000_NS6detail17trampoline_kernelINS0_14default_configENS1_38merge_sort_block_merge_config_selectorIlNS0_10empty_typeEEEZZNS1_27merge_sort_block_merge_implIS3_PlPS5_mZN2at6native12_GLOBAL__N_124unique_dim_cuda_templateItEESt5tupleIJNSA_6TensorESF_SF_EERKSF_lbbbEUlllE_EE10hipError_tT0_T1_T2_jT3_P12ihipStream_tbPNSt15iterator_traitsISL_E10value_typeEPNSR_ISM_E10value_typeEPSN_NS1_7vsmem_tEENKUlT_SL_SM_SN_E_clIS8_S8_S9_S9_EESK_S10_SL_SM_SN_EUlS10_E0_NS1_11comp_targetILNS1_3genE2ELNS1_11target_archE906ELNS1_3gpuE6ELNS1_3repE0EEENS1_38merge_mergepath_config_static_selectorELNS0_4arch9wavefront6targetE0EEEvSM_ ; -- Begin function _ZN7rocprim17ROCPRIM_400000_NS6detail17trampoline_kernelINS0_14default_configENS1_38merge_sort_block_merge_config_selectorIlNS0_10empty_typeEEEZZNS1_27merge_sort_block_merge_implIS3_PlPS5_mZN2at6native12_GLOBAL__N_124unique_dim_cuda_templateItEESt5tupleIJNSA_6TensorESF_SF_EERKSF_lbbbEUlllE_EE10hipError_tT0_T1_T2_jT3_P12ihipStream_tbPNSt15iterator_traitsISL_E10value_typeEPNSR_ISM_E10value_typeEPSN_NS1_7vsmem_tEENKUlT_SL_SM_SN_E_clIS8_S8_S9_S9_EESK_S10_SL_SM_SN_EUlS10_E0_NS1_11comp_targetILNS1_3genE2ELNS1_11target_archE906ELNS1_3gpuE6ELNS1_3repE0EEENS1_38merge_mergepath_config_static_selectorELNS0_4arch9wavefront6targetE0EEEvSM_
	.p2align	8
	.type	_ZN7rocprim17ROCPRIM_400000_NS6detail17trampoline_kernelINS0_14default_configENS1_38merge_sort_block_merge_config_selectorIlNS0_10empty_typeEEEZZNS1_27merge_sort_block_merge_implIS3_PlPS5_mZN2at6native12_GLOBAL__N_124unique_dim_cuda_templateItEESt5tupleIJNSA_6TensorESF_SF_EERKSF_lbbbEUlllE_EE10hipError_tT0_T1_T2_jT3_P12ihipStream_tbPNSt15iterator_traitsISL_E10value_typeEPNSR_ISM_E10value_typeEPSN_NS1_7vsmem_tEENKUlT_SL_SM_SN_E_clIS8_S8_S9_S9_EESK_S10_SL_SM_SN_EUlS10_E0_NS1_11comp_targetILNS1_3genE2ELNS1_11target_archE906ELNS1_3gpuE6ELNS1_3repE0EEENS1_38merge_mergepath_config_static_selectorELNS0_4arch9wavefront6targetE0EEEvSM_,@function
_ZN7rocprim17ROCPRIM_400000_NS6detail17trampoline_kernelINS0_14default_configENS1_38merge_sort_block_merge_config_selectorIlNS0_10empty_typeEEEZZNS1_27merge_sort_block_merge_implIS3_PlPS5_mZN2at6native12_GLOBAL__N_124unique_dim_cuda_templateItEESt5tupleIJNSA_6TensorESF_SF_EERKSF_lbbbEUlllE_EE10hipError_tT0_T1_T2_jT3_P12ihipStream_tbPNSt15iterator_traitsISL_E10value_typeEPNSR_ISM_E10value_typeEPSN_NS1_7vsmem_tEENKUlT_SL_SM_SN_E_clIS8_S8_S9_S9_EESK_S10_SL_SM_SN_EUlS10_E0_NS1_11comp_targetILNS1_3genE2ELNS1_11target_archE906ELNS1_3gpuE6ELNS1_3repE0EEENS1_38merge_mergepath_config_static_selectorELNS0_4arch9wavefront6targetE0EEEvSM_: ; @_ZN7rocprim17ROCPRIM_400000_NS6detail17trampoline_kernelINS0_14default_configENS1_38merge_sort_block_merge_config_selectorIlNS0_10empty_typeEEEZZNS1_27merge_sort_block_merge_implIS3_PlPS5_mZN2at6native12_GLOBAL__N_124unique_dim_cuda_templateItEESt5tupleIJNSA_6TensorESF_SF_EERKSF_lbbbEUlllE_EE10hipError_tT0_T1_T2_jT3_P12ihipStream_tbPNSt15iterator_traitsISL_E10value_typeEPNSR_ISM_E10value_typeEPSN_NS1_7vsmem_tEENKUlT_SL_SM_SN_E_clIS8_S8_S9_S9_EESK_S10_SL_SM_SN_EUlS10_E0_NS1_11comp_targetILNS1_3genE2ELNS1_11target_archE906ELNS1_3gpuE6ELNS1_3repE0EEENS1_38merge_mergepath_config_static_selectorELNS0_4arch9wavefront6targetE0EEEvSM_
; %bb.0:
	.section	.rodata,"a",@progbits
	.p2align	6, 0x0
	.amdhsa_kernel _ZN7rocprim17ROCPRIM_400000_NS6detail17trampoline_kernelINS0_14default_configENS1_38merge_sort_block_merge_config_selectorIlNS0_10empty_typeEEEZZNS1_27merge_sort_block_merge_implIS3_PlPS5_mZN2at6native12_GLOBAL__N_124unique_dim_cuda_templateItEESt5tupleIJNSA_6TensorESF_SF_EERKSF_lbbbEUlllE_EE10hipError_tT0_T1_T2_jT3_P12ihipStream_tbPNSt15iterator_traitsISL_E10value_typeEPNSR_ISM_E10value_typeEPSN_NS1_7vsmem_tEENKUlT_SL_SM_SN_E_clIS8_S8_S9_S9_EESK_S10_SL_SM_SN_EUlS10_E0_NS1_11comp_targetILNS1_3genE2ELNS1_11target_archE906ELNS1_3gpuE6ELNS1_3repE0EEENS1_38merge_mergepath_config_static_selectorELNS0_4arch9wavefront6targetE0EEEvSM_
		.amdhsa_group_segment_fixed_size 0
		.amdhsa_private_segment_fixed_size 0
		.amdhsa_kernarg_size 88
		.amdhsa_user_sgpr_count 2
		.amdhsa_user_sgpr_dispatch_ptr 0
		.amdhsa_user_sgpr_queue_ptr 0
		.amdhsa_user_sgpr_kernarg_segment_ptr 1
		.amdhsa_user_sgpr_dispatch_id 0
		.amdhsa_user_sgpr_kernarg_preload_length 0
		.amdhsa_user_sgpr_kernarg_preload_offset 0
		.amdhsa_user_sgpr_private_segment_size 0
		.amdhsa_wavefront_size32 1
		.amdhsa_uses_dynamic_stack 0
		.amdhsa_enable_private_segment 0
		.amdhsa_system_sgpr_workgroup_id_x 1
		.amdhsa_system_sgpr_workgroup_id_y 0
		.amdhsa_system_sgpr_workgroup_id_z 0
		.amdhsa_system_sgpr_workgroup_info 0
		.amdhsa_system_vgpr_workitem_id 0
		.amdhsa_next_free_vgpr 1
		.amdhsa_next_free_sgpr 1
		.amdhsa_named_barrier_count 0
		.amdhsa_reserve_vcc 0
		.amdhsa_float_round_mode_32 0
		.amdhsa_float_round_mode_16_64 0
		.amdhsa_float_denorm_mode_32 3
		.amdhsa_float_denorm_mode_16_64 3
		.amdhsa_fp16_overflow 0
		.amdhsa_memory_ordered 1
		.amdhsa_forward_progress 1
		.amdhsa_inst_pref_size 0
		.amdhsa_round_robin_scheduling 0
		.amdhsa_exception_fp_ieee_invalid_op 0
		.amdhsa_exception_fp_denorm_src 0
		.amdhsa_exception_fp_ieee_div_zero 0
		.amdhsa_exception_fp_ieee_overflow 0
		.amdhsa_exception_fp_ieee_underflow 0
		.amdhsa_exception_fp_ieee_inexact 0
		.amdhsa_exception_int_div_zero 0
	.end_amdhsa_kernel
	.section	.text._ZN7rocprim17ROCPRIM_400000_NS6detail17trampoline_kernelINS0_14default_configENS1_38merge_sort_block_merge_config_selectorIlNS0_10empty_typeEEEZZNS1_27merge_sort_block_merge_implIS3_PlPS5_mZN2at6native12_GLOBAL__N_124unique_dim_cuda_templateItEESt5tupleIJNSA_6TensorESF_SF_EERKSF_lbbbEUlllE_EE10hipError_tT0_T1_T2_jT3_P12ihipStream_tbPNSt15iterator_traitsISL_E10value_typeEPNSR_ISM_E10value_typeEPSN_NS1_7vsmem_tEENKUlT_SL_SM_SN_E_clIS8_S8_S9_S9_EESK_S10_SL_SM_SN_EUlS10_E0_NS1_11comp_targetILNS1_3genE2ELNS1_11target_archE906ELNS1_3gpuE6ELNS1_3repE0EEENS1_38merge_mergepath_config_static_selectorELNS0_4arch9wavefront6targetE0EEEvSM_,"axG",@progbits,_ZN7rocprim17ROCPRIM_400000_NS6detail17trampoline_kernelINS0_14default_configENS1_38merge_sort_block_merge_config_selectorIlNS0_10empty_typeEEEZZNS1_27merge_sort_block_merge_implIS3_PlPS5_mZN2at6native12_GLOBAL__N_124unique_dim_cuda_templateItEESt5tupleIJNSA_6TensorESF_SF_EERKSF_lbbbEUlllE_EE10hipError_tT0_T1_T2_jT3_P12ihipStream_tbPNSt15iterator_traitsISL_E10value_typeEPNSR_ISM_E10value_typeEPSN_NS1_7vsmem_tEENKUlT_SL_SM_SN_E_clIS8_S8_S9_S9_EESK_S10_SL_SM_SN_EUlS10_E0_NS1_11comp_targetILNS1_3genE2ELNS1_11target_archE906ELNS1_3gpuE6ELNS1_3repE0EEENS1_38merge_mergepath_config_static_selectorELNS0_4arch9wavefront6targetE0EEEvSM_,comdat
.Lfunc_end1383:
	.size	_ZN7rocprim17ROCPRIM_400000_NS6detail17trampoline_kernelINS0_14default_configENS1_38merge_sort_block_merge_config_selectorIlNS0_10empty_typeEEEZZNS1_27merge_sort_block_merge_implIS3_PlPS5_mZN2at6native12_GLOBAL__N_124unique_dim_cuda_templateItEESt5tupleIJNSA_6TensorESF_SF_EERKSF_lbbbEUlllE_EE10hipError_tT0_T1_T2_jT3_P12ihipStream_tbPNSt15iterator_traitsISL_E10value_typeEPNSR_ISM_E10value_typeEPSN_NS1_7vsmem_tEENKUlT_SL_SM_SN_E_clIS8_S8_S9_S9_EESK_S10_SL_SM_SN_EUlS10_E0_NS1_11comp_targetILNS1_3genE2ELNS1_11target_archE906ELNS1_3gpuE6ELNS1_3repE0EEENS1_38merge_mergepath_config_static_selectorELNS0_4arch9wavefront6targetE0EEEvSM_, .Lfunc_end1383-_ZN7rocprim17ROCPRIM_400000_NS6detail17trampoline_kernelINS0_14default_configENS1_38merge_sort_block_merge_config_selectorIlNS0_10empty_typeEEEZZNS1_27merge_sort_block_merge_implIS3_PlPS5_mZN2at6native12_GLOBAL__N_124unique_dim_cuda_templateItEESt5tupleIJNSA_6TensorESF_SF_EERKSF_lbbbEUlllE_EE10hipError_tT0_T1_T2_jT3_P12ihipStream_tbPNSt15iterator_traitsISL_E10value_typeEPNSR_ISM_E10value_typeEPSN_NS1_7vsmem_tEENKUlT_SL_SM_SN_E_clIS8_S8_S9_S9_EESK_S10_SL_SM_SN_EUlS10_E0_NS1_11comp_targetILNS1_3genE2ELNS1_11target_archE906ELNS1_3gpuE6ELNS1_3repE0EEENS1_38merge_mergepath_config_static_selectorELNS0_4arch9wavefront6targetE0EEEvSM_
                                        ; -- End function
	.set _ZN7rocprim17ROCPRIM_400000_NS6detail17trampoline_kernelINS0_14default_configENS1_38merge_sort_block_merge_config_selectorIlNS0_10empty_typeEEEZZNS1_27merge_sort_block_merge_implIS3_PlPS5_mZN2at6native12_GLOBAL__N_124unique_dim_cuda_templateItEESt5tupleIJNSA_6TensorESF_SF_EERKSF_lbbbEUlllE_EE10hipError_tT0_T1_T2_jT3_P12ihipStream_tbPNSt15iterator_traitsISL_E10value_typeEPNSR_ISM_E10value_typeEPSN_NS1_7vsmem_tEENKUlT_SL_SM_SN_E_clIS8_S8_S9_S9_EESK_S10_SL_SM_SN_EUlS10_E0_NS1_11comp_targetILNS1_3genE2ELNS1_11target_archE906ELNS1_3gpuE6ELNS1_3repE0EEENS1_38merge_mergepath_config_static_selectorELNS0_4arch9wavefront6targetE0EEEvSM_.num_vgpr, 0
	.set _ZN7rocprim17ROCPRIM_400000_NS6detail17trampoline_kernelINS0_14default_configENS1_38merge_sort_block_merge_config_selectorIlNS0_10empty_typeEEEZZNS1_27merge_sort_block_merge_implIS3_PlPS5_mZN2at6native12_GLOBAL__N_124unique_dim_cuda_templateItEESt5tupleIJNSA_6TensorESF_SF_EERKSF_lbbbEUlllE_EE10hipError_tT0_T1_T2_jT3_P12ihipStream_tbPNSt15iterator_traitsISL_E10value_typeEPNSR_ISM_E10value_typeEPSN_NS1_7vsmem_tEENKUlT_SL_SM_SN_E_clIS8_S8_S9_S9_EESK_S10_SL_SM_SN_EUlS10_E0_NS1_11comp_targetILNS1_3genE2ELNS1_11target_archE906ELNS1_3gpuE6ELNS1_3repE0EEENS1_38merge_mergepath_config_static_selectorELNS0_4arch9wavefront6targetE0EEEvSM_.num_agpr, 0
	.set _ZN7rocprim17ROCPRIM_400000_NS6detail17trampoline_kernelINS0_14default_configENS1_38merge_sort_block_merge_config_selectorIlNS0_10empty_typeEEEZZNS1_27merge_sort_block_merge_implIS3_PlPS5_mZN2at6native12_GLOBAL__N_124unique_dim_cuda_templateItEESt5tupleIJNSA_6TensorESF_SF_EERKSF_lbbbEUlllE_EE10hipError_tT0_T1_T2_jT3_P12ihipStream_tbPNSt15iterator_traitsISL_E10value_typeEPNSR_ISM_E10value_typeEPSN_NS1_7vsmem_tEENKUlT_SL_SM_SN_E_clIS8_S8_S9_S9_EESK_S10_SL_SM_SN_EUlS10_E0_NS1_11comp_targetILNS1_3genE2ELNS1_11target_archE906ELNS1_3gpuE6ELNS1_3repE0EEENS1_38merge_mergepath_config_static_selectorELNS0_4arch9wavefront6targetE0EEEvSM_.numbered_sgpr, 0
	.set _ZN7rocprim17ROCPRIM_400000_NS6detail17trampoline_kernelINS0_14default_configENS1_38merge_sort_block_merge_config_selectorIlNS0_10empty_typeEEEZZNS1_27merge_sort_block_merge_implIS3_PlPS5_mZN2at6native12_GLOBAL__N_124unique_dim_cuda_templateItEESt5tupleIJNSA_6TensorESF_SF_EERKSF_lbbbEUlllE_EE10hipError_tT0_T1_T2_jT3_P12ihipStream_tbPNSt15iterator_traitsISL_E10value_typeEPNSR_ISM_E10value_typeEPSN_NS1_7vsmem_tEENKUlT_SL_SM_SN_E_clIS8_S8_S9_S9_EESK_S10_SL_SM_SN_EUlS10_E0_NS1_11comp_targetILNS1_3genE2ELNS1_11target_archE906ELNS1_3gpuE6ELNS1_3repE0EEENS1_38merge_mergepath_config_static_selectorELNS0_4arch9wavefront6targetE0EEEvSM_.num_named_barrier, 0
	.set _ZN7rocprim17ROCPRIM_400000_NS6detail17trampoline_kernelINS0_14default_configENS1_38merge_sort_block_merge_config_selectorIlNS0_10empty_typeEEEZZNS1_27merge_sort_block_merge_implIS3_PlPS5_mZN2at6native12_GLOBAL__N_124unique_dim_cuda_templateItEESt5tupleIJNSA_6TensorESF_SF_EERKSF_lbbbEUlllE_EE10hipError_tT0_T1_T2_jT3_P12ihipStream_tbPNSt15iterator_traitsISL_E10value_typeEPNSR_ISM_E10value_typeEPSN_NS1_7vsmem_tEENKUlT_SL_SM_SN_E_clIS8_S8_S9_S9_EESK_S10_SL_SM_SN_EUlS10_E0_NS1_11comp_targetILNS1_3genE2ELNS1_11target_archE906ELNS1_3gpuE6ELNS1_3repE0EEENS1_38merge_mergepath_config_static_selectorELNS0_4arch9wavefront6targetE0EEEvSM_.private_seg_size, 0
	.set _ZN7rocprim17ROCPRIM_400000_NS6detail17trampoline_kernelINS0_14default_configENS1_38merge_sort_block_merge_config_selectorIlNS0_10empty_typeEEEZZNS1_27merge_sort_block_merge_implIS3_PlPS5_mZN2at6native12_GLOBAL__N_124unique_dim_cuda_templateItEESt5tupleIJNSA_6TensorESF_SF_EERKSF_lbbbEUlllE_EE10hipError_tT0_T1_T2_jT3_P12ihipStream_tbPNSt15iterator_traitsISL_E10value_typeEPNSR_ISM_E10value_typeEPSN_NS1_7vsmem_tEENKUlT_SL_SM_SN_E_clIS8_S8_S9_S9_EESK_S10_SL_SM_SN_EUlS10_E0_NS1_11comp_targetILNS1_3genE2ELNS1_11target_archE906ELNS1_3gpuE6ELNS1_3repE0EEENS1_38merge_mergepath_config_static_selectorELNS0_4arch9wavefront6targetE0EEEvSM_.uses_vcc, 0
	.set _ZN7rocprim17ROCPRIM_400000_NS6detail17trampoline_kernelINS0_14default_configENS1_38merge_sort_block_merge_config_selectorIlNS0_10empty_typeEEEZZNS1_27merge_sort_block_merge_implIS3_PlPS5_mZN2at6native12_GLOBAL__N_124unique_dim_cuda_templateItEESt5tupleIJNSA_6TensorESF_SF_EERKSF_lbbbEUlllE_EE10hipError_tT0_T1_T2_jT3_P12ihipStream_tbPNSt15iterator_traitsISL_E10value_typeEPNSR_ISM_E10value_typeEPSN_NS1_7vsmem_tEENKUlT_SL_SM_SN_E_clIS8_S8_S9_S9_EESK_S10_SL_SM_SN_EUlS10_E0_NS1_11comp_targetILNS1_3genE2ELNS1_11target_archE906ELNS1_3gpuE6ELNS1_3repE0EEENS1_38merge_mergepath_config_static_selectorELNS0_4arch9wavefront6targetE0EEEvSM_.uses_flat_scratch, 0
	.set _ZN7rocprim17ROCPRIM_400000_NS6detail17trampoline_kernelINS0_14default_configENS1_38merge_sort_block_merge_config_selectorIlNS0_10empty_typeEEEZZNS1_27merge_sort_block_merge_implIS3_PlPS5_mZN2at6native12_GLOBAL__N_124unique_dim_cuda_templateItEESt5tupleIJNSA_6TensorESF_SF_EERKSF_lbbbEUlllE_EE10hipError_tT0_T1_T2_jT3_P12ihipStream_tbPNSt15iterator_traitsISL_E10value_typeEPNSR_ISM_E10value_typeEPSN_NS1_7vsmem_tEENKUlT_SL_SM_SN_E_clIS8_S8_S9_S9_EESK_S10_SL_SM_SN_EUlS10_E0_NS1_11comp_targetILNS1_3genE2ELNS1_11target_archE906ELNS1_3gpuE6ELNS1_3repE0EEENS1_38merge_mergepath_config_static_selectorELNS0_4arch9wavefront6targetE0EEEvSM_.has_dyn_sized_stack, 0
	.set _ZN7rocprim17ROCPRIM_400000_NS6detail17trampoline_kernelINS0_14default_configENS1_38merge_sort_block_merge_config_selectorIlNS0_10empty_typeEEEZZNS1_27merge_sort_block_merge_implIS3_PlPS5_mZN2at6native12_GLOBAL__N_124unique_dim_cuda_templateItEESt5tupleIJNSA_6TensorESF_SF_EERKSF_lbbbEUlllE_EE10hipError_tT0_T1_T2_jT3_P12ihipStream_tbPNSt15iterator_traitsISL_E10value_typeEPNSR_ISM_E10value_typeEPSN_NS1_7vsmem_tEENKUlT_SL_SM_SN_E_clIS8_S8_S9_S9_EESK_S10_SL_SM_SN_EUlS10_E0_NS1_11comp_targetILNS1_3genE2ELNS1_11target_archE906ELNS1_3gpuE6ELNS1_3repE0EEENS1_38merge_mergepath_config_static_selectorELNS0_4arch9wavefront6targetE0EEEvSM_.has_recursion, 0
	.set _ZN7rocprim17ROCPRIM_400000_NS6detail17trampoline_kernelINS0_14default_configENS1_38merge_sort_block_merge_config_selectorIlNS0_10empty_typeEEEZZNS1_27merge_sort_block_merge_implIS3_PlPS5_mZN2at6native12_GLOBAL__N_124unique_dim_cuda_templateItEESt5tupleIJNSA_6TensorESF_SF_EERKSF_lbbbEUlllE_EE10hipError_tT0_T1_T2_jT3_P12ihipStream_tbPNSt15iterator_traitsISL_E10value_typeEPNSR_ISM_E10value_typeEPSN_NS1_7vsmem_tEENKUlT_SL_SM_SN_E_clIS8_S8_S9_S9_EESK_S10_SL_SM_SN_EUlS10_E0_NS1_11comp_targetILNS1_3genE2ELNS1_11target_archE906ELNS1_3gpuE6ELNS1_3repE0EEENS1_38merge_mergepath_config_static_selectorELNS0_4arch9wavefront6targetE0EEEvSM_.has_indirect_call, 0
	.section	.AMDGPU.csdata,"",@progbits
; Kernel info:
; codeLenInByte = 0
; TotalNumSgprs: 0
; NumVgprs: 0
; ScratchSize: 0
; MemoryBound: 0
; FloatMode: 240
; IeeeMode: 1
; LDSByteSize: 0 bytes/workgroup (compile time only)
; SGPRBlocks: 0
; VGPRBlocks: 0
; NumSGPRsForWavesPerEU: 1
; NumVGPRsForWavesPerEU: 1
; NamedBarCnt: 0
; Occupancy: 16
; WaveLimiterHint : 0
; COMPUTE_PGM_RSRC2:SCRATCH_EN: 0
; COMPUTE_PGM_RSRC2:USER_SGPR: 2
; COMPUTE_PGM_RSRC2:TRAP_HANDLER: 0
; COMPUTE_PGM_RSRC2:TGID_X_EN: 1
; COMPUTE_PGM_RSRC2:TGID_Y_EN: 0
; COMPUTE_PGM_RSRC2:TGID_Z_EN: 0
; COMPUTE_PGM_RSRC2:TIDIG_COMP_CNT: 0
	.section	.text._ZN7rocprim17ROCPRIM_400000_NS6detail17trampoline_kernelINS0_14default_configENS1_38merge_sort_block_merge_config_selectorIlNS0_10empty_typeEEEZZNS1_27merge_sort_block_merge_implIS3_PlPS5_mZN2at6native12_GLOBAL__N_124unique_dim_cuda_templateItEESt5tupleIJNSA_6TensorESF_SF_EERKSF_lbbbEUlllE_EE10hipError_tT0_T1_T2_jT3_P12ihipStream_tbPNSt15iterator_traitsISL_E10value_typeEPNSR_ISM_E10value_typeEPSN_NS1_7vsmem_tEENKUlT_SL_SM_SN_E_clIS8_S8_S9_S9_EESK_S10_SL_SM_SN_EUlS10_E0_NS1_11comp_targetILNS1_3genE9ELNS1_11target_archE1100ELNS1_3gpuE3ELNS1_3repE0EEENS1_38merge_mergepath_config_static_selectorELNS0_4arch9wavefront6targetE0EEEvSM_,"axG",@progbits,_ZN7rocprim17ROCPRIM_400000_NS6detail17trampoline_kernelINS0_14default_configENS1_38merge_sort_block_merge_config_selectorIlNS0_10empty_typeEEEZZNS1_27merge_sort_block_merge_implIS3_PlPS5_mZN2at6native12_GLOBAL__N_124unique_dim_cuda_templateItEESt5tupleIJNSA_6TensorESF_SF_EERKSF_lbbbEUlllE_EE10hipError_tT0_T1_T2_jT3_P12ihipStream_tbPNSt15iterator_traitsISL_E10value_typeEPNSR_ISM_E10value_typeEPSN_NS1_7vsmem_tEENKUlT_SL_SM_SN_E_clIS8_S8_S9_S9_EESK_S10_SL_SM_SN_EUlS10_E0_NS1_11comp_targetILNS1_3genE9ELNS1_11target_archE1100ELNS1_3gpuE3ELNS1_3repE0EEENS1_38merge_mergepath_config_static_selectorELNS0_4arch9wavefront6targetE0EEEvSM_,comdat
	.globl	_ZN7rocprim17ROCPRIM_400000_NS6detail17trampoline_kernelINS0_14default_configENS1_38merge_sort_block_merge_config_selectorIlNS0_10empty_typeEEEZZNS1_27merge_sort_block_merge_implIS3_PlPS5_mZN2at6native12_GLOBAL__N_124unique_dim_cuda_templateItEESt5tupleIJNSA_6TensorESF_SF_EERKSF_lbbbEUlllE_EE10hipError_tT0_T1_T2_jT3_P12ihipStream_tbPNSt15iterator_traitsISL_E10value_typeEPNSR_ISM_E10value_typeEPSN_NS1_7vsmem_tEENKUlT_SL_SM_SN_E_clIS8_S8_S9_S9_EESK_S10_SL_SM_SN_EUlS10_E0_NS1_11comp_targetILNS1_3genE9ELNS1_11target_archE1100ELNS1_3gpuE3ELNS1_3repE0EEENS1_38merge_mergepath_config_static_selectorELNS0_4arch9wavefront6targetE0EEEvSM_ ; -- Begin function _ZN7rocprim17ROCPRIM_400000_NS6detail17trampoline_kernelINS0_14default_configENS1_38merge_sort_block_merge_config_selectorIlNS0_10empty_typeEEEZZNS1_27merge_sort_block_merge_implIS3_PlPS5_mZN2at6native12_GLOBAL__N_124unique_dim_cuda_templateItEESt5tupleIJNSA_6TensorESF_SF_EERKSF_lbbbEUlllE_EE10hipError_tT0_T1_T2_jT3_P12ihipStream_tbPNSt15iterator_traitsISL_E10value_typeEPNSR_ISM_E10value_typeEPSN_NS1_7vsmem_tEENKUlT_SL_SM_SN_E_clIS8_S8_S9_S9_EESK_S10_SL_SM_SN_EUlS10_E0_NS1_11comp_targetILNS1_3genE9ELNS1_11target_archE1100ELNS1_3gpuE3ELNS1_3repE0EEENS1_38merge_mergepath_config_static_selectorELNS0_4arch9wavefront6targetE0EEEvSM_
	.p2align	8
	.type	_ZN7rocprim17ROCPRIM_400000_NS6detail17trampoline_kernelINS0_14default_configENS1_38merge_sort_block_merge_config_selectorIlNS0_10empty_typeEEEZZNS1_27merge_sort_block_merge_implIS3_PlPS5_mZN2at6native12_GLOBAL__N_124unique_dim_cuda_templateItEESt5tupleIJNSA_6TensorESF_SF_EERKSF_lbbbEUlllE_EE10hipError_tT0_T1_T2_jT3_P12ihipStream_tbPNSt15iterator_traitsISL_E10value_typeEPNSR_ISM_E10value_typeEPSN_NS1_7vsmem_tEENKUlT_SL_SM_SN_E_clIS8_S8_S9_S9_EESK_S10_SL_SM_SN_EUlS10_E0_NS1_11comp_targetILNS1_3genE9ELNS1_11target_archE1100ELNS1_3gpuE3ELNS1_3repE0EEENS1_38merge_mergepath_config_static_selectorELNS0_4arch9wavefront6targetE0EEEvSM_,@function
_ZN7rocprim17ROCPRIM_400000_NS6detail17trampoline_kernelINS0_14default_configENS1_38merge_sort_block_merge_config_selectorIlNS0_10empty_typeEEEZZNS1_27merge_sort_block_merge_implIS3_PlPS5_mZN2at6native12_GLOBAL__N_124unique_dim_cuda_templateItEESt5tupleIJNSA_6TensorESF_SF_EERKSF_lbbbEUlllE_EE10hipError_tT0_T1_T2_jT3_P12ihipStream_tbPNSt15iterator_traitsISL_E10value_typeEPNSR_ISM_E10value_typeEPSN_NS1_7vsmem_tEENKUlT_SL_SM_SN_E_clIS8_S8_S9_S9_EESK_S10_SL_SM_SN_EUlS10_E0_NS1_11comp_targetILNS1_3genE9ELNS1_11target_archE1100ELNS1_3gpuE3ELNS1_3repE0EEENS1_38merge_mergepath_config_static_selectorELNS0_4arch9wavefront6targetE0EEEvSM_: ; @_ZN7rocprim17ROCPRIM_400000_NS6detail17trampoline_kernelINS0_14default_configENS1_38merge_sort_block_merge_config_selectorIlNS0_10empty_typeEEEZZNS1_27merge_sort_block_merge_implIS3_PlPS5_mZN2at6native12_GLOBAL__N_124unique_dim_cuda_templateItEESt5tupleIJNSA_6TensorESF_SF_EERKSF_lbbbEUlllE_EE10hipError_tT0_T1_T2_jT3_P12ihipStream_tbPNSt15iterator_traitsISL_E10value_typeEPNSR_ISM_E10value_typeEPSN_NS1_7vsmem_tEENKUlT_SL_SM_SN_E_clIS8_S8_S9_S9_EESK_S10_SL_SM_SN_EUlS10_E0_NS1_11comp_targetILNS1_3genE9ELNS1_11target_archE1100ELNS1_3gpuE3ELNS1_3repE0EEENS1_38merge_mergepath_config_static_selectorELNS0_4arch9wavefront6targetE0EEEvSM_
; %bb.0:
	.section	.rodata,"a",@progbits
	.p2align	6, 0x0
	.amdhsa_kernel _ZN7rocprim17ROCPRIM_400000_NS6detail17trampoline_kernelINS0_14default_configENS1_38merge_sort_block_merge_config_selectorIlNS0_10empty_typeEEEZZNS1_27merge_sort_block_merge_implIS3_PlPS5_mZN2at6native12_GLOBAL__N_124unique_dim_cuda_templateItEESt5tupleIJNSA_6TensorESF_SF_EERKSF_lbbbEUlllE_EE10hipError_tT0_T1_T2_jT3_P12ihipStream_tbPNSt15iterator_traitsISL_E10value_typeEPNSR_ISM_E10value_typeEPSN_NS1_7vsmem_tEENKUlT_SL_SM_SN_E_clIS8_S8_S9_S9_EESK_S10_SL_SM_SN_EUlS10_E0_NS1_11comp_targetILNS1_3genE9ELNS1_11target_archE1100ELNS1_3gpuE3ELNS1_3repE0EEENS1_38merge_mergepath_config_static_selectorELNS0_4arch9wavefront6targetE0EEEvSM_
		.amdhsa_group_segment_fixed_size 0
		.amdhsa_private_segment_fixed_size 0
		.amdhsa_kernarg_size 88
		.amdhsa_user_sgpr_count 2
		.amdhsa_user_sgpr_dispatch_ptr 0
		.amdhsa_user_sgpr_queue_ptr 0
		.amdhsa_user_sgpr_kernarg_segment_ptr 1
		.amdhsa_user_sgpr_dispatch_id 0
		.amdhsa_user_sgpr_kernarg_preload_length 0
		.amdhsa_user_sgpr_kernarg_preload_offset 0
		.amdhsa_user_sgpr_private_segment_size 0
		.amdhsa_wavefront_size32 1
		.amdhsa_uses_dynamic_stack 0
		.amdhsa_enable_private_segment 0
		.amdhsa_system_sgpr_workgroup_id_x 1
		.amdhsa_system_sgpr_workgroup_id_y 0
		.amdhsa_system_sgpr_workgroup_id_z 0
		.amdhsa_system_sgpr_workgroup_info 0
		.amdhsa_system_vgpr_workitem_id 0
		.amdhsa_next_free_vgpr 1
		.amdhsa_next_free_sgpr 1
		.amdhsa_named_barrier_count 0
		.amdhsa_reserve_vcc 0
		.amdhsa_float_round_mode_32 0
		.amdhsa_float_round_mode_16_64 0
		.amdhsa_float_denorm_mode_32 3
		.amdhsa_float_denorm_mode_16_64 3
		.amdhsa_fp16_overflow 0
		.amdhsa_memory_ordered 1
		.amdhsa_forward_progress 1
		.amdhsa_inst_pref_size 0
		.amdhsa_round_robin_scheduling 0
		.amdhsa_exception_fp_ieee_invalid_op 0
		.amdhsa_exception_fp_denorm_src 0
		.amdhsa_exception_fp_ieee_div_zero 0
		.amdhsa_exception_fp_ieee_overflow 0
		.amdhsa_exception_fp_ieee_underflow 0
		.amdhsa_exception_fp_ieee_inexact 0
		.amdhsa_exception_int_div_zero 0
	.end_amdhsa_kernel
	.section	.text._ZN7rocprim17ROCPRIM_400000_NS6detail17trampoline_kernelINS0_14default_configENS1_38merge_sort_block_merge_config_selectorIlNS0_10empty_typeEEEZZNS1_27merge_sort_block_merge_implIS3_PlPS5_mZN2at6native12_GLOBAL__N_124unique_dim_cuda_templateItEESt5tupleIJNSA_6TensorESF_SF_EERKSF_lbbbEUlllE_EE10hipError_tT0_T1_T2_jT3_P12ihipStream_tbPNSt15iterator_traitsISL_E10value_typeEPNSR_ISM_E10value_typeEPSN_NS1_7vsmem_tEENKUlT_SL_SM_SN_E_clIS8_S8_S9_S9_EESK_S10_SL_SM_SN_EUlS10_E0_NS1_11comp_targetILNS1_3genE9ELNS1_11target_archE1100ELNS1_3gpuE3ELNS1_3repE0EEENS1_38merge_mergepath_config_static_selectorELNS0_4arch9wavefront6targetE0EEEvSM_,"axG",@progbits,_ZN7rocprim17ROCPRIM_400000_NS6detail17trampoline_kernelINS0_14default_configENS1_38merge_sort_block_merge_config_selectorIlNS0_10empty_typeEEEZZNS1_27merge_sort_block_merge_implIS3_PlPS5_mZN2at6native12_GLOBAL__N_124unique_dim_cuda_templateItEESt5tupleIJNSA_6TensorESF_SF_EERKSF_lbbbEUlllE_EE10hipError_tT0_T1_T2_jT3_P12ihipStream_tbPNSt15iterator_traitsISL_E10value_typeEPNSR_ISM_E10value_typeEPSN_NS1_7vsmem_tEENKUlT_SL_SM_SN_E_clIS8_S8_S9_S9_EESK_S10_SL_SM_SN_EUlS10_E0_NS1_11comp_targetILNS1_3genE9ELNS1_11target_archE1100ELNS1_3gpuE3ELNS1_3repE0EEENS1_38merge_mergepath_config_static_selectorELNS0_4arch9wavefront6targetE0EEEvSM_,comdat
.Lfunc_end1384:
	.size	_ZN7rocprim17ROCPRIM_400000_NS6detail17trampoline_kernelINS0_14default_configENS1_38merge_sort_block_merge_config_selectorIlNS0_10empty_typeEEEZZNS1_27merge_sort_block_merge_implIS3_PlPS5_mZN2at6native12_GLOBAL__N_124unique_dim_cuda_templateItEESt5tupleIJNSA_6TensorESF_SF_EERKSF_lbbbEUlllE_EE10hipError_tT0_T1_T2_jT3_P12ihipStream_tbPNSt15iterator_traitsISL_E10value_typeEPNSR_ISM_E10value_typeEPSN_NS1_7vsmem_tEENKUlT_SL_SM_SN_E_clIS8_S8_S9_S9_EESK_S10_SL_SM_SN_EUlS10_E0_NS1_11comp_targetILNS1_3genE9ELNS1_11target_archE1100ELNS1_3gpuE3ELNS1_3repE0EEENS1_38merge_mergepath_config_static_selectorELNS0_4arch9wavefront6targetE0EEEvSM_, .Lfunc_end1384-_ZN7rocprim17ROCPRIM_400000_NS6detail17trampoline_kernelINS0_14default_configENS1_38merge_sort_block_merge_config_selectorIlNS0_10empty_typeEEEZZNS1_27merge_sort_block_merge_implIS3_PlPS5_mZN2at6native12_GLOBAL__N_124unique_dim_cuda_templateItEESt5tupleIJNSA_6TensorESF_SF_EERKSF_lbbbEUlllE_EE10hipError_tT0_T1_T2_jT3_P12ihipStream_tbPNSt15iterator_traitsISL_E10value_typeEPNSR_ISM_E10value_typeEPSN_NS1_7vsmem_tEENKUlT_SL_SM_SN_E_clIS8_S8_S9_S9_EESK_S10_SL_SM_SN_EUlS10_E0_NS1_11comp_targetILNS1_3genE9ELNS1_11target_archE1100ELNS1_3gpuE3ELNS1_3repE0EEENS1_38merge_mergepath_config_static_selectorELNS0_4arch9wavefront6targetE0EEEvSM_
                                        ; -- End function
	.set _ZN7rocprim17ROCPRIM_400000_NS6detail17trampoline_kernelINS0_14default_configENS1_38merge_sort_block_merge_config_selectorIlNS0_10empty_typeEEEZZNS1_27merge_sort_block_merge_implIS3_PlPS5_mZN2at6native12_GLOBAL__N_124unique_dim_cuda_templateItEESt5tupleIJNSA_6TensorESF_SF_EERKSF_lbbbEUlllE_EE10hipError_tT0_T1_T2_jT3_P12ihipStream_tbPNSt15iterator_traitsISL_E10value_typeEPNSR_ISM_E10value_typeEPSN_NS1_7vsmem_tEENKUlT_SL_SM_SN_E_clIS8_S8_S9_S9_EESK_S10_SL_SM_SN_EUlS10_E0_NS1_11comp_targetILNS1_3genE9ELNS1_11target_archE1100ELNS1_3gpuE3ELNS1_3repE0EEENS1_38merge_mergepath_config_static_selectorELNS0_4arch9wavefront6targetE0EEEvSM_.num_vgpr, 0
	.set _ZN7rocprim17ROCPRIM_400000_NS6detail17trampoline_kernelINS0_14default_configENS1_38merge_sort_block_merge_config_selectorIlNS0_10empty_typeEEEZZNS1_27merge_sort_block_merge_implIS3_PlPS5_mZN2at6native12_GLOBAL__N_124unique_dim_cuda_templateItEESt5tupleIJNSA_6TensorESF_SF_EERKSF_lbbbEUlllE_EE10hipError_tT0_T1_T2_jT3_P12ihipStream_tbPNSt15iterator_traitsISL_E10value_typeEPNSR_ISM_E10value_typeEPSN_NS1_7vsmem_tEENKUlT_SL_SM_SN_E_clIS8_S8_S9_S9_EESK_S10_SL_SM_SN_EUlS10_E0_NS1_11comp_targetILNS1_3genE9ELNS1_11target_archE1100ELNS1_3gpuE3ELNS1_3repE0EEENS1_38merge_mergepath_config_static_selectorELNS0_4arch9wavefront6targetE0EEEvSM_.num_agpr, 0
	.set _ZN7rocprim17ROCPRIM_400000_NS6detail17trampoline_kernelINS0_14default_configENS1_38merge_sort_block_merge_config_selectorIlNS0_10empty_typeEEEZZNS1_27merge_sort_block_merge_implIS3_PlPS5_mZN2at6native12_GLOBAL__N_124unique_dim_cuda_templateItEESt5tupleIJNSA_6TensorESF_SF_EERKSF_lbbbEUlllE_EE10hipError_tT0_T1_T2_jT3_P12ihipStream_tbPNSt15iterator_traitsISL_E10value_typeEPNSR_ISM_E10value_typeEPSN_NS1_7vsmem_tEENKUlT_SL_SM_SN_E_clIS8_S8_S9_S9_EESK_S10_SL_SM_SN_EUlS10_E0_NS1_11comp_targetILNS1_3genE9ELNS1_11target_archE1100ELNS1_3gpuE3ELNS1_3repE0EEENS1_38merge_mergepath_config_static_selectorELNS0_4arch9wavefront6targetE0EEEvSM_.numbered_sgpr, 0
	.set _ZN7rocprim17ROCPRIM_400000_NS6detail17trampoline_kernelINS0_14default_configENS1_38merge_sort_block_merge_config_selectorIlNS0_10empty_typeEEEZZNS1_27merge_sort_block_merge_implIS3_PlPS5_mZN2at6native12_GLOBAL__N_124unique_dim_cuda_templateItEESt5tupleIJNSA_6TensorESF_SF_EERKSF_lbbbEUlllE_EE10hipError_tT0_T1_T2_jT3_P12ihipStream_tbPNSt15iterator_traitsISL_E10value_typeEPNSR_ISM_E10value_typeEPSN_NS1_7vsmem_tEENKUlT_SL_SM_SN_E_clIS8_S8_S9_S9_EESK_S10_SL_SM_SN_EUlS10_E0_NS1_11comp_targetILNS1_3genE9ELNS1_11target_archE1100ELNS1_3gpuE3ELNS1_3repE0EEENS1_38merge_mergepath_config_static_selectorELNS0_4arch9wavefront6targetE0EEEvSM_.num_named_barrier, 0
	.set _ZN7rocprim17ROCPRIM_400000_NS6detail17trampoline_kernelINS0_14default_configENS1_38merge_sort_block_merge_config_selectorIlNS0_10empty_typeEEEZZNS1_27merge_sort_block_merge_implIS3_PlPS5_mZN2at6native12_GLOBAL__N_124unique_dim_cuda_templateItEESt5tupleIJNSA_6TensorESF_SF_EERKSF_lbbbEUlllE_EE10hipError_tT0_T1_T2_jT3_P12ihipStream_tbPNSt15iterator_traitsISL_E10value_typeEPNSR_ISM_E10value_typeEPSN_NS1_7vsmem_tEENKUlT_SL_SM_SN_E_clIS8_S8_S9_S9_EESK_S10_SL_SM_SN_EUlS10_E0_NS1_11comp_targetILNS1_3genE9ELNS1_11target_archE1100ELNS1_3gpuE3ELNS1_3repE0EEENS1_38merge_mergepath_config_static_selectorELNS0_4arch9wavefront6targetE0EEEvSM_.private_seg_size, 0
	.set _ZN7rocprim17ROCPRIM_400000_NS6detail17trampoline_kernelINS0_14default_configENS1_38merge_sort_block_merge_config_selectorIlNS0_10empty_typeEEEZZNS1_27merge_sort_block_merge_implIS3_PlPS5_mZN2at6native12_GLOBAL__N_124unique_dim_cuda_templateItEESt5tupleIJNSA_6TensorESF_SF_EERKSF_lbbbEUlllE_EE10hipError_tT0_T1_T2_jT3_P12ihipStream_tbPNSt15iterator_traitsISL_E10value_typeEPNSR_ISM_E10value_typeEPSN_NS1_7vsmem_tEENKUlT_SL_SM_SN_E_clIS8_S8_S9_S9_EESK_S10_SL_SM_SN_EUlS10_E0_NS1_11comp_targetILNS1_3genE9ELNS1_11target_archE1100ELNS1_3gpuE3ELNS1_3repE0EEENS1_38merge_mergepath_config_static_selectorELNS0_4arch9wavefront6targetE0EEEvSM_.uses_vcc, 0
	.set _ZN7rocprim17ROCPRIM_400000_NS6detail17trampoline_kernelINS0_14default_configENS1_38merge_sort_block_merge_config_selectorIlNS0_10empty_typeEEEZZNS1_27merge_sort_block_merge_implIS3_PlPS5_mZN2at6native12_GLOBAL__N_124unique_dim_cuda_templateItEESt5tupleIJNSA_6TensorESF_SF_EERKSF_lbbbEUlllE_EE10hipError_tT0_T1_T2_jT3_P12ihipStream_tbPNSt15iterator_traitsISL_E10value_typeEPNSR_ISM_E10value_typeEPSN_NS1_7vsmem_tEENKUlT_SL_SM_SN_E_clIS8_S8_S9_S9_EESK_S10_SL_SM_SN_EUlS10_E0_NS1_11comp_targetILNS1_3genE9ELNS1_11target_archE1100ELNS1_3gpuE3ELNS1_3repE0EEENS1_38merge_mergepath_config_static_selectorELNS0_4arch9wavefront6targetE0EEEvSM_.uses_flat_scratch, 0
	.set _ZN7rocprim17ROCPRIM_400000_NS6detail17trampoline_kernelINS0_14default_configENS1_38merge_sort_block_merge_config_selectorIlNS0_10empty_typeEEEZZNS1_27merge_sort_block_merge_implIS3_PlPS5_mZN2at6native12_GLOBAL__N_124unique_dim_cuda_templateItEESt5tupleIJNSA_6TensorESF_SF_EERKSF_lbbbEUlllE_EE10hipError_tT0_T1_T2_jT3_P12ihipStream_tbPNSt15iterator_traitsISL_E10value_typeEPNSR_ISM_E10value_typeEPSN_NS1_7vsmem_tEENKUlT_SL_SM_SN_E_clIS8_S8_S9_S9_EESK_S10_SL_SM_SN_EUlS10_E0_NS1_11comp_targetILNS1_3genE9ELNS1_11target_archE1100ELNS1_3gpuE3ELNS1_3repE0EEENS1_38merge_mergepath_config_static_selectorELNS0_4arch9wavefront6targetE0EEEvSM_.has_dyn_sized_stack, 0
	.set _ZN7rocprim17ROCPRIM_400000_NS6detail17trampoline_kernelINS0_14default_configENS1_38merge_sort_block_merge_config_selectorIlNS0_10empty_typeEEEZZNS1_27merge_sort_block_merge_implIS3_PlPS5_mZN2at6native12_GLOBAL__N_124unique_dim_cuda_templateItEESt5tupleIJNSA_6TensorESF_SF_EERKSF_lbbbEUlllE_EE10hipError_tT0_T1_T2_jT3_P12ihipStream_tbPNSt15iterator_traitsISL_E10value_typeEPNSR_ISM_E10value_typeEPSN_NS1_7vsmem_tEENKUlT_SL_SM_SN_E_clIS8_S8_S9_S9_EESK_S10_SL_SM_SN_EUlS10_E0_NS1_11comp_targetILNS1_3genE9ELNS1_11target_archE1100ELNS1_3gpuE3ELNS1_3repE0EEENS1_38merge_mergepath_config_static_selectorELNS0_4arch9wavefront6targetE0EEEvSM_.has_recursion, 0
	.set _ZN7rocprim17ROCPRIM_400000_NS6detail17trampoline_kernelINS0_14default_configENS1_38merge_sort_block_merge_config_selectorIlNS0_10empty_typeEEEZZNS1_27merge_sort_block_merge_implIS3_PlPS5_mZN2at6native12_GLOBAL__N_124unique_dim_cuda_templateItEESt5tupleIJNSA_6TensorESF_SF_EERKSF_lbbbEUlllE_EE10hipError_tT0_T1_T2_jT3_P12ihipStream_tbPNSt15iterator_traitsISL_E10value_typeEPNSR_ISM_E10value_typeEPSN_NS1_7vsmem_tEENKUlT_SL_SM_SN_E_clIS8_S8_S9_S9_EESK_S10_SL_SM_SN_EUlS10_E0_NS1_11comp_targetILNS1_3genE9ELNS1_11target_archE1100ELNS1_3gpuE3ELNS1_3repE0EEENS1_38merge_mergepath_config_static_selectorELNS0_4arch9wavefront6targetE0EEEvSM_.has_indirect_call, 0
	.section	.AMDGPU.csdata,"",@progbits
; Kernel info:
; codeLenInByte = 0
; TotalNumSgprs: 0
; NumVgprs: 0
; ScratchSize: 0
; MemoryBound: 0
; FloatMode: 240
; IeeeMode: 1
; LDSByteSize: 0 bytes/workgroup (compile time only)
; SGPRBlocks: 0
; VGPRBlocks: 0
; NumSGPRsForWavesPerEU: 1
; NumVGPRsForWavesPerEU: 1
; NamedBarCnt: 0
; Occupancy: 16
; WaveLimiterHint : 0
; COMPUTE_PGM_RSRC2:SCRATCH_EN: 0
; COMPUTE_PGM_RSRC2:USER_SGPR: 2
; COMPUTE_PGM_RSRC2:TRAP_HANDLER: 0
; COMPUTE_PGM_RSRC2:TGID_X_EN: 1
; COMPUTE_PGM_RSRC2:TGID_Y_EN: 0
; COMPUTE_PGM_RSRC2:TGID_Z_EN: 0
; COMPUTE_PGM_RSRC2:TIDIG_COMP_CNT: 0
	.section	.text._ZN7rocprim17ROCPRIM_400000_NS6detail17trampoline_kernelINS0_14default_configENS1_38merge_sort_block_merge_config_selectorIlNS0_10empty_typeEEEZZNS1_27merge_sort_block_merge_implIS3_PlPS5_mZN2at6native12_GLOBAL__N_124unique_dim_cuda_templateItEESt5tupleIJNSA_6TensorESF_SF_EERKSF_lbbbEUlllE_EE10hipError_tT0_T1_T2_jT3_P12ihipStream_tbPNSt15iterator_traitsISL_E10value_typeEPNSR_ISM_E10value_typeEPSN_NS1_7vsmem_tEENKUlT_SL_SM_SN_E_clIS8_S8_S9_S9_EESK_S10_SL_SM_SN_EUlS10_E0_NS1_11comp_targetILNS1_3genE8ELNS1_11target_archE1030ELNS1_3gpuE2ELNS1_3repE0EEENS1_38merge_mergepath_config_static_selectorELNS0_4arch9wavefront6targetE0EEEvSM_,"axG",@progbits,_ZN7rocprim17ROCPRIM_400000_NS6detail17trampoline_kernelINS0_14default_configENS1_38merge_sort_block_merge_config_selectorIlNS0_10empty_typeEEEZZNS1_27merge_sort_block_merge_implIS3_PlPS5_mZN2at6native12_GLOBAL__N_124unique_dim_cuda_templateItEESt5tupleIJNSA_6TensorESF_SF_EERKSF_lbbbEUlllE_EE10hipError_tT0_T1_T2_jT3_P12ihipStream_tbPNSt15iterator_traitsISL_E10value_typeEPNSR_ISM_E10value_typeEPSN_NS1_7vsmem_tEENKUlT_SL_SM_SN_E_clIS8_S8_S9_S9_EESK_S10_SL_SM_SN_EUlS10_E0_NS1_11comp_targetILNS1_3genE8ELNS1_11target_archE1030ELNS1_3gpuE2ELNS1_3repE0EEENS1_38merge_mergepath_config_static_selectorELNS0_4arch9wavefront6targetE0EEEvSM_,comdat
	.globl	_ZN7rocprim17ROCPRIM_400000_NS6detail17trampoline_kernelINS0_14default_configENS1_38merge_sort_block_merge_config_selectorIlNS0_10empty_typeEEEZZNS1_27merge_sort_block_merge_implIS3_PlPS5_mZN2at6native12_GLOBAL__N_124unique_dim_cuda_templateItEESt5tupleIJNSA_6TensorESF_SF_EERKSF_lbbbEUlllE_EE10hipError_tT0_T1_T2_jT3_P12ihipStream_tbPNSt15iterator_traitsISL_E10value_typeEPNSR_ISM_E10value_typeEPSN_NS1_7vsmem_tEENKUlT_SL_SM_SN_E_clIS8_S8_S9_S9_EESK_S10_SL_SM_SN_EUlS10_E0_NS1_11comp_targetILNS1_3genE8ELNS1_11target_archE1030ELNS1_3gpuE2ELNS1_3repE0EEENS1_38merge_mergepath_config_static_selectorELNS0_4arch9wavefront6targetE0EEEvSM_ ; -- Begin function _ZN7rocprim17ROCPRIM_400000_NS6detail17trampoline_kernelINS0_14default_configENS1_38merge_sort_block_merge_config_selectorIlNS0_10empty_typeEEEZZNS1_27merge_sort_block_merge_implIS3_PlPS5_mZN2at6native12_GLOBAL__N_124unique_dim_cuda_templateItEESt5tupleIJNSA_6TensorESF_SF_EERKSF_lbbbEUlllE_EE10hipError_tT0_T1_T2_jT3_P12ihipStream_tbPNSt15iterator_traitsISL_E10value_typeEPNSR_ISM_E10value_typeEPSN_NS1_7vsmem_tEENKUlT_SL_SM_SN_E_clIS8_S8_S9_S9_EESK_S10_SL_SM_SN_EUlS10_E0_NS1_11comp_targetILNS1_3genE8ELNS1_11target_archE1030ELNS1_3gpuE2ELNS1_3repE0EEENS1_38merge_mergepath_config_static_selectorELNS0_4arch9wavefront6targetE0EEEvSM_
	.p2align	8
	.type	_ZN7rocprim17ROCPRIM_400000_NS6detail17trampoline_kernelINS0_14default_configENS1_38merge_sort_block_merge_config_selectorIlNS0_10empty_typeEEEZZNS1_27merge_sort_block_merge_implIS3_PlPS5_mZN2at6native12_GLOBAL__N_124unique_dim_cuda_templateItEESt5tupleIJNSA_6TensorESF_SF_EERKSF_lbbbEUlllE_EE10hipError_tT0_T1_T2_jT3_P12ihipStream_tbPNSt15iterator_traitsISL_E10value_typeEPNSR_ISM_E10value_typeEPSN_NS1_7vsmem_tEENKUlT_SL_SM_SN_E_clIS8_S8_S9_S9_EESK_S10_SL_SM_SN_EUlS10_E0_NS1_11comp_targetILNS1_3genE8ELNS1_11target_archE1030ELNS1_3gpuE2ELNS1_3repE0EEENS1_38merge_mergepath_config_static_selectorELNS0_4arch9wavefront6targetE0EEEvSM_,@function
_ZN7rocprim17ROCPRIM_400000_NS6detail17trampoline_kernelINS0_14default_configENS1_38merge_sort_block_merge_config_selectorIlNS0_10empty_typeEEEZZNS1_27merge_sort_block_merge_implIS3_PlPS5_mZN2at6native12_GLOBAL__N_124unique_dim_cuda_templateItEESt5tupleIJNSA_6TensorESF_SF_EERKSF_lbbbEUlllE_EE10hipError_tT0_T1_T2_jT3_P12ihipStream_tbPNSt15iterator_traitsISL_E10value_typeEPNSR_ISM_E10value_typeEPSN_NS1_7vsmem_tEENKUlT_SL_SM_SN_E_clIS8_S8_S9_S9_EESK_S10_SL_SM_SN_EUlS10_E0_NS1_11comp_targetILNS1_3genE8ELNS1_11target_archE1030ELNS1_3gpuE2ELNS1_3repE0EEENS1_38merge_mergepath_config_static_selectorELNS0_4arch9wavefront6targetE0EEEvSM_: ; @_ZN7rocprim17ROCPRIM_400000_NS6detail17trampoline_kernelINS0_14default_configENS1_38merge_sort_block_merge_config_selectorIlNS0_10empty_typeEEEZZNS1_27merge_sort_block_merge_implIS3_PlPS5_mZN2at6native12_GLOBAL__N_124unique_dim_cuda_templateItEESt5tupleIJNSA_6TensorESF_SF_EERKSF_lbbbEUlllE_EE10hipError_tT0_T1_T2_jT3_P12ihipStream_tbPNSt15iterator_traitsISL_E10value_typeEPNSR_ISM_E10value_typeEPSN_NS1_7vsmem_tEENKUlT_SL_SM_SN_E_clIS8_S8_S9_S9_EESK_S10_SL_SM_SN_EUlS10_E0_NS1_11comp_targetILNS1_3genE8ELNS1_11target_archE1030ELNS1_3gpuE2ELNS1_3repE0EEENS1_38merge_mergepath_config_static_selectorELNS0_4arch9wavefront6targetE0EEEvSM_
; %bb.0:
	.section	.rodata,"a",@progbits
	.p2align	6, 0x0
	.amdhsa_kernel _ZN7rocprim17ROCPRIM_400000_NS6detail17trampoline_kernelINS0_14default_configENS1_38merge_sort_block_merge_config_selectorIlNS0_10empty_typeEEEZZNS1_27merge_sort_block_merge_implIS3_PlPS5_mZN2at6native12_GLOBAL__N_124unique_dim_cuda_templateItEESt5tupleIJNSA_6TensorESF_SF_EERKSF_lbbbEUlllE_EE10hipError_tT0_T1_T2_jT3_P12ihipStream_tbPNSt15iterator_traitsISL_E10value_typeEPNSR_ISM_E10value_typeEPSN_NS1_7vsmem_tEENKUlT_SL_SM_SN_E_clIS8_S8_S9_S9_EESK_S10_SL_SM_SN_EUlS10_E0_NS1_11comp_targetILNS1_3genE8ELNS1_11target_archE1030ELNS1_3gpuE2ELNS1_3repE0EEENS1_38merge_mergepath_config_static_selectorELNS0_4arch9wavefront6targetE0EEEvSM_
		.amdhsa_group_segment_fixed_size 0
		.amdhsa_private_segment_fixed_size 0
		.amdhsa_kernarg_size 88
		.amdhsa_user_sgpr_count 2
		.amdhsa_user_sgpr_dispatch_ptr 0
		.amdhsa_user_sgpr_queue_ptr 0
		.amdhsa_user_sgpr_kernarg_segment_ptr 1
		.amdhsa_user_sgpr_dispatch_id 0
		.amdhsa_user_sgpr_kernarg_preload_length 0
		.amdhsa_user_sgpr_kernarg_preload_offset 0
		.amdhsa_user_sgpr_private_segment_size 0
		.amdhsa_wavefront_size32 1
		.amdhsa_uses_dynamic_stack 0
		.amdhsa_enable_private_segment 0
		.amdhsa_system_sgpr_workgroup_id_x 1
		.amdhsa_system_sgpr_workgroup_id_y 0
		.amdhsa_system_sgpr_workgroup_id_z 0
		.amdhsa_system_sgpr_workgroup_info 0
		.amdhsa_system_vgpr_workitem_id 0
		.amdhsa_next_free_vgpr 1
		.amdhsa_next_free_sgpr 1
		.amdhsa_named_barrier_count 0
		.amdhsa_reserve_vcc 0
		.amdhsa_float_round_mode_32 0
		.amdhsa_float_round_mode_16_64 0
		.amdhsa_float_denorm_mode_32 3
		.amdhsa_float_denorm_mode_16_64 3
		.amdhsa_fp16_overflow 0
		.amdhsa_memory_ordered 1
		.amdhsa_forward_progress 1
		.amdhsa_inst_pref_size 0
		.amdhsa_round_robin_scheduling 0
		.amdhsa_exception_fp_ieee_invalid_op 0
		.amdhsa_exception_fp_denorm_src 0
		.amdhsa_exception_fp_ieee_div_zero 0
		.amdhsa_exception_fp_ieee_overflow 0
		.amdhsa_exception_fp_ieee_underflow 0
		.amdhsa_exception_fp_ieee_inexact 0
		.amdhsa_exception_int_div_zero 0
	.end_amdhsa_kernel
	.section	.text._ZN7rocprim17ROCPRIM_400000_NS6detail17trampoline_kernelINS0_14default_configENS1_38merge_sort_block_merge_config_selectorIlNS0_10empty_typeEEEZZNS1_27merge_sort_block_merge_implIS3_PlPS5_mZN2at6native12_GLOBAL__N_124unique_dim_cuda_templateItEESt5tupleIJNSA_6TensorESF_SF_EERKSF_lbbbEUlllE_EE10hipError_tT0_T1_T2_jT3_P12ihipStream_tbPNSt15iterator_traitsISL_E10value_typeEPNSR_ISM_E10value_typeEPSN_NS1_7vsmem_tEENKUlT_SL_SM_SN_E_clIS8_S8_S9_S9_EESK_S10_SL_SM_SN_EUlS10_E0_NS1_11comp_targetILNS1_3genE8ELNS1_11target_archE1030ELNS1_3gpuE2ELNS1_3repE0EEENS1_38merge_mergepath_config_static_selectorELNS0_4arch9wavefront6targetE0EEEvSM_,"axG",@progbits,_ZN7rocprim17ROCPRIM_400000_NS6detail17trampoline_kernelINS0_14default_configENS1_38merge_sort_block_merge_config_selectorIlNS0_10empty_typeEEEZZNS1_27merge_sort_block_merge_implIS3_PlPS5_mZN2at6native12_GLOBAL__N_124unique_dim_cuda_templateItEESt5tupleIJNSA_6TensorESF_SF_EERKSF_lbbbEUlllE_EE10hipError_tT0_T1_T2_jT3_P12ihipStream_tbPNSt15iterator_traitsISL_E10value_typeEPNSR_ISM_E10value_typeEPSN_NS1_7vsmem_tEENKUlT_SL_SM_SN_E_clIS8_S8_S9_S9_EESK_S10_SL_SM_SN_EUlS10_E0_NS1_11comp_targetILNS1_3genE8ELNS1_11target_archE1030ELNS1_3gpuE2ELNS1_3repE0EEENS1_38merge_mergepath_config_static_selectorELNS0_4arch9wavefront6targetE0EEEvSM_,comdat
.Lfunc_end1385:
	.size	_ZN7rocprim17ROCPRIM_400000_NS6detail17trampoline_kernelINS0_14default_configENS1_38merge_sort_block_merge_config_selectorIlNS0_10empty_typeEEEZZNS1_27merge_sort_block_merge_implIS3_PlPS5_mZN2at6native12_GLOBAL__N_124unique_dim_cuda_templateItEESt5tupleIJNSA_6TensorESF_SF_EERKSF_lbbbEUlllE_EE10hipError_tT0_T1_T2_jT3_P12ihipStream_tbPNSt15iterator_traitsISL_E10value_typeEPNSR_ISM_E10value_typeEPSN_NS1_7vsmem_tEENKUlT_SL_SM_SN_E_clIS8_S8_S9_S9_EESK_S10_SL_SM_SN_EUlS10_E0_NS1_11comp_targetILNS1_3genE8ELNS1_11target_archE1030ELNS1_3gpuE2ELNS1_3repE0EEENS1_38merge_mergepath_config_static_selectorELNS0_4arch9wavefront6targetE0EEEvSM_, .Lfunc_end1385-_ZN7rocprim17ROCPRIM_400000_NS6detail17trampoline_kernelINS0_14default_configENS1_38merge_sort_block_merge_config_selectorIlNS0_10empty_typeEEEZZNS1_27merge_sort_block_merge_implIS3_PlPS5_mZN2at6native12_GLOBAL__N_124unique_dim_cuda_templateItEESt5tupleIJNSA_6TensorESF_SF_EERKSF_lbbbEUlllE_EE10hipError_tT0_T1_T2_jT3_P12ihipStream_tbPNSt15iterator_traitsISL_E10value_typeEPNSR_ISM_E10value_typeEPSN_NS1_7vsmem_tEENKUlT_SL_SM_SN_E_clIS8_S8_S9_S9_EESK_S10_SL_SM_SN_EUlS10_E0_NS1_11comp_targetILNS1_3genE8ELNS1_11target_archE1030ELNS1_3gpuE2ELNS1_3repE0EEENS1_38merge_mergepath_config_static_selectorELNS0_4arch9wavefront6targetE0EEEvSM_
                                        ; -- End function
	.set _ZN7rocprim17ROCPRIM_400000_NS6detail17trampoline_kernelINS0_14default_configENS1_38merge_sort_block_merge_config_selectorIlNS0_10empty_typeEEEZZNS1_27merge_sort_block_merge_implIS3_PlPS5_mZN2at6native12_GLOBAL__N_124unique_dim_cuda_templateItEESt5tupleIJNSA_6TensorESF_SF_EERKSF_lbbbEUlllE_EE10hipError_tT0_T1_T2_jT3_P12ihipStream_tbPNSt15iterator_traitsISL_E10value_typeEPNSR_ISM_E10value_typeEPSN_NS1_7vsmem_tEENKUlT_SL_SM_SN_E_clIS8_S8_S9_S9_EESK_S10_SL_SM_SN_EUlS10_E0_NS1_11comp_targetILNS1_3genE8ELNS1_11target_archE1030ELNS1_3gpuE2ELNS1_3repE0EEENS1_38merge_mergepath_config_static_selectorELNS0_4arch9wavefront6targetE0EEEvSM_.num_vgpr, 0
	.set _ZN7rocprim17ROCPRIM_400000_NS6detail17trampoline_kernelINS0_14default_configENS1_38merge_sort_block_merge_config_selectorIlNS0_10empty_typeEEEZZNS1_27merge_sort_block_merge_implIS3_PlPS5_mZN2at6native12_GLOBAL__N_124unique_dim_cuda_templateItEESt5tupleIJNSA_6TensorESF_SF_EERKSF_lbbbEUlllE_EE10hipError_tT0_T1_T2_jT3_P12ihipStream_tbPNSt15iterator_traitsISL_E10value_typeEPNSR_ISM_E10value_typeEPSN_NS1_7vsmem_tEENKUlT_SL_SM_SN_E_clIS8_S8_S9_S9_EESK_S10_SL_SM_SN_EUlS10_E0_NS1_11comp_targetILNS1_3genE8ELNS1_11target_archE1030ELNS1_3gpuE2ELNS1_3repE0EEENS1_38merge_mergepath_config_static_selectorELNS0_4arch9wavefront6targetE0EEEvSM_.num_agpr, 0
	.set _ZN7rocprim17ROCPRIM_400000_NS6detail17trampoline_kernelINS0_14default_configENS1_38merge_sort_block_merge_config_selectorIlNS0_10empty_typeEEEZZNS1_27merge_sort_block_merge_implIS3_PlPS5_mZN2at6native12_GLOBAL__N_124unique_dim_cuda_templateItEESt5tupleIJNSA_6TensorESF_SF_EERKSF_lbbbEUlllE_EE10hipError_tT0_T1_T2_jT3_P12ihipStream_tbPNSt15iterator_traitsISL_E10value_typeEPNSR_ISM_E10value_typeEPSN_NS1_7vsmem_tEENKUlT_SL_SM_SN_E_clIS8_S8_S9_S9_EESK_S10_SL_SM_SN_EUlS10_E0_NS1_11comp_targetILNS1_3genE8ELNS1_11target_archE1030ELNS1_3gpuE2ELNS1_3repE0EEENS1_38merge_mergepath_config_static_selectorELNS0_4arch9wavefront6targetE0EEEvSM_.numbered_sgpr, 0
	.set _ZN7rocprim17ROCPRIM_400000_NS6detail17trampoline_kernelINS0_14default_configENS1_38merge_sort_block_merge_config_selectorIlNS0_10empty_typeEEEZZNS1_27merge_sort_block_merge_implIS3_PlPS5_mZN2at6native12_GLOBAL__N_124unique_dim_cuda_templateItEESt5tupleIJNSA_6TensorESF_SF_EERKSF_lbbbEUlllE_EE10hipError_tT0_T1_T2_jT3_P12ihipStream_tbPNSt15iterator_traitsISL_E10value_typeEPNSR_ISM_E10value_typeEPSN_NS1_7vsmem_tEENKUlT_SL_SM_SN_E_clIS8_S8_S9_S9_EESK_S10_SL_SM_SN_EUlS10_E0_NS1_11comp_targetILNS1_3genE8ELNS1_11target_archE1030ELNS1_3gpuE2ELNS1_3repE0EEENS1_38merge_mergepath_config_static_selectorELNS0_4arch9wavefront6targetE0EEEvSM_.num_named_barrier, 0
	.set _ZN7rocprim17ROCPRIM_400000_NS6detail17trampoline_kernelINS0_14default_configENS1_38merge_sort_block_merge_config_selectorIlNS0_10empty_typeEEEZZNS1_27merge_sort_block_merge_implIS3_PlPS5_mZN2at6native12_GLOBAL__N_124unique_dim_cuda_templateItEESt5tupleIJNSA_6TensorESF_SF_EERKSF_lbbbEUlllE_EE10hipError_tT0_T1_T2_jT3_P12ihipStream_tbPNSt15iterator_traitsISL_E10value_typeEPNSR_ISM_E10value_typeEPSN_NS1_7vsmem_tEENKUlT_SL_SM_SN_E_clIS8_S8_S9_S9_EESK_S10_SL_SM_SN_EUlS10_E0_NS1_11comp_targetILNS1_3genE8ELNS1_11target_archE1030ELNS1_3gpuE2ELNS1_3repE0EEENS1_38merge_mergepath_config_static_selectorELNS0_4arch9wavefront6targetE0EEEvSM_.private_seg_size, 0
	.set _ZN7rocprim17ROCPRIM_400000_NS6detail17trampoline_kernelINS0_14default_configENS1_38merge_sort_block_merge_config_selectorIlNS0_10empty_typeEEEZZNS1_27merge_sort_block_merge_implIS3_PlPS5_mZN2at6native12_GLOBAL__N_124unique_dim_cuda_templateItEESt5tupleIJNSA_6TensorESF_SF_EERKSF_lbbbEUlllE_EE10hipError_tT0_T1_T2_jT3_P12ihipStream_tbPNSt15iterator_traitsISL_E10value_typeEPNSR_ISM_E10value_typeEPSN_NS1_7vsmem_tEENKUlT_SL_SM_SN_E_clIS8_S8_S9_S9_EESK_S10_SL_SM_SN_EUlS10_E0_NS1_11comp_targetILNS1_3genE8ELNS1_11target_archE1030ELNS1_3gpuE2ELNS1_3repE0EEENS1_38merge_mergepath_config_static_selectorELNS0_4arch9wavefront6targetE0EEEvSM_.uses_vcc, 0
	.set _ZN7rocprim17ROCPRIM_400000_NS6detail17trampoline_kernelINS0_14default_configENS1_38merge_sort_block_merge_config_selectorIlNS0_10empty_typeEEEZZNS1_27merge_sort_block_merge_implIS3_PlPS5_mZN2at6native12_GLOBAL__N_124unique_dim_cuda_templateItEESt5tupleIJNSA_6TensorESF_SF_EERKSF_lbbbEUlllE_EE10hipError_tT0_T1_T2_jT3_P12ihipStream_tbPNSt15iterator_traitsISL_E10value_typeEPNSR_ISM_E10value_typeEPSN_NS1_7vsmem_tEENKUlT_SL_SM_SN_E_clIS8_S8_S9_S9_EESK_S10_SL_SM_SN_EUlS10_E0_NS1_11comp_targetILNS1_3genE8ELNS1_11target_archE1030ELNS1_3gpuE2ELNS1_3repE0EEENS1_38merge_mergepath_config_static_selectorELNS0_4arch9wavefront6targetE0EEEvSM_.uses_flat_scratch, 0
	.set _ZN7rocprim17ROCPRIM_400000_NS6detail17trampoline_kernelINS0_14default_configENS1_38merge_sort_block_merge_config_selectorIlNS0_10empty_typeEEEZZNS1_27merge_sort_block_merge_implIS3_PlPS5_mZN2at6native12_GLOBAL__N_124unique_dim_cuda_templateItEESt5tupleIJNSA_6TensorESF_SF_EERKSF_lbbbEUlllE_EE10hipError_tT0_T1_T2_jT3_P12ihipStream_tbPNSt15iterator_traitsISL_E10value_typeEPNSR_ISM_E10value_typeEPSN_NS1_7vsmem_tEENKUlT_SL_SM_SN_E_clIS8_S8_S9_S9_EESK_S10_SL_SM_SN_EUlS10_E0_NS1_11comp_targetILNS1_3genE8ELNS1_11target_archE1030ELNS1_3gpuE2ELNS1_3repE0EEENS1_38merge_mergepath_config_static_selectorELNS0_4arch9wavefront6targetE0EEEvSM_.has_dyn_sized_stack, 0
	.set _ZN7rocprim17ROCPRIM_400000_NS6detail17trampoline_kernelINS0_14default_configENS1_38merge_sort_block_merge_config_selectorIlNS0_10empty_typeEEEZZNS1_27merge_sort_block_merge_implIS3_PlPS5_mZN2at6native12_GLOBAL__N_124unique_dim_cuda_templateItEESt5tupleIJNSA_6TensorESF_SF_EERKSF_lbbbEUlllE_EE10hipError_tT0_T1_T2_jT3_P12ihipStream_tbPNSt15iterator_traitsISL_E10value_typeEPNSR_ISM_E10value_typeEPSN_NS1_7vsmem_tEENKUlT_SL_SM_SN_E_clIS8_S8_S9_S9_EESK_S10_SL_SM_SN_EUlS10_E0_NS1_11comp_targetILNS1_3genE8ELNS1_11target_archE1030ELNS1_3gpuE2ELNS1_3repE0EEENS1_38merge_mergepath_config_static_selectorELNS0_4arch9wavefront6targetE0EEEvSM_.has_recursion, 0
	.set _ZN7rocprim17ROCPRIM_400000_NS6detail17trampoline_kernelINS0_14default_configENS1_38merge_sort_block_merge_config_selectorIlNS0_10empty_typeEEEZZNS1_27merge_sort_block_merge_implIS3_PlPS5_mZN2at6native12_GLOBAL__N_124unique_dim_cuda_templateItEESt5tupleIJNSA_6TensorESF_SF_EERKSF_lbbbEUlllE_EE10hipError_tT0_T1_T2_jT3_P12ihipStream_tbPNSt15iterator_traitsISL_E10value_typeEPNSR_ISM_E10value_typeEPSN_NS1_7vsmem_tEENKUlT_SL_SM_SN_E_clIS8_S8_S9_S9_EESK_S10_SL_SM_SN_EUlS10_E0_NS1_11comp_targetILNS1_3genE8ELNS1_11target_archE1030ELNS1_3gpuE2ELNS1_3repE0EEENS1_38merge_mergepath_config_static_selectorELNS0_4arch9wavefront6targetE0EEEvSM_.has_indirect_call, 0
	.section	.AMDGPU.csdata,"",@progbits
; Kernel info:
; codeLenInByte = 0
; TotalNumSgprs: 0
; NumVgprs: 0
; ScratchSize: 0
; MemoryBound: 0
; FloatMode: 240
; IeeeMode: 1
; LDSByteSize: 0 bytes/workgroup (compile time only)
; SGPRBlocks: 0
; VGPRBlocks: 0
; NumSGPRsForWavesPerEU: 1
; NumVGPRsForWavesPerEU: 1
; NamedBarCnt: 0
; Occupancy: 16
; WaveLimiterHint : 0
; COMPUTE_PGM_RSRC2:SCRATCH_EN: 0
; COMPUTE_PGM_RSRC2:USER_SGPR: 2
; COMPUTE_PGM_RSRC2:TRAP_HANDLER: 0
; COMPUTE_PGM_RSRC2:TGID_X_EN: 1
; COMPUTE_PGM_RSRC2:TGID_Y_EN: 0
; COMPUTE_PGM_RSRC2:TGID_Z_EN: 0
; COMPUTE_PGM_RSRC2:TIDIG_COMP_CNT: 0
	.section	.text._ZN7rocprim17ROCPRIM_400000_NS6detail17trampoline_kernelINS0_14default_configENS1_38merge_sort_block_merge_config_selectorIlNS0_10empty_typeEEEZZNS1_27merge_sort_block_merge_implIS3_PlPS5_mZN2at6native12_GLOBAL__N_124unique_dim_cuda_templateItEESt5tupleIJNSA_6TensorESF_SF_EERKSF_lbbbEUlllE_EE10hipError_tT0_T1_T2_jT3_P12ihipStream_tbPNSt15iterator_traitsISL_E10value_typeEPNSR_ISM_E10value_typeEPSN_NS1_7vsmem_tEENKUlT_SL_SM_SN_E_clIS8_S8_S9_S9_EESK_S10_SL_SM_SN_EUlS10_E1_NS1_11comp_targetILNS1_3genE0ELNS1_11target_archE4294967295ELNS1_3gpuE0ELNS1_3repE0EEENS1_36merge_oddeven_config_static_selectorELNS0_4arch9wavefront6targetE0EEEvSM_,"axG",@progbits,_ZN7rocprim17ROCPRIM_400000_NS6detail17trampoline_kernelINS0_14default_configENS1_38merge_sort_block_merge_config_selectorIlNS0_10empty_typeEEEZZNS1_27merge_sort_block_merge_implIS3_PlPS5_mZN2at6native12_GLOBAL__N_124unique_dim_cuda_templateItEESt5tupleIJNSA_6TensorESF_SF_EERKSF_lbbbEUlllE_EE10hipError_tT0_T1_T2_jT3_P12ihipStream_tbPNSt15iterator_traitsISL_E10value_typeEPNSR_ISM_E10value_typeEPSN_NS1_7vsmem_tEENKUlT_SL_SM_SN_E_clIS8_S8_S9_S9_EESK_S10_SL_SM_SN_EUlS10_E1_NS1_11comp_targetILNS1_3genE0ELNS1_11target_archE4294967295ELNS1_3gpuE0ELNS1_3repE0EEENS1_36merge_oddeven_config_static_selectorELNS0_4arch9wavefront6targetE0EEEvSM_,comdat
	.globl	_ZN7rocprim17ROCPRIM_400000_NS6detail17trampoline_kernelINS0_14default_configENS1_38merge_sort_block_merge_config_selectorIlNS0_10empty_typeEEEZZNS1_27merge_sort_block_merge_implIS3_PlPS5_mZN2at6native12_GLOBAL__N_124unique_dim_cuda_templateItEESt5tupleIJNSA_6TensorESF_SF_EERKSF_lbbbEUlllE_EE10hipError_tT0_T1_T2_jT3_P12ihipStream_tbPNSt15iterator_traitsISL_E10value_typeEPNSR_ISM_E10value_typeEPSN_NS1_7vsmem_tEENKUlT_SL_SM_SN_E_clIS8_S8_S9_S9_EESK_S10_SL_SM_SN_EUlS10_E1_NS1_11comp_targetILNS1_3genE0ELNS1_11target_archE4294967295ELNS1_3gpuE0ELNS1_3repE0EEENS1_36merge_oddeven_config_static_selectorELNS0_4arch9wavefront6targetE0EEEvSM_ ; -- Begin function _ZN7rocprim17ROCPRIM_400000_NS6detail17trampoline_kernelINS0_14default_configENS1_38merge_sort_block_merge_config_selectorIlNS0_10empty_typeEEEZZNS1_27merge_sort_block_merge_implIS3_PlPS5_mZN2at6native12_GLOBAL__N_124unique_dim_cuda_templateItEESt5tupleIJNSA_6TensorESF_SF_EERKSF_lbbbEUlllE_EE10hipError_tT0_T1_T2_jT3_P12ihipStream_tbPNSt15iterator_traitsISL_E10value_typeEPNSR_ISM_E10value_typeEPSN_NS1_7vsmem_tEENKUlT_SL_SM_SN_E_clIS8_S8_S9_S9_EESK_S10_SL_SM_SN_EUlS10_E1_NS1_11comp_targetILNS1_3genE0ELNS1_11target_archE4294967295ELNS1_3gpuE0ELNS1_3repE0EEENS1_36merge_oddeven_config_static_selectorELNS0_4arch9wavefront6targetE0EEEvSM_
	.p2align	8
	.type	_ZN7rocprim17ROCPRIM_400000_NS6detail17trampoline_kernelINS0_14default_configENS1_38merge_sort_block_merge_config_selectorIlNS0_10empty_typeEEEZZNS1_27merge_sort_block_merge_implIS3_PlPS5_mZN2at6native12_GLOBAL__N_124unique_dim_cuda_templateItEESt5tupleIJNSA_6TensorESF_SF_EERKSF_lbbbEUlllE_EE10hipError_tT0_T1_T2_jT3_P12ihipStream_tbPNSt15iterator_traitsISL_E10value_typeEPNSR_ISM_E10value_typeEPSN_NS1_7vsmem_tEENKUlT_SL_SM_SN_E_clIS8_S8_S9_S9_EESK_S10_SL_SM_SN_EUlS10_E1_NS1_11comp_targetILNS1_3genE0ELNS1_11target_archE4294967295ELNS1_3gpuE0ELNS1_3repE0EEENS1_36merge_oddeven_config_static_selectorELNS0_4arch9wavefront6targetE0EEEvSM_,@function
_ZN7rocprim17ROCPRIM_400000_NS6detail17trampoline_kernelINS0_14default_configENS1_38merge_sort_block_merge_config_selectorIlNS0_10empty_typeEEEZZNS1_27merge_sort_block_merge_implIS3_PlPS5_mZN2at6native12_GLOBAL__N_124unique_dim_cuda_templateItEESt5tupleIJNSA_6TensorESF_SF_EERKSF_lbbbEUlllE_EE10hipError_tT0_T1_T2_jT3_P12ihipStream_tbPNSt15iterator_traitsISL_E10value_typeEPNSR_ISM_E10value_typeEPSN_NS1_7vsmem_tEENKUlT_SL_SM_SN_E_clIS8_S8_S9_S9_EESK_S10_SL_SM_SN_EUlS10_E1_NS1_11comp_targetILNS1_3genE0ELNS1_11target_archE4294967295ELNS1_3gpuE0ELNS1_3repE0EEENS1_36merge_oddeven_config_static_selectorELNS0_4arch9wavefront6targetE0EEEvSM_: ; @_ZN7rocprim17ROCPRIM_400000_NS6detail17trampoline_kernelINS0_14default_configENS1_38merge_sort_block_merge_config_selectorIlNS0_10empty_typeEEEZZNS1_27merge_sort_block_merge_implIS3_PlPS5_mZN2at6native12_GLOBAL__N_124unique_dim_cuda_templateItEESt5tupleIJNSA_6TensorESF_SF_EERKSF_lbbbEUlllE_EE10hipError_tT0_T1_T2_jT3_P12ihipStream_tbPNSt15iterator_traitsISL_E10value_typeEPNSR_ISM_E10value_typeEPSN_NS1_7vsmem_tEENKUlT_SL_SM_SN_E_clIS8_S8_S9_S9_EESK_S10_SL_SM_SN_EUlS10_E1_NS1_11comp_targetILNS1_3genE0ELNS1_11target_archE4294967295ELNS1_3gpuE0ELNS1_3repE0EEENS1_36merge_oddeven_config_static_selectorELNS0_4arch9wavefront6targetE0EEEvSM_
; %bb.0:
	s_load_b32 s3, s[0:1], 0x20
	s_bfe_u32 s2, ttmp6, 0x4000c
	s_and_b32 s4, ttmp6, 15
	s_add_co_i32 s2, s2, 1
	s_getreg_b32 s5, hwreg(HW_REG_IB_STS2, 6, 4)
	s_mul_i32 s2, ttmp9, s2
	s_mov_b32 s13, 0
	s_add_co_i32 s4, s4, s2
	s_cmp_eq_u32 s5, 0
	s_cselect_b32 s9, ttmp9, s4
	s_wait_kmcnt 0x0
	s_lshr_b32 s2, s3, 8
	s_delay_alu instid0(SALU_CYCLE_1) | instskip(SKIP_4) | instid1(SALU_CYCLE_1)
	s_cmp_lg_u32 s9, s2
	s_cselect_b32 s8, -1, 0
	s_cmp_eq_u32 s9, s2
	s_cselect_b32 s14, -1, 0
	s_lshl_b32 s12, s9, 8
	s_sub_co_i32 s2, s3, s12
	s_delay_alu instid0(SALU_CYCLE_1) | instskip(SKIP_1) | instid1(SALU_CYCLE_1)
	v_cmp_gt_u32_e64 s2, s2, v0
	s_or_b32 s4, s8, s2
	s_and_saveexec_b32 s5, s4
	s_cbranch_execz .LBB1386_54
; %bb.1:
	s_clause 0x1
	s_load_b128 s[4:7], s[0:1], 0x0
	s_load_b32 s15, s[0:1], 0x28
	s_lshl_b64 s[10:11], s[12:13], 3
	s_wait_kmcnt 0x0
	s_add_nc_u64 s[10:11], s[4:5], s[10:11]
	global_load_b64 v[2:3], v0, s[10:11] scale_offset
	s_wait_xcnt 0x0
	s_lshr_b32 s10, s15, 8
	s_delay_alu instid0(SALU_CYCLE_1) | instskip(NEXT) | instid1(SALU_CYCLE_1)
	s_sub_co_i32 s11, 0, s10
	s_and_b32 s9, s9, s11
	s_delay_alu instid0(SALU_CYCLE_1) | instskip(NEXT) | instid1(SALU_CYCLE_1)
	s_and_b32 s10, s9, s10
	s_cmp_lg_u32 s10, 0
	s_cselect_b32 s16, -1, 0
	s_lshl_b32 s18, s9, 8
	s_sub_co_i32 s9, 0, s15
	s_cmp_eq_u32 s10, 0
	s_cselect_b32 s17, s15, s9
	s_delay_alu instid0(SALU_CYCLE_1) | instskip(NEXT) | instid1(SALU_CYCLE_1)
	s_add_co_i32 s17, s17, s18
	s_cmp_lt_u32 s17, s3
	s_cbranch_scc1 .LBB1386_3
; %bb.2:
	v_add_nc_u32_e32 v1, s12, v0
	s_delay_alu instid0(VALU_DEP_1) | instskip(SKIP_1) | instid1(SALU_CYCLE_1)
	v_cmp_gt_u32_e32 vcc_lo, s3, v1
	s_or_b32 s9, vcc_lo, s8
	s_and_b32 s13, s9, exec_lo
	s_cbranch_execz .LBB1386_4
	s_branch .LBB1386_52
.LBB1386_3:
                                        ; implicit-def: $vgpr1
.LBB1386_4:
	s_load_b128 s[8:11], s[0:1], 0x30
	v_add_nc_u32_e32 v0, s12, v0
	s_min_u32 s12, s17, s3
	s_and_b32 vcc_lo, exec_lo, s14
	s_wait_xcnt 0x0
	s_add_co_i32 s0, s18, s12
	s_delay_alu instid0(SALU_CYCLE_1) | instskip(SKIP_3) | instid1(VALU_DEP_1)
	v_subrev_nc_u32_e32 v0, s0, v0
	s_add_co_i32 s0, s12, s15
	s_min_u32 s15, s18, s12
	s_min_u32 s18, s0, s3
	v_add_nc_u32_e32 v10, s15, v0
	s_wait_kmcnt 0x0
	v_cmp_gt_i64_e64 s1, s[8:9], 0
	s_cbranch_vccz .LBB1386_26
; %bb.5:
                                        ; implicit-def: $vgpr1
	s_and_saveexec_b32 s19, s2
	s_cbranch_execz .LBB1386_29
; %bb.6:
	v_mov_b32_e32 v11, s12
	s_cmp_ge_u32 s17, s18
	s_cbranch_scc1 .LBB1386_28
; %bb.7:
	s_wait_loadcnt 0x0
	v_mul_u64_e32 v[0:1], s[8:9], v[2:3]
	v_dual_mov_b32 v12, s18 :: v_dual_mov_b32 v11, s12
	s_lshl_b64 s[2:3], s[8:9], 1
	s_mov_b32 s20, 0
	s_delay_alu instid0(VALU_DEP_2)
	v_lshl_add_u64 v[0:1], v[0:1], 1, s[10:11]
	s_branch .LBB1386_10
.LBB1386_8:                             ;   in Loop: Header=BB1386_10 Depth=1
	s_or_b32 exec_lo, exec_lo, s22
.LBB1386_9:                             ;   in Loop: Header=BB1386_10 Depth=1
	s_wait_loadcnt 0x0
	v_dual_add_nc_u32 v4, 1, v13 :: v_dual_cndmask_b32 v12, v13, v12, s21
	s_delay_alu instid0(VALU_DEP_1) | instskip(NEXT) | instid1(VALU_DEP_1)
	v_cndmask_b32_e64 v11, v11, v4, s21
	v_cmp_ge_u32_e32 vcc_lo, v11, v12
	s_or_b32 s20, vcc_lo, s20
	s_delay_alu instid0(SALU_CYCLE_1)
	s_and_not1_b32 exec_lo, exec_lo, s20
	s_cbranch_execz .LBB1386_27
.LBB1386_10:                            ; =>This Loop Header: Depth=1
                                        ;     Child Loop BB1386_14 Depth 2
                                        ;     Child Loop BB1386_23 Depth 2
	v_add_nc_u32_e32 v4, v11, v12
	s_and_not1_b32 vcc_lo, exec_lo, s16
	s_mov_b32 s0, -1
                                        ; implicit-def: $sgpr21
	s_delay_alu instid0(VALU_DEP_1)
	v_lshrrev_b32_e32 v13, 1, v4
	global_load_b64 v[4:5], v13, s[4:5] scale_offset
	s_cbranch_vccnz .LBB1386_19
; %bb.11:                               ;   in Loop: Header=BB1386_10 Depth=1
	s_and_not1_b32 vcc_lo, exec_lo, s1
	s_cbranch_vccnz .LBB1386_17
; %bb.12:                               ;   in Loop: Header=BB1386_10 Depth=1
	s_wait_loadcnt 0x0
	v_mad_nc_u64_u32 v[6:7], s2, v4, s[10:11]
	v_mov_b64_e32 v[8:9], v[0:1]
	s_mov_b32 s21, 0
	s_mov_b64 s[14:15], s[8:9]
                                        ; implicit-def: $sgpr22
                                        ; implicit-def: $sgpr23
                                        ; implicit-def: $sgpr24
                                        ; implicit-def: $sgpr25
	s_delay_alu instid0(VALU_DEP_2) | instskip(NEXT) | instid1(VALU_DEP_1)
	v_mad_u32 v7, s3, v4, v7
	v_mad_u32 v7, s2, v5, v7
	s_branch .LBB1386_14
.LBB1386_13:                            ;   in Loop: Header=BB1386_14 Depth=2
	s_or_b32 exec_lo, exec_lo, s26
	s_delay_alu instid0(SALU_CYCLE_1) | instskip(NEXT) | instid1(SALU_CYCLE_1)
	s_and_b32 s26, exec_lo, s23
	s_or_b32 s21, s26, s21
	s_and_not1_b32 s25, s25, exec_lo
	s_and_b32 s0, s0, exec_lo
	s_and_not1_b32 s22, s22, exec_lo
	s_and_b32 s26, s24, exec_lo
	s_or_b32 s25, s25, s0
	s_or_b32 s22, s22, s26
	s_and_not1_b32 exec_lo, exec_lo, s21
	s_cbranch_execz .LBB1386_16
.LBB1386_14:                            ;   Parent Loop BB1386_10 Depth=1
                                        ; =>  This Inner Loop Header: Depth=2
	global_load_u16 v14, v[8:9], off
	global_load_u16 v15, v[6:7], off
	s_and_not1_b32 s24, s24, exec_lo
	s_or_b32 s23, s23, exec_lo
	s_wait_loadcnt 0x0
	v_cmp_le_u16_e32 vcc_lo, v14, v15
	v_cmp_lt_u16_e64 s0, v14, v15
	s_and_b32 s26, vcc_lo, s25
	s_delay_alu instid0(SALU_CYCLE_1) | instskip(NEXT) | instid1(SALU_CYCLE_1)
	s_or_b32 s0, s0, s26
	s_and_b32 s26, s0, exec_lo
	s_delay_alu instid0(SALU_CYCLE_1)
	s_or_b32 s24, s24, s26
	s_mov_b32 s26, exec_lo
	v_cmpx_eq_u16_e64 v14, v15
	s_cbranch_execz .LBB1386_13
; %bb.15:                               ;   in Loop: Header=BB1386_14 Depth=2
	s_add_nc_u64 s[14:15], s[14:15], -1
	v_add_nc_u64_e32 v[8:9], 2, v[8:9]
	s_cmp_eq_u64 s[14:15], 0
	v_add_nc_u64_e32 v[6:7], 2, v[6:7]
	s_cselect_b32 s25, -1, 0
	s_and_not1_b32 s23, s23, exec_lo
	s_and_b32 s25, s25, exec_lo
	s_and_not1_b32 s24, s24, exec_lo
	s_or_b32 s23, s23, s25
                                        ; implicit-def: $sgpr25
	s_branch .LBB1386_13
.LBB1386_16:                            ;   in Loop: Header=BB1386_10 Depth=1
	s_or_b32 exec_lo, exec_lo, s21
	s_xor_b32 s21, s22, -1
	s_branch .LBB1386_18
.LBB1386_17:                            ;   in Loop: Header=BB1386_10 Depth=1
	s_mov_b32 s21, -1
.LBB1386_18:                            ;   in Loop: Header=BB1386_10 Depth=1
	s_mov_b32 s0, 0
.LBB1386_19:                            ;   in Loop: Header=BB1386_10 Depth=1
	s_delay_alu instid0(SALU_CYCLE_1)
	s_and_not1_b32 vcc_lo, exec_lo, s0
	s_cbranch_vccnz .LBB1386_9
; %bb.20:                               ;   in Loop: Header=BB1386_10 Depth=1
	s_and_not1_b32 vcc_lo, exec_lo, s1
	s_cbranch_vccnz .LBB1386_25
; %bb.21:                               ;   in Loop: Header=BB1386_10 Depth=1
	s_wait_loadcnt 0x0
	v_mad_nc_u64_u32 v[6:7], s2, v4, s[10:11]
	s_mov_b32 s22, 0
	s_mov_b64 s[14:15], s[8:9]
                                        ; implicit-def: $sgpr21
                                        ; implicit-def: $sgpr23
                                        ; implicit-def: $sgpr24
                                        ; implicit-def: $sgpr25
	s_delay_alu instid0(VALU_DEP_1) | instskip(NEXT) | instid1(VALU_DEP_1)
	v_mad_u32 v4, s3, v4, v7
	v_mad_u32 v7, s2, v5, v4
	v_mov_b64_e32 v[4:5], v[0:1]
	s_branch .LBB1386_23
.LBB1386_22:                            ;   in Loop: Header=BB1386_23 Depth=2
	s_or_b32 exec_lo, exec_lo, s26
	s_delay_alu instid0(SALU_CYCLE_1) | instskip(NEXT) | instid1(SALU_CYCLE_1)
	s_and_b32 s26, exec_lo, s23
	s_or_b32 s22, s26, s22
	s_and_not1_b32 s25, s25, exec_lo
	s_and_b32 s0, s0, exec_lo
	s_and_not1_b32 s21, s21, exec_lo
	s_and_b32 s26, s24, exec_lo
	s_or_b32 s25, s25, s0
	s_or_b32 s21, s21, s26
	s_and_not1_b32 exec_lo, exec_lo, s22
	s_cbranch_execz .LBB1386_8
.LBB1386_23:                            ;   Parent Loop BB1386_10 Depth=1
                                        ; =>  This Inner Loop Header: Depth=2
	global_load_u16 v8, v[6:7], off
	global_load_u16 v9, v[4:5], off
	s_and_not1_b32 s24, s24, exec_lo
	s_or_b32 s23, s23, exec_lo
	s_wait_loadcnt 0x0
	v_cmp_le_u16_e32 vcc_lo, v8, v9
	v_cmp_lt_u16_e64 s0, v8, v9
	s_and_b32 s26, vcc_lo, s25
	s_delay_alu instid0(SALU_CYCLE_1) | instskip(NEXT) | instid1(SALU_CYCLE_1)
	s_or_b32 s0, s0, s26
	s_and_b32 s26, s0, exec_lo
	s_delay_alu instid0(SALU_CYCLE_1)
	s_or_b32 s24, s24, s26
	s_mov_b32 s26, exec_lo
	v_cmpx_eq_u16_e64 v8, v9
	s_cbranch_execz .LBB1386_22
; %bb.24:                               ;   in Loop: Header=BB1386_23 Depth=2
	s_add_nc_u64 s[14:15], s[14:15], -1
	v_add_nc_u64_e32 v[6:7], 2, v[6:7]
	s_cmp_eq_u64 s[14:15], 0
	v_add_nc_u64_e32 v[4:5], 2, v[4:5]
	s_cselect_b32 s25, -1, 0
	s_and_not1_b32 s23, s23, exec_lo
	s_and_b32 s25, s25, exec_lo
	s_and_not1_b32 s24, s24, exec_lo
	s_or_b32 s23, s23, s25
                                        ; implicit-def: $sgpr25
	s_branch .LBB1386_22
.LBB1386_25:                            ;   in Loop: Header=BB1386_10 Depth=1
	s_mov_b32 s21, 0
	s_branch .LBB1386_9
.LBB1386_26:
                                        ; implicit-def: $vgpr1
	s_cbranch_execnz .LBB1386_30
	s_branch .LBB1386_52
.LBB1386_27:
	s_or_b32 exec_lo, exec_lo, s20
.LBB1386_28:
	s_delay_alu instid0(VALU_DEP_1)
	v_add_nc_u32_e32 v1, v11, v10
	s_or_b32 s13, s13, exec_lo
.LBB1386_29:
	s_or_b32 exec_lo, exec_lo, s19
	s_branch .LBB1386_52
.LBB1386_30:
	v_mov_b32_e32 v11, s12
	s_cmp_ge_u32 s17, s18
	s_cbranch_scc1 .LBB1386_51
; %bb.31:
	s_wait_loadcnt 0x0
	v_mul_u64_e32 v[0:1], s[8:9], v[2:3]
	v_dual_mov_b32 v12, s18 :: v_dual_mov_b32 v11, s12
	v_cndmask_b32_e64 v13, 0, 1, s1
	s_lshl_b64 s[2:3], s[8:9], 1
	s_mov_b32 s14, 0
	s_delay_alu instid0(VALU_DEP_3)
	v_lshl_add_u64 v[0:1], v[0:1], 1, s[10:11]
	s_branch .LBB1386_34
.LBB1386_32:                            ;   in Loop: Header=BB1386_34 Depth=1
	s_or_b32 exec_lo, exec_lo, s17
.LBB1386_33:                            ;   in Loop: Header=BB1386_34 Depth=1
	s_wait_loadcnt 0x0
	v_dual_add_nc_u32 v4, 1, v14 :: v_dual_cndmask_b32 v12, v14, v12, s15
	s_delay_alu instid0(VALU_DEP_1) | instskip(NEXT) | instid1(VALU_DEP_1)
	v_cndmask_b32_e64 v11, v11, v4, s15
	v_cmp_ge_u32_e32 vcc_lo, v11, v12
	s_or_b32 s14, vcc_lo, s14
	s_delay_alu instid0(SALU_CYCLE_1)
	s_and_not1_b32 exec_lo, exec_lo, s14
	s_cbranch_execz .LBB1386_50
.LBB1386_34:                            ; =>This Loop Header: Depth=1
                                        ;     Child Loop BB1386_38 Depth 2
                                        ;     Child Loop BB1386_47 Depth 2
	v_add_nc_u32_e32 v4, v11, v12
	v_cmp_ne_u32_e64 s0, 1, v13
	s_and_not1_b32 vcc_lo, exec_lo, s16
	s_mov_b32 s12, -1
                                        ; implicit-def: $sgpr15
	v_lshrrev_b32_e32 v14, 1, v4
	global_load_b64 v[4:5], v14, s[4:5] scale_offset
	s_cbranch_vccnz .LBB1386_43
; %bb.35:                               ;   in Loop: Header=BB1386_34 Depth=1
	s_and_b32 vcc_lo, exec_lo, s0
	s_cbranch_vccnz .LBB1386_41
; %bb.36:                               ;   in Loop: Header=BB1386_34 Depth=1
	s_wait_loadcnt 0x0
	v_mad_nc_u64_u32 v[6:7], s2, v4, s[10:11]
	v_mov_b64_e32 v[8:9], v[0:1]
	s_mov_b32 s15, 0
	s_mov_b64 s[12:13], s[8:9]
                                        ; implicit-def: $sgpr17
                                        ; implicit-def: $sgpr18
                                        ; implicit-def: $sgpr19
                                        ; implicit-def: $sgpr20
	s_delay_alu instid0(VALU_DEP_2) | instskip(NEXT) | instid1(VALU_DEP_1)
	v_mad_u32 v7, s3, v4, v7
	v_mad_u32 v7, s2, v5, v7
	s_branch .LBB1386_38
.LBB1386_37:                            ;   in Loop: Header=BB1386_38 Depth=2
	s_or_b32 exec_lo, exec_lo, s21
	s_delay_alu instid0(SALU_CYCLE_1) | instskip(NEXT) | instid1(SALU_CYCLE_1)
	s_and_b32 s21, exec_lo, s18
	s_or_b32 s15, s21, s15
	s_and_not1_b32 s20, s20, exec_lo
	s_and_b32 s0, s0, exec_lo
	s_and_not1_b32 s17, s17, exec_lo
	s_and_b32 s21, s19, exec_lo
	s_or_b32 s20, s20, s0
	s_or_b32 s17, s17, s21
	s_and_not1_b32 exec_lo, exec_lo, s15
	s_cbranch_execz .LBB1386_40
.LBB1386_38:                            ;   Parent Loop BB1386_34 Depth=1
                                        ; =>  This Inner Loop Header: Depth=2
	global_load_u16 v15, v[8:9], off
	global_load_u16 v16, v[6:7], off
	s_and_not1_b32 s19, s19, exec_lo
	s_or_b32 s18, s18, exec_lo
	s_wait_loadcnt 0x0
	v_cmp_le_u16_e32 vcc_lo, v15, v16
	v_cmp_lt_u16_e64 s0, v15, v16
	s_and_b32 s21, vcc_lo, s20
	s_delay_alu instid0(SALU_CYCLE_1) | instskip(NEXT) | instid1(SALU_CYCLE_1)
	s_or_b32 s0, s0, s21
	s_and_b32 s21, s0, exec_lo
	s_delay_alu instid0(SALU_CYCLE_1)
	s_or_b32 s19, s19, s21
	s_mov_b32 s21, exec_lo
	v_cmpx_eq_u16_e64 v15, v16
	s_cbranch_execz .LBB1386_37
; %bb.39:                               ;   in Loop: Header=BB1386_38 Depth=2
	s_add_nc_u64 s[12:13], s[12:13], -1
	v_add_nc_u64_e32 v[8:9], 2, v[8:9]
	s_cmp_eq_u64 s[12:13], 0
	v_add_nc_u64_e32 v[6:7], 2, v[6:7]
	s_cselect_b32 s20, -1, 0
	s_and_not1_b32 s18, s18, exec_lo
	s_and_b32 s20, s20, exec_lo
	s_and_not1_b32 s19, s19, exec_lo
	s_or_b32 s18, s18, s20
                                        ; implicit-def: $sgpr20
	s_branch .LBB1386_37
.LBB1386_40:                            ;   in Loop: Header=BB1386_34 Depth=1
	s_or_b32 exec_lo, exec_lo, s15
	s_xor_b32 s15, s17, -1
	s_branch .LBB1386_42
.LBB1386_41:                            ;   in Loop: Header=BB1386_34 Depth=1
	s_mov_b32 s15, -1
.LBB1386_42:                            ;   in Loop: Header=BB1386_34 Depth=1
	s_mov_b32 s12, 0
.LBB1386_43:                            ;   in Loop: Header=BB1386_34 Depth=1
	s_delay_alu instid0(SALU_CYCLE_1)
	s_and_not1_b32 vcc_lo, exec_lo, s12
	s_cbranch_vccnz .LBB1386_33
; %bb.44:                               ;   in Loop: Header=BB1386_34 Depth=1
	s_and_not1_b32 vcc_lo, exec_lo, s1
	s_cbranch_vccnz .LBB1386_49
; %bb.45:                               ;   in Loop: Header=BB1386_34 Depth=1
	s_wait_loadcnt 0x0
	v_mad_nc_u64_u32 v[6:7], s2, v4, s[10:11]
	s_mov_b32 s17, 0
	s_mov_b64 s[12:13], s[8:9]
                                        ; implicit-def: $sgpr15
                                        ; implicit-def: $sgpr18
                                        ; implicit-def: $sgpr19
                                        ; implicit-def: $sgpr20
	s_delay_alu instid0(VALU_DEP_1) | instskip(NEXT) | instid1(VALU_DEP_1)
	v_mad_u32 v4, s3, v4, v7
	v_mad_u32 v7, s2, v5, v4
	v_mov_b64_e32 v[4:5], v[0:1]
	s_branch .LBB1386_47
.LBB1386_46:                            ;   in Loop: Header=BB1386_47 Depth=2
	s_or_b32 exec_lo, exec_lo, s21
	s_delay_alu instid0(SALU_CYCLE_1) | instskip(NEXT) | instid1(SALU_CYCLE_1)
	s_and_b32 s21, exec_lo, s18
	s_or_b32 s17, s21, s17
	s_and_not1_b32 s20, s20, exec_lo
	s_and_b32 s0, s0, exec_lo
	s_and_not1_b32 s15, s15, exec_lo
	s_and_b32 s21, s19, exec_lo
	s_or_b32 s20, s20, s0
	s_or_b32 s15, s15, s21
	s_and_not1_b32 exec_lo, exec_lo, s17
	s_cbranch_execz .LBB1386_32
.LBB1386_47:                            ;   Parent Loop BB1386_34 Depth=1
                                        ; =>  This Inner Loop Header: Depth=2
	global_load_u16 v8, v[6:7], off
	global_load_u16 v9, v[4:5], off
	s_and_not1_b32 s19, s19, exec_lo
	s_or_b32 s18, s18, exec_lo
	s_wait_loadcnt 0x0
	v_cmp_le_u16_e32 vcc_lo, v8, v9
	v_cmp_lt_u16_e64 s0, v8, v9
	s_and_b32 s21, vcc_lo, s20
	s_delay_alu instid0(SALU_CYCLE_1) | instskip(NEXT) | instid1(SALU_CYCLE_1)
	s_or_b32 s0, s0, s21
	s_and_b32 s21, s0, exec_lo
	s_delay_alu instid0(SALU_CYCLE_1)
	s_or_b32 s19, s19, s21
	s_mov_b32 s21, exec_lo
	v_cmpx_eq_u16_e64 v8, v9
	s_cbranch_execz .LBB1386_46
; %bb.48:                               ;   in Loop: Header=BB1386_47 Depth=2
	s_add_nc_u64 s[12:13], s[12:13], -1
	v_add_nc_u64_e32 v[6:7], 2, v[6:7]
	s_cmp_eq_u64 s[12:13], 0
	v_add_nc_u64_e32 v[4:5], 2, v[4:5]
	s_cselect_b32 s20, -1, 0
	s_and_not1_b32 s18, s18, exec_lo
	s_and_b32 s20, s20, exec_lo
	s_and_not1_b32 s19, s19, exec_lo
	s_or_b32 s18, s18, s20
                                        ; implicit-def: $sgpr20
	s_branch .LBB1386_46
.LBB1386_49:                            ;   in Loop: Header=BB1386_34 Depth=1
	s_mov_b32 s15, 0
	s_branch .LBB1386_33
.LBB1386_50:
	s_or_b32 exec_lo, exec_lo, s14
.LBB1386_51:
	s_delay_alu instid0(VALU_DEP_1)
	v_add_nc_u32_e32 v1, v11, v10
	s_mov_b32 s13, -1
.LBB1386_52:
	s_delay_alu instid0(SALU_CYCLE_1)
	s_and_b32 exec_lo, exec_lo, s13
	s_cbranch_execz .LBB1386_54
; %bb.53:
	s_wait_loadcnt 0x0
	global_store_b64 v1, v[2:3], s[6:7] scale_offset
.LBB1386_54:
	s_endpgm
	.section	.rodata,"a",@progbits
	.p2align	6, 0x0
	.amdhsa_kernel _ZN7rocprim17ROCPRIM_400000_NS6detail17trampoline_kernelINS0_14default_configENS1_38merge_sort_block_merge_config_selectorIlNS0_10empty_typeEEEZZNS1_27merge_sort_block_merge_implIS3_PlPS5_mZN2at6native12_GLOBAL__N_124unique_dim_cuda_templateItEESt5tupleIJNSA_6TensorESF_SF_EERKSF_lbbbEUlllE_EE10hipError_tT0_T1_T2_jT3_P12ihipStream_tbPNSt15iterator_traitsISL_E10value_typeEPNSR_ISM_E10value_typeEPSN_NS1_7vsmem_tEENKUlT_SL_SM_SN_E_clIS8_S8_S9_S9_EESK_S10_SL_SM_SN_EUlS10_E1_NS1_11comp_targetILNS1_3genE0ELNS1_11target_archE4294967295ELNS1_3gpuE0ELNS1_3repE0EEENS1_36merge_oddeven_config_static_selectorELNS0_4arch9wavefront6targetE0EEEvSM_
		.amdhsa_group_segment_fixed_size 0
		.amdhsa_private_segment_fixed_size 0
		.amdhsa_kernarg_size 64
		.amdhsa_user_sgpr_count 2
		.amdhsa_user_sgpr_dispatch_ptr 0
		.amdhsa_user_sgpr_queue_ptr 0
		.amdhsa_user_sgpr_kernarg_segment_ptr 1
		.amdhsa_user_sgpr_dispatch_id 0
		.amdhsa_user_sgpr_kernarg_preload_length 0
		.amdhsa_user_sgpr_kernarg_preload_offset 0
		.amdhsa_user_sgpr_private_segment_size 0
		.amdhsa_wavefront_size32 1
		.amdhsa_uses_dynamic_stack 0
		.amdhsa_enable_private_segment 0
		.amdhsa_system_sgpr_workgroup_id_x 1
		.amdhsa_system_sgpr_workgroup_id_y 0
		.amdhsa_system_sgpr_workgroup_id_z 0
		.amdhsa_system_sgpr_workgroup_info 0
		.amdhsa_system_vgpr_workitem_id 0
		.amdhsa_next_free_vgpr 17
		.amdhsa_next_free_sgpr 27
		.amdhsa_named_barrier_count 0
		.amdhsa_reserve_vcc 1
		.amdhsa_float_round_mode_32 0
		.amdhsa_float_round_mode_16_64 0
		.amdhsa_float_denorm_mode_32 3
		.amdhsa_float_denorm_mode_16_64 3
		.amdhsa_fp16_overflow 0
		.amdhsa_memory_ordered 1
		.amdhsa_forward_progress 1
		.amdhsa_inst_pref_size 14
		.amdhsa_round_robin_scheduling 0
		.amdhsa_exception_fp_ieee_invalid_op 0
		.amdhsa_exception_fp_denorm_src 0
		.amdhsa_exception_fp_ieee_div_zero 0
		.amdhsa_exception_fp_ieee_overflow 0
		.amdhsa_exception_fp_ieee_underflow 0
		.amdhsa_exception_fp_ieee_inexact 0
		.amdhsa_exception_int_div_zero 0
	.end_amdhsa_kernel
	.section	.text._ZN7rocprim17ROCPRIM_400000_NS6detail17trampoline_kernelINS0_14default_configENS1_38merge_sort_block_merge_config_selectorIlNS0_10empty_typeEEEZZNS1_27merge_sort_block_merge_implIS3_PlPS5_mZN2at6native12_GLOBAL__N_124unique_dim_cuda_templateItEESt5tupleIJNSA_6TensorESF_SF_EERKSF_lbbbEUlllE_EE10hipError_tT0_T1_T2_jT3_P12ihipStream_tbPNSt15iterator_traitsISL_E10value_typeEPNSR_ISM_E10value_typeEPSN_NS1_7vsmem_tEENKUlT_SL_SM_SN_E_clIS8_S8_S9_S9_EESK_S10_SL_SM_SN_EUlS10_E1_NS1_11comp_targetILNS1_3genE0ELNS1_11target_archE4294967295ELNS1_3gpuE0ELNS1_3repE0EEENS1_36merge_oddeven_config_static_selectorELNS0_4arch9wavefront6targetE0EEEvSM_,"axG",@progbits,_ZN7rocprim17ROCPRIM_400000_NS6detail17trampoline_kernelINS0_14default_configENS1_38merge_sort_block_merge_config_selectorIlNS0_10empty_typeEEEZZNS1_27merge_sort_block_merge_implIS3_PlPS5_mZN2at6native12_GLOBAL__N_124unique_dim_cuda_templateItEESt5tupleIJNSA_6TensorESF_SF_EERKSF_lbbbEUlllE_EE10hipError_tT0_T1_T2_jT3_P12ihipStream_tbPNSt15iterator_traitsISL_E10value_typeEPNSR_ISM_E10value_typeEPSN_NS1_7vsmem_tEENKUlT_SL_SM_SN_E_clIS8_S8_S9_S9_EESK_S10_SL_SM_SN_EUlS10_E1_NS1_11comp_targetILNS1_3genE0ELNS1_11target_archE4294967295ELNS1_3gpuE0ELNS1_3repE0EEENS1_36merge_oddeven_config_static_selectorELNS0_4arch9wavefront6targetE0EEEvSM_,comdat
.Lfunc_end1386:
	.size	_ZN7rocprim17ROCPRIM_400000_NS6detail17trampoline_kernelINS0_14default_configENS1_38merge_sort_block_merge_config_selectorIlNS0_10empty_typeEEEZZNS1_27merge_sort_block_merge_implIS3_PlPS5_mZN2at6native12_GLOBAL__N_124unique_dim_cuda_templateItEESt5tupleIJNSA_6TensorESF_SF_EERKSF_lbbbEUlllE_EE10hipError_tT0_T1_T2_jT3_P12ihipStream_tbPNSt15iterator_traitsISL_E10value_typeEPNSR_ISM_E10value_typeEPSN_NS1_7vsmem_tEENKUlT_SL_SM_SN_E_clIS8_S8_S9_S9_EESK_S10_SL_SM_SN_EUlS10_E1_NS1_11comp_targetILNS1_3genE0ELNS1_11target_archE4294967295ELNS1_3gpuE0ELNS1_3repE0EEENS1_36merge_oddeven_config_static_selectorELNS0_4arch9wavefront6targetE0EEEvSM_, .Lfunc_end1386-_ZN7rocprim17ROCPRIM_400000_NS6detail17trampoline_kernelINS0_14default_configENS1_38merge_sort_block_merge_config_selectorIlNS0_10empty_typeEEEZZNS1_27merge_sort_block_merge_implIS3_PlPS5_mZN2at6native12_GLOBAL__N_124unique_dim_cuda_templateItEESt5tupleIJNSA_6TensorESF_SF_EERKSF_lbbbEUlllE_EE10hipError_tT0_T1_T2_jT3_P12ihipStream_tbPNSt15iterator_traitsISL_E10value_typeEPNSR_ISM_E10value_typeEPSN_NS1_7vsmem_tEENKUlT_SL_SM_SN_E_clIS8_S8_S9_S9_EESK_S10_SL_SM_SN_EUlS10_E1_NS1_11comp_targetILNS1_3genE0ELNS1_11target_archE4294967295ELNS1_3gpuE0ELNS1_3repE0EEENS1_36merge_oddeven_config_static_selectorELNS0_4arch9wavefront6targetE0EEEvSM_
                                        ; -- End function
	.set _ZN7rocprim17ROCPRIM_400000_NS6detail17trampoline_kernelINS0_14default_configENS1_38merge_sort_block_merge_config_selectorIlNS0_10empty_typeEEEZZNS1_27merge_sort_block_merge_implIS3_PlPS5_mZN2at6native12_GLOBAL__N_124unique_dim_cuda_templateItEESt5tupleIJNSA_6TensorESF_SF_EERKSF_lbbbEUlllE_EE10hipError_tT0_T1_T2_jT3_P12ihipStream_tbPNSt15iterator_traitsISL_E10value_typeEPNSR_ISM_E10value_typeEPSN_NS1_7vsmem_tEENKUlT_SL_SM_SN_E_clIS8_S8_S9_S9_EESK_S10_SL_SM_SN_EUlS10_E1_NS1_11comp_targetILNS1_3genE0ELNS1_11target_archE4294967295ELNS1_3gpuE0ELNS1_3repE0EEENS1_36merge_oddeven_config_static_selectorELNS0_4arch9wavefront6targetE0EEEvSM_.num_vgpr, 17
	.set _ZN7rocprim17ROCPRIM_400000_NS6detail17trampoline_kernelINS0_14default_configENS1_38merge_sort_block_merge_config_selectorIlNS0_10empty_typeEEEZZNS1_27merge_sort_block_merge_implIS3_PlPS5_mZN2at6native12_GLOBAL__N_124unique_dim_cuda_templateItEESt5tupleIJNSA_6TensorESF_SF_EERKSF_lbbbEUlllE_EE10hipError_tT0_T1_T2_jT3_P12ihipStream_tbPNSt15iterator_traitsISL_E10value_typeEPNSR_ISM_E10value_typeEPSN_NS1_7vsmem_tEENKUlT_SL_SM_SN_E_clIS8_S8_S9_S9_EESK_S10_SL_SM_SN_EUlS10_E1_NS1_11comp_targetILNS1_3genE0ELNS1_11target_archE4294967295ELNS1_3gpuE0ELNS1_3repE0EEENS1_36merge_oddeven_config_static_selectorELNS0_4arch9wavefront6targetE0EEEvSM_.num_agpr, 0
	.set _ZN7rocprim17ROCPRIM_400000_NS6detail17trampoline_kernelINS0_14default_configENS1_38merge_sort_block_merge_config_selectorIlNS0_10empty_typeEEEZZNS1_27merge_sort_block_merge_implIS3_PlPS5_mZN2at6native12_GLOBAL__N_124unique_dim_cuda_templateItEESt5tupleIJNSA_6TensorESF_SF_EERKSF_lbbbEUlllE_EE10hipError_tT0_T1_T2_jT3_P12ihipStream_tbPNSt15iterator_traitsISL_E10value_typeEPNSR_ISM_E10value_typeEPSN_NS1_7vsmem_tEENKUlT_SL_SM_SN_E_clIS8_S8_S9_S9_EESK_S10_SL_SM_SN_EUlS10_E1_NS1_11comp_targetILNS1_3genE0ELNS1_11target_archE4294967295ELNS1_3gpuE0ELNS1_3repE0EEENS1_36merge_oddeven_config_static_selectorELNS0_4arch9wavefront6targetE0EEEvSM_.numbered_sgpr, 27
	.set _ZN7rocprim17ROCPRIM_400000_NS6detail17trampoline_kernelINS0_14default_configENS1_38merge_sort_block_merge_config_selectorIlNS0_10empty_typeEEEZZNS1_27merge_sort_block_merge_implIS3_PlPS5_mZN2at6native12_GLOBAL__N_124unique_dim_cuda_templateItEESt5tupleIJNSA_6TensorESF_SF_EERKSF_lbbbEUlllE_EE10hipError_tT0_T1_T2_jT3_P12ihipStream_tbPNSt15iterator_traitsISL_E10value_typeEPNSR_ISM_E10value_typeEPSN_NS1_7vsmem_tEENKUlT_SL_SM_SN_E_clIS8_S8_S9_S9_EESK_S10_SL_SM_SN_EUlS10_E1_NS1_11comp_targetILNS1_3genE0ELNS1_11target_archE4294967295ELNS1_3gpuE0ELNS1_3repE0EEENS1_36merge_oddeven_config_static_selectorELNS0_4arch9wavefront6targetE0EEEvSM_.num_named_barrier, 0
	.set _ZN7rocprim17ROCPRIM_400000_NS6detail17trampoline_kernelINS0_14default_configENS1_38merge_sort_block_merge_config_selectorIlNS0_10empty_typeEEEZZNS1_27merge_sort_block_merge_implIS3_PlPS5_mZN2at6native12_GLOBAL__N_124unique_dim_cuda_templateItEESt5tupleIJNSA_6TensorESF_SF_EERKSF_lbbbEUlllE_EE10hipError_tT0_T1_T2_jT3_P12ihipStream_tbPNSt15iterator_traitsISL_E10value_typeEPNSR_ISM_E10value_typeEPSN_NS1_7vsmem_tEENKUlT_SL_SM_SN_E_clIS8_S8_S9_S9_EESK_S10_SL_SM_SN_EUlS10_E1_NS1_11comp_targetILNS1_3genE0ELNS1_11target_archE4294967295ELNS1_3gpuE0ELNS1_3repE0EEENS1_36merge_oddeven_config_static_selectorELNS0_4arch9wavefront6targetE0EEEvSM_.private_seg_size, 0
	.set _ZN7rocprim17ROCPRIM_400000_NS6detail17trampoline_kernelINS0_14default_configENS1_38merge_sort_block_merge_config_selectorIlNS0_10empty_typeEEEZZNS1_27merge_sort_block_merge_implIS3_PlPS5_mZN2at6native12_GLOBAL__N_124unique_dim_cuda_templateItEESt5tupleIJNSA_6TensorESF_SF_EERKSF_lbbbEUlllE_EE10hipError_tT0_T1_T2_jT3_P12ihipStream_tbPNSt15iterator_traitsISL_E10value_typeEPNSR_ISM_E10value_typeEPSN_NS1_7vsmem_tEENKUlT_SL_SM_SN_E_clIS8_S8_S9_S9_EESK_S10_SL_SM_SN_EUlS10_E1_NS1_11comp_targetILNS1_3genE0ELNS1_11target_archE4294967295ELNS1_3gpuE0ELNS1_3repE0EEENS1_36merge_oddeven_config_static_selectorELNS0_4arch9wavefront6targetE0EEEvSM_.uses_vcc, 1
	.set _ZN7rocprim17ROCPRIM_400000_NS6detail17trampoline_kernelINS0_14default_configENS1_38merge_sort_block_merge_config_selectorIlNS0_10empty_typeEEEZZNS1_27merge_sort_block_merge_implIS3_PlPS5_mZN2at6native12_GLOBAL__N_124unique_dim_cuda_templateItEESt5tupleIJNSA_6TensorESF_SF_EERKSF_lbbbEUlllE_EE10hipError_tT0_T1_T2_jT3_P12ihipStream_tbPNSt15iterator_traitsISL_E10value_typeEPNSR_ISM_E10value_typeEPSN_NS1_7vsmem_tEENKUlT_SL_SM_SN_E_clIS8_S8_S9_S9_EESK_S10_SL_SM_SN_EUlS10_E1_NS1_11comp_targetILNS1_3genE0ELNS1_11target_archE4294967295ELNS1_3gpuE0ELNS1_3repE0EEENS1_36merge_oddeven_config_static_selectorELNS0_4arch9wavefront6targetE0EEEvSM_.uses_flat_scratch, 0
	.set _ZN7rocprim17ROCPRIM_400000_NS6detail17trampoline_kernelINS0_14default_configENS1_38merge_sort_block_merge_config_selectorIlNS0_10empty_typeEEEZZNS1_27merge_sort_block_merge_implIS3_PlPS5_mZN2at6native12_GLOBAL__N_124unique_dim_cuda_templateItEESt5tupleIJNSA_6TensorESF_SF_EERKSF_lbbbEUlllE_EE10hipError_tT0_T1_T2_jT3_P12ihipStream_tbPNSt15iterator_traitsISL_E10value_typeEPNSR_ISM_E10value_typeEPSN_NS1_7vsmem_tEENKUlT_SL_SM_SN_E_clIS8_S8_S9_S9_EESK_S10_SL_SM_SN_EUlS10_E1_NS1_11comp_targetILNS1_3genE0ELNS1_11target_archE4294967295ELNS1_3gpuE0ELNS1_3repE0EEENS1_36merge_oddeven_config_static_selectorELNS0_4arch9wavefront6targetE0EEEvSM_.has_dyn_sized_stack, 0
	.set _ZN7rocprim17ROCPRIM_400000_NS6detail17trampoline_kernelINS0_14default_configENS1_38merge_sort_block_merge_config_selectorIlNS0_10empty_typeEEEZZNS1_27merge_sort_block_merge_implIS3_PlPS5_mZN2at6native12_GLOBAL__N_124unique_dim_cuda_templateItEESt5tupleIJNSA_6TensorESF_SF_EERKSF_lbbbEUlllE_EE10hipError_tT0_T1_T2_jT3_P12ihipStream_tbPNSt15iterator_traitsISL_E10value_typeEPNSR_ISM_E10value_typeEPSN_NS1_7vsmem_tEENKUlT_SL_SM_SN_E_clIS8_S8_S9_S9_EESK_S10_SL_SM_SN_EUlS10_E1_NS1_11comp_targetILNS1_3genE0ELNS1_11target_archE4294967295ELNS1_3gpuE0ELNS1_3repE0EEENS1_36merge_oddeven_config_static_selectorELNS0_4arch9wavefront6targetE0EEEvSM_.has_recursion, 0
	.set _ZN7rocprim17ROCPRIM_400000_NS6detail17trampoline_kernelINS0_14default_configENS1_38merge_sort_block_merge_config_selectorIlNS0_10empty_typeEEEZZNS1_27merge_sort_block_merge_implIS3_PlPS5_mZN2at6native12_GLOBAL__N_124unique_dim_cuda_templateItEESt5tupleIJNSA_6TensorESF_SF_EERKSF_lbbbEUlllE_EE10hipError_tT0_T1_T2_jT3_P12ihipStream_tbPNSt15iterator_traitsISL_E10value_typeEPNSR_ISM_E10value_typeEPSN_NS1_7vsmem_tEENKUlT_SL_SM_SN_E_clIS8_S8_S9_S9_EESK_S10_SL_SM_SN_EUlS10_E1_NS1_11comp_targetILNS1_3genE0ELNS1_11target_archE4294967295ELNS1_3gpuE0ELNS1_3repE0EEENS1_36merge_oddeven_config_static_selectorELNS0_4arch9wavefront6targetE0EEEvSM_.has_indirect_call, 0
	.section	.AMDGPU.csdata,"",@progbits
; Kernel info:
; codeLenInByte = 1704
; TotalNumSgprs: 29
; NumVgprs: 17
; ScratchSize: 0
; MemoryBound: 0
; FloatMode: 240
; IeeeMode: 1
; LDSByteSize: 0 bytes/workgroup (compile time only)
; SGPRBlocks: 0
; VGPRBlocks: 1
; NumSGPRsForWavesPerEU: 29
; NumVGPRsForWavesPerEU: 17
; NamedBarCnt: 0
; Occupancy: 16
; WaveLimiterHint : 0
; COMPUTE_PGM_RSRC2:SCRATCH_EN: 0
; COMPUTE_PGM_RSRC2:USER_SGPR: 2
; COMPUTE_PGM_RSRC2:TRAP_HANDLER: 0
; COMPUTE_PGM_RSRC2:TGID_X_EN: 1
; COMPUTE_PGM_RSRC2:TGID_Y_EN: 0
; COMPUTE_PGM_RSRC2:TGID_Z_EN: 0
; COMPUTE_PGM_RSRC2:TIDIG_COMP_CNT: 0
	.section	.text._ZN7rocprim17ROCPRIM_400000_NS6detail17trampoline_kernelINS0_14default_configENS1_38merge_sort_block_merge_config_selectorIlNS0_10empty_typeEEEZZNS1_27merge_sort_block_merge_implIS3_PlPS5_mZN2at6native12_GLOBAL__N_124unique_dim_cuda_templateItEESt5tupleIJNSA_6TensorESF_SF_EERKSF_lbbbEUlllE_EE10hipError_tT0_T1_T2_jT3_P12ihipStream_tbPNSt15iterator_traitsISL_E10value_typeEPNSR_ISM_E10value_typeEPSN_NS1_7vsmem_tEENKUlT_SL_SM_SN_E_clIS8_S8_S9_S9_EESK_S10_SL_SM_SN_EUlS10_E1_NS1_11comp_targetILNS1_3genE10ELNS1_11target_archE1201ELNS1_3gpuE5ELNS1_3repE0EEENS1_36merge_oddeven_config_static_selectorELNS0_4arch9wavefront6targetE0EEEvSM_,"axG",@progbits,_ZN7rocprim17ROCPRIM_400000_NS6detail17trampoline_kernelINS0_14default_configENS1_38merge_sort_block_merge_config_selectorIlNS0_10empty_typeEEEZZNS1_27merge_sort_block_merge_implIS3_PlPS5_mZN2at6native12_GLOBAL__N_124unique_dim_cuda_templateItEESt5tupleIJNSA_6TensorESF_SF_EERKSF_lbbbEUlllE_EE10hipError_tT0_T1_T2_jT3_P12ihipStream_tbPNSt15iterator_traitsISL_E10value_typeEPNSR_ISM_E10value_typeEPSN_NS1_7vsmem_tEENKUlT_SL_SM_SN_E_clIS8_S8_S9_S9_EESK_S10_SL_SM_SN_EUlS10_E1_NS1_11comp_targetILNS1_3genE10ELNS1_11target_archE1201ELNS1_3gpuE5ELNS1_3repE0EEENS1_36merge_oddeven_config_static_selectorELNS0_4arch9wavefront6targetE0EEEvSM_,comdat
	.globl	_ZN7rocprim17ROCPRIM_400000_NS6detail17trampoline_kernelINS0_14default_configENS1_38merge_sort_block_merge_config_selectorIlNS0_10empty_typeEEEZZNS1_27merge_sort_block_merge_implIS3_PlPS5_mZN2at6native12_GLOBAL__N_124unique_dim_cuda_templateItEESt5tupleIJNSA_6TensorESF_SF_EERKSF_lbbbEUlllE_EE10hipError_tT0_T1_T2_jT3_P12ihipStream_tbPNSt15iterator_traitsISL_E10value_typeEPNSR_ISM_E10value_typeEPSN_NS1_7vsmem_tEENKUlT_SL_SM_SN_E_clIS8_S8_S9_S9_EESK_S10_SL_SM_SN_EUlS10_E1_NS1_11comp_targetILNS1_3genE10ELNS1_11target_archE1201ELNS1_3gpuE5ELNS1_3repE0EEENS1_36merge_oddeven_config_static_selectorELNS0_4arch9wavefront6targetE0EEEvSM_ ; -- Begin function _ZN7rocprim17ROCPRIM_400000_NS6detail17trampoline_kernelINS0_14default_configENS1_38merge_sort_block_merge_config_selectorIlNS0_10empty_typeEEEZZNS1_27merge_sort_block_merge_implIS3_PlPS5_mZN2at6native12_GLOBAL__N_124unique_dim_cuda_templateItEESt5tupleIJNSA_6TensorESF_SF_EERKSF_lbbbEUlllE_EE10hipError_tT0_T1_T2_jT3_P12ihipStream_tbPNSt15iterator_traitsISL_E10value_typeEPNSR_ISM_E10value_typeEPSN_NS1_7vsmem_tEENKUlT_SL_SM_SN_E_clIS8_S8_S9_S9_EESK_S10_SL_SM_SN_EUlS10_E1_NS1_11comp_targetILNS1_3genE10ELNS1_11target_archE1201ELNS1_3gpuE5ELNS1_3repE0EEENS1_36merge_oddeven_config_static_selectorELNS0_4arch9wavefront6targetE0EEEvSM_
	.p2align	8
	.type	_ZN7rocprim17ROCPRIM_400000_NS6detail17trampoline_kernelINS0_14default_configENS1_38merge_sort_block_merge_config_selectorIlNS0_10empty_typeEEEZZNS1_27merge_sort_block_merge_implIS3_PlPS5_mZN2at6native12_GLOBAL__N_124unique_dim_cuda_templateItEESt5tupleIJNSA_6TensorESF_SF_EERKSF_lbbbEUlllE_EE10hipError_tT0_T1_T2_jT3_P12ihipStream_tbPNSt15iterator_traitsISL_E10value_typeEPNSR_ISM_E10value_typeEPSN_NS1_7vsmem_tEENKUlT_SL_SM_SN_E_clIS8_S8_S9_S9_EESK_S10_SL_SM_SN_EUlS10_E1_NS1_11comp_targetILNS1_3genE10ELNS1_11target_archE1201ELNS1_3gpuE5ELNS1_3repE0EEENS1_36merge_oddeven_config_static_selectorELNS0_4arch9wavefront6targetE0EEEvSM_,@function
_ZN7rocprim17ROCPRIM_400000_NS6detail17trampoline_kernelINS0_14default_configENS1_38merge_sort_block_merge_config_selectorIlNS0_10empty_typeEEEZZNS1_27merge_sort_block_merge_implIS3_PlPS5_mZN2at6native12_GLOBAL__N_124unique_dim_cuda_templateItEESt5tupleIJNSA_6TensorESF_SF_EERKSF_lbbbEUlllE_EE10hipError_tT0_T1_T2_jT3_P12ihipStream_tbPNSt15iterator_traitsISL_E10value_typeEPNSR_ISM_E10value_typeEPSN_NS1_7vsmem_tEENKUlT_SL_SM_SN_E_clIS8_S8_S9_S9_EESK_S10_SL_SM_SN_EUlS10_E1_NS1_11comp_targetILNS1_3genE10ELNS1_11target_archE1201ELNS1_3gpuE5ELNS1_3repE0EEENS1_36merge_oddeven_config_static_selectorELNS0_4arch9wavefront6targetE0EEEvSM_: ; @_ZN7rocprim17ROCPRIM_400000_NS6detail17trampoline_kernelINS0_14default_configENS1_38merge_sort_block_merge_config_selectorIlNS0_10empty_typeEEEZZNS1_27merge_sort_block_merge_implIS3_PlPS5_mZN2at6native12_GLOBAL__N_124unique_dim_cuda_templateItEESt5tupleIJNSA_6TensorESF_SF_EERKSF_lbbbEUlllE_EE10hipError_tT0_T1_T2_jT3_P12ihipStream_tbPNSt15iterator_traitsISL_E10value_typeEPNSR_ISM_E10value_typeEPSN_NS1_7vsmem_tEENKUlT_SL_SM_SN_E_clIS8_S8_S9_S9_EESK_S10_SL_SM_SN_EUlS10_E1_NS1_11comp_targetILNS1_3genE10ELNS1_11target_archE1201ELNS1_3gpuE5ELNS1_3repE0EEENS1_36merge_oddeven_config_static_selectorELNS0_4arch9wavefront6targetE0EEEvSM_
; %bb.0:
	.section	.rodata,"a",@progbits
	.p2align	6, 0x0
	.amdhsa_kernel _ZN7rocprim17ROCPRIM_400000_NS6detail17trampoline_kernelINS0_14default_configENS1_38merge_sort_block_merge_config_selectorIlNS0_10empty_typeEEEZZNS1_27merge_sort_block_merge_implIS3_PlPS5_mZN2at6native12_GLOBAL__N_124unique_dim_cuda_templateItEESt5tupleIJNSA_6TensorESF_SF_EERKSF_lbbbEUlllE_EE10hipError_tT0_T1_T2_jT3_P12ihipStream_tbPNSt15iterator_traitsISL_E10value_typeEPNSR_ISM_E10value_typeEPSN_NS1_7vsmem_tEENKUlT_SL_SM_SN_E_clIS8_S8_S9_S9_EESK_S10_SL_SM_SN_EUlS10_E1_NS1_11comp_targetILNS1_3genE10ELNS1_11target_archE1201ELNS1_3gpuE5ELNS1_3repE0EEENS1_36merge_oddeven_config_static_selectorELNS0_4arch9wavefront6targetE0EEEvSM_
		.amdhsa_group_segment_fixed_size 0
		.amdhsa_private_segment_fixed_size 0
		.amdhsa_kernarg_size 64
		.amdhsa_user_sgpr_count 2
		.amdhsa_user_sgpr_dispatch_ptr 0
		.amdhsa_user_sgpr_queue_ptr 0
		.amdhsa_user_sgpr_kernarg_segment_ptr 1
		.amdhsa_user_sgpr_dispatch_id 0
		.amdhsa_user_sgpr_kernarg_preload_length 0
		.amdhsa_user_sgpr_kernarg_preload_offset 0
		.amdhsa_user_sgpr_private_segment_size 0
		.amdhsa_wavefront_size32 1
		.amdhsa_uses_dynamic_stack 0
		.amdhsa_enable_private_segment 0
		.amdhsa_system_sgpr_workgroup_id_x 1
		.amdhsa_system_sgpr_workgroup_id_y 0
		.amdhsa_system_sgpr_workgroup_id_z 0
		.amdhsa_system_sgpr_workgroup_info 0
		.amdhsa_system_vgpr_workitem_id 0
		.amdhsa_next_free_vgpr 1
		.amdhsa_next_free_sgpr 1
		.amdhsa_named_barrier_count 0
		.amdhsa_reserve_vcc 0
		.amdhsa_float_round_mode_32 0
		.amdhsa_float_round_mode_16_64 0
		.amdhsa_float_denorm_mode_32 3
		.amdhsa_float_denorm_mode_16_64 3
		.amdhsa_fp16_overflow 0
		.amdhsa_memory_ordered 1
		.amdhsa_forward_progress 1
		.amdhsa_inst_pref_size 0
		.amdhsa_round_robin_scheduling 0
		.amdhsa_exception_fp_ieee_invalid_op 0
		.amdhsa_exception_fp_denorm_src 0
		.amdhsa_exception_fp_ieee_div_zero 0
		.amdhsa_exception_fp_ieee_overflow 0
		.amdhsa_exception_fp_ieee_underflow 0
		.amdhsa_exception_fp_ieee_inexact 0
		.amdhsa_exception_int_div_zero 0
	.end_amdhsa_kernel
	.section	.text._ZN7rocprim17ROCPRIM_400000_NS6detail17trampoline_kernelINS0_14default_configENS1_38merge_sort_block_merge_config_selectorIlNS0_10empty_typeEEEZZNS1_27merge_sort_block_merge_implIS3_PlPS5_mZN2at6native12_GLOBAL__N_124unique_dim_cuda_templateItEESt5tupleIJNSA_6TensorESF_SF_EERKSF_lbbbEUlllE_EE10hipError_tT0_T1_T2_jT3_P12ihipStream_tbPNSt15iterator_traitsISL_E10value_typeEPNSR_ISM_E10value_typeEPSN_NS1_7vsmem_tEENKUlT_SL_SM_SN_E_clIS8_S8_S9_S9_EESK_S10_SL_SM_SN_EUlS10_E1_NS1_11comp_targetILNS1_3genE10ELNS1_11target_archE1201ELNS1_3gpuE5ELNS1_3repE0EEENS1_36merge_oddeven_config_static_selectorELNS0_4arch9wavefront6targetE0EEEvSM_,"axG",@progbits,_ZN7rocprim17ROCPRIM_400000_NS6detail17trampoline_kernelINS0_14default_configENS1_38merge_sort_block_merge_config_selectorIlNS0_10empty_typeEEEZZNS1_27merge_sort_block_merge_implIS3_PlPS5_mZN2at6native12_GLOBAL__N_124unique_dim_cuda_templateItEESt5tupleIJNSA_6TensorESF_SF_EERKSF_lbbbEUlllE_EE10hipError_tT0_T1_T2_jT3_P12ihipStream_tbPNSt15iterator_traitsISL_E10value_typeEPNSR_ISM_E10value_typeEPSN_NS1_7vsmem_tEENKUlT_SL_SM_SN_E_clIS8_S8_S9_S9_EESK_S10_SL_SM_SN_EUlS10_E1_NS1_11comp_targetILNS1_3genE10ELNS1_11target_archE1201ELNS1_3gpuE5ELNS1_3repE0EEENS1_36merge_oddeven_config_static_selectorELNS0_4arch9wavefront6targetE0EEEvSM_,comdat
.Lfunc_end1387:
	.size	_ZN7rocprim17ROCPRIM_400000_NS6detail17trampoline_kernelINS0_14default_configENS1_38merge_sort_block_merge_config_selectorIlNS0_10empty_typeEEEZZNS1_27merge_sort_block_merge_implIS3_PlPS5_mZN2at6native12_GLOBAL__N_124unique_dim_cuda_templateItEESt5tupleIJNSA_6TensorESF_SF_EERKSF_lbbbEUlllE_EE10hipError_tT0_T1_T2_jT3_P12ihipStream_tbPNSt15iterator_traitsISL_E10value_typeEPNSR_ISM_E10value_typeEPSN_NS1_7vsmem_tEENKUlT_SL_SM_SN_E_clIS8_S8_S9_S9_EESK_S10_SL_SM_SN_EUlS10_E1_NS1_11comp_targetILNS1_3genE10ELNS1_11target_archE1201ELNS1_3gpuE5ELNS1_3repE0EEENS1_36merge_oddeven_config_static_selectorELNS0_4arch9wavefront6targetE0EEEvSM_, .Lfunc_end1387-_ZN7rocprim17ROCPRIM_400000_NS6detail17trampoline_kernelINS0_14default_configENS1_38merge_sort_block_merge_config_selectorIlNS0_10empty_typeEEEZZNS1_27merge_sort_block_merge_implIS3_PlPS5_mZN2at6native12_GLOBAL__N_124unique_dim_cuda_templateItEESt5tupleIJNSA_6TensorESF_SF_EERKSF_lbbbEUlllE_EE10hipError_tT0_T1_T2_jT3_P12ihipStream_tbPNSt15iterator_traitsISL_E10value_typeEPNSR_ISM_E10value_typeEPSN_NS1_7vsmem_tEENKUlT_SL_SM_SN_E_clIS8_S8_S9_S9_EESK_S10_SL_SM_SN_EUlS10_E1_NS1_11comp_targetILNS1_3genE10ELNS1_11target_archE1201ELNS1_3gpuE5ELNS1_3repE0EEENS1_36merge_oddeven_config_static_selectorELNS0_4arch9wavefront6targetE0EEEvSM_
                                        ; -- End function
	.set _ZN7rocprim17ROCPRIM_400000_NS6detail17trampoline_kernelINS0_14default_configENS1_38merge_sort_block_merge_config_selectorIlNS0_10empty_typeEEEZZNS1_27merge_sort_block_merge_implIS3_PlPS5_mZN2at6native12_GLOBAL__N_124unique_dim_cuda_templateItEESt5tupleIJNSA_6TensorESF_SF_EERKSF_lbbbEUlllE_EE10hipError_tT0_T1_T2_jT3_P12ihipStream_tbPNSt15iterator_traitsISL_E10value_typeEPNSR_ISM_E10value_typeEPSN_NS1_7vsmem_tEENKUlT_SL_SM_SN_E_clIS8_S8_S9_S9_EESK_S10_SL_SM_SN_EUlS10_E1_NS1_11comp_targetILNS1_3genE10ELNS1_11target_archE1201ELNS1_3gpuE5ELNS1_3repE0EEENS1_36merge_oddeven_config_static_selectorELNS0_4arch9wavefront6targetE0EEEvSM_.num_vgpr, 0
	.set _ZN7rocprim17ROCPRIM_400000_NS6detail17trampoline_kernelINS0_14default_configENS1_38merge_sort_block_merge_config_selectorIlNS0_10empty_typeEEEZZNS1_27merge_sort_block_merge_implIS3_PlPS5_mZN2at6native12_GLOBAL__N_124unique_dim_cuda_templateItEESt5tupleIJNSA_6TensorESF_SF_EERKSF_lbbbEUlllE_EE10hipError_tT0_T1_T2_jT3_P12ihipStream_tbPNSt15iterator_traitsISL_E10value_typeEPNSR_ISM_E10value_typeEPSN_NS1_7vsmem_tEENKUlT_SL_SM_SN_E_clIS8_S8_S9_S9_EESK_S10_SL_SM_SN_EUlS10_E1_NS1_11comp_targetILNS1_3genE10ELNS1_11target_archE1201ELNS1_3gpuE5ELNS1_3repE0EEENS1_36merge_oddeven_config_static_selectorELNS0_4arch9wavefront6targetE0EEEvSM_.num_agpr, 0
	.set _ZN7rocprim17ROCPRIM_400000_NS6detail17trampoline_kernelINS0_14default_configENS1_38merge_sort_block_merge_config_selectorIlNS0_10empty_typeEEEZZNS1_27merge_sort_block_merge_implIS3_PlPS5_mZN2at6native12_GLOBAL__N_124unique_dim_cuda_templateItEESt5tupleIJNSA_6TensorESF_SF_EERKSF_lbbbEUlllE_EE10hipError_tT0_T1_T2_jT3_P12ihipStream_tbPNSt15iterator_traitsISL_E10value_typeEPNSR_ISM_E10value_typeEPSN_NS1_7vsmem_tEENKUlT_SL_SM_SN_E_clIS8_S8_S9_S9_EESK_S10_SL_SM_SN_EUlS10_E1_NS1_11comp_targetILNS1_3genE10ELNS1_11target_archE1201ELNS1_3gpuE5ELNS1_3repE0EEENS1_36merge_oddeven_config_static_selectorELNS0_4arch9wavefront6targetE0EEEvSM_.numbered_sgpr, 0
	.set _ZN7rocprim17ROCPRIM_400000_NS6detail17trampoline_kernelINS0_14default_configENS1_38merge_sort_block_merge_config_selectorIlNS0_10empty_typeEEEZZNS1_27merge_sort_block_merge_implIS3_PlPS5_mZN2at6native12_GLOBAL__N_124unique_dim_cuda_templateItEESt5tupleIJNSA_6TensorESF_SF_EERKSF_lbbbEUlllE_EE10hipError_tT0_T1_T2_jT3_P12ihipStream_tbPNSt15iterator_traitsISL_E10value_typeEPNSR_ISM_E10value_typeEPSN_NS1_7vsmem_tEENKUlT_SL_SM_SN_E_clIS8_S8_S9_S9_EESK_S10_SL_SM_SN_EUlS10_E1_NS1_11comp_targetILNS1_3genE10ELNS1_11target_archE1201ELNS1_3gpuE5ELNS1_3repE0EEENS1_36merge_oddeven_config_static_selectorELNS0_4arch9wavefront6targetE0EEEvSM_.num_named_barrier, 0
	.set _ZN7rocprim17ROCPRIM_400000_NS6detail17trampoline_kernelINS0_14default_configENS1_38merge_sort_block_merge_config_selectorIlNS0_10empty_typeEEEZZNS1_27merge_sort_block_merge_implIS3_PlPS5_mZN2at6native12_GLOBAL__N_124unique_dim_cuda_templateItEESt5tupleIJNSA_6TensorESF_SF_EERKSF_lbbbEUlllE_EE10hipError_tT0_T1_T2_jT3_P12ihipStream_tbPNSt15iterator_traitsISL_E10value_typeEPNSR_ISM_E10value_typeEPSN_NS1_7vsmem_tEENKUlT_SL_SM_SN_E_clIS8_S8_S9_S9_EESK_S10_SL_SM_SN_EUlS10_E1_NS1_11comp_targetILNS1_3genE10ELNS1_11target_archE1201ELNS1_3gpuE5ELNS1_3repE0EEENS1_36merge_oddeven_config_static_selectorELNS0_4arch9wavefront6targetE0EEEvSM_.private_seg_size, 0
	.set _ZN7rocprim17ROCPRIM_400000_NS6detail17trampoline_kernelINS0_14default_configENS1_38merge_sort_block_merge_config_selectorIlNS0_10empty_typeEEEZZNS1_27merge_sort_block_merge_implIS3_PlPS5_mZN2at6native12_GLOBAL__N_124unique_dim_cuda_templateItEESt5tupleIJNSA_6TensorESF_SF_EERKSF_lbbbEUlllE_EE10hipError_tT0_T1_T2_jT3_P12ihipStream_tbPNSt15iterator_traitsISL_E10value_typeEPNSR_ISM_E10value_typeEPSN_NS1_7vsmem_tEENKUlT_SL_SM_SN_E_clIS8_S8_S9_S9_EESK_S10_SL_SM_SN_EUlS10_E1_NS1_11comp_targetILNS1_3genE10ELNS1_11target_archE1201ELNS1_3gpuE5ELNS1_3repE0EEENS1_36merge_oddeven_config_static_selectorELNS0_4arch9wavefront6targetE0EEEvSM_.uses_vcc, 0
	.set _ZN7rocprim17ROCPRIM_400000_NS6detail17trampoline_kernelINS0_14default_configENS1_38merge_sort_block_merge_config_selectorIlNS0_10empty_typeEEEZZNS1_27merge_sort_block_merge_implIS3_PlPS5_mZN2at6native12_GLOBAL__N_124unique_dim_cuda_templateItEESt5tupleIJNSA_6TensorESF_SF_EERKSF_lbbbEUlllE_EE10hipError_tT0_T1_T2_jT3_P12ihipStream_tbPNSt15iterator_traitsISL_E10value_typeEPNSR_ISM_E10value_typeEPSN_NS1_7vsmem_tEENKUlT_SL_SM_SN_E_clIS8_S8_S9_S9_EESK_S10_SL_SM_SN_EUlS10_E1_NS1_11comp_targetILNS1_3genE10ELNS1_11target_archE1201ELNS1_3gpuE5ELNS1_3repE0EEENS1_36merge_oddeven_config_static_selectorELNS0_4arch9wavefront6targetE0EEEvSM_.uses_flat_scratch, 0
	.set _ZN7rocprim17ROCPRIM_400000_NS6detail17trampoline_kernelINS0_14default_configENS1_38merge_sort_block_merge_config_selectorIlNS0_10empty_typeEEEZZNS1_27merge_sort_block_merge_implIS3_PlPS5_mZN2at6native12_GLOBAL__N_124unique_dim_cuda_templateItEESt5tupleIJNSA_6TensorESF_SF_EERKSF_lbbbEUlllE_EE10hipError_tT0_T1_T2_jT3_P12ihipStream_tbPNSt15iterator_traitsISL_E10value_typeEPNSR_ISM_E10value_typeEPSN_NS1_7vsmem_tEENKUlT_SL_SM_SN_E_clIS8_S8_S9_S9_EESK_S10_SL_SM_SN_EUlS10_E1_NS1_11comp_targetILNS1_3genE10ELNS1_11target_archE1201ELNS1_3gpuE5ELNS1_3repE0EEENS1_36merge_oddeven_config_static_selectorELNS0_4arch9wavefront6targetE0EEEvSM_.has_dyn_sized_stack, 0
	.set _ZN7rocprim17ROCPRIM_400000_NS6detail17trampoline_kernelINS0_14default_configENS1_38merge_sort_block_merge_config_selectorIlNS0_10empty_typeEEEZZNS1_27merge_sort_block_merge_implIS3_PlPS5_mZN2at6native12_GLOBAL__N_124unique_dim_cuda_templateItEESt5tupleIJNSA_6TensorESF_SF_EERKSF_lbbbEUlllE_EE10hipError_tT0_T1_T2_jT3_P12ihipStream_tbPNSt15iterator_traitsISL_E10value_typeEPNSR_ISM_E10value_typeEPSN_NS1_7vsmem_tEENKUlT_SL_SM_SN_E_clIS8_S8_S9_S9_EESK_S10_SL_SM_SN_EUlS10_E1_NS1_11comp_targetILNS1_3genE10ELNS1_11target_archE1201ELNS1_3gpuE5ELNS1_3repE0EEENS1_36merge_oddeven_config_static_selectorELNS0_4arch9wavefront6targetE0EEEvSM_.has_recursion, 0
	.set _ZN7rocprim17ROCPRIM_400000_NS6detail17trampoline_kernelINS0_14default_configENS1_38merge_sort_block_merge_config_selectorIlNS0_10empty_typeEEEZZNS1_27merge_sort_block_merge_implIS3_PlPS5_mZN2at6native12_GLOBAL__N_124unique_dim_cuda_templateItEESt5tupleIJNSA_6TensorESF_SF_EERKSF_lbbbEUlllE_EE10hipError_tT0_T1_T2_jT3_P12ihipStream_tbPNSt15iterator_traitsISL_E10value_typeEPNSR_ISM_E10value_typeEPSN_NS1_7vsmem_tEENKUlT_SL_SM_SN_E_clIS8_S8_S9_S9_EESK_S10_SL_SM_SN_EUlS10_E1_NS1_11comp_targetILNS1_3genE10ELNS1_11target_archE1201ELNS1_3gpuE5ELNS1_3repE0EEENS1_36merge_oddeven_config_static_selectorELNS0_4arch9wavefront6targetE0EEEvSM_.has_indirect_call, 0
	.section	.AMDGPU.csdata,"",@progbits
; Kernel info:
; codeLenInByte = 0
; TotalNumSgprs: 0
; NumVgprs: 0
; ScratchSize: 0
; MemoryBound: 0
; FloatMode: 240
; IeeeMode: 1
; LDSByteSize: 0 bytes/workgroup (compile time only)
; SGPRBlocks: 0
; VGPRBlocks: 0
; NumSGPRsForWavesPerEU: 1
; NumVGPRsForWavesPerEU: 1
; NamedBarCnt: 0
; Occupancy: 16
; WaveLimiterHint : 0
; COMPUTE_PGM_RSRC2:SCRATCH_EN: 0
; COMPUTE_PGM_RSRC2:USER_SGPR: 2
; COMPUTE_PGM_RSRC2:TRAP_HANDLER: 0
; COMPUTE_PGM_RSRC2:TGID_X_EN: 1
; COMPUTE_PGM_RSRC2:TGID_Y_EN: 0
; COMPUTE_PGM_RSRC2:TGID_Z_EN: 0
; COMPUTE_PGM_RSRC2:TIDIG_COMP_CNT: 0
	.section	.text._ZN7rocprim17ROCPRIM_400000_NS6detail17trampoline_kernelINS0_14default_configENS1_38merge_sort_block_merge_config_selectorIlNS0_10empty_typeEEEZZNS1_27merge_sort_block_merge_implIS3_PlPS5_mZN2at6native12_GLOBAL__N_124unique_dim_cuda_templateItEESt5tupleIJNSA_6TensorESF_SF_EERKSF_lbbbEUlllE_EE10hipError_tT0_T1_T2_jT3_P12ihipStream_tbPNSt15iterator_traitsISL_E10value_typeEPNSR_ISM_E10value_typeEPSN_NS1_7vsmem_tEENKUlT_SL_SM_SN_E_clIS8_S8_S9_S9_EESK_S10_SL_SM_SN_EUlS10_E1_NS1_11comp_targetILNS1_3genE5ELNS1_11target_archE942ELNS1_3gpuE9ELNS1_3repE0EEENS1_36merge_oddeven_config_static_selectorELNS0_4arch9wavefront6targetE0EEEvSM_,"axG",@progbits,_ZN7rocprim17ROCPRIM_400000_NS6detail17trampoline_kernelINS0_14default_configENS1_38merge_sort_block_merge_config_selectorIlNS0_10empty_typeEEEZZNS1_27merge_sort_block_merge_implIS3_PlPS5_mZN2at6native12_GLOBAL__N_124unique_dim_cuda_templateItEESt5tupleIJNSA_6TensorESF_SF_EERKSF_lbbbEUlllE_EE10hipError_tT0_T1_T2_jT3_P12ihipStream_tbPNSt15iterator_traitsISL_E10value_typeEPNSR_ISM_E10value_typeEPSN_NS1_7vsmem_tEENKUlT_SL_SM_SN_E_clIS8_S8_S9_S9_EESK_S10_SL_SM_SN_EUlS10_E1_NS1_11comp_targetILNS1_3genE5ELNS1_11target_archE942ELNS1_3gpuE9ELNS1_3repE0EEENS1_36merge_oddeven_config_static_selectorELNS0_4arch9wavefront6targetE0EEEvSM_,comdat
	.globl	_ZN7rocprim17ROCPRIM_400000_NS6detail17trampoline_kernelINS0_14default_configENS1_38merge_sort_block_merge_config_selectorIlNS0_10empty_typeEEEZZNS1_27merge_sort_block_merge_implIS3_PlPS5_mZN2at6native12_GLOBAL__N_124unique_dim_cuda_templateItEESt5tupleIJNSA_6TensorESF_SF_EERKSF_lbbbEUlllE_EE10hipError_tT0_T1_T2_jT3_P12ihipStream_tbPNSt15iterator_traitsISL_E10value_typeEPNSR_ISM_E10value_typeEPSN_NS1_7vsmem_tEENKUlT_SL_SM_SN_E_clIS8_S8_S9_S9_EESK_S10_SL_SM_SN_EUlS10_E1_NS1_11comp_targetILNS1_3genE5ELNS1_11target_archE942ELNS1_3gpuE9ELNS1_3repE0EEENS1_36merge_oddeven_config_static_selectorELNS0_4arch9wavefront6targetE0EEEvSM_ ; -- Begin function _ZN7rocprim17ROCPRIM_400000_NS6detail17trampoline_kernelINS0_14default_configENS1_38merge_sort_block_merge_config_selectorIlNS0_10empty_typeEEEZZNS1_27merge_sort_block_merge_implIS3_PlPS5_mZN2at6native12_GLOBAL__N_124unique_dim_cuda_templateItEESt5tupleIJNSA_6TensorESF_SF_EERKSF_lbbbEUlllE_EE10hipError_tT0_T1_T2_jT3_P12ihipStream_tbPNSt15iterator_traitsISL_E10value_typeEPNSR_ISM_E10value_typeEPSN_NS1_7vsmem_tEENKUlT_SL_SM_SN_E_clIS8_S8_S9_S9_EESK_S10_SL_SM_SN_EUlS10_E1_NS1_11comp_targetILNS1_3genE5ELNS1_11target_archE942ELNS1_3gpuE9ELNS1_3repE0EEENS1_36merge_oddeven_config_static_selectorELNS0_4arch9wavefront6targetE0EEEvSM_
	.p2align	8
	.type	_ZN7rocprim17ROCPRIM_400000_NS6detail17trampoline_kernelINS0_14default_configENS1_38merge_sort_block_merge_config_selectorIlNS0_10empty_typeEEEZZNS1_27merge_sort_block_merge_implIS3_PlPS5_mZN2at6native12_GLOBAL__N_124unique_dim_cuda_templateItEESt5tupleIJNSA_6TensorESF_SF_EERKSF_lbbbEUlllE_EE10hipError_tT0_T1_T2_jT3_P12ihipStream_tbPNSt15iterator_traitsISL_E10value_typeEPNSR_ISM_E10value_typeEPSN_NS1_7vsmem_tEENKUlT_SL_SM_SN_E_clIS8_S8_S9_S9_EESK_S10_SL_SM_SN_EUlS10_E1_NS1_11comp_targetILNS1_3genE5ELNS1_11target_archE942ELNS1_3gpuE9ELNS1_3repE0EEENS1_36merge_oddeven_config_static_selectorELNS0_4arch9wavefront6targetE0EEEvSM_,@function
_ZN7rocprim17ROCPRIM_400000_NS6detail17trampoline_kernelINS0_14default_configENS1_38merge_sort_block_merge_config_selectorIlNS0_10empty_typeEEEZZNS1_27merge_sort_block_merge_implIS3_PlPS5_mZN2at6native12_GLOBAL__N_124unique_dim_cuda_templateItEESt5tupleIJNSA_6TensorESF_SF_EERKSF_lbbbEUlllE_EE10hipError_tT0_T1_T2_jT3_P12ihipStream_tbPNSt15iterator_traitsISL_E10value_typeEPNSR_ISM_E10value_typeEPSN_NS1_7vsmem_tEENKUlT_SL_SM_SN_E_clIS8_S8_S9_S9_EESK_S10_SL_SM_SN_EUlS10_E1_NS1_11comp_targetILNS1_3genE5ELNS1_11target_archE942ELNS1_3gpuE9ELNS1_3repE0EEENS1_36merge_oddeven_config_static_selectorELNS0_4arch9wavefront6targetE0EEEvSM_: ; @_ZN7rocprim17ROCPRIM_400000_NS6detail17trampoline_kernelINS0_14default_configENS1_38merge_sort_block_merge_config_selectorIlNS0_10empty_typeEEEZZNS1_27merge_sort_block_merge_implIS3_PlPS5_mZN2at6native12_GLOBAL__N_124unique_dim_cuda_templateItEESt5tupleIJNSA_6TensorESF_SF_EERKSF_lbbbEUlllE_EE10hipError_tT0_T1_T2_jT3_P12ihipStream_tbPNSt15iterator_traitsISL_E10value_typeEPNSR_ISM_E10value_typeEPSN_NS1_7vsmem_tEENKUlT_SL_SM_SN_E_clIS8_S8_S9_S9_EESK_S10_SL_SM_SN_EUlS10_E1_NS1_11comp_targetILNS1_3genE5ELNS1_11target_archE942ELNS1_3gpuE9ELNS1_3repE0EEENS1_36merge_oddeven_config_static_selectorELNS0_4arch9wavefront6targetE0EEEvSM_
; %bb.0:
	.section	.rodata,"a",@progbits
	.p2align	6, 0x0
	.amdhsa_kernel _ZN7rocprim17ROCPRIM_400000_NS6detail17trampoline_kernelINS0_14default_configENS1_38merge_sort_block_merge_config_selectorIlNS0_10empty_typeEEEZZNS1_27merge_sort_block_merge_implIS3_PlPS5_mZN2at6native12_GLOBAL__N_124unique_dim_cuda_templateItEESt5tupleIJNSA_6TensorESF_SF_EERKSF_lbbbEUlllE_EE10hipError_tT0_T1_T2_jT3_P12ihipStream_tbPNSt15iterator_traitsISL_E10value_typeEPNSR_ISM_E10value_typeEPSN_NS1_7vsmem_tEENKUlT_SL_SM_SN_E_clIS8_S8_S9_S9_EESK_S10_SL_SM_SN_EUlS10_E1_NS1_11comp_targetILNS1_3genE5ELNS1_11target_archE942ELNS1_3gpuE9ELNS1_3repE0EEENS1_36merge_oddeven_config_static_selectorELNS0_4arch9wavefront6targetE0EEEvSM_
		.amdhsa_group_segment_fixed_size 0
		.amdhsa_private_segment_fixed_size 0
		.amdhsa_kernarg_size 64
		.amdhsa_user_sgpr_count 2
		.amdhsa_user_sgpr_dispatch_ptr 0
		.amdhsa_user_sgpr_queue_ptr 0
		.amdhsa_user_sgpr_kernarg_segment_ptr 1
		.amdhsa_user_sgpr_dispatch_id 0
		.amdhsa_user_sgpr_kernarg_preload_length 0
		.amdhsa_user_sgpr_kernarg_preload_offset 0
		.amdhsa_user_sgpr_private_segment_size 0
		.amdhsa_wavefront_size32 1
		.amdhsa_uses_dynamic_stack 0
		.amdhsa_enable_private_segment 0
		.amdhsa_system_sgpr_workgroup_id_x 1
		.amdhsa_system_sgpr_workgroup_id_y 0
		.amdhsa_system_sgpr_workgroup_id_z 0
		.amdhsa_system_sgpr_workgroup_info 0
		.amdhsa_system_vgpr_workitem_id 0
		.amdhsa_next_free_vgpr 1
		.amdhsa_next_free_sgpr 1
		.amdhsa_named_barrier_count 0
		.amdhsa_reserve_vcc 0
		.amdhsa_float_round_mode_32 0
		.amdhsa_float_round_mode_16_64 0
		.amdhsa_float_denorm_mode_32 3
		.amdhsa_float_denorm_mode_16_64 3
		.amdhsa_fp16_overflow 0
		.amdhsa_memory_ordered 1
		.amdhsa_forward_progress 1
		.amdhsa_inst_pref_size 0
		.amdhsa_round_robin_scheduling 0
		.amdhsa_exception_fp_ieee_invalid_op 0
		.amdhsa_exception_fp_denorm_src 0
		.amdhsa_exception_fp_ieee_div_zero 0
		.amdhsa_exception_fp_ieee_overflow 0
		.amdhsa_exception_fp_ieee_underflow 0
		.amdhsa_exception_fp_ieee_inexact 0
		.amdhsa_exception_int_div_zero 0
	.end_amdhsa_kernel
	.section	.text._ZN7rocprim17ROCPRIM_400000_NS6detail17trampoline_kernelINS0_14default_configENS1_38merge_sort_block_merge_config_selectorIlNS0_10empty_typeEEEZZNS1_27merge_sort_block_merge_implIS3_PlPS5_mZN2at6native12_GLOBAL__N_124unique_dim_cuda_templateItEESt5tupleIJNSA_6TensorESF_SF_EERKSF_lbbbEUlllE_EE10hipError_tT0_T1_T2_jT3_P12ihipStream_tbPNSt15iterator_traitsISL_E10value_typeEPNSR_ISM_E10value_typeEPSN_NS1_7vsmem_tEENKUlT_SL_SM_SN_E_clIS8_S8_S9_S9_EESK_S10_SL_SM_SN_EUlS10_E1_NS1_11comp_targetILNS1_3genE5ELNS1_11target_archE942ELNS1_3gpuE9ELNS1_3repE0EEENS1_36merge_oddeven_config_static_selectorELNS0_4arch9wavefront6targetE0EEEvSM_,"axG",@progbits,_ZN7rocprim17ROCPRIM_400000_NS6detail17trampoline_kernelINS0_14default_configENS1_38merge_sort_block_merge_config_selectorIlNS0_10empty_typeEEEZZNS1_27merge_sort_block_merge_implIS3_PlPS5_mZN2at6native12_GLOBAL__N_124unique_dim_cuda_templateItEESt5tupleIJNSA_6TensorESF_SF_EERKSF_lbbbEUlllE_EE10hipError_tT0_T1_T2_jT3_P12ihipStream_tbPNSt15iterator_traitsISL_E10value_typeEPNSR_ISM_E10value_typeEPSN_NS1_7vsmem_tEENKUlT_SL_SM_SN_E_clIS8_S8_S9_S9_EESK_S10_SL_SM_SN_EUlS10_E1_NS1_11comp_targetILNS1_3genE5ELNS1_11target_archE942ELNS1_3gpuE9ELNS1_3repE0EEENS1_36merge_oddeven_config_static_selectorELNS0_4arch9wavefront6targetE0EEEvSM_,comdat
.Lfunc_end1388:
	.size	_ZN7rocprim17ROCPRIM_400000_NS6detail17trampoline_kernelINS0_14default_configENS1_38merge_sort_block_merge_config_selectorIlNS0_10empty_typeEEEZZNS1_27merge_sort_block_merge_implIS3_PlPS5_mZN2at6native12_GLOBAL__N_124unique_dim_cuda_templateItEESt5tupleIJNSA_6TensorESF_SF_EERKSF_lbbbEUlllE_EE10hipError_tT0_T1_T2_jT3_P12ihipStream_tbPNSt15iterator_traitsISL_E10value_typeEPNSR_ISM_E10value_typeEPSN_NS1_7vsmem_tEENKUlT_SL_SM_SN_E_clIS8_S8_S9_S9_EESK_S10_SL_SM_SN_EUlS10_E1_NS1_11comp_targetILNS1_3genE5ELNS1_11target_archE942ELNS1_3gpuE9ELNS1_3repE0EEENS1_36merge_oddeven_config_static_selectorELNS0_4arch9wavefront6targetE0EEEvSM_, .Lfunc_end1388-_ZN7rocprim17ROCPRIM_400000_NS6detail17trampoline_kernelINS0_14default_configENS1_38merge_sort_block_merge_config_selectorIlNS0_10empty_typeEEEZZNS1_27merge_sort_block_merge_implIS3_PlPS5_mZN2at6native12_GLOBAL__N_124unique_dim_cuda_templateItEESt5tupleIJNSA_6TensorESF_SF_EERKSF_lbbbEUlllE_EE10hipError_tT0_T1_T2_jT3_P12ihipStream_tbPNSt15iterator_traitsISL_E10value_typeEPNSR_ISM_E10value_typeEPSN_NS1_7vsmem_tEENKUlT_SL_SM_SN_E_clIS8_S8_S9_S9_EESK_S10_SL_SM_SN_EUlS10_E1_NS1_11comp_targetILNS1_3genE5ELNS1_11target_archE942ELNS1_3gpuE9ELNS1_3repE0EEENS1_36merge_oddeven_config_static_selectorELNS0_4arch9wavefront6targetE0EEEvSM_
                                        ; -- End function
	.set _ZN7rocprim17ROCPRIM_400000_NS6detail17trampoline_kernelINS0_14default_configENS1_38merge_sort_block_merge_config_selectorIlNS0_10empty_typeEEEZZNS1_27merge_sort_block_merge_implIS3_PlPS5_mZN2at6native12_GLOBAL__N_124unique_dim_cuda_templateItEESt5tupleIJNSA_6TensorESF_SF_EERKSF_lbbbEUlllE_EE10hipError_tT0_T1_T2_jT3_P12ihipStream_tbPNSt15iterator_traitsISL_E10value_typeEPNSR_ISM_E10value_typeEPSN_NS1_7vsmem_tEENKUlT_SL_SM_SN_E_clIS8_S8_S9_S9_EESK_S10_SL_SM_SN_EUlS10_E1_NS1_11comp_targetILNS1_3genE5ELNS1_11target_archE942ELNS1_3gpuE9ELNS1_3repE0EEENS1_36merge_oddeven_config_static_selectorELNS0_4arch9wavefront6targetE0EEEvSM_.num_vgpr, 0
	.set _ZN7rocprim17ROCPRIM_400000_NS6detail17trampoline_kernelINS0_14default_configENS1_38merge_sort_block_merge_config_selectorIlNS0_10empty_typeEEEZZNS1_27merge_sort_block_merge_implIS3_PlPS5_mZN2at6native12_GLOBAL__N_124unique_dim_cuda_templateItEESt5tupleIJNSA_6TensorESF_SF_EERKSF_lbbbEUlllE_EE10hipError_tT0_T1_T2_jT3_P12ihipStream_tbPNSt15iterator_traitsISL_E10value_typeEPNSR_ISM_E10value_typeEPSN_NS1_7vsmem_tEENKUlT_SL_SM_SN_E_clIS8_S8_S9_S9_EESK_S10_SL_SM_SN_EUlS10_E1_NS1_11comp_targetILNS1_3genE5ELNS1_11target_archE942ELNS1_3gpuE9ELNS1_3repE0EEENS1_36merge_oddeven_config_static_selectorELNS0_4arch9wavefront6targetE0EEEvSM_.num_agpr, 0
	.set _ZN7rocprim17ROCPRIM_400000_NS6detail17trampoline_kernelINS0_14default_configENS1_38merge_sort_block_merge_config_selectorIlNS0_10empty_typeEEEZZNS1_27merge_sort_block_merge_implIS3_PlPS5_mZN2at6native12_GLOBAL__N_124unique_dim_cuda_templateItEESt5tupleIJNSA_6TensorESF_SF_EERKSF_lbbbEUlllE_EE10hipError_tT0_T1_T2_jT3_P12ihipStream_tbPNSt15iterator_traitsISL_E10value_typeEPNSR_ISM_E10value_typeEPSN_NS1_7vsmem_tEENKUlT_SL_SM_SN_E_clIS8_S8_S9_S9_EESK_S10_SL_SM_SN_EUlS10_E1_NS1_11comp_targetILNS1_3genE5ELNS1_11target_archE942ELNS1_3gpuE9ELNS1_3repE0EEENS1_36merge_oddeven_config_static_selectorELNS0_4arch9wavefront6targetE0EEEvSM_.numbered_sgpr, 0
	.set _ZN7rocprim17ROCPRIM_400000_NS6detail17trampoline_kernelINS0_14default_configENS1_38merge_sort_block_merge_config_selectorIlNS0_10empty_typeEEEZZNS1_27merge_sort_block_merge_implIS3_PlPS5_mZN2at6native12_GLOBAL__N_124unique_dim_cuda_templateItEESt5tupleIJNSA_6TensorESF_SF_EERKSF_lbbbEUlllE_EE10hipError_tT0_T1_T2_jT3_P12ihipStream_tbPNSt15iterator_traitsISL_E10value_typeEPNSR_ISM_E10value_typeEPSN_NS1_7vsmem_tEENKUlT_SL_SM_SN_E_clIS8_S8_S9_S9_EESK_S10_SL_SM_SN_EUlS10_E1_NS1_11comp_targetILNS1_3genE5ELNS1_11target_archE942ELNS1_3gpuE9ELNS1_3repE0EEENS1_36merge_oddeven_config_static_selectorELNS0_4arch9wavefront6targetE0EEEvSM_.num_named_barrier, 0
	.set _ZN7rocprim17ROCPRIM_400000_NS6detail17trampoline_kernelINS0_14default_configENS1_38merge_sort_block_merge_config_selectorIlNS0_10empty_typeEEEZZNS1_27merge_sort_block_merge_implIS3_PlPS5_mZN2at6native12_GLOBAL__N_124unique_dim_cuda_templateItEESt5tupleIJNSA_6TensorESF_SF_EERKSF_lbbbEUlllE_EE10hipError_tT0_T1_T2_jT3_P12ihipStream_tbPNSt15iterator_traitsISL_E10value_typeEPNSR_ISM_E10value_typeEPSN_NS1_7vsmem_tEENKUlT_SL_SM_SN_E_clIS8_S8_S9_S9_EESK_S10_SL_SM_SN_EUlS10_E1_NS1_11comp_targetILNS1_3genE5ELNS1_11target_archE942ELNS1_3gpuE9ELNS1_3repE0EEENS1_36merge_oddeven_config_static_selectorELNS0_4arch9wavefront6targetE0EEEvSM_.private_seg_size, 0
	.set _ZN7rocprim17ROCPRIM_400000_NS6detail17trampoline_kernelINS0_14default_configENS1_38merge_sort_block_merge_config_selectorIlNS0_10empty_typeEEEZZNS1_27merge_sort_block_merge_implIS3_PlPS5_mZN2at6native12_GLOBAL__N_124unique_dim_cuda_templateItEESt5tupleIJNSA_6TensorESF_SF_EERKSF_lbbbEUlllE_EE10hipError_tT0_T1_T2_jT3_P12ihipStream_tbPNSt15iterator_traitsISL_E10value_typeEPNSR_ISM_E10value_typeEPSN_NS1_7vsmem_tEENKUlT_SL_SM_SN_E_clIS8_S8_S9_S9_EESK_S10_SL_SM_SN_EUlS10_E1_NS1_11comp_targetILNS1_3genE5ELNS1_11target_archE942ELNS1_3gpuE9ELNS1_3repE0EEENS1_36merge_oddeven_config_static_selectorELNS0_4arch9wavefront6targetE0EEEvSM_.uses_vcc, 0
	.set _ZN7rocprim17ROCPRIM_400000_NS6detail17trampoline_kernelINS0_14default_configENS1_38merge_sort_block_merge_config_selectorIlNS0_10empty_typeEEEZZNS1_27merge_sort_block_merge_implIS3_PlPS5_mZN2at6native12_GLOBAL__N_124unique_dim_cuda_templateItEESt5tupleIJNSA_6TensorESF_SF_EERKSF_lbbbEUlllE_EE10hipError_tT0_T1_T2_jT3_P12ihipStream_tbPNSt15iterator_traitsISL_E10value_typeEPNSR_ISM_E10value_typeEPSN_NS1_7vsmem_tEENKUlT_SL_SM_SN_E_clIS8_S8_S9_S9_EESK_S10_SL_SM_SN_EUlS10_E1_NS1_11comp_targetILNS1_3genE5ELNS1_11target_archE942ELNS1_3gpuE9ELNS1_3repE0EEENS1_36merge_oddeven_config_static_selectorELNS0_4arch9wavefront6targetE0EEEvSM_.uses_flat_scratch, 0
	.set _ZN7rocprim17ROCPRIM_400000_NS6detail17trampoline_kernelINS0_14default_configENS1_38merge_sort_block_merge_config_selectorIlNS0_10empty_typeEEEZZNS1_27merge_sort_block_merge_implIS3_PlPS5_mZN2at6native12_GLOBAL__N_124unique_dim_cuda_templateItEESt5tupleIJNSA_6TensorESF_SF_EERKSF_lbbbEUlllE_EE10hipError_tT0_T1_T2_jT3_P12ihipStream_tbPNSt15iterator_traitsISL_E10value_typeEPNSR_ISM_E10value_typeEPSN_NS1_7vsmem_tEENKUlT_SL_SM_SN_E_clIS8_S8_S9_S9_EESK_S10_SL_SM_SN_EUlS10_E1_NS1_11comp_targetILNS1_3genE5ELNS1_11target_archE942ELNS1_3gpuE9ELNS1_3repE0EEENS1_36merge_oddeven_config_static_selectorELNS0_4arch9wavefront6targetE0EEEvSM_.has_dyn_sized_stack, 0
	.set _ZN7rocprim17ROCPRIM_400000_NS6detail17trampoline_kernelINS0_14default_configENS1_38merge_sort_block_merge_config_selectorIlNS0_10empty_typeEEEZZNS1_27merge_sort_block_merge_implIS3_PlPS5_mZN2at6native12_GLOBAL__N_124unique_dim_cuda_templateItEESt5tupleIJNSA_6TensorESF_SF_EERKSF_lbbbEUlllE_EE10hipError_tT0_T1_T2_jT3_P12ihipStream_tbPNSt15iterator_traitsISL_E10value_typeEPNSR_ISM_E10value_typeEPSN_NS1_7vsmem_tEENKUlT_SL_SM_SN_E_clIS8_S8_S9_S9_EESK_S10_SL_SM_SN_EUlS10_E1_NS1_11comp_targetILNS1_3genE5ELNS1_11target_archE942ELNS1_3gpuE9ELNS1_3repE0EEENS1_36merge_oddeven_config_static_selectorELNS0_4arch9wavefront6targetE0EEEvSM_.has_recursion, 0
	.set _ZN7rocprim17ROCPRIM_400000_NS6detail17trampoline_kernelINS0_14default_configENS1_38merge_sort_block_merge_config_selectorIlNS0_10empty_typeEEEZZNS1_27merge_sort_block_merge_implIS3_PlPS5_mZN2at6native12_GLOBAL__N_124unique_dim_cuda_templateItEESt5tupleIJNSA_6TensorESF_SF_EERKSF_lbbbEUlllE_EE10hipError_tT0_T1_T2_jT3_P12ihipStream_tbPNSt15iterator_traitsISL_E10value_typeEPNSR_ISM_E10value_typeEPSN_NS1_7vsmem_tEENKUlT_SL_SM_SN_E_clIS8_S8_S9_S9_EESK_S10_SL_SM_SN_EUlS10_E1_NS1_11comp_targetILNS1_3genE5ELNS1_11target_archE942ELNS1_3gpuE9ELNS1_3repE0EEENS1_36merge_oddeven_config_static_selectorELNS0_4arch9wavefront6targetE0EEEvSM_.has_indirect_call, 0
	.section	.AMDGPU.csdata,"",@progbits
; Kernel info:
; codeLenInByte = 0
; TotalNumSgprs: 0
; NumVgprs: 0
; ScratchSize: 0
; MemoryBound: 0
; FloatMode: 240
; IeeeMode: 1
; LDSByteSize: 0 bytes/workgroup (compile time only)
; SGPRBlocks: 0
; VGPRBlocks: 0
; NumSGPRsForWavesPerEU: 1
; NumVGPRsForWavesPerEU: 1
; NamedBarCnt: 0
; Occupancy: 16
; WaveLimiterHint : 0
; COMPUTE_PGM_RSRC2:SCRATCH_EN: 0
; COMPUTE_PGM_RSRC2:USER_SGPR: 2
; COMPUTE_PGM_RSRC2:TRAP_HANDLER: 0
; COMPUTE_PGM_RSRC2:TGID_X_EN: 1
; COMPUTE_PGM_RSRC2:TGID_Y_EN: 0
; COMPUTE_PGM_RSRC2:TGID_Z_EN: 0
; COMPUTE_PGM_RSRC2:TIDIG_COMP_CNT: 0
	.section	.text._ZN7rocprim17ROCPRIM_400000_NS6detail17trampoline_kernelINS0_14default_configENS1_38merge_sort_block_merge_config_selectorIlNS0_10empty_typeEEEZZNS1_27merge_sort_block_merge_implIS3_PlPS5_mZN2at6native12_GLOBAL__N_124unique_dim_cuda_templateItEESt5tupleIJNSA_6TensorESF_SF_EERKSF_lbbbEUlllE_EE10hipError_tT0_T1_T2_jT3_P12ihipStream_tbPNSt15iterator_traitsISL_E10value_typeEPNSR_ISM_E10value_typeEPSN_NS1_7vsmem_tEENKUlT_SL_SM_SN_E_clIS8_S8_S9_S9_EESK_S10_SL_SM_SN_EUlS10_E1_NS1_11comp_targetILNS1_3genE4ELNS1_11target_archE910ELNS1_3gpuE8ELNS1_3repE0EEENS1_36merge_oddeven_config_static_selectorELNS0_4arch9wavefront6targetE0EEEvSM_,"axG",@progbits,_ZN7rocprim17ROCPRIM_400000_NS6detail17trampoline_kernelINS0_14default_configENS1_38merge_sort_block_merge_config_selectorIlNS0_10empty_typeEEEZZNS1_27merge_sort_block_merge_implIS3_PlPS5_mZN2at6native12_GLOBAL__N_124unique_dim_cuda_templateItEESt5tupleIJNSA_6TensorESF_SF_EERKSF_lbbbEUlllE_EE10hipError_tT0_T1_T2_jT3_P12ihipStream_tbPNSt15iterator_traitsISL_E10value_typeEPNSR_ISM_E10value_typeEPSN_NS1_7vsmem_tEENKUlT_SL_SM_SN_E_clIS8_S8_S9_S9_EESK_S10_SL_SM_SN_EUlS10_E1_NS1_11comp_targetILNS1_3genE4ELNS1_11target_archE910ELNS1_3gpuE8ELNS1_3repE0EEENS1_36merge_oddeven_config_static_selectorELNS0_4arch9wavefront6targetE0EEEvSM_,comdat
	.globl	_ZN7rocprim17ROCPRIM_400000_NS6detail17trampoline_kernelINS0_14default_configENS1_38merge_sort_block_merge_config_selectorIlNS0_10empty_typeEEEZZNS1_27merge_sort_block_merge_implIS3_PlPS5_mZN2at6native12_GLOBAL__N_124unique_dim_cuda_templateItEESt5tupleIJNSA_6TensorESF_SF_EERKSF_lbbbEUlllE_EE10hipError_tT0_T1_T2_jT3_P12ihipStream_tbPNSt15iterator_traitsISL_E10value_typeEPNSR_ISM_E10value_typeEPSN_NS1_7vsmem_tEENKUlT_SL_SM_SN_E_clIS8_S8_S9_S9_EESK_S10_SL_SM_SN_EUlS10_E1_NS1_11comp_targetILNS1_3genE4ELNS1_11target_archE910ELNS1_3gpuE8ELNS1_3repE0EEENS1_36merge_oddeven_config_static_selectorELNS0_4arch9wavefront6targetE0EEEvSM_ ; -- Begin function _ZN7rocprim17ROCPRIM_400000_NS6detail17trampoline_kernelINS0_14default_configENS1_38merge_sort_block_merge_config_selectorIlNS0_10empty_typeEEEZZNS1_27merge_sort_block_merge_implIS3_PlPS5_mZN2at6native12_GLOBAL__N_124unique_dim_cuda_templateItEESt5tupleIJNSA_6TensorESF_SF_EERKSF_lbbbEUlllE_EE10hipError_tT0_T1_T2_jT3_P12ihipStream_tbPNSt15iterator_traitsISL_E10value_typeEPNSR_ISM_E10value_typeEPSN_NS1_7vsmem_tEENKUlT_SL_SM_SN_E_clIS8_S8_S9_S9_EESK_S10_SL_SM_SN_EUlS10_E1_NS1_11comp_targetILNS1_3genE4ELNS1_11target_archE910ELNS1_3gpuE8ELNS1_3repE0EEENS1_36merge_oddeven_config_static_selectorELNS0_4arch9wavefront6targetE0EEEvSM_
	.p2align	8
	.type	_ZN7rocprim17ROCPRIM_400000_NS6detail17trampoline_kernelINS0_14default_configENS1_38merge_sort_block_merge_config_selectorIlNS0_10empty_typeEEEZZNS1_27merge_sort_block_merge_implIS3_PlPS5_mZN2at6native12_GLOBAL__N_124unique_dim_cuda_templateItEESt5tupleIJNSA_6TensorESF_SF_EERKSF_lbbbEUlllE_EE10hipError_tT0_T1_T2_jT3_P12ihipStream_tbPNSt15iterator_traitsISL_E10value_typeEPNSR_ISM_E10value_typeEPSN_NS1_7vsmem_tEENKUlT_SL_SM_SN_E_clIS8_S8_S9_S9_EESK_S10_SL_SM_SN_EUlS10_E1_NS1_11comp_targetILNS1_3genE4ELNS1_11target_archE910ELNS1_3gpuE8ELNS1_3repE0EEENS1_36merge_oddeven_config_static_selectorELNS0_4arch9wavefront6targetE0EEEvSM_,@function
_ZN7rocprim17ROCPRIM_400000_NS6detail17trampoline_kernelINS0_14default_configENS1_38merge_sort_block_merge_config_selectorIlNS0_10empty_typeEEEZZNS1_27merge_sort_block_merge_implIS3_PlPS5_mZN2at6native12_GLOBAL__N_124unique_dim_cuda_templateItEESt5tupleIJNSA_6TensorESF_SF_EERKSF_lbbbEUlllE_EE10hipError_tT0_T1_T2_jT3_P12ihipStream_tbPNSt15iterator_traitsISL_E10value_typeEPNSR_ISM_E10value_typeEPSN_NS1_7vsmem_tEENKUlT_SL_SM_SN_E_clIS8_S8_S9_S9_EESK_S10_SL_SM_SN_EUlS10_E1_NS1_11comp_targetILNS1_3genE4ELNS1_11target_archE910ELNS1_3gpuE8ELNS1_3repE0EEENS1_36merge_oddeven_config_static_selectorELNS0_4arch9wavefront6targetE0EEEvSM_: ; @_ZN7rocprim17ROCPRIM_400000_NS6detail17trampoline_kernelINS0_14default_configENS1_38merge_sort_block_merge_config_selectorIlNS0_10empty_typeEEEZZNS1_27merge_sort_block_merge_implIS3_PlPS5_mZN2at6native12_GLOBAL__N_124unique_dim_cuda_templateItEESt5tupleIJNSA_6TensorESF_SF_EERKSF_lbbbEUlllE_EE10hipError_tT0_T1_T2_jT3_P12ihipStream_tbPNSt15iterator_traitsISL_E10value_typeEPNSR_ISM_E10value_typeEPSN_NS1_7vsmem_tEENKUlT_SL_SM_SN_E_clIS8_S8_S9_S9_EESK_S10_SL_SM_SN_EUlS10_E1_NS1_11comp_targetILNS1_3genE4ELNS1_11target_archE910ELNS1_3gpuE8ELNS1_3repE0EEENS1_36merge_oddeven_config_static_selectorELNS0_4arch9wavefront6targetE0EEEvSM_
; %bb.0:
	.section	.rodata,"a",@progbits
	.p2align	6, 0x0
	.amdhsa_kernel _ZN7rocprim17ROCPRIM_400000_NS6detail17trampoline_kernelINS0_14default_configENS1_38merge_sort_block_merge_config_selectorIlNS0_10empty_typeEEEZZNS1_27merge_sort_block_merge_implIS3_PlPS5_mZN2at6native12_GLOBAL__N_124unique_dim_cuda_templateItEESt5tupleIJNSA_6TensorESF_SF_EERKSF_lbbbEUlllE_EE10hipError_tT0_T1_T2_jT3_P12ihipStream_tbPNSt15iterator_traitsISL_E10value_typeEPNSR_ISM_E10value_typeEPSN_NS1_7vsmem_tEENKUlT_SL_SM_SN_E_clIS8_S8_S9_S9_EESK_S10_SL_SM_SN_EUlS10_E1_NS1_11comp_targetILNS1_3genE4ELNS1_11target_archE910ELNS1_3gpuE8ELNS1_3repE0EEENS1_36merge_oddeven_config_static_selectorELNS0_4arch9wavefront6targetE0EEEvSM_
		.amdhsa_group_segment_fixed_size 0
		.amdhsa_private_segment_fixed_size 0
		.amdhsa_kernarg_size 64
		.amdhsa_user_sgpr_count 2
		.amdhsa_user_sgpr_dispatch_ptr 0
		.amdhsa_user_sgpr_queue_ptr 0
		.amdhsa_user_sgpr_kernarg_segment_ptr 1
		.amdhsa_user_sgpr_dispatch_id 0
		.amdhsa_user_sgpr_kernarg_preload_length 0
		.amdhsa_user_sgpr_kernarg_preload_offset 0
		.amdhsa_user_sgpr_private_segment_size 0
		.amdhsa_wavefront_size32 1
		.amdhsa_uses_dynamic_stack 0
		.amdhsa_enable_private_segment 0
		.amdhsa_system_sgpr_workgroup_id_x 1
		.amdhsa_system_sgpr_workgroup_id_y 0
		.amdhsa_system_sgpr_workgroup_id_z 0
		.amdhsa_system_sgpr_workgroup_info 0
		.amdhsa_system_vgpr_workitem_id 0
		.amdhsa_next_free_vgpr 1
		.amdhsa_next_free_sgpr 1
		.amdhsa_named_barrier_count 0
		.amdhsa_reserve_vcc 0
		.amdhsa_float_round_mode_32 0
		.amdhsa_float_round_mode_16_64 0
		.amdhsa_float_denorm_mode_32 3
		.amdhsa_float_denorm_mode_16_64 3
		.amdhsa_fp16_overflow 0
		.amdhsa_memory_ordered 1
		.amdhsa_forward_progress 1
		.amdhsa_inst_pref_size 0
		.amdhsa_round_robin_scheduling 0
		.amdhsa_exception_fp_ieee_invalid_op 0
		.amdhsa_exception_fp_denorm_src 0
		.amdhsa_exception_fp_ieee_div_zero 0
		.amdhsa_exception_fp_ieee_overflow 0
		.amdhsa_exception_fp_ieee_underflow 0
		.amdhsa_exception_fp_ieee_inexact 0
		.amdhsa_exception_int_div_zero 0
	.end_amdhsa_kernel
	.section	.text._ZN7rocprim17ROCPRIM_400000_NS6detail17trampoline_kernelINS0_14default_configENS1_38merge_sort_block_merge_config_selectorIlNS0_10empty_typeEEEZZNS1_27merge_sort_block_merge_implIS3_PlPS5_mZN2at6native12_GLOBAL__N_124unique_dim_cuda_templateItEESt5tupleIJNSA_6TensorESF_SF_EERKSF_lbbbEUlllE_EE10hipError_tT0_T1_T2_jT3_P12ihipStream_tbPNSt15iterator_traitsISL_E10value_typeEPNSR_ISM_E10value_typeEPSN_NS1_7vsmem_tEENKUlT_SL_SM_SN_E_clIS8_S8_S9_S9_EESK_S10_SL_SM_SN_EUlS10_E1_NS1_11comp_targetILNS1_3genE4ELNS1_11target_archE910ELNS1_3gpuE8ELNS1_3repE0EEENS1_36merge_oddeven_config_static_selectorELNS0_4arch9wavefront6targetE0EEEvSM_,"axG",@progbits,_ZN7rocprim17ROCPRIM_400000_NS6detail17trampoline_kernelINS0_14default_configENS1_38merge_sort_block_merge_config_selectorIlNS0_10empty_typeEEEZZNS1_27merge_sort_block_merge_implIS3_PlPS5_mZN2at6native12_GLOBAL__N_124unique_dim_cuda_templateItEESt5tupleIJNSA_6TensorESF_SF_EERKSF_lbbbEUlllE_EE10hipError_tT0_T1_T2_jT3_P12ihipStream_tbPNSt15iterator_traitsISL_E10value_typeEPNSR_ISM_E10value_typeEPSN_NS1_7vsmem_tEENKUlT_SL_SM_SN_E_clIS8_S8_S9_S9_EESK_S10_SL_SM_SN_EUlS10_E1_NS1_11comp_targetILNS1_3genE4ELNS1_11target_archE910ELNS1_3gpuE8ELNS1_3repE0EEENS1_36merge_oddeven_config_static_selectorELNS0_4arch9wavefront6targetE0EEEvSM_,comdat
.Lfunc_end1389:
	.size	_ZN7rocprim17ROCPRIM_400000_NS6detail17trampoline_kernelINS0_14default_configENS1_38merge_sort_block_merge_config_selectorIlNS0_10empty_typeEEEZZNS1_27merge_sort_block_merge_implIS3_PlPS5_mZN2at6native12_GLOBAL__N_124unique_dim_cuda_templateItEESt5tupleIJNSA_6TensorESF_SF_EERKSF_lbbbEUlllE_EE10hipError_tT0_T1_T2_jT3_P12ihipStream_tbPNSt15iterator_traitsISL_E10value_typeEPNSR_ISM_E10value_typeEPSN_NS1_7vsmem_tEENKUlT_SL_SM_SN_E_clIS8_S8_S9_S9_EESK_S10_SL_SM_SN_EUlS10_E1_NS1_11comp_targetILNS1_3genE4ELNS1_11target_archE910ELNS1_3gpuE8ELNS1_3repE0EEENS1_36merge_oddeven_config_static_selectorELNS0_4arch9wavefront6targetE0EEEvSM_, .Lfunc_end1389-_ZN7rocprim17ROCPRIM_400000_NS6detail17trampoline_kernelINS0_14default_configENS1_38merge_sort_block_merge_config_selectorIlNS0_10empty_typeEEEZZNS1_27merge_sort_block_merge_implIS3_PlPS5_mZN2at6native12_GLOBAL__N_124unique_dim_cuda_templateItEESt5tupleIJNSA_6TensorESF_SF_EERKSF_lbbbEUlllE_EE10hipError_tT0_T1_T2_jT3_P12ihipStream_tbPNSt15iterator_traitsISL_E10value_typeEPNSR_ISM_E10value_typeEPSN_NS1_7vsmem_tEENKUlT_SL_SM_SN_E_clIS8_S8_S9_S9_EESK_S10_SL_SM_SN_EUlS10_E1_NS1_11comp_targetILNS1_3genE4ELNS1_11target_archE910ELNS1_3gpuE8ELNS1_3repE0EEENS1_36merge_oddeven_config_static_selectorELNS0_4arch9wavefront6targetE0EEEvSM_
                                        ; -- End function
	.set _ZN7rocprim17ROCPRIM_400000_NS6detail17trampoline_kernelINS0_14default_configENS1_38merge_sort_block_merge_config_selectorIlNS0_10empty_typeEEEZZNS1_27merge_sort_block_merge_implIS3_PlPS5_mZN2at6native12_GLOBAL__N_124unique_dim_cuda_templateItEESt5tupleIJNSA_6TensorESF_SF_EERKSF_lbbbEUlllE_EE10hipError_tT0_T1_T2_jT3_P12ihipStream_tbPNSt15iterator_traitsISL_E10value_typeEPNSR_ISM_E10value_typeEPSN_NS1_7vsmem_tEENKUlT_SL_SM_SN_E_clIS8_S8_S9_S9_EESK_S10_SL_SM_SN_EUlS10_E1_NS1_11comp_targetILNS1_3genE4ELNS1_11target_archE910ELNS1_3gpuE8ELNS1_3repE0EEENS1_36merge_oddeven_config_static_selectorELNS0_4arch9wavefront6targetE0EEEvSM_.num_vgpr, 0
	.set _ZN7rocprim17ROCPRIM_400000_NS6detail17trampoline_kernelINS0_14default_configENS1_38merge_sort_block_merge_config_selectorIlNS0_10empty_typeEEEZZNS1_27merge_sort_block_merge_implIS3_PlPS5_mZN2at6native12_GLOBAL__N_124unique_dim_cuda_templateItEESt5tupleIJNSA_6TensorESF_SF_EERKSF_lbbbEUlllE_EE10hipError_tT0_T1_T2_jT3_P12ihipStream_tbPNSt15iterator_traitsISL_E10value_typeEPNSR_ISM_E10value_typeEPSN_NS1_7vsmem_tEENKUlT_SL_SM_SN_E_clIS8_S8_S9_S9_EESK_S10_SL_SM_SN_EUlS10_E1_NS1_11comp_targetILNS1_3genE4ELNS1_11target_archE910ELNS1_3gpuE8ELNS1_3repE0EEENS1_36merge_oddeven_config_static_selectorELNS0_4arch9wavefront6targetE0EEEvSM_.num_agpr, 0
	.set _ZN7rocprim17ROCPRIM_400000_NS6detail17trampoline_kernelINS0_14default_configENS1_38merge_sort_block_merge_config_selectorIlNS0_10empty_typeEEEZZNS1_27merge_sort_block_merge_implIS3_PlPS5_mZN2at6native12_GLOBAL__N_124unique_dim_cuda_templateItEESt5tupleIJNSA_6TensorESF_SF_EERKSF_lbbbEUlllE_EE10hipError_tT0_T1_T2_jT3_P12ihipStream_tbPNSt15iterator_traitsISL_E10value_typeEPNSR_ISM_E10value_typeEPSN_NS1_7vsmem_tEENKUlT_SL_SM_SN_E_clIS8_S8_S9_S9_EESK_S10_SL_SM_SN_EUlS10_E1_NS1_11comp_targetILNS1_3genE4ELNS1_11target_archE910ELNS1_3gpuE8ELNS1_3repE0EEENS1_36merge_oddeven_config_static_selectorELNS0_4arch9wavefront6targetE0EEEvSM_.numbered_sgpr, 0
	.set _ZN7rocprim17ROCPRIM_400000_NS6detail17trampoline_kernelINS0_14default_configENS1_38merge_sort_block_merge_config_selectorIlNS0_10empty_typeEEEZZNS1_27merge_sort_block_merge_implIS3_PlPS5_mZN2at6native12_GLOBAL__N_124unique_dim_cuda_templateItEESt5tupleIJNSA_6TensorESF_SF_EERKSF_lbbbEUlllE_EE10hipError_tT0_T1_T2_jT3_P12ihipStream_tbPNSt15iterator_traitsISL_E10value_typeEPNSR_ISM_E10value_typeEPSN_NS1_7vsmem_tEENKUlT_SL_SM_SN_E_clIS8_S8_S9_S9_EESK_S10_SL_SM_SN_EUlS10_E1_NS1_11comp_targetILNS1_3genE4ELNS1_11target_archE910ELNS1_3gpuE8ELNS1_3repE0EEENS1_36merge_oddeven_config_static_selectorELNS0_4arch9wavefront6targetE0EEEvSM_.num_named_barrier, 0
	.set _ZN7rocprim17ROCPRIM_400000_NS6detail17trampoline_kernelINS0_14default_configENS1_38merge_sort_block_merge_config_selectorIlNS0_10empty_typeEEEZZNS1_27merge_sort_block_merge_implIS3_PlPS5_mZN2at6native12_GLOBAL__N_124unique_dim_cuda_templateItEESt5tupleIJNSA_6TensorESF_SF_EERKSF_lbbbEUlllE_EE10hipError_tT0_T1_T2_jT3_P12ihipStream_tbPNSt15iterator_traitsISL_E10value_typeEPNSR_ISM_E10value_typeEPSN_NS1_7vsmem_tEENKUlT_SL_SM_SN_E_clIS8_S8_S9_S9_EESK_S10_SL_SM_SN_EUlS10_E1_NS1_11comp_targetILNS1_3genE4ELNS1_11target_archE910ELNS1_3gpuE8ELNS1_3repE0EEENS1_36merge_oddeven_config_static_selectorELNS0_4arch9wavefront6targetE0EEEvSM_.private_seg_size, 0
	.set _ZN7rocprim17ROCPRIM_400000_NS6detail17trampoline_kernelINS0_14default_configENS1_38merge_sort_block_merge_config_selectorIlNS0_10empty_typeEEEZZNS1_27merge_sort_block_merge_implIS3_PlPS5_mZN2at6native12_GLOBAL__N_124unique_dim_cuda_templateItEESt5tupleIJNSA_6TensorESF_SF_EERKSF_lbbbEUlllE_EE10hipError_tT0_T1_T2_jT3_P12ihipStream_tbPNSt15iterator_traitsISL_E10value_typeEPNSR_ISM_E10value_typeEPSN_NS1_7vsmem_tEENKUlT_SL_SM_SN_E_clIS8_S8_S9_S9_EESK_S10_SL_SM_SN_EUlS10_E1_NS1_11comp_targetILNS1_3genE4ELNS1_11target_archE910ELNS1_3gpuE8ELNS1_3repE0EEENS1_36merge_oddeven_config_static_selectorELNS0_4arch9wavefront6targetE0EEEvSM_.uses_vcc, 0
	.set _ZN7rocprim17ROCPRIM_400000_NS6detail17trampoline_kernelINS0_14default_configENS1_38merge_sort_block_merge_config_selectorIlNS0_10empty_typeEEEZZNS1_27merge_sort_block_merge_implIS3_PlPS5_mZN2at6native12_GLOBAL__N_124unique_dim_cuda_templateItEESt5tupleIJNSA_6TensorESF_SF_EERKSF_lbbbEUlllE_EE10hipError_tT0_T1_T2_jT3_P12ihipStream_tbPNSt15iterator_traitsISL_E10value_typeEPNSR_ISM_E10value_typeEPSN_NS1_7vsmem_tEENKUlT_SL_SM_SN_E_clIS8_S8_S9_S9_EESK_S10_SL_SM_SN_EUlS10_E1_NS1_11comp_targetILNS1_3genE4ELNS1_11target_archE910ELNS1_3gpuE8ELNS1_3repE0EEENS1_36merge_oddeven_config_static_selectorELNS0_4arch9wavefront6targetE0EEEvSM_.uses_flat_scratch, 0
	.set _ZN7rocprim17ROCPRIM_400000_NS6detail17trampoline_kernelINS0_14default_configENS1_38merge_sort_block_merge_config_selectorIlNS0_10empty_typeEEEZZNS1_27merge_sort_block_merge_implIS3_PlPS5_mZN2at6native12_GLOBAL__N_124unique_dim_cuda_templateItEESt5tupleIJNSA_6TensorESF_SF_EERKSF_lbbbEUlllE_EE10hipError_tT0_T1_T2_jT3_P12ihipStream_tbPNSt15iterator_traitsISL_E10value_typeEPNSR_ISM_E10value_typeEPSN_NS1_7vsmem_tEENKUlT_SL_SM_SN_E_clIS8_S8_S9_S9_EESK_S10_SL_SM_SN_EUlS10_E1_NS1_11comp_targetILNS1_3genE4ELNS1_11target_archE910ELNS1_3gpuE8ELNS1_3repE0EEENS1_36merge_oddeven_config_static_selectorELNS0_4arch9wavefront6targetE0EEEvSM_.has_dyn_sized_stack, 0
	.set _ZN7rocprim17ROCPRIM_400000_NS6detail17trampoline_kernelINS0_14default_configENS1_38merge_sort_block_merge_config_selectorIlNS0_10empty_typeEEEZZNS1_27merge_sort_block_merge_implIS3_PlPS5_mZN2at6native12_GLOBAL__N_124unique_dim_cuda_templateItEESt5tupleIJNSA_6TensorESF_SF_EERKSF_lbbbEUlllE_EE10hipError_tT0_T1_T2_jT3_P12ihipStream_tbPNSt15iterator_traitsISL_E10value_typeEPNSR_ISM_E10value_typeEPSN_NS1_7vsmem_tEENKUlT_SL_SM_SN_E_clIS8_S8_S9_S9_EESK_S10_SL_SM_SN_EUlS10_E1_NS1_11comp_targetILNS1_3genE4ELNS1_11target_archE910ELNS1_3gpuE8ELNS1_3repE0EEENS1_36merge_oddeven_config_static_selectorELNS0_4arch9wavefront6targetE0EEEvSM_.has_recursion, 0
	.set _ZN7rocprim17ROCPRIM_400000_NS6detail17trampoline_kernelINS0_14default_configENS1_38merge_sort_block_merge_config_selectorIlNS0_10empty_typeEEEZZNS1_27merge_sort_block_merge_implIS3_PlPS5_mZN2at6native12_GLOBAL__N_124unique_dim_cuda_templateItEESt5tupleIJNSA_6TensorESF_SF_EERKSF_lbbbEUlllE_EE10hipError_tT0_T1_T2_jT3_P12ihipStream_tbPNSt15iterator_traitsISL_E10value_typeEPNSR_ISM_E10value_typeEPSN_NS1_7vsmem_tEENKUlT_SL_SM_SN_E_clIS8_S8_S9_S9_EESK_S10_SL_SM_SN_EUlS10_E1_NS1_11comp_targetILNS1_3genE4ELNS1_11target_archE910ELNS1_3gpuE8ELNS1_3repE0EEENS1_36merge_oddeven_config_static_selectorELNS0_4arch9wavefront6targetE0EEEvSM_.has_indirect_call, 0
	.section	.AMDGPU.csdata,"",@progbits
; Kernel info:
; codeLenInByte = 0
; TotalNumSgprs: 0
; NumVgprs: 0
; ScratchSize: 0
; MemoryBound: 0
; FloatMode: 240
; IeeeMode: 1
; LDSByteSize: 0 bytes/workgroup (compile time only)
; SGPRBlocks: 0
; VGPRBlocks: 0
; NumSGPRsForWavesPerEU: 1
; NumVGPRsForWavesPerEU: 1
; NamedBarCnt: 0
; Occupancy: 16
; WaveLimiterHint : 0
; COMPUTE_PGM_RSRC2:SCRATCH_EN: 0
; COMPUTE_PGM_RSRC2:USER_SGPR: 2
; COMPUTE_PGM_RSRC2:TRAP_HANDLER: 0
; COMPUTE_PGM_RSRC2:TGID_X_EN: 1
; COMPUTE_PGM_RSRC2:TGID_Y_EN: 0
; COMPUTE_PGM_RSRC2:TGID_Z_EN: 0
; COMPUTE_PGM_RSRC2:TIDIG_COMP_CNT: 0
	.section	.text._ZN7rocprim17ROCPRIM_400000_NS6detail17trampoline_kernelINS0_14default_configENS1_38merge_sort_block_merge_config_selectorIlNS0_10empty_typeEEEZZNS1_27merge_sort_block_merge_implIS3_PlPS5_mZN2at6native12_GLOBAL__N_124unique_dim_cuda_templateItEESt5tupleIJNSA_6TensorESF_SF_EERKSF_lbbbEUlllE_EE10hipError_tT0_T1_T2_jT3_P12ihipStream_tbPNSt15iterator_traitsISL_E10value_typeEPNSR_ISM_E10value_typeEPSN_NS1_7vsmem_tEENKUlT_SL_SM_SN_E_clIS8_S8_S9_S9_EESK_S10_SL_SM_SN_EUlS10_E1_NS1_11comp_targetILNS1_3genE3ELNS1_11target_archE908ELNS1_3gpuE7ELNS1_3repE0EEENS1_36merge_oddeven_config_static_selectorELNS0_4arch9wavefront6targetE0EEEvSM_,"axG",@progbits,_ZN7rocprim17ROCPRIM_400000_NS6detail17trampoline_kernelINS0_14default_configENS1_38merge_sort_block_merge_config_selectorIlNS0_10empty_typeEEEZZNS1_27merge_sort_block_merge_implIS3_PlPS5_mZN2at6native12_GLOBAL__N_124unique_dim_cuda_templateItEESt5tupleIJNSA_6TensorESF_SF_EERKSF_lbbbEUlllE_EE10hipError_tT0_T1_T2_jT3_P12ihipStream_tbPNSt15iterator_traitsISL_E10value_typeEPNSR_ISM_E10value_typeEPSN_NS1_7vsmem_tEENKUlT_SL_SM_SN_E_clIS8_S8_S9_S9_EESK_S10_SL_SM_SN_EUlS10_E1_NS1_11comp_targetILNS1_3genE3ELNS1_11target_archE908ELNS1_3gpuE7ELNS1_3repE0EEENS1_36merge_oddeven_config_static_selectorELNS0_4arch9wavefront6targetE0EEEvSM_,comdat
	.globl	_ZN7rocprim17ROCPRIM_400000_NS6detail17trampoline_kernelINS0_14default_configENS1_38merge_sort_block_merge_config_selectorIlNS0_10empty_typeEEEZZNS1_27merge_sort_block_merge_implIS3_PlPS5_mZN2at6native12_GLOBAL__N_124unique_dim_cuda_templateItEESt5tupleIJNSA_6TensorESF_SF_EERKSF_lbbbEUlllE_EE10hipError_tT0_T1_T2_jT3_P12ihipStream_tbPNSt15iterator_traitsISL_E10value_typeEPNSR_ISM_E10value_typeEPSN_NS1_7vsmem_tEENKUlT_SL_SM_SN_E_clIS8_S8_S9_S9_EESK_S10_SL_SM_SN_EUlS10_E1_NS1_11comp_targetILNS1_3genE3ELNS1_11target_archE908ELNS1_3gpuE7ELNS1_3repE0EEENS1_36merge_oddeven_config_static_selectorELNS0_4arch9wavefront6targetE0EEEvSM_ ; -- Begin function _ZN7rocprim17ROCPRIM_400000_NS6detail17trampoline_kernelINS0_14default_configENS1_38merge_sort_block_merge_config_selectorIlNS0_10empty_typeEEEZZNS1_27merge_sort_block_merge_implIS3_PlPS5_mZN2at6native12_GLOBAL__N_124unique_dim_cuda_templateItEESt5tupleIJNSA_6TensorESF_SF_EERKSF_lbbbEUlllE_EE10hipError_tT0_T1_T2_jT3_P12ihipStream_tbPNSt15iterator_traitsISL_E10value_typeEPNSR_ISM_E10value_typeEPSN_NS1_7vsmem_tEENKUlT_SL_SM_SN_E_clIS8_S8_S9_S9_EESK_S10_SL_SM_SN_EUlS10_E1_NS1_11comp_targetILNS1_3genE3ELNS1_11target_archE908ELNS1_3gpuE7ELNS1_3repE0EEENS1_36merge_oddeven_config_static_selectorELNS0_4arch9wavefront6targetE0EEEvSM_
	.p2align	8
	.type	_ZN7rocprim17ROCPRIM_400000_NS6detail17trampoline_kernelINS0_14default_configENS1_38merge_sort_block_merge_config_selectorIlNS0_10empty_typeEEEZZNS1_27merge_sort_block_merge_implIS3_PlPS5_mZN2at6native12_GLOBAL__N_124unique_dim_cuda_templateItEESt5tupleIJNSA_6TensorESF_SF_EERKSF_lbbbEUlllE_EE10hipError_tT0_T1_T2_jT3_P12ihipStream_tbPNSt15iterator_traitsISL_E10value_typeEPNSR_ISM_E10value_typeEPSN_NS1_7vsmem_tEENKUlT_SL_SM_SN_E_clIS8_S8_S9_S9_EESK_S10_SL_SM_SN_EUlS10_E1_NS1_11comp_targetILNS1_3genE3ELNS1_11target_archE908ELNS1_3gpuE7ELNS1_3repE0EEENS1_36merge_oddeven_config_static_selectorELNS0_4arch9wavefront6targetE0EEEvSM_,@function
_ZN7rocprim17ROCPRIM_400000_NS6detail17trampoline_kernelINS0_14default_configENS1_38merge_sort_block_merge_config_selectorIlNS0_10empty_typeEEEZZNS1_27merge_sort_block_merge_implIS3_PlPS5_mZN2at6native12_GLOBAL__N_124unique_dim_cuda_templateItEESt5tupleIJNSA_6TensorESF_SF_EERKSF_lbbbEUlllE_EE10hipError_tT0_T1_T2_jT3_P12ihipStream_tbPNSt15iterator_traitsISL_E10value_typeEPNSR_ISM_E10value_typeEPSN_NS1_7vsmem_tEENKUlT_SL_SM_SN_E_clIS8_S8_S9_S9_EESK_S10_SL_SM_SN_EUlS10_E1_NS1_11comp_targetILNS1_3genE3ELNS1_11target_archE908ELNS1_3gpuE7ELNS1_3repE0EEENS1_36merge_oddeven_config_static_selectorELNS0_4arch9wavefront6targetE0EEEvSM_: ; @_ZN7rocprim17ROCPRIM_400000_NS6detail17trampoline_kernelINS0_14default_configENS1_38merge_sort_block_merge_config_selectorIlNS0_10empty_typeEEEZZNS1_27merge_sort_block_merge_implIS3_PlPS5_mZN2at6native12_GLOBAL__N_124unique_dim_cuda_templateItEESt5tupleIJNSA_6TensorESF_SF_EERKSF_lbbbEUlllE_EE10hipError_tT0_T1_T2_jT3_P12ihipStream_tbPNSt15iterator_traitsISL_E10value_typeEPNSR_ISM_E10value_typeEPSN_NS1_7vsmem_tEENKUlT_SL_SM_SN_E_clIS8_S8_S9_S9_EESK_S10_SL_SM_SN_EUlS10_E1_NS1_11comp_targetILNS1_3genE3ELNS1_11target_archE908ELNS1_3gpuE7ELNS1_3repE0EEENS1_36merge_oddeven_config_static_selectorELNS0_4arch9wavefront6targetE0EEEvSM_
; %bb.0:
	.section	.rodata,"a",@progbits
	.p2align	6, 0x0
	.amdhsa_kernel _ZN7rocprim17ROCPRIM_400000_NS6detail17trampoline_kernelINS0_14default_configENS1_38merge_sort_block_merge_config_selectorIlNS0_10empty_typeEEEZZNS1_27merge_sort_block_merge_implIS3_PlPS5_mZN2at6native12_GLOBAL__N_124unique_dim_cuda_templateItEESt5tupleIJNSA_6TensorESF_SF_EERKSF_lbbbEUlllE_EE10hipError_tT0_T1_T2_jT3_P12ihipStream_tbPNSt15iterator_traitsISL_E10value_typeEPNSR_ISM_E10value_typeEPSN_NS1_7vsmem_tEENKUlT_SL_SM_SN_E_clIS8_S8_S9_S9_EESK_S10_SL_SM_SN_EUlS10_E1_NS1_11comp_targetILNS1_3genE3ELNS1_11target_archE908ELNS1_3gpuE7ELNS1_3repE0EEENS1_36merge_oddeven_config_static_selectorELNS0_4arch9wavefront6targetE0EEEvSM_
		.amdhsa_group_segment_fixed_size 0
		.amdhsa_private_segment_fixed_size 0
		.amdhsa_kernarg_size 64
		.amdhsa_user_sgpr_count 2
		.amdhsa_user_sgpr_dispatch_ptr 0
		.amdhsa_user_sgpr_queue_ptr 0
		.amdhsa_user_sgpr_kernarg_segment_ptr 1
		.amdhsa_user_sgpr_dispatch_id 0
		.amdhsa_user_sgpr_kernarg_preload_length 0
		.amdhsa_user_sgpr_kernarg_preload_offset 0
		.amdhsa_user_sgpr_private_segment_size 0
		.amdhsa_wavefront_size32 1
		.amdhsa_uses_dynamic_stack 0
		.amdhsa_enable_private_segment 0
		.amdhsa_system_sgpr_workgroup_id_x 1
		.amdhsa_system_sgpr_workgroup_id_y 0
		.amdhsa_system_sgpr_workgroup_id_z 0
		.amdhsa_system_sgpr_workgroup_info 0
		.amdhsa_system_vgpr_workitem_id 0
		.amdhsa_next_free_vgpr 1
		.amdhsa_next_free_sgpr 1
		.amdhsa_named_barrier_count 0
		.amdhsa_reserve_vcc 0
		.amdhsa_float_round_mode_32 0
		.amdhsa_float_round_mode_16_64 0
		.amdhsa_float_denorm_mode_32 3
		.amdhsa_float_denorm_mode_16_64 3
		.amdhsa_fp16_overflow 0
		.amdhsa_memory_ordered 1
		.amdhsa_forward_progress 1
		.amdhsa_inst_pref_size 0
		.amdhsa_round_robin_scheduling 0
		.amdhsa_exception_fp_ieee_invalid_op 0
		.amdhsa_exception_fp_denorm_src 0
		.amdhsa_exception_fp_ieee_div_zero 0
		.amdhsa_exception_fp_ieee_overflow 0
		.amdhsa_exception_fp_ieee_underflow 0
		.amdhsa_exception_fp_ieee_inexact 0
		.amdhsa_exception_int_div_zero 0
	.end_amdhsa_kernel
	.section	.text._ZN7rocprim17ROCPRIM_400000_NS6detail17trampoline_kernelINS0_14default_configENS1_38merge_sort_block_merge_config_selectorIlNS0_10empty_typeEEEZZNS1_27merge_sort_block_merge_implIS3_PlPS5_mZN2at6native12_GLOBAL__N_124unique_dim_cuda_templateItEESt5tupleIJNSA_6TensorESF_SF_EERKSF_lbbbEUlllE_EE10hipError_tT0_T1_T2_jT3_P12ihipStream_tbPNSt15iterator_traitsISL_E10value_typeEPNSR_ISM_E10value_typeEPSN_NS1_7vsmem_tEENKUlT_SL_SM_SN_E_clIS8_S8_S9_S9_EESK_S10_SL_SM_SN_EUlS10_E1_NS1_11comp_targetILNS1_3genE3ELNS1_11target_archE908ELNS1_3gpuE7ELNS1_3repE0EEENS1_36merge_oddeven_config_static_selectorELNS0_4arch9wavefront6targetE0EEEvSM_,"axG",@progbits,_ZN7rocprim17ROCPRIM_400000_NS6detail17trampoline_kernelINS0_14default_configENS1_38merge_sort_block_merge_config_selectorIlNS0_10empty_typeEEEZZNS1_27merge_sort_block_merge_implIS3_PlPS5_mZN2at6native12_GLOBAL__N_124unique_dim_cuda_templateItEESt5tupleIJNSA_6TensorESF_SF_EERKSF_lbbbEUlllE_EE10hipError_tT0_T1_T2_jT3_P12ihipStream_tbPNSt15iterator_traitsISL_E10value_typeEPNSR_ISM_E10value_typeEPSN_NS1_7vsmem_tEENKUlT_SL_SM_SN_E_clIS8_S8_S9_S9_EESK_S10_SL_SM_SN_EUlS10_E1_NS1_11comp_targetILNS1_3genE3ELNS1_11target_archE908ELNS1_3gpuE7ELNS1_3repE0EEENS1_36merge_oddeven_config_static_selectorELNS0_4arch9wavefront6targetE0EEEvSM_,comdat
.Lfunc_end1390:
	.size	_ZN7rocprim17ROCPRIM_400000_NS6detail17trampoline_kernelINS0_14default_configENS1_38merge_sort_block_merge_config_selectorIlNS0_10empty_typeEEEZZNS1_27merge_sort_block_merge_implIS3_PlPS5_mZN2at6native12_GLOBAL__N_124unique_dim_cuda_templateItEESt5tupleIJNSA_6TensorESF_SF_EERKSF_lbbbEUlllE_EE10hipError_tT0_T1_T2_jT3_P12ihipStream_tbPNSt15iterator_traitsISL_E10value_typeEPNSR_ISM_E10value_typeEPSN_NS1_7vsmem_tEENKUlT_SL_SM_SN_E_clIS8_S8_S9_S9_EESK_S10_SL_SM_SN_EUlS10_E1_NS1_11comp_targetILNS1_3genE3ELNS1_11target_archE908ELNS1_3gpuE7ELNS1_3repE0EEENS1_36merge_oddeven_config_static_selectorELNS0_4arch9wavefront6targetE0EEEvSM_, .Lfunc_end1390-_ZN7rocprim17ROCPRIM_400000_NS6detail17trampoline_kernelINS0_14default_configENS1_38merge_sort_block_merge_config_selectorIlNS0_10empty_typeEEEZZNS1_27merge_sort_block_merge_implIS3_PlPS5_mZN2at6native12_GLOBAL__N_124unique_dim_cuda_templateItEESt5tupleIJNSA_6TensorESF_SF_EERKSF_lbbbEUlllE_EE10hipError_tT0_T1_T2_jT3_P12ihipStream_tbPNSt15iterator_traitsISL_E10value_typeEPNSR_ISM_E10value_typeEPSN_NS1_7vsmem_tEENKUlT_SL_SM_SN_E_clIS8_S8_S9_S9_EESK_S10_SL_SM_SN_EUlS10_E1_NS1_11comp_targetILNS1_3genE3ELNS1_11target_archE908ELNS1_3gpuE7ELNS1_3repE0EEENS1_36merge_oddeven_config_static_selectorELNS0_4arch9wavefront6targetE0EEEvSM_
                                        ; -- End function
	.set _ZN7rocprim17ROCPRIM_400000_NS6detail17trampoline_kernelINS0_14default_configENS1_38merge_sort_block_merge_config_selectorIlNS0_10empty_typeEEEZZNS1_27merge_sort_block_merge_implIS3_PlPS5_mZN2at6native12_GLOBAL__N_124unique_dim_cuda_templateItEESt5tupleIJNSA_6TensorESF_SF_EERKSF_lbbbEUlllE_EE10hipError_tT0_T1_T2_jT3_P12ihipStream_tbPNSt15iterator_traitsISL_E10value_typeEPNSR_ISM_E10value_typeEPSN_NS1_7vsmem_tEENKUlT_SL_SM_SN_E_clIS8_S8_S9_S9_EESK_S10_SL_SM_SN_EUlS10_E1_NS1_11comp_targetILNS1_3genE3ELNS1_11target_archE908ELNS1_3gpuE7ELNS1_3repE0EEENS1_36merge_oddeven_config_static_selectorELNS0_4arch9wavefront6targetE0EEEvSM_.num_vgpr, 0
	.set _ZN7rocprim17ROCPRIM_400000_NS6detail17trampoline_kernelINS0_14default_configENS1_38merge_sort_block_merge_config_selectorIlNS0_10empty_typeEEEZZNS1_27merge_sort_block_merge_implIS3_PlPS5_mZN2at6native12_GLOBAL__N_124unique_dim_cuda_templateItEESt5tupleIJNSA_6TensorESF_SF_EERKSF_lbbbEUlllE_EE10hipError_tT0_T1_T2_jT3_P12ihipStream_tbPNSt15iterator_traitsISL_E10value_typeEPNSR_ISM_E10value_typeEPSN_NS1_7vsmem_tEENKUlT_SL_SM_SN_E_clIS8_S8_S9_S9_EESK_S10_SL_SM_SN_EUlS10_E1_NS1_11comp_targetILNS1_3genE3ELNS1_11target_archE908ELNS1_3gpuE7ELNS1_3repE0EEENS1_36merge_oddeven_config_static_selectorELNS0_4arch9wavefront6targetE0EEEvSM_.num_agpr, 0
	.set _ZN7rocprim17ROCPRIM_400000_NS6detail17trampoline_kernelINS0_14default_configENS1_38merge_sort_block_merge_config_selectorIlNS0_10empty_typeEEEZZNS1_27merge_sort_block_merge_implIS3_PlPS5_mZN2at6native12_GLOBAL__N_124unique_dim_cuda_templateItEESt5tupleIJNSA_6TensorESF_SF_EERKSF_lbbbEUlllE_EE10hipError_tT0_T1_T2_jT3_P12ihipStream_tbPNSt15iterator_traitsISL_E10value_typeEPNSR_ISM_E10value_typeEPSN_NS1_7vsmem_tEENKUlT_SL_SM_SN_E_clIS8_S8_S9_S9_EESK_S10_SL_SM_SN_EUlS10_E1_NS1_11comp_targetILNS1_3genE3ELNS1_11target_archE908ELNS1_3gpuE7ELNS1_3repE0EEENS1_36merge_oddeven_config_static_selectorELNS0_4arch9wavefront6targetE0EEEvSM_.numbered_sgpr, 0
	.set _ZN7rocprim17ROCPRIM_400000_NS6detail17trampoline_kernelINS0_14default_configENS1_38merge_sort_block_merge_config_selectorIlNS0_10empty_typeEEEZZNS1_27merge_sort_block_merge_implIS3_PlPS5_mZN2at6native12_GLOBAL__N_124unique_dim_cuda_templateItEESt5tupleIJNSA_6TensorESF_SF_EERKSF_lbbbEUlllE_EE10hipError_tT0_T1_T2_jT3_P12ihipStream_tbPNSt15iterator_traitsISL_E10value_typeEPNSR_ISM_E10value_typeEPSN_NS1_7vsmem_tEENKUlT_SL_SM_SN_E_clIS8_S8_S9_S9_EESK_S10_SL_SM_SN_EUlS10_E1_NS1_11comp_targetILNS1_3genE3ELNS1_11target_archE908ELNS1_3gpuE7ELNS1_3repE0EEENS1_36merge_oddeven_config_static_selectorELNS0_4arch9wavefront6targetE0EEEvSM_.num_named_barrier, 0
	.set _ZN7rocprim17ROCPRIM_400000_NS6detail17trampoline_kernelINS0_14default_configENS1_38merge_sort_block_merge_config_selectorIlNS0_10empty_typeEEEZZNS1_27merge_sort_block_merge_implIS3_PlPS5_mZN2at6native12_GLOBAL__N_124unique_dim_cuda_templateItEESt5tupleIJNSA_6TensorESF_SF_EERKSF_lbbbEUlllE_EE10hipError_tT0_T1_T2_jT3_P12ihipStream_tbPNSt15iterator_traitsISL_E10value_typeEPNSR_ISM_E10value_typeEPSN_NS1_7vsmem_tEENKUlT_SL_SM_SN_E_clIS8_S8_S9_S9_EESK_S10_SL_SM_SN_EUlS10_E1_NS1_11comp_targetILNS1_3genE3ELNS1_11target_archE908ELNS1_3gpuE7ELNS1_3repE0EEENS1_36merge_oddeven_config_static_selectorELNS0_4arch9wavefront6targetE0EEEvSM_.private_seg_size, 0
	.set _ZN7rocprim17ROCPRIM_400000_NS6detail17trampoline_kernelINS0_14default_configENS1_38merge_sort_block_merge_config_selectorIlNS0_10empty_typeEEEZZNS1_27merge_sort_block_merge_implIS3_PlPS5_mZN2at6native12_GLOBAL__N_124unique_dim_cuda_templateItEESt5tupleIJNSA_6TensorESF_SF_EERKSF_lbbbEUlllE_EE10hipError_tT0_T1_T2_jT3_P12ihipStream_tbPNSt15iterator_traitsISL_E10value_typeEPNSR_ISM_E10value_typeEPSN_NS1_7vsmem_tEENKUlT_SL_SM_SN_E_clIS8_S8_S9_S9_EESK_S10_SL_SM_SN_EUlS10_E1_NS1_11comp_targetILNS1_3genE3ELNS1_11target_archE908ELNS1_3gpuE7ELNS1_3repE0EEENS1_36merge_oddeven_config_static_selectorELNS0_4arch9wavefront6targetE0EEEvSM_.uses_vcc, 0
	.set _ZN7rocprim17ROCPRIM_400000_NS6detail17trampoline_kernelINS0_14default_configENS1_38merge_sort_block_merge_config_selectorIlNS0_10empty_typeEEEZZNS1_27merge_sort_block_merge_implIS3_PlPS5_mZN2at6native12_GLOBAL__N_124unique_dim_cuda_templateItEESt5tupleIJNSA_6TensorESF_SF_EERKSF_lbbbEUlllE_EE10hipError_tT0_T1_T2_jT3_P12ihipStream_tbPNSt15iterator_traitsISL_E10value_typeEPNSR_ISM_E10value_typeEPSN_NS1_7vsmem_tEENKUlT_SL_SM_SN_E_clIS8_S8_S9_S9_EESK_S10_SL_SM_SN_EUlS10_E1_NS1_11comp_targetILNS1_3genE3ELNS1_11target_archE908ELNS1_3gpuE7ELNS1_3repE0EEENS1_36merge_oddeven_config_static_selectorELNS0_4arch9wavefront6targetE0EEEvSM_.uses_flat_scratch, 0
	.set _ZN7rocprim17ROCPRIM_400000_NS6detail17trampoline_kernelINS0_14default_configENS1_38merge_sort_block_merge_config_selectorIlNS0_10empty_typeEEEZZNS1_27merge_sort_block_merge_implIS3_PlPS5_mZN2at6native12_GLOBAL__N_124unique_dim_cuda_templateItEESt5tupleIJNSA_6TensorESF_SF_EERKSF_lbbbEUlllE_EE10hipError_tT0_T1_T2_jT3_P12ihipStream_tbPNSt15iterator_traitsISL_E10value_typeEPNSR_ISM_E10value_typeEPSN_NS1_7vsmem_tEENKUlT_SL_SM_SN_E_clIS8_S8_S9_S9_EESK_S10_SL_SM_SN_EUlS10_E1_NS1_11comp_targetILNS1_3genE3ELNS1_11target_archE908ELNS1_3gpuE7ELNS1_3repE0EEENS1_36merge_oddeven_config_static_selectorELNS0_4arch9wavefront6targetE0EEEvSM_.has_dyn_sized_stack, 0
	.set _ZN7rocprim17ROCPRIM_400000_NS6detail17trampoline_kernelINS0_14default_configENS1_38merge_sort_block_merge_config_selectorIlNS0_10empty_typeEEEZZNS1_27merge_sort_block_merge_implIS3_PlPS5_mZN2at6native12_GLOBAL__N_124unique_dim_cuda_templateItEESt5tupleIJNSA_6TensorESF_SF_EERKSF_lbbbEUlllE_EE10hipError_tT0_T1_T2_jT3_P12ihipStream_tbPNSt15iterator_traitsISL_E10value_typeEPNSR_ISM_E10value_typeEPSN_NS1_7vsmem_tEENKUlT_SL_SM_SN_E_clIS8_S8_S9_S9_EESK_S10_SL_SM_SN_EUlS10_E1_NS1_11comp_targetILNS1_3genE3ELNS1_11target_archE908ELNS1_3gpuE7ELNS1_3repE0EEENS1_36merge_oddeven_config_static_selectorELNS0_4arch9wavefront6targetE0EEEvSM_.has_recursion, 0
	.set _ZN7rocprim17ROCPRIM_400000_NS6detail17trampoline_kernelINS0_14default_configENS1_38merge_sort_block_merge_config_selectorIlNS0_10empty_typeEEEZZNS1_27merge_sort_block_merge_implIS3_PlPS5_mZN2at6native12_GLOBAL__N_124unique_dim_cuda_templateItEESt5tupleIJNSA_6TensorESF_SF_EERKSF_lbbbEUlllE_EE10hipError_tT0_T1_T2_jT3_P12ihipStream_tbPNSt15iterator_traitsISL_E10value_typeEPNSR_ISM_E10value_typeEPSN_NS1_7vsmem_tEENKUlT_SL_SM_SN_E_clIS8_S8_S9_S9_EESK_S10_SL_SM_SN_EUlS10_E1_NS1_11comp_targetILNS1_3genE3ELNS1_11target_archE908ELNS1_3gpuE7ELNS1_3repE0EEENS1_36merge_oddeven_config_static_selectorELNS0_4arch9wavefront6targetE0EEEvSM_.has_indirect_call, 0
	.section	.AMDGPU.csdata,"",@progbits
; Kernel info:
; codeLenInByte = 0
; TotalNumSgprs: 0
; NumVgprs: 0
; ScratchSize: 0
; MemoryBound: 0
; FloatMode: 240
; IeeeMode: 1
; LDSByteSize: 0 bytes/workgroup (compile time only)
; SGPRBlocks: 0
; VGPRBlocks: 0
; NumSGPRsForWavesPerEU: 1
; NumVGPRsForWavesPerEU: 1
; NamedBarCnt: 0
; Occupancy: 16
; WaveLimiterHint : 0
; COMPUTE_PGM_RSRC2:SCRATCH_EN: 0
; COMPUTE_PGM_RSRC2:USER_SGPR: 2
; COMPUTE_PGM_RSRC2:TRAP_HANDLER: 0
; COMPUTE_PGM_RSRC2:TGID_X_EN: 1
; COMPUTE_PGM_RSRC2:TGID_Y_EN: 0
; COMPUTE_PGM_RSRC2:TGID_Z_EN: 0
; COMPUTE_PGM_RSRC2:TIDIG_COMP_CNT: 0
	.section	.text._ZN7rocprim17ROCPRIM_400000_NS6detail17trampoline_kernelINS0_14default_configENS1_38merge_sort_block_merge_config_selectorIlNS0_10empty_typeEEEZZNS1_27merge_sort_block_merge_implIS3_PlPS5_mZN2at6native12_GLOBAL__N_124unique_dim_cuda_templateItEESt5tupleIJNSA_6TensorESF_SF_EERKSF_lbbbEUlllE_EE10hipError_tT0_T1_T2_jT3_P12ihipStream_tbPNSt15iterator_traitsISL_E10value_typeEPNSR_ISM_E10value_typeEPSN_NS1_7vsmem_tEENKUlT_SL_SM_SN_E_clIS8_S8_S9_S9_EESK_S10_SL_SM_SN_EUlS10_E1_NS1_11comp_targetILNS1_3genE2ELNS1_11target_archE906ELNS1_3gpuE6ELNS1_3repE0EEENS1_36merge_oddeven_config_static_selectorELNS0_4arch9wavefront6targetE0EEEvSM_,"axG",@progbits,_ZN7rocprim17ROCPRIM_400000_NS6detail17trampoline_kernelINS0_14default_configENS1_38merge_sort_block_merge_config_selectorIlNS0_10empty_typeEEEZZNS1_27merge_sort_block_merge_implIS3_PlPS5_mZN2at6native12_GLOBAL__N_124unique_dim_cuda_templateItEESt5tupleIJNSA_6TensorESF_SF_EERKSF_lbbbEUlllE_EE10hipError_tT0_T1_T2_jT3_P12ihipStream_tbPNSt15iterator_traitsISL_E10value_typeEPNSR_ISM_E10value_typeEPSN_NS1_7vsmem_tEENKUlT_SL_SM_SN_E_clIS8_S8_S9_S9_EESK_S10_SL_SM_SN_EUlS10_E1_NS1_11comp_targetILNS1_3genE2ELNS1_11target_archE906ELNS1_3gpuE6ELNS1_3repE0EEENS1_36merge_oddeven_config_static_selectorELNS0_4arch9wavefront6targetE0EEEvSM_,comdat
	.globl	_ZN7rocprim17ROCPRIM_400000_NS6detail17trampoline_kernelINS0_14default_configENS1_38merge_sort_block_merge_config_selectorIlNS0_10empty_typeEEEZZNS1_27merge_sort_block_merge_implIS3_PlPS5_mZN2at6native12_GLOBAL__N_124unique_dim_cuda_templateItEESt5tupleIJNSA_6TensorESF_SF_EERKSF_lbbbEUlllE_EE10hipError_tT0_T1_T2_jT3_P12ihipStream_tbPNSt15iterator_traitsISL_E10value_typeEPNSR_ISM_E10value_typeEPSN_NS1_7vsmem_tEENKUlT_SL_SM_SN_E_clIS8_S8_S9_S9_EESK_S10_SL_SM_SN_EUlS10_E1_NS1_11comp_targetILNS1_3genE2ELNS1_11target_archE906ELNS1_3gpuE6ELNS1_3repE0EEENS1_36merge_oddeven_config_static_selectorELNS0_4arch9wavefront6targetE0EEEvSM_ ; -- Begin function _ZN7rocprim17ROCPRIM_400000_NS6detail17trampoline_kernelINS0_14default_configENS1_38merge_sort_block_merge_config_selectorIlNS0_10empty_typeEEEZZNS1_27merge_sort_block_merge_implIS3_PlPS5_mZN2at6native12_GLOBAL__N_124unique_dim_cuda_templateItEESt5tupleIJNSA_6TensorESF_SF_EERKSF_lbbbEUlllE_EE10hipError_tT0_T1_T2_jT3_P12ihipStream_tbPNSt15iterator_traitsISL_E10value_typeEPNSR_ISM_E10value_typeEPSN_NS1_7vsmem_tEENKUlT_SL_SM_SN_E_clIS8_S8_S9_S9_EESK_S10_SL_SM_SN_EUlS10_E1_NS1_11comp_targetILNS1_3genE2ELNS1_11target_archE906ELNS1_3gpuE6ELNS1_3repE0EEENS1_36merge_oddeven_config_static_selectorELNS0_4arch9wavefront6targetE0EEEvSM_
	.p2align	8
	.type	_ZN7rocprim17ROCPRIM_400000_NS6detail17trampoline_kernelINS0_14default_configENS1_38merge_sort_block_merge_config_selectorIlNS0_10empty_typeEEEZZNS1_27merge_sort_block_merge_implIS3_PlPS5_mZN2at6native12_GLOBAL__N_124unique_dim_cuda_templateItEESt5tupleIJNSA_6TensorESF_SF_EERKSF_lbbbEUlllE_EE10hipError_tT0_T1_T2_jT3_P12ihipStream_tbPNSt15iterator_traitsISL_E10value_typeEPNSR_ISM_E10value_typeEPSN_NS1_7vsmem_tEENKUlT_SL_SM_SN_E_clIS8_S8_S9_S9_EESK_S10_SL_SM_SN_EUlS10_E1_NS1_11comp_targetILNS1_3genE2ELNS1_11target_archE906ELNS1_3gpuE6ELNS1_3repE0EEENS1_36merge_oddeven_config_static_selectorELNS0_4arch9wavefront6targetE0EEEvSM_,@function
_ZN7rocprim17ROCPRIM_400000_NS6detail17trampoline_kernelINS0_14default_configENS1_38merge_sort_block_merge_config_selectorIlNS0_10empty_typeEEEZZNS1_27merge_sort_block_merge_implIS3_PlPS5_mZN2at6native12_GLOBAL__N_124unique_dim_cuda_templateItEESt5tupleIJNSA_6TensorESF_SF_EERKSF_lbbbEUlllE_EE10hipError_tT0_T1_T2_jT3_P12ihipStream_tbPNSt15iterator_traitsISL_E10value_typeEPNSR_ISM_E10value_typeEPSN_NS1_7vsmem_tEENKUlT_SL_SM_SN_E_clIS8_S8_S9_S9_EESK_S10_SL_SM_SN_EUlS10_E1_NS1_11comp_targetILNS1_3genE2ELNS1_11target_archE906ELNS1_3gpuE6ELNS1_3repE0EEENS1_36merge_oddeven_config_static_selectorELNS0_4arch9wavefront6targetE0EEEvSM_: ; @_ZN7rocprim17ROCPRIM_400000_NS6detail17trampoline_kernelINS0_14default_configENS1_38merge_sort_block_merge_config_selectorIlNS0_10empty_typeEEEZZNS1_27merge_sort_block_merge_implIS3_PlPS5_mZN2at6native12_GLOBAL__N_124unique_dim_cuda_templateItEESt5tupleIJNSA_6TensorESF_SF_EERKSF_lbbbEUlllE_EE10hipError_tT0_T1_T2_jT3_P12ihipStream_tbPNSt15iterator_traitsISL_E10value_typeEPNSR_ISM_E10value_typeEPSN_NS1_7vsmem_tEENKUlT_SL_SM_SN_E_clIS8_S8_S9_S9_EESK_S10_SL_SM_SN_EUlS10_E1_NS1_11comp_targetILNS1_3genE2ELNS1_11target_archE906ELNS1_3gpuE6ELNS1_3repE0EEENS1_36merge_oddeven_config_static_selectorELNS0_4arch9wavefront6targetE0EEEvSM_
; %bb.0:
	.section	.rodata,"a",@progbits
	.p2align	6, 0x0
	.amdhsa_kernel _ZN7rocprim17ROCPRIM_400000_NS6detail17trampoline_kernelINS0_14default_configENS1_38merge_sort_block_merge_config_selectorIlNS0_10empty_typeEEEZZNS1_27merge_sort_block_merge_implIS3_PlPS5_mZN2at6native12_GLOBAL__N_124unique_dim_cuda_templateItEESt5tupleIJNSA_6TensorESF_SF_EERKSF_lbbbEUlllE_EE10hipError_tT0_T1_T2_jT3_P12ihipStream_tbPNSt15iterator_traitsISL_E10value_typeEPNSR_ISM_E10value_typeEPSN_NS1_7vsmem_tEENKUlT_SL_SM_SN_E_clIS8_S8_S9_S9_EESK_S10_SL_SM_SN_EUlS10_E1_NS1_11comp_targetILNS1_3genE2ELNS1_11target_archE906ELNS1_3gpuE6ELNS1_3repE0EEENS1_36merge_oddeven_config_static_selectorELNS0_4arch9wavefront6targetE0EEEvSM_
		.amdhsa_group_segment_fixed_size 0
		.amdhsa_private_segment_fixed_size 0
		.amdhsa_kernarg_size 64
		.amdhsa_user_sgpr_count 2
		.amdhsa_user_sgpr_dispatch_ptr 0
		.amdhsa_user_sgpr_queue_ptr 0
		.amdhsa_user_sgpr_kernarg_segment_ptr 1
		.amdhsa_user_sgpr_dispatch_id 0
		.amdhsa_user_sgpr_kernarg_preload_length 0
		.amdhsa_user_sgpr_kernarg_preload_offset 0
		.amdhsa_user_sgpr_private_segment_size 0
		.amdhsa_wavefront_size32 1
		.amdhsa_uses_dynamic_stack 0
		.amdhsa_enable_private_segment 0
		.amdhsa_system_sgpr_workgroup_id_x 1
		.amdhsa_system_sgpr_workgroup_id_y 0
		.amdhsa_system_sgpr_workgroup_id_z 0
		.amdhsa_system_sgpr_workgroup_info 0
		.amdhsa_system_vgpr_workitem_id 0
		.amdhsa_next_free_vgpr 1
		.amdhsa_next_free_sgpr 1
		.amdhsa_named_barrier_count 0
		.amdhsa_reserve_vcc 0
		.amdhsa_float_round_mode_32 0
		.amdhsa_float_round_mode_16_64 0
		.amdhsa_float_denorm_mode_32 3
		.amdhsa_float_denorm_mode_16_64 3
		.amdhsa_fp16_overflow 0
		.amdhsa_memory_ordered 1
		.amdhsa_forward_progress 1
		.amdhsa_inst_pref_size 0
		.amdhsa_round_robin_scheduling 0
		.amdhsa_exception_fp_ieee_invalid_op 0
		.amdhsa_exception_fp_denorm_src 0
		.amdhsa_exception_fp_ieee_div_zero 0
		.amdhsa_exception_fp_ieee_overflow 0
		.amdhsa_exception_fp_ieee_underflow 0
		.amdhsa_exception_fp_ieee_inexact 0
		.amdhsa_exception_int_div_zero 0
	.end_amdhsa_kernel
	.section	.text._ZN7rocprim17ROCPRIM_400000_NS6detail17trampoline_kernelINS0_14default_configENS1_38merge_sort_block_merge_config_selectorIlNS0_10empty_typeEEEZZNS1_27merge_sort_block_merge_implIS3_PlPS5_mZN2at6native12_GLOBAL__N_124unique_dim_cuda_templateItEESt5tupleIJNSA_6TensorESF_SF_EERKSF_lbbbEUlllE_EE10hipError_tT0_T1_T2_jT3_P12ihipStream_tbPNSt15iterator_traitsISL_E10value_typeEPNSR_ISM_E10value_typeEPSN_NS1_7vsmem_tEENKUlT_SL_SM_SN_E_clIS8_S8_S9_S9_EESK_S10_SL_SM_SN_EUlS10_E1_NS1_11comp_targetILNS1_3genE2ELNS1_11target_archE906ELNS1_3gpuE6ELNS1_3repE0EEENS1_36merge_oddeven_config_static_selectorELNS0_4arch9wavefront6targetE0EEEvSM_,"axG",@progbits,_ZN7rocprim17ROCPRIM_400000_NS6detail17trampoline_kernelINS0_14default_configENS1_38merge_sort_block_merge_config_selectorIlNS0_10empty_typeEEEZZNS1_27merge_sort_block_merge_implIS3_PlPS5_mZN2at6native12_GLOBAL__N_124unique_dim_cuda_templateItEESt5tupleIJNSA_6TensorESF_SF_EERKSF_lbbbEUlllE_EE10hipError_tT0_T1_T2_jT3_P12ihipStream_tbPNSt15iterator_traitsISL_E10value_typeEPNSR_ISM_E10value_typeEPSN_NS1_7vsmem_tEENKUlT_SL_SM_SN_E_clIS8_S8_S9_S9_EESK_S10_SL_SM_SN_EUlS10_E1_NS1_11comp_targetILNS1_3genE2ELNS1_11target_archE906ELNS1_3gpuE6ELNS1_3repE0EEENS1_36merge_oddeven_config_static_selectorELNS0_4arch9wavefront6targetE0EEEvSM_,comdat
.Lfunc_end1391:
	.size	_ZN7rocprim17ROCPRIM_400000_NS6detail17trampoline_kernelINS0_14default_configENS1_38merge_sort_block_merge_config_selectorIlNS0_10empty_typeEEEZZNS1_27merge_sort_block_merge_implIS3_PlPS5_mZN2at6native12_GLOBAL__N_124unique_dim_cuda_templateItEESt5tupleIJNSA_6TensorESF_SF_EERKSF_lbbbEUlllE_EE10hipError_tT0_T1_T2_jT3_P12ihipStream_tbPNSt15iterator_traitsISL_E10value_typeEPNSR_ISM_E10value_typeEPSN_NS1_7vsmem_tEENKUlT_SL_SM_SN_E_clIS8_S8_S9_S9_EESK_S10_SL_SM_SN_EUlS10_E1_NS1_11comp_targetILNS1_3genE2ELNS1_11target_archE906ELNS1_3gpuE6ELNS1_3repE0EEENS1_36merge_oddeven_config_static_selectorELNS0_4arch9wavefront6targetE0EEEvSM_, .Lfunc_end1391-_ZN7rocprim17ROCPRIM_400000_NS6detail17trampoline_kernelINS0_14default_configENS1_38merge_sort_block_merge_config_selectorIlNS0_10empty_typeEEEZZNS1_27merge_sort_block_merge_implIS3_PlPS5_mZN2at6native12_GLOBAL__N_124unique_dim_cuda_templateItEESt5tupleIJNSA_6TensorESF_SF_EERKSF_lbbbEUlllE_EE10hipError_tT0_T1_T2_jT3_P12ihipStream_tbPNSt15iterator_traitsISL_E10value_typeEPNSR_ISM_E10value_typeEPSN_NS1_7vsmem_tEENKUlT_SL_SM_SN_E_clIS8_S8_S9_S9_EESK_S10_SL_SM_SN_EUlS10_E1_NS1_11comp_targetILNS1_3genE2ELNS1_11target_archE906ELNS1_3gpuE6ELNS1_3repE0EEENS1_36merge_oddeven_config_static_selectorELNS0_4arch9wavefront6targetE0EEEvSM_
                                        ; -- End function
	.set _ZN7rocprim17ROCPRIM_400000_NS6detail17trampoline_kernelINS0_14default_configENS1_38merge_sort_block_merge_config_selectorIlNS0_10empty_typeEEEZZNS1_27merge_sort_block_merge_implIS3_PlPS5_mZN2at6native12_GLOBAL__N_124unique_dim_cuda_templateItEESt5tupleIJNSA_6TensorESF_SF_EERKSF_lbbbEUlllE_EE10hipError_tT0_T1_T2_jT3_P12ihipStream_tbPNSt15iterator_traitsISL_E10value_typeEPNSR_ISM_E10value_typeEPSN_NS1_7vsmem_tEENKUlT_SL_SM_SN_E_clIS8_S8_S9_S9_EESK_S10_SL_SM_SN_EUlS10_E1_NS1_11comp_targetILNS1_3genE2ELNS1_11target_archE906ELNS1_3gpuE6ELNS1_3repE0EEENS1_36merge_oddeven_config_static_selectorELNS0_4arch9wavefront6targetE0EEEvSM_.num_vgpr, 0
	.set _ZN7rocprim17ROCPRIM_400000_NS6detail17trampoline_kernelINS0_14default_configENS1_38merge_sort_block_merge_config_selectorIlNS0_10empty_typeEEEZZNS1_27merge_sort_block_merge_implIS3_PlPS5_mZN2at6native12_GLOBAL__N_124unique_dim_cuda_templateItEESt5tupleIJNSA_6TensorESF_SF_EERKSF_lbbbEUlllE_EE10hipError_tT0_T1_T2_jT3_P12ihipStream_tbPNSt15iterator_traitsISL_E10value_typeEPNSR_ISM_E10value_typeEPSN_NS1_7vsmem_tEENKUlT_SL_SM_SN_E_clIS8_S8_S9_S9_EESK_S10_SL_SM_SN_EUlS10_E1_NS1_11comp_targetILNS1_3genE2ELNS1_11target_archE906ELNS1_3gpuE6ELNS1_3repE0EEENS1_36merge_oddeven_config_static_selectorELNS0_4arch9wavefront6targetE0EEEvSM_.num_agpr, 0
	.set _ZN7rocprim17ROCPRIM_400000_NS6detail17trampoline_kernelINS0_14default_configENS1_38merge_sort_block_merge_config_selectorIlNS0_10empty_typeEEEZZNS1_27merge_sort_block_merge_implIS3_PlPS5_mZN2at6native12_GLOBAL__N_124unique_dim_cuda_templateItEESt5tupleIJNSA_6TensorESF_SF_EERKSF_lbbbEUlllE_EE10hipError_tT0_T1_T2_jT3_P12ihipStream_tbPNSt15iterator_traitsISL_E10value_typeEPNSR_ISM_E10value_typeEPSN_NS1_7vsmem_tEENKUlT_SL_SM_SN_E_clIS8_S8_S9_S9_EESK_S10_SL_SM_SN_EUlS10_E1_NS1_11comp_targetILNS1_3genE2ELNS1_11target_archE906ELNS1_3gpuE6ELNS1_3repE0EEENS1_36merge_oddeven_config_static_selectorELNS0_4arch9wavefront6targetE0EEEvSM_.numbered_sgpr, 0
	.set _ZN7rocprim17ROCPRIM_400000_NS6detail17trampoline_kernelINS0_14default_configENS1_38merge_sort_block_merge_config_selectorIlNS0_10empty_typeEEEZZNS1_27merge_sort_block_merge_implIS3_PlPS5_mZN2at6native12_GLOBAL__N_124unique_dim_cuda_templateItEESt5tupleIJNSA_6TensorESF_SF_EERKSF_lbbbEUlllE_EE10hipError_tT0_T1_T2_jT3_P12ihipStream_tbPNSt15iterator_traitsISL_E10value_typeEPNSR_ISM_E10value_typeEPSN_NS1_7vsmem_tEENKUlT_SL_SM_SN_E_clIS8_S8_S9_S9_EESK_S10_SL_SM_SN_EUlS10_E1_NS1_11comp_targetILNS1_3genE2ELNS1_11target_archE906ELNS1_3gpuE6ELNS1_3repE0EEENS1_36merge_oddeven_config_static_selectorELNS0_4arch9wavefront6targetE0EEEvSM_.num_named_barrier, 0
	.set _ZN7rocprim17ROCPRIM_400000_NS6detail17trampoline_kernelINS0_14default_configENS1_38merge_sort_block_merge_config_selectorIlNS0_10empty_typeEEEZZNS1_27merge_sort_block_merge_implIS3_PlPS5_mZN2at6native12_GLOBAL__N_124unique_dim_cuda_templateItEESt5tupleIJNSA_6TensorESF_SF_EERKSF_lbbbEUlllE_EE10hipError_tT0_T1_T2_jT3_P12ihipStream_tbPNSt15iterator_traitsISL_E10value_typeEPNSR_ISM_E10value_typeEPSN_NS1_7vsmem_tEENKUlT_SL_SM_SN_E_clIS8_S8_S9_S9_EESK_S10_SL_SM_SN_EUlS10_E1_NS1_11comp_targetILNS1_3genE2ELNS1_11target_archE906ELNS1_3gpuE6ELNS1_3repE0EEENS1_36merge_oddeven_config_static_selectorELNS0_4arch9wavefront6targetE0EEEvSM_.private_seg_size, 0
	.set _ZN7rocprim17ROCPRIM_400000_NS6detail17trampoline_kernelINS0_14default_configENS1_38merge_sort_block_merge_config_selectorIlNS0_10empty_typeEEEZZNS1_27merge_sort_block_merge_implIS3_PlPS5_mZN2at6native12_GLOBAL__N_124unique_dim_cuda_templateItEESt5tupleIJNSA_6TensorESF_SF_EERKSF_lbbbEUlllE_EE10hipError_tT0_T1_T2_jT3_P12ihipStream_tbPNSt15iterator_traitsISL_E10value_typeEPNSR_ISM_E10value_typeEPSN_NS1_7vsmem_tEENKUlT_SL_SM_SN_E_clIS8_S8_S9_S9_EESK_S10_SL_SM_SN_EUlS10_E1_NS1_11comp_targetILNS1_3genE2ELNS1_11target_archE906ELNS1_3gpuE6ELNS1_3repE0EEENS1_36merge_oddeven_config_static_selectorELNS0_4arch9wavefront6targetE0EEEvSM_.uses_vcc, 0
	.set _ZN7rocprim17ROCPRIM_400000_NS6detail17trampoline_kernelINS0_14default_configENS1_38merge_sort_block_merge_config_selectorIlNS0_10empty_typeEEEZZNS1_27merge_sort_block_merge_implIS3_PlPS5_mZN2at6native12_GLOBAL__N_124unique_dim_cuda_templateItEESt5tupleIJNSA_6TensorESF_SF_EERKSF_lbbbEUlllE_EE10hipError_tT0_T1_T2_jT3_P12ihipStream_tbPNSt15iterator_traitsISL_E10value_typeEPNSR_ISM_E10value_typeEPSN_NS1_7vsmem_tEENKUlT_SL_SM_SN_E_clIS8_S8_S9_S9_EESK_S10_SL_SM_SN_EUlS10_E1_NS1_11comp_targetILNS1_3genE2ELNS1_11target_archE906ELNS1_3gpuE6ELNS1_3repE0EEENS1_36merge_oddeven_config_static_selectorELNS0_4arch9wavefront6targetE0EEEvSM_.uses_flat_scratch, 0
	.set _ZN7rocprim17ROCPRIM_400000_NS6detail17trampoline_kernelINS0_14default_configENS1_38merge_sort_block_merge_config_selectorIlNS0_10empty_typeEEEZZNS1_27merge_sort_block_merge_implIS3_PlPS5_mZN2at6native12_GLOBAL__N_124unique_dim_cuda_templateItEESt5tupleIJNSA_6TensorESF_SF_EERKSF_lbbbEUlllE_EE10hipError_tT0_T1_T2_jT3_P12ihipStream_tbPNSt15iterator_traitsISL_E10value_typeEPNSR_ISM_E10value_typeEPSN_NS1_7vsmem_tEENKUlT_SL_SM_SN_E_clIS8_S8_S9_S9_EESK_S10_SL_SM_SN_EUlS10_E1_NS1_11comp_targetILNS1_3genE2ELNS1_11target_archE906ELNS1_3gpuE6ELNS1_3repE0EEENS1_36merge_oddeven_config_static_selectorELNS0_4arch9wavefront6targetE0EEEvSM_.has_dyn_sized_stack, 0
	.set _ZN7rocprim17ROCPRIM_400000_NS6detail17trampoline_kernelINS0_14default_configENS1_38merge_sort_block_merge_config_selectorIlNS0_10empty_typeEEEZZNS1_27merge_sort_block_merge_implIS3_PlPS5_mZN2at6native12_GLOBAL__N_124unique_dim_cuda_templateItEESt5tupleIJNSA_6TensorESF_SF_EERKSF_lbbbEUlllE_EE10hipError_tT0_T1_T2_jT3_P12ihipStream_tbPNSt15iterator_traitsISL_E10value_typeEPNSR_ISM_E10value_typeEPSN_NS1_7vsmem_tEENKUlT_SL_SM_SN_E_clIS8_S8_S9_S9_EESK_S10_SL_SM_SN_EUlS10_E1_NS1_11comp_targetILNS1_3genE2ELNS1_11target_archE906ELNS1_3gpuE6ELNS1_3repE0EEENS1_36merge_oddeven_config_static_selectorELNS0_4arch9wavefront6targetE0EEEvSM_.has_recursion, 0
	.set _ZN7rocprim17ROCPRIM_400000_NS6detail17trampoline_kernelINS0_14default_configENS1_38merge_sort_block_merge_config_selectorIlNS0_10empty_typeEEEZZNS1_27merge_sort_block_merge_implIS3_PlPS5_mZN2at6native12_GLOBAL__N_124unique_dim_cuda_templateItEESt5tupleIJNSA_6TensorESF_SF_EERKSF_lbbbEUlllE_EE10hipError_tT0_T1_T2_jT3_P12ihipStream_tbPNSt15iterator_traitsISL_E10value_typeEPNSR_ISM_E10value_typeEPSN_NS1_7vsmem_tEENKUlT_SL_SM_SN_E_clIS8_S8_S9_S9_EESK_S10_SL_SM_SN_EUlS10_E1_NS1_11comp_targetILNS1_3genE2ELNS1_11target_archE906ELNS1_3gpuE6ELNS1_3repE0EEENS1_36merge_oddeven_config_static_selectorELNS0_4arch9wavefront6targetE0EEEvSM_.has_indirect_call, 0
	.section	.AMDGPU.csdata,"",@progbits
; Kernel info:
; codeLenInByte = 0
; TotalNumSgprs: 0
; NumVgprs: 0
; ScratchSize: 0
; MemoryBound: 0
; FloatMode: 240
; IeeeMode: 1
; LDSByteSize: 0 bytes/workgroup (compile time only)
; SGPRBlocks: 0
; VGPRBlocks: 0
; NumSGPRsForWavesPerEU: 1
; NumVGPRsForWavesPerEU: 1
; NamedBarCnt: 0
; Occupancy: 16
; WaveLimiterHint : 0
; COMPUTE_PGM_RSRC2:SCRATCH_EN: 0
; COMPUTE_PGM_RSRC2:USER_SGPR: 2
; COMPUTE_PGM_RSRC2:TRAP_HANDLER: 0
; COMPUTE_PGM_RSRC2:TGID_X_EN: 1
; COMPUTE_PGM_RSRC2:TGID_Y_EN: 0
; COMPUTE_PGM_RSRC2:TGID_Z_EN: 0
; COMPUTE_PGM_RSRC2:TIDIG_COMP_CNT: 0
	.section	.text._ZN7rocprim17ROCPRIM_400000_NS6detail17trampoline_kernelINS0_14default_configENS1_38merge_sort_block_merge_config_selectorIlNS0_10empty_typeEEEZZNS1_27merge_sort_block_merge_implIS3_PlPS5_mZN2at6native12_GLOBAL__N_124unique_dim_cuda_templateItEESt5tupleIJNSA_6TensorESF_SF_EERKSF_lbbbEUlllE_EE10hipError_tT0_T1_T2_jT3_P12ihipStream_tbPNSt15iterator_traitsISL_E10value_typeEPNSR_ISM_E10value_typeEPSN_NS1_7vsmem_tEENKUlT_SL_SM_SN_E_clIS8_S8_S9_S9_EESK_S10_SL_SM_SN_EUlS10_E1_NS1_11comp_targetILNS1_3genE9ELNS1_11target_archE1100ELNS1_3gpuE3ELNS1_3repE0EEENS1_36merge_oddeven_config_static_selectorELNS0_4arch9wavefront6targetE0EEEvSM_,"axG",@progbits,_ZN7rocprim17ROCPRIM_400000_NS6detail17trampoline_kernelINS0_14default_configENS1_38merge_sort_block_merge_config_selectorIlNS0_10empty_typeEEEZZNS1_27merge_sort_block_merge_implIS3_PlPS5_mZN2at6native12_GLOBAL__N_124unique_dim_cuda_templateItEESt5tupleIJNSA_6TensorESF_SF_EERKSF_lbbbEUlllE_EE10hipError_tT0_T1_T2_jT3_P12ihipStream_tbPNSt15iterator_traitsISL_E10value_typeEPNSR_ISM_E10value_typeEPSN_NS1_7vsmem_tEENKUlT_SL_SM_SN_E_clIS8_S8_S9_S9_EESK_S10_SL_SM_SN_EUlS10_E1_NS1_11comp_targetILNS1_3genE9ELNS1_11target_archE1100ELNS1_3gpuE3ELNS1_3repE0EEENS1_36merge_oddeven_config_static_selectorELNS0_4arch9wavefront6targetE0EEEvSM_,comdat
	.globl	_ZN7rocprim17ROCPRIM_400000_NS6detail17trampoline_kernelINS0_14default_configENS1_38merge_sort_block_merge_config_selectorIlNS0_10empty_typeEEEZZNS1_27merge_sort_block_merge_implIS3_PlPS5_mZN2at6native12_GLOBAL__N_124unique_dim_cuda_templateItEESt5tupleIJNSA_6TensorESF_SF_EERKSF_lbbbEUlllE_EE10hipError_tT0_T1_T2_jT3_P12ihipStream_tbPNSt15iterator_traitsISL_E10value_typeEPNSR_ISM_E10value_typeEPSN_NS1_7vsmem_tEENKUlT_SL_SM_SN_E_clIS8_S8_S9_S9_EESK_S10_SL_SM_SN_EUlS10_E1_NS1_11comp_targetILNS1_3genE9ELNS1_11target_archE1100ELNS1_3gpuE3ELNS1_3repE0EEENS1_36merge_oddeven_config_static_selectorELNS0_4arch9wavefront6targetE0EEEvSM_ ; -- Begin function _ZN7rocprim17ROCPRIM_400000_NS6detail17trampoline_kernelINS0_14default_configENS1_38merge_sort_block_merge_config_selectorIlNS0_10empty_typeEEEZZNS1_27merge_sort_block_merge_implIS3_PlPS5_mZN2at6native12_GLOBAL__N_124unique_dim_cuda_templateItEESt5tupleIJNSA_6TensorESF_SF_EERKSF_lbbbEUlllE_EE10hipError_tT0_T1_T2_jT3_P12ihipStream_tbPNSt15iterator_traitsISL_E10value_typeEPNSR_ISM_E10value_typeEPSN_NS1_7vsmem_tEENKUlT_SL_SM_SN_E_clIS8_S8_S9_S9_EESK_S10_SL_SM_SN_EUlS10_E1_NS1_11comp_targetILNS1_3genE9ELNS1_11target_archE1100ELNS1_3gpuE3ELNS1_3repE0EEENS1_36merge_oddeven_config_static_selectorELNS0_4arch9wavefront6targetE0EEEvSM_
	.p2align	8
	.type	_ZN7rocprim17ROCPRIM_400000_NS6detail17trampoline_kernelINS0_14default_configENS1_38merge_sort_block_merge_config_selectorIlNS0_10empty_typeEEEZZNS1_27merge_sort_block_merge_implIS3_PlPS5_mZN2at6native12_GLOBAL__N_124unique_dim_cuda_templateItEESt5tupleIJNSA_6TensorESF_SF_EERKSF_lbbbEUlllE_EE10hipError_tT0_T1_T2_jT3_P12ihipStream_tbPNSt15iterator_traitsISL_E10value_typeEPNSR_ISM_E10value_typeEPSN_NS1_7vsmem_tEENKUlT_SL_SM_SN_E_clIS8_S8_S9_S9_EESK_S10_SL_SM_SN_EUlS10_E1_NS1_11comp_targetILNS1_3genE9ELNS1_11target_archE1100ELNS1_3gpuE3ELNS1_3repE0EEENS1_36merge_oddeven_config_static_selectorELNS0_4arch9wavefront6targetE0EEEvSM_,@function
_ZN7rocprim17ROCPRIM_400000_NS6detail17trampoline_kernelINS0_14default_configENS1_38merge_sort_block_merge_config_selectorIlNS0_10empty_typeEEEZZNS1_27merge_sort_block_merge_implIS3_PlPS5_mZN2at6native12_GLOBAL__N_124unique_dim_cuda_templateItEESt5tupleIJNSA_6TensorESF_SF_EERKSF_lbbbEUlllE_EE10hipError_tT0_T1_T2_jT3_P12ihipStream_tbPNSt15iterator_traitsISL_E10value_typeEPNSR_ISM_E10value_typeEPSN_NS1_7vsmem_tEENKUlT_SL_SM_SN_E_clIS8_S8_S9_S9_EESK_S10_SL_SM_SN_EUlS10_E1_NS1_11comp_targetILNS1_3genE9ELNS1_11target_archE1100ELNS1_3gpuE3ELNS1_3repE0EEENS1_36merge_oddeven_config_static_selectorELNS0_4arch9wavefront6targetE0EEEvSM_: ; @_ZN7rocprim17ROCPRIM_400000_NS6detail17trampoline_kernelINS0_14default_configENS1_38merge_sort_block_merge_config_selectorIlNS0_10empty_typeEEEZZNS1_27merge_sort_block_merge_implIS3_PlPS5_mZN2at6native12_GLOBAL__N_124unique_dim_cuda_templateItEESt5tupleIJNSA_6TensorESF_SF_EERKSF_lbbbEUlllE_EE10hipError_tT0_T1_T2_jT3_P12ihipStream_tbPNSt15iterator_traitsISL_E10value_typeEPNSR_ISM_E10value_typeEPSN_NS1_7vsmem_tEENKUlT_SL_SM_SN_E_clIS8_S8_S9_S9_EESK_S10_SL_SM_SN_EUlS10_E1_NS1_11comp_targetILNS1_3genE9ELNS1_11target_archE1100ELNS1_3gpuE3ELNS1_3repE0EEENS1_36merge_oddeven_config_static_selectorELNS0_4arch9wavefront6targetE0EEEvSM_
; %bb.0:
	.section	.rodata,"a",@progbits
	.p2align	6, 0x0
	.amdhsa_kernel _ZN7rocprim17ROCPRIM_400000_NS6detail17trampoline_kernelINS0_14default_configENS1_38merge_sort_block_merge_config_selectorIlNS0_10empty_typeEEEZZNS1_27merge_sort_block_merge_implIS3_PlPS5_mZN2at6native12_GLOBAL__N_124unique_dim_cuda_templateItEESt5tupleIJNSA_6TensorESF_SF_EERKSF_lbbbEUlllE_EE10hipError_tT0_T1_T2_jT3_P12ihipStream_tbPNSt15iterator_traitsISL_E10value_typeEPNSR_ISM_E10value_typeEPSN_NS1_7vsmem_tEENKUlT_SL_SM_SN_E_clIS8_S8_S9_S9_EESK_S10_SL_SM_SN_EUlS10_E1_NS1_11comp_targetILNS1_3genE9ELNS1_11target_archE1100ELNS1_3gpuE3ELNS1_3repE0EEENS1_36merge_oddeven_config_static_selectorELNS0_4arch9wavefront6targetE0EEEvSM_
		.amdhsa_group_segment_fixed_size 0
		.amdhsa_private_segment_fixed_size 0
		.amdhsa_kernarg_size 64
		.amdhsa_user_sgpr_count 2
		.amdhsa_user_sgpr_dispatch_ptr 0
		.amdhsa_user_sgpr_queue_ptr 0
		.amdhsa_user_sgpr_kernarg_segment_ptr 1
		.amdhsa_user_sgpr_dispatch_id 0
		.amdhsa_user_sgpr_kernarg_preload_length 0
		.amdhsa_user_sgpr_kernarg_preload_offset 0
		.amdhsa_user_sgpr_private_segment_size 0
		.amdhsa_wavefront_size32 1
		.amdhsa_uses_dynamic_stack 0
		.amdhsa_enable_private_segment 0
		.amdhsa_system_sgpr_workgroup_id_x 1
		.amdhsa_system_sgpr_workgroup_id_y 0
		.amdhsa_system_sgpr_workgroup_id_z 0
		.amdhsa_system_sgpr_workgroup_info 0
		.amdhsa_system_vgpr_workitem_id 0
		.amdhsa_next_free_vgpr 1
		.amdhsa_next_free_sgpr 1
		.amdhsa_named_barrier_count 0
		.amdhsa_reserve_vcc 0
		.amdhsa_float_round_mode_32 0
		.amdhsa_float_round_mode_16_64 0
		.amdhsa_float_denorm_mode_32 3
		.amdhsa_float_denorm_mode_16_64 3
		.amdhsa_fp16_overflow 0
		.amdhsa_memory_ordered 1
		.amdhsa_forward_progress 1
		.amdhsa_inst_pref_size 0
		.amdhsa_round_robin_scheduling 0
		.amdhsa_exception_fp_ieee_invalid_op 0
		.amdhsa_exception_fp_denorm_src 0
		.amdhsa_exception_fp_ieee_div_zero 0
		.amdhsa_exception_fp_ieee_overflow 0
		.amdhsa_exception_fp_ieee_underflow 0
		.amdhsa_exception_fp_ieee_inexact 0
		.amdhsa_exception_int_div_zero 0
	.end_amdhsa_kernel
	.section	.text._ZN7rocprim17ROCPRIM_400000_NS6detail17trampoline_kernelINS0_14default_configENS1_38merge_sort_block_merge_config_selectorIlNS0_10empty_typeEEEZZNS1_27merge_sort_block_merge_implIS3_PlPS5_mZN2at6native12_GLOBAL__N_124unique_dim_cuda_templateItEESt5tupleIJNSA_6TensorESF_SF_EERKSF_lbbbEUlllE_EE10hipError_tT0_T1_T2_jT3_P12ihipStream_tbPNSt15iterator_traitsISL_E10value_typeEPNSR_ISM_E10value_typeEPSN_NS1_7vsmem_tEENKUlT_SL_SM_SN_E_clIS8_S8_S9_S9_EESK_S10_SL_SM_SN_EUlS10_E1_NS1_11comp_targetILNS1_3genE9ELNS1_11target_archE1100ELNS1_3gpuE3ELNS1_3repE0EEENS1_36merge_oddeven_config_static_selectorELNS0_4arch9wavefront6targetE0EEEvSM_,"axG",@progbits,_ZN7rocprim17ROCPRIM_400000_NS6detail17trampoline_kernelINS0_14default_configENS1_38merge_sort_block_merge_config_selectorIlNS0_10empty_typeEEEZZNS1_27merge_sort_block_merge_implIS3_PlPS5_mZN2at6native12_GLOBAL__N_124unique_dim_cuda_templateItEESt5tupleIJNSA_6TensorESF_SF_EERKSF_lbbbEUlllE_EE10hipError_tT0_T1_T2_jT3_P12ihipStream_tbPNSt15iterator_traitsISL_E10value_typeEPNSR_ISM_E10value_typeEPSN_NS1_7vsmem_tEENKUlT_SL_SM_SN_E_clIS8_S8_S9_S9_EESK_S10_SL_SM_SN_EUlS10_E1_NS1_11comp_targetILNS1_3genE9ELNS1_11target_archE1100ELNS1_3gpuE3ELNS1_3repE0EEENS1_36merge_oddeven_config_static_selectorELNS0_4arch9wavefront6targetE0EEEvSM_,comdat
.Lfunc_end1392:
	.size	_ZN7rocprim17ROCPRIM_400000_NS6detail17trampoline_kernelINS0_14default_configENS1_38merge_sort_block_merge_config_selectorIlNS0_10empty_typeEEEZZNS1_27merge_sort_block_merge_implIS3_PlPS5_mZN2at6native12_GLOBAL__N_124unique_dim_cuda_templateItEESt5tupleIJNSA_6TensorESF_SF_EERKSF_lbbbEUlllE_EE10hipError_tT0_T1_T2_jT3_P12ihipStream_tbPNSt15iterator_traitsISL_E10value_typeEPNSR_ISM_E10value_typeEPSN_NS1_7vsmem_tEENKUlT_SL_SM_SN_E_clIS8_S8_S9_S9_EESK_S10_SL_SM_SN_EUlS10_E1_NS1_11comp_targetILNS1_3genE9ELNS1_11target_archE1100ELNS1_3gpuE3ELNS1_3repE0EEENS1_36merge_oddeven_config_static_selectorELNS0_4arch9wavefront6targetE0EEEvSM_, .Lfunc_end1392-_ZN7rocprim17ROCPRIM_400000_NS6detail17trampoline_kernelINS0_14default_configENS1_38merge_sort_block_merge_config_selectorIlNS0_10empty_typeEEEZZNS1_27merge_sort_block_merge_implIS3_PlPS5_mZN2at6native12_GLOBAL__N_124unique_dim_cuda_templateItEESt5tupleIJNSA_6TensorESF_SF_EERKSF_lbbbEUlllE_EE10hipError_tT0_T1_T2_jT3_P12ihipStream_tbPNSt15iterator_traitsISL_E10value_typeEPNSR_ISM_E10value_typeEPSN_NS1_7vsmem_tEENKUlT_SL_SM_SN_E_clIS8_S8_S9_S9_EESK_S10_SL_SM_SN_EUlS10_E1_NS1_11comp_targetILNS1_3genE9ELNS1_11target_archE1100ELNS1_3gpuE3ELNS1_3repE0EEENS1_36merge_oddeven_config_static_selectorELNS0_4arch9wavefront6targetE0EEEvSM_
                                        ; -- End function
	.set _ZN7rocprim17ROCPRIM_400000_NS6detail17trampoline_kernelINS0_14default_configENS1_38merge_sort_block_merge_config_selectorIlNS0_10empty_typeEEEZZNS1_27merge_sort_block_merge_implIS3_PlPS5_mZN2at6native12_GLOBAL__N_124unique_dim_cuda_templateItEESt5tupleIJNSA_6TensorESF_SF_EERKSF_lbbbEUlllE_EE10hipError_tT0_T1_T2_jT3_P12ihipStream_tbPNSt15iterator_traitsISL_E10value_typeEPNSR_ISM_E10value_typeEPSN_NS1_7vsmem_tEENKUlT_SL_SM_SN_E_clIS8_S8_S9_S9_EESK_S10_SL_SM_SN_EUlS10_E1_NS1_11comp_targetILNS1_3genE9ELNS1_11target_archE1100ELNS1_3gpuE3ELNS1_3repE0EEENS1_36merge_oddeven_config_static_selectorELNS0_4arch9wavefront6targetE0EEEvSM_.num_vgpr, 0
	.set _ZN7rocprim17ROCPRIM_400000_NS6detail17trampoline_kernelINS0_14default_configENS1_38merge_sort_block_merge_config_selectorIlNS0_10empty_typeEEEZZNS1_27merge_sort_block_merge_implIS3_PlPS5_mZN2at6native12_GLOBAL__N_124unique_dim_cuda_templateItEESt5tupleIJNSA_6TensorESF_SF_EERKSF_lbbbEUlllE_EE10hipError_tT0_T1_T2_jT3_P12ihipStream_tbPNSt15iterator_traitsISL_E10value_typeEPNSR_ISM_E10value_typeEPSN_NS1_7vsmem_tEENKUlT_SL_SM_SN_E_clIS8_S8_S9_S9_EESK_S10_SL_SM_SN_EUlS10_E1_NS1_11comp_targetILNS1_3genE9ELNS1_11target_archE1100ELNS1_3gpuE3ELNS1_3repE0EEENS1_36merge_oddeven_config_static_selectorELNS0_4arch9wavefront6targetE0EEEvSM_.num_agpr, 0
	.set _ZN7rocprim17ROCPRIM_400000_NS6detail17trampoline_kernelINS0_14default_configENS1_38merge_sort_block_merge_config_selectorIlNS0_10empty_typeEEEZZNS1_27merge_sort_block_merge_implIS3_PlPS5_mZN2at6native12_GLOBAL__N_124unique_dim_cuda_templateItEESt5tupleIJNSA_6TensorESF_SF_EERKSF_lbbbEUlllE_EE10hipError_tT0_T1_T2_jT3_P12ihipStream_tbPNSt15iterator_traitsISL_E10value_typeEPNSR_ISM_E10value_typeEPSN_NS1_7vsmem_tEENKUlT_SL_SM_SN_E_clIS8_S8_S9_S9_EESK_S10_SL_SM_SN_EUlS10_E1_NS1_11comp_targetILNS1_3genE9ELNS1_11target_archE1100ELNS1_3gpuE3ELNS1_3repE0EEENS1_36merge_oddeven_config_static_selectorELNS0_4arch9wavefront6targetE0EEEvSM_.numbered_sgpr, 0
	.set _ZN7rocprim17ROCPRIM_400000_NS6detail17trampoline_kernelINS0_14default_configENS1_38merge_sort_block_merge_config_selectorIlNS0_10empty_typeEEEZZNS1_27merge_sort_block_merge_implIS3_PlPS5_mZN2at6native12_GLOBAL__N_124unique_dim_cuda_templateItEESt5tupleIJNSA_6TensorESF_SF_EERKSF_lbbbEUlllE_EE10hipError_tT0_T1_T2_jT3_P12ihipStream_tbPNSt15iterator_traitsISL_E10value_typeEPNSR_ISM_E10value_typeEPSN_NS1_7vsmem_tEENKUlT_SL_SM_SN_E_clIS8_S8_S9_S9_EESK_S10_SL_SM_SN_EUlS10_E1_NS1_11comp_targetILNS1_3genE9ELNS1_11target_archE1100ELNS1_3gpuE3ELNS1_3repE0EEENS1_36merge_oddeven_config_static_selectorELNS0_4arch9wavefront6targetE0EEEvSM_.num_named_barrier, 0
	.set _ZN7rocprim17ROCPRIM_400000_NS6detail17trampoline_kernelINS0_14default_configENS1_38merge_sort_block_merge_config_selectorIlNS0_10empty_typeEEEZZNS1_27merge_sort_block_merge_implIS3_PlPS5_mZN2at6native12_GLOBAL__N_124unique_dim_cuda_templateItEESt5tupleIJNSA_6TensorESF_SF_EERKSF_lbbbEUlllE_EE10hipError_tT0_T1_T2_jT3_P12ihipStream_tbPNSt15iterator_traitsISL_E10value_typeEPNSR_ISM_E10value_typeEPSN_NS1_7vsmem_tEENKUlT_SL_SM_SN_E_clIS8_S8_S9_S9_EESK_S10_SL_SM_SN_EUlS10_E1_NS1_11comp_targetILNS1_3genE9ELNS1_11target_archE1100ELNS1_3gpuE3ELNS1_3repE0EEENS1_36merge_oddeven_config_static_selectorELNS0_4arch9wavefront6targetE0EEEvSM_.private_seg_size, 0
	.set _ZN7rocprim17ROCPRIM_400000_NS6detail17trampoline_kernelINS0_14default_configENS1_38merge_sort_block_merge_config_selectorIlNS0_10empty_typeEEEZZNS1_27merge_sort_block_merge_implIS3_PlPS5_mZN2at6native12_GLOBAL__N_124unique_dim_cuda_templateItEESt5tupleIJNSA_6TensorESF_SF_EERKSF_lbbbEUlllE_EE10hipError_tT0_T1_T2_jT3_P12ihipStream_tbPNSt15iterator_traitsISL_E10value_typeEPNSR_ISM_E10value_typeEPSN_NS1_7vsmem_tEENKUlT_SL_SM_SN_E_clIS8_S8_S9_S9_EESK_S10_SL_SM_SN_EUlS10_E1_NS1_11comp_targetILNS1_3genE9ELNS1_11target_archE1100ELNS1_3gpuE3ELNS1_3repE0EEENS1_36merge_oddeven_config_static_selectorELNS0_4arch9wavefront6targetE0EEEvSM_.uses_vcc, 0
	.set _ZN7rocprim17ROCPRIM_400000_NS6detail17trampoline_kernelINS0_14default_configENS1_38merge_sort_block_merge_config_selectorIlNS0_10empty_typeEEEZZNS1_27merge_sort_block_merge_implIS3_PlPS5_mZN2at6native12_GLOBAL__N_124unique_dim_cuda_templateItEESt5tupleIJNSA_6TensorESF_SF_EERKSF_lbbbEUlllE_EE10hipError_tT0_T1_T2_jT3_P12ihipStream_tbPNSt15iterator_traitsISL_E10value_typeEPNSR_ISM_E10value_typeEPSN_NS1_7vsmem_tEENKUlT_SL_SM_SN_E_clIS8_S8_S9_S9_EESK_S10_SL_SM_SN_EUlS10_E1_NS1_11comp_targetILNS1_3genE9ELNS1_11target_archE1100ELNS1_3gpuE3ELNS1_3repE0EEENS1_36merge_oddeven_config_static_selectorELNS0_4arch9wavefront6targetE0EEEvSM_.uses_flat_scratch, 0
	.set _ZN7rocprim17ROCPRIM_400000_NS6detail17trampoline_kernelINS0_14default_configENS1_38merge_sort_block_merge_config_selectorIlNS0_10empty_typeEEEZZNS1_27merge_sort_block_merge_implIS3_PlPS5_mZN2at6native12_GLOBAL__N_124unique_dim_cuda_templateItEESt5tupleIJNSA_6TensorESF_SF_EERKSF_lbbbEUlllE_EE10hipError_tT0_T1_T2_jT3_P12ihipStream_tbPNSt15iterator_traitsISL_E10value_typeEPNSR_ISM_E10value_typeEPSN_NS1_7vsmem_tEENKUlT_SL_SM_SN_E_clIS8_S8_S9_S9_EESK_S10_SL_SM_SN_EUlS10_E1_NS1_11comp_targetILNS1_3genE9ELNS1_11target_archE1100ELNS1_3gpuE3ELNS1_3repE0EEENS1_36merge_oddeven_config_static_selectorELNS0_4arch9wavefront6targetE0EEEvSM_.has_dyn_sized_stack, 0
	.set _ZN7rocprim17ROCPRIM_400000_NS6detail17trampoline_kernelINS0_14default_configENS1_38merge_sort_block_merge_config_selectorIlNS0_10empty_typeEEEZZNS1_27merge_sort_block_merge_implIS3_PlPS5_mZN2at6native12_GLOBAL__N_124unique_dim_cuda_templateItEESt5tupleIJNSA_6TensorESF_SF_EERKSF_lbbbEUlllE_EE10hipError_tT0_T1_T2_jT3_P12ihipStream_tbPNSt15iterator_traitsISL_E10value_typeEPNSR_ISM_E10value_typeEPSN_NS1_7vsmem_tEENKUlT_SL_SM_SN_E_clIS8_S8_S9_S9_EESK_S10_SL_SM_SN_EUlS10_E1_NS1_11comp_targetILNS1_3genE9ELNS1_11target_archE1100ELNS1_3gpuE3ELNS1_3repE0EEENS1_36merge_oddeven_config_static_selectorELNS0_4arch9wavefront6targetE0EEEvSM_.has_recursion, 0
	.set _ZN7rocprim17ROCPRIM_400000_NS6detail17trampoline_kernelINS0_14default_configENS1_38merge_sort_block_merge_config_selectorIlNS0_10empty_typeEEEZZNS1_27merge_sort_block_merge_implIS3_PlPS5_mZN2at6native12_GLOBAL__N_124unique_dim_cuda_templateItEESt5tupleIJNSA_6TensorESF_SF_EERKSF_lbbbEUlllE_EE10hipError_tT0_T1_T2_jT3_P12ihipStream_tbPNSt15iterator_traitsISL_E10value_typeEPNSR_ISM_E10value_typeEPSN_NS1_7vsmem_tEENKUlT_SL_SM_SN_E_clIS8_S8_S9_S9_EESK_S10_SL_SM_SN_EUlS10_E1_NS1_11comp_targetILNS1_3genE9ELNS1_11target_archE1100ELNS1_3gpuE3ELNS1_3repE0EEENS1_36merge_oddeven_config_static_selectorELNS0_4arch9wavefront6targetE0EEEvSM_.has_indirect_call, 0
	.section	.AMDGPU.csdata,"",@progbits
; Kernel info:
; codeLenInByte = 0
; TotalNumSgprs: 0
; NumVgprs: 0
; ScratchSize: 0
; MemoryBound: 0
; FloatMode: 240
; IeeeMode: 1
; LDSByteSize: 0 bytes/workgroup (compile time only)
; SGPRBlocks: 0
; VGPRBlocks: 0
; NumSGPRsForWavesPerEU: 1
; NumVGPRsForWavesPerEU: 1
; NamedBarCnt: 0
; Occupancy: 16
; WaveLimiterHint : 0
; COMPUTE_PGM_RSRC2:SCRATCH_EN: 0
; COMPUTE_PGM_RSRC2:USER_SGPR: 2
; COMPUTE_PGM_RSRC2:TRAP_HANDLER: 0
; COMPUTE_PGM_RSRC2:TGID_X_EN: 1
; COMPUTE_PGM_RSRC2:TGID_Y_EN: 0
; COMPUTE_PGM_RSRC2:TGID_Z_EN: 0
; COMPUTE_PGM_RSRC2:TIDIG_COMP_CNT: 0
	.section	.text._ZN7rocprim17ROCPRIM_400000_NS6detail17trampoline_kernelINS0_14default_configENS1_38merge_sort_block_merge_config_selectorIlNS0_10empty_typeEEEZZNS1_27merge_sort_block_merge_implIS3_PlPS5_mZN2at6native12_GLOBAL__N_124unique_dim_cuda_templateItEESt5tupleIJNSA_6TensorESF_SF_EERKSF_lbbbEUlllE_EE10hipError_tT0_T1_T2_jT3_P12ihipStream_tbPNSt15iterator_traitsISL_E10value_typeEPNSR_ISM_E10value_typeEPSN_NS1_7vsmem_tEENKUlT_SL_SM_SN_E_clIS8_S8_S9_S9_EESK_S10_SL_SM_SN_EUlS10_E1_NS1_11comp_targetILNS1_3genE8ELNS1_11target_archE1030ELNS1_3gpuE2ELNS1_3repE0EEENS1_36merge_oddeven_config_static_selectorELNS0_4arch9wavefront6targetE0EEEvSM_,"axG",@progbits,_ZN7rocprim17ROCPRIM_400000_NS6detail17trampoline_kernelINS0_14default_configENS1_38merge_sort_block_merge_config_selectorIlNS0_10empty_typeEEEZZNS1_27merge_sort_block_merge_implIS3_PlPS5_mZN2at6native12_GLOBAL__N_124unique_dim_cuda_templateItEESt5tupleIJNSA_6TensorESF_SF_EERKSF_lbbbEUlllE_EE10hipError_tT0_T1_T2_jT3_P12ihipStream_tbPNSt15iterator_traitsISL_E10value_typeEPNSR_ISM_E10value_typeEPSN_NS1_7vsmem_tEENKUlT_SL_SM_SN_E_clIS8_S8_S9_S9_EESK_S10_SL_SM_SN_EUlS10_E1_NS1_11comp_targetILNS1_3genE8ELNS1_11target_archE1030ELNS1_3gpuE2ELNS1_3repE0EEENS1_36merge_oddeven_config_static_selectorELNS0_4arch9wavefront6targetE0EEEvSM_,comdat
	.globl	_ZN7rocprim17ROCPRIM_400000_NS6detail17trampoline_kernelINS0_14default_configENS1_38merge_sort_block_merge_config_selectorIlNS0_10empty_typeEEEZZNS1_27merge_sort_block_merge_implIS3_PlPS5_mZN2at6native12_GLOBAL__N_124unique_dim_cuda_templateItEESt5tupleIJNSA_6TensorESF_SF_EERKSF_lbbbEUlllE_EE10hipError_tT0_T1_T2_jT3_P12ihipStream_tbPNSt15iterator_traitsISL_E10value_typeEPNSR_ISM_E10value_typeEPSN_NS1_7vsmem_tEENKUlT_SL_SM_SN_E_clIS8_S8_S9_S9_EESK_S10_SL_SM_SN_EUlS10_E1_NS1_11comp_targetILNS1_3genE8ELNS1_11target_archE1030ELNS1_3gpuE2ELNS1_3repE0EEENS1_36merge_oddeven_config_static_selectorELNS0_4arch9wavefront6targetE0EEEvSM_ ; -- Begin function _ZN7rocprim17ROCPRIM_400000_NS6detail17trampoline_kernelINS0_14default_configENS1_38merge_sort_block_merge_config_selectorIlNS0_10empty_typeEEEZZNS1_27merge_sort_block_merge_implIS3_PlPS5_mZN2at6native12_GLOBAL__N_124unique_dim_cuda_templateItEESt5tupleIJNSA_6TensorESF_SF_EERKSF_lbbbEUlllE_EE10hipError_tT0_T1_T2_jT3_P12ihipStream_tbPNSt15iterator_traitsISL_E10value_typeEPNSR_ISM_E10value_typeEPSN_NS1_7vsmem_tEENKUlT_SL_SM_SN_E_clIS8_S8_S9_S9_EESK_S10_SL_SM_SN_EUlS10_E1_NS1_11comp_targetILNS1_3genE8ELNS1_11target_archE1030ELNS1_3gpuE2ELNS1_3repE0EEENS1_36merge_oddeven_config_static_selectorELNS0_4arch9wavefront6targetE0EEEvSM_
	.p2align	8
	.type	_ZN7rocprim17ROCPRIM_400000_NS6detail17trampoline_kernelINS0_14default_configENS1_38merge_sort_block_merge_config_selectorIlNS0_10empty_typeEEEZZNS1_27merge_sort_block_merge_implIS3_PlPS5_mZN2at6native12_GLOBAL__N_124unique_dim_cuda_templateItEESt5tupleIJNSA_6TensorESF_SF_EERKSF_lbbbEUlllE_EE10hipError_tT0_T1_T2_jT3_P12ihipStream_tbPNSt15iterator_traitsISL_E10value_typeEPNSR_ISM_E10value_typeEPSN_NS1_7vsmem_tEENKUlT_SL_SM_SN_E_clIS8_S8_S9_S9_EESK_S10_SL_SM_SN_EUlS10_E1_NS1_11comp_targetILNS1_3genE8ELNS1_11target_archE1030ELNS1_3gpuE2ELNS1_3repE0EEENS1_36merge_oddeven_config_static_selectorELNS0_4arch9wavefront6targetE0EEEvSM_,@function
_ZN7rocprim17ROCPRIM_400000_NS6detail17trampoline_kernelINS0_14default_configENS1_38merge_sort_block_merge_config_selectorIlNS0_10empty_typeEEEZZNS1_27merge_sort_block_merge_implIS3_PlPS5_mZN2at6native12_GLOBAL__N_124unique_dim_cuda_templateItEESt5tupleIJNSA_6TensorESF_SF_EERKSF_lbbbEUlllE_EE10hipError_tT0_T1_T2_jT3_P12ihipStream_tbPNSt15iterator_traitsISL_E10value_typeEPNSR_ISM_E10value_typeEPSN_NS1_7vsmem_tEENKUlT_SL_SM_SN_E_clIS8_S8_S9_S9_EESK_S10_SL_SM_SN_EUlS10_E1_NS1_11comp_targetILNS1_3genE8ELNS1_11target_archE1030ELNS1_3gpuE2ELNS1_3repE0EEENS1_36merge_oddeven_config_static_selectorELNS0_4arch9wavefront6targetE0EEEvSM_: ; @_ZN7rocprim17ROCPRIM_400000_NS6detail17trampoline_kernelINS0_14default_configENS1_38merge_sort_block_merge_config_selectorIlNS0_10empty_typeEEEZZNS1_27merge_sort_block_merge_implIS3_PlPS5_mZN2at6native12_GLOBAL__N_124unique_dim_cuda_templateItEESt5tupleIJNSA_6TensorESF_SF_EERKSF_lbbbEUlllE_EE10hipError_tT0_T1_T2_jT3_P12ihipStream_tbPNSt15iterator_traitsISL_E10value_typeEPNSR_ISM_E10value_typeEPSN_NS1_7vsmem_tEENKUlT_SL_SM_SN_E_clIS8_S8_S9_S9_EESK_S10_SL_SM_SN_EUlS10_E1_NS1_11comp_targetILNS1_3genE8ELNS1_11target_archE1030ELNS1_3gpuE2ELNS1_3repE0EEENS1_36merge_oddeven_config_static_selectorELNS0_4arch9wavefront6targetE0EEEvSM_
; %bb.0:
	.section	.rodata,"a",@progbits
	.p2align	6, 0x0
	.amdhsa_kernel _ZN7rocprim17ROCPRIM_400000_NS6detail17trampoline_kernelINS0_14default_configENS1_38merge_sort_block_merge_config_selectorIlNS0_10empty_typeEEEZZNS1_27merge_sort_block_merge_implIS3_PlPS5_mZN2at6native12_GLOBAL__N_124unique_dim_cuda_templateItEESt5tupleIJNSA_6TensorESF_SF_EERKSF_lbbbEUlllE_EE10hipError_tT0_T1_T2_jT3_P12ihipStream_tbPNSt15iterator_traitsISL_E10value_typeEPNSR_ISM_E10value_typeEPSN_NS1_7vsmem_tEENKUlT_SL_SM_SN_E_clIS8_S8_S9_S9_EESK_S10_SL_SM_SN_EUlS10_E1_NS1_11comp_targetILNS1_3genE8ELNS1_11target_archE1030ELNS1_3gpuE2ELNS1_3repE0EEENS1_36merge_oddeven_config_static_selectorELNS0_4arch9wavefront6targetE0EEEvSM_
		.amdhsa_group_segment_fixed_size 0
		.amdhsa_private_segment_fixed_size 0
		.amdhsa_kernarg_size 64
		.amdhsa_user_sgpr_count 2
		.amdhsa_user_sgpr_dispatch_ptr 0
		.amdhsa_user_sgpr_queue_ptr 0
		.amdhsa_user_sgpr_kernarg_segment_ptr 1
		.amdhsa_user_sgpr_dispatch_id 0
		.amdhsa_user_sgpr_kernarg_preload_length 0
		.amdhsa_user_sgpr_kernarg_preload_offset 0
		.amdhsa_user_sgpr_private_segment_size 0
		.amdhsa_wavefront_size32 1
		.amdhsa_uses_dynamic_stack 0
		.amdhsa_enable_private_segment 0
		.amdhsa_system_sgpr_workgroup_id_x 1
		.amdhsa_system_sgpr_workgroup_id_y 0
		.amdhsa_system_sgpr_workgroup_id_z 0
		.amdhsa_system_sgpr_workgroup_info 0
		.amdhsa_system_vgpr_workitem_id 0
		.amdhsa_next_free_vgpr 1
		.amdhsa_next_free_sgpr 1
		.amdhsa_named_barrier_count 0
		.amdhsa_reserve_vcc 0
		.amdhsa_float_round_mode_32 0
		.amdhsa_float_round_mode_16_64 0
		.amdhsa_float_denorm_mode_32 3
		.amdhsa_float_denorm_mode_16_64 3
		.amdhsa_fp16_overflow 0
		.amdhsa_memory_ordered 1
		.amdhsa_forward_progress 1
		.amdhsa_inst_pref_size 0
		.amdhsa_round_robin_scheduling 0
		.amdhsa_exception_fp_ieee_invalid_op 0
		.amdhsa_exception_fp_denorm_src 0
		.amdhsa_exception_fp_ieee_div_zero 0
		.amdhsa_exception_fp_ieee_overflow 0
		.amdhsa_exception_fp_ieee_underflow 0
		.amdhsa_exception_fp_ieee_inexact 0
		.amdhsa_exception_int_div_zero 0
	.end_amdhsa_kernel
	.section	.text._ZN7rocprim17ROCPRIM_400000_NS6detail17trampoline_kernelINS0_14default_configENS1_38merge_sort_block_merge_config_selectorIlNS0_10empty_typeEEEZZNS1_27merge_sort_block_merge_implIS3_PlPS5_mZN2at6native12_GLOBAL__N_124unique_dim_cuda_templateItEESt5tupleIJNSA_6TensorESF_SF_EERKSF_lbbbEUlllE_EE10hipError_tT0_T1_T2_jT3_P12ihipStream_tbPNSt15iterator_traitsISL_E10value_typeEPNSR_ISM_E10value_typeEPSN_NS1_7vsmem_tEENKUlT_SL_SM_SN_E_clIS8_S8_S9_S9_EESK_S10_SL_SM_SN_EUlS10_E1_NS1_11comp_targetILNS1_3genE8ELNS1_11target_archE1030ELNS1_3gpuE2ELNS1_3repE0EEENS1_36merge_oddeven_config_static_selectorELNS0_4arch9wavefront6targetE0EEEvSM_,"axG",@progbits,_ZN7rocprim17ROCPRIM_400000_NS6detail17trampoline_kernelINS0_14default_configENS1_38merge_sort_block_merge_config_selectorIlNS0_10empty_typeEEEZZNS1_27merge_sort_block_merge_implIS3_PlPS5_mZN2at6native12_GLOBAL__N_124unique_dim_cuda_templateItEESt5tupleIJNSA_6TensorESF_SF_EERKSF_lbbbEUlllE_EE10hipError_tT0_T1_T2_jT3_P12ihipStream_tbPNSt15iterator_traitsISL_E10value_typeEPNSR_ISM_E10value_typeEPSN_NS1_7vsmem_tEENKUlT_SL_SM_SN_E_clIS8_S8_S9_S9_EESK_S10_SL_SM_SN_EUlS10_E1_NS1_11comp_targetILNS1_3genE8ELNS1_11target_archE1030ELNS1_3gpuE2ELNS1_3repE0EEENS1_36merge_oddeven_config_static_selectorELNS0_4arch9wavefront6targetE0EEEvSM_,comdat
.Lfunc_end1393:
	.size	_ZN7rocprim17ROCPRIM_400000_NS6detail17trampoline_kernelINS0_14default_configENS1_38merge_sort_block_merge_config_selectorIlNS0_10empty_typeEEEZZNS1_27merge_sort_block_merge_implIS3_PlPS5_mZN2at6native12_GLOBAL__N_124unique_dim_cuda_templateItEESt5tupleIJNSA_6TensorESF_SF_EERKSF_lbbbEUlllE_EE10hipError_tT0_T1_T2_jT3_P12ihipStream_tbPNSt15iterator_traitsISL_E10value_typeEPNSR_ISM_E10value_typeEPSN_NS1_7vsmem_tEENKUlT_SL_SM_SN_E_clIS8_S8_S9_S9_EESK_S10_SL_SM_SN_EUlS10_E1_NS1_11comp_targetILNS1_3genE8ELNS1_11target_archE1030ELNS1_3gpuE2ELNS1_3repE0EEENS1_36merge_oddeven_config_static_selectorELNS0_4arch9wavefront6targetE0EEEvSM_, .Lfunc_end1393-_ZN7rocprim17ROCPRIM_400000_NS6detail17trampoline_kernelINS0_14default_configENS1_38merge_sort_block_merge_config_selectorIlNS0_10empty_typeEEEZZNS1_27merge_sort_block_merge_implIS3_PlPS5_mZN2at6native12_GLOBAL__N_124unique_dim_cuda_templateItEESt5tupleIJNSA_6TensorESF_SF_EERKSF_lbbbEUlllE_EE10hipError_tT0_T1_T2_jT3_P12ihipStream_tbPNSt15iterator_traitsISL_E10value_typeEPNSR_ISM_E10value_typeEPSN_NS1_7vsmem_tEENKUlT_SL_SM_SN_E_clIS8_S8_S9_S9_EESK_S10_SL_SM_SN_EUlS10_E1_NS1_11comp_targetILNS1_3genE8ELNS1_11target_archE1030ELNS1_3gpuE2ELNS1_3repE0EEENS1_36merge_oddeven_config_static_selectorELNS0_4arch9wavefront6targetE0EEEvSM_
                                        ; -- End function
	.set _ZN7rocprim17ROCPRIM_400000_NS6detail17trampoline_kernelINS0_14default_configENS1_38merge_sort_block_merge_config_selectorIlNS0_10empty_typeEEEZZNS1_27merge_sort_block_merge_implIS3_PlPS5_mZN2at6native12_GLOBAL__N_124unique_dim_cuda_templateItEESt5tupleIJNSA_6TensorESF_SF_EERKSF_lbbbEUlllE_EE10hipError_tT0_T1_T2_jT3_P12ihipStream_tbPNSt15iterator_traitsISL_E10value_typeEPNSR_ISM_E10value_typeEPSN_NS1_7vsmem_tEENKUlT_SL_SM_SN_E_clIS8_S8_S9_S9_EESK_S10_SL_SM_SN_EUlS10_E1_NS1_11comp_targetILNS1_3genE8ELNS1_11target_archE1030ELNS1_3gpuE2ELNS1_3repE0EEENS1_36merge_oddeven_config_static_selectorELNS0_4arch9wavefront6targetE0EEEvSM_.num_vgpr, 0
	.set _ZN7rocprim17ROCPRIM_400000_NS6detail17trampoline_kernelINS0_14default_configENS1_38merge_sort_block_merge_config_selectorIlNS0_10empty_typeEEEZZNS1_27merge_sort_block_merge_implIS3_PlPS5_mZN2at6native12_GLOBAL__N_124unique_dim_cuda_templateItEESt5tupleIJNSA_6TensorESF_SF_EERKSF_lbbbEUlllE_EE10hipError_tT0_T1_T2_jT3_P12ihipStream_tbPNSt15iterator_traitsISL_E10value_typeEPNSR_ISM_E10value_typeEPSN_NS1_7vsmem_tEENKUlT_SL_SM_SN_E_clIS8_S8_S9_S9_EESK_S10_SL_SM_SN_EUlS10_E1_NS1_11comp_targetILNS1_3genE8ELNS1_11target_archE1030ELNS1_3gpuE2ELNS1_3repE0EEENS1_36merge_oddeven_config_static_selectorELNS0_4arch9wavefront6targetE0EEEvSM_.num_agpr, 0
	.set _ZN7rocprim17ROCPRIM_400000_NS6detail17trampoline_kernelINS0_14default_configENS1_38merge_sort_block_merge_config_selectorIlNS0_10empty_typeEEEZZNS1_27merge_sort_block_merge_implIS3_PlPS5_mZN2at6native12_GLOBAL__N_124unique_dim_cuda_templateItEESt5tupleIJNSA_6TensorESF_SF_EERKSF_lbbbEUlllE_EE10hipError_tT0_T1_T2_jT3_P12ihipStream_tbPNSt15iterator_traitsISL_E10value_typeEPNSR_ISM_E10value_typeEPSN_NS1_7vsmem_tEENKUlT_SL_SM_SN_E_clIS8_S8_S9_S9_EESK_S10_SL_SM_SN_EUlS10_E1_NS1_11comp_targetILNS1_3genE8ELNS1_11target_archE1030ELNS1_3gpuE2ELNS1_3repE0EEENS1_36merge_oddeven_config_static_selectorELNS0_4arch9wavefront6targetE0EEEvSM_.numbered_sgpr, 0
	.set _ZN7rocprim17ROCPRIM_400000_NS6detail17trampoline_kernelINS0_14default_configENS1_38merge_sort_block_merge_config_selectorIlNS0_10empty_typeEEEZZNS1_27merge_sort_block_merge_implIS3_PlPS5_mZN2at6native12_GLOBAL__N_124unique_dim_cuda_templateItEESt5tupleIJNSA_6TensorESF_SF_EERKSF_lbbbEUlllE_EE10hipError_tT0_T1_T2_jT3_P12ihipStream_tbPNSt15iterator_traitsISL_E10value_typeEPNSR_ISM_E10value_typeEPSN_NS1_7vsmem_tEENKUlT_SL_SM_SN_E_clIS8_S8_S9_S9_EESK_S10_SL_SM_SN_EUlS10_E1_NS1_11comp_targetILNS1_3genE8ELNS1_11target_archE1030ELNS1_3gpuE2ELNS1_3repE0EEENS1_36merge_oddeven_config_static_selectorELNS0_4arch9wavefront6targetE0EEEvSM_.num_named_barrier, 0
	.set _ZN7rocprim17ROCPRIM_400000_NS6detail17trampoline_kernelINS0_14default_configENS1_38merge_sort_block_merge_config_selectorIlNS0_10empty_typeEEEZZNS1_27merge_sort_block_merge_implIS3_PlPS5_mZN2at6native12_GLOBAL__N_124unique_dim_cuda_templateItEESt5tupleIJNSA_6TensorESF_SF_EERKSF_lbbbEUlllE_EE10hipError_tT0_T1_T2_jT3_P12ihipStream_tbPNSt15iterator_traitsISL_E10value_typeEPNSR_ISM_E10value_typeEPSN_NS1_7vsmem_tEENKUlT_SL_SM_SN_E_clIS8_S8_S9_S9_EESK_S10_SL_SM_SN_EUlS10_E1_NS1_11comp_targetILNS1_3genE8ELNS1_11target_archE1030ELNS1_3gpuE2ELNS1_3repE0EEENS1_36merge_oddeven_config_static_selectorELNS0_4arch9wavefront6targetE0EEEvSM_.private_seg_size, 0
	.set _ZN7rocprim17ROCPRIM_400000_NS6detail17trampoline_kernelINS0_14default_configENS1_38merge_sort_block_merge_config_selectorIlNS0_10empty_typeEEEZZNS1_27merge_sort_block_merge_implIS3_PlPS5_mZN2at6native12_GLOBAL__N_124unique_dim_cuda_templateItEESt5tupleIJNSA_6TensorESF_SF_EERKSF_lbbbEUlllE_EE10hipError_tT0_T1_T2_jT3_P12ihipStream_tbPNSt15iterator_traitsISL_E10value_typeEPNSR_ISM_E10value_typeEPSN_NS1_7vsmem_tEENKUlT_SL_SM_SN_E_clIS8_S8_S9_S9_EESK_S10_SL_SM_SN_EUlS10_E1_NS1_11comp_targetILNS1_3genE8ELNS1_11target_archE1030ELNS1_3gpuE2ELNS1_3repE0EEENS1_36merge_oddeven_config_static_selectorELNS0_4arch9wavefront6targetE0EEEvSM_.uses_vcc, 0
	.set _ZN7rocprim17ROCPRIM_400000_NS6detail17trampoline_kernelINS0_14default_configENS1_38merge_sort_block_merge_config_selectorIlNS0_10empty_typeEEEZZNS1_27merge_sort_block_merge_implIS3_PlPS5_mZN2at6native12_GLOBAL__N_124unique_dim_cuda_templateItEESt5tupleIJNSA_6TensorESF_SF_EERKSF_lbbbEUlllE_EE10hipError_tT0_T1_T2_jT3_P12ihipStream_tbPNSt15iterator_traitsISL_E10value_typeEPNSR_ISM_E10value_typeEPSN_NS1_7vsmem_tEENKUlT_SL_SM_SN_E_clIS8_S8_S9_S9_EESK_S10_SL_SM_SN_EUlS10_E1_NS1_11comp_targetILNS1_3genE8ELNS1_11target_archE1030ELNS1_3gpuE2ELNS1_3repE0EEENS1_36merge_oddeven_config_static_selectorELNS0_4arch9wavefront6targetE0EEEvSM_.uses_flat_scratch, 0
	.set _ZN7rocprim17ROCPRIM_400000_NS6detail17trampoline_kernelINS0_14default_configENS1_38merge_sort_block_merge_config_selectorIlNS0_10empty_typeEEEZZNS1_27merge_sort_block_merge_implIS3_PlPS5_mZN2at6native12_GLOBAL__N_124unique_dim_cuda_templateItEESt5tupleIJNSA_6TensorESF_SF_EERKSF_lbbbEUlllE_EE10hipError_tT0_T1_T2_jT3_P12ihipStream_tbPNSt15iterator_traitsISL_E10value_typeEPNSR_ISM_E10value_typeEPSN_NS1_7vsmem_tEENKUlT_SL_SM_SN_E_clIS8_S8_S9_S9_EESK_S10_SL_SM_SN_EUlS10_E1_NS1_11comp_targetILNS1_3genE8ELNS1_11target_archE1030ELNS1_3gpuE2ELNS1_3repE0EEENS1_36merge_oddeven_config_static_selectorELNS0_4arch9wavefront6targetE0EEEvSM_.has_dyn_sized_stack, 0
	.set _ZN7rocprim17ROCPRIM_400000_NS6detail17trampoline_kernelINS0_14default_configENS1_38merge_sort_block_merge_config_selectorIlNS0_10empty_typeEEEZZNS1_27merge_sort_block_merge_implIS3_PlPS5_mZN2at6native12_GLOBAL__N_124unique_dim_cuda_templateItEESt5tupleIJNSA_6TensorESF_SF_EERKSF_lbbbEUlllE_EE10hipError_tT0_T1_T2_jT3_P12ihipStream_tbPNSt15iterator_traitsISL_E10value_typeEPNSR_ISM_E10value_typeEPSN_NS1_7vsmem_tEENKUlT_SL_SM_SN_E_clIS8_S8_S9_S9_EESK_S10_SL_SM_SN_EUlS10_E1_NS1_11comp_targetILNS1_3genE8ELNS1_11target_archE1030ELNS1_3gpuE2ELNS1_3repE0EEENS1_36merge_oddeven_config_static_selectorELNS0_4arch9wavefront6targetE0EEEvSM_.has_recursion, 0
	.set _ZN7rocprim17ROCPRIM_400000_NS6detail17trampoline_kernelINS0_14default_configENS1_38merge_sort_block_merge_config_selectorIlNS0_10empty_typeEEEZZNS1_27merge_sort_block_merge_implIS3_PlPS5_mZN2at6native12_GLOBAL__N_124unique_dim_cuda_templateItEESt5tupleIJNSA_6TensorESF_SF_EERKSF_lbbbEUlllE_EE10hipError_tT0_T1_T2_jT3_P12ihipStream_tbPNSt15iterator_traitsISL_E10value_typeEPNSR_ISM_E10value_typeEPSN_NS1_7vsmem_tEENKUlT_SL_SM_SN_E_clIS8_S8_S9_S9_EESK_S10_SL_SM_SN_EUlS10_E1_NS1_11comp_targetILNS1_3genE8ELNS1_11target_archE1030ELNS1_3gpuE2ELNS1_3repE0EEENS1_36merge_oddeven_config_static_selectorELNS0_4arch9wavefront6targetE0EEEvSM_.has_indirect_call, 0
	.section	.AMDGPU.csdata,"",@progbits
; Kernel info:
; codeLenInByte = 0
; TotalNumSgprs: 0
; NumVgprs: 0
; ScratchSize: 0
; MemoryBound: 0
; FloatMode: 240
; IeeeMode: 1
; LDSByteSize: 0 bytes/workgroup (compile time only)
; SGPRBlocks: 0
; VGPRBlocks: 0
; NumSGPRsForWavesPerEU: 1
; NumVGPRsForWavesPerEU: 1
; NamedBarCnt: 0
; Occupancy: 16
; WaveLimiterHint : 0
; COMPUTE_PGM_RSRC2:SCRATCH_EN: 0
; COMPUTE_PGM_RSRC2:USER_SGPR: 2
; COMPUTE_PGM_RSRC2:TRAP_HANDLER: 0
; COMPUTE_PGM_RSRC2:TGID_X_EN: 1
; COMPUTE_PGM_RSRC2:TGID_Y_EN: 0
; COMPUTE_PGM_RSRC2:TGID_Z_EN: 0
; COMPUTE_PGM_RSRC2:TIDIG_COMP_CNT: 0
	.section	.text._ZN7rocprim17ROCPRIM_400000_NS6detail17trampoline_kernelINS0_14default_configENS1_35adjacent_difference_config_selectorILb0ElEEZNS1_24adjacent_difference_implIS3_Lb0ELb0EPlS7_ZN2at6native12_GLOBAL__N_124unique_dim_cuda_templateItEESt5tupleIJNS8_6TensorESD_SD_EERKSD_lbbbEUlllE1_EE10hipError_tPvRmT2_T3_mT4_P12ihipStream_tbEUlT_E_NS1_11comp_targetILNS1_3genE0ELNS1_11target_archE4294967295ELNS1_3gpuE0ELNS1_3repE0EEENS1_30default_config_static_selectorELNS0_4arch9wavefront6targetE0EEEvT1_,"axG",@progbits,_ZN7rocprim17ROCPRIM_400000_NS6detail17trampoline_kernelINS0_14default_configENS1_35adjacent_difference_config_selectorILb0ElEEZNS1_24adjacent_difference_implIS3_Lb0ELb0EPlS7_ZN2at6native12_GLOBAL__N_124unique_dim_cuda_templateItEESt5tupleIJNS8_6TensorESD_SD_EERKSD_lbbbEUlllE1_EE10hipError_tPvRmT2_T3_mT4_P12ihipStream_tbEUlT_E_NS1_11comp_targetILNS1_3genE0ELNS1_11target_archE4294967295ELNS1_3gpuE0ELNS1_3repE0EEENS1_30default_config_static_selectorELNS0_4arch9wavefront6targetE0EEEvT1_,comdat
	.globl	_ZN7rocprim17ROCPRIM_400000_NS6detail17trampoline_kernelINS0_14default_configENS1_35adjacent_difference_config_selectorILb0ElEEZNS1_24adjacent_difference_implIS3_Lb0ELb0EPlS7_ZN2at6native12_GLOBAL__N_124unique_dim_cuda_templateItEESt5tupleIJNS8_6TensorESD_SD_EERKSD_lbbbEUlllE1_EE10hipError_tPvRmT2_T3_mT4_P12ihipStream_tbEUlT_E_NS1_11comp_targetILNS1_3genE0ELNS1_11target_archE4294967295ELNS1_3gpuE0ELNS1_3repE0EEENS1_30default_config_static_selectorELNS0_4arch9wavefront6targetE0EEEvT1_ ; -- Begin function _ZN7rocprim17ROCPRIM_400000_NS6detail17trampoline_kernelINS0_14default_configENS1_35adjacent_difference_config_selectorILb0ElEEZNS1_24adjacent_difference_implIS3_Lb0ELb0EPlS7_ZN2at6native12_GLOBAL__N_124unique_dim_cuda_templateItEESt5tupleIJNS8_6TensorESD_SD_EERKSD_lbbbEUlllE1_EE10hipError_tPvRmT2_T3_mT4_P12ihipStream_tbEUlT_E_NS1_11comp_targetILNS1_3genE0ELNS1_11target_archE4294967295ELNS1_3gpuE0ELNS1_3repE0EEENS1_30default_config_static_selectorELNS0_4arch9wavefront6targetE0EEEvT1_
	.p2align	8
	.type	_ZN7rocprim17ROCPRIM_400000_NS6detail17trampoline_kernelINS0_14default_configENS1_35adjacent_difference_config_selectorILb0ElEEZNS1_24adjacent_difference_implIS3_Lb0ELb0EPlS7_ZN2at6native12_GLOBAL__N_124unique_dim_cuda_templateItEESt5tupleIJNS8_6TensorESD_SD_EERKSD_lbbbEUlllE1_EE10hipError_tPvRmT2_T3_mT4_P12ihipStream_tbEUlT_E_NS1_11comp_targetILNS1_3genE0ELNS1_11target_archE4294967295ELNS1_3gpuE0ELNS1_3repE0EEENS1_30default_config_static_selectorELNS0_4arch9wavefront6targetE0EEEvT1_,@function
_ZN7rocprim17ROCPRIM_400000_NS6detail17trampoline_kernelINS0_14default_configENS1_35adjacent_difference_config_selectorILb0ElEEZNS1_24adjacent_difference_implIS3_Lb0ELb0EPlS7_ZN2at6native12_GLOBAL__N_124unique_dim_cuda_templateItEESt5tupleIJNS8_6TensorESD_SD_EERKSD_lbbbEUlllE1_EE10hipError_tPvRmT2_T3_mT4_P12ihipStream_tbEUlT_E_NS1_11comp_targetILNS1_3genE0ELNS1_11target_archE4294967295ELNS1_3gpuE0ELNS1_3repE0EEENS1_30default_config_static_selectorELNS0_4arch9wavefront6targetE0EEEvT1_: ; @_ZN7rocprim17ROCPRIM_400000_NS6detail17trampoline_kernelINS0_14default_configENS1_35adjacent_difference_config_selectorILb0ElEEZNS1_24adjacent_difference_implIS3_Lb0ELb0EPlS7_ZN2at6native12_GLOBAL__N_124unique_dim_cuda_templateItEESt5tupleIJNS8_6TensorESD_SD_EERKSD_lbbbEUlllE1_EE10hipError_tPvRmT2_T3_mT4_P12ihipStream_tbEUlT_E_NS1_11comp_targetILNS1_3genE0ELNS1_11target_archE4294967295ELNS1_3gpuE0ELNS1_3repE0EEENS1_30default_config_static_selectorELNS0_4arch9wavefront6targetE0EEEvT1_
; %bb.0:
	s_load_b256 s[4:11], s[0:1], 0x0
	s_bfe_u32 s2, ttmp6, 0x4000c
	s_and_b32 s3, ttmp6, 15
	s_add_co_i32 s2, s2, 1
	s_getreg_b32 s12, hwreg(HW_REG_IB_STS2, 6, 4)
	s_mul_i32 s2, ttmp9, s2
	s_load_b64 s[16:17], s[0:1], 0x38
	s_add_co_i32 s3, s3, s2
	s_mov_b32 s23, 0
	s_delay_alu instid0(SALU_CYCLE_1)
	s_mov_b32 s19, s23
	s_wait_kmcnt 0x0
	s_lshl_b64 s[6:7], s[6:7], 3
	s_cmp_eq_u32 s12, 0
	s_add_nc_u64 s[4:5], s[4:5], s[6:7]
	s_cselect_b32 s18, ttmp9, s3
	s_and_b64 s[12:13], s[10:11], 0x7f
	s_lshr_b64 s[20:21], s[10:11], 7
	s_lshl_b32 s2, s18, 7
	s_cmp_lg_u64 s[12:13], 0
	s_load_b128 s[12:15], s[0:1], 0x20
	s_cselect_b32 s3, -1, 0
	s_add_nc_u64 s[18:19], s[16:17], s[18:19]
	v_cndmask_b32_e64 v1, 0, 1, s3
	s_delay_alu instid0(VALU_DEP_1) | instskip(SKIP_2) | instid1(SALU_CYCLE_1)
	v_readfirstlane_b32 s22, v1
	s_wait_xcnt 0x0
	s_add_nc_u64 s[0:1], s[20:21], s[22:23]
	s_add_nc_u64 s[16:17], s[0:1], -1
	s_delay_alu instid0(SALU_CYCLE_1)
	v_cmp_ge_u64_e64 s11, s[18:19], s[16:17]
	s_and_b32 vcc_lo, exec_lo, s11
	s_cbranch_vccz .LBB1394_4
; %bb.1:
	s_lshl_b32 s3, s16, 7
	s_mov_b32 s20, exec_lo
	s_sub_co_i32 s3, s10, s3
                                        ; implicit-def: $vgpr2_vgpr3
	s_delay_alu instid0(SALU_CYCLE_1)
	v_cmpx_gt_u32_e64 s3, v0
	s_cbranch_execz .LBB1394_3
; %bb.2:
	s_mov_b32 s3, 0
	s_delay_alu instid0(SALU_CYCLE_1) | instskip(NEXT) | instid1(SALU_CYCLE_1)
	s_lshl_b64 s[22:23], s[2:3], 3
	s_add_nc_u64 s[22:23], s[4:5], s[22:23]
	global_load_b64 v[2:3], v0, s[22:23] scale_offset
.LBB1394_3:
	s_wait_xcnt 0x0
	s_or_b32 exec_lo, exec_lo, s20
	v_lshlrev_b32_e32 v1, 3, v0
	s_wait_loadcnt 0x0
	ds_store_b64 v1, v[2:3]
	s_wait_dscnt 0x0
	s_barrier_signal -1
	s_barrier_wait -1
	s_branch .LBB1394_6
.LBB1394_4:
                                        ; implicit-def: $vgpr1
	s_cbranch_execz .LBB1394_6
; %bb.5:
	s_mov_b32 s3, 0
	v_lshlrev_b32_e32 v1, 3, v0
	s_lshl_b64 s[20:21], s[2:3], 3
	s_delay_alu instid0(SALU_CYCLE_1)
	s_add_nc_u64 s[20:21], s[4:5], s[20:21]
	global_load_b64 v[2:3], v0, s[20:21] scale_offset
	s_wait_loadcnt 0x0
	ds_store_b64 v1, v[2:3]
	s_wait_dscnt 0x0
	s_barrier_signal -1
	s_barrier_wait -1
.LBB1394_6:
	ds_load_b64 v[2:3], v1
	s_cmp_eq_u64 s[18:19], 0
	s_wait_dscnt 0x0
	s_barrier_signal -1
	s_barrier_wait -1
	s_cbranch_scc1 .LBB1394_15
; %bb.7:
	s_mov_b32 s3, 0
	s_delay_alu instid0(SALU_CYCLE_1) | instskip(SKIP_2) | instid1(SALU_CYCLE_1)
	s_lshl_b64 s[20:21], s[2:3], 3
	s_cmp_eq_u64 s[18:19], s[16:17]
	s_add_nc_u64 s[4:5], s[4:5], s[20:21]
	s_add_nc_u64 s[4:5], s[4:5], -8
	s_load_b64 s[4:5], s[4:5], 0x0
	s_cbranch_scc1 .LBB1394_16
; %bb.8:
	s_wait_kmcnt 0x0
	v_mov_b64_e32 v[4:5], s[4:5]
	v_lshlrev_b32_e32 v1, 3, v0
	s_mov_b32 s3, exec_lo
	ds_store_b64 v1, v[2:3]
	s_wait_dscnt 0x0
	s_barrier_signal -1
	s_barrier_wait -1
	v_cmpx_ne_u32_e32 0, v0
; %bb.9:
	v_add_nc_u32_e32 v1, -8, v1
	ds_load_b64 v[4:5], v1
; %bb.10:
	s_or_b32 exec_lo, exec_lo, s3
	v_cmp_lt_i64_e64 s3, s[12:13], 1
	s_and_b32 vcc_lo, exec_lo, s3
	s_cbranch_vccnz .LBB1394_18
; %bb.11:
	v_mul_u64_e32 v[6:7], s[12:13], v[2:3]
	s_wait_dscnt 0x0
	v_mul_u64_e32 v[4:5], s[12:13], v[4:5]
	s_mov_b32 s3, 0
	s_mov_b64 s[20:21], s[12:13]
                                        ; implicit-def: $sgpr17
	s_delay_alu instid0(VALU_DEP_2) | instskip(NEXT) | instid1(VALU_DEP_2)
	v_lshl_add_u64 v[6:7], v[6:7], 1, s[14:15]
	v_lshl_add_u64 v[8:9], v[4:5], 1, s[14:15]
	s_branch .LBB1394_13
.LBB1394_12:                            ;   in Loop: Header=BB1394_13 Depth=1
	s_or_b32 exec_lo, exec_lo, s19
	s_delay_alu instid0(SALU_CYCLE_1) | instskip(NEXT) | instid1(SALU_CYCLE_1)
	s_and_b32 s19, exec_lo, s17
	s_or_b32 s3, s19, s3
	s_delay_alu instid0(SALU_CYCLE_1)
	s_and_not1_b32 exec_lo, exec_lo, s3
	s_cbranch_execz .LBB1394_17
.LBB1394_13:                            ; =>This Inner Loop Header: Depth=1
	global_load_u16 v1, v[6:7], off
	global_load_u16 v10, v[8:9], off
	v_mov_b64_e32 v[4:5], 1
	s_or_b32 s17, s17, exec_lo
	s_mov_b32 s19, exec_lo
	s_wait_loadcnt 0x0
	v_cmpx_eq_u16_e64 v1, v10
	s_cbranch_execz .LBB1394_12
; %bb.14:                               ;   in Loop: Header=BB1394_13 Depth=1
	s_add_nc_u64 s[20:21], s[20:21], -1
	v_add_nc_u64_e32 v[6:7], 2, v[6:7]
	s_cmp_eq_u64 s[20:21], 0
	v_add_nc_u64_e32 v[8:9], 2, v[8:9]
	v_mov_b64_e32 v[4:5], 0
	s_cselect_b32 s22, -1, 0
	s_and_not1_b32 s17, s17, exec_lo
	s_and_b32 s22, s22, exec_lo
	s_delay_alu instid0(SALU_CYCLE_1)
	s_or_b32 s17, s17, s22
	s_branch .LBB1394_12
.LBB1394_15:
                                        ; implicit-def: $vgpr4_vgpr5
	s_branch .LBB1394_31
.LBB1394_16:
                                        ; implicit-def: $vgpr4_vgpr5
	s_cbranch_execnz .LBB1394_19
	s_branch .LBB1394_30
.LBB1394_17:
	s_or_b32 exec_lo, exec_lo, s3
	s_branch .LBB1394_30
.LBB1394_18:
	s_wait_dscnt 0x0
	v_mov_b64_e32 v[4:5], 0
	s_branch .LBB1394_30
.LBB1394_19:
	s_wait_kmcnt 0x0
	v_mov_b64_e32 v[6:7], s[4:5]
	v_lshlrev_b32_e32 v1, 3, v0
	s_mov_b32 s3, exec_lo
	ds_store_b64 v1, v[2:3]
	s_wait_dscnt 0x0
	s_barrier_signal -1
	s_barrier_wait -1
	v_cmpx_ne_u32_e32 0, v0
; %bb.20:
	v_add_nc_u32_e32 v1, -8, v1
	ds_load_b64 v[6:7], v1
; %bb.21:
	s_or_b32 exec_lo, exec_lo, s3
	s_lshl_b32 s3, s18, 7
	v_mov_b64_e32 v[4:5], v[2:3]
	s_sub_co_i32 s3, s10, s3
	s_delay_alu instid0(SALU_CYCLE_1)
	v_cmp_gt_u32_e32 vcc_lo, s3, v0
	s_and_saveexec_b32 s3, vcc_lo
	s_cbranch_execz .LBB1394_29
; %bb.22:
	v_cmp_lt_i64_e64 s4, s[12:13], 1
	s_and_b32 vcc_lo, exec_lo, s4
	s_cbranch_vccnz .LBB1394_28
; %bb.23:
	v_mul_u64_e32 v[4:5], s[12:13], v[2:3]
	s_wait_dscnt 0x0
	v_mul_u64_e32 v[8:9], s[12:13], v[6:7]
	s_mov_b32 s17, 0
	s_mov_b64 s[4:5], s[12:13]
                                        ; implicit-def: $sgpr18
	s_delay_alu instid0(VALU_DEP_2) | instskip(NEXT) | instid1(VALU_DEP_2)
	v_lshl_add_u64 v[6:7], v[4:5], 1, s[14:15]
	v_lshl_add_u64 v[8:9], v[8:9], 1, s[14:15]
	s_branch .LBB1394_25
.LBB1394_24:                            ;   in Loop: Header=BB1394_25 Depth=1
	s_or_b32 exec_lo, exec_lo, s19
	s_delay_alu instid0(SALU_CYCLE_1) | instskip(NEXT) | instid1(SALU_CYCLE_1)
	s_and_b32 s19, exec_lo, s18
	s_or_b32 s17, s19, s17
	s_delay_alu instid0(SALU_CYCLE_1)
	s_and_not1_b32 exec_lo, exec_lo, s17
	s_cbranch_execz .LBB1394_27
.LBB1394_25:                            ; =>This Inner Loop Header: Depth=1
	global_load_u16 v1, v[6:7], off
	global_load_u16 v10, v[8:9], off
	v_mov_b64_e32 v[4:5], 1
	s_or_b32 s18, s18, exec_lo
	s_mov_b32 s19, exec_lo
	s_wait_loadcnt 0x0
	v_cmpx_eq_u16_e64 v1, v10
	s_cbranch_execz .LBB1394_24
; %bb.26:                               ;   in Loop: Header=BB1394_25 Depth=1
	s_add_nc_u64 s[4:5], s[4:5], -1
	v_add_nc_u64_e32 v[6:7], 2, v[6:7]
	s_cmp_eq_u64 s[4:5], 0
	v_add_nc_u64_e32 v[8:9], 2, v[8:9]
	v_mov_b64_e32 v[4:5], 0
	s_cselect_b32 s20, -1, 0
	s_and_not1_b32 s18, s18, exec_lo
	s_and_b32 s20, s20, exec_lo
	s_delay_alu instid0(SALU_CYCLE_1)
	s_or_b32 s18, s18, s20
	s_branch .LBB1394_24
.LBB1394_27:
	s_or_b32 exec_lo, exec_lo, s17
	s_branch .LBB1394_29
.LBB1394_28:
	v_mov_b64_e32 v[4:5], 0
.LBB1394_29:
	s_or_b32 exec_lo, exec_lo, s3
.LBB1394_30:
	s_cbranch_execnz .LBB1394_51
.LBB1394_31:
	s_cmp_eq_u64 s[0:1], 1
	v_cmp_ne_u32_e32 vcc_lo, 0, v0
	s_cbranch_scc1 .LBB1394_38
; %bb.32:
	v_mov_b64_e32 v[4:5], v[2:3]
	v_lshlrev_b32_e32 v1, 3, v0
	s_mov_b32 s3, 0
	ds_store_b64 v1, v[2:3]
	s_wait_dscnt 0x0
	s_barrier_signal -1
	s_barrier_wait -1
	s_wait_kmcnt 0x0
	s_and_saveexec_b32 s4, vcc_lo
	s_cbranch_execz .LBB1394_40
; %bb.33:
	v_cmp_lt_i64_e64 s0, s[12:13], 1
	s_and_b32 vcc_lo, exec_lo, s0
	s_cbranch_vccnz .LBB1394_48
; %bb.34:
	v_add_nc_u32_e32 v1, -8, v1
	v_mul_u64_e32 v[6:7], s[12:13], v[2:3]
	s_mov_b32 s5, 0
	s_mov_b64 s[0:1], s[12:13]
                                        ; implicit-def: $sgpr17
	ds_load_b64 v[4:5], v1
	s_wait_dscnt 0x0
	v_mul_u64_e32 v[4:5], s[12:13], v[4:5]
	v_lshl_add_u64 v[6:7], v[6:7], 1, s[14:15]
	s_delay_alu instid0(VALU_DEP_2)
	v_lshl_add_u64 v[8:9], v[4:5], 1, s[14:15]
	s_branch .LBB1394_36
.LBB1394_35:                            ;   in Loop: Header=BB1394_36 Depth=1
	s_or_b32 exec_lo, exec_lo, s18
	s_delay_alu instid0(SALU_CYCLE_1) | instskip(NEXT) | instid1(SALU_CYCLE_1)
	s_and_b32 s18, exec_lo, s17
	s_or_b32 s5, s18, s5
	s_delay_alu instid0(SALU_CYCLE_1)
	s_and_not1_b32 exec_lo, exec_lo, s5
	s_cbranch_execz .LBB1394_39
.LBB1394_36:                            ; =>This Inner Loop Header: Depth=1
	global_load_u16 v1, v[6:7], off
	global_load_u16 v10, v[8:9], off
	v_mov_b64_e32 v[4:5], 1
	s_or_b32 s17, s17, exec_lo
	s_mov_b32 s18, exec_lo
	s_wait_loadcnt 0x0
	v_cmpx_eq_u16_e64 v1, v10
	s_cbranch_execz .LBB1394_35
; %bb.37:                               ;   in Loop: Header=BB1394_36 Depth=1
	s_add_nc_u64 s[0:1], s[0:1], -1
	v_add_nc_u64_e32 v[6:7], 2, v[6:7]
	s_cmp_eq_u64 s[0:1], 0
	v_add_nc_u64_e32 v[8:9], 2, v[8:9]
	v_mov_b64_e32 v[4:5], 0
	s_cselect_b32 s19, -1, 0
	s_and_not1_b32 s17, s17, exec_lo
	s_and_b32 s19, s19, exec_lo
	s_delay_alu instid0(SALU_CYCLE_1)
	s_or_b32 s17, s17, s19
	s_branch .LBB1394_35
.LBB1394_38:
                                        ; implicit-def: $vgpr4_vgpr5
	s_branch .LBB1394_41
.LBB1394_39:
	s_or_b32 exec_lo, exec_lo, s5
.LBB1394_40:
	s_delay_alu instid0(SALU_CYCLE_1) | instskip(NEXT) | instid1(SALU_CYCLE_1)
	s_or_b32 exec_lo, exec_lo, s4
	s_and_not1_b32 vcc_lo, exec_lo, s3
	s_cbranch_vccnz .LBB1394_51
.LBB1394_41:
	v_cmp_ne_u32_e32 vcc_lo, 0, v0
	v_cmp_gt_u32_e64 s0, s10, v0
	v_lshlrev_b32_e32 v1, 3, v0
	s_and_b32 s1, vcc_lo, s0
	ds_store_b64 v1, v[2:3]
	s_wait_dscnt 0x0
	s_barrier_signal -1
	s_barrier_wait -1
	s_and_saveexec_b32 s0, s1
	s_cbranch_execz .LBB1394_50
; %bb.42:
	s_wait_kmcnt 0x0
	v_cmp_lt_i64_e64 s1, s[12:13], 1
	s_and_b32 vcc_lo, exec_lo, s1
	s_cbranch_vccnz .LBB1394_49
; %bb.43:
	v_add_nc_u32_e32 v1, -8, v1
	v_mul_u64_e32 v[2:3], s[12:13], v[2:3]
	s_mov_b32 s1, 0
                                        ; implicit-def: $sgpr3
	ds_load_b64 v[4:5], v1
	s_wait_dscnt 0x0
	v_mul_u64_e32 v[6:7], s[12:13], v[4:5]
	v_lshl_add_u64 v[4:5], v[2:3], 1, s[14:15]
	s_delay_alu instid0(VALU_DEP_2)
	v_lshl_add_u64 v[6:7], v[6:7], 1, s[14:15]
	s_branch .LBB1394_45
.LBB1394_44:                            ;   in Loop: Header=BB1394_45 Depth=1
	s_or_b32 exec_lo, exec_lo, s4
	s_delay_alu instid0(SALU_CYCLE_1) | instskip(NEXT) | instid1(SALU_CYCLE_1)
	s_and_b32 s4, exec_lo, s3
	s_or_b32 s1, s4, s1
	s_delay_alu instid0(SALU_CYCLE_1)
	s_and_not1_b32 exec_lo, exec_lo, s1
	s_cbranch_execz .LBB1394_47
.LBB1394_45:                            ; =>This Inner Loop Header: Depth=1
	global_load_u16 v1, v[4:5], off
	global_load_u16 v8, v[6:7], off
	v_mov_b64_e32 v[2:3], 1
	s_or_b32 s3, s3, exec_lo
	s_mov_b32 s4, exec_lo
	s_wait_loadcnt 0x0
	v_cmpx_eq_u16_e64 v1, v8
	s_cbranch_execz .LBB1394_44
; %bb.46:                               ;   in Loop: Header=BB1394_45 Depth=1
	s_add_nc_u64 s[12:13], s[12:13], -1
	v_add_nc_u64_e32 v[4:5], 2, v[4:5]
	s_cmp_eq_u64 s[12:13], 0
	v_add_nc_u64_e32 v[6:7], 2, v[6:7]
	v_mov_b64_e32 v[2:3], 0
	s_cselect_b32 s5, -1, 0
	s_and_not1_b32 s3, s3, exec_lo
	s_and_b32 s5, s5, exec_lo
	s_delay_alu instid0(SALU_CYCLE_1)
	s_or_b32 s3, s3, s5
	s_branch .LBB1394_44
.LBB1394_47:
	s_or_b32 exec_lo, exec_lo, s1
	s_branch .LBB1394_50
.LBB1394_48:
	v_mov_b64_e32 v[4:5], 0
	s_or_b32 exec_lo, exec_lo, s4
	s_delay_alu instid0(SALU_CYCLE_1)
	s_and_not1_b32 vcc_lo, exec_lo, s3
	s_cbranch_vccz .LBB1394_41
	s_branch .LBB1394_51
.LBB1394_49:
	v_mov_b64_e32 v[2:3], 0
.LBB1394_50:
	s_or_b32 exec_lo, exec_lo, s0
	s_delay_alu instid0(VALU_DEP_1)
	v_mov_b64_e32 v[4:5], v[2:3]
.LBB1394_51:
	s_add_nc_u64 s[0:1], s[8:9], s[6:7]
	s_and_b32 vcc_lo, exec_lo, s11
	s_mov_b32 s3, -1
	s_wait_dscnt 0x0
	s_barrier_signal -1
	s_barrier_wait -1
	s_cbranch_vccnz .LBB1394_54
; %bb.52:
	s_and_not1_b32 vcc_lo, exec_lo, s3
	s_cbranch_vccz .LBB1394_57
.LBB1394_53:
	s_endpgm
.LBB1394_54:
	v_lshlrev_b32_e32 v1, 3, v0
	s_lshl_b32 s3, s16, 7
	s_wait_kmcnt 0x0
	s_mov_b32 s4, exec_lo
	s_sub_co_i32 s3, s10, s3
	ds_store_b64 v1, v[4:5]
	s_wait_dscnt 0x0
	s_barrier_signal -1
	s_barrier_wait -1
	v_cmpx_gt_u32_e64 s3, v0
	s_cbranch_execz .LBB1394_56
; %bb.55:
	ds_load_b64 v[2:3], v1
	s_mov_b32 s3, 0
	s_delay_alu instid0(SALU_CYCLE_1) | instskip(NEXT) | instid1(SALU_CYCLE_1)
	s_lshl_b64 s[6:7], s[2:3], 3
	s_add_nc_u64 s[6:7], s[0:1], s[6:7]
	s_wait_dscnt 0x0
	global_store_b64 v0, v[2:3], s[6:7] scale_offset
.LBB1394_56:
	s_wait_xcnt 0x0
	s_or_b32 exec_lo, exec_lo, s4
	s_cbranch_execnz .LBB1394_53
.LBB1394_57:
	v_lshlrev_b32_e32 v1, 3, v0
	s_mov_b32 s3, 0
	s_delay_alu instid0(SALU_CYCLE_1) | instskip(NEXT) | instid1(SALU_CYCLE_1)
	s_lshl_b64 s[2:3], s[2:3], 3
	s_add_nc_u64 s[0:1], s[0:1], s[2:3]
	ds_store_b64 v1, v[4:5]
	s_wait_storecnt_dscnt 0x0
	s_barrier_signal -1
	s_barrier_wait -1
	ds_load_b64 v[2:3], v1
	s_wait_dscnt 0x0
	global_store_b64 v0, v[2:3], s[0:1] scale_offset
	s_endpgm
	.section	.rodata,"a",@progbits
	.p2align	6, 0x0
	.amdhsa_kernel _ZN7rocprim17ROCPRIM_400000_NS6detail17trampoline_kernelINS0_14default_configENS1_35adjacent_difference_config_selectorILb0ElEEZNS1_24adjacent_difference_implIS3_Lb0ELb0EPlS7_ZN2at6native12_GLOBAL__N_124unique_dim_cuda_templateItEESt5tupleIJNS8_6TensorESD_SD_EERKSD_lbbbEUlllE1_EE10hipError_tPvRmT2_T3_mT4_P12ihipStream_tbEUlT_E_NS1_11comp_targetILNS1_3genE0ELNS1_11target_archE4294967295ELNS1_3gpuE0ELNS1_3repE0EEENS1_30default_config_static_selectorELNS0_4arch9wavefront6targetE0EEEvT1_
		.amdhsa_group_segment_fixed_size 2048
		.amdhsa_private_segment_fixed_size 0
		.amdhsa_kernarg_size 64
		.amdhsa_user_sgpr_count 2
		.amdhsa_user_sgpr_dispatch_ptr 0
		.amdhsa_user_sgpr_queue_ptr 0
		.amdhsa_user_sgpr_kernarg_segment_ptr 1
		.amdhsa_user_sgpr_dispatch_id 0
		.amdhsa_user_sgpr_kernarg_preload_length 0
		.amdhsa_user_sgpr_kernarg_preload_offset 0
		.amdhsa_user_sgpr_private_segment_size 0
		.amdhsa_wavefront_size32 1
		.amdhsa_uses_dynamic_stack 0
		.amdhsa_enable_private_segment 0
		.amdhsa_system_sgpr_workgroup_id_x 1
		.amdhsa_system_sgpr_workgroup_id_y 0
		.amdhsa_system_sgpr_workgroup_id_z 0
		.amdhsa_system_sgpr_workgroup_info 0
		.amdhsa_system_vgpr_workitem_id 0
		.amdhsa_next_free_vgpr 11
		.amdhsa_next_free_sgpr 24
		.amdhsa_named_barrier_count 0
		.amdhsa_reserve_vcc 1
		.amdhsa_float_round_mode_32 0
		.amdhsa_float_round_mode_16_64 0
		.amdhsa_float_denorm_mode_32 3
		.amdhsa_float_denorm_mode_16_64 3
		.amdhsa_fp16_overflow 0
		.amdhsa_memory_ordered 1
		.amdhsa_forward_progress 1
		.amdhsa_inst_pref_size 14
		.amdhsa_round_robin_scheduling 0
		.amdhsa_exception_fp_ieee_invalid_op 0
		.amdhsa_exception_fp_denorm_src 0
		.amdhsa_exception_fp_ieee_div_zero 0
		.amdhsa_exception_fp_ieee_overflow 0
		.amdhsa_exception_fp_ieee_underflow 0
		.amdhsa_exception_fp_ieee_inexact 0
		.amdhsa_exception_int_div_zero 0
	.end_amdhsa_kernel
	.section	.text._ZN7rocprim17ROCPRIM_400000_NS6detail17trampoline_kernelINS0_14default_configENS1_35adjacent_difference_config_selectorILb0ElEEZNS1_24adjacent_difference_implIS3_Lb0ELb0EPlS7_ZN2at6native12_GLOBAL__N_124unique_dim_cuda_templateItEESt5tupleIJNS8_6TensorESD_SD_EERKSD_lbbbEUlllE1_EE10hipError_tPvRmT2_T3_mT4_P12ihipStream_tbEUlT_E_NS1_11comp_targetILNS1_3genE0ELNS1_11target_archE4294967295ELNS1_3gpuE0ELNS1_3repE0EEENS1_30default_config_static_selectorELNS0_4arch9wavefront6targetE0EEEvT1_,"axG",@progbits,_ZN7rocprim17ROCPRIM_400000_NS6detail17trampoline_kernelINS0_14default_configENS1_35adjacent_difference_config_selectorILb0ElEEZNS1_24adjacent_difference_implIS3_Lb0ELb0EPlS7_ZN2at6native12_GLOBAL__N_124unique_dim_cuda_templateItEESt5tupleIJNS8_6TensorESD_SD_EERKSD_lbbbEUlllE1_EE10hipError_tPvRmT2_T3_mT4_P12ihipStream_tbEUlT_E_NS1_11comp_targetILNS1_3genE0ELNS1_11target_archE4294967295ELNS1_3gpuE0ELNS1_3repE0EEENS1_30default_config_static_selectorELNS0_4arch9wavefront6targetE0EEEvT1_,comdat
.Lfunc_end1394:
	.size	_ZN7rocprim17ROCPRIM_400000_NS6detail17trampoline_kernelINS0_14default_configENS1_35adjacent_difference_config_selectorILb0ElEEZNS1_24adjacent_difference_implIS3_Lb0ELb0EPlS7_ZN2at6native12_GLOBAL__N_124unique_dim_cuda_templateItEESt5tupleIJNS8_6TensorESD_SD_EERKSD_lbbbEUlllE1_EE10hipError_tPvRmT2_T3_mT4_P12ihipStream_tbEUlT_E_NS1_11comp_targetILNS1_3genE0ELNS1_11target_archE4294967295ELNS1_3gpuE0ELNS1_3repE0EEENS1_30default_config_static_selectorELNS0_4arch9wavefront6targetE0EEEvT1_, .Lfunc_end1394-_ZN7rocprim17ROCPRIM_400000_NS6detail17trampoline_kernelINS0_14default_configENS1_35adjacent_difference_config_selectorILb0ElEEZNS1_24adjacent_difference_implIS3_Lb0ELb0EPlS7_ZN2at6native12_GLOBAL__N_124unique_dim_cuda_templateItEESt5tupleIJNS8_6TensorESD_SD_EERKSD_lbbbEUlllE1_EE10hipError_tPvRmT2_T3_mT4_P12ihipStream_tbEUlT_E_NS1_11comp_targetILNS1_3genE0ELNS1_11target_archE4294967295ELNS1_3gpuE0ELNS1_3repE0EEENS1_30default_config_static_selectorELNS0_4arch9wavefront6targetE0EEEvT1_
                                        ; -- End function
	.set _ZN7rocprim17ROCPRIM_400000_NS6detail17trampoline_kernelINS0_14default_configENS1_35adjacent_difference_config_selectorILb0ElEEZNS1_24adjacent_difference_implIS3_Lb0ELb0EPlS7_ZN2at6native12_GLOBAL__N_124unique_dim_cuda_templateItEESt5tupleIJNS8_6TensorESD_SD_EERKSD_lbbbEUlllE1_EE10hipError_tPvRmT2_T3_mT4_P12ihipStream_tbEUlT_E_NS1_11comp_targetILNS1_3genE0ELNS1_11target_archE4294967295ELNS1_3gpuE0ELNS1_3repE0EEENS1_30default_config_static_selectorELNS0_4arch9wavefront6targetE0EEEvT1_.num_vgpr, 11
	.set _ZN7rocprim17ROCPRIM_400000_NS6detail17trampoline_kernelINS0_14default_configENS1_35adjacent_difference_config_selectorILb0ElEEZNS1_24adjacent_difference_implIS3_Lb0ELb0EPlS7_ZN2at6native12_GLOBAL__N_124unique_dim_cuda_templateItEESt5tupleIJNS8_6TensorESD_SD_EERKSD_lbbbEUlllE1_EE10hipError_tPvRmT2_T3_mT4_P12ihipStream_tbEUlT_E_NS1_11comp_targetILNS1_3genE0ELNS1_11target_archE4294967295ELNS1_3gpuE0ELNS1_3repE0EEENS1_30default_config_static_selectorELNS0_4arch9wavefront6targetE0EEEvT1_.num_agpr, 0
	.set _ZN7rocprim17ROCPRIM_400000_NS6detail17trampoline_kernelINS0_14default_configENS1_35adjacent_difference_config_selectorILb0ElEEZNS1_24adjacent_difference_implIS3_Lb0ELb0EPlS7_ZN2at6native12_GLOBAL__N_124unique_dim_cuda_templateItEESt5tupleIJNS8_6TensorESD_SD_EERKSD_lbbbEUlllE1_EE10hipError_tPvRmT2_T3_mT4_P12ihipStream_tbEUlT_E_NS1_11comp_targetILNS1_3genE0ELNS1_11target_archE4294967295ELNS1_3gpuE0ELNS1_3repE0EEENS1_30default_config_static_selectorELNS0_4arch9wavefront6targetE0EEEvT1_.numbered_sgpr, 24
	.set _ZN7rocprim17ROCPRIM_400000_NS6detail17trampoline_kernelINS0_14default_configENS1_35adjacent_difference_config_selectorILb0ElEEZNS1_24adjacent_difference_implIS3_Lb0ELb0EPlS7_ZN2at6native12_GLOBAL__N_124unique_dim_cuda_templateItEESt5tupleIJNS8_6TensorESD_SD_EERKSD_lbbbEUlllE1_EE10hipError_tPvRmT2_T3_mT4_P12ihipStream_tbEUlT_E_NS1_11comp_targetILNS1_3genE0ELNS1_11target_archE4294967295ELNS1_3gpuE0ELNS1_3repE0EEENS1_30default_config_static_selectorELNS0_4arch9wavefront6targetE0EEEvT1_.num_named_barrier, 0
	.set _ZN7rocprim17ROCPRIM_400000_NS6detail17trampoline_kernelINS0_14default_configENS1_35adjacent_difference_config_selectorILb0ElEEZNS1_24adjacent_difference_implIS3_Lb0ELb0EPlS7_ZN2at6native12_GLOBAL__N_124unique_dim_cuda_templateItEESt5tupleIJNS8_6TensorESD_SD_EERKSD_lbbbEUlllE1_EE10hipError_tPvRmT2_T3_mT4_P12ihipStream_tbEUlT_E_NS1_11comp_targetILNS1_3genE0ELNS1_11target_archE4294967295ELNS1_3gpuE0ELNS1_3repE0EEENS1_30default_config_static_selectorELNS0_4arch9wavefront6targetE0EEEvT1_.private_seg_size, 0
	.set _ZN7rocprim17ROCPRIM_400000_NS6detail17trampoline_kernelINS0_14default_configENS1_35adjacent_difference_config_selectorILb0ElEEZNS1_24adjacent_difference_implIS3_Lb0ELb0EPlS7_ZN2at6native12_GLOBAL__N_124unique_dim_cuda_templateItEESt5tupleIJNS8_6TensorESD_SD_EERKSD_lbbbEUlllE1_EE10hipError_tPvRmT2_T3_mT4_P12ihipStream_tbEUlT_E_NS1_11comp_targetILNS1_3genE0ELNS1_11target_archE4294967295ELNS1_3gpuE0ELNS1_3repE0EEENS1_30default_config_static_selectorELNS0_4arch9wavefront6targetE0EEEvT1_.uses_vcc, 1
	.set _ZN7rocprim17ROCPRIM_400000_NS6detail17trampoline_kernelINS0_14default_configENS1_35adjacent_difference_config_selectorILb0ElEEZNS1_24adjacent_difference_implIS3_Lb0ELb0EPlS7_ZN2at6native12_GLOBAL__N_124unique_dim_cuda_templateItEESt5tupleIJNS8_6TensorESD_SD_EERKSD_lbbbEUlllE1_EE10hipError_tPvRmT2_T3_mT4_P12ihipStream_tbEUlT_E_NS1_11comp_targetILNS1_3genE0ELNS1_11target_archE4294967295ELNS1_3gpuE0ELNS1_3repE0EEENS1_30default_config_static_selectorELNS0_4arch9wavefront6targetE0EEEvT1_.uses_flat_scratch, 0
	.set _ZN7rocprim17ROCPRIM_400000_NS6detail17trampoline_kernelINS0_14default_configENS1_35adjacent_difference_config_selectorILb0ElEEZNS1_24adjacent_difference_implIS3_Lb0ELb0EPlS7_ZN2at6native12_GLOBAL__N_124unique_dim_cuda_templateItEESt5tupleIJNS8_6TensorESD_SD_EERKSD_lbbbEUlllE1_EE10hipError_tPvRmT2_T3_mT4_P12ihipStream_tbEUlT_E_NS1_11comp_targetILNS1_3genE0ELNS1_11target_archE4294967295ELNS1_3gpuE0ELNS1_3repE0EEENS1_30default_config_static_selectorELNS0_4arch9wavefront6targetE0EEEvT1_.has_dyn_sized_stack, 0
	.set _ZN7rocprim17ROCPRIM_400000_NS6detail17trampoline_kernelINS0_14default_configENS1_35adjacent_difference_config_selectorILb0ElEEZNS1_24adjacent_difference_implIS3_Lb0ELb0EPlS7_ZN2at6native12_GLOBAL__N_124unique_dim_cuda_templateItEESt5tupleIJNS8_6TensorESD_SD_EERKSD_lbbbEUlllE1_EE10hipError_tPvRmT2_T3_mT4_P12ihipStream_tbEUlT_E_NS1_11comp_targetILNS1_3genE0ELNS1_11target_archE4294967295ELNS1_3gpuE0ELNS1_3repE0EEENS1_30default_config_static_selectorELNS0_4arch9wavefront6targetE0EEEvT1_.has_recursion, 0
	.set _ZN7rocprim17ROCPRIM_400000_NS6detail17trampoline_kernelINS0_14default_configENS1_35adjacent_difference_config_selectorILb0ElEEZNS1_24adjacent_difference_implIS3_Lb0ELb0EPlS7_ZN2at6native12_GLOBAL__N_124unique_dim_cuda_templateItEESt5tupleIJNS8_6TensorESD_SD_EERKSD_lbbbEUlllE1_EE10hipError_tPvRmT2_T3_mT4_P12ihipStream_tbEUlT_E_NS1_11comp_targetILNS1_3genE0ELNS1_11target_archE4294967295ELNS1_3gpuE0ELNS1_3repE0EEENS1_30default_config_static_selectorELNS0_4arch9wavefront6targetE0EEEvT1_.has_indirect_call, 0
	.section	.AMDGPU.csdata,"",@progbits
; Kernel info:
; codeLenInByte = 1720
; TotalNumSgprs: 26
; NumVgprs: 11
; ScratchSize: 0
; MemoryBound: 0
; FloatMode: 240
; IeeeMode: 1
; LDSByteSize: 2048 bytes/workgroup (compile time only)
; SGPRBlocks: 0
; VGPRBlocks: 0
; NumSGPRsForWavesPerEU: 26
; NumVGPRsForWavesPerEU: 11
; NamedBarCnt: 0
; Occupancy: 16
; WaveLimiterHint : 0
; COMPUTE_PGM_RSRC2:SCRATCH_EN: 0
; COMPUTE_PGM_RSRC2:USER_SGPR: 2
; COMPUTE_PGM_RSRC2:TRAP_HANDLER: 0
; COMPUTE_PGM_RSRC2:TGID_X_EN: 1
; COMPUTE_PGM_RSRC2:TGID_Y_EN: 0
; COMPUTE_PGM_RSRC2:TGID_Z_EN: 0
; COMPUTE_PGM_RSRC2:TIDIG_COMP_CNT: 0
	.section	.text._ZN7rocprim17ROCPRIM_400000_NS6detail17trampoline_kernelINS0_14default_configENS1_35adjacent_difference_config_selectorILb0ElEEZNS1_24adjacent_difference_implIS3_Lb0ELb0EPlS7_ZN2at6native12_GLOBAL__N_124unique_dim_cuda_templateItEESt5tupleIJNS8_6TensorESD_SD_EERKSD_lbbbEUlllE1_EE10hipError_tPvRmT2_T3_mT4_P12ihipStream_tbEUlT_E_NS1_11comp_targetILNS1_3genE10ELNS1_11target_archE1201ELNS1_3gpuE5ELNS1_3repE0EEENS1_30default_config_static_selectorELNS0_4arch9wavefront6targetE0EEEvT1_,"axG",@progbits,_ZN7rocprim17ROCPRIM_400000_NS6detail17trampoline_kernelINS0_14default_configENS1_35adjacent_difference_config_selectorILb0ElEEZNS1_24adjacent_difference_implIS3_Lb0ELb0EPlS7_ZN2at6native12_GLOBAL__N_124unique_dim_cuda_templateItEESt5tupleIJNS8_6TensorESD_SD_EERKSD_lbbbEUlllE1_EE10hipError_tPvRmT2_T3_mT4_P12ihipStream_tbEUlT_E_NS1_11comp_targetILNS1_3genE10ELNS1_11target_archE1201ELNS1_3gpuE5ELNS1_3repE0EEENS1_30default_config_static_selectorELNS0_4arch9wavefront6targetE0EEEvT1_,comdat
	.globl	_ZN7rocprim17ROCPRIM_400000_NS6detail17trampoline_kernelINS0_14default_configENS1_35adjacent_difference_config_selectorILb0ElEEZNS1_24adjacent_difference_implIS3_Lb0ELb0EPlS7_ZN2at6native12_GLOBAL__N_124unique_dim_cuda_templateItEESt5tupleIJNS8_6TensorESD_SD_EERKSD_lbbbEUlllE1_EE10hipError_tPvRmT2_T3_mT4_P12ihipStream_tbEUlT_E_NS1_11comp_targetILNS1_3genE10ELNS1_11target_archE1201ELNS1_3gpuE5ELNS1_3repE0EEENS1_30default_config_static_selectorELNS0_4arch9wavefront6targetE0EEEvT1_ ; -- Begin function _ZN7rocprim17ROCPRIM_400000_NS6detail17trampoline_kernelINS0_14default_configENS1_35adjacent_difference_config_selectorILb0ElEEZNS1_24adjacent_difference_implIS3_Lb0ELb0EPlS7_ZN2at6native12_GLOBAL__N_124unique_dim_cuda_templateItEESt5tupleIJNS8_6TensorESD_SD_EERKSD_lbbbEUlllE1_EE10hipError_tPvRmT2_T3_mT4_P12ihipStream_tbEUlT_E_NS1_11comp_targetILNS1_3genE10ELNS1_11target_archE1201ELNS1_3gpuE5ELNS1_3repE0EEENS1_30default_config_static_selectorELNS0_4arch9wavefront6targetE0EEEvT1_
	.p2align	8
	.type	_ZN7rocprim17ROCPRIM_400000_NS6detail17trampoline_kernelINS0_14default_configENS1_35adjacent_difference_config_selectorILb0ElEEZNS1_24adjacent_difference_implIS3_Lb0ELb0EPlS7_ZN2at6native12_GLOBAL__N_124unique_dim_cuda_templateItEESt5tupleIJNS8_6TensorESD_SD_EERKSD_lbbbEUlllE1_EE10hipError_tPvRmT2_T3_mT4_P12ihipStream_tbEUlT_E_NS1_11comp_targetILNS1_3genE10ELNS1_11target_archE1201ELNS1_3gpuE5ELNS1_3repE0EEENS1_30default_config_static_selectorELNS0_4arch9wavefront6targetE0EEEvT1_,@function
_ZN7rocprim17ROCPRIM_400000_NS6detail17trampoline_kernelINS0_14default_configENS1_35adjacent_difference_config_selectorILb0ElEEZNS1_24adjacent_difference_implIS3_Lb0ELb0EPlS7_ZN2at6native12_GLOBAL__N_124unique_dim_cuda_templateItEESt5tupleIJNS8_6TensorESD_SD_EERKSD_lbbbEUlllE1_EE10hipError_tPvRmT2_T3_mT4_P12ihipStream_tbEUlT_E_NS1_11comp_targetILNS1_3genE10ELNS1_11target_archE1201ELNS1_3gpuE5ELNS1_3repE0EEENS1_30default_config_static_selectorELNS0_4arch9wavefront6targetE0EEEvT1_: ; @_ZN7rocprim17ROCPRIM_400000_NS6detail17trampoline_kernelINS0_14default_configENS1_35adjacent_difference_config_selectorILb0ElEEZNS1_24adjacent_difference_implIS3_Lb0ELb0EPlS7_ZN2at6native12_GLOBAL__N_124unique_dim_cuda_templateItEESt5tupleIJNS8_6TensorESD_SD_EERKSD_lbbbEUlllE1_EE10hipError_tPvRmT2_T3_mT4_P12ihipStream_tbEUlT_E_NS1_11comp_targetILNS1_3genE10ELNS1_11target_archE1201ELNS1_3gpuE5ELNS1_3repE0EEENS1_30default_config_static_selectorELNS0_4arch9wavefront6targetE0EEEvT1_
; %bb.0:
	.section	.rodata,"a",@progbits
	.p2align	6, 0x0
	.amdhsa_kernel _ZN7rocprim17ROCPRIM_400000_NS6detail17trampoline_kernelINS0_14default_configENS1_35adjacent_difference_config_selectorILb0ElEEZNS1_24adjacent_difference_implIS3_Lb0ELb0EPlS7_ZN2at6native12_GLOBAL__N_124unique_dim_cuda_templateItEESt5tupleIJNS8_6TensorESD_SD_EERKSD_lbbbEUlllE1_EE10hipError_tPvRmT2_T3_mT4_P12ihipStream_tbEUlT_E_NS1_11comp_targetILNS1_3genE10ELNS1_11target_archE1201ELNS1_3gpuE5ELNS1_3repE0EEENS1_30default_config_static_selectorELNS0_4arch9wavefront6targetE0EEEvT1_
		.amdhsa_group_segment_fixed_size 0
		.amdhsa_private_segment_fixed_size 0
		.amdhsa_kernarg_size 64
		.amdhsa_user_sgpr_count 2
		.amdhsa_user_sgpr_dispatch_ptr 0
		.amdhsa_user_sgpr_queue_ptr 0
		.amdhsa_user_sgpr_kernarg_segment_ptr 1
		.amdhsa_user_sgpr_dispatch_id 0
		.amdhsa_user_sgpr_kernarg_preload_length 0
		.amdhsa_user_sgpr_kernarg_preload_offset 0
		.amdhsa_user_sgpr_private_segment_size 0
		.amdhsa_wavefront_size32 1
		.amdhsa_uses_dynamic_stack 0
		.amdhsa_enable_private_segment 0
		.amdhsa_system_sgpr_workgroup_id_x 1
		.amdhsa_system_sgpr_workgroup_id_y 0
		.amdhsa_system_sgpr_workgroup_id_z 0
		.amdhsa_system_sgpr_workgroup_info 0
		.amdhsa_system_vgpr_workitem_id 0
		.amdhsa_next_free_vgpr 1
		.amdhsa_next_free_sgpr 1
		.amdhsa_named_barrier_count 0
		.amdhsa_reserve_vcc 0
		.amdhsa_float_round_mode_32 0
		.amdhsa_float_round_mode_16_64 0
		.amdhsa_float_denorm_mode_32 3
		.amdhsa_float_denorm_mode_16_64 3
		.amdhsa_fp16_overflow 0
		.amdhsa_memory_ordered 1
		.amdhsa_forward_progress 1
		.amdhsa_inst_pref_size 0
		.amdhsa_round_robin_scheduling 0
		.amdhsa_exception_fp_ieee_invalid_op 0
		.amdhsa_exception_fp_denorm_src 0
		.amdhsa_exception_fp_ieee_div_zero 0
		.amdhsa_exception_fp_ieee_overflow 0
		.amdhsa_exception_fp_ieee_underflow 0
		.amdhsa_exception_fp_ieee_inexact 0
		.amdhsa_exception_int_div_zero 0
	.end_amdhsa_kernel
	.section	.text._ZN7rocprim17ROCPRIM_400000_NS6detail17trampoline_kernelINS0_14default_configENS1_35adjacent_difference_config_selectorILb0ElEEZNS1_24adjacent_difference_implIS3_Lb0ELb0EPlS7_ZN2at6native12_GLOBAL__N_124unique_dim_cuda_templateItEESt5tupleIJNS8_6TensorESD_SD_EERKSD_lbbbEUlllE1_EE10hipError_tPvRmT2_T3_mT4_P12ihipStream_tbEUlT_E_NS1_11comp_targetILNS1_3genE10ELNS1_11target_archE1201ELNS1_3gpuE5ELNS1_3repE0EEENS1_30default_config_static_selectorELNS0_4arch9wavefront6targetE0EEEvT1_,"axG",@progbits,_ZN7rocprim17ROCPRIM_400000_NS6detail17trampoline_kernelINS0_14default_configENS1_35adjacent_difference_config_selectorILb0ElEEZNS1_24adjacent_difference_implIS3_Lb0ELb0EPlS7_ZN2at6native12_GLOBAL__N_124unique_dim_cuda_templateItEESt5tupleIJNS8_6TensorESD_SD_EERKSD_lbbbEUlllE1_EE10hipError_tPvRmT2_T3_mT4_P12ihipStream_tbEUlT_E_NS1_11comp_targetILNS1_3genE10ELNS1_11target_archE1201ELNS1_3gpuE5ELNS1_3repE0EEENS1_30default_config_static_selectorELNS0_4arch9wavefront6targetE0EEEvT1_,comdat
.Lfunc_end1395:
	.size	_ZN7rocprim17ROCPRIM_400000_NS6detail17trampoline_kernelINS0_14default_configENS1_35adjacent_difference_config_selectorILb0ElEEZNS1_24adjacent_difference_implIS3_Lb0ELb0EPlS7_ZN2at6native12_GLOBAL__N_124unique_dim_cuda_templateItEESt5tupleIJNS8_6TensorESD_SD_EERKSD_lbbbEUlllE1_EE10hipError_tPvRmT2_T3_mT4_P12ihipStream_tbEUlT_E_NS1_11comp_targetILNS1_3genE10ELNS1_11target_archE1201ELNS1_3gpuE5ELNS1_3repE0EEENS1_30default_config_static_selectorELNS0_4arch9wavefront6targetE0EEEvT1_, .Lfunc_end1395-_ZN7rocprim17ROCPRIM_400000_NS6detail17trampoline_kernelINS0_14default_configENS1_35adjacent_difference_config_selectorILb0ElEEZNS1_24adjacent_difference_implIS3_Lb0ELb0EPlS7_ZN2at6native12_GLOBAL__N_124unique_dim_cuda_templateItEESt5tupleIJNS8_6TensorESD_SD_EERKSD_lbbbEUlllE1_EE10hipError_tPvRmT2_T3_mT4_P12ihipStream_tbEUlT_E_NS1_11comp_targetILNS1_3genE10ELNS1_11target_archE1201ELNS1_3gpuE5ELNS1_3repE0EEENS1_30default_config_static_selectorELNS0_4arch9wavefront6targetE0EEEvT1_
                                        ; -- End function
	.set _ZN7rocprim17ROCPRIM_400000_NS6detail17trampoline_kernelINS0_14default_configENS1_35adjacent_difference_config_selectorILb0ElEEZNS1_24adjacent_difference_implIS3_Lb0ELb0EPlS7_ZN2at6native12_GLOBAL__N_124unique_dim_cuda_templateItEESt5tupleIJNS8_6TensorESD_SD_EERKSD_lbbbEUlllE1_EE10hipError_tPvRmT2_T3_mT4_P12ihipStream_tbEUlT_E_NS1_11comp_targetILNS1_3genE10ELNS1_11target_archE1201ELNS1_3gpuE5ELNS1_3repE0EEENS1_30default_config_static_selectorELNS0_4arch9wavefront6targetE0EEEvT1_.num_vgpr, 0
	.set _ZN7rocprim17ROCPRIM_400000_NS6detail17trampoline_kernelINS0_14default_configENS1_35adjacent_difference_config_selectorILb0ElEEZNS1_24adjacent_difference_implIS3_Lb0ELb0EPlS7_ZN2at6native12_GLOBAL__N_124unique_dim_cuda_templateItEESt5tupleIJNS8_6TensorESD_SD_EERKSD_lbbbEUlllE1_EE10hipError_tPvRmT2_T3_mT4_P12ihipStream_tbEUlT_E_NS1_11comp_targetILNS1_3genE10ELNS1_11target_archE1201ELNS1_3gpuE5ELNS1_3repE0EEENS1_30default_config_static_selectorELNS0_4arch9wavefront6targetE0EEEvT1_.num_agpr, 0
	.set _ZN7rocprim17ROCPRIM_400000_NS6detail17trampoline_kernelINS0_14default_configENS1_35adjacent_difference_config_selectorILb0ElEEZNS1_24adjacent_difference_implIS3_Lb0ELb0EPlS7_ZN2at6native12_GLOBAL__N_124unique_dim_cuda_templateItEESt5tupleIJNS8_6TensorESD_SD_EERKSD_lbbbEUlllE1_EE10hipError_tPvRmT2_T3_mT4_P12ihipStream_tbEUlT_E_NS1_11comp_targetILNS1_3genE10ELNS1_11target_archE1201ELNS1_3gpuE5ELNS1_3repE0EEENS1_30default_config_static_selectorELNS0_4arch9wavefront6targetE0EEEvT1_.numbered_sgpr, 0
	.set _ZN7rocprim17ROCPRIM_400000_NS6detail17trampoline_kernelINS0_14default_configENS1_35adjacent_difference_config_selectorILb0ElEEZNS1_24adjacent_difference_implIS3_Lb0ELb0EPlS7_ZN2at6native12_GLOBAL__N_124unique_dim_cuda_templateItEESt5tupleIJNS8_6TensorESD_SD_EERKSD_lbbbEUlllE1_EE10hipError_tPvRmT2_T3_mT4_P12ihipStream_tbEUlT_E_NS1_11comp_targetILNS1_3genE10ELNS1_11target_archE1201ELNS1_3gpuE5ELNS1_3repE0EEENS1_30default_config_static_selectorELNS0_4arch9wavefront6targetE0EEEvT1_.num_named_barrier, 0
	.set _ZN7rocprim17ROCPRIM_400000_NS6detail17trampoline_kernelINS0_14default_configENS1_35adjacent_difference_config_selectorILb0ElEEZNS1_24adjacent_difference_implIS3_Lb0ELb0EPlS7_ZN2at6native12_GLOBAL__N_124unique_dim_cuda_templateItEESt5tupleIJNS8_6TensorESD_SD_EERKSD_lbbbEUlllE1_EE10hipError_tPvRmT2_T3_mT4_P12ihipStream_tbEUlT_E_NS1_11comp_targetILNS1_3genE10ELNS1_11target_archE1201ELNS1_3gpuE5ELNS1_3repE0EEENS1_30default_config_static_selectorELNS0_4arch9wavefront6targetE0EEEvT1_.private_seg_size, 0
	.set _ZN7rocprim17ROCPRIM_400000_NS6detail17trampoline_kernelINS0_14default_configENS1_35adjacent_difference_config_selectorILb0ElEEZNS1_24adjacent_difference_implIS3_Lb0ELb0EPlS7_ZN2at6native12_GLOBAL__N_124unique_dim_cuda_templateItEESt5tupleIJNS8_6TensorESD_SD_EERKSD_lbbbEUlllE1_EE10hipError_tPvRmT2_T3_mT4_P12ihipStream_tbEUlT_E_NS1_11comp_targetILNS1_3genE10ELNS1_11target_archE1201ELNS1_3gpuE5ELNS1_3repE0EEENS1_30default_config_static_selectorELNS0_4arch9wavefront6targetE0EEEvT1_.uses_vcc, 0
	.set _ZN7rocprim17ROCPRIM_400000_NS6detail17trampoline_kernelINS0_14default_configENS1_35adjacent_difference_config_selectorILb0ElEEZNS1_24adjacent_difference_implIS3_Lb0ELb0EPlS7_ZN2at6native12_GLOBAL__N_124unique_dim_cuda_templateItEESt5tupleIJNS8_6TensorESD_SD_EERKSD_lbbbEUlllE1_EE10hipError_tPvRmT2_T3_mT4_P12ihipStream_tbEUlT_E_NS1_11comp_targetILNS1_3genE10ELNS1_11target_archE1201ELNS1_3gpuE5ELNS1_3repE0EEENS1_30default_config_static_selectorELNS0_4arch9wavefront6targetE0EEEvT1_.uses_flat_scratch, 0
	.set _ZN7rocprim17ROCPRIM_400000_NS6detail17trampoline_kernelINS0_14default_configENS1_35adjacent_difference_config_selectorILb0ElEEZNS1_24adjacent_difference_implIS3_Lb0ELb0EPlS7_ZN2at6native12_GLOBAL__N_124unique_dim_cuda_templateItEESt5tupleIJNS8_6TensorESD_SD_EERKSD_lbbbEUlllE1_EE10hipError_tPvRmT2_T3_mT4_P12ihipStream_tbEUlT_E_NS1_11comp_targetILNS1_3genE10ELNS1_11target_archE1201ELNS1_3gpuE5ELNS1_3repE0EEENS1_30default_config_static_selectorELNS0_4arch9wavefront6targetE0EEEvT1_.has_dyn_sized_stack, 0
	.set _ZN7rocprim17ROCPRIM_400000_NS6detail17trampoline_kernelINS0_14default_configENS1_35adjacent_difference_config_selectorILb0ElEEZNS1_24adjacent_difference_implIS3_Lb0ELb0EPlS7_ZN2at6native12_GLOBAL__N_124unique_dim_cuda_templateItEESt5tupleIJNS8_6TensorESD_SD_EERKSD_lbbbEUlllE1_EE10hipError_tPvRmT2_T3_mT4_P12ihipStream_tbEUlT_E_NS1_11comp_targetILNS1_3genE10ELNS1_11target_archE1201ELNS1_3gpuE5ELNS1_3repE0EEENS1_30default_config_static_selectorELNS0_4arch9wavefront6targetE0EEEvT1_.has_recursion, 0
	.set _ZN7rocprim17ROCPRIM_400000_NS6detail17trampoline_kernelINS0_14default_configENS1_35adjacent_difference_config_selectorILb0ElEEZNS1_24adjacent_difference_implIS3_Lb0ELb0EPlS7_ZN2at6native12_GLOBAL__N_124unique_dim_cuda_templateItEESt5tupleIJNS8_6TensorESD_SD_EERKSD_lbbbEUlllE1_EE10hipError_tPvRmT2_T3_mT4_P12ihipStream_tbEUlT_E_NS1_11comp_targetILNS1_3genE10ELNS1_11target_archE1201ELNS1_3gpuE5ELNS1_3repE0EEENS1_30default_config_static_selectorELNS0_4arch9wavefront6targetE0EEEvT1_.has_indirect_call, 0
	.section	.AMDGPU.csdata,"",@progbits
; Kernel info:
; codeLenInByte = 0
; TotalNumSgprs: 0
; NumVgprs: 0
; ScratchSize: 0
; MemoryBound: 0
; FloatMode: 240
; IeeeMode: 1
; LDSByteSize: 0 bytes/workgroup (compile time only)
; SGPRBlocks: 0
; VGPRBlocks: 0
; NumSGPRsForWavesPerEU: 1
; NumVGPRsForWavesPerEU: 1
; NamedBarCnt: 0
; Occupancy: 16
; WaveLimiterHint : 0
; COMPUTE_PGM_RSRC2:SCRATCH_EN: 0
; COMPUTE_PGM_RSRC2:USER_SGPR: 2
; COMPUTE_PGM_RSRC2:TRAP_HANDLER: 0
; COMPUTE_PGM_RSRC2:TGID_X_EN: 1
; COMPUTE_PGM_RSRC2:TGID_Y_EN: 0
; COMPUTE_PGM_RSRC2:TGID_Z_EN: 0
; COMPUTE_PGM_RSRC2:TIDIG_COMP_CNT: 0
	.section	.text._ZN7rocprim17ROCPRIM_400000_NS6detail17trampoline_kernelINS0_14default_configENS1_35adjacent_difference_config_selectorILb0ElEEZNS1_24adjacent_difference_implIS3_Lb0ELb0EPlS7_ZN2at6native12_GLOBAL__N_124unique_dim_cuda_templateItEESt5tupleIJNS8_6TensorESD_SD_EERKSD_lbbbEUlllE1_EE10hipError_tPvRmT2_T3_mT4_P12ihipStream_tbEUlT_E_NS1_11comp_targetILNS1_3genE5ELNS1_11target_archE942ELNS1_3gpuE9ELNS1_3repE0EEENS1_30default_config_static_selectorELNS0_4arch9wavefront6targetE0EEEvT1_,"axG",@progbits,_ZN7rocprim17ROCPRIM_400000_NS6detail17trampoline_kernelINS0_14default_configENS1_35adjacent_difference_config_selectorILb0ElEEZNS1_24adjacent_difference_implIS3_Lb0ELb0EPlS7_ZN2at6native12_GLOBAL__N_124unique_dim_cuda_templateItEESt5tupleIJNS8_6TensorESD_SD_EERKSD_lbbbEUlllE1_EE10hipError_tPvRmT2_T3_mT4_P12ihipStream_tbEUlT_E_NS1_11comp_targetILNS1_3genE5ELNS1_11target_archE942ELNS1_3gpuE9ELNS1_3repE0EEENS1_30default_config_static_selectorELNS0_4arch9wavefront6targetE0EEEvT1_,comdat
	.globl	_ZN7rocprim17ROCPRIM_400000_NS6detail17trampoline_kernelINS0_14default_configENS1_35adjacent_difference_config_selectorILb0ElEEZNS1_24adjacent_difference_implIS3_Lb0ELb0EPlS7_ZN2at6native12_GLOBAL__N_124unique_dim_cuda_templateItEESt5tupleIJNS8_6TensorESD_SD_EERKSD_lbbbEUlllE1_EE10hipError_tPvRmT2_T3_mT4_P12ihipStream_tbEUlT_E_NS1_11comp_targetILNS1_3genE5ELNS1_11target_archE942ELNS1_3gpuE9ELNS1_3repE0EEENS1_30default_config_static_selectorELNS0_4arch9wavefront6targetE0EEEvT1_ ; -- Begin function _ZN7rocprim17ROCPRIM_400000_NS6detail17trampoline_kernelINS0_14default_configENS1_35adjacent_difference_config_selectorILb0ElEEZNS1_24adjacent_difference_implIS3_Lb0ELb0EPlS7_ZN2at6native12_GLOBAL__N_124unique_dim_cuda_templateItEESt5tupleIJNS8_6TensorESD_SD_EERKSD_lbbbEUlllE1_EE10hipError_tPvRmT2_T3_mT4_P12ihipStream_tbEUlT_E_NS1_11comp_targetILNS1_3genE5ELNS1_11target_archE942ELNS1_3gpuE9ELNS1_3repE0EEENS1_30default_config_static_selectorELNS0_4arch9wavefront6targetE0EEEvT1_
	.p2align	8
	.type	_ZN7rocprim17ROCPRIM_400000_NS6detail17trampoline_kernelINS0_14default_configENS1_35adjacent_difference_config_selectorILb0ElEEZNS1_24adjacent_difference_implIS3_Lb0ELb0EPlS7_ZN2at6native12_GLOBAL__N_124unique_dim_cuda_templateItEESt5tupleIJNS8_6TensorESD_SD_EERKSD_lbbbEUlllE1_EE10hipError_tPvRmT2_T3_mT4_P12ihipStream_tbEUlT_E_NS1_11comp_targetILNS1_3genE5ELNS1_11target_archE942ELNS1_3gpuE9ELNS1_3repE0EEENS1_30default_config_static_selectorELNS0_4arch9wavefront6targetE0EEEvT1_,@function
_ZN7rocprim17ROCPRIM_400000_NS6detail17trampoline_kernelINS0_14default_configENS1_35adjacent_difference_config_selectorILb0ElEEZNS1_24adjacent_difference_implIS3_Lb0ELb0EPlS7_ZN2at6native12_GLOBAL__N_124unique_dim_cuda_templateItEESt5tupleIJNS8_6TensorESD_SD_EERKSD_lbbbEUlllE1_EE10hipError_tPvRmT2_T3_mT4_P12ihipStream_tbEUlT_E_NS1_11comp_targetILNS1_3genE5ELNS1_11target_archE942ELNS1_3gpuE9ELNS1_3repE0EEENS1_30default_config_static_selectorELNS0_4arch9wavefront6targetE0EEEvT1_: ; @_ZN7rocprim17ROCPRIM_400000_NS6detail17trampoline_kernelINS0_14default_configENS1_35adjacent_difference_config_selectorILb0ElEEZNS1_24adjacent_difference_implIS3_Lb0ELb0EPlS7_ZN2at6native12_GLOBAL__N_124unique_dim_cuda_templateItEESt5tupleIJNS8_6TensorESD_SD_EERKSD_lbbbEUlllE1_EE10hipError_tPvRmT2_T3_mT4_P12ihipStream_tbEUlT_E_NS1_11comp_targetILNS1_3genE5ELNS1_11target_archE942ELNS1_3gpuE9ELNS1_3repE0EEENS1_30default_config_static_selectorELNS0_4arch9wavefront6targetE0EEEvT1_
; %bb.0:
	.section	.rodata,"a",@progbits
	.p2align	6, 0x0
	.amdhsa_kernel _ZN7rocprim17ROCPRIM_400000_NS6detail17trampoline_kernelINS0_14default_configENS1_35adjacent_difference_config_selectorILb0ElEEZNS1_24adjacent_difference_implIS3_Lb0ELb0EPlS7_ZN2at6native12_GLOBAL__N_124unique_dim_cuda_templateItEESt5tupleIJNS8_6TensorESD_SD_EERKSD_lbbbEUlllE1_EE10hipError_tPvRmT2_T3_mT4_P12ihipStream_tbEUlT_E_NS1_11comp_targetILNS1_3genE5ELNS1_11target_archE942ELNS1_3gpuE9ELNS1_3repE0EEENS1_30default_config_static_selectorELNS0_4arch9wavefront6targetE0EEEvT1_
		.amdhsa_group_segment_fixed_size 0
		.amdhsa_private_segment_fixed_size 0
		.amdhsa_kernarg_size 64
		.amdhsa_user_sgpr_count 2
		.amdhsa_user_sgpr_dispatch_ptr 0
		.amdhsa_user_sgpr_queue_ptr 0
		.amdhsa_user_sgpr_kernarg_segment_ptr 1
		.amdhsa_user_sgpr_dispatch_id 0
		.amdhsa_user_sgpr_kernarg_preload_length 0
		.amdhsa_user_sgpr_kernarg_preload_offset 0
		.amdhsa_user_sgpr_private_segment_size 0
		.amdhsa_wavefront_size32 1
		.amdhsa_uses_dynamic_stack 0
		.amdhsa_enable_private_segment 0
		.amdhsa_system_sgpr_workgroup_id_x 1
		.amdhsa_system_sgpr_workgroup_id_y 0
		.amdhsa_system_sgpr_workgroup_id_z 0
		.amdhsa_system_sgpr_workgroup_info 0
		.amdhsa_system_vgpr_workitem_id 0
		.amdhsa_next_free_vgpr 1
		.amdhsa_next_free_sgpr 1
		.amdhsa_named_barrier_count 0
		.amdhsa_reserve_vcc 0
		.amdhsa_float_round_mode_32 0
		.amdhsa_float_round_mode_16_64 0
		.amdhsa_float_denorm_mode_32 3
		.amdhsa_float_denorm_mode_16_64 3
		.amdhsa_fp16_overflow 0
		.amdhsa_memory_ordered 1
		.amdhsa_forward_progress 1
		.amdhsa_inst_pref_size 0
		.amdhsa_round_robin_scheduling 0
		.amdhsa_exception_fp_ieee_invalid_op 0
		.amdhsa_exception_fp_denorm_src 0
		.amdhsa_exception_fp_ieee_div_zero 0
		.amdhsa_exception_fp_ieee_overflow 0
		.amdhsa_exception_fp_ieee_underflow 0
		.amdhsa_exception_fp_ieee_inexact 0
		.amdhsa_exception_int_div_zero 0
	.end_amdhsa_kernel
	.section	.text._ZN7rocprim17ROCPRIM_400000_NS6detail17trampoline_kernelINS0_14default_configENS1_35adjacent_difference_config_selectorILb0ElEEZNS1_24adjacent_difference_implIS3_Lb0ELb0EPlS7_ZN2at6native12_GLOBAL__N_124unique_dim_cuda_templateItEESt5tupleIJNS8_6TensorESD_SD_EERKSD_lbbbEUlllE1_EE10hipError_tPvRmT2_T3_mT4_P12ihipStream_tbEUlT_E_NS1_11comp_targetILNS1_3genE5ELNS1_11target_archE942ELNS1_3gpuE9ELNS1_3repE0EEENS1_30default_config_static_selectorELNS0_4arch9wavefront6targetE0EEEvT1_,"axG",@progbits,_ZN7rocprim17ROCPRIM_400000_NS6detail17trampoline_kernelINS0_14default_configENS1_35adjacent_difference_config_selectorILb0ElEEZNS1_24adjacent_difference_implIS3_Lb0ELb0EPlS7_ZN2at6native12_GLOBAL__N_124unique_dim_cuda_templateItEESt5tupleIJNS8_6TensorESD_SD_EERKSD_lbbbEUlllE1_EE10hipError_tPvRmT2_T3_mT4_P12ihipStream_tbEUlT_E_NS1_11comp_targetILNS1_3genE5ELNS1_11target_archE942ELNS1_3gpuE9ELNS1_3repE0EEENS1_30default_config_static_selectorELNS0_4arch9wavefront6targetE0EEEvT1_,comdat
.Lfunc_end1396:
	.size	_ZN7rocprim17ROCPRIM_400000_NS6detail17trampoline_kernelINS0_14default_configENS1_35adjacent_difference_config_selectorILb0ElEEZNS1_24adjacent_difference_implIS3_Lb0ELb0EPlS7_ZN2at6native12_GLOBAL__N_124unique_dim_cuda_templateItEESt5tupleIJNS8_6TensorESD_SD_EERKSD_lbbbEUlllE1_EE10hipError_tPvRmT2_T3_mT4_P12ihipStream_tbEUlT_E_NS1_11comp_targetILNS1_3genE5ELNS1_11target_archE942ELNS1_3gpuE9ELNS1_3repE0EEENS1_30default_config_static_selectorELNS0_4arch9wavefront6targetE0EEEvT1_, .Lfunc_end1396-_ZN7rocprim17ROCPRIM_400000_NS6detail17trampoline_kernelINS0_14default_configENS1_35adjacent_difference_config_selectorILb0ElEEZNS1_24adjacent_difference_implIS3_Lb0ELb0EPlS7_ZN2at6native12_GLOBAL__N_124unique_dim_cuda_templateItEESt5tupleIJNS8_6TensorESD_SD_EERKSD_lbbbEUlllE1_EE10hipError_tPvRmT2_T3_mT4_P12ihipStream_tbEUlT_E_NS1_11comp_targetILNS1_3genE5ELNS1_11target_archE942ELNS1_3gpuE9ELNS1_3repE0EEENS1_30default_config_static_selectorELNS0_4arch9wavefront6targetE0EEEvT1_
                                        ; -- End function
	.set _ZN7rocprim17ROCPRIM_400000_NS6detail17trampoline_kernelINS0_14default_configENS1_35adjacent_difference_config_selectorILb0ElEEZNS1_24adjacent_difference_implIS3_Lb0ELb0EPlS7_ZN2at6native12_GLOBAL__N_124unique_dim_cuda_templateItEESt5tupleIJNS8_6TensorESD_SD_EERKSD_lbbbEUlllE1_EE10hipError_tPvRmT2_T3_mT4_P12ihipStream_tbEUlT_E_NS1_11comp_targetILNS1_3genE5ELNS1_11target_archE942ELNS1_3gpuE9ELNS1_3repE0EEENS1_30default_config_static_selectorELNS0_4arch9wavefront6targetE0EEEvT1_.num_vgpr, 0
	.set _ZN7rocprim17ROCPRIM_400000_NS6detail17trampoline_kernelINS0_14default_configENS1_35adjacent_difference_config_selectorILb0ElEEZNS1_24adjacent_difference_implIS3_Lb0ELb0EPlS7_ZN2at6native12_GLOBAL__N_124unique_dim_cuda_templateItEESt5tupleIJNS8_6TensorESD_SD_EERKSD_lbbbEUlllE1_EE10hipError_tPvRmT2_T3_mT4_P12ihipStream_tbEUlT_E_NS1_11comp_targetILNS1_3genE5ELNS1_11target_archE942ELNS1_3gpuE9ELNS1_3repE0EEENS1_30default_config_static_selectorELNS0_4arch9wavefront6targetE0EEEvT1_.num_agpr, 0
	.set _ZN7rocprim17ROCPRIM_400000_NS6detail17trampoline_kernelINS0_14default_configENS1_35adjacent_difference_config_selectorILb0ElEEZNS1_24adjacent_difference_implIS3_Lb0ELb0EPlS7_ZN2at6native12_GLOBAL__N_124unique_dim_cuda_templateItEESt5tupleIJNS8_6TensorESD_SD_EERKSD_lbbbEUlllE1_EE10hipError_tPvRmT2_T3_mT4_P12ihipStream_tbEUlT_E_NS1_11comp_targetILNS1_3genE5ELNS1_11target_archE942ELNS1_3gpuE9ELNS1_3repE0EEENS1_30default_config_static_selectorELNS0_4arch9wavefront6targetE0EEEvT1_.numbered_sgpr, 0
	.set _ZN7rocprim17ROCPRIM_400000_NS6detail17trampoline_kernelINS0_14default_configENS1_35adjacent_difference_config_selectorILb0ElEEZNS1_24adjacent_difference_implIS3_Lb0ELb0EPlS7_ZN2at6native12_GLOBAL__N_124unique_dim_cuda_templateItEESt5tupleIJNS8_6TensorESD_SD_EERKSD_lbbbEUlllE1_EE10hipError_tPvRmT2_T3_mT4_P12ihipStream_tbEUlT_E_NS1_11comp_targetILNS1_3genE5ELNS1_11target_archE942ELNS1_3gpuE9ELNS1_3repE0EEENS1_30default_config_static_selectorELNS0_4arch9wavefront6targetE0EEEvT1_.num_named_barrier, 0
	.set _ZN7rocprim17ROCPRIM_400000_NS6detail17trampoline_kernelINS0_14default_configENS1_35adjacent_difference_config_selectorILb0ElEEZNS1_24adjacent_difference_implIS3_Lb0ELb0EPlS7_ZN2at6native12_GLOBAL__N_124unique_dim_cuda_templateItEESt5tupleIJNS8_6TensorESD_SD_EERKSD_lbbbEUlllE1_EE10hipError_tPvRmT2_T3_mT4_P12ihipStream_tbEUlT_E_NS1_11comp_targetILNS1_3genE5ELNS1_11target_archE942ELNS1_3gpuE9ELNS1_3repE0EEENS1_30default_config_static_selectorELNS0_4arch9wavefront6targetE0EEEvT1_.private_seg_size, 0
	.set _ZN7rocprim17ROCPRIM_400000_NS6detail17trampoline_kernelINS0_14default_configENS1_35adjacent_difference_config_selectorILb0ElEEZNS1_24adjacent_difference_implIS3_Lb0ELb0EPlS7_ZN2at6native12_GLOBAL__N_124unique_dim_cuda_templateItEESt5tupleIJNS8_6TensorESD_SD_EERKSD_lbbbEUlllE1_EE10hipError_tPvRmT2_T3_mT4_P12ihipStream_tbEUlT_E_NS1_11comp_targetILNS1_3genE5ELNS1_11target_archE942ELNS1_3gpuE9ELNS1_3repE0EEENS1_30default_config_static_selectorELNS0_4arch9wavefront6targetE0EEEvT1_.uses_vcc, 0
	.set _ZN7rocprim17ROCPRIM_400000_NS6detail17trampoline_kernelINS0_14default_configENS1_35adjacent_difference_config_selectorILb0ElEEZNS1_24adjacent_difference_implIS3_Lb0ELb0EPlS7_ZN2at6native12_GLOBAL__N_124unique_dim_cuda_templateItEESt5tupleIJNS8_6TensorESD_SD_EERKSD_lbbbEUlllE1_EE10hipError_tPvRmT2_T3_mT4_P12ihipStream_tbEUlT_E_NS1_11comp_targetILNS1_3genE5ELNS1_11target_archE942ELNS1_3gpuE9ELNS1_3repE0EEENS1_30default_config_static_selectorELNS0_4arch9wavefront6targetE0EEEvT1_.uses_flat_scratch, 0
	.set _ZN7rocprim17ROCPRIM_400000_NS6detail17trampoline_kernelINS0_14default_configENS1_35adjacent_difference_config_selectorILb0ElEEZNS1_24adjacent_difference_implIS3_Lb0ELb0EPlS7_ZN2at6native12_GLOBAL__N_124unique_dim_cuda_templateItEESt5tupleIJNS8_6TensorESD_SD_EERKSD_lbbbEUlllE1_EE10hipError_tPvRmT2_T3_mT4_P12ihipStream_tbEUlT_E_NS1_11comp_targetILNS1_3genE5ELNS1_11target_archE942ELNS1_3gpuE9ELNS1_3repE0EEENS1_30default_config_static_selectorELNS0_4arch9wavefront6targetE0EEEvT1_.has_dyn_sized_stack, 0
	.set _ZN7rocprim17ROCPRIM_400000_NS6detail17trampoline_kernelINS0_14default_configENS1_35adjacent_difference_config_selectorILb0ElEEZNS1_24adjacent_difference_implIS3_Lb0ELb0EPlS7_ZN2at6native12_GLOBAL__N_124unique_dim_cuda_templateItEESt5tupleIJNS8_6TensorESD_SD_EERKSD_lbbbEUlllE1_EE10hipError_tPvRmT2_T3_mT4_P12ihipStream_tbEUlT_E_NS1_11comp_targetILNS1_3genE5ELNS1_11target_archE942ELNS1_3gpuE9ELNS1_3repE0EEENS1_30default_config_static_selectorELNS0_4arch9wavefront6targetE0EEEvT1_.has_recursion, 0
	.set _ZN7rocprim17ROCPRIM_400000_NS6detail17trampoline_kernelINS0_14default_configENS1_35adjacent_difference_config_selectorILb0ElEEZNS1_24adjacent_difference_implIS3_Lb0ELb0EPlS7_ZN2at6native12_GLOBAL__N_124unique_dim_cuda_templateItEESt5tupleIJNS8_6TensorESD_SD_EERKSD_lbbbEUlllE1_EE10hipError_tPvRmT2_T3_mT4_P12ihipStream_tbEUlT_E_NS1_11comp_targetILNS1_3genE5ELNS1_11target_archE942ELNS1_3gpuE9ELNS1_3repE0EEENS1_30default_config_static_selectorELNS0_4arch9wavefront6targetE0EEEvT1_.has_indirect_call, 0
	.section	.AMDGPU.csdata,"",@progbits
; Kernel info:
; codeLenInByte = 0
; TotalNumSgprs: 0
; NumVgprs: 0
; ScratchSize: 0
; MemoryBound: 0
; FloatMode: 240
; IeeeMode: 1
; LDSByteSize: 0 bytes/workgroup (compile time only)
; SGPRBlocks: 0
; VGPRBlocks: 0
; NumSGPRsForWavesPerEU: 1
; NumVGPRsForWavesPerEU: 1
; NamedBarCnt: 0
; Occupancy: 16
; WaveLimiterHint : 0
; COMPUTE_PGM_RSRC2:SCRATCH_EN: 0
; COMPUTE_PGM_RSRC2:USER_SGPR: 2
; COMPUTE_PGM_RSRC2:TRAP_HANDLER: 0
; COMPUTE_PGM_RSRC2:TGID_X_EN: 1
; COMPUTE_PGM_RSRC2:TGID_Y_EN: 0
; COMPUTE_PGM_RSRC2:TGID_Z_EN: 0
; COMPUTE_PGM_RSRC2:TIDIG_COMP_CNT: 0
	.section	.text._ZN7rocprim17ROCPRIM_400000_NS6detail17trampoline_kernelINS0_14default_configENS1_35adjacent_difference_config_selectorILb0ElEEZNS1_24adjacent_difference_implIS3_Lb0ELb0EPlS7_ZN2at6native12_GLOBAL__N_124unique_dim_cuda_templateItEESt5tupleIJNS8_6TensorESD_SD_EERKSD_lbbbEUlllE1_EE10hipError_tPvRmT2_T3_mT4_P12ihipStream_tbEUlT_E_NS1_11comp_targetILNS1_3genE4ELNS1_11target_archE910ELNS1_3gpuE8ELNS1_3repE0EEENS1_30default_config_static_selectorELNS0_4arch9wavefront6targetE0EEEvT1_,"axG",@progbits,_ZN7rocprim17ROCPRIM_400000_NS6detail17trampoline_kernelINS0_14default_configENS1_35adjacent_difference_config_selectorILb0ElEEZNS1_24adjacent_difference_implIS3_Lb0ELb0EPlS7_ZN2at6native12_GLOBAL__N_124unique_dim_cuda_templateItEESt5tupleIJNS8_6TensorESD_SD_EERKSD_lbbbEUlllE1_EE10hipError_tPvRmT2_T3_mT4_P12ihipStream_tbEUlT_E_NS1_11comp_targetILNS1_3genE4ELNS1_11target_archE910ELNS1_3gpuE8ELNS1_3repE0EEENS1_30default_config_static_selectorELNS0_4arch9wavefront6targetE0EEEvT1_,comdat
	.globl	_ZN7rocprim17ROCPRIM_400000_NS6detail17trampoline_kernelINS0_14default_configENS1_35adjacent_difference_config_selectorILb0ElEEZNS1_24adjacent_difference_implIS3_Lb0ELb0EPlS7_ZN2at6native12_GLOBAL__N_124unique_dim_cuda_templateItEESt5tupleIJNS8_6TensorESD_SD_EERKSD_lbbbEUlllE1_EE10hipError_tPvRmT2_T3_mT4_P12ihipStream_tbEUlT_E_NS1_11comp_targetILNS1_3genE4ELNS1_11target_archE910ELNS1_3gpuE8ELNS1_3repE0EEENS1_30default_config_static_selectorELNS0_4arch9wavefront6targetE0EEEvT1_ ; -- Begin function _ZN7rocprim17ROCPRIM_400000_NS6detail17trampoline_kernelINS0_14default_configENS1_35adjacent_difference_config_selectorILb0ElEEZNS1_24adjacent_difference_implIS3_Lb0ELb0EPlS7_ZN2at6native12_GLOBAL__N_124unique_dim_cuda_templateItEESt5tupleIJNS8_6TensorESD_SD_EERKSD_lbbbEUlllE1_EE10hipError_tPvRmT2_T3_mT4_P12ihipStream_tbEUlT_E_NS1_11comp_targetILNS1_3genE4ELNS1_11target_archE910ELNS1_3gpuE8ELNS1_3repE0EEENS1_30default_config_static_selectorELNS0_4arch9wavefront6targetE0EEEvT1_
	.p2align	8
	.type	_ZN7rocprim17ROCPRIM_400000_NS6detail17trampoline_kernelINS0_14default_configENS1_35adjacent_difference_config_selectorILb0ElEEZNS1_24adjacent_difference_implIS3_Lb0ELb0EPlS7_ZN2at6native12_GLOBAL__N_124unique_dim_cuda_templateItEESt5tupleIJNS8_6TensorESD_SD_EERKSD_lbbbEUlllE1_EE10hipError_tPvRmT2_T3_mT4_P12ihipStream_tbEUlT_E_NS1_11comp_targetILNS1_3genE4ELNS1_11target_archE910ELNS1_3gpuE8ELNS1_3repE0EEENS1_30default_config_static_selectorELNS0_4arch9wavefront6targetE0EEEvT1_,@function
_ZN7rocprim17ROCPRIM_400000_NS6detail17trampoline_kernelINS0_14default_configENS1_35adjacent_difference_config_selectorILb0ElEEZNS1_24adjacent_difference_implIS3_Lb0ELb0EPlS7_ZN2at6native12_GLOBAL__N_124unique_dim_cuda_templateItEESt5tupleIJNS8_6TensorESD_SD_EERKSD_lbbbEUlllE1_EE10hipError_tPvRmT2_T3_mT4_P12ihipStream_tbEUlT_E_NS1_11comp_targetILNS1_3genE4ELNS1_11target_archE910ELNS1_3gpuE8ELNS1_3repE0EEENS1_30default_config_static_selectorELNS0_4arch9wavefront6targetE0EEEvT1_: ; @_ZN7rocprim17ROCPRIM_400000_NS6detail17trampoline_kernelINS0_14default_configENS1_35adjacent_difference_config_selectorILb0ElEEZNS1_24adjacent_difference_implIS3_Lb0ELb0EPlS7_ZN2at6native12_GLOBAL__N_124unique_dim_cuda_templateItEESt5tupleIJNS8_6TensorESD_SD_EERKSD_lbbbEUlllE1_EE10hipError_tPvRmT2_T3_mT4_P12ihipStream_tbEUlT_E_NS1_11comp_targetILNS1_3genE4ELNS1_11target_archE910ELNS1_3gpuE8ELNS1_3repE0EEENS1_30default_config_static_selectorELNS0_4arch9wavefront6targetE0EEEvT1_
; %bb.0:
	.section	.rodata,"a",@progbits
	.p2align	6, 0x0
	.amdhsa_kernel _ZN7rocprim17ROCPRIM_400000_NS6detail17trampoline_kernelINS0_14default_configENS1_35adjacent_difference_config_selectorILb0ElEEZNS1_24adjacent_difference_implIS3_Lb0ELb0EPlS7_ZN2at6native12_GLOBAL__N_124unique_dim_cuda_templateItEESt5tupleIJNS8_6TensorESD_SD_EERKSD_lbbbEUlllE1_EE10hipError_tPvRmT2_T3_mT4_P12ihipStream_tbEUlT_E_NS1_11comp_targetILNS1_3genE4ELNS1_11target_archE910ELNS1_3gpuE8ELNS1_3repE0EEENS1_30default_config_static_selectorELNS0_4arch9wavefront6targetE0EEEvT1_
		.amdhsa_group_segment_fixed_size 0
		.amdhsa_private_segment_fixed_size 0
		.amdhsa_kernarg_size 64
		.amdhsa_user_sgpr_count 2
		.amdhsa_user_sgpr_dispatch_ptr 0
		.amdhsa_user_sgpr_queue_ptr 0
		.amdhsa_user_sgpr_kernarg_segment_ptr 1
		.amdhsa_user_sgpr_dispatch_id 0
		.amdhsa_user_sgpr_kernarg_preload_length 0
		.amdhsa_user_sgpr_kernarg_preload_offset 0
		.amdhsa_user_sgpr_private_segment_size 0
		.amdhsa_wavefront_size32 1
		.amdhsa_uses_dynamic_stack 0
		.amdhsa_enable_private_segment 0
		.amdhsa_system_sgpr_workgroup_id_x 1
		.amdhsa_system_sgpr_workgroup_id_y 0
		.amdhsa_system_sgpr_workgroup_id_z 0
		.amdhsa_system_sgpr_workgroup_info 0
		.amdhsa_system_vgpr_workitem_id 0
		.amdhsa_next_free_vgpr 1
		.amdhsa_next_free_sgpr 1
		.amdhsa_named_barrier_count 0
		.amdhsa_reserve_vcc 0
		.amdhsa_float_round_mode_32 0
		.amdhsa_float_round_mode_16_64 0
		.amdhsa_float_denorm_mode_32 3
		.amdhsa_float_denorm_mode_16_64 3
		.amdhsa_fp16_overflow 0
		.amdhsa_memory_ordered 1
		.amdhsa_forward_progress 1
		.amdhsa_inst_pref_size 0
		.amdhsa_round_robin_scheduling 0
		.amdhsa_exception_fp_ieee_invalid_op 0
		.amdhsa_exception_fp_denorm_src 0
		.amdhsa_exception_fp_ieee_div_zero 0
		.amdhsa_exception_fp_ieee_overflow 0
		.amdhsa_exception_fp_ieee_underflow 0
		.amdhsa_exception_fp_ieee_inexact 0
		.amdhsa_exception_int_div_zero 0
	.end_amdhsa_kernel
	.section	.text._ZN7rocprim17ROCPRIM_400000_NS6detail17trampoline_kernelINS0_14default_configENS1_35adjacent_difference_config_selectorILb0ElEEZNS1_24adjacent_difference_implIS3_Lb0ELb0EPlS7_ZN2at6native12_GLOBAL__N_124unique_dim_cuda_templateItEESt5tupleIJNS8_6TensorESD_SD_EERKSD_lbbbEUlllE1_EE10hipError_tPvRmT2_T3_mT4_P12ihipStream_tbEUlT_E_NS1_11comp_targetILNS1_3genE4ELNS1_11target_archE910ELNS1_3gpuE8ELNS1_3repE0EEENS1_30default_config_static_selectorELNS0_4arch9wavefront6targetE0EEEvT1_,"axG",@progbits,_ZN7rocprim17ROCPRIM_400000_NS6detail17trampoline_kernelINS0_14default_configENS1_35adjacent_difference_config_selectorILb0ElEEZNS1_24adjacent_difference_implIS3_Lb0ELb0EPlS7_ZN2at6native12_GLOBAL__N_124unique_dim_cuda_templateItEESt5tupleIJNS8_6TensorESD_SD_EERKSD_lbbbEUlllE1_EE10hipError_tPvRmT2_T3_mT4_P12ihipStream_tbEUlT_E_NS1_11comp_targetILNS1_3genE4ELNS1_11target_archE910ELNS1_3gpuE8ELNS1_3repE0EEENS1_30default_config_static_selectorELNS0_4arch9wavefront6targetE0EEEvT1_,comdat
.Lfunc_end1397:
	.size	_ZN7rocprim17ROCPRIM_400000_NS6detail17trampoline_kernelINS0_14default_configENS1_35adjacent_difference_config_selectorILb0ElEEZNS1_24adjacent_difference_implIS3_Lb0ELb0EPlS7_ZN2at6native12_GLOBAL__N_124unique_dim_cuda_templateItEESt5tupleIJNS8_6TensorESD_SD_EERKSD_lbbbEUlllE1_EE10hipError_tPvRmT2_T3_mT4_P12ihipStream_tbEUlT_E_NS1_11comp_targetILNS1_3genE4ELNS1_11target_archE910ELNS1_3gpuE8ELNS1_3repE0EEENS1_30default_config_static_selectorELNS0_4arch9wavefront6targetE0EEEvT1_, .Lfunc_end1397-_ZN7rocprim17ROCPRIM_400000_NS6detail17trampoline_kernelINS0_14default_configENS1_35adjacent_difference_config_selectorILb0ElEEZNS1_24adjacent_difference_implIS3_Lb0ELb0EPlS7_ZN2at6native12_GLOBAL__N_124unique_dim_cuda_templateItEESt5tupleIJNS8_6TensorESD_SD_EERKSD_lbbbEUlllE1_EE10hipError_tPvRmT2_T3_mT4_P12ihipStream_tbEUlT_E_NS1_11comp_targetILNS1_3genE4ELNS1_11target_archE910ELNS1_3gpuE8ELNS1_3repE0EEENS1_30default_config_static_selectorELNS0_4arch9wavefront6targetE0EEEvT1_
                                        ; -- End function
	.set _ZN7rocprim17ROCPRIM_400000_NS6detail17trampoline_kernelINS0_14default_configENS1_35adjacent_difference_config_selectorILb0ElEEZNS1_24adjacent_difference_implIS3_Lb0ELb0EPlS7_ZN2at6native12_GLOBAL__N_124unique_dim_cuda_templateItEESt5tupleIJNS8_6TensorESD_SD_EERKSD_lbbbEUlllE1_EE10hipError_tPvRmT2_T3_mT4_P12ihipStream_tbEUlT_E_NS1_11comp_targetILNS1_3genE4ELNS1_11target_archE910ELNS1_3gpuE8ELNS1_3repE0EEENS1_30default_config_static_selectorELNS0_4arch9wavefront6targetE0EEEvT1_.num_vgpr, 0
	.set _ZN7rocprim17ROCPRIM_400000_NS6detail17trampoline_kernelINS0_14default_configENS1_35adjacent_difference_config_selectorILb0ElEEZNS1_24adjacent_difference_implIS3_Lb0ELb0EPlS7_ZN2at6native12_GLOBAL__N_124unique_dim_cuda_templateItEESt5tupleIJNS8_6TensorESD_SD_EERKSD_lbbbEUlllE1_EE10hipError_tPvRmT2_T3_mT4_P12ihipStream_tbEUlT_E_NS1_11comp_targetILNS1_3genE4ELNS1_11target_archE910ELNS1_3gpuE8ELNS1_3repE0EEENS1_30default_config_static_selectorELNS0_4arch9wavefront6targetE0EEEvT1_.num_agpr, 0
	.set _ZN7rocprim17ROCPRIM_400000_NS6detail17trampoline_kernelINS0_14default_configENS1_35adjacent_difference_config_selectorILb0ElEEZNS1_24adjacent_difference_implIS3_Lb0ELb0EPlS7_ZN2at6native12_GLOBAL__N_124unique_dim_cuda_templateItEESt5tupleIJNS8_6TensorESD_SD_EERKSD_lbbbEUlllE1_EE10hipError_tPvRmT2_T3_mT4_P12ihipStream_tbEUlT_E_NS1_11comp_targetILNS1_3genE4ELNS1_11target_archE910ELNS1_3gpuE8ELNS1_3repE0EEENS1_30default_config_static_selectorELNS0_4arch9wavefront6targetE0EEEvT1_.numbered_sgpr, 0
	.set _ZN7rocprim17ROCPRIM_400000_NS6detail17trampoline_kernelINS0_14default_configENS1_35adjacent_difference_config_selectorILb0ElEEZNS1_24adjacent_difference_implIS3_Lb0ELb0EPlS7_ZN2at6native12_GLOBAL__N_124unique_dim_cuda_templateItEESt5tupleIJNS8_6TensorESD_SD_EERKSD_lbbbEUlllE1_EE10hipError_tPvRmT2_T3_mT4_P12ihipStream_tbEUlT_E_NS1_11comp_targetILNS1_3genE4ELNS1_11target_archE910ELNS1_3gpuE8ELNS1_3repE0EEENS1_30default_config_static_selectorELNS0_4arch9wavefront6targetE0EEEvT1_.num_named_barrier, 0
	.set _ZN7rocprim17ROCPRIM_400000_NS6detail17trampoline_kernelINS0_14default_configENS1_35adjacent_difference_config_selectorILb0ElEEZNS1_24adjacent_difference_implIS3_Lb0ELb0EPlS7_ZN2at6native12_GLOBAL__N_124unique_dim_cuda_templateItEESt5tupleIJNS8_6TensorESD_SD_EERKSD_lbbbEUlllE1_EE10hipError_tPvRmT2_T3_mT4_P12ihipStream_tbEUlT_E_NS1_11comp_targetILNS1_3genE4ELNS1_11target_archE910ELNS1_3gpuE8ELNS1_3repE0EEENS1_30default_config_static_selectorELNS0_4arch9wavefront6targetE0EEEvT1_.private_seg_size, 0
	.set _ZN7rocprim17ROCPRIM_400000_NS6detail17trampoline_kernelINS0_14default_configENS1_35adjacent_difference_config_selectorILb0ElEEZNS1_24adjacent_difference_implIS3_Lb0ELb0EPlS7_ZN2at6native12_GLOBAL__N_124unique_dim_cuda_templateItEESt5tupleIJNS8_6TensorESD_SD_EERKSD_lbbbEUlllE1_EE10hipError_tPvRmT2_T3_mT4_P12ihipStream_tbEUlT_E_NS1_11comp_targetILNS1_3genE4ELNS1_11target_archE910ELNS1_3gpuE8ELNS1_3repE0EEENS1_30default_config_static_selectorELNS0_4arch9wavefront6targetE0EEEvT1_.uses_vcc, 0
	.set _ZN7rocprim17ROCPRIM_400000_NS6detail17trampoline_kernelINS0_14default_configENS1_35adjacent_difference_config_selectorILb0ElEEZNS1_24adjacent_difference_implIS3_Lb0ELb0EPlS7_ZN2at6native12_GLOBAL__N_124unique_dim_cuda_templateItEESt5tupleIJNS8_6TensorESD_SD_EERKSD_lbbbEUlllE1_EE10hipError_tPvRmT2_T3_mT4_P12ihipStream_tbEUlT_E_NS1_11comp_targetILNS1_3genE4ELNS1_11target_archE910ELNS1_3gpuE8ELNS1_3repE0EEENS1_30default_config_static_selectorELNS0_4arch9wavefront6targetE0EEEvT1_.uses_flat_scratch, 0
	.set _ZN7rocprim17ROCPRIM_400000_NS6detail17trampoline_kernelINS0_14default_configENS1_35adjacent_difference_config_selectorILb0ElEEZNS1_24adjacent_difference_implIS3_Lb0ELb0EPlS7_ZN2at6native12_GLOBAL__N_124unique_dim_cuda_templateItEESt5tupleIJNS8_6TensorESD_SD_EERKSD_lbbbEUlllE1_EE10hipError_tPvRmT2_T3_mT4_P12ihipStream_tbEUlT_E_NS1_11comp_targetILNS1_3genE4ELNS1_11target_archE910ELNS1_3gpuE8ELNS1_3repE0EEENS1_30default_config_static_selectorELNS0_4arch9wavefront6targetE0EEEvT1_.has_dyn_sized_stack, 0
	.set _ZN7rocprim17ROCPRIM_400000_NS6detail17trampoline_kernelINS0_14default_configENS1_35adjacent_difference_config_selectorILb0ElEEZNS1_24adjacent_difference_implIS3_Lb0ELb0EPlS7_ZN2at6native12_GLOBAL__N_124unique_dim_cuda_templateItEESt5tupleIJNS8_6TensorESD_SD_EERKSD_lbbbEUlllE1_EE10hipError_tPvRmT2_T3_mT4_P12ihipStream_tbEUlT_E_NS1_11comp_targetILNS1_3genE4ELNS1_11target_archE910ELNS1_3gpuE8ELNS1_3repE0EEENS1_30default_config_static_selectorELNS0_4arch9wavefront6targetE0EEEvT1_.has_recursion, 0
	.set _ZN7rocprim17ROCPRIM_400000_NS6detail17trampoline_kernelINS0_14default_configENS1_35adjacent_difference_config_selectorILb0ElEEZNS1_24adjacent_difference_implIS3_Lb0ELb0EPlS7_ZN2at6native12_GLOBAL__N_124unique_dim_cuda_templateItEESt5tupleIJNS8_6TensorESD_SD_EERKSD_lbbbEUlllE1_EE10hipError_tPvRmT2_T3_mT4_P12ihipStream_tbEUlT_E_NS1_11comp_targetILNS1_3genE4ELNS1_11target_archE910ELNS1_3gpuE8ELNS1_3repE0EEENS1_30default_config_static_selectorELNS0_4arch9wavefront6targetE0EEEvT1_.has_indirect_call, 0
	.section	.AMDGPU.csdata,"",@progbits
; Kernel info:
; codeLenInByte = 0
; TotalNumSgprs: 0
; NumVgprs: 0
; ScratchSize: 0
; MemoryBound: 0
; FloatMode: 240
; IeeeMode: 1
; LDSByteSize: 0 bytes/workgroup (compile time only)
; SGPRBlocks: 0
; VGPRBlocks: 0
; NumSGPRsForWavesPerEU: 1
; NumVGPRsForWavesPerEU: 1
; NamedBarCnt: 0
; Occupancy: 16
; WaveLimiterHint : 0
; COMPUTE_PGM_RSRC2:SCRATCH_EN: 0
; COMPUTE_PGM_RSRC2:USER_SGPR: 2
; COMPUTE_PGM_RSRC2:TRAP_HANDLER: 0
; COMPUTE_PGM_RSRC2:TGID_X_EN: 1
; COMPUTE_PGM_RSRC2:TGID_Y_EN: 0
; COMPUTE_PGM_RSRC2:TGID_Z_EN: 0
; COMPUTE_PGM_RSRC2:TIDIG_COMP_CNT: 0
	.section	.text._ZN7rocprim17ROCPRIM_400000_NS6detail17trampoline_kernelINS0_14default_configENS1_35adjacent_difference_config_selectorILb0ElEEZNS1_24adjacent_difference_implIS3_Lb0ELb0EPlS7_ZN2at6native12_GLOBAL__N_124unique_dim_cuda_templateItEESt5tupleIJNS8_6TensorESD_SD_EERKSD_lbbbEUlllE1_EE10hipError_tPvRmT2_T3_mT4_P12ihipStream_tbEUlT_E_NS1_11comp_targetILNS1_3genE3ELNS1_11target_archE908ELNS1_3gpuE7ELNS1_3repE0EEENS1_30default_config_static_selectorELNS0_4arch9wavefront6targetE0EEEvT1_,"axG",@progbits,_ZN7rocprim17ROCPRIM_400000_NS6detail17trampoline_kernelINS0_14default_configENS1_35adjacent_difference_config_selectorILb0ElEEZNS1_24adjacent_difference_implIS3_Lb0ELb0EPlS7_ZN2at6native12_GLOBAL__N_124unique_dim_cuda_templateItEESt5tupleIJNS8_6TensorESD_SD_EERKSD_lbbbEUlllE1_EE10hipError_tPvRmT2_T3_mT4_P12ihipStream_tbEUlT_E_NS1_11comp_targetILNS1_3genE3ELNS1_11target_archE908ELNS1_3gpuE7ELNS1_3repE0EEENS1_30default_config_static_selectorELNS0_4arch9wavefront6targetE0EEEvT1_,comdat
	.globl	_ZN7rocprim17ROCPRIM_400000_NS6detail17trampoline_kernelINS0_14default_configENS1_35adjacent_difference_config_selectorILb0ElEEZNS1_24adjacent_difference_implIS3_Lb0ELb0EPlS7_ZN2at6native12_GLOBAL__N_124unique_dim_cuda_templateItEESt5tupleIJNS8_6TensorESD_SD_EERKSD_lbbbEUlllE1_EE10hipError_tPvRmT2_T3_mT4_P12ihipStream_tbEUlT_E_NS1_11comp_targetILNS1_3genE3ELNS1_11target_archE908ELNS1_3gpuE7ELNS1_3repE0EEENS1_30default_config_static_selectorELNS0_4arch9wavefront6targetE0EEEvT1_ ; -- Begin function _ZN7rocprim17ROCPRIM_400000_NS6detail17trampoline_kernelINS0_14default_configENS1_35adjacent_difference_config_selectorILb0ElEEZNS1_24adjacent_difference_implIS3_Lb0ELb0EPlS7_ZN2at6native12_GLOBAL__N_124unique_dim_cuda_templateItEESt5tupleIJNS8_6TensorESD_SD_EERKSD_lbbbEUlllE1_EE10hipError_tPvRmT2_T3_mT4_P12ihipStream_tbEUlT_E_NS1_11comp_targetILNS1_3genE3ELNS1_11target_archE908ELNS1_3gpuE7ELNS1_3repE0EEENS1_30default_config_static_selectorELNS0_4arch9wavefront6targetE0EEEvT1_
	.p2align	8
	.type	_ZN7rocprim17ROCPRIM_400000_NS6detail17trampoline_kernelINS0_14default_configENS1_35adjacent_difference_config_selectorILb0ElEEZNS1_24adjacent_difference_implIS3_Lb0ELb0EPlS7_ZN2at6native12_GLOBAL__N_124unique_dim_cuda_templateItEESt5tupleIJNS8_6TensorESD_SD_EERKSD_lbbbEUlllE1_EE10hipError_tPvRmT2_T3_mT4_P12ihipStream_tbEUlT_E_NS1_11comp_targetILNS1_3genE3ELNS1_11target_archE908ELNS1_3gpuE7ELNS1_3repE0EEENS1_30default_config_static_selectorELNS0_4arch9wavefront6targetE0EEEvT1_,@function
_ZN7rocprim17ROCPRIM_400000_NS6detail17trampoline_kernelINS0_14default_configENS1_35adjacent_difference_config_selectorILb0ElEEZNS1_24adjacent_difference_implIS3_Lb0ELb0EPlS7_ZN2at6native12_GLOBAL__N_124unique_dim_cuda_templateItEESt5tupleIJNS8_6TensorESD_SD_EERKSD_lbbbEUlllE1_EE10hipError_tPvRmT2_T3_mT4_P12ihipStream_tbEUlT_E_NS1_11comp_targetILNS1_3genE3ELNS1_11target_archE908ELNS1_3gpuE7ELNS1_3repE0EEENS1_30default_config_static_selectorELNS0_4arch9wavefront6targetE0EEEvT1_: ; @_ZN7rocprim17ROCPRIM_400000_NS6detail17trampoline_kernelINS0_14default_configENS1_35adjacent_difference_config_selectorILb0ElEEZNS1_24adjacent_difference_implIS3_Lb0ELb0EPlS7_ZN2at6native12_GLOBAL__N_124unique_dim_cuda_templateItEESt5tupleIJNS8_6TensorESD_SD_EERKSD_lbbbEUlllE1_EE10hipError_tPvRmT2_T3_mT4_P12ihipStream_tbEUlT_E_NS1_11comp_targetILNS1_3genE3ELNS1_11target_archE908ELNS1_3gpuE7ELNS1_3repE0EEENS1_30default_config_static_selectorELNS0_4arch9wavefront6targetE0EEEvT1_
; %bb.0:
	.section	.rodata,"a",@progbits
	.p2align	6, 0x0
	.amdhsa_kernel _ZN7rocprim17ROCPRIM_400000_NS6detail17trampoline_kernelINS0_14default_configENS1_35adjacent_difference_config_selectorILb0ElEEZNS1_24adjacent_difference_implIS3_Lb0ELb0EPlS7_ZN2at6native12_GLOBAL__N_124unique_dim_cuda_templateItEESt5tupleIJNS8_6TensorESD_SD_EERKSD_lbbbEUlllE1_EE10hipError_tPvRmT2_T3_mT4_P12ihipStream_tbEUlT_E_NS1_11comp_targetILNS1_3genE3ELNS1_11target_archE908ELNS1_3gpuE7ELNS1_3repE0EEENS1_30default_config_static_selectorELNS0_4arch9wavefront6targetE0EEEvT1_
		.amdhsa_group_segment_fixed_size 0
		.amdhsa_private_segment_fixed_size 0
		.amdhsa_kernarg_size 64
		.amdhsa_user_sgpr_count 2
		.amdhsa_user_sgpr_dispatch_ptr 0
		.amdhsa_user_sgpr_queue_ptr 0
		.amdhsa_user_sgpr_kernarg_segment_ptr 1
		.amdhsa_user_sgpr_dispatch_id 0
		.amdhsa_user_sgpr_kernarg_preload_length 0
		.amdhsa_user_sgpr_kernarg_preload_offset 0
		.amdhsa_user_sgpr_private_segment_size 0
		.amdhsa_wavefront_size32 1
		.amdhsa_uses_dynamic_stack 0
		.amdhsa_enable_private_segment 0
		.amdhsa_system_sgpr_workgroup_id_x 1
		.amdhsa_system_sgpr_workgroup_id_y 0
		.amdhsa_system_sgpr_workgroup_id_z 0
		.amdhsa_system_sgpr_workgroup_info 0
		.amdhsa_system_vgpr_workitem_id 0
		.amdhsa_next_free_vgpr 1
		.amdhsa_next_free_sgpr 1
		.amdhsa_named_barrier_count 0
		.amdhsa_reserve_vcc 0
		.amdhsa_float_round_mode_32 0
		.amdhsa_float_round_mode_16_64 0
		.amdhsa_float_denorm_mode_32 3
		.amdhsa_float_denorm_mode_16_64 3
		.amdhsa_fp16_overflow 0
		.amdhsa_memory_ordered 1
		.amdhsa_forward_progress 1
		.amdhsa_inst_pref_size 0
		.amdhsa_round_robin_scheduling 0
		.amdhsa_exception_fp_ieee_invalid_op 0
		.amdhsa_exception_fp_denorm_src 0
		.amdhsa_exception_fp_ieee_div_zero 0
		.amdhsa_exception_fp_ieee_overflow 0
		.amdhsa_exception_fp_ieee_underflow 0
		.amdhsa_exception_fp_ieee_inexact 0
		.amdhsa_exception_int_div_zero 0
	.end_amdhsa_kernel
	.section	.text._ZN7rocprim17ROCPRIM_400000_NS6detail17trampoline_kernelINS0_14default_configENS1_35adjacent_difference_config_selectorILb0ElEEZNS1_24adjacent_difference_implIS3_Lb0ELb0EPlS7_ZN2at6native12_GLOBAL__N_124unique_dim_cuda_templateItEESt5tupleIJNS8_6TensorESD_SD_EERKSD_lbbbEUlllE1_EE10hipError_tPvRmT2_T3_mT4_P12ihipStream_tbEUlT_E_NS1_11comp_targetILNS1_3genE3ELNS1_11target_archE908ELNS1_3gpuE7ELNS1_3repE0EEENS1_30default_config_static_selectorELNS0_4arch9wavefront6targetE0EEEvT1_,"axG",@progbits,_ZN7rocprim17ROCPRIM_400000_NS6detail17trampoline_kernelINS0_14default_configENS1_35adjacent_difference_config_selectorILb0ElEEZNS1_24adjacent_difference_implIS3_Lb0ELb0EPlS7_ZN2at6native12_GLOBAL__N_124unique_dim_cuda_templateItEESt5tupleIJNS8_6TensorESD_SD_EERKSD_lbbbEUlllE1_EE10hipError_tPvRmT2_T3_mT4_P12ihipStream_tbEUlT_E_NS1_11comp_targetILNS1_3genE3ELNS1_11target_archE908ELNS1_3gpuE7ELNS1_3repE0EEENS1_30default_config_static_selectorELNS0_4arch9wavefront6targetE0EEEvT1_,comdat
.Lfunc_end1398:
	.size	_ZN7rocprim17ROCPRIM_400000_NS6detail17trampoline_kernelINS0_14default_configENS1_35adjacent_difference_config_selectorILb0ElEEZNS1_24adjacent_difference_implIS3_Lb0ELb0EPlS7_ZN2at6native12_GLOBAL__N_124unique_dim_cuda_templateItEESt5tupleIJNS8_6TensorESD_SD_EERKSD_lbbbEUlllE1_EE10hipError_tPvRmT2_T3_mT4_P12ihipStream_tbEUlT_E_NS1_11comp_targetILNS1_3genE3ELNS1_11target_archE908ELNS1_3gpuE7ELNS1_3repE0EEENS1_30default_config_static_selectorELNS0_4arch9wavefront6targetE0EEEvT1_, .Lfunc_end1398-_ZN7rocprim17ROCPRIM_400000_NS6detail17trampoline_kernelINS0_14default_configENS1_35adjacent_difference_config_selectorILb0ElEEZNS1_24adjacent_difference_implIS3_Lb0ELb0EPlS7_ZN2at6native12_GLOBAL__N_124unique_dim_cuda_templateItEESt5tupleIJNS8_6TensorESD_SD_EERKSD_lbbbEUlllE1_EE10hipError_tPvRmT2_T3_mT4_P12ihipStream_tbEUlT_E_NS1_11comp_targetILNS1_3genE3ELNS1_11target_archE908ELNS1_3gpuE7ELNS1_3repE0EEENS1_30default_config_static_selectorELNS0_4arch9wavefront6targetE0EEEvT1_
                                        ; -- End function
	.set _ZN7rocprim17ROCPRIM_400000_NS6detail17trampoline_kernelINS0_14default_configENS1_35adjacent_difference_config_selectorILb0ElEEZNS1_24adjacent_difference_implIS3_Lb0ELb0EPlS7_ZN2at6native12_GLOBAL__N_124unique_dim_cuda_templateItEESt5tupleIJNS8_6TensorESD_SD_EERKSD_lbbbEUlllE1_EE10hipError_tPvRmT2_T3_mT4_P12ihipStream_tbEUlT_E_NS1_11comp_targetILNS1_3genE3ELNS1_11target_archE908ELNS1_3gpuE7ELNS1_3repE0EEENS1_30default_config_static_selectorELNS0_4arch9wavefront6targetE0EEEvT1_.num_vgpr, 0
	.set _ZN7rocprim17ROCPRIM_400000_NS6detail17trampoline_kernelINS0_14default_configENS1_35adjacent_difference_config_selectorILb0ElEEZNS1_24adjacent_difference_implIS3_Lb0ELb0EPlS7_ZN2at6native12_GLOBAL__N_124unique_dim_cuda_templateItEESt5tupleIJNS8_6TensorESD_SD_EERKSD_lbbbEUlllE1_EE10hipError_tPvRmT2_T3_mT4_P12ihipStream_tbEUlT_E_NS1_11comp_targetILNS1_3genE3ELNS1_11target_archE908ELNS1_3gpuE7ELNS1_3repE0EEENS1_30default_config_static_selectorELNS0_4arch9wavefront6targetE0EEEvT1_.num_agpr, 0
	.set _ZN7rocprim17ROCPRIM_400000_NS6detail17trampoline_kernelINS0_14default_configENS1_35adjacent_difference_config_selectorILb0ElEEZNS1_24adjacent_difference_implIS3_Lb0ELb0EPlS7_ZN2at6native12_GLOBAL__N_124unique_dim_cuda_templateItEESt5tupleIJNS8_6TensorESD_SD_EERKSD_lbbbEUlllE1_EE10hipError_tPvRmT2_T3_mT4_P12ihipStream_tbEUlT_E_NS1_11comp_targetILNS1_3genE3ELNS1_11target_archE908ELNS1_3gpuE7ELNS1_3repE0EEENS1_30default_config_static_selectorELNS0_4arch9wavefront6targetE0EEEvT1_.numbered_sgpr, 0
	.set _ZN7rocprim17ROCPRIM_400000_NS6detail17trampoline_kernelINS0_14default_configENS1_35adjacent_difference_config_selectorILb0ElEEZNS1_24adjacent_difference_implIS3_Lb0ELb0EPlS7_ZN2at6native12_GLOBAL__N_124unique_dim_cuda_templateItEESt5tupleIJNS8_6TensorESD_SD_EERKSD_lbbbEUlllE1_EE10hipError_tPvRmT2_T3_mT4_P12ihipStream_tbEUlT_E_NS1_11comp_targetILNS1_3genE3ELNS1_11target_archE908ELNS1_3gpuE7ELNS1_3repE0EEENS1_30default_config_static_selectorELNS0_4arch9wavefront6targetE0EEEvT1_.num_named_barrier, 0
	.set _ZN7rocprim17ROCPRIM_400000_NS6detail17trampoline_kernelINS0_14default_configENS1_35adjacent_difference_config_selectorILb0ElEEZNS1_24adjacent_difference_implIS3_Lb0ELb0EPlS7_ZN2at6native12_GLOBAL__N_124unique_dim_cuda_templateItEESt5tupleIJNS8_6TensorESD_SD_EERKSD_lbbbEUlllE1_EE10hipError_tPvRmT2_T3_mT4_P12ihipStream_tbEUlT_E_NS1_11comp_targetILNS1_3genE3ELNS1_11target_archE908ELNS1_3gpuE7ELNS1_3repE0EEENS1_30default_config_static_selectorELNS0_4arch9wavefront6targetE0EEEvT1_.private_seg_size, 0
	.set _ZN7rocprim17ROCPRIM_400000_NS6detail17trampoline_kernelINS0_14default_configENS1_35adjacent_difference_config_selectorILb0ElEEZNS1_24adjacent_difference_implIS3_Lb0ELb0EPlS7_ZN2at6native12_GLOBAL__N_124unique_dim_cuda_templateItEESt5tupleIJNS8_6TensorESD_SD_EERKSD_lbbbEUlllE1_EE10hipError_tPvRmT2_T3_mT4_P12ihipStream_tbEUlT_E_NS1_11comp_targetILNS1_3genE3ELNS1_11target_archE908ELNS1_3gpuE7ELNS1_3repE0EEENS1_30default_config_static_selectorELNS0_4arch9wavefront6targetE0EEEvT1_.uses_vcc, 0
	.set _ZN7rocprim17ROCPRIM_400000_NS6detail17trampoline_kernelINS0_14default_configENS1_35adjacent_difference_config_selectorILb0ElEEZNS1_24adjacent_difference_implIS3_Lb0ELb0EPlS7_ZN2at6native12_GLOBAL__N_124unique_dim_cuda_templateItEESt5tupleIJNS8_6TensorESD_SD_EERKSD_lbbbEUlllE1_EE10hipError_tPvRmT2_T3_mT4_P12ihipStream_tbEUlT_E_NS1_11comp_targetILNS1_3genE3ELNS1_11target_archE908ELNS1_3gpuE7ELNS1_3repE0EEENS1_30default_config_static_selectorELNS0_4arch9wavefront6targetE0EEEvT1_.uses_flat_scratch, 0
	.set _ZN7rocprim17ROCPRIM_400000_NS6detail17trampoline_kernelINS0_14default_configENS1_35adjacent_difference_config_selectorILb0ElEEZNS1_24adjacent_difference_implIS3_Lb0ELb0EPlS7_ZN2at6native12_GLOBAL__N_124unique_dim_cuda_templateItEESt5tupleIJNS8_6TensorESD_SD_EERKSD_lbbbEUlllE1_EE10hipError_tPvRmT2_T3_mT4_P12ihipStream_tbEUlT_E_NS1_11comp_targetILNS1_3genE3ELNS1_11target_archE908ELNS1_3gpuE7ELNS1_3repE0EEENS1_30default_config_static_selectorELNS0_4arch9wavefront6targetE0EEEvT1_.has_dyn_sized_stack, 0
	.set _ZN7rocprim17ROCPRIM_400000_NS6detail17trampoline_kernelINS0_14default_configENS1_35adjacent_difference_config_selectorILb0ElEEZNS1_24adjacent_difference_implIS3_Lb0ELb0EPlS7_ZN2at6native12_GLOBAL__N_124unique_dim_cuda_templateItEESt5tupleIJNS8_6TensorESD_SD_EERKSD_lbbbEUlllE1_EE10hipError_tPvRmT2_T3_mT4_P12ihipStream_tbEUlT_E_NS1_11comp_targetILNS1_3genE3ELNS1_11target_archE908ELNS1_3gpuE7ELNS1_3repE0EEENS1_30default_config_static_selectorELNS0_4arch9wavefront6targetE0EEEvT1_.has_recursion, 0
	.set _ZN7rocprim17ROCPRIM_400000_NS6detail17trampoline_kernelINS0_14default_configENS1_35adjacent_difference_config_selectorILb0ElEEZNS1_24adjacent_difference_implIS3_Lb0ELb0EPlS7_ZN2at6native12_GLOBAL__N_124unique_dim_cuda_templateItEESt5tupleIJNS8_6TensorESD_SD_EERKSD_lbbbEUlllE1_EE10hipError_tPvRmT2_T3_mT4_P12ihipStream_tbEUlT_E_NS1_11comp_targetILNS1_3genE3ELNS1_11target_archE908ELNS1_3gpuE7ELNS1_3repE0EEENS1_30default_config_static_selectorELNS0_4arch9wavefront6targetE0EEEvT1_.has_indirect_call, 0
	.section	.AMDGPU.csdata,"",@progbits
; Kernel info:
; codeLenInByte = 0
; TotalNumSgprs: 0
; NumVgprs: 0
; ScratchSize: 0
; MemoryBound: 0
; FloatMode: 240
; IeeeMode: 1
; LDSByteSize: 0 bytes/workgroup (compile time only)
; SGPRBlocks: 0
; VGPRBlocks: 0
; NumSGPRsForWavesPerEU: 1
; NumVGPRsForWavesPerEU: 1
; NamedBarCnt: 0
; Occupancy: 16
; WaveLimiterHint : 0
; COMPUTE_PGM_RSRC2:SCRATCH_EN: 0
; COMPUTE_PGM_RSRC2:USER_SGPR: 2
; COMPUTE_PGM_RSRC2:TRAP_HANDLER: 0
; COMPUTE_PGM_RSRC2:TGID_X_EN: 1
; COMPUTE_PGM_RSRC2:TGID_Y_EN: 0
; COMPUTE_PGM_RSRC2:TGID_Z_EN: 0
; COMPUTE_PGM_RSRC2:TIDIG_COMP_CNT: 0
	.section	.text._ZN7rocprim17ROCPRIM_400000_NS6detail17trampoline_kernelINS0_14default_configENS1_35adjacent_difference_config_selectorILb0ElEEZNS1_24adjacent_difference_implIS3_Lb0ELb0EPlS7_ZN2at6native12_GLOBAL__N_124unique_dim_cuda_templateItEESt5tupleIJNS8_6TensorESD_SD_EERKSD_lbbbEUlllE1_EE10hipError_tPvRmT2_T3_mT4_P12ihipStream_tbEUlT_E_NS1_11comp_targetILNS1_3genE2ELNS1_11target_archE906ELNS1_3gpuE6ELNS1_3repE0EEENS1_30default_config_static_selectorELNS0_4arch9wavefront6targetE0EEEvT1_,"axG",@progbits,_ZN7rocprim17ROCPRIM_400000_NS6detail17trampoline_kernelINS0_14default_configENS1_35adjacent_difference_config_selectorILb0ElEEZNS1_24adjacent_difference_implIS3_Lb0ELb0EPlS7_ZN2at6native12_GLOBAL__N_124unique_dim_cuda_templateItEESt5tupleIJNS8_6TensorESD_SD_EERKSD_lbbbEUlllE1_EE10hipError_tPvRmT2_T3_mT4_P12ihipStream_tbEUlT_E_NS1_11comp_targetILNS1_3genE2ELNS1_11target_archE906ELNS1_3gpuE6ELNS1_3repE0EEENS1_30default_config_static_selectorELNS0_4arch9wavefront6targetE0EEEvT1_,comdat
	.globl	_ZN7rocprim17ROCPRIM_400000_NS6detail17trampoline_kernelINS0_14default_configENS1_35adjacent_difference_config_selectorILb0ElEEZNS1_24adjacent_difference_implIS3_Lb0ELb0EPlS7_ZN2at6native12_GLOBAL__N_124unique_dim_cuda_templateItEESt5tupleIJNS8_6TensorESD_SD_EERKSD_lbbbEUlllE1_EE10hipError_tPvRmT2_T3_mT4_P12ihipStream_tbEUlT_E_NS1_11comp_targetILNS1_3genE2ELNS1_11target_archE906ELNS1_3gpuE6ELNS1_3repE0EEENS1_30default_config_static_selectorELNS0_4arch9wavefront6targetE0EEEvT1_ ; -- Begin function _ZN7rocprim17ROCPRIM_400000_NS6detail17trampoline_kernelINS0_14default_configENS1_35adjacent_difference_config_selectorILb0ElEEZNS1_24adjacent_difference_implIS3_Lb0ELb0EPlS7_ZN2at6native12_GLOBAL__N_124unique_dim_cuda_templateItEESt5tupleIJNS8_6TensorESD_SD_EERKSD_lbbbEUlllE1_EE10hipError_tPvRmT2_T3_mT4_P12ihipStream_tbEUlT_E_NS1_11comp_targetILNS1_3genE2ELNS1_11target_archE906ELNS1_3gpuE6ELNS1_3repE0EEENS1_30default_config_static_selectorELNS0_4arch9wavefront6targetE0EEEvT1_
	.p2align	8
	.type	_ZN7rocprim17ROCPRIM_400000_NS6detail17trampoline_kernelINS0_14default_configENS1_35adjacent_difference_config_selectorILb0ElEEZNS1_24adjacent_difference_implIS3_Lb0ELb0EPlS7_ZN2at6native12_GLOBAL__N_124unique_dim_cuda_templateItEESt5tupleIJNS8_6TensorESD_SD_EERKSD_lbbbEUlllE1_EE10hipError_tPvRmT2_T3_mT4_P12ihipStream_tbEUlT_E_NS1_11comp_targetILNS1_3genE2ELNS1_11target_archE906ELNS1_3gpuE6ELNS1_3repE0EEENS1_30default_config_static_selectorELNS0_4arch9wavefront6targetE0EEEvT1_,@function
_ZN7rocprim17ROCPRIM_400000_NS6detail17trampoline_kernelINS0_14default_configENS1_35adjacent_difference_config_selectorILb0ElEEZNS1_24adjacent_difference_implIS3_Lb0ELb0EPlS7_ZN2at6native12_GLOBAL__N_124unique_dim_cuda_templateItEESt5tupleIJNS8_6TensorESD_SD_EERKSD_lbbbEUlllE1_EE10hipError_tPvRmT2_T3_mT4_P12ihipStream_tbEUlT_E_NS1_11comp_targetILNS1_3genE2ELNS1_11target_archE906ELNS1_3gpuE6ELNS1_3repE0EEENS1_30default_config_static_selectorELNS0_4arch9wavefront6targetE0EEEvT1_: ; @_ZN7rocprim17ROCPRIM_400000_NS6detail17trampoline_kernelINS0_14default_configENS1_35adjacent_difference_config_selectorILb0ElEEZNS1_24adjacent_difference_implIS3_Lb0ELb0EPlS7_ZN2at6native12_GLOBAL__N_124unique_dim_cuda_templateItEESt5tupleIJNS8_6TensorESD_SD_EERKSD_lbbbEUlllE1_EE10hipError_tPvRmT2_T3_mT4_P12ihipStream_tbEUlT_E_NS1_11comp_targetILNS1_3genE2ELNS1_11target_archE906ELNS1_3gpuE6ELNS1_3repE0EEENS1_30default_config_static_selectorELNS0_4arch9wavefront6targetE0EEEvT1_
; %bb.0:
	.section	.rodata,"a",@progbits
	.p2align	6, 0x0
	.amdhsa_kernel _ZN7rocprim17ROCPRIM_400000_NS6detail17trampoline_kernelINS0_14default_configENS1_35adjacent_difference_config_selectorILb0ElEEZNS1_24adjacent_difference_implIS3_Lb0ELb0EPlS7_ZN2at6native12_GLOBAL__N_124unique_dim_cuda_templateItEESt5tupleIJNS8_6TensorESD_SD_EERKSD_lbbbEUlllE1_EE10hipError_tPvRmT2_T3_mT4_P12ihipStream_tbEUlT_E_NS1_11comp_targetILNS1_3genE2ELNS1_11target_archE906ELNS1_3gpuE6ELNS1_3repE0EEENS1_30default_config_static_selectorELNS0_4arch9wavefront6targetE0EEEvT1_
		.amdhsa_group_segment_fixed_size 0
		.amdhsa_private_segment_fixed_size 0
		.amdhsa_kernarg_size 64
		.amdhsa_user_sgpr_count 2
		.amdhsa_user_sgpr_dispatch_ptr 0
		.amdhsa_user_sgpr_queue_ptr 0
		.amdhsa_user_sgpr_kernarg_segment_ptr 1
		.amdhsa_user_sgpr_dispatch_id 0
		.amdhsa_user_sgpr_kernarg_preload_length 0
		.amdhsa_user_sgpr_kernarg_preload_offset 0
		.amdhsa_user_sgpr_private_segment_size 0
		.amdhsa_wavefront_size32 1
		.amdhsa_uses_dynamic_stack 0
		.amdhsa_enable_private_segment 0
		.amdhsa_system_sgpr_workgroup_id_x 1
		.amdhsa_system_sgpr_workgroup_id_y 0
		.amdhsa_system_sgpr_workgroup_id_z 0
		.amdhsa_system_sgpr_workgroup_info 0
		.amdhsa_system_vgpr_workitem_id 0
		.amdhsa_next_free_vgpr 1
		.amdhsa_next_free_sgpr 1
		.amdhsa_named_barrier_count 0
		.amdhsa_reserve_vcc 0
		.amdhsa_float_round_mode_32 0
		.amdhsa_float_round_mode_16_64 0
		.amdhsa_float_denorm_mode_32 3
		.amdhsa_float_denorm_mode_16_64 3
		.amdhsa_fp16_overflow 0
		.amdhsa_memory_ordered 1
		.amdhsa_forward_progress 1
		.amdhsa_inst_pref_size 0
		.amdhsa_round_robin_scheduling 0
		.amdhsa_exception_fp_ieee_invalid_op 0
		.amdhsa_exception_fp_denorm_src 0
		.amdhsa_exception_fp_ieee_div_zero 0
		.amdhsa_exception_fp_ieee_overflow 0
		.amdhsa_exception_fp_ieee_underflow 0
		.amdhsa_exception_fp_ieee_inexact 0
		.amdhsa_exception_int_div_zero 0
	.end_amdhsa_kernel
	.section	.text._ZN7rocprim17ROCPRIM_400000_NS6detail17trampoline_kernelINS0_14default_configENS1_35adjacent_difference_config_selectorILb0ElEEZNS1_24adjacent_difference_implIS3_Lb0ELb0EPlS7_ZN2at6native12_GLOBAL__N_124unique_dim_cuda_templateItEESt5tupleIJNS8_6TensorESD_SD_EERKSD_lbbbEUlllE1_EE10hipError_tPvRmT2_T3_mT4_P12ihipStream_tbEUlT_E_NS1_11comp_targetILNS1_3genE2ELNS1_11target_archE906ELNS1_3gpuE6ELNS1_3repE0EEENS1_30default_config_static_selectorELNS0_4arch9wavefront6targetE0EEEvT1_,"axG",@progbits,_ZN7rocprim17ROCPRIM_400000_NS6detail17trampoline_kernelINS0_14default_configENS1_35adjacent_difference_config_selectorILb0ElEEZNS1_24adjacent_difference_implIS3_Lb0ELb0EPlS7_ZN2at6native12_GLOBAL__N_124unique_dim_cuda_templateItEESt5tupleIJNS8_6TensorESD_SD_EERKSD_lbbbEUlllE1_EE10hipError_tPvRmT2_T3_mT4_P12ihipStream_tbEUlT_E_NS1_11comp_targetILNS1_3genE2ELNS1_11target_archE906ELNS1_3gpuE6ELNS1_3repE0EEENS1_30default_config_static_selectorELNS0_4arch9wavefront6targetE0EEEvT1_,comdat
.Lfunc_end1399:
	.size	_ZN7rocprim17ROCPRIM_400000_NS6detail17trampoline_kernelINS0_14default_configENS1_35adjacent_difference_config_selectorILb0ElEEZNS1_24adjacent_difference_implIS3_Lb0ELb0EPlS7_ZN2at6native12_GLOBAL__N_124unique_dim_cuda_templateItEESt5tupleIJNS8_6TensorESD_SD_EERKSD_lbbbEUlllE1_EE10hipError_tPvRmT2_T3_mT4_P12ihipStream_tbEUlT_E_NS1_11comp_targetILNS1_3genE2ELNS1_11target_archE906ELNS1_3gpuE6ELNS1_3repE0EEENS1_30default_config_static_selectorELNS0_4arch9wavefront6targetE0EEEvT1_, .Lfunc_end1399-_ZN7rocprim17ROCPRIM_400000_NS6detail17trampoline_kernelINS0_14default_configENS1_35adjacent_difference_config_selectorILb0ElEEZNS1_24adjacent_difference_implIS3_Lb0ELb0EPlS7_ZN2at6native12_GLOBAL__N_124unique_dim_cuda_templateItEESt5tupleIJNS8_6TensorESD_SD_EERKSD_lbbbEUlllE1_EE10hipError_tPvRmT2_T3_mT4_P12ihipStream_tbEUlT_E_NS1_11comp_targetILNS1_3genE2ELNS1_11target_archE906ELNS1_3gpuE6ELNS1_3repE0EEENS1_30default_config_static_selectorELNS0_4arch9wavefront6targetE0EEEvT1_
                                        ; -- End function
	.set _ZN7rocprim17ROCPRIM_400000_NS6detail17trampoline_kernelINS0_14default_configENS1_35adjacent_difference_config_selectorILb0ElEEZNS1_24adjacent_difference_implIS3_Lb0ELb0EPlS7_ZN2at6native12_GLOBAL__N_124unique_dim_cuda_templateItEESt5tupleIJNS8_6TensorESD_SD_EERKSD_lbbbEUlllE1_EE10hipError_tPvRmT2_T3_mT4_P12ihipStream_tbEUlT_E_NS1_11comp_targetILNS1_3genE2ELNS1_11target_archE906ELNS1_3gpuE6ELNS1_3repE0EEENS1_30default_config_static_selectorELNS0_4arch9wavefront6targetE0EEEvT1_.num_vgpr, 0
	.set _ZN7rocprim17ROCPRIM_400000_NS6detail17trampoline_kernelINS0_14default_configENS1_35adjacent_difference_config_selectorILb0ElEEZNS1_24adjacent_difference_implIS3_Lb0ELb0EPlS7_ZN2at6native12_GLOBAL__N_124unique_dim_cuda_templateItEESt5tupleIJNS8_6TensorESD_SD_EERKSD_lbbbEUlllE1_EE10hipError_tPvRmT2_T3_mT4_P12ihipStream_tbEUlT_E_NS1_11comp_targetILNS1_3genE2ELNS1_11target_archE906ELNS1_3gpuE6ELNS1_3repE0EEENS1_30default_config_static_selectorELNS0_4arch9wavefront6targetE0EEEvT1_.num_agpr, 0
	.set _ZN7rocprim17ROCPRIM_400000_NS6detail17trampoline_kernelINS0_14default_configENS1_35adjacent_difference_config_selectorILb0ElEEZNS1_24adjacent_difference_implIS3_Lb0ELb0EPlS7_ZN2at6native12_GLOBAL__N_124unique_dim_cuda_templateItEESt5tupleIJNS8_6TensorESD_SD_EERKSD_lbbbEUlllE1_EE10hipError_tPvRmT2_T3_mT4_P12ihipStream_tbEUlT_E_NS1_11comp_targetILNS1_3genE2ELNS1_11target_archE906ELNS1_3gpuE6ELNS1_3repE0EEENS1_30default_config_static_selectorELNS0_4arch9wavefront6targetE0EEEvT1_.numbered_sgpr, 0
	.set _ZN7rocprim17ROCPRIM_400000_NS6detail17trampoline_kernelINS0_14default_configENS1_35adjacent_difference_config_selectorILb0ElEEZNS1_24adjacent_difference_implIS3_Lb0ELb0EPlS7_ZN2at6native12_GLOBAL__N_124unique_dim_cuda_templateItEESt5tupleIJNS8_6TensorESD_SD_EERKSD_lbbbEUlllE1_EE10hipError_tPvRmT2_T3_mT4_P12ihipStream_tbEUlT_E_NS1_11comp_targetILNS1_3genE2ELNS1_11target_archE906ELNS1_3gpuE6ELNS1_3repE0EEENS1_30default_config_static_selectorELNS0_4arch9wavefront6targetE0EEEvT1_.num_named_barrier, 0
	.set _ZN7rocprim17ROCPRIM_400000_NS6detail17trampoline_kernelINS0_14default_configENS1_35adjacent_difference_config_selectorILb0ElEEZNS1_24adjacent_difference_implIS3_Lb0ELb0EPlS7_ZN2at6native12_GLOBAL__N_124unique_dim_cuda_templateItEESt5tupleIJNS8_6TensorESD_SD_EERKSD_lbbbEUlllE1_EE10hipError_tPvRmT2_T3_mT4_P12ihipStream_tbEUlT_E_NS1_11comp_targetILNS1_3genE2ELNS1_11target_archE906ELNS1_3gpuE6ELNS1_3repE0EEENS1_30default_config_static_selectorELNS0_4arch9wavefront6targetE0EEEvT1_.private_seg_size, 0
	.set _ZN7rocprim17ROCPRIM_400000_NS6detail17trampoline_kernelINS0_14default_configENS1_35adjacent_difference_config_selectorILb0ElEEZNS1_24adjacent_difference_implIS3_Lb0ELb0EPlS7_ZN2at6native12_GLOBAL__N_124unique_dim_cuda_templateItEESt5tupleIJNS8_6TensorESD_SD_EERKSD_lbbbEUlllE1_EE10hipError_tPvRmT2_T3_mT4_P12ihipStream_tbEUlT_E_NS1_11comp_targetILNS1_3genE2ELNS1_11target_archE906ELNS1_3gpuE6ELNS1_3repE0EEENS1_30default_config_static_selectorELNS0_4arch9wavefront6targetE0EEEvT1_.uses_vcc, 0
	.set _ZN7rocprim17ROCPRIM_400000_NS6detail17trampoline_kernelINS0_14default_configENS1_35adjacent_difference_config_selectorILb0ElEEZNS1_24adjacent_difference_implIS3_Lb0ELb0EPlS7_ZN2at6native12_GLOBAL__N_124unique_dim_cuda_templateItEESt5tupleIJNS8_6TensorESD_SD_EERKSD_lbbbEUlllE1_EE10hipError_tPvRmT2_T3_mT4_P12ihipStream_tbEUlT_E_NS1_11comp_targetILNS1_3genE2ELNS1_11target_archE906ELNS1_3gpuE6ELNS1_3repE0EEENS1_30default_config_static_selectorELNS0_4arch9wavefront6targetE0EEEvT1_.uses_flat_scratch, 0
	.set _ZN7rocprim17ROCPRIM_400000_NS6detail17trampoline_kernelINS0_14default_configENS1_35adjacent_difference_config_selectorILb0ElEEZNS1_24adjacent_difference_implIS3_Lb0ELb0EPlS7_ZN2at6native12_GLOBAL__N_124unique_dim_cuda_templateItEESt5tupleIJNS8_6TensorESD_SD_EERKSD_lbbbEUlllE1_EE10hipError_tPvRmT2_T3_mT4_P12ihipStream_tbEUlT_E_NS1_11comp_targetILNS1_3genE2ELNS1_11target_archE906ELNS1_3gpuE6ELNS1_3repE0EEENS1_30default_config_static_selectorELNS0_4arch9wavefront6targetE0EEEvT1_.has_dyn_sized_stack, 0
	.set _ZN7rocprim17ROCPRIM_400000_NS6detail17trampoline_kernelINS0_14default_configENS1_35adjacent_difference_config_selectorILb0ElEEZNS1_24adjacent_difference_implIS3_Lb0ELb0EPlS7_ZN2at6native12_GLOBAL__N_124unique_dim_cuda_templateItEESt5tupleIJNS8_6TensorESD_SD_EERKSD_lbbbEUlllE1_EE10hipError_tPvRmT2_T3_mT4_P12ihipStream_tbEUlT_E_NS1_11comp_targetILNS1_3genE2ELNS1_11target_archE906ELNS1_3gpuE6ELNS1_3repE0EEENS1_30default_config_static_selectorELNS0_4arch9wavefront6targetE0EEEvT1_.has_recursion, 0
	.set _ZN7rocprim17ROCPRIM_400000_NS6detail17trampoline_kernelINS0_14default_configENS1_35adjacent_difference_config_selectorILb0ElEEZNS1_24adjacent_difference_implIS3_Lb0ELb0EPlS7_ZN2at6native12_GLOBAL__N_124unique_dim_cuda_templateItEESt5tupleIJNS8_6TensorESD_SD_EERKSD_lbbbEUlllE1_EE10hipError_tPvRmT2_T3_mT4_P12ihipStream_tbEUlT_E_NS1_11comp_targetILNS1_3genE2ELNS1_11target_archE906ELNS1_3gpuE6ELNS1_3repE0EEENS1_30default_config_static_selectorELNS0_4arch9wavefront6targetE0EEEvT1_.has_indirect_call, 0
	.section	.AMDGPU.csdata,"",@progbits
; Kernel info:
; codeLenInByte = 0
; TotalNumSgprs: 0
; NumVgprs: 0
; ScratchSize: 0
; MemoryBound: 0
; FloatMode: 240
; IeeeMode: 1
; LDSByteSize: 0 bytes/workgroup (compile time only)
; SGPRBlocks: 0
; VGPRBlocks: 0
; NumSGPRsForWavesPerEU: 1
; NumVGPRsForWavesPerEU: 1
; NamedBarCnt: 0
; Occupancy: 16
; WaveLimiterHint : 0
; COMPUTE_PGM_RSRC2:SCRATCH_EN: 0
; COMPUTE_PGM_RSRC2:USER_SGPR: 2
; COMPUTE_PGM_RSRC2:TRAP_HANDLER: 0
; COMPUTE_PGM_RSRC2:TGID_X_EN: 1
; COMPUTE_PGM_RSRC2:TGID_Y_EN: 0
; COMPUTE_PGM_RSRC2:TGID_Z_EN: 0
; COMPUTE_PGM_RSRC2:TIDIG_COMP_CNT: 0
	.section	.text._ZN7rocprim17ROCPRIM_400000_NS6detail17trampoline_kernelINS0_14default_configENS1_35adjacent_difference_config_selectorILb0ElEEZNS1_24adjacent_difference_implIS3_Lb0ELb0EPlS7_ZN2at6native12_GLOBAL__N_124unique_dim_cuda_templateItEESt5tupleIJNS8_6TensorESD_SD_EERKSD_lbbbEUlllE1_EE10hipError_tPvRmT2_T3_mT4_P12ihipStream_tbEUlT_E_NS1_11comp_targetILNS1_3genE9ELNS1_11target_archE1100ELNS1_3gpuE3ELNS1_3repE0EEENS1_30default_config_static_selectorELNS0_4arch9wavefront6targetE0EEEvT1_,"axG",@progbits,_ZN7rocprim17ROCPRIM_400000_NS6detail17trampoline_kernelINS0_14default_configENS1_35adjacent_difference_config_selectorILb0ElEEZNS1_24adjacent_difference_implIS3_Lb0ELb0EPlS7_ZN2at6native12_GLOBAL__N_124unique_dim_cuda_templateItEESt5tupleIJNS8_6TensorESD_SD_EERKSD_lbbbEUlllE1_EE10hipError_tPvRmT2_T3_mT4_P12ihipStream_tbEUlT_E_NS1_11comp_targetILNS1_3genE9ELNS1_11target_archE1100ELNS1_3gpuE3ELNS1_3repE0EEENS1_30default_config_static_selectorELNS0_4arch9wavefront6targetE0EEEvT1_,comdat
	.globl	_ZN7rocprim17ROCPRIM_400000_NS6detail17trampoline_kernelINS0_14default_configENS1_35adjacent_difference_config_selectorILb0ElEEZNS1_24adjacent_difference_implIS3_Lb0ELb0EPlS7_ZN2at6native12_GLOBAL__N_124unique_dim_cuda_templateItEESt5tupleIJNS8_6TensorESD_SD_EERKSD_lbbbEUlllE1_EE10hipError_tPvRmT2_T3_mT4_P12ihipStream_tbEUlT_E_NS1_11comp_targetILNS1_3genE9ELNS1_11target_archE1100ELNS1_3gpuE3ELNS1_3repE0EEENS1_30default_config_static_selectorELNS0_4arch9wavefront6targetE0EEEvT1_ ; -- Begin function _ZN7rocprim17ROCPRIM_400000_NS6detail17trampoline_kernelINS0_14default_configENS1_35adjacent_difference_config_selectorILb0ElEEZNS1_24adjacent_difference_implIS3_Lb0ELb0EPlS7_ZN2at6native12_GLOBAL__N_124unique_dim_cuda_templateItEESt5tupleIJNS8_6TensorESD_SD_EERKSD_lbbbEUlllE1_EE10hipError_tPvRmT2_T3_mT4_P12ihipStream_tbEUlT_E_NS1_11comp_targetILNS1_3genE9ELNS1_11target_archE1100ELNS1_3gpuE3ELNS1_3repE0EEENS1_30default_config_static_selectorELNS0_4arch9wavefront6targetE0EEEvT1_
	.p2align	8
	.type	_ZN7rocprim17ROCPRIM_400000_NS6detail17trampoline_kernelINS0_14default_configENS1_35adjacent_difference_config_selectorILb0ElEEZNS1_24adjacent_difference_implIS3_Lb0ELb0EPlS7_ZN2at6native12_GLOBAL__N_124unique_dim_cuda_templateItEESt5tupleIJNS8_6TensorESD_SD_EERKSD_lbbbEUlllE1_EE10hipError_tPvRmT2_T3_mT4_P12ihipStream_tbEUlT_E_NS1_11comp_targetILNS1_3genE9ELNS1_11target_archE1100ELNS1_3gpuE3ELNS1_3repE0EEENS1_30default_config_static_selectorELNS0_4arch9wavefront6targetE0EEEvT1_,@function
_ZN7rocprim17ROCPRIM_400000_NS6detail17trampoline_kernelINS0_14default_configENS1_35adjacent_difference_config_selectorILb0ElEEZNS1_24adjacent_difference_implIS3_Lb0ELb0EPlS7_ZN2at6native12_GLOBAL__N_124unique_dim_cuda_templateItEESt5tupleIJNS8_6TensorESD_SD_EERKSD_lbbbEUlllE1_EE10hipError_tPvRmT2_T3_mT4_P12ihipStream_tbEUlT_E_NS1_11comp_targetILNS1_3genE9ELNS1_11target_archE1100ELNS1_3gpuE3ELNS1_3repE0EEENS1_30default_config_static_selectorELNS0_4arch9wavefront6targetE0EEEvT1_: ; @_ZN7rocprim17ROCPRIM_400000_NS6detail17trampoline_kernelINS0_14default_configENS1_35adjacent_difference_config_selectorILb0ElEEZNS1_24adjacent_difference_implIS3_Lb0ELb0EPlS7_ZN2at6native12_GLOBAL__N_124unique_dim_cuda_templateItEESt5tupleIJNS8_6TensorESD_SD_EERKSD_lbbbEUlllE1_EE10hipError_tPvRmT2_T3_mT4_P12ihipStream_tbEUlT_E_NS1_11comp_targetILNS1_3genE9ELNS1_11target_archE1100ELNS1_3gpuE3ELNS1_3repE0EEENS1_30default_config_static_selectorELNS0_4arch9wavefront6targetE0EEEvT1_
; %bb.0:
	.section	.rodata,"a",@progbits
	.p2align	6, 0x0
	.amdhsa_kernel _ZN7rocprim17ROCPRIM_400000_NS6detail17trampoline_kernelINS0_14default_configENS1_35adjacent_difference_config_selectorILb0ElEEZNS1_24adjacent_difference_implIS3_Lb0ELb0EPlS7_ZN2at6native12_GLOBAL__N_124unique_dim_cuda_templateItEESt5tupleIJNS8_6TensorESD_SD_EERKSD_lbbbEUlllE1_EE10hipError_tPvRmT2_T3_mT4_P12ihipStream_tbEUlT_E_NS1_11comp_targetILNS1_3genE9ELNS1_11target_archE1100ELNS1_3gpuE3ELNS1_3repE0EEENS1_30default_config_static_selectorELNS0_4arch9wavefront6targetE0EEEvT1_
		.amdhsa_group_segment_fixed_size 0
		.amdhsa_private_segment_fixed_size 0
		.amdhsa_kernarg_size 64
		.amdhsa_user_sgpr_count 2
		.amdhsa_user_sgpr_dispatch_ptr 0
		.amdhsa_user_sgpr_queue_ptr 0
		.amdhsa_user_sgpr_kernarg_segment_ptr 1
		.amdhsa_user_sgpr_dispatch_id 0
		.amdhsa_user_sgpr_kernarg_preload_length 0
		.amdhsa_user_sgpr_kernarg_preload_offset 0
		.amdhsa_user_sgpr_private_segment_size 0
		.amdhsa_wavefront_size32 1
		.amdhsa_uses_dynamic_stack 0
		.amdhsa_enable_private_segment 0
		.amdhsa_system_sgpr_workgroup_id_x 1
		.amdhsa_system_sgpr_workgroup_id_y 0
		.amdhsa_system_sgpr_workgroup_id_z 0
		.amdhsa_system_sgpr_workgroup_info 0
		.amdhsa_system_vgpr_workitem_id 0
		.amdhsa_next_free_vgpr 1
		.amdhsa_next_free_sgpr 1
		.amdhsa_named_barrier_count 0
		.amdhsa_reserve_vcc 0
		.amdhsa_float_round_mode_32 0
		.amdhsa_float_round_mode_16_64 0
		.amdhsa_float_denorm_mode_32 3
		.amdhsa_float_denorm_mode_16_64 3
		.amdhsa_fp16_overflow 0
		.amdhsa_memory_ordered 1
		.amdhsa_forward_progress 1
		.amdhsa_inst_pref_size 0
		.amdhsa_round_robin_scheduling 0
		.amdhsa_exception_fp_ieee_invalid_op 0
		.amdhsa_exception_fp_denorm_src 0
		.amdhsa_exception_fp_ieee_div_zero 0
		.amdhsa_exception_fp_ieee_overflow 0
		.amdhsa_exception_fp_ieee_underflow 0
		.amdhsa_exception_fp_ieee_inexact 0
		.amdhsa_exception_int_div_zero 0
	.end_amdhsa_kernel
	.section	.text._ZN7rocprim17ROCPRIM_400000_NS6detail17trampoline_kernelINS0_14default_configENS1_35adjacent_difference_config_selectorILb0ElEEZNS1_24adjacent_difference_implIS3_Lb0ELb0EPlS7_ZN2at6native12_GLOBAL__N_124unique_dim_cuda_templateItEESt5tupleIJNS8_6TensorESD_SD_EERKSD_lbbbEUlllE1_EE10hipError_tPvRmT2_T3_mT4_P12ihipStream_tbEUlT_E_NS1_11comp_targetILNS1_3genE9ELNS1_11target_archE1100ELNS1_3gpuE3ELNS1_3repE0EEENS1_30default_config_static_selectorELNS0_4arch9wavefront6targetE0EEEvT1_,"axG",@progbits,_ZN7rocprim17ROCPRIM_400000_NS6detail17trampoline_kernelINS0_14default_configENS1_35adjacent_difference_config_selectorILb0ElEEZNS1_24adjacent_difference_implIS3_Lb0ELb0EPlS7_ZN2at6native12_GLOBAL__N_124unique_dim_cuda_templateItEESt5tupleIJNS8_6TensorESD_SD_EERKSD_lbbbEUlllE1_EE10hipError_tPvRmT2_T3_mT4_P12ihipStream_tbEUlT_E_NS1_11comp_targetILNS1_3genE9ELNS1_11target_archE1100ELNS1_3gpuE3ELNS1_3repE0EEENS1_30default_config_static_selectorELNS0_4arch9wavefront6targetE0EEEvT1_,comdat
.Lfunc_end1400:
	.size	_ZN7rocprim17ROCPRIM_400000_NS6detail17trampoline_kernelINS0_14default_configENS1_35adjacent_difference_config_selectorILb0ElEEZNS1_24adjacent_difference_implIS3_Lb0ELb0EPlS7_ZN2at6native12_GLOBAL__N_124unique_dim_cuda_templateItEESt5tupleIJNS8_6TensorESD_SD_EERKSD_lbbbEUlllE1_EE10hipError_tPvRmT2_T3_mT4_P12ihipStream_tbEUlT_E_NS1_11comp_targetILNS1_3genE9ELNS1_11target_archE1100ELNS1_3gpuE3ELNS1_3repE0EEENS1_30default_config_static_selectorELNS0_4arch9wavefront6targetE0EEEvT1_, .Lfunc_end1400-_ZN7rocprim17ROCPRIM_400000_NS6detail17trampoline_kernelINS0_14default_configENS1_35adjacent_difference_config_selectorILb0ElEEZNS1_24adjacent_difference_implIS3_Lb0ELb0EPlS7_ZN2at6native12_GLOBAL__N_124unique_dim_cuda_templateItEESt5tupleIJNS8_6TensorESD_SD_EERKSD_lbbbEUlllE1_EE10hipError_tPvRmT2_T3_mT4_P12ihipStream_tbEUlT_E_NS1_11comp_targetILNS1_3genE9ELNS1_11target_archE1100ELNS1_3gpuE3ELNS1_3repE0EEENS1_30default_config_static_selectorELNS0_4arch9wavefront6targetE0EEEvT1_
                                        ; -- End function
	.set _ZN7rocprim17ROCPRIM_400000_NS6detail17trampoline_kernelINS0_14default_configENS1_35adjacent_difference_config_selectorILb0ElEEZNS1_24adjacent_difference_implIS3_Lb0ELb0EPlS7_ZN2at6native12_GLOBAL__N_124unique_dim_cuda_templateItEESt5tupleIJNS8_6TensorESD_SD_EERKSD_lbbbEUlllE1_EE10hipError_tPvRmT2_T3_mT4_P12ihipStream_tbEUlT_E_NS1_11comp_targetILNS1_3genE9ELNS1_11target_archE1100ELNS1_3gpuE3ELNS1_3repE0EEENS1_30default_config_static_selectorELNS0_4arch9wavefront6targetE0EEEvT1_.num_vgpr, 0
	.set _ZN7rocprim17ROCPRIM_400000_NS6detail17trampoline_kernelINS0_14default_configENS1_35adjacent_difference_config_selectorILb0ElEEZNS1_24adjacent_difference_implIS3_Lb0ELb0EPlS7_ZN2at6native12_GLOBAL__N_124unique_dim_cuda_templateItEESt5tupleIJNS8_6TensorESD_SD_EERKSD_lbbbEUlllE1_EE10hipError_tPvRmT2_T3_mT4_P12ihipStream_tbEUlT_E_NS1_11comp_targetILNS1_3genE9ELNS1_11target_archE1100ELNS1_3gpuE3ELNS1_3repE0EEENS1_30default_config_static_selectorELNS0_4arch9wavefront6targetE0EEEvT1_.num_agpr, 0
	.set _ZN7rocprim17ROCPRIM_400000_NS6detail17trampoline_kernelINS0_14default_configENS1_35adjacent_difference_config_selectorILb0ElEEZNS1_24adjacent_difference_implIS3_Lb0ELb0EPlS7_ZN2at6native12_GLOBAL__N_124unique_dim_cuda_templateItEESt5tupleIJNS8_6TensorESD_SD_EERKSD_lbbbEUlllE1_EE10hipError_tPvRmT2_T3_mT4_P12ihipStream_tbEUlT_E_NS1_11comp_targetILNS1_3genE9ELNS1_11target_archE1100ELNS1_3gpuE3ELNS1_3repE0EEENS1_30default_config_static_selectorELNS0_4arch9wavefront6targetE0EEEvT1_.numbered_sgpr, 0
	.set _ZN7rocprim17ROCPRIM_400000_NS6detail17trampoline_kernelINS0_14default_configENS1_35adjacent_difference_config_selectorILb0ElEEZNS1_24adjacent_difference_implIS3_Lb0ELb0EPlS7_ZN2at6native12_GLOBAL__N_124unique_dim_cuda_templateItEESt5tupleIJNS8_6TensorESD_SD_EERKSD_lbbbEUlllE1_EE10hipError_tPvRmT2_T3_mT4_P12ihipStream_tbEUlT_E_NS1_11comp_targetILNS1_3genE9ELNS1_11target_archE1100ELNS1_3gpuE3ELNS1_3repE0EEENS1_30default_config_static_selectorELNS0_4arch9wavefront6targetE0EEEvT1_.num_named_barrier, 0
	.set _ZN7rocprim17ROCPRIM_400000_NS6detail17trampoline_kernelINS0_14default_configENS1_35adjacent_difference_config_selectorILb0ElEEZNS1_24adjacent_difference_implIS3_Lb0ELb0EPlS7_ZN2at6native12_GLOBAL__N_124unique_dim_cuda_templateItEESt5tupleIJNS8_6TensorESD_SD_EERKSD_lbbbEUlllE1_EE10hipError_tPvRmT2_T3_mT4_P12ihipStream_tbEUlT_E_NS1_11comp_targetILNS1_3genE9ELNS1_11target_archE1100ELNS1_3gpuE3ELNS1_3repE0EEENS1_30default_config_static_selectorELNS0_4arch9wavefront6targetE0EEEvT1_.private_seg_size, 0
	.set _ZN7rocprim17ROCPRIM_400000_NS6detail17trampoline_kernelINS0_14default_configENS1_35adjacent_difference_config_selectorILb0ElEEZNS1_24adjacent_difference_implIS3_Lb0ELb0EPlS7_ZN2at6native12_GLOBAL__N_124unique_dim_cuda_templateItEESt5tupleIJNS8_6TensorESD_SD_EERKSD_lbbbEUlllE1_EE10hipError_tPvRmT2_T3_mT4_P12ihipStream_tbEUlT_E_NS1_11comp_targetILNS1_3genE9ELNS1_11target_archE1100ELNS1_3gpuE3ELNS1_3repE0EEENS1_30default_config_static_selectorELNS0_4arch9wavefront6targetE0EEEvT1_.uses_vcc, 0
	.set _ZN7rocprim17ROCPRIM_400000_NS6detail17trampoline_kernelINS0_14default_configENS1_35adjacent_difference_config_selectorILb0ElEEZNS1_24adjacent_difference_implIS3_Lb0ELb0EPlS7_ZN2at6native12_GLOBAL__N_124unique_dim_cuda_templateItEESt5tupleIJNS8_6TensorESD_SD_EERKSD_lbbbEUlllE1_EE10hipError_tPvRmT2_T3_mT4_P12ihipStream_tbEUlT_E_NS1_11comp_targetILNS1_3genE9ELNS1_11target_archE1100ELNS1_3gpuE3ELNS1_3repE0EEENS1_30default_config_static_selectorELNS0_4arch9wavefront6targetE0EEEvT1_.uses_flat_scratch, 0
	.set _ZN7rocprim17ROCPRIM_400000_NS6detail17trampoline_kernelINS0_14default_configENS1_35adjacent_difference_config_selectorILb0ElEEZNS1_24adjacent_difference_implIS3_Lb0ELb0EPlS7_ZN2at6native12_GLOBAL__N_124unique_dim_cuda_templateItEESt5tupleIJNS8_6TensorESD_SD_EERKSD_lbbbEUlllE1_EE10hipError_tPvRmT2_T3_mT4_P12ihipStream_tbEUlT_E_NS1_11comp_targetILNS1_3genE9ELNS1_11target_archE1100ELNS1_3gpuE3ELNS1_3repE0EEENS1_30default_config_static_selectorELNS0_4arch9wavefront6targetE0EEEvT1_.has_dyn_sized_stack, 0
	.set _ZN7rocprim17ROCPRIM_400000_NS6detail17trampoline_kernelINS0_14default_configENS1_35adjacent_difference_config_selectorILb0ElEEZNS1_24adjacent_difference_implIS3_Lb0ELb0EPlS7_ZN2at6native12_GLOBAL__N_124unique_dim_cuda_templateItEESt5tupleIJNS8_6TensorESD_SD_EERKSD_lbbbEUlllE1_EE10hipError_tPvRmT2_T3_mT4_P12ihipStream_tbEUlT_E_NS1_11comp_targetILNS1_3genE9ELNS1_11target_archE1100ELNS1_3gpuE3ELNS1_3repE0EEENS1_30default_config_static_selectorELNS0_4arch9wavefront6targetE0EEEvT1_.has_recursion, 0
	.set _ZN7rocprim17ROCPRIM_400000_NS6detail17trampoline_kernelINS0_14default_configENS1_35adjacent_difference_config_selectorILb0ElEEZNS1_24adjacent_difference_implIS3_Lb0ELb0EPlS7_ZN2at6native12_GLOBAL__N_124unique_dim_cuda_templateItEESt5tupleIJNS8_6TensorESD_SD_EERKSD_lbbbEUlllE1_EE10hipError_tPvRmT2_T3_mT4_P12ihipStream_tbEUlT_E_NS1_11comp_targetILNS1_3genE9ELNS1_11target_archE1100ELNS1_3gpuE3ELNS1_3repE0EEENS1_30default_config_static_selectorELNS0_4arch9wavefront6targetE0EEEvT1_.has_indirect_call, 0
	.section	.AMDGPU.csdata,"",@progbits
; Kernel info:
; codeLenInByte = 0
; TotalNumSgprs: 0
; NumVgprs: 0
; ScratchSize: 0
; MemoryBound: 0
; FloatMode: 240
; IeeeMode: 1
; LDSByteSize: 0 bytes/workgroup (compile time only)
; SGPRBlocks: 0
; VGPRBlocks: 0
; NumSGPRsForWavesPerEU: 1
; NumVGPRsForWavesPerEU: 1
; NamedBarCnt: 0
; Occupancy: 16
; WaveLimiterHint : 0
; COMPUTE_PGM_RSRC2:SCRATCH_EN: 0
; COMPUTE_PGM_RSRC2:USER_SGPR: 2
; COMPUTE_PGM_RSRC2:TRAP_HANDLER: 0
; COMPUTE_PGM_RSRC2:TGID_X_EN: 1
; COMPUTE_PGM_RSRC2:TGID_Y_EN: 0
; COMPUTE_PGM_RSRC2:TGID_Z_EN: 0
; COMPUTE_PGM_RSRC2:TIDIG_COMP_CNT: 0
	.section	.text._ZN7rocprim17ROCPRIM_400000_NS6detail17trampoline_kernelINS0_14default_configENS1_35adjacent_difference_config_selectorILb0ElEEZNS1_24adjacent_difference_implIS3_Lb0ELb0EPlS7_ZN2at6native12_GLOBAL__N_124unique_dim_cuda_templateItEESt5tupleIJNS8_6TensorESD_SD_EERKSD_lbbbEUlllE1_EE10hipError_tPvRmT2_T3_mT4_P12ihipStream_tbEUlT_E_NS1_11comp_targetILNS1_3genE8ELNS1_11target_archE1030ELNS1_3gpuE2ELNS1_3repE0EEENS1_30default_config_static_selectorELNS0_4arch9wavefront6targetE0EEEvT1_,"axG",@progbits,_ZN7rocprim17ROCPRIM_400000_NS6detail17trampoline_kernelINS0_14default_configENS1_35adjacent_difference_config_selectorILb0ElEEZNS1_24adjacent_difference_implIS3_Lb0ELb0EPlS7_ZN2at6native12_GLOBAL__N_124unique_dim_cuda_templateItEESt5tupleIJNS8_6TensorESD_SD_EERKSD_lbbbEUlllE1_EE10hipError_tPvRmT2_T3_mT4_P12ihipStream_tbEUlT_E_NS1_11comp_targetILNS1_3genE8ELNS1_11target_archE1030ELNS1_3gpuE2ELNS1_3repE0EEENS1_30default_config_static_selectorELNS0_4arch9wavefront6targetE0EEEvT1_,comdat
	.globl	_ZN7rocprim17ROCPRIM_400000_NS6detail17trampoline_kernelINS0_14default_configENS1_35adjacent_difference_config_selectorILb0ElEEZNS1_24adjacent_difference_implIS3_Lb0ELb0EPlS7_ZN2at6native12_GLOBAL__N_124unique_dim_cuda_templateItEESt5tupleIJNS8_6TensorESD_SD_EERKSD_lbbbEUlllE1_EE10hipError_tPvRmT2_T3_mT4_P12ihipStream_tbEUlT_E_NS1_11comp_targetILNS1_3genE8ELNS1_11target_archE1030ELNS1_3gpuE2ELNS1_3repE0EEENS1_30default_config_static_selectorELNS0_4arch9wavefront6targetE0EEEvT1_ ; -- Begin function _ZN7rocprim17ROCPRIM_400000_NS6detail17trampoline_kernelINS0_14default_configENS1_35adjacent_difference_config_selectorILb0ElEEZNS1_24adjacent_difference_implIS3_Lb0ELb0EPlS7_ZN2at6native12_GLOBAL__N_124unique_dim_cuda_templateItEESt5tupleIJNS8_6TensorESD_SD_EERKSD_lbbbEUlllE1_EE10hipError_tPvRmT2_T3_mT4_P12ihipStream_tbEUlT_E_NS1_11comp_targetILNS1_3genE8ELNS1_11target_archE1030ELNS1_3gpuE2ELNS1_3repE0EEENS1_30default_config_static_selectorELNS0_4arch9wavefront6targetE0EEEvT1_
	.p2align	8
	.type	_ZN7rocprim17ROCPRIM_400000_NS6detail17trampoline_kernelINS0_14default_configENS1_35adjacent_difference_config_selectorILb0ElEEZNS1_24adjacent_difference_implIS3_Lb0ELb0EPlS7_ZN2at6native12_GLOBAL__N_124unique_dim_cuda_templateItEESt5tupleIJNS8_6TensorESD_SD_EERKSD_lbbbEUlllE1_EE10hipError_tPvRmT2_T3_mT4_P12ihipStream_tbEUlT_E_NS1_11comp_targetILNS1_3genE8ELNS1_11target_archE1030ELNS1_3gpuE2ELNS1_3repE0EEENS1_30default_config_static_selectorELNS0_4arch9wavefront6targetE0EEEvT1_,@function
_ZN7rocprim17ROCPRIM_400000_NS6detail17trampoline_kernelINS0_14default_configENS1_35adjacent_difference_config_selectorILb0ElEEZNS1_24adjacent_difference_implIS3_Lb0ELb0EPlS7_ZN2at6native12_GLOBAL__N_124unique_dim_cuda_templateItEESt5tupleIJNS8_6TensorESD_SD_EERKSD_lbbbEUlllE1_EE10hipError_tPvRmT2_T3_mT4_P12ihipStream_tbEUlT_E_NS1_11comp_targetILNS1_3genE8ELNS1_11target_archE1030ELNS1_3gpuE2ELNS1_3repE0EEENS1_30default_config_static_selectorELNS0_4arch9wavefront6targetE0EEEvT1_: ; @_ZN7rocprim17ROCPRIM_400000_NS6detail17trampoline_kernelINS0_14default_configENS1_35adjacent_difference_config_selectorILb0ElEEZNS1_24adjacent_difference_implIS3_Lb0ELb0EPlS7_ZN2at6native12_GLOBAL__N_124unique_dim_cuda_templateItEESt5tupleIJNS8_6TensorESD_SD_EERKSD_lbbbEUlllE1_EE10hipError_tPvRmT2_T3_mT4_P12ihipStream_tbEUlT_E_NS1_11comp_targetILNS1_3genE8ELNS1_11target_archE1030ELNS1_3gpuE2ELNS1_3repE0EEENS1_30default_config_static_selectorELNS0_4arch9wavefront6targetE0EEEvT1_
; %bb.0:
	.section	.rodata,"a",@progbits
	.p2align	6, 0x0
	.amdhsa_kernel _ZN7rocprim17ROCPRIM_400000_NS6detail17trampoline_kernelINS0_14default_configENS1_35adjacent_difference_config_selectorILb0ElEEZNS1_24adjacent_difference_implIS3_Lb0ELb0EPlS7_ZN2at6native12_GLOBAL__N_124unique_dim_cuda_templateItEESt5tupleIJNS8_6TensorESD_SD_EERKSD_lbbbEUlllE1_EE10hipError_tPvRmT2_T3_mT4_P12ihipStream_tbEUlT_E_NS1_11comp_targetILNS1_3genE8ELNS1_11target_archE1030ELNS1_3gpuE2ELNS1_3repE0EEENS1_30default_config_static_selectorELNS0_4arch9wavefront6targetE0EEEvT1_
		.amdhsa_group_segment_fixed_size 0
		.amdhsa_private_segment_fixed_size 0
		.amdhsa_kernarg_size 64
		.amdhsa_user_sgpr_count 2
		.amdhsa_user_sgpr_dispatch_ptr 0
		.amdhsa_user_sgpr_queue_ptr 0
		.amdhsa_user_sgpr_kernarg_segment_ptr 1
		.amdhsa_user_sgpr_dispatch_id 0
		.amdhsa_user_sgpr_kernarg_preload_length 0
		.amdhsa_user_sgpr_kernarg_preload_offset 0
		.amdhsa_user_sgpr_private_segment_size 0
		.amdhsa_wavefront_size32 1
		.amdhsa_uses_dynamic_stack 0
		.amdhsa_enable_private_segment 0
		.amdhsa_system_sgpr_workgroup_id_x 1
		.amdhsa_system_sgpr_workgroup_id_y 0
		.amdhsa_system_sgpr_workgroup_id_z 0
		.amdhsa_system_sgpr_workgroup_info 0
		.amdhsa_system_vgpr_workitem_id 0
		.amdhsa_next_free_vgpr 1
		.amdhsa_next_free_sgpr 1
		.amdhsa_named_barrier_count 0
		.amdhsa_reserve_vcc 0
		.amdhsa_float_round_mode_32 0
		.amdhsa_float_round_mode_16_64 0
		.amdhsa_float_denorm_mode_32 3
		.amdhsa_float_denorm_mode_16_64 3
		.amdhsa_fp16_overflow 0
		.amdhsa_memory_ordered 1
		.amdhsa_forward_progress 1
		.amdhsa_inst_pref_size 0
		.amdhsa_round_robin_scheduling 0
		.amdhsa_exception_fp_ieee_invalid_op 0
		.amdhsa_exception_fp_denorm_src 0
		.amdhsa_exception_fp_ieee_div_zero 0
		.amdhsa_exception_fp_ieee_overflow 0
		.amdhsa_exception_fp_ieee_underflow 0
		.amdhsa_exception_fp_ieee_inexact 0
		.amdhsa_exception_int_div_zero 0
	.end_amdhsa_kernel
	.section	.text._ZN7rocprim17ROCPRIM_400000_NS6detail17trampoline_kernelINS0_14default_configENS1_35adjacent_difference_config_selectorILb0ElEEZNS1_24adjacent_difference_implIS3_Lb0ELb0EPlS7_ZN2at6native12_GLOBAL__N_124unique_dim_cuda_templateItEESt5tupleIJNS8_6TensorESD_SD_EERKSD_lbbbEUlllE1_EE10hipError_tPvRmT2_T3_mT4_P12ihipStream_tbEUlT_E_NS1_11comp_targetILNS1_3genE8ELNS1_11target_archE1030ELNS1_3gpuE2ELNS1_3repE0EEENS1_30default_config_static_selectorELNS0_4arch9wavefront6targetE0EEEvT1_,"axG",@progbits,_ZN7rocprim17ROCPRIM_400000_NS6detail17trampoline_kernelINS0_14default_configENS1_35adjacent_difference_config_selectorILb0ElEEZNS1_24adjacent_difference_implIS3_Lb0ELb0EPlS7_ZN2at6native12_GLOBAL__N_124unique_dim_cuda_templateItEESt5tupleIJNS8_6TensorESD_SD_EERKSD_lbbbEUlllE1_EE10hipError_tPvRmT2_T3_mT4_P12ihipStream_tbEUlT_E_NS1_11comp_targetILNS1_3genE8ELNS1_11target_archE1030ELNS1_3gpuE2ELNS1_3repE0EEENS1_30default_config_static_selectorELNS0_4arch9wavefront6targetE0EEEvT1_,comdat
.Lfunc_end1401:
	.size	_ZN7rocprim17ROCPRIM_400000_NS6detail17trampoline_kernelINS0_14default_configENS1_35adjacent_difference_config_selectorILb0ElEEZNS1_24adjacent_difference_implIS3_Lb0ELb0EPlS7_ZN2at6native12_GLOBAL__N_124unique_dim_cuda_templateItEESt5tupleIJNS8_6TensorESD_SD_EERKSD_lbbbEUlllE1_EE10hipError_tPvRmT2_T3_mT4_P12ihipStream_tbEUlT_E_NS1_11comp_targetILNS1_3genE8ELNS1_11target_archE1030ELNS1_3gpuE2ELNS1_3repE0EEENS1_30default_config_static_selectorELNS0_4arch9wavefront6targetE0EEEvT1_, .Lfunc_end1401-_ZN7rocprim17ROCPRIM_400000_NS6detail17trampoline_kernelINS0_14default_configENS1_35adjacent_difference_config_selectorILb0ElEEZNS1_24adjacent_difference_implIS3_Lb0ELb0EPlS7_ZN2at6native12_GLOBAL__N_124unique_dim_cuda_templateItEESt5tupleIJNS8_6TensorESD_SD_EERKSD_lbbbEUlllE1_EE10hipError_tPvRmT2_T3_mT4_P12ihipStream_tbEUlT_E_NS1_11comp_targetILNS1_3genE8ELNS1_11target_archE1030ELNS1_3gpuE2ELNS1_3repE0EEENS1_30default_config_static_selectorELNS0_4arch9wavefront6targetE0EEEvT1_
                                        ; -- End function
	.set _ZN7rocprim17ROCPRIM_400000_NS6detail17trampoline_kernelINS0_14default_configENS1_35adjacent_difference_config_selectorILb0ElEEZNS1_24adjacent_difference_implIS3_Lb0ELb0EPlS7_ZN2at6native12_GLOBAL__N_124unique_dim_cuda_templateItEESt5tupleIJNS8_6TensorESD_SD_EERKSD_lbbbEUlllE1_EE10hipError_tPvRmT2_T3_mT4_P12ihipStream_tbEUlT_E_NS1_11comp_targetILNS1_3genE8ELNS1_11target_archE1030ELNS1_3gpuE2ELNS1_3repE0EEENS1_30default_config_static_selectorELNS0_4arch9wavefront6targetE0EEEvT1_.num_vgpr, 0
	.set _ZN7rocprim17ROCPRIM_400000_NS6detail17trampoline_kernelINS0_14default_configENS1_35adjacent_difference_config_selectorILb0ElEEZNS1_24adjacent_difference_implIS3_Lb0ELb0EPlS7_ZN2at6native12_GLOBAL__N_124unique_dim_cuda_templateItEESt5tupleIJNS8_6TensorESD_SD_EERKSD_lbbbEUlllE1_EE10hipError_tPvRmT2_T3_mT4_P12ihipStream_tbEUlT_E_NS1_11comp_targetILNS1_3genE8ELNS1_11target_archE1030ELNS1_3gpuE2ELNS1_3repE0EEENS1_30default_config_static_selectorELNS0_4arch9wavefront6targetE0EEEvT1_.num_agpr, 0
	.set _ZN7rocprim17ROCPRIM_400000_NS6detail17trampoline_kernelINS0_14default_configENS1_35adjacent_difference_config_selectorILb0ElEEZNS1_24adjacent_difference_implIS3_Lb0ELb0EPlS7_ZN2at6native12_GLOBAL__N_124unique_dim_cuda_templateItEESt5tupleIJNS8_6TensorESD_SD_EERKSD_lbbbEUlllE1_EE10hipError_tPvRmT2_T3_mT4_P12ihipStream_tbEUlT_E_NS1_11comp_targetILNS1_3genE8ELNS1_11target_archE1030ELNS1_3gpuE2ELNS1_3repE0EEENS1_30default_config_static_selectorELNS0_4arch9wavefront6targetE0EEEvT1_.numbered_sgpr, 0
	.set _ZN7rocprim17ROCPRIM_400000_NS6detail17trampoline_kernelINS0_14default_configENS1_35adjacent_difference_config_selectorILb0ElEEZNS1_24adjacent_difference_implIS3_Lb0ELb0EPlS7_ZN2at6native12_GLOBAL__N_124unique_dim_cuda_templateItEESt5tupleIJNS8_6TensorESD_SD_EERKSD_lbbbEUlllE1_EE10hipError_tPvRmT2_T3_mT4_P12ihipStream_tbEUlT_E_NS1_11comp_targetILNS1_3genE8ELNS1_11target_archE1030ELNS1_3gpuE2ELNS1_3repE0EEENS1_30default_config_static_selectorELNS0_4arch9wavefront6targetE0EEEvT1_.num_named_barrier, 0
	.set _ZN7rocprim17ROCPRIM_400000_NS6detail17trampoline_kernelINS0_14default_configENS1_35adjacent_difference_config_selectorILb0ElEEZNS1_24adjacent_difference_implIS3_Lb0ELb0EPlS7_ZN2at6native12_GLOBAL__N_124unique_dim_cuda_templateItEESt5tupleIJNS8_6TensorESD_SD_EERKSD_lbbbEUlllE1_EE10hipError_tPvRmT2_T3_mT4_P12ihipStream_tbEUlT_E_NS1_11comp_targetILNS1_3genE8ELNS1_11target_archE1030ELNS1_3gpuE2ELNS1_3repE0EEENS1_30default_config_static_selectorELNS0_4arch9wavefront6targetE0EEEvT1_.private_seg_size, 0
	.set _ZN7rocprim17ROCPRIM_400000_NS6detail17trampoline_kernelINS0_14default_configENS1_35adjacent_difference_config_selectorILb0ElEEZNS1_24adjacent_difference_implIS3_Lb0ELb0EPlS7_ZN2at6native12_GLOBAL__N_124unique_dim_cuda_templateItEESt5tupleIJNS8_6TensorESD_SD_EERKSD_lbbbEUlllE1_EE10hipError_tPvRmT2_T3_mT4_P12ihipStream_tbEUlT_E_NS1_11comp_targetILNS1_3genE8ELNS1_11target_archE1030ELNS1_3gpuE2ELNS1_3repE0EEENS1_30default_config_static_selectorELNS0_4arch9wavefront6targetE0EEEvT1_.uses_vcc, 0
	.set _ZN7rocprim17ROCPRIM_400000_NS6detail17trampoline_kernelINS0_14default_configENS1_35adjacent_difference_config_selectorILb0ElEEZNS1_24adjacent_difference_implIS3_Lb0ELb0EPlS7_ZN2at6native12_GLOBAL__N_124unique_dim_cuda_templateItEESt5tupleIJNS8_6TensorESD_SD_EERKSD_lbbbEUlllE1_EE10hipError_tPvRmT2_T3_mT4_P12ihipStream_tbEUlT_E_NS1_11comp_targetILNS1_3genE8ELNS1_11target_archE1030ELNS1_3gpuE2ELNS1_3repE0EEENS1_30default_config_static_selectorELNS0_4arch9wavefront6targetE0EEEvT1_.uses_flat_scratch, 0
	.set _ZN7rocprim17ROCPRIM_400000_NS6detail17trampoline_kernelINS0_14default_configENS1_35adjacent_difference_config_selectorILb0ElEEZNS1_24adjacent_difference_implIS3_Lb0ELb0EPlS7_ZN2at6native12_GLOBAL__N_124unique_dim_cuda_templateItEESt5tupleIJNS8_6TensorESD_SD_EERKSD_lbbbEUlllE1_EE10hipError_tPvRmT2_T3_mT4_P12ihipStream_tbEUlT_E_NS1_11comp_targetILNS1_3genE8ELNS1_11target_archE1030ELNS1_3gpuE2ELNS1_3repE0EEENS1_30default_config_static_selectorELNS0_4arch9wavefront6targetE0EEEvT1_.has_dyn_sized_stack, 0
	.set _ZN7rocprim17ROCPRIM_400000_NS6detail17trampoline_kernelINS0_14default_configENS1_35adjacent_difference_config_selectorILb0ElEEZNS1_24adjacent_difference_implIS3_Lb0ELb0EPlS7_ZN2at6native12_GLOBAL__N_124unique_dim_cuda_templateItEESt5tupleIJNS8_6TensorESD_SD_EERKSD_lbbbEUlllE1_EE10hipError_tPvRmT2_T3_mT4_P12ihipStream_tbEUlT_E_NS1_11comp_targetILNS1_3genE8ELNS1_11target_archE1030ELNS1_3gpuE2ELNS1_3repE0EEENS1_30default_config_static_selectorELNS0_4arch9wavefront6targetE0EEEvT1_.has_recursion, 0
	.set _ZN7rocprim17ROCPRIM_400000_NS6detail17trampoline_kernelINS0_14default_configENS1_35adjacent_difference_config_selectorILb0ElEEZNS1_24adjacent_difference_implIS3_Lb0ELb0EPlS7_ZN2at6native12_GLOBAL__N_124unique_dim_cuda_templateItEESt5tupleIJNS8_6TensorESD_SD_EERKSD_lbbbEUlllE1_EE10hipError_tPvRmT2_T3_mT4_P12ihipStream_tbEUlT_E_NS1_11comp_targetILNS1_3genE8ELNS1_11target_archE1030ELNS1_3gpuE2ELNS1_3repE0EEENS1_30default_config_static_selectorELNS0_4arch9wavefront6targetE0EEEvT1_.has_indirect_call, 0
	.section	.AMDGPU.csdata,"",@progbits
; Kernel info:
; codeLenInByte = 0
; TotalNumSgprs: 0
; NumVgprs: 0
; ScratchSize: 0
; MemoryBound: 0
; FloatMode: 240
; IeeeMode: 1
; LDSByteSize: 0 bytes/workgroup (compile time only)
; SGPRBlocks: 0
; VGPRBlocks: 0
; NumSGPRsForWavesPerEU: 1
; NumVGPRsForWavesPerEU: 1
; NamedBarCnt: 0
; Occupancy: 16
; WaveLimiterHint : 0
; COMPUTE_PGM_RSRC2:SCRATCH_EN: 0
; COMPUTE_PGM_RSRC2:USER_SGPR: 2
; COMPUTE_PGM_RSRC2:TRAP_HANDLER: 0
; COMPUTE_PGM_RSRC2:TGID_X_EN: 1
; COMPUTE_PGM_RSRC2:TGID_Y_EN: 0
; COMPUTE_PGM_RSRC2:TGID_Z_EN: 0
; COMPUTE_PGM_RSRC2:TIDIG_COMP_CNT: 0
	.section	.text._ZN7rocprim17ROCPRIM_400000_NS6detail17trampoline_kernelINS0_14default_configENS1_25transform_config_selectorIlLb0EEEZNS1_14transform_implILb0ES3_S5_NS0_18transform_iteratorINS0_17counting_iteratorImlEEZNS1_24adjacent_difference_implIS3_Lb1ELb0EPlSB_ZN2at6native12_GLOBAL__N_124unique_dim_cuda_templateItEESt5tupleIJNSC_6TensorESH_SH_EERKSH_lbbbEUlllE1_EE10hipError_tPvRmT2_T3_mT4_P12ihipStream_tbEUlmE_lEESB_NS0_8identityIvEEEESM_SP_SQ_mSR_ST_bEUlT_E_NS1_11comp_targetILNS1_3genE0ELNS1_11target_archE4294967295ELNS1_3gpuE0ELNS1_3repE0EEENS1_30default_config_static_selectorELNS0_4arch9wavefront6targetE0EEEvT1_,"axG",@progbits,_ZN7rocprim17ROCPRIM_400000_NS6detail17trampoline_kernelINS0_14default_configENS1_25transform_config_selectorIlLb0EEEZNS1_14transform_implILb0ES3_S5_NS0_18transform_iteratorINS0_17counting_iteratorImlEEZNS1_24adjacent_difference_implIS3_Lb1ELb0EPlSB_ZN2at6native12_GLOBAL__N_124unique_dim_cuda_templateItEESt5tupleIJNSC_6TensorESH_SH_EERKSH_lbbbEUlllE1_EE10hipError_tPvRmT2_T3_mT4_P12ihipStream_tbEUlmE_lEESB_NS0_8identityIvEEEESM_SP_SQ_mSR_ST_bEUlT_E_NS1_11comp_targetILNS1_3genE0ELNS1_11target_archE4294967295ELNS1_3gpuE0ELNS1_3repE0EEENS1_30default_config_static_selectorELNS0_4arch9wavefront6targetE0EEEvT1_,comdat
	.globl	_ZN7rocprim17ROCPRIM_400000_NS6detail17trampoline_kernelINS0_14default_configENS1_25transform_config_selectorIlLb0EEEZNS1_14transform_implILb0ES3_S5_NS0_18transform_iteratorINS0_17counting_iteratorImlEEZNS1_24adjacent_difference_implIS3_Lb1ELb0EPlSB_ZN2at6native12_GLOBAL__N_124unique_dim_cuda_templateItEESt5tupleIJNSC_6TensorESH_SH_EERKSH_lbbbEUlllE1_EE10hipError_tPvRmT2_T3_mT4_P12ihipStream_tbEUlmE_lEESB_NS0_8identityIvEEEESM_SP_SQ_mSR_ST_bEUlT_E_NS1_11comp_targetILNS1_3genE0ELNS1_11target_archE4294967295ELNS1_3gpuE0ELNS1_3repE0EEENS1_30default_config_static_selectorELNS0_4arch9wavefront6targetE0EEEvT1_ ; -- Begin function _ZN7rocprim17ROCPRIM_400000_NS6detail17trampoline_kernelINS0_14default_configENS1_25transform_config_selectorIlLb0EEEZNS1_14transform_implILb0ES3_S5_NS0_18transform_iteratorINS0_17counting_iteratorImlEEZNS1_24adjacent_difference_implIS3_Lb1ELb0EPlSB_ZN2at6native12_GLOBAL__N_124unique_dim_cuda_templateItEESt5tupleIJNSC_6TensorESH_SH_EERKSH_lbbbEUlllE1_EE10hipError_tPvRmT2_T3_mT4_P12ihipStream_tbEUlmE_lEESB_NS0_8identityIvEEEESM_SP_SQ_mSR_ST_bEUlT_E_NS1_11comp_targetILNS1_3genE0ELNS1_11target_archE4294967295ELNS1_3gpuE0ELNS1_3repE0EEENS1_30default_config_static_selectorELNS0_4arch9wavefront6targetE0EEEvT1_
	.p2align	8
	.type	_ZN7rocprim17ROCPRIM_400000_NS6detail17trampoline_kernelINS0_14default_configENS1_25transform_config_selectorIlLb0EEEZNS1_14transform_implILb0ES3_S5_NS0_18transform_iteratorINS0_17counting_iteratorImlEEZNS1_24adjacent_difference_implIS3_Lb1ELb0EPlSB_ZN2at6native12_GLOBAL__N_124unique_dim_cuda_templateItEESt5tupleIJNSC_6TensorESH_SH_EERKSH_lbbbEUlllE1_EE10hipError_tPvRmT2_T3_mT4_P12ihipStream_tbEUlmE_lEESB_NS0_8identityIvEEEESM_SP_SQ_mSR_ST_bEUlT_E_NS1_11comp_targetILNS1_3genE0ELNS1_11target_archE4294967295ELNS1_3gpuE0ELNS1_3repE0EEENS1_30default_config_static_selectorELNS0_4arch9wavefront6targetE0EEEvT1_,@function
_ZN7rocprim17ROCPRIM_400000_NS6detail17trampoline_kernelINS0_14default_configENS1_25transform_config_selectorIlLb0EEEZNS1_14transform_implILb0ES3_S5_NS0_18transform_iteratorINS0_17counting_iteratorImlEEZNS1_24adjacent_difference_implIS3_Lb1ELb0EPlSB_ZN2at6native12_GLOBAL__N_124unique_dim_cuda_templateItEESt5tupleIJNSC_6TensorESH_SH_EERKSH_lbbbEUlllE1_EE10hipError_tPvRmT2_T3_mT4_P12ihipStream_tbEUlmE_lEESB_NS0_8identityIvEEEESM_SP_SQ_mSR_ST_bEUlT_E_NS1_11comp_targetILNS1_3genE0ELNS1_11target_archE4294967295ELNS1_3gpuE0ELNS1_3repE0EEENS1_30default_config_static_selectorELNS0_4arch9wavefront6targetE0EEEvT1_: ; @_ZN7rocprim17ROCPRIM_400000_NS6detail17trampoline_kernelINS0_14default_configENS1_25transform_config_selectorIlLb0EEEZNS1_14transform_implILb0ES3_S5_NS0_18transform_iteratorINS0_17counting_iteratorImlEEZNS1_24adjacent_difference_implIS3_Lb1ELb0EPlSB_ZN2at6native12_GLOBAL__N_124unique_dim_cuda_templateItEESt5tupleIJNSC_6TensorESH_SH_EERKSH_lbbbEUlllE1_EE10hipError_tPvRmT2_T3_mT4_P12ihipStream_tbEUlmE_lEESB_NS0_8identityIvEEEESM_SP_SQ_mSR_ST_bEUlT_E_NS1_11comp_targetILNS1_3genE0ELNS1_11target_archE4294967295ELNS1_3gpuE0ELNS1_3repE0EEENS1_30default_config_static_selectorELNS0_4arch9wavefront6targetE0EEEvT1_
; %bb.0:
	s_clause 0x1
	s_load_b32 s2, s[0:1], 0x38
	s_load_b32 s3, s[0:1], 0x20
	s_bfe_u32 s4, ttmp6, 0x4000c
	s_and_b32 s5, ttmp6, 15
	s_add_co_i32 s4, s4, 1
	s_getreg_b32 s6, hwreg(HW_REG_IB_STS2, 6, 4)
	s_mul_i32 s4, ttmp9, s4
	s_delay_alu instid0(SALU_CYCLE_1)
	s_add_co_i32 s5, s5, s4
	s_cmp_eq_u32 s6, 0
	s_cselect_b32 s4, ttmp9, s5
	s_wait_kmcnt 0x0
	s_add_co_i32 s5, s2, -1
	s_lshl_b32 s2, s4, 7
	s_cmp_lg_u32 s4, s5
	s_cselect_b32 s4, -1, 0
	s_sub_co_i32 s3, s3, s2
	s_delay_alu instid0(SALU_CYCLE_1) | instskip(SKIP_2) | instid1(SALU_CYCLE_1)
	v_cmp_gt_u32_e32 vcc_lo, s3, v0
	s_mov_b32 s3, 0
	s_or_b32 s4, s4, vcc_lo
	s_and_saveexec_b32 s5, s4
	s_cbranch_execz .LBB1402_2
; %bb.1:
	s_clause 0x3
	s_load_b64 s[8:9], s[0:1], 0x18
	s_load_b128 s[4:7], s[0:1], 0x0
	s_load_b32 s10, s[0:1], 0x10
	s_load_b64 s[12:13], s[0:1], 0x28
	v_mov_b32_e32 v1, 0
	s_mov_b32 s11, s3
	s_wait_kmcnt 0x0
	s_add_nc_u64 s[0:1], s[4:5], s[8:9]
	s_delay_alu instid0(SALU_CYCLE_1) | instskip(SKIP_3) | instid1(SALU_CYCLE_1)
	s_add_nc_u64 s[0:1], s[0:1], s[2:3]
	s_lshl_b64 s[2:3], s[2:3], 3
	v_add_nc_u64_e32 v[2:3], s[0:1], v[0:1]
	s_lshl_b64 s[0:1], s[8:9], 3
	s_add_nc_u64 s[0:1], s[12:13], s[0:1]
	s_delay_alu instid0(SALU_CYCLE_1) | instskip(NEXT) | instid1(VALU_DEP_1)
	s_add_nc_u64 s[0:1], s[0:1], s[2:3]
	v_mul_u64_e32 v[2:3], s[10:11], v[2:3]
	s_delay_alu instid0(VALU_DEP_1)
	v_lshl_add_u64 v[2:3], v[2:3], 3, s[6:7]
	global_load_b64 v[2:3], v[2:3], off
	s_wait_loadcnt 0x0
	global_store_b64 v0, v[2:3], s[0:1] scale_offset
.LBB1402_2:
	s_endpgm
	.section	.rodata,"a",@progbits
	.p2align	6, 0x0
	.amdhsa_kernel _ZN7rocprim17ROCPRIM_400000_NS6detail17trampoline_kernelINS0_14default_configENS1_25transform_config_selectorIlLb0EEEZNS1_14transform_implILb0ES3_S5_NS0_18transform_iteratorINS0_17counting_iteratorImlEEZNS1_24adjacent_difference_implIS3_Lb1ELb0EPlSB_ZN2at6native12_GLOBAL__N_124unique_dim_cuda_templateItEESt5tupleIJNSC_6TensorESH_SH_EERKSH_lbbbEUlllE1_EE10hipError_tPvRmT2_T3_mT4_P12ihipStream_tbEUlmE_lEESB_NS0_8identityIvEEEESM_SP_SQ_mSR_ST_bEUlT_E_NS1_11comp_targetILNS1_3genE0ELNS1_11target_archE4294967295ELNS1_3gpuE0ELNS1_3repE0EEENS1_30default_config_static_selectorELNS0_4arch9wavefront6targetE0EEEvT1_
		.amdhsa_group_segment_fixed_size 0
		.amdhsa_private_segment_fixed_size 0
		.amdhsa_kernarg_size 312
		.amdhsa_user_sgpr_count 2
		.amdhsa_user_sgpr_dispatch_ptr 0
		.amdhsa_user_sgpr_queue_ptr 0
		.amdhsa_user_sgpr_kernarg_segment_ptr 1
		.amdhsa_user_sgpr_dispatch_id 0
		.amdhsa_user_sgpr_kernarg_preload_length 0
		.amdhsa_user_sgpr_kernarg_preload_offset 0
		.amdhsa_user_sgpr_private_segment_size 0
		.amdhsa_wavefront_size32 1
		.amdhsa_uses_dynamic_stack 0
		.amdhsa_enable_private_segment 0
		.amdhsa_system_sgpr_workgroup_id_x 1
		.amdhsa_system_sgpr_workgroup_id_y 0
		.amdhsa_system_sgpr_workgroup_id_z 0
		.amdhsa_system_sgpr_workgroup_info 0
		.amdhsa_system_vgpr_workitem_id 0
		.amdhsa_next_free_vgpr 4
		.amdhsa_next_free_sgpr 14
		.amdhsa_named_barrier_count 0
		.amdhsa_reserve_vcc 1
		.amdhsa_float_round_mode_32 0
		.amdhsa_float_round_mode_16_64 0
		.amdhsa_float_denorm_mode_32 3
		.amdhsa_float_denorm_mode_16_64 3
		.amdhsa_fp16_overflow 0
		.amdhsa_memory_ordered 1
		.amdhsa_forward_progress 1
		.amdhsa_inst_pref_size 2
		.amdhsa_round_robin_scheduling 0
		.amdhsa_exception_fp_ieee_invalid_op 0
		.amdhsa_exception_fp_denorm_src 0
		.amdhsa_exception_fp_ieee_div_zero 0
		.amdhsa_exception_fp_ieee_overflow 0
		.amdhsa_exception_fp_ieee_underflow 0
		.amdhsa_exception_fp_ieee_inexact 0
		.amdhsa_exception_int_div_zero 0
	.end_amdhsa_kernel
	.section	.text._ZN7rocprim17ROCPRIM_400000_NS6detail17trampoline_kernelINS0_14default_configENS1_25transform_config_selectorIlLb0EEEZNS1_14transform_implILb0ES3_S5_NS0_18transform_iteratorINS0_17counting_iteratorImlEEZNS1_24adjacent_difference_implIS3_Lb1ELb0EPlSB_ZN2at6native12_GLOBAL__N_124unique_dim_cuda_templateItEESt5tupleIJNSC_6TensorESH_SH_EERKSH_lbbbEUlllE1_EE10hipError_tPvRmT2_T3_mT4_P12ihipStream_tbEUlmE_lEESB_NS0_8identityIvEEEESM_SP_SQ_mSR_ST_bEUlT_E_NS1_11comp_targetILNS1_3genE0ELNS1_11target_archE4294967295ELNS1_3gpuE0ELNS1_3repE0EEENS1_30default_config_static_selectorELNS0_4arch9wavefront6targetE0EEEvT1_,"axG",@progbits,_ZN7rocprim17ROCPRIM_400000_NS6detail17trampoline_kernelINS0_14default_configENS1_25transform_config_selectorIlLb0EEEZNS1_14transform_implILb0ES3_S5_NS0_18transform_iteratorINS0_17counting_iteratorImlEEZNS1_24adjacent_difference_implIS3_Lb1ELb0EPlSB_ZN2at6native12_GLOBAL__N_124unique_dim_cuda_templateItEESt5tupleIJNSC_6TensorESH_SH_EERKSH_lbbbEUlllE1_EE10hipError_tPvRmT2_T3_mT4_P12ihipStream_tbEUlmE_lEESB_NS0_8identityIvEEEESM_SP_SQ_mSR_ST_bEUlT_E_NS1_11comp_targetILNS1_3genE0ELNS1_11target_archE4294967295ELNS1_3gpuE0ELNS1_3repE0EEENS1_30default_config_static_selectorELNS0_4arch9wavefront6targetE0EEEvT1_,comdat
.Lfunc_end1402:
	.size	_ZN7rocprim17ROCPRIM_400000_NS6detail17trampoline_kernelINS0_14default_configENS1_25transform_config_selectorIlLb0EEEZNS1_14transform_implILb0ES3_S5_NS0_18transform_iteratorINS0_17counting_iteratorImlEEZNS1_24adjacent_difference_implIS3_Lb1ELb0EPlSB_ZN2at6native12_GLOBAL__N_124unique_dim_cuda_templateItEESt5tupleIJNSC_6TensorESH_SH_EERKSH_lbbbEUlllE1_EE10hipError_tPvRmT2_T3_mT4_P12ihipStream_tbEUlmE_lEESB_NS0_8identityIvEEEESM_SP_SQ_mSR_ST_bEUlT_E_NS1_11comp_targetILNS1_3genE0ELNS1_11target_archE4294967295ELNS1_3gpuE0ELNS1_3repE0EEENS1_30default_config_static_selectorELNS0_4arch9wavefront6targetE0EEEvT1_, .Lfunc_end1402-_ZN7rocprim17ROCPRIM_400000_NS6detail17trampoline_kernelINS0_14default_configENS1_25transform_config_selectorIlLb0EEEZNS1_14transform_implILb0ES3_S5_NS0_18transform_iteratorINS0_17counting_iteratorImlEEZNS1_24adjacent_difference_implIS3_Lb1ELb0EPlSB_ZN2at6native12_GLOBAL__N_124unique_dim_cuda_templateItEESt5tupleIJNSC_6TensorESH_SH_EERKSH_lbbbEUlllE1_EE10hipError_tPvRmT2_T3_mT4_P12ihipStream_tbEUlmE_lEESB_NS0_8identityIvEEEESM_SP_SQ_mSR_ST_bEUlT_E_NS1_11comp_targetILNS1_3genE0ELNS1_11target_archE4294967295ELNS1_3gpuE0ELNS1_3repE0EEENS1_30default_config_static_selectorELNS0_4arch9wavefront6targetE0EEEvT1_
                                        ; -- End function
	.set _ZN7rocprim17ROCPRIM_400000_NS6detail17trampoline_kernelINS0_14default_configENS1_25transform_config_selectorIlLb0EEEZNS1_14transform_implILb0ES3_S5_NS0_18transform_iteratorINS0_17counting_iteratorImlEEZNS1_24adjacent_difference_implIS3_Lb1ELb0EPlSB_ZN2at6native12_GLOBAL__N_124unique_dim_cuda_templateItEESt5tupleIJNSC_6TensorESH_SH_EERKSH_lbbbEUlllE1_EE10hipError_tPvRmT2_T3_mT4_P12ihipStream_tbEUlmE_lEESB_NS0_8identityIvEEEESM_SP_SQ_mSR_ST_bEUlT_E_NS1_11comp_targetILNS1_3genE0ELNS1_11target_archE4294967295ELNS1_3gpuE0ELNS1_3repE0EEENS1_30default_config_static_selectorELNS0_4arch9wavefront6targetE0EEEvT1_.num_vgpr, 4
	.set _ZN7rocprim17ROCPRIM_400000_NS6detail17trampoline_kernelINS0_14default_configENS1_25transform_config_selectorIlLb0EEEZNS1_14transform_implILb0ES3_S5_NS0_18transform_iteratorINS0_17counting_iteratorImlEEZNS1_24adjacent_difference_implIS3_Lb1ELb0EPlSB_ZN2at6native12_GLOBAL__N_124unique_dim_cuda_templateItEESt5tupleIJNSC_6TensorESH_SH_EERKSH_lbbbEUlllE1_EE10hipError_tPvRmT2_T3_mT4_P12ihipStream_tbEUlmE_lEESB_NS0_8identityIvEEEESM_SP_SQ_mSR_ST_bEUlT_E_NS1_11comp_targetILNS1_3genE0ELNS1_11target_archE4294967295ELNS1_3gpuE0ELNS1_3repE0EEENS1_30default_config_static_selectorELNS0_4arch9wavefront6targetE0EEEvT1_.num_agpr, 0
	.set _ZN7rocprim17ROCPRIM_400000_NS6detail17trampoline_kernelINS0_14default_configENS1_25transform_config_selectorIlLb0EEEZNS1_14transform_implILb0ES3_S5_NS0_18transform_iteratorINS0_17counting_iteratorImlEEZNS1_24adjacent_difference_implIS3_Lb1ELb0EPlSB_ZN2at6native12_GLOBAL__N_124unique_dim_cuda_templateItEESt5tupleIJNSC_6TensorESH_SH_EERKSH_lbbbEUlllE1_EE10hipError_tPvRmT2_T3_mT4_P12ihipStream_tbEUlmE_lEESB_NS0_8identityIvEEEESM_SP_SQ_mSR_ST_bEUlT_E_NS1_11comp_targetILNS1_3genE0ELNS1_11target_archE4294967295ELNS1_3gpuE0ELNS1_3repE0EEENS1_30default_config_static_selectorELNS0_4arch9wavefront6targetE0EEEvT1_.numbered_sgpr, 14
	.set _ZN7rocprim17ROCPRIM_400000_NS6detail17trampoline_kernelINS0_14default_configENS1_25transform_config_selectorIlLb0EEEZNS1_14transform_implILb0ES3_S5_NS0_18transform_iteratorINS0_17counting_iteratorImlEEZNS1_24adjacent_difference_implIS3_Lb1ELb0EPlSB_ZN2at6native12_GLOBAL__N_124unique_dim_cuda_templateItEESt5tupleIJNSC_6TensorESH_SH_EERKSH_lbbbEUlllE1_EE10hipError_tPvRmT2_T3_mT4_P12ihipStream_tbEUlmE_lEESB_NS0_8identityIvEEEESM_SP_SQ_mSR_ST_bEUlT_E_NS1_11comp_targetILNS1_3genE0ELNS1_11target_archE4294967295ELNS1_3gpuE0ELNS1_3repE0EEENS1_30default_config_static_selectorELNS0_4arch9wavefront6targetE0EEEvT1_.num_named_barrier, 0
	.set _ZN7rocprim17ROCPRIM_400000_NS6detail17trampoline_kernelINS0_14default_configENS1_25transform_config_selectorIlLb0EEEZNS1_14transform_implILb0ES3_S5_NS0_18transform_iteratorINS0_17counting_iteratorImlEEZNS1_24adjacent_difference_implIS3_Lb1ELb0EPlSB_ZN2at6native12_GLOBAL__N_124unique_dim_cuda_templateItEESt5tupleIJNSC_6TensorESH_SH_EERKSH_lbbbEUlllE1_EE10hipError_tPvRmT2_T3_mT4_P12ihipStream_tbEUlmE_lEESB_NS0_8identityIvEEEESM_SP_SQ_mSR_ST_bEUlT_E_NS1_11comp_targetILNS1_3genE0ELNS1_11target_archE4294967295ELNS1_3gpuE0ELNS1_3repE0EEENS1_30default_config_static_selectorELNS0_4arch9wavefront6targetE0EEEvT1_.private_seg_size, 0
	.set _ZN7rocprim17ROCPRIM_400000_NS6detail17trampoline_kernelINS0_14default_configENS1_25transform_config_selectorIlLb0EEEZNS1_14transform_implILb0ES3_S5_NS0_18transform_iteratorINS0_17counting_iteratorImlEEZNS1_24adjacent_difference_implIS3_Lb1ELb0EPlSB_ZN2at6native12_GLOBAL__N_124unique_dim_cuda_templateItEESt5tupleIJNSC_6TensorESH_SH_EERKSH_lbbbEUlllE1_EE10hipError_tPvRmT2_T3_mT4_P12ihipStream_tbEUlmE_lEESB_NS0_8identityIvEEEESM_SP_SQ_mSR_ST_bEUlT_E_NS1_11comp_targetILNS1_3genE0ELNS1_11target_archE4294967295ELNS1_3gpuE0ELNS1_3repE0EEENS1_30default_config_static_selectorELNS0_4arch9wavefront6targetE0EEEvT1_.uses_vcc, 1
	.set _ZN7rocprim17ROCPRIM_400000_NS6detail17trampoline_kernelINS0_14default_configENS1_25transform_config_selectorIlLb0EEEZNS1_14transform_implILb0ES3_S5_NS0_18transform_iteratorINS0_17counting_iteratorImlEEZNS1_24adjacent_difference_implIS3_Lb1ELb0EPlSB_ZN2at6native12_GLOBAL__N_124unique_dim_cuda_templateItEESt5tupleIJNSC_6TensorESH_SH_EERKSH_lbbbEUlllE1_EE10hipError_tPvRmT2_T3_mT4_P12ihipStream_tbEUlmE_lEESB_NS0_8identityIvEEEESM_SP_SQ_mSR_ST_bEUlT_E_NS1_11comp_targetILNS1_3genE0ELNS1_11target_archE4294967295ELNS1_3gpuE0ELNS1_3repE0EEENS1_30default_config_static_selectorELNS0_4arch9wavefront6targetE0EEEvT1_.uses_flat_scratch, 0
	.set _ZN7rocprim17ROCPRIM_400000_NS6detail17trampoline_kernelINS0_14default_configENS1_25transform_config_selectorIlLb0EEEZNS1_14transform_implILb0ES3_S5_NS0_18transform_iteratorINS0_17counting_iteratorImlEEZNS1_24adjacent_difference_implIS3_Lb1ELb0EPlSB_ZN2at6native12_GLOBAL__N_124unique_dim_cuda_templateItEESt5tupleIJNSC_6TensorESH_SH_EERKSH_lbbbEUlllE1_EE10hipError_tPvRmT2_T3_mT4_P12ihipStream_tbEUlmE_lEESB_NS0_8identityIvEEEESM_SP_SQ_mSR_ST_bEUlT_E_NS1_11comp_targetILNS1_3genE0ELNS1_11target_archE4294967295ELNS1_3gpuE0ELNS1_3repE0EEENS1_30default_config_static_selectorELNS0_4arch9wavefront6targetE0EEEvT1_.has_dyn_sized_stack, 0
	.set _ZN7rocprim17ROCPRIM_400000_NS6detail17trampoline_kernelINS0_14default_configENS1_25transform_config_selectorIlLb0EEEZNS1_14transform_implILb0ES3_S5_NS0_18transform_iteratorINS0_17counting_iteratorImlEEZNS1_24adjacent_difference_implIS3_Lb1ELb0EPlSB_ZN2at6native12_GLOBAL__N_124unique_dim_cuda_templateItEESt5tupleIJNSC_6TensorESH_SH_EERKSH_lbbbEUlllE1_EE10hipError_tPvRmT2_T3_mT4_P12ihipStream_tbEUlmE_lEESB_NS0_8identityIvEEEESM_SP_SQ_mSR_ST_bEUlT_E_NS1_11comp_targetILNS1_3genE0ELNS1_11target_archE4294967295ELNS1_3gpuE0ELNS1_3repE0EEENS1_30default_config_static_selectorELNS0_4arch9wavefront6targetE0EEEvT1_.has_recursion, 0
	.set _ZN7rocprim17ROCPRIM_400000_NS6detail17trampoline_kernelINS0_14default_configENS1_25transform_config_selectorIlLb0EEEZNS1_14transform_implILb0ES3_S5_NS0_18transform_iteratorINS0_17counting_iteratorImlEEZNS1_24adjacent_difference_implIS3_Lb1ELb0EPlSB_ZN2at6native12_GLOBAL__N_124unique_dim_cuda_templateItEESt5tupleIJNSC_6TensorESH_SH_EERKSH_lbbbEUlllE1_EE10hipError_tPvRmT2_T3_mT4_P12ihipStream_tbEUlmE_lEESB_NS0_8identityIvEEEESM_SP_SQ_mSR_ST_bEUlT_E_NS1_11comp_targetILNS1_3genE0ELNS1_11target_archE4294967295ELNS1_3gpuE0ELNS1_3repE0EEENS1_30default_config_static_selectorELNS0_4arch9wavefront6targetE0EEEvT1_.has_indirect_call, 0
	.section	.AMDGPU.csdata,"",@progbits
; Kernel info:
; codeLenInByte = 240
; TotalNumSgprs: 16
; NumVgprs: 4
; ScratchSize: 0
; MemoryBound: 0
; FloatMode: 240
; IeeeMode: 1
; LDSByteSize: 0 bytes/workgroup (compile time only)
; SGPRBlocks: 0
; VGPRBlocks: 0
; NumSGPRsForWavesPerEU: 16
; NumVGPRsForWavesPerEU: 4
; NamedBarCnt: 0
; Occupancy: 16
; WaveLimiterHint : 0
; COMPUTE_PGM_RSRC2:SCRATCH_EN: 0
; COMPUTE_PGM_RSRC2:USER_SGPR: 2
; COMPUTE_PGM_RSRC2:TRAP_HANDLER: 0
; COMPUTE_PGM_RSRC2:TGID_X_EN: 1
; COMPUTE_PGM_RSRC2:TGID_Y_EN: 0
; COMPUTE_PGM_RSRC2:TGID_Z_EN: 0
; COMPUTE_PGM_RSRC2:TIDIG_COMP_CNT: 0
	.section	.text._ZN7rocprim17ROCPRIM_400000_NS6detail17trampoline_kernelINS0_14default_configENS1_25transform_config_selectorIlLb0EEEZNS1_14transform_implILb0ES3_S5_NS0_18transform_iteratorINS0_17counting_iteratorImlEEZNS1_24adjacent_difference_implIS3_Lb1ELb0EPlSB_ZN2at6native12_GLOBAL__N_124unique_dim_cuda_templateItEESt5tupleIJNSC_6TensorESH_SH_EERKSH_lbbbEUlllE1_EE10hipError_tPvRmT2_T3_mT4_P12ihipStream_tbEUlmE_lEESB_NS0_8identityIvEEEESM_SP_SQ_mSR_ST_bEUlT_E_NS1_11comp_targetILNS1_3genE5ELNS1_11target_archE942ELNS1_3gpuE9ELNS1_3repE0EEENS1_30default_config_static_selectorELNS0_4arch9wavefront6targetE0EEEvT1_,"axG",@progbits,_ZN7rocprim17ROCPRIM_400000_NS6detail17trampoline_kernelINS0_14default_configENS1_25transform_config_selectorIlLb0EEEZNS1_14transform_implILb0ES3_S5_NS0_18transform_iteratorINS0_17counting_iteratorImlEEZNS1_24adjacent_difference_implIS3_Lb1ELb0EPlSB_ZN2at6native12_GLOBAL__N_124unique_dim_cuda_templateItEESt5tupleIJNSC_6TensorESH_SH_EERKSH_lbbbEUlllE1_EE10hipError_tPvRmT2_T3_mT4_P12ihipStream_tbEUlmE_lEESB_NS0_8identityIvEEEESM_SP_SQ_mSR_ST_bEUlT_E_NS1_11comp_targetILNS1_3genE5ELNS1_11target_archE942ELNS1_3gpuE9ELNS1_3repE0EEENS1_30default_config_static_selectorELNS0_4arch9wavefront6targetE0EEEvT1_,comdat
	.globl	_ZN7rocprim17ROCPRIM_400000_NS6detail17trampoline_kernelINS0_14default_configENS1_25transform_config_selectorIlLb0EEEZNS1_14transform_implILb0ES3_S5_NS0_18transform_iteratorINS0_17counting_iteratorImlEEZNS1_24adjacent_difference_implIS3_Lb1ELb0EPlSB_ZN2at6native12_GLOBAL__N_124unique_dim_cuda_templateItEESt5tupleIJNSC_6TensorESH_SH_EERKSH_lbbbEUlllE1_EE10hipError_tPvRmT2_T3_mT4_P12ihipStream_tbEUlmE_lEESB_NS0_8identityIvEEEESM_SP_SQ_mSR_ST_bEUlT_E_NS1_11comp_targetILNS1_3genE5ELNS1_11target_archE942ELNS1_3gpuE9ELNS1_3repE0EEENS1_30default_config_static_selectorELNS0_4arch9wavefront6targetE0EEEvT1_ ; -- Begin function _ZN7rocprim17ROCPRIM_400000_NS6detail17trampoline_kernelINS0_14default_configENS1_25transform_config_selectorIlLb0EEEZNS1_14transform_implILb0ES3_S5_NS0_18transform_iteratorINS0_17counting_iteratorImlEEZNS1_24adjacent_difference_implIS3_Lb1ELb0EPlSB_ZN2at6native12_GLOBAL__N_124unique_dim_cuda_templateItEESt5tupleIJNSC_6TensorESH_SH_EERKSH_lbbbEUlllE1_EE10hipError_tPvRmT2_T3_mT4_P12ihipStream_tbEUlmE_lEESB_NS0_8identityIvEEEESM_SP_SQ_mSR_ST_bEUlT_E_NS1_11comp_targetILNS1_3genE5ELNS1_11target_archE942ELNS1_3gpuE9ELNS1_3repE0EEENS1_30default_config_static_selectorELNS0_4arch9wavefront6targetE0EEEvT1_
	.p2align	8
	.type	_ZN7rocprim17ROCPRIM_400000_NS6detail17trampoline_kernelINS0_14default_configENS1_25transform_config_selectorIlLb0EEEZNS1_14transform_implILb0ES3_S5_NS0_18transform_iteratorINS0_17counting_iteratorImlEEZNS1_24adjacent_difference_implIS3_Lb1ELb0EPlSB_ZN2at6native12_GLOBAL__N_124unique_dim_cuda_templateItEESt5tupleIJNSC_6TensorESH_SH_EERKSH_lbbbEUlllE1_EE10hipError_tPvRmT2_T3_mT4_P12ihipStream_tbEUlmE_lEESB_NS0_8identityIvEEEESM_SP_SQ_mSR_ST_bEUlT_E_NS1_11comp_targetILNS1_3genE5ELNS1_11target_archE942ELNS1_3gpuE9ELNS1_3repE0EEENS1_30default_config_static_selectorELNS0_4arch9wavefront6targetE0EEEvT1_,@function
_ZN7rocprim17ROCPRIM_400000_NS6detail17trampoline_kernelINS0_14default_configENS1_25transform_config_selectorIlLb0EEEZNS1_14transform_implILb0ES3_S5_NS0_18transform_iteratorINS0_17counting_iteratorImlEEZNS1_24adjacent_difference_implIS3_Lb1ELb0EPlSB_ZN2at6native12_GLOBAL__N_124unique_dim_cuda_templateItEESt5tupleIJNSC_6TensorESH_SH_EERKSH_lbbbEUlllE1_EE10hipError_tPvRmT2_T3_mT4_P12ihipStream_tbEUlmE_lEESB_NS0_8identityIvEEEESM_SP_SQ_mSR_ST_bEUlT_E_NS1_11comp_targetILNS1_3genE5ELNS1_11target_archE942ELNS1_3gpuE9ELNS1_3repE0EEENS1_30default_config_static_selectorELNS0_4arch9wavefront6targetE0EEEvT1_: ; @_ZN7rocprim17ROCPRIM_400000_NS6detail17trampoline_kernelINS0_14default_configENS1_25transform_config_selectorIlLb0EEEZNS1_14transform_implILb0ES3_S5_NS0_18transform_iteratorINS0_17counting_iteratorImlEEZNS1_24adjacent_difference_implIS3_Lb1ELb0EPlSB_ZN2at6native12_GLOBAL__N_124unique_dim_cuda_templateItEESt5tupleIJNSC_6TensorESH_SH_EERKSH_lbbbEUlllE1_EE10hipError_tPvRmT2_T3_mT4_P12ihipStream_tbEUlmE_lEESB_NS0_8identityIvEEEESM_SP_SQ_mSR_ST_bEUlT_E_NS1_11comp_targetILNS1_3genE5ELNS1_11target_archE942ELNS1_3gpuE9ELNS1_3repE0EEENS1_30default_config_static_selectorELNS0_4arch9wavefront6targetE0EEEvT1_
; %bb.0:
	.section	.rodata,"a",@progbits
	.p2align	6, 0x0
	.amdhsa_kernel _ZN7rocprim17ROCPRIM_400000_NS6detail17trampoline_kernelINS0_14default_configENS1_25transform_config_selectorIlLb0EEEZNS1_14transform_implILb0ES3_S5_NS0_18transform_iteratorINS0_17counting_iteratorImlEEZNS1_24adjacent_difference_implIS3_Lb1ELb0EPlSB_ZN2at6native12_GLOBAL__N_124unique_dim_cuda_templateItEESt5tupleIJNSC_6TensorESH_SH_EERKSH_lbbbEUlllE1_EE10hipError_tPvRmT2_T3_mT4_P12ihipStream_tbEUlmE_lEESB_NS0_8identityIvEEEESM_SP_SQ_mSR_ST_bEUlT_E_NS1_11comp_targetILNS1_3genE5ELNS1_11target_archE942ELNS1_3gpuE9ELNS1_3repE0EEENS1_30default_config_static_selectorELNS0_4arch9wavefront6targetE0EEEvT1_
		.amdhsa_group_segment_fixed_size 0
		.amdhsa_private_segment_fixed_size 0
		.amdhsa_kernarg_size 56
		.amdhsa_user_sgpr_count 2
		.amdhsa_user_sgpr_dispatch_ptr 0
		.amdhsa_user_sgpr_queue_ptr 0
		.amdhsa_user_sgpr_kernarg_segment_ptr 1
		.amdhsa_user_sgpr_dispatch_id 0
		.amdhsa_user_sgpr_kernarg_preload_length 0
		.amdhsa_user_sgpr_kernarg_preload_offset 0
		.amdhsa_user_sgpr_private_segment_size 0
		.amdhsa_wavefront_size32 1
		.amdhsa_uses_dynamic_stack 0
		.amdhsa_enable_private_segment 0
		.amdhsa_system_sgpr_workgroup_id_x 1
		.amdhsa_system_sgpr_workgroup_id_y 0
		.amdhsa_system_sgpr_workgroup_id_z 0
		.amdhsa_system_sgpr_workgroup_info 0
		.amdhsa_system_vgpr_workitem_id 0
		.amdhsa_next_free_vgpr 1
		.amdhsa_next_free_sgpr 1
		.amdhsa_named_barrier_count 0
		.amdhsa_reserve_vcc 0
		.amdhsa_float_round_mode_32 0
		.amdhsa_float_round_mode_16_64 0
		.amdhsa_float_denorm_mode_32 3
		.amdhsa_float_denorm_mode_16_64 3
		.amdhsa_fp16_overflow 0
		.amdhsa_memory_ordered 1
		.amdhsa_forward_progress 1
		.amdhsa_inst_pref_size 0
		.amdhsa_round_robin_scheduling 0
		.amdhsa_exception_fp_ieee_invalid_op 0
		.amdhsa_exception_fp_denorm_src 0
		.amdhsa_exception_fp_ieee_div_zero 0
		.amdhsa_exception_fp_ieee_overflow 0
		.amdhsa_exception_fp_ieee_underflow 0
		.amdhsa_exception_fp_ieee_inexact 0
		.amdhsa_exception_int_div_zero 0
	.end_amdhsa_kernel
	.section	.text._ZN7rocprim17ROCPRIM_400000_NS6detail17trampoline_kernelINS0_14default_configENS1_25transform_config_selectorIlLb0EEEZNS1_14transform_implILb0ES3_S5_NS0_18transform_iteratorINS0_17counting_iteratorImlEEZNS1_24adjacent_difference_implIS3_Lb1ELb0EPlSB_ZN2at6native12_GLOBAL__N_124unique_dim_cuda_templateItEESt5tupleIJNSC_6TensorESH_SH_EERKSH_lbbbEUlllE1_EE10hipError_tPvRmT2_T3_mT4_P12ihipStream_tbEUlmE_lEESB_NS0_8identityIvEEEESM_SP_SQ_mSR_ST_bEUlT_E_NS1_11comp_targetILNS1_3genE5ELNS1_11target_archE942ELNS1_3gpuE9ELNS1_3repE0EEENS1_30default_config_static_selectorELNS0_4arch9wavefront6targetE0EEEvT1_,"axG",@progbits,_ZN7rocprim17ROCPRIM_400000_NS6detail17trampoline_kernelINS0_14default_configENS1_25transform_config_selectorIlLb0EEEZNS1_14transform_implILb0ES3_S5_NS0_18transform_iteratorINS0_17counting_iteratorImlEEZNS1_24adjacent_difference_implIS3_Lb1ELb0EPlSB_ZN2at6native12_GLOBAL__N_124unique_dim_cuda_templateItEESt5tupleIJNSC_6TensorESH_SH_EERKSH_lbbbEUlllE1_EE10hipError_tPvRmT2_T3_mT4_P12ihipStream_tbEUlmE_lEESB_NS0_8identityIvEEEESM_SP_SQ_mSR_ST_bEUlT_E_NS1_11comp_targetILNS1_3genE5ELNS1_11target_archE942ELNS1_3gpuE9ELNS1_3repE0EEENS1_30default_config_static_selectorELNS0_4arch9wavefront6targetE0EEEvT1_,comdat
.Lfunc_end1403:
	.size	_ZN7rocprim17ROCPRIM_400000_NS6detail17trampoline_kernelINS0_14default_configENS1_25transform_config_selectorIlLb0EEEZNS1_14transform_implILb0ES3_S5_NS0_18transform_iteratorINS0_17counting_iteratorImlEEZNS1_24adjacent_difference_implIS3_Lb1ELb0EPlSB_ZN2at6native12_GLOBAL__N_124unique_dim_cuda_templateItEESt5tupleIJNSC_6TensorESH_SH_EERKSH_lbbbEUlllE1_EE10hipError_tPvRmT2_T3_mT4_P12ihipStream_tbEUlmE_lEESB_NS0_8identityIvEEEESM_SP_SQ_mSR_ST_bEUlT_E_NS1_11comp_targetILNS1_3genE5ELNS1_11target_archE942ELNS1_3gpuE9ELNS1_3repE0EEENS1_30default_config_static_selectorELNS0_4arch9wavefront6targetE0EEEvT1_, .Lfunc_end1403-_ZN7rocprim17ROCPRIM_400000_NS6detail17trampoline_kernelINS0_14default_configENS1_25transform_config_selectorIlLb0EEEZNS1_14transform_implILb0ES3_S5_NS0_18transform_iteratorINS0_17counting_iteratorImlEEZNS1_24adjacent_difference_implIS3_Lb1ELb0EPlSB_ZN2at6native12_GLOBAL__N_124unique_dim_cuda_templateItEESt5tupleIJNSC_6TensorESH_SH_EERKSH_lbbbEUlllE1_EE10hipError_tPvRmT2_T3_mT4_P12ihipStream_tbEUlmE_lEESB_NS0_8identityIvEEEESM_SP_SQ_mSR_ST_bEUlT_E_NS1_11comp_targetILNS1_3genE5ELNS1_11target_archE942ELNS1_3gpuE9ELNS1_3repE0EEENS1_30default_config_static_selectorELNS0_4arch9wavefront6targetE0EEEvT1_
                                        ; -- End function
	.set _ZN7rocprim17ROCPRIM_400000_NS6detail17trampoline_kernelINS0_14default_configENS1_25transform_config_selectorIlLb0EEEZNS1_14transform_implILb0ES3_S5_NS0_18transform_iteratorINS0_17counting_iteratorImlEEZNS1_24adjacent_difference_implIS3_Lb1ELb0EPlSB_ZN2at6native12_GLOBAL__N_124unique_dim_cuda_templateItEESt5tupleIJNSC_6TensorESH_SH_EERKSH_lbbbEUlllE1_EE10hipError_tPvRmT2_T3_mT4_P12ihipStream_tbEUlmE_lEESB_NS0_8identityIvEEEESM_SP_SQ_mSR_ST_bEUlT_E_NS1_11comp_targetILNS1_3genE5ELNS1_11target_archE942ELNS1_3gpuE9ELNS1_3repE0EEENS1_30default_config_static_selectorELNS0_4arch9wavefront6targetE0EEEvT1_.num_vgpr, 0
	.set _ZN7rocprim17ROCPRIM_400000_NS6detail17trampoline_kernelINS0_14default_configENS1_25transform_config_selectorIlLb0EEEZNS1_14transform_implILb0ES3_S5_NS0_18transform_iteratorINS0_17counting_iteratorImlEEZNS1_24adjacent_difference_implIS3_Lb1ELb0EPlSB_ZN2at6native12_GLOBAL__N_124unique_dim_cuda_templateItEESt5tupleIJNSC_6TensorESH_SH_EERKSH_lbbbEUlllE1_EE10hipError_tPvRmT2_T3_mT4_P12ihipStream_tbEUlmE_lEESB_NS0_8identityIvEEEESM_SP_SQ_mSR_ST_bEUlT_E_NS1_11comp_targetILNS1_3genE5ELNS1_11target_archE942ELNS1_3gpuE9ELNS1_3repE0EEENS1_30default_config_static_selectorELNS0_4arch9wavefront6targetE0EEEvT1_.num_agpr, 0
	.set _ZN7rocprim17ROCPRIM_400000_NS6detail17trampoline_kernelINS0_14default_configENS1_25transform_config_selectorIlLb0EEEZNS1_14transform_implILb0ES3_S5_NS0_18transform_iteratorINS0_17counting_iteratorImlEEZNS1_24adjacent_difference_implIS3_Lb1ELb0EPlSB_ZN2at6native12_GLOBAL__N_124unique_dim_cuda_templateItEESt5tupleIJNSC_6TensorESH_SH_EERKSH_lbbbEUlllE1_EE10hipError_tPvRmT2_T3_mT4_P12ihipStream_tbEUlmE_lEESB_NS0_8identityIvEEEESM_SP_SQ_mSR_ST_bEUlT_E_NS1_11comp_targetILNS1_3genE5ELNS1_11target_archE942ELNS1_3gpuE9ELNS1_3repE0EEENS1_30default_config_static_selectorELNS0_4arch9wavefront6targetE0EEEvT1_.numbered_sgpr, 0
	.set _ZN7rocprim17ROCPRIM_400000_NS6detail17trampoline_kernelINS0_14default_configENS1_25transform_config_selectorIlLb0EEEZNS1_14transform_implILb0ES3_S5_NS0_18transform_iteratorINS0_17counting_iteratorImlEEZNS1_24adjacent_difference_implIS3_Lb1ELb0EPlSB_ZN2at6native12_GLOBAL__N_124unique_dim_cuda_templateItEESt5tupleIJNSC_6TensorESH_SH_EERKSH_lbbbEUlllE1_EE10hipError_tPvRmT2_T3_mT4_P12ihipStream_tbEUlmE_lEESB_NS0_8identityIvEEEESM_SP_SQ_mSR_ST_bEUlT_E_NS1_11comp_targetILNS1_3genE5ELNS1_11target_archE942ELNS1_3gpuE9ELNS1_3repE0EEENS1_30default_config_static_selectorELNS0_4arch9wavefront6targetE0EEEvT1_.num_named_barrier, 0
	.set _ZN7rocprim17ROCPRIM_400000_NS6detail17trampoline_kernelINS0_14default_configENS1_25transform_config_selectorIlLb0EEEZNS1_14transform_implILb0ES3_S5_NS0_18transform_iteratorINS0_17counting_iteratorImlEEZNS1_24adjacent_difference_implIS3_Lb1ELb0EPlSB_ZN2at6native12_GLOBAL__N_124unique_dim_cuda_templateItEESt5tupleIJNSC_6TensorESH_SH_EERKSH_lbbbEUlllE1_EE10hipError_tPvRmT2_T3_mT4_P12ihipStream_tbEUlmE_lEESB_NS0_8identityIvEEEESM_SP_SQ_mSR_ST_bEUlT_E_NS1_11comp_targetILNS1_3genE5ELNS1_11target_archE942ELNS1_3gpuE9ELNS1_3repE0EEENS1_30default_config_static_selectorELNS0_4arch9wavefront6targetE0EEEvT1_.private_seg_size, 0
	.set _ZN7rocprim17ROCPRIM_400000_NS6detail17trampoline_kernelINS0_14default_configENS1_25transform_config_selectorIlLb0EEEZNS1_14transform_implILb0ES3_S5_NS0_18transform_iteratorINS0_17counting_iteratorImlEEZNS1_24adjacent_difference_implIS3_Lb1ELb0EPlSB_ZN2at6native12_GLOBAL__N_124unique_dim_cuda_templateItEESt5tupleIJNSC_6TensorESH_SH_EERKSH_lbbbEUlllE1_EE10hipError_tPvRmT2_T3_mT4_P12ihipStream_tbEUlmE_lEESB_NS0_8identityIvEEEESM_SP_SQ_mSR_ST_bEUlT_E_NS1_11comp_targetILNS1_3genE5ELNS1_11target_archE942ELNS1_3gpuE9ELNS1_3repE0EEENS1_30default_config_static_selectorELNS0_4arch9wavefront6targetE0EEEvT1_.uses_vcc, 0
	.set _ZN7rocprim17ROCPRIM_400000_NS6detail17trampoline_kernelINS0_14default_configENS1_25transform_config_selectorIlLb0EEEZNS1_14transform_implILb0ES3_S5_NS0_18transform_iteratorINS0_17counting_iteratorImlEEZNS1_24adjacent_difference_implIS3_Lb1ELb0EPlSB_ZN2at6native12_GLOBAL__N_124unique_dim_cuda_templateItEESt5tupleIJNSC_6TensorESH_SH_EERKSH_lbbbEUlllE1_EE10hipError_tPvRmT2_T3_mT4_P12ihipStream_tbEUlmE_lEESB_NS0_8identityIvEEEESM_SP_SQ_mSR_ST_bEUlT_E_NS1_11comp_targetILNS1_3genE5ELNS1_11target_archE942ELNS1_3gpuE9ELNS1_3repE0EEENS1_30default_config_static_selectorELNS0_4arch9wavefront6targetE0EEEvT1_.uses_flat_scratch, 0
	.set _ZN7rocprim17ROCPRIM_400000_NS6detail17trampoline_kernelINS0_14default_configENS1_25transform_config_selectorIlLb0EEEZNS1_14transform_implILb0ES3_S5_NS0_18transform_iteratorINS0_17counting_iteratorImlEEZNS1_24adjacent_difference_implIS3_Lb1ELb0EPlSB_ZN2at6native12_GLOBAL__N_124unique_dim_cuda_templateItEESt5tupleIJNSC_6TensorESH_SH_EERKSH_lbbbEUlllE1_EE10hipError_tPvRmT2_T3_mT4_P12ihipStream_tbEUlmE_lEESB_NS0_8identityIvEEEESM_SP_SQ_mSR_ST_bEUlT_E_NS1_11comp_targetILNS1_3genE5ELNS1_11target_archE942ELNS1_3gpuE9ELNS1_3repE0EEENS1_30default_config_static_selectorELNS0_4arch9wavefront6targetE0EEEvT1_.has_dyn_sized_stack, 0
	.set _ZN7rocprim17ROCPRIM_400000_NS6detail17trampoline_kernelINS0_14default_configENS1_25transform_config_selectorIlLb0EEEZNS1_14transform_implILb0ES3_S5_NS0_18transform_iteratorINS0_17counting_iteratorImlEEZNS1_24adjacent_difference_implIS3_Lb1ELb0EPlSB_ZN2at6native12_GLOBAL__N_124unique_dim_cuda_templateItEESt5tupleIJNSC_6TensorESH_SH_EERKSH_lbbbEUlllE1_EE10hipError_tPvRmT2_T3_mT4_P12ihipStream_tbEUlmE_lEESB_NS0_8identityIvEEEESM_SP_SQ_mSR_ST_bEUlT_E_NS1_11comp_targetILNS1_3genE5ELNS1_11target_archE942ELNS1_3gpuE9ELNS1_3repE0EEENS1_30default_config_static_selectorELNS0_4arch9wavefront6targetE0EEEvT1_.has_recursion, 0
	.set _ZN7rocprim17ROCPRIM_400000_NS6detail17trampoline_kernelINS0_14default_configENS1_25transform_config_selectorIlLb0EEEZNS1_14transform_implILb0ES3_S5_NS0_18transform_iteratorINS0_17counting_iteratorImlEEZNS1_24adjacent_difference_implIS3_Lb1ELb0EPlSB_ZN2at6native12_GLOBAL__N_124unique_dim_cuda_templateItEESt5tupleIJNSC_6TensorESH_SH_EERKSH_lbbbEUlllE1_EE10hipError_tPvRmT2_T3_mT4_P12ihipStream_tbEUlmE_lEESB_NS0_8identityIvEEEESM_SP_SQ_mSR_ST_bEUlT_E_NS1_11comp_targetILNS1_3genE5ELNS1_11target_archE942ELNS1_3gpuE9ELNS1_3repE0EEENS1_30default_config_static_selectorELNS0_4arch9wavefront6targetE0EEEvT1_.has_indirect_call, 0
	.section	.AMDGPU.csdata,"",@progbits
; Kernel info:
; codeLenInByte = 0
; TotalNumSgprs: 0
; NumVgprs: 0
; ScratchSize: 0
; MemoryBound: 0
; FloatMode: 240
; IeeeMode: 1
; LDSByteSize: 0 bytes/workgroup (compile time only)
; SGPRBlocks: 0
; VGPRBlocks: 0
; NumSGPRsForWavesPerEU: 1
; NumVGPRsForWavesPerEU: 1
; NamedBarCnt: 0
; Occupancy: 16
; WaveLimiterHint : 0
; COMPUTE_PGM_RSRC2:SCRATCH_EN: 0
; COMPUTE_PGM_RSRC2:USER_SGPR: 2
; COMPUTE_PGM_RSRC2:TRAP_HANDLER: 0
; COMPUTE_PGM_RSRC2:TGID_X_EN: 1
; COMPUTE_PGM_RSRC2:TGID_Y_EN: 0
; COMPUTE_PGM_RSRC2:TGID_Z_EN: 0
; COMPUTE_PGM_RSRC2:TIDIG_COMP_CNT: 0
	.section	.text._ZN7rocprim17ROCPRIM_400000_NS6detail17trampoline_kernelINS0_14default_configENS1_25transform_config_selectorIlLb0EEEZNS1_14transform_implILb0ES3_S5_NS0_18transform_iteratorINS0_17counting_iteratorImlEEZNS1_24adjacent_difference_implIS3_Lb1ELb0EPlSB_ZN2at6native12_GLOBAL__N_124unique_dim_cuda_templateItEESt5tupleIJNSC_6TensorESH_SH_EERKSH_lbbbEUlllE1_EE10hipError_tPvRmT2_T3_mT4_P12ihipStream_tbEUlmE_lEESB_NS0_8identityIvEEEESM_SP_SQ_mSR_ST_bEUlT_E_NS1_11comp_targetILNS1_3genE4ELNS1_11target_archE910ELNS1_3gpuE8ELNS1_3repE0EEENS1_30default_config_static_selectorELNS0_4arch9wavefront6targetE0EEEvT1_,"axG",@progbits,_ZN7rocprim17ROCPRIM_400000_NS6detail17trampoline_kernelINS0_14default_configENS1_25transform_config_selectorIlLb0EEEZNS1_14transform_implILb0ES3_S5_NS0_18transform_iteratorINS0_17counting_iteratorImlEEZNS1_24adjacent_difference_implIS3_Lb1ELb0EPlSB_ZN2at6native12_GLOBAL__N_124unique_dim_cuda_templateItEESt5tupleIJNSC_6TensorESH_SH_EERKSH_lbbbEUlllE1_EE10hipError_tPvRmT2_T3_mT4_P12ihipStream_tbEUlmE_lEESB_NS0_8identityIvEEEESM_SP_SQ_mSR_ST_bEUlT_E_NS1_11comp_targetILNS1_3genE4ELNS1_11target_archE910ELNS1_3gpuE8ELNS1_3repE0EEENS1_30default_config_static_selectorELNS0_4arch9wavefront6targetE0EEEvT1_,comdat
	.globl	_ZN7rocprim17ROCPRIM_400000_NS6detail17trampoline_kernelINS0_14default_configENS1_25transform_config_selectorIlLb0EEEZNS1_14transform_implILb0ES3_S5_NS0_18transform_iteratorINS0_17counting_iteratorImlEEZNS1_24adjacent_difference_implIS3_Lb1ELb0EPlSB_ZN2at6native12_GLOBAL__N_124unique_dim_cuda_templateItEESt5tupleIJNSC_6TensorESH_SH_EERKSH_lbbbEUlllE1_EE10hipError_tPvRmT2_T3_mT4_P12ihipStream_tbEUlmE_lEESB_NS0_8identityIvEEEESM_SP_SQ_mSR_ST_bEUlT_E_NS1_11comp_targetILNS1_3genE4ELNS1_11target_archE910ELNS1_3gpuE8ELNS1_3repE0EEENS1_30default_config_static_selectorELNS0_4arch9wavefront6targetE0EEEvT1_ ; -- Begin function _ZN7rocprim17ROCPRIM_400000_NS6detail17trampoline_kernelINS0_14default_configENS1_25transform_config_selectorIlLb0EEEZNS1_14transform_implILb0ES3_S5_NS0_18transform_iteratorINS0_17counting_iteratorImlEEZNS1_24adjacent_difference_implIS3_Lb1ELb0EPlSB_ZN2at6native12_GLOBAL__N_124unique_dim_cuda_templateItEESt5tupleIJNSC_6TensorESH_SH_EERKSH_lbbbEUlllE1_EE10hipError_tPvRmT2_T3_mT4_P12ihipStream_tbEUlmE_lEESB_NS0_8identityIvEEEESM_SP_SQ_mSR_ST_bEUlT_E_NS1_11comp_targetILNS1_3genE4ELNS1_11target_archE910ELNS1_3gpuE8ELNS1_3repE0EEENS1_30default_config_static_selectorELNS0_4arch9wavefront6targetE0EEEvT1_
	.p2align	8
	.type	_ZN7rocprim17ROCPRIM_400000_NS6detail17trampoline_kernelINS0_14default_configENS1_25transform_config_selectorIlLb0EEEZNS1_14transform_implILb0ES3_S5_NS0_18transform_iteratorINS0_17counting_iteratorImlEEZNS1_24adjacent_difference_implIS3_Lb1ELb0EPlSB_ZN2at6native12_GLOBAL__N_124unique_dim_cuda_templateItEESt5tupleIJNSC_6TensorESH_SH_EERKSH_lbbbEUlllE1_EE10hipError_tPvRmT2_T3_mT4_P12ihipStream_tbEUlmE_lEESB_NS0_8identityIvEEEESM_SP_SQ_mSR_ST_bEUlT_E_NS1_11comp_targetILNS1_3genE4ELNS1_11target_archE910ELNS1_3gpuE8ELNS1_3repE0EEENS1_30default_config_static_selectorELNS0_4arch9wavefront6targetE0EEEvT1_,@function
_ZN7rocprim17ROCPRIM_400000_NS6detail17trampoline_kernelINS0_14default_configENS1_25transform_config_selectorIlLb0EEEZNS1_14transform_implILb0ES3_S5_NS0_18transform_iteratorINS0_17counting_iteratorImlEEZNS1_24adjacent_difference_implIS3_Lb1ELb0EPlSB_ZN2at6native12_GLOBAL__N_124unique_dim_cuda_templateItEESt5tupleIJNSC_6TensorESH_SH_EERKSH_lbbbEUlllE1_EE10hipError_tPvRmT2_T3_mT4_P12ihipStream_tbEUlmE_lEESB_NS0_8identityIvEEEESM_SP_SQ_mSR_ST_bEUlT_E_NS1_11comp_targetILNS1_3genE4ELNS1_11target_archE910ELNS1_3gpuE8ELNS1_3repE0EEENS1_30default_config_static_selectorELNS0_4arch9wavefront6targetE0EEEvT1_: ; @_ZN7rocprim17ROCPRIM_400000_NS6detail17trampoline_kernelINS0_14default_configENS1_25transform_config_selectorIlLb0EEEZNS1_14transform_implILb0ES3_S5_NS0_18transform_iteratorINS0_17counting_iteratorImlEEZNS1_24adjacent_difference_implIS3_Lb1ELb0EPlSB_ZN2at6native12_GLOBAL__N_124unique_dim_cuda_templateItEESt5tupleIJNSC_6TensorESH_SH_EERKSH_lbbbEUlllE1_EE10hipError_tPvRmT2_T3_mT4_P12ihipStream_tbEUlmE_lEESB_NS0_8identityIvEEEESM_SP_SQ_mSR_ST_bEUlT_E_NS1_11comp_targetILNS1_3genE4ELNS1_11target_archE910ELNS1_3gpuE8ELNS1_3repE0EEENS1_30default_config_static_selectorELNS0_4arch9wavefront6targetE0EEEvT1_
; %bb.0:
	.section	.rodata,"a",@progbits
	.p2align	6, 0x0
	.amdhsa_kernel _ZN7rocprim17ROCPRIM_400000_NS6detail17trampoline_kernelINS0_14default_configENS1_25transform_config_selectorIlLb0EEEZNS1_14transform_implILb0ES3_S5_NS0_18transform_iteratorINS0_17counting_iteratorImlEEZNS1_24adjacent_difference_implIS3_Lb1ELb0EPlSB_ZN2at6native12_GLOBAL__N_124unique_dim_cuda_templateItEESt5tupleIJNSC_6TensorESH_SH_EERKSH_lbbbEUlllE1_EE10hipError_tPvRmT2_T3_mT4_P12ihipStream_tbEUlmE_lEESB_NS0_8identityIvEEEESM_SP_SQ_mSR_ST_bEUlT_E_NS1_11comp_targetILNS1_3genE4ELNS1_11target_archE910ELNS1_3gpuE8ELNS1_3repE0EEENS1_30default_config_static_selectorELNS0_4arch9wavefront6targetE0EEEvT1_
		.amdhsa_group_segment_fixed_size 0
		.amdhsa_private_segment_fixed_size 0
		.amdhsa_kernarg_size 56
		.amdhsa_user_sgpr_count 2
		.amdhsa_user_sgpr_dispatch_ptr 0
		.amdhsa_user_sgpr_queue_ptr 0
		.amdhsa_user_sgpr_kernarg_segment_ptr 1
		.amdhsa_user_sgpr_dispatch_id 0
		.amdhsa_user_sgpr_kernarg_preload_length 0
		.amdhsa_user_sgpr_kernarg_preload_offset 0
		.amdhsa_user_sgpr_private_segment_size 0
		.amdhsa_wavefront_size32 1
		.amdhsa_uses_dynamic_stack 0
		.amdhsa_enable_private_segment 0
		.amdhsa_system_sgpr_workgroup_id_x 1
		.amdhsa_system_sgpr_workgroup_id_y 0
		.amdhsa_system_sgpr_workgroup_id_z 0
		.amdhsa_system_sgpr_workgroup_info 0
		.amdhsa_system_vgpr_workitem_id 0
		.amdhsa_next_free_vgpr 1
		.amdhsa_next_free_sgpr 1
		.amdhsa_named_barrier_count 0
		.amdhsa_reserve_vcc 0
		.amdhsa_float_round_mode_32 0
		.amdhsa_float_round_mode_16_64 0
		.amdhsa_float_denorm_mode_32 3
		.amdhsa_float_denorm_mode_16_64 3
		.amdhsa_fp16_overflow 0
		.amdhsa_memory_ordered 1
		.amdhsa_forward_progress 1
		.amdhsa_inst_pref_size 0
		.amdhsa_round_robin_scheduling 0
		.amdhsa_exception_fp_ieee_invalid_op 0
		.amdhsa_exception_fp_denorm_src 0
		.amdhsa_exception_fp_ieee_div_zero 0
		.amdhsa_exception_fp_ieee_overflow 0
		.amdhsa_exception_fp_ieee_underflow 0
		.amdhsa_exception_fp_ieee_inexact 0
		.amdhsa_exception_int_div_zero 0
	.end_amdhsa_kernel
	.section	.text._ZN7rocprim17ROCPRIM_400000_NS6detail17trampoline_kernelINS0_14default_configENS1_25transform_config_selectorIlLb0EEEZNS1_14transform_implILb0ES3_S5_NS0_18transform_iteratorINS0_17counting_iteratorImlEEZNS1_24adjacent_difference_implIS3_Lb1ELb0EPlSB_ZN2at6native12_GLOBAL__N_124unique_dim_cuda_templateItEESt5tupleIJNSC_6TensorESH_SH_EERKSH_lbbbEUlllE1_EE10hipError_tPvRmT2_T3_mT4_P12ihipStream_tbEUlmE_lEESB_NS0_8identityIvEEEESM_SP_SQ_mSR_ST_bEUlT_E_NS1_11comp_targetILNS1_3genE4ELNS1_11target_archE910ELNS1_3gpuE8ELNS1_3repE0EEENS1_30default_config_static_selectorELNS0_4arch9wavefront6targetE0EEEvT1_,"axG",@progbits,_ZN7rocprim17ROCPRIM_400000_NS6detail17trampoline_kernelINS0_14default_configENS1_25transform_config_selectorIlLb0EEEZNS1_14transform_implILb0ES3_S5_NS0_18transform_iteratorINS0_17counting_iteratorImlEEZNS1_24adjacent_difference_implIS3_Lb1ELb0EPlSB_ZN2at6native12_GLOBAL__N_124unique_dim_cuda_templateItEESt5tupleIJNSC_6TensorESH_SH_EERKSH_lbbbEUlllE1_EE10hipError_tPvRmT2_T3_mT4_P12ihipStream_tbEUlmE_lEESB_NS0_8identityIvEEEESM_SP_SQ_mSR_ST_bEUlT_E_NS1_11comp_targetILNS1_3genE4ELNS1_11target_archE910ELNS1_3gpuE8ELNS1_3repE0EEENS1_30default_config_static_selectorELNS0_4arch9wavefront6targetE0EEEvT1_,comdat
.Lfunc_end1404:
	.size	_ZN7rocprim17ROCPRIM_400000_NS6detail17trampoline_kernelINS0_14default_configENS1_25transform_config_selectorIlLb0EEEZNS1_14transform_implILb0ES3_S5_NS0_18transform_iteratorINS0_17counting_iteratorImlEEZNS1_24adjacent_difference_implIS3_Lb1ELb0EPlSB_ZN2at6native12_GLOBAL__N_124unique_dim_cuda_templateItEESt5tupleIJNSC_6TensorESH_SH_EERKSH_lbbbEUlllE1_EE10hipError_tPvRmT2_T3_mT4_P12ihipStream_tbEUlmE_lEESB_NS0_8identityIvEEEESM_SP_SQ_mSR_ST_bEUlT_E_NS1_11comp_targetILNS1_3genE4ELNS1_11target_archE910ELNS1_3gpuE8ELNS1_3repE0EEENS1_30default_config_static_selectorELNS0_4arch9wavefront6targetE0EEEvT1_, .Lfunc_end1404-_ZN7rocprim17ROCPRIM_400000_NS6detail17trampoline_kernelINS0_14default_configENS1_25transform_config_selectorIlLb0EEEZNS1_14transform_implILb0ES3_S5_NS0_18transform_iteratorINS0_17counting_iteratorImlEEZNS1_24adjacent_difference_implIS3_Lb1ELb0EPlSB_ZN2at6native12_GLOBAL__N_124unique_dim_cuda_templateItEESt5tupleIJNSC_6TensorESH_SH_EERKSH_lbbbEUlllE1_EE10hipError_tPvRmT2_T3_mT4_P12ihipStream_tbEUlmE_lEESB_NS0_8identityIvEEEESM_SP_SQ_mSR_ST_bEUlT_E_NS1_11comp_targetILNS1_3genE4ELNS1_11target_archE910ELNS1_3gpuE8ELNS1_3repE0EEENS1_30default_config_static_selectorELNS0_4arch9wavefront6targetE0EEEvT1_
                                        ; -- End function
	.set _ZN7rocprim17ROCPRIM_400000_NS6detail17trampoline_kernelINS0_14default_configENS1_25transform_config_selectorIlLb0EEEZNS1_14transform_implILb0ES3_S5_NS0_18transform_iteratorINS0_17counting_iteratorImlEEZNS1_24adjacent_difference_implIS3_Lb1ELb0EPlSB_ZN2at6native12_GLOBAL__N_124unique_dim_cuda_templateItEESt5tupleIJNSC_6TensorESH_SH_EERKSH_lbbbEUlllE1_EE10hipError_tPvRmT2_T3_mT4_P12ihipStream_tbEUlmE_lEESB_NS0_8identityIvEEEESM_SP_SQ_mSR_ST_bEUlT_E_NS1_11comp_targetILNS1_3genE4ELNS1_11target_archE910ELNS1_3gpuE8ELNS1_3repE0EEENS1_30default_config_static_selectorELNS0_4arch9wavefront6targetE0EEEvT1_.num_vgpr, 0
	.set _ZN7rocprim17ROCPRIM_400000_NS6detail17trampoline_kernelINS0_14default_configENS1_25transform_config_selectorIlLb0EEEZNS1_14transform_implILb0ES3_S5_NS0_18transform_iteratorINS0_17counting_iteratorImlEEZNS1_24adjacent_difference_implIS3_Lb1ELb0EPlSB_ZN2at6native12_GLOBAL__N_124unique_dim_cuda_templateItEESt5tupleIJNSC_6TensorESH_SH_EERKSH_lbbbEUlllE1_EE10hipError_tPvRmT2_T3_mT4_P12ihipStream_tbEUlmE_lEESB_NS0_8identityIvEEEESM_SP_SQ_mSR_ST_bEUlT_E_NS1_11comp_targetILNS1_3genE4ELNS1_11target_archE910ELNS1_3gpuE8ELNS1_3repE0EEENS1_30default_config_static_selectorELNS0_4arch9wavefront6targetE0EEEvT1_.num_agpr, 0
	.set _ZN7rocprim17ROCPRIM_400000_NS6detail17trampoline_kernelINS0_14default_configENS1_25transform_config_selectorIlLb0EEEZNS1_14transform_implILb0ES3_S5_NS0_18transform_iteratorINS0_17counting_iteratorImlEEZNS1_24adjacent_difference_implIS3_Lb1ELb0EPlSB_ZN2at6native12_GLOBAL__N_124unique_dim_cuda_templateItEESt5tupleIJNSC_6TensorESH_SH_EERKSH_lbbbEUlllE1_EE10hipError_tPvRmT2_T3_mT4_P12ihipStream_tbEUlmE_lEESB_NS0_8identityIvEEEESM_SP_SQ_mSR_ST_bEUlT_E_NS1_11comp_targetILNS1_3genE4ELNS1_11target_archE910ELNS1_3gpuE8ELNS1_3repE0EEENS1_30default_config_static_selectorELNS0_4arch9wavefront6targetE0EEEvT1_.numbered_sgpr, 0
	.set _ZN7rocprim17ROCPRIM_400000_NS6detail17trampoline_kernelINS0_14default_configENS1_25transform_config_selectorIlLb0EEEZNS1_14transform_implILb0ES3_S5_NS0_18transform_iteratorINS0_17counting_iteratorImlEEZNS1_24adjacent_difference_implIS3_Lb1ELb0EPlSB_ZN2at6native12_GLOBAL__N_124unique_dim_cuda_templateItEESt5tupleIJNSC_6TensorESH_SH_EERKSH_lbbbEUlllE1_EE10hipError_tPvRmT2_T3_mT4_P12ihipStream_tbEUlmE_lEESB_NS0_8identityIvEEEESM_SP_SQ_mSR_ST_bEUlT_E_NS1_11comp_targetILNS1_3genE4ELNS1_11target_archE910ELNS1_3gpuE8ELNS1_3repE0EEENS1_30default_config_static_selectorELNS0_4arch9wavefront6targetE0EEEvT1_.num_named_barrier, 0
	.set _ZN7rocprim17ROCPRIM_400000_NS6detail17trampoline_kernelINS0_14default_configENS1_25transform_config_selectorIlLb0EEEZNS1_14transform_implILb0ES3_S5_NS0_18transform_iteratorINS0_17counting_iteratorImlEEZNS1_24adjacent_difference_implIS3_Lb1ELb0EPlSB_ZN2at6native12_GLOBAL__N_124unique_dim_cuda_templateItEESt5tupleIJNSC_6TensorESH_SH_EERKSH_lbbbEUlllE1_EE10hipError_tPvRmT2_T3_mT4_P12ihipStream_tbEUlmE_lEESB_NS0_8identityIvEEEESM_SP_SQ_mSR_ST_bEUlT_E_NS1_11comp_targetILNS1_3genE4ELNS1_11target_archE910ELNS1_3gpuE8ELNS1_3repE0EEENS1_30default_config_static_selectorELNS0_4arch9wavefront6targetE0EEEvT1_.private_seg_size, 0
	.set _ZN7rocprim17ROCPRIM_400000_NS6detail17trampoline_kernelINS0_14default_configENS1_25transform_config_selectorIlLb0EEEZNS1_14transform_implILb0ES3_S5_NS0_18transform_iteratorINS0_17counting_iteratorImlEEZNS1_24adjacent_difference_implIS3_Lb1ELb0EPlSB_ZN2at6native12_GLOBAL__N_124unique_dim_cuda_templateItEESt5tupleIJNSC_6TensorESH_SH_EERKSH_lbbbEUlllE1_EE10hipError_tPvRmT2_T3_mT4_P12ihipStream_tbEUlmE_lEESB_NS0_8identityIvEEEESM_SP_SQ_mSR_ST_bEUlT_E_NS1_11comp_targetILNS1_3genE4ELNS1_11target_archE910ELNS1_3gpuE8ELNS1_3repE0EEENS1_30default_config_static_selectorELNS0_4arch9wavefront6targetE0EEEvT1_.uses_vcc, 0
	.set _ZN7rocprim17ROCPRIM_400000_NS6detail17trampoline_kernelINS0_14default_configENS1_25transform_config_selectorIlLb0EEEZNS1_14transform_implILb0ES3_S5_NS0_18transform_iteratorINS0_17counting_iteratorImlEEZNS1_24adjacent_difference_implIS3_Lb1ELb0EPlSB_ZN2at6native12_GLOBAL__N_124unique_dim_cuda_templateItEESt5tupleIJNSC_6TensorESH_SH_EERKSH_lbbbEUlllE1_EE10hipError_tPvRmT2_T3_mT4_P12ihipStream_tbEUlmE_lEESB_NS0_8identityIvEEEESM_SP_SQ_mSR_ST_bEUlT_E_NS1_11comp_targetILNS1_3genE4ELNS1_11target_archE910ELNS1_3gpuE8ELNS1_3repE0EEENS1_30default_config_static_selectorELNS0_4arch9wavefront6targetE0EEEvT1_.uses_flat_scratch, 0
	.set _ZN7rocprim17ROCPRIM_400000_NS6detail17trampoline_kernelINS0_14default_configENS1_25transform_config_selectorIlLb0EEEZNS1_14transform_implILb0ES3_S5_NS0_18transform_iteratorINS0_17counting_iteratorImlEEZNS1_24adjacent_difference_implIS3_Lb1ELb0EPlSB_ZN2at6native12_GLOBAL__N_124unique_dim_cuda_templateItEESt5tupleIJNSC_6TensorESH_SH_EERKSH_lbbbEUlllE1_EE10hipError_tPvRmT2_T3_mT4_P12ihipStream_tbEUlmE_lEESB_NS0_8identityIvEEEESM_SP_SQ_mSR_ST_bEUlT_E_NS1_11comp_targetILNS1_3genE4ELNS1_11target_archE910ELNS1_3gpuE8ELNS1_3repE0EEENS1_30default_config_static_selectorELNS0_4arch9wavefront6targetE0EEEvT1_.has_dyn_sized_stack, 0
	.set _ZN7rocprim17ROCPRIM_400000_NS6detail17trampoline_kernelINS0_14default_configENS1_25transform_config_selectorIlLb0EEEZNS1_14transform_implILb0ES3_S5_NS0_18transform_iteratorINS0_17counting_iteratorImlEEZNS1_24adjacent_difference_implIS3_Lb1ELb0EPlSB_ZN2at6native12_GLOBAL__N_124unique_dim_cuda_templateItEESt5tupleIJNSC_6TensorESH_SH_EERKSH_lbbbEUlllE1_EE10hipError_tPvRmT2_T3_mT4_P12ihipStream_tbEUlmE_lEESB_NS0_8identityIvEEEESM_SP_SQ_mSR_ST_bEUlT_E_NS1_11comp_targetILNS1_3genE4ELNS1_11target_archE910ELNS1_3gpuE8ELNS1_3repE0EEENS1_30default_config_static_selectorELNS0_4arch9wavefront6targetE0EEEvT1_.has_recursion, 0
	.set _ZN7rocprim17ROCPRIM_400000_NS6detail17trampoline_kernelINS0_14default_configENS1_25transform_config_selectorIlLb0EEEZNS1_14transform_implILb0ES3_S5_NS0_18transform_iteratorINS0_17counting_iteratorImlEEZNS1_24adjacent_difference_implIS3_Lb1ELb0EPlSB_ZN2at6native12_GLOBAL__N_124unique_dim_cuda_templateItEESt5tupleIJNSC_6TensorESH_SH_EERKSH_lbbbEUlllE1_EE10hipError_tPvRmT2_T3_mT4_P12ihipStream_tbEUlmE_lEESB_NS0_8identityIvEEEESM_SP_SQ_mSR_ST_bEUlT_E_NS1_11comp_targetILNS1_3genE4ELNS1_11target_archE910ELNS1_3gpuE8ELNS1_3repE0EEENS1_30default_config_static_selectorELNS0_4arch9wavefront6targetE0EEEvT1_.has_indirect_call, 0
	.section	.AMDGPU.csdata,"",@progbits
; Kernel info:
; codeLenInByte = 0
; TotalNumSgprs: 0
; NumVgprs: 0
; ScratchSize: 0
; MemoryBound: 0
; FloatMode: 240
; IeeeMode: 1
; LDSByteSize: 0 bytes/workgroup (compile time only)
; SGPRBlocks: 0
; VGPRBlocks: 0
; NumSGPRsForWavesPerEU: 1
; NumVGPRsForWavesPerEU: 1
; NamedBarCnt: 0
; Occupancy: 16
; WaveLimiterHint : 0
; COMPUTE_PGM_RSRC2:SCRATCH_EN: 0
; COMPUTE_PGM_RSRC2:USER_SGPR: 2
; COMPUTE_PGM_RSRC2:TRAP_HANDLER: 0
; COMPUTE_PGM_RSRC2:TGID_X_EN: 1
; COMPUTE_PGM_RSRC2:TGID_Y_EN: 0
; COMPUTE_PGM_RSRC2:TGID_Z_EN: 0
; COMPUTE_PGM_RSRC2:TIDIG_COMP_CNT: 0
	.section	.text._ZN7rocprim17ROCPRIM_400000_NS6detail17trampoline_kernelINS0_14default_configENS1_25transform_config_selectorIlLb0EEEZNS1_14transform_implILb0ES3_S5_NS0_18transform_iteratorINS0_17counting_iteratorImlEEZNS1_24adjacent_difference_implIS3_Lb1ELb0EPlSB_ZN2at6native12_GLOBAL__N_124unique_dim_cuda_templateItEESt5tupleIJNSC_6TensorESH_SH_EERKSH_lbbbEUlllE1_EE10hipError_tPvRmT2_T3_mT4_P12ihipStream_tbEUlmE_lEESB_NS0_8identityIvEEEESM_SP_SQ_mSR_ST_bEUlT_E_NS1_11comp_targetILNS1_3genE3ELNS1_11target_archE908ELNS1_3gpuE7ELNS1_3repE0EEENS1_30default_config_static_selectorELNS0_4arch9wavefront6targetE0EEEvT1_,"axG",@progbits,_ZN7rocprim17ROCPRIM_400000_NS6detail17trampoline_kernelINS0_14default_configENS1_25transform_config_selectorIlLb0EEEZNS1_14transform_implILb0ES3_S5_NS0_18transform_iteratorINS0_17counting_iteratorImlEEZNS1_24adjacent_difference_implIS3_Lb1ELb0EPlSB_ZN2at6native12_GLOBAL__N_124unique_dim_cuda_templateItEESt5tupleIJNSC_6TensorESH_SH_EERKSH_lbbbEUlllE1_EE10hipError_tPvRmT2_T3_mT4_P12ihipStream_tbEUlmE_lEESB_NS0_8identityIvEEEESM_SP_SQ_mSR_ST_bEUlT_E_NS1_11comp_targetILNS1_3genE3ELNS1_11target_archE908ELNS1_3gpuE7ELNS1_3repE0EEENS1_30default_config_static_selectorELNS0_4arch9wavefront6targetE0EEEvT1_,comdat
	.globl	_ZN7rocprim17ROCPRIM_400000_NS6detail17trampoline_kernelINS0_14default_configENS1_25transform_config_selectorIlLb0EEEZNS1_14transform_implILb0ES3_S5_NS0_18transform_iteratorINS0_17counting_iteratorImlEEZNS1_24adjacent_difference_implIS3_Lb1ELb0EPlSB_ZN2at6native12_GLOBAL__N_124unique_dim_cuda_templateItEESt5tupleIJNSC_6TensorESH_SH_EERKSH_lbbbEUlllE1_EE10hipError_tPvRmT2_T3_mT4_P12ihipStream_tbEUlmE_lEESB_NS0_8identityIvEEEESM_SP_SQ_mSR_ST_bEUlT_E_NS1_11comp_targetILNS1_3genE3ELNS1_11target_archE908ELNS1_3gpuE7ELNS1_3repE0EEENS1_30default_config_static_selectorELNS0_4arch9wavefront6targetE0EEEvT1_ ; -- Begin function _ZN7rocprim17ROCPRIM_400000_NS6detail17trampoline_kernelINS0_14default_configENS1_25transform_config_selectorIlLb0EEEZNS1_14transform_implILb0ES3_S5_NS0_18transform_iteratorINS0_17counting_iteratorImlEEZNS1_24adjacent_difference_implIS3_Lb1ELb0EPlSB_ZN2at6native12_GLOBAL__N_124unique_dim_cuda_templateItEESt5tupleIJNSC_6TensorESH_SH_EERKSH_lbbbEUlllE1_EE10hipError_tPvRmT2_T3_mT4_P12ihipStream_tbEUlmE_lEESB_NS0_8identityIvEEEESM_SP_SQ_mSR_ST_bEUlT_E_NS1_11comp_targetILNS1_3genE3ELNS1_11target_archE908ELNS1_3gpuE7ELNS1_3repE0EEENS1_30default_config_static_selectorELNS0_4arch9wavefront6targetE0EEEvT1_
	.p2align	8
	.type	_ZN7rocprim17ROCPRIM_400000_NS6detail17trampoline_kernelINS0_14default_configENS1_25transform_config_selectorIlLb0EEEZNS1_14transform_implILb0ES3_S5_NS0_18transform_iteratorINS0_17counting_iteratorImlEEZNS1_24adjacent_difference_implIS3_Lb1ELb0EPlSB_ZN2at6native12_GLOBAL__N_124unique_dim_cuda_templateItEESt5tupleIJNSC_6TensorESH_SH_EERKSH_lbbbEUlllE1_EE10hipError_tPvRmT2_T3_mT4_P12ihipStream_tbEUlmE_lEESB_NS0_8identityIvEEEESM_SP_SQ_mSR_ST_bEUlT_E_NS1_11comp_targetILNS1_3genE3ELNS1_11target_archE908ELNS1_3gpuE7ELNS1_3repE0EEENS1_30default_config_static_selectorELNS0_4arch9wavefront6targetE0EEEvT1_,@function
_ZN7rocprim17ROCPRIM_400000_NS6detail17trampoline_kernelINS0_14default_configENS1_25transform_config_selectorIlLb0EEEZNS1_14transform_implILb0ES3_S5_NS0_18transform_iteratorINS0_17counting_iteratorImlEEZNS1_24adjacent_difference_implIS3_Lb1ELb0EPlSB_ZN2at6native12_GLOBAL__N_124unique_dim_cuda_templateItEESt5tupleIJNSC_6TensorESH_SH_EERKSH_lbbbEUlllE1_EE10hipError_tPvRmT2_T3_mT4_P12ihipStream_tbEUlmE_lEESB_NS0_8identityIvEEEESM_SP_SQ_mSR_ST_bEUlT_E_NS1_11comp_targetILNS1_3genE3ELNS1_11target_archE908ELNS1_3gpuE7ELNS1_3repE0EEENS1_30default_config_static_selectorELNS0_4arch9wavefront6targetE0EEEvT1_: ; @_ZN7rocprim17ROCPRIM_400000_NS6detail17trampoline_kernelINS0_14default_configENS1_25transform_config_selectorIlLb0EEEZNS1_14transform_implILb0ES3_S5_NS0_18transform_iteratorINS0_17counting_iteratorImlEEZNS1_24adjacent_difference_implIS3_Lb1ELb0EPlSB_ZN2at6native12_GLOBAL__N_124unique_dim_cuda_templateItEESt5tupleIJNSC_6TensorESH_SH_EERKSH_lbbbEUlllE1_EE10hipError_tPvRmT2_T3_mT4_P12ihipStream_tbEUlmE_lEESB_NS0_8identityIvEEEESM_SP_SQ_mSR_ST_bEUlT_E_NS1_11comp_targetILNS1_3genE3ELNS1_11target_archE908ELNS1_3gpuE7ELNS1_3repE0EEENS1_30default_config_static_selectorELNS0_4arch9wavefront6targetE0EEEvT1_
; %bb.0:
	.section	.rodata,"a",@progbits
	.p2align	6, 0x0
	.amdhsa_kernel _ZN7rocprim17ROCPRIM_400000_NS6detail17trampoline_kernelINS0_14default_configENS1_25transform_config_selectorIlLb0EEEZNS1_14transform_implILb0ES3_S5_NS0_18transform_iteratorINS0_17counting_iteratorImlEEZNS1_24adjacent_difference_implIS3_Lb1ELb0EPlSB_ZN2at6native12_GLOBAL__N_124unique_dim_cuda_templateItEESt5tupleIJNSC_6TensorESH_SH_EERKSH_lbbbEUlllE1_EE10hipError_tPvRmT2_T3_mT4_P12ihipStream_tbEUlmE_lEESB_NS0_8identityIvEEEESM_SP_SQ_mSR_ST_bEUlT_E_NS1_11comp_targetILNS1_3genE3ELNS1_11target_archE908ELNS1_3gpuE7ELNS1_3repE0EEENS1_30default_config_static_selectorELNS0_4arch9wavefront6targetE0EEEvT1_
		.amdhsa_group_segment_fixed_size 0
		.amdhsa_private_segment_fixed_size 0
		.amdhsa_kernarg_size 56
		.amdhsa_user_sgpr_count 2
		.amdhsa_user_sgpr_dispatch_ptr 0
		.amdhsa_user_sgpr_queue_ptr 0
		.amdhsa_user_sgpr_kernarg_segment_ptr 1
		.amdhsa_user_sgpr_dispatch_id 0
		.amdhsa_user_sgpr_kernarg_preload_length 0
		.amdhsa_user_sgpr_kernarg_preload_offset 0
		.amdhsa_user_sgpr_private_segment_size 0
		.amdhsa_wavefront_size32 1
		.amdhsa_uses_dynamic_stack 0
		.amdhsa_enable_private_segment 0
		.amdhsa_system_sgpr_workgroup_id_x 1
		.amdhsa_system_sgpr_workgroup_id_y 0
		.amdhsa_system_sgpr_workgroup_id_z 0
		.amdhsa_system_sgpr_workgroup_info 0
		.amdhsa_system_vgpr_workitem_id 0
		.amdhsa_next_free_vgpr 1
		.amdhsa_next_free_sgpr 1
		.amdhsa_named_barrier_count 0
		.amdhsa_reserve_vcc 0
		.amdhsa_float_round_mode_32 0
		.amdhsa_float_round_mode_16_64 0
		.amdhsa_float_denorm_mode_32 3
		.amdhsa_float_denorm_mode_16_64 3
		.amdhsa_fp16_overflow 0
		.amdhsa_memory_ordered 1
		.amdhsa_forward_progress 1
		.amdhsa_inst_pref_size 0
		.amdhsa_round_robin_scheduling 0
		.amdhsa_exception_fp_ieee_invalid_op 0
		.amdhsa_exception_fp_denorm_src 0
		.amdhsa_exception_fp_ieee_div_zero 0
		.amdhsa_exception_fp_ieee_overflow 0
		.amdhsa_exception_fp_ieee_underflow 0
		.amdhsa_exception_fp_ieee_inexact 0
		.amdhsa_exception_int_div_zero 0
	.end_amdhsa_kernel
	.section	.text._ZN7rocprim17ROCPRIM_400000_NS6detail17trampoline_kernelINS0_14default_configENS1_25transform_config_selectorIlLb0EEEZNS1_14transform_implILb0ES3_S5_NS0_18transform_iteratorINS0_17counting_iteratorImlEEZNS1_24adjacent_difference_implIS3_Lb1ELb0EPlSB_ZN2at6native12_GLOBAL__N_124unique_dim_cuda_templateItEESt5tupleIJNSC_6TensorESH_SH_EERKSH_lbbbEUlllE1_EE10hipError_tPvRmT2_T3_mT4_P12ihipStream_tbEUlmE_lEESB_NS0_8identityIvEEEESM_SP_SQ_mSR_ST_bEUlT_E_NS1_11comp_targetILNS1_3genE3ELNS1_11target_archE908ELNS1_3gpuE7ELNS1_3repE0EEENS1_30default_config_static_selectorELNS0_4arch9wavefront6targetE0EEEvT1_,"axG",@progbits,_ZN7rocprim17ROCPRIM_400000_NS6detail17trampoline_kernelINS0_14default_configENS1_25transform_config_selectorIlLb0EEEZNS1_14transform_implILb0ES3_S5_NS0_18transform_iteratorINS0_17counting_iteratorImlEEZNS1_24adjacent_difference_implIS3_Lb1ELb0EPlSB_ZN2at6native12_GLOBAL__N_124unique_dim_cuda_templateItEESt5tupleIJNSC_6TensorESH_SH_EERKSH_lbbbEUlllE1_EE10hipError_tPvRmT2_T3_mT4_P12ihipStream_tbEUlmE_lEESB_NS0_8identityIvEEEESM_SP_SQ_mSR_ST_bEUlT_E_NS1_11comp_targetILNS1_3genE3ELNS1_11target_archE908ELNS1_3gpuE7ELNS1_3repE0EEENS1_30default_config_static_selectorELNS0_4arch9wavefront6targetE0EEEvT1_,comdat
.Lfunc_end1405:
	.size	_ZN7rocprim17ROCPRIM_400000_NS6detail17trampoline_kernelINS0_14default_configENS1_25transform_config_selectorIlLb0EEEZNS1_14transform_implILb0ES3_S5_NS0_18transform_iteratorINS0_17counting_iteratorImlEEZNS1_24adjacent_difference_implIS3_Lb1ELb0EPlSB_ZN2at6native12_GLOBAL__N_124unique_dim_cuda_templateItEESt5tupleIJNSC_6TensorESH_SH_EERKSH_lbbbEUlllE1_EE10hipError_tPvRmT2_T3_mT4_P12ihipStream_tbEUlmE_lEESB_NS0_8identityIvEEEESM_SP_SQ_mSR_ST_bEUlT_E_NS1_11comp_targetILNS1_3genE3ELNS1_11target_archE908ELNS1_3gpuE7ELNS1_3repE0EEENS1_30default_config_static_selectorELNS0_4arch9wavefront6targetE0EEEvT1_, .Lfunc_end1405-_ZN7rocprim17ROCPRIM_400000_NS6detail17trampoline_kernelINS0_14default_configENS1_25transform_config_selectorIlLb0EEEZNS1_14transform_implILb0ES3_S5_NS0_18transform_iteratorINS0_17counting_iteratorImlEEZNS1_24adjacent_difference_implIS3_Lb1ELb0EPlSB_ZN2at6native12_GLOBAL__N_124unique_dim_cuda_templateItEESt5tupleIJNSC_6TensorESH_SH_EERKSH_lbbbEUlllE1_EE10hipError_tPvRmT2_T3_mT4_P12ihipStream_tbEUlmE_lEESB_NS0_8identityIvEEEESM_SP_SQ_mSR_ST_bEUlT_E_NS1_11comp_targetILNS1_3genE3ELNS1_11target_archE908ELNS1_3gpuE7ELNS1_3repE0EEENS1_30default_config_static_selectorELNS0_4arch9wavefront6targetE0EEEvT1_
                                        ; -- End function
	.set _ZN7rocprim17ROCPRIM_400000_NS6detail17trampoline_kernelINS0_14default_configENS1_25transform_config_selectorIlLb0EEEZNS1_14transform_implILb0ES3_S5_NS0_18transform_iteratorINS0_17counting_iteratorImlEEZNS1_24adjacent_difference_implIS3_Lb1ELb0EPlSB_ZN2at6native12_GLOBAL__N_124unique_dim_cuda_templateItEESt5tupleIJNSC_6TensorESH_SH_EERKSH_lbbbEUlllE1_EE10hipError_tPvRmT2_T3_mT4_P12ihipStream_tbEUlmE_lEESB_NS0_8identityIvEEEESM_SP_SQ_mSR_ST_bEUlT_E_NS1_11comp_targetILNS1_3genE3ELNS1_11target_archE908ELNS1_3gpuE7ELNS1_3repE0EEENS1_30default_config_static_selectorELNS0_4arch9wavefront6targetE0EEEvT1_.num_vgpr, 0
	.set _ZN7rocprim17ROCPRIM_400000_NS6detail17trampoline_kernelINS0_14default_configENS1_25transform_config_selectorIlLb0EEEZNS1_14transform_implILb0ES3_S5_NS0_18transform_iteratorINS0_17counting_iteratorImlEEZNS1_24adjacent_difference_implIS3_Lb1ELb0EPlSB_ZN2at6native12_GLOBAL__N_124unique_dim_cuda_templateItEESt5tupleIJNSC_6TensorESH_SH_EERKSH_lbbbEUlllE1_EE10hipError_tPvRmT2_T3_mT4_P12ihipStream_tbEUlmE_lEESB_NS0_8identityIvEEEESM_SP_SQ_mSR_ST_bEUlT_E_NS1_11comp_targetILNS1_3genE3ELNS1_11target_archE908ELNS1_3gpuE7ELNS1_3repE0EEENS1_30default_config_static_selectorELNS0_4arch9wavefront6targetE0EEEvT1_.num_agpr, 0
	.set _ZN7rocprim17ROCPRIM_400000_NS6detail17trampoline_kernelINS0_14default_configENS1_25transform_config_selectorIlLb0EEEZNS1_14transform_implILb0ES3_S5_NS0_18transform_iteratorINS0_17counting_iteratorImlEEZNS1_24adjacent_difference_implIS3_Lb1ELb0EPlSB_ZN2at6native12_GLOBAL__N_124unique_dim_cuda_templateItEESt5tupleIJNSC_6TensorESH_SH_EERKSH_lbbbEUlllE1_EE10hipError_tPvRmT2_T3_mT4_P12ihipStream_tbEUlmE_lEESB_NS0_8identityIvEEEESM_SP_SQ_mSR_ST_bEUlT_E_NS1_11comp_targetILNS1_3genE3ELNS1_11target_archE908ELNS1_3gpuE7ELNS1_3repE0EEENS1_30default_config_static_selectorELNS0_4arch9wavefront6targetE0EEEvT1_.numbered_sgpr, 0
	.set _ZN7rocprim17ROCPRIM_400000_NS6detail17trampoline_kernelINS0_14default_configENS1_25transform_config_selectorIlLb0EEEZNS1_14transform_implILb0ES3_S5_NS0_18transform_iteratorINS0_17counting_iteratorImlEEZNS1_24adjacent_difference_implIS3_Lb1ELb0EPlSB_ZN2at6native12_GLOBAL__N_124unique_dim_cuda_templateItEESt5tupleIJNSC_6TensorESH_SH_EERKSH_lbbbEUlllE1_EE10hipError_tPvRmT2_T3_mT4_P12ihipStream_tbEUlmE_lEESB_NS0_8identityIvEEEESM_SP_SQ_mSR_ST_bEUlT_E_NS1_11comp_targetILNS1_3genE3ELNS1_11target_archE908ELNS1_3gpuE7ELNS1_3repE0EEENS1_30default_config_static_selectorELNS0_4arch9wavefront6targetE0EEEvT1_.num_named_barrier, 0
	.set _ZN7rocprim17ROCPRIM_400000_NS6detail17trampoline_kernelINS0_14default_configENS1_25transform_config_selectorIlLb0EEEZNS1_14transform_implILb0ES3_S5_NS0_18transform_iteratorINS0_17counting_iteratorImlEEZNS1_24adjacent_difference_implIS3_Lb1ELb0EPlSB_ZN2at6native12_GLOBAL__N_124unique_dim_cuda_templateItEESt5tupleIJNSC_6TensorESH_SH_EERKSH_lbbbEUlllE1_EE10hipError_tPvRmT2_T3_mT4_P12ihipStream_tbEUlmE_lEESB_NS0_8identityIvEEEESM_SP_SQ_mSR_ST_bEUlT_E_NS1_11comp_targetILNS1_3genE3ELNS1_11target_archE908ELNS1_3gpuE7ELNS1_3repE0EEENS1_30default_config_static_selectorELNS0_4arch9wavefront6targetE0EEEvT1_.private_seg_size, 0
	.set _ZN7rocprim17ROCPRIM_400000_NS6detail17trampoline_kernelINS0_14default_configENS1_25transform_config_selectorIlLb0EEEZNS1_14transform_implILb0ES3_S5_NS0_18transform_iteratorINS0_17counting_iteratorImlEEZNS1_24adjacent_difference_implIS3_Lb1ELb0EPlSB_ZN2at6native12_GLOBAL__N_124unique_dim_cuda_templateItEESt5tupleIJNSC_6TensorESH_SH_EERKSH_lbbbEUlllE1_EE10hipError_tPvRmT2_T3_mT4_P12ihipStream_tbEUlmE_lEESB_NS0_8identityIvEEEESM_SP_SQ_mSR_ST_bEUlT_E_NS1_11comp_targetILNS1_3genE3ELNS1_11target_archE908ELNS1_3gpuE7ELNS1_3repE0EEENS1_30default_config_static_selectorELNS0_4arch9wavefront6targetE0EEEvT1_.uses_vcc, 0
	.set _ZN7rocprim17ROCPRIM_400000_NS6detail17trampoline_kernelINS0_14default_configENS1_25transform_config_selectorIlLb0EEEZNS1_14transform_implILb0ES3_S5_NS0_18transform_iteratorINS0_17counting_iteratorImlEEZNS1_24adjacent_difference_implIS3_Lb1ELb0EPlSB_ZN2at6native12_GLOBAL__N_124unique_dim_cuda_templateItEESt5tupleIJNSC_6TensorESH_SH_EERKSH_lbbbEUlllE1_EE10hipError_tPvRmT2_T3_mT4_P12ihipStream_tbEUlmE_lEESB_NS0_8identityIvEEEESM_SP_SQ_mSR_ST_bEUlT_E_NS1_11comp_targetILNS1_3genE3ELNS1_11target_archE908ELNS1_3gpuE7ELNS1_3repE0EEENS1_30default_config_static_selectorELNS0_4arch9wavefront6targetE0EEEvT1_.uses_flat_scratch, 0
	.set _ZN7rocprim17ROCPRIM_400000_NS6detail17trampoline_kernelINS0_14default_configENS1_25transform_config_selectorIlLb0EEEZNS1_14transform_implILb0ES3_S5_NS0_18transform_iteratorINS0_17counting_iteratorImlEEZNS1_24adjacent_difference_implIS3_Lb1ELb0EPlSB_ZN2at6native12_GLOBAL__N_124unique_dim_cuda_templateItEESt5tupleIJNSC_6TensorESH_SH_EERKSH_lbbbEUlllE1_EE10hipError_tPvRmT2_T3_mT4_P12ihipStream_tbEUlmE_lEESB_NS0_8identityIvEEEESM_SP_SQ_mSR_ST_bEUlT_E_NS1_11comp_targetILNS1_3genE3ELNS1_11target_archE908ELNS1_3gpuE7ELNS1_3repE0EEENS1_30default_config_static_selectorELNS0_4arch9wavefront6targetE0EEEvT1_.has_dyn_sized_stack, 0
	.set _ZN7rocprim17ROCPRIM_400000_NS6detail17trampoline_kernelINS0_14default_configENS1_25transform_config_selectorIlLb0EEEZNS1_14transform_implILb0ES3_S5_NS0_18transform_iteratorINS0_17counting_iteratorImlEEZNS1_24adjacent_difference_implIS3_Lb1ELb0EPlSB_ZN2at6native12_GLOBAL__N_124unique_dim_cuda_templateItEESt5tupleIJNSC_6TensorESH_SH_EERKSH_lbbbEUlllE1_EE10hipError_tPvRmT2_T3_mT4_P12ihipStream_tbEUlmE_lEESB_NS0_8identityIvEEEESM_SP_SQ_mSR_ST_bEUlT_E_NS1_11comp_targetILNS1_3genE3ELNS1_11target_archE908ELNS1_3gpuE7ELNS1_3repE0EEENS1_30default_config_static_selectorELNS0_4arch9wavefront6targetE0EEEvT1_.has_recursion, 0
	.set _ZN7rocprim17ROCPRIM_400000_NS6detail17trampoline_kernelINS0_14default_configENS1_25transform_config_selectorIlLb0EEEZNS1_14transform_implILb0ES3_S5_NS0_18transform_iteratorINS0_17counting_iteratorImlEEZNS1_24adjacent_difference_implIS3_Lb1ELb0EPlSB_ZN2at6native12_GLOBAL__N_124unique_dim_cuda_templateItEESt5tupleIJNSC_6TensorESH_SH_EERKSH_lbbbEUlllE1_EE10hipError_tPvRmT2_T3_mT4_P12ihipStream_tbEUlmE_lEESB_NS0_8identityIvEEEESM_SP_SQ_mSR_ST_bEUlT_E_NS1_11comp_targetILNS1_3genE3ELNS1_11target_archE908ELNS1_3gpuE7ELNS1_3repE0EEENS1_30default_config_static_selectorELNS0_4arch9wavefront6targetE0EEEvT1_.has_indirect_call, 0
	.section	.AMDGPU.csdata,"",@progbits
; Kernel info:
; codeLenInByte = 0
; TotalNumSgprs: 0
; NumVgprs: 0
; ScratchSize: 0
; MemoryBound: 0
; FloatMode: 240
; IeeeMode: 1
; LDSByteSize: 0 bytes/workgroup (compile time only)
; SGPRBlocks: 0
; VGPRBlocks: 0
; NumSGPRsForWavesPerEU: 1
; NumVGPRsForWavesPerEU: 1
; NamedBarCnt: 0
; Occupancy: 16
; WaveLimiterHint : 0
; COMPUTE_PGM_RSRC2:SCRATCH_EN: 0
; COMPUTE_PGM_RSRC2:USER_SGPR: 2
; COMPUTE_PGM_RSRC2:TRAP_HANDLER: 0
; COMPUTE_PGM_RSRC2:TGID_X_EN: 1
; COMPUTE_PGM_RSRC2:TGID_Y_EN: 0
; COMPUTE_PGM_RSRC2:TGID_Z_EN: 0
; COMPUTE_PGM_RSRC2:TIDIG_COMP_CNT: 0
	.section	.text._ZN7rocprim17ROCPRIM_400000_NS6detail17trampoline_kernelINS0_14default_configENS1_25transform_config_selectorIlLb0EEEZNS1_14transform_implILb0ES3_S5_NS0_18transform_iteratorINS0_17counting_iteratorImlEEZNS1_24adjacent_difference_implIS3_Lb1ELb0EPlSB_ZN2at6native12_GLOBAL__N_124unique_dim_cuda_templateItEESt5tupleIJNSC_6TensorESH_SH_EERKSH_lbbbEUlllE1_EE10hipError_tPvRmT2_T3_mT4_P12ihipStream_tbEUlmE_lEESB_NS0_8identityIvEEEESM_SP_SQ_mSR_ST_bEUlT_E_NS1_11comp_targetILNS1_3genE2ELNS1_11target_archE906ELNS1_3gpuE6ELNS1_3repE0EEENS1_30default_config_static_selectorELNS0_4arch9wavefront6targetE0EEEvT1_,"axG",@progbits,_ZN7rocprim17ROCPRIM_400000_NS6detail17trampoline_kernelINS0_14default_configENS1_25transform_config_selectorIlLb0EEEZNS1_14transform_implILb0ES3_S5_NS0_18transform_iteratorINS0_17counting_iteratorImlEEZNS1_24adjacent_difference_implIS3_Lb1ELb0EPlSB_ZN2at6native12_GLOBAL__N_124unique_dim_cuda_templateItEESt5tupleIJNSC_6TensorESH_SH_EERKSH_lbbbEUlllE1_EE10hipError_tPvRmT2_T3_mT4_P12ihipStream_tbEUlmE_lEESB_NS0_8identityIvEEEESM_SP_SQ_mSR_ST_bEUlT_E_NS1_11comp_targetILNS1_3genE2ELNS1_11target_archE906ELNS1_3gpuE6ELNS1_3repE0EEENS1_30default_config_static_selectorELNS0_4arch9wavefront6targetE0EEEvT1_,comdat
	.globl	_ZN7rocprim17ROCPRIM_400000_NS6detail17trampoline_kernelINS0_14default_configENS1_25transform_config_selectorIlLb0EEEZNS1_14transform_implILb0ES3_S5_NS0_18transform_iteratorINS0_17counting_iteratorImlEEZNS1_24adjacent_difference_implIS3_Lb1ELb0EPlSB_ZN2at6native12_GLOBAL__N_124unique_dim_cuda_templateItEESt5tupleIJNSC_6TensorESH_SH_EERKSH_lbbbEUlllE1_EE10hipError_tPvRmT2_T3_mT4_P12ihipStream_tbEUlmE_lEESB_NS0_8identityIvEEEESM_SP_SQ_mSR_ST_bEUlT_E_NS1_11comp_targetILNS1_3genE2ELNS1_11target_archE906ELNS1_3gpuE6ELNS1_3repE0EEENS1_30default_config_static_selectorELNS0_4arch9wavefront6targetE0EEEvT1_ ; -- Begin function _ZN7rocprim17ROCPRIM_400000_NS6detail17trampoline_kernelINS0_14default_configENS1_25transform_config_selectorIlLb0EEEZNS1_14transform_implILb0ES3_S5_NS0_18transform_iteratorINS0_17counting_iteratorImlEEZNS1_24adjacent_difference_implIS3_Lb1ELb0EPlSB_ZN2at6native12_GLOBAL__N_124unique_dim_cuda_templateItEESt5tupleIJNSC_6TensorESH_SH_EERKSH_lbbbEUlllE1_EE10hipError_tPvRmT2_T3_mT4_P12ihipStream_tbEUlmE_lEESB_NS0_8identityIvEEEESM_SP_SQ_mSR_ST_bEUlT_E_NS1_11comp_targetILNS1_3genE2ELNS1_11target_archE906ELNS1_3gpuE6ELNS1_3repE0EEENS1_30default_config_static_selectorELNS0_4arch9wavefront6targetE0EEEvT1_
	.p2align	8
	.type	_ZN7rocprim17ROCPRIM_400000_NS6detail17trampoline_kernelINS0_14default_configENS1_25transform_config_selectorIlLb0EEEZNS1_14transform_implILb0ES3_S5_NS0_18transform_iteratorINS0_17counting_iteratorImlEEZNS1_24adjacent_difference_implIS3_Lb1ELb0EPlSB_ZN2at6native12_GLOBAL__N_124unique_dim_cuda_templateItEESt5tupleIJNSC_6TensorESH_SH_EERKSH_lbbbEUlllE1_EE10hipError_tPvRmT2_T3_mT4_P12ihipStream_tbEUlmE_lEESB_NS0_8identityIvEEEESM_SP_SQ_mSR_ST_bEUlT_E_NS1_11comp_targetILNS1_3genE2ELNS1_11target_archE906ELNS1_3gpuE6ELNS1_3repE0EEENS1_30default_config_static_selectorELNS0_4arch9wavefront6targetE0EEEvT1_,@function
_ZN7rocprim17ROCPRIM_400000_NS6detail17trampoline_kernelINS0_14default_configENS1_25transform_config_selectorIlLb0EEEZNS1_14transform_implILb0ES3_S5_NS0_18transform_iteratorINS0_17counting_iteratorImlEEZNS1_24adjacent_difference_implIS3_Lb1ELb0EPlSB_ZN2at6native12_GLOBAL__N_124unique_dim_cuda_templateItEESt5tupleIJNSC_6TensorESH_SH_EERKSH_lbbbEUlllE1_EE10hipError_tPvRmT2_T3_mT4_P12ihipStream_tbEUlmE_lEESB_NS0_8identityIvEEEESM_SP_SQ_mSR_ST_bEUlT_E_NS1_11comp_targetILNS1_3genE2ELNS1_11target_archE906ELNS1_3gpuE6ELNS1_3repE0EEENS1_30default_config_static_selectorELNS0_4arch9wavefront6targetE0EEEvT1_: ; @_ZN7rocprim17ROCPRIM_400000_NS6detail17trampoline_kernelINS0_14default_configENS1_25transform_config_selectorIlLb0EEEZNS1_14transform_implILb0ES3_S5_NS0_18transform_iteratorINS0_17counting_iteratorImlEEZNS1_24adjacent_difference_implIS3_Lb1ELb0EPlSB_ZN2at6native12_GLOBAL__N_124unique_dim_cuda_templateItEESt5tupleIJNSC_6TensorESH_SH_EERKSH_lbbbEUlllE1_EE10hipError_tPvRmT2_T3_mT4_P12ihipStream_tbEUlmE_lEESB_NS0_8identityIvEEEESM_SP_SQ_mSR_ST_bEUlT_E_NS1_11comp_targetILNS1_3genE2ELNS1_11target_archE906ELNS1_3gpuE6ELNS1_3repE0EEENS1_30default_config_static_selectorELNS0_4arch9wavefront6targetE0EEEvT1_
; %bb.0:
	.section	.rodata,"a",@progbits
	.p2align	6, 0x0
	.amdhsa_kernel _ZN7rocprim17ROCPRIM_400000_NS6detail17trampoline_kernelINS0_14default_configENS1_25transform_config_selectorIlLb0EEEZNS1_14transform_implILb0ES3_S5_NS0_18transform_iteratorINS0_17counting_iteratorImlEEZNS1_24adjacent_difference_implIS3_Lb1ELb0EPlSB_ZN2at6native12_GLOBAL__N_124unique_dim_cuda_templateItEESt5tupleIJNSC_6TensorESH_SH_EERKSH_lbbbEUlllE1_EE10hipError_tPvRmT2_T3_mT4_P12ihipStream_tbEUlmE_lEESB_NS0_8identityIvEEEESM_SP_SQ_mSR_ST_bEUlT_E_NS1_11comp_targetILNS1_3genE2ELNS1_11target_archE906ELNS1_3gpuE6ELNS1_3repE0EEENS1_30default_config_static_selectorELNS0_4arch9wavefront6targetE0EEEvT1_
		.amdhsa_group_segment_fixed_size 0
		.amdhsa_private_segment_fixed_size 0
		.amdhsa_kernarg_size 56
		.amdhsa_user_sgpr_count 2
		.amdhsa_user_sgpr_dispatch_ptr 0
		.amdhsa_user_sgpr_queue_ptr 0
		.amdhsa_user_sgpr_kernarg_segment_ptr 1
		.amdhsa_user_sgpr_dispatch_id 0
		.amdhsa_user_sgpr_kernarg_preload_length 0
		.amdhsa_user_sgpr_kernarg_preload_offset 0
		.amdhsa_user_sgpr_private_segment_size 0
		.amdhsa_wavefront_size32 1
		.amdhsa_uses_dynamic_stack 0
		.amdhsa_enable_private_segment 0
		.amdhsa_system_sgpr_workgroup_id_x 1
		.amdhsa_system_sgpr_workgroup_id_y 0
		.amdhsa_system_sgpr_workgroup_id_z 0
		.amdhsa_system_sgpr_workgroup_info 0
		.amdhsa_system_vgpr_workitem_id 0
		.amdhsa_next_free_vgpr 1
		.amdhsa_next_free_sgpr 1
		.amdhsa_named_barrier_count 0
		.amdhsa_reserve_vcc 0
		.amdhsa_float_round_mode_32 0
		.amdhsa_float_round_mode_16_64 0
		.amdhsa_float_denorm_mode_32 3
		.amdhsa_float_denorm_mode_16_64 3
		.amdhsa_fp16_overflow 0
		.amdhsa_memory_ordered 1
		.amdhsa_forward_progress 1
		.amdhsa_inst_pref_size 0
		.amdhsa_round_robin_scheduling 0
		.amdhsa_exception_fp_ieee_invalid_op 0
		.amdhsa_exception_fp_denorm_src 0
		.amdhsa_exception_fp_ieee_div_zero 0
		.amdhsa_exception_fp_ieee_overflow 0
		.amdhsa_exception_fp_ieee_underflow 0
		.amdhsa_exception_fp_ieee_inexact 0
		.amdhsa_exception_int_div_zero 0
	.end_amdhsa_kernel
	.section	.text._ZN7rocprim17ROCPRIM_400000_NS6detail17trampoline_kernelINS0_14default_configENS1_25transform_config_selectorIlLb0EEEZNS1_14transform_implILb0ES3_S5_NS0_18transform_iteratorINS0_17counting_iteratorImlEEZNS1_24adjacent_difference_implIS3_Lb1ELb0EPlSB_ZN2at6native12_GLOBAL__N_124unique_dim_cuda_templateItEESt5tupleIJNSC_6TensorESH_SH_EERKSH_lbbbEUlllE1_EE10hipError_tPvRmT2_T3_mT4_P12ihipStream_tbEUlmE_lEESB_NS0_8identityIvEEEESM_SP_SQ_mSR_ST_bEUlT_E_NS1_11comp_targetILNS1_3genE2ELNS1_11target_archE906ELNS1_3gpuE6ELNS1_3repE0EEENS1_30default_config_static_selectorELNS0_4arch9wavefront6targetE0EEEvT1_,"axG",@progbits,_ZN7rocprim17ROCPRIM_400000_NS6detail17trampoline_kernelINS0_14default_configENS1_25transform_config_selectorIlLb0EEEZNS1_14transform_implILb0ES3_S5_NS0_18transform_iteratorINS0_17counting_iteratorImlEEZNS1_24adjacent_difference_implIS3_Lb1ELb0EPlSB_ZN2at6native12_GLOBAL__N_124unique_dim_cuda_templateItEESt5tupleIJNSC_6TensorESH_SH_EERKSH_lbbbEUlllE1_EE10hipError_tPvRmT2_T3_mT4_P12ihipStream_tbEUlmE_lEESB_NS0_8identityIvEEEESM_SP_SQ_mSR_ST_bEUlT_E_NS1_11comp_targetILNS1_3genE2ELNS1_11target_archE906ELNS1_3gpuE6ELNS1_3repE0EEENS1_30default_config_static_selectorELNS0_4arch9wavefront6targetE0EEEvT1_,comdat
.Lfunc_end1406:
	.size	_ZN7rocprim17ROCPRIM_400000_NS6detail17trampoline_kernelINS0_14default_configENS1_25transform_config_selectorIlLb0EEEZNS1_14transform_implILb0ES3_S5_NS0_18transform_iteratorINS0_17counting_iteratorImlEEZNS1_24adjacent_difference_implIS3_Lb1ELb0EPlSB_ZN2at6native12_GLOBAL__N_124unique_dim_cuda_templateItEESt5tupleIJNSC_6TensorESH_SH_EERKSH_lbbbEUlllE1_EE10hipError_tPvRmT2_T3_mT4_P12ihipStream_tbEUlmE_lEESB_NS0_8identityIvEEEESM_SP_SQ_mSR_ST_bEUlT_E_NS1_11comp_targetILNS1_3genE2ELNS1_11target_archE906ELNS1_3gpuE6ELNS1_3repE0EEENS1_30default_config_static_selectorELNS0_4arch9wavefront6targetE0EEEvT1_, .Lfunc_end1406-_ZN7rocprim17ROCPRIM_400000_NS6detail17trampoline_kernelINS0_14default_configENS1_25transform_config_selectorIlLb0EEEZNS1_14transform_implILb0ES3_S5_NS0_18transform_iteratorINS0_17counting_iteratorImlEEZNS1_24adjacent_difference_implIS3_Lb1ELb0EPlSB_ZN2at6native12_GLOBAL__N_124unique_dim_cuda_templateItEESt5tupleIJNSC_6TensorESH_SH_EERKSH_lbbbEUlllE1_EE10hipError_tPvRmT2_T3_mT4_P12ihipStream_tbEUlmE_lEESB_NS0_8identityIvEEEESM_SP_SQ_mSR_ST_bEUlT_E_NS1_11comp_targetILNS1_3genE2ELNS1_11target_archE906ELNS1_3gpuE6ELNS1_3repE0EEENS1_30default_config_static_selectorELNS0_4arch9wavefront6targetE0EEEvT1_
                                        ; -- End function
	.set _ZN7rocprim17ROCPRIM_400000_NS6detail17trampoline_kernelINS0_14default_configENS1_25transform_config_selectorIlLb0EEEZNS1_14transform_implILb0ES3_S5_NS0_18transform_iteratorINS0_17counting_iteratorImlEEZNS1_24adjacent_difference_implIS3_Lb1ELb0EPlSB_ZN2at6native12_GLOBAL__N_124unique_dim_cuda_templateItEESt5tupleIJNSC_6TensorESH_SH_EERKSH_lbbbEUlllE1_EE10hipError_tPvRmT2_T3_mT4_P12ihipStream_tbEUlmE_lEESB_NS0_8identityIvEEEESM_SP_SQ_mSR_ST_bEUlT_E_NS1_11comp_targetILNS1_3genE2ELNS1_11target_archE906ELNS1_3gpuE6ELNS1_3repE0EEENS1_30default_config_static_selectorELNS0_4arch9wavefront6targetE0EEEvT1_.num_vgpr, 0
	.set _ZN7rocprim17ROCPRIM_400000_NS6detail17trampoline_kernelINS0_14default_configENS1_25transform_config_selectorIlLb0EEEZNS1_14transform_implILb0ES3_S5_NS0_18transform_iteratorINS0_17counting_iteratorImlEEZNS1_24adjacent_difference_implIS3_Lb1ELb0EPlSB_ZN2at6native12_GLOBAL__N_124unique_dim_cuda_templateItEESt5tupleIJNSC_6TensorESH_SH_EERKSH_lbbbEUlllE1_EE10hipError_tPvRmT2_T3_mT4_P12ihipStream_tbEUlmE_lEESB_NS0_8identityIvEEEESM_SP_SQ_mSR_ST_bEUlT_E_NS1_11comp_targetILNS1_3genE2ELNS1_11target_archE906ELNS1_3gpuE6ELNS1_3repE0EEENS1_30default_config_static_selectorELNS0_4arch9wavefront6targetE0EEEvT1_.num_agpr, 0
	.set _ZN7rocprim17ROCPRIM_400000_NS6detail17trampoline_kernelINS0_14default_configENS1_25transform_config_selectorIlLb0EEEZNS1_14transform_implILb0ES3_S5_NS0_18transform_iteratorINS0_17counting_iteratorImlEEZNS1_24adjacent_difference_implIS3_Lb1ELb0EPlSB_ZN2at6native12_GLOBAL__N_124unique_dim_cuda_templateItEESt5tupleIJNSC_6TensorESH_SH_EERKSH_lbbbEUlllE1_EE10hipError_tPvRmT2_T3_mT4_P12ihipStream_tbEUlmE_lEESB_NS0_8identityIvEEEESM_SP_SQ_mSR_ST_bEUlT_E_NS1_11comp_targetILNS1_3genE2ELNS1_11target_archE906ELNS1_3gpuE6ELNS1_3repE0EEENS1_30default_config_static_selectorELNS0_4arch9wavefront6targetE0EEEvT1_.numbered_sgpr, 0
	.set _ZN7rocprim17ROCPRIM_400000_NS6detail17trampoline_kernelINS0_14default_configENS1_25transform_config_selectorIlLb0EEEZNS1_14transform_implILb0ES3_S5_NS0_18transform_iteratorINS0_17counting_iteratorImlEEZNS1_24adjacent_difference_implIS3_Lb1ELb0EPlSB_ZN2at6native12_GLOBAL__N_124unique_dim_cuda_templateItEESt5tupleIJNSC_6TensorESH_SH_EERKSH_lbbbEUlllE1_EE10hipError_tPvRmT2_T3_mT4_P12ihipStream_tbEUlmE_lEESB_NS0_8identityIvEEEESM_SP_SQ_mSR_ST_bEUlT_E_NS1_11comp_targetILNS1_3genE2ELNS1_11target_archE906ELNS1_3gpuE6ELNS1_3repE0EEENS1_30default_config_static_selectorELNS0_4arch9wavefront6targetE0EEEvT1_.num_named_barrier, 0
	.set _ZN7rocprim17ROCPRIM_400000_NS6detail17trampoline_kernelINS0_14default_configENS1_25transform_config_selectorIlLb0EEEZNS1_14transform_implILb0ES3_S5_NS0_18transform_iteratorINS0_17counting_iteratorImlEEZNS1_24adjacent_difference_implIS3_Lb1ELb0EPlSB_ZN2at6native12_GLOBAL__N_124unique_dim_cuda_templateItEESt5tupleIJNSC_6TensorESH_SH_EERKSH_lbbbEUlllE1_EE10hipError_tPvRmT2_T3_mT4_P12ihipStream_tbEUlmE_lEESB_NS0_8identityIvEEEESM_SP_SQ_mSR_ST_bEUlT_E_NS1_11comp_targetILNS1_3genE2ELNS1_11target_archE906ELNS1_3gpuE6ELNS1_3repE0EEENS1_30default_config_static_selectorELNS0_4arch9wavefront6targetE0EEEvT1_.private_seg_size, 0
	.set _ZN7rocprim17ROCPRIM_400000_NS6detail17trampoline_kernelINS0_14default_configENS1_25transform_config_selectorIlLb0EEEZNS1_14transform_implILb0ES3_S5_NS0_18transform_iteratorINS0_17counting_iteratorImlEEZNS1_24adjacent_difference_implIS3_Lb1ELb0EPlSB_ZN2at6native12_GLOBAL__N_124unique_dim_cuda_templateItEESt5tupleIJNSC_6TensorESH_SH_EERKSH_lbbbEUlllE1_EE10hipError_tPvRmT2_T3_mT4_P12ihipStream_tbEUlmE_lEESB_NS0_8identityIvEEEESM_SP_SQ_mSR_ST_bEUlT_E_NS1_11comp_targetILNS1_3genE2ELNS1_11target_archE906ELNS1_3gpuE6ELNS1_3repE0EEENS1_30default_config_static_selectorELNS0_4arch9wavefront6targetE0EEEvT1_.uses_vcc, 0
	.set _ZN7rocprim17ROCPRIM_400000_NS6detail17trampoline_kernelINS0_14default_configENS1_25transform_config_selectorIlLb0EEEZNS1_14transform_implILb0ES3_S5_NS0_18transform_iteratorINS0_17counting_iteratorImlEEZNS1_24adjacent_difference_implIS3_Lb1ELb0EPlSB_ZN2at6native12_GLOBAL__N_124unique_dim_cuda_templateItEESt5tupleIJNSC_6TensorESH_SH_EERKSH_lbbbEUlllE1_EE10hipError_tPvRmT2_T3_mT4_P12ihipStream_tbEUlmE_lEESB_NS0_8identityIvEEEESM_SP_SQ_mSR_ST_bEUlT_E_NS1_11comp_targetILNS1_3genE2ELNS1_11target_archE906ELNS1_3gpuE6ELNS1_3repE0EEENS1_30default_config_static_selectorELNS0_4arch9wavefront6targetE0EEEvT1_.uses_flat_scratch, 0
	.set _ZN7rocprim17ROCPRIM_400000_NS6detail17trampoline_kernelINS0_14default_configENS1_25transform_config_selectorIlLb0EEEZNS1_14transform_implILb0ES3_S5_NS0_18transform_iteratorINS0_17counting_iteratorImlEEZNS1_24adjacent_difference_implIS3_Lb1ELb0EPlSB_ZN2at6native12_GLOBAL__N_124unique_dim_cuda_templateItEESt5tupleIJNSC_6TensorESH_SH_EERKSH_lbbbEUlllE1_EE10hipError_tPvRmT2_T3_mT4_P12ihipStream_tbEUlmE_lEESB_NS0_8identityIvEEEESM_SP_SQ_mSR_ST_bEUlT_E_NS1_11comp_targetILNS1_3genE2ELNS1_11target_archE906ELNS1_3gpuE6ELNS1_3repE0EEENS1_30default_config_static_selectorELNS0_4arch9wavefront6targetE0EEEvT1_.has_dyn_sized_stack, 0
	.set _ZN7rocprim17ROCPRIM_400000_NS6detail17trampoline_kernelINS0_14default_configENS1_25transform_config_selectorIlLb0EEEZNS1_14transform_implILb0ES3_S5_NS0_18transform_iteratorINS0_17counting_iteratorImlEEZNS1_24adjacent_difference_implIS3_Lb1ELb0EPlSB_ZN2at6native12_GLOBAL__N_124unique_dim_cuda_templateItEESt5tupleIJNSC_6TensorESH_SH_EERKSH_lbbbEUlllE1_EE10hipError_tPvRmT2_T3_mT4_P12ihipStream_tbEUlmE_lEESB_NS0_8identityIvEEEESM_SP_SQ_mSR_ST_bEUlT_E_NS1_11comp_targetILNS1_3genE2ELNS1_11target_archE906ELNS1_3gpuE6ELNS1_3repE0EEENS1_30default_config_static_selectorELNS0_4arch9wavefront6targetE0EEEvT1_.has_recursion, 0
	.set _ZN7rocprim17ROCPRIM_400000_NS6detail17trampoline_kernelINS0_14default_configENS1_25transform_config_selectorIlLb0EEEZNS1_14transform_implILb0ES3_S5_NS0_18transform_iteratorINS0_17counting_iteratorImlEEZNS1_24adjacent_difference_implIS3_Lb1ELb0EPlSB_ZN2at6native12_GLOBAL__N_124unique_dim_cuda_templateItEESt5tupleIJNSC_6TensorESH_SH_EERKSH_lbbbEUlllE1_EE10hipError_tPvRmT2_T3_mT4_P12ihipStream_tbEUlmE_lEESB_NS0_8identityIvEEEESM_SP_SQ_mSR_ST_bEUlT_E_NS1_11comp_targetILNS1_3genE2ELNS1_11target_archE906ELNS1_3gpuE6ELNS1_3repE0EEENS1_30default_config_static_selectorELNS0_4arch9wavefront6targetE0EEEvT1_.has_indirect_call, 0
	.section	.AMDGPU.csdata,"",@progbits
; Kernel info:
; codeLenInByte = 0
; TotalNumSgprs: 0
; NumVgprs: 0
; ScratchSize: 0
; MemoryBound: 0
; FloatMode: 240
; IeeeMode: 1
; LDSByteSize: 0 bytes/workgroup (compile time only)
; SGPRBlocks: 0
; VGPRBlocks: 0
; NumSGPRsForWavesPerEU: 1
; NumVGPRsForWavesPerEU: 1
; NamedBarCnt: 0
; Occupancy: 16
; WaveLimiterHint : 0
; COMPUTE_PGM_RSRC2:SCRATCH_EN: 0
; COMPUTE_PGM_RSRC2:USER_SGPR: 2
; COMPUTE_PGM_RSRC2:TRAP_HANDLER: 0
; COMPUTE_PGM_RSRC2:TGID_X_EN: 1
; COMPUTE_PGM_RSRC2:TGID_Y_EN: 0
; COMPUTE_PGM_RSRC2:TGID_Z_EN: 0
; COMPUTE_PGM_RSRC2:TIDIG_COMP_CNT: 0
	.section	.text._ZN7rocprim17ROCPRIM_400000_NS6detail17trampoline_kernelINS0_14default_configENS1_25transform_config_selectorIlLb0EEEZNS1_14transform_implILb0ES3_S5_NS0_18transform_iteratorINS0_17counting_iteratorImlEEZNS1_24adjacent_difference_implIS3_Lb1ELb0EPlSB_ZN2at6native12_GLOBAL__N_124unique_dim_cuda_templateItEESt5tupleIJNSC_6TensorESH_SH_EERKSH_lbbbEUlllE1_EE10hipError_tPvRmT2_T3_mT4_P12ihipStream_tbEUlmE_lEESB_NS0_8identityIvEEEESM_SP_SQ_mSR_ST_bEUlT_E_NS1_11comp_targetILNS1_3genE10ELNS1_11target_archE1201ELNS1_3gpuE5ELNS1_3repE0EEENS1_30default_config_static_selectorELNS0_4arch9wavefront6targetE0EEEvT1_,"axG",@progbits,_ZN7rocprim17ROCPRIM_400000_NS6detail17trampoline_kernelINS0_14default_configENS1_25transform_config_selectorIlLb0EEEZNS1_14transform_implILb0ES3_S5_NS0_18transform_iteratorINS0_17counting_iteratorImlEEZNS1_24adjacent_difference_implIS3_Lb1ELb0EPlSB_ZN2at6native12_GLOBAL__N_124unique_dim_cuda_templateItEESt5tupleIJNSC_6TensorESH_SH_EERKSH_lbbbEUlllE1_EE10hipError_tPvRmT2_T3_mT4_P12ihipStream_tbEUlmE_lEESB_NS0_8identityIvEEEESM_SP_SQ_mSR_ST_bEUlT_E_NS1_11comp_targetILNS1_3genE10ELNS1_11target_archE1201ELNS1_3gpuE5ELNS1_3repE0EEENS1_30default_config_static_selectorELNS0_4arch9wavefront6targetE0EEEvT1_,comdat
	.globl	_ZN7rocprim17ROCPRIM_400000_NS6detail17trampoline_kernelINS0_14default_configENS1_25transform_config_selectorIlLb0EEEZNS1_14transform_implILb0ES3_S5_NS0_18transform_iteratorINS0_17counting_iteratorImlEEZNS1_24adjacent_difference_implIS3_Lb1ELb0EPlSB_ZN2at6native12_GLOBAL__N_124unique_dim_cuda_templateItEESt5tupleIJNSC_6TensorESH_SH_EERKSH_lbbbEUlllE1_EE10hipError_tPvRmT2_T3_mT4_P12ihipStream_tbEUlmE_lEESB_NS0_8identityIvEEEESM_SP_SQ_mSR_ST_bEUlT_E_NS1_11comp_targetILNS1_3genE10ELNS1_11target_archE1201ELNS1_3gpuE5ELNS1_3repE0EEENS1_30default_config_static_selectorELNS0_4arch9wavefront6targetE0EEEvT1_ ; -- Begin function _ZN7rocprim17ROCPRIM_400000_NS6detail17trampoline_kernelINS0_14default_configENS1_25transform_config_selectorIlLb0EEEZNS1_14transform_implILb0ES3_S5_NS0_18transform_iteratorINS0_17counting_iteratorImlEEZNS1_24adjacent_difference_implIS3_Lb1ELb0EPlSB_ZN2at6native12_GLOBAL__N_124unique_dim_cuda_templateItEESt5tupleIJNSC_6TensorESH_SH_EERKSH_lbbbEUlllE1_EE10hipError_tPvRmT2_T3_mT4_P12ihipStream_tbEUlmE_lEESB_NS0_8identityIvEEEESM_SP_SQ_mSR_ST_bEUlT_E_NS1_11comp_targetILNS1_3genE10ELNS1_11target_archE1201ELNS1_3gpuE5ELNS1_3repE0EEENS1_30default_config_static_selectorELNS0_4arch9wavefront6targetE0EEEvT1_
	.p2align	8
	.type	_ZN7rocprim17ROCPRIM_400000_NS6detail17trampoline_kernelINS0_14default_configENS1_25transform_config_selectorIlLb0EEEZNS1_14transform_implILb0ES3_S5_NS0_18transform_iteratorINS0_17counting_iteratorImlEEZNS1_24adjacent_difference_implIS3_Lb1ELb0EPlSB_ZN2at6native12_GLOBAL__N_124unique_dim_cuda_templateItEESt5tupleIJNSC_6TensorESH_SH_EERKSH_lbbbEUlllE1_EE10hipError_tPvRmT2_T3_mT4_P12ihipStream_tbEUlmE_lEESB_NS0_8identityIvEEEESM_SP_SQ_mSR_ST_bEUlT_E_NS1_11comp_targetILNS1_3genE10ELNS1_11target_archE1201ELNS1_3gpuE5ELNS1_3repE0EEENS1_30default_config_static_selectorELNS0_4arch9wavefront6targetE0EEEvT1_,@function
_ZN7rocprim17ROCPRIM_400000_NS6detail17trampoline_kernelINS0_14default_configENS1_25transform_config_selectorIlLb0EEEZNS1_14transform_implILb0ES3_S5_NS0_18transform_iteratorINS0_17counting_iteratorImlEEZNS1_24adjacent_difference_implIS3_Lb1ELb0EPlSB_ZN2at6native12_GLOBAL__N_124unique_dim_cuda_templateItEESt5tupleIJNSC_6TensorESH_SH_EERKSH_lbbbEUlllE1_EE10hipError_tPvRmT2_T3_mT4_P12ihipStream_tbEUlmE_lEESB_NS0_8identityIvEEEESM_SP_SQ_mSR_ST_bEUlT_E_NS1_11comp_targetILNS1_3genE10ELNS1_11target_archE1201ELNS1_3gpuE5ELNS1_3repE0EEENS1_30default_config_static_selectorELNS0_4arch9wavefront6targetE0EEEvT1_: ; @_ZN7rocprim17ROCPRIM_400000_NS6detail17trampoline_kernelINS0_14default_configENS1_25transform_config_selectorIlLb0EEEZNS1_14transform_implILb0ES3_S5_NS0_18transform_iteratorINS0_17counting_iteratorImlEEZNS1_24adjacent_difference_implIS3_Lb1ELb0EPlSB_ZN2at6native12_GLOBAL__N_124unique_dim_cuda_templateItEESt5tupleIJNSC_6TensorESH_SH_EERKSH_lbbbEUlllE1_EE10hipError_tPvRmT2_T3_mT4_P12ihipStream_tbEUlmE_lEESB_NS0_8identityIvEEEESM_SP_SQ_mSR_ST_bEUlT_E_NS1_11comp_targetILNS1_3genE10ELNS1_11target_archE1201ELNS1_3gpuE5ELNS1_3repE0EEENS1_30default_config_static_selectorELNS0_4arch9wavefront6targetE0EEEvT1_
; %bb.0:
	.section	.rodata,"a",@progbits
	.p2align	6, 0x0
	.amdhsa_kernel _ZN7rocprim17ROCPRIM_400000_NS6detail17trampoline_kernelINS0_14default_configENS1_25transform_config_selectorIlLb0EEEZNS1_14transform_implILb0ES3_S5_NS0_18transform_iteratorINS0_17counting_iteratorImlEEZNS1_24adjacent_difference_implIS3_Lb1ELb0EPlSB_ZN2at6native12_GLOBAL__N_124unique_dim_cuda_templateItEESt5tupleIJNSC_6TensorESH_SH_EERKSH_lbbbEUlllE1_EE10hipError_tPvRmT2_T3_mT4_P12ihipStream_tbEUlmE_lEESB_NS0_8identityIvEEEESM_SP_SQ_mSR_ST_bEUlT_E_NS1_11comp_targetILNS1_3genE10ELNS1_11target_archE1201ELNS1_3gpuE5ELNS1_3repE0EEENS1_30default_config_static_selectorELNS0_4arch9wavefront6targetE0EEEvT1_
		.amdhsa_group_segment_fixed_size 0
		.amdhsa_private_segment_fixed_size 0
		.amdhsa_kernarg_size 56
		.amdhsa_user_sgpr_count 2
		.amdhsa_user_sgpr_dispatch_ptr 0
		.amdhsa_user_sgpr_queue_ptr 0
		.amdhsa_user_sgpr_kernarg_segment_ptr 1
		.amdhsa_user_sgpr_dispatch_id 0
		.amdhsa_user_sgpr_kernarg_preload_length 0
		.amdhsa_user_sgpr_kernarg_preload_offset 0
		.amdhsa_user_sgpr_private_segment_size 0
		.amdhsa_wavefront_size32 1
		.amdhsa_uses_dynamic_stack 0
		.amdhsa_enable_private_segment 0
		.amdhsa_system_sgpr_workgroup_id_x 1
		.amdhsa_system_sgpr_workgroup_id_y 0
		.amdhsa_system_sgpr_workgroup_id_z 0
		.amdhsa_system_sgpr_workgroup_info 0
		.amdhsa_system_vgpr_workitem_id 0
		.amdhsa_next_free_vgpr 1
		.amdhsa_next_free_sgpr 1
		.amdhsa_named_barrier_count 0
		.amdhsa_reserve_vcc 0
		.amdhsa_float_round_mode_32 0
		.amdhsa_float_round_mode_16_64 0
		.amdhsa_float_denorm_mode_32 3
		.amdhsa_float_denorm_mode_16_64 3
		.amdhsa_fp16_overflow 0
		.amdhsa_memory_ordered 1
		.amdhsa_forward_progress 1
		.amdhsa_inst_pref_size 0
		.amdhsa_round_robin_scheduling 0
		.amdhsa_exception_fp_ieee_invalid_op 0
		.amdhsa_exception_fp_denorm_src 0
		.amdhsa_exception_fp_ieee_div_zero 0
		.amdhsa_exception_fp_ieee_overflow 0
		.amdhsa_exception_fp_ieee_underflow 0
		.amdhsa_exception_fp_ieee_inexact 0
		.amdhsa_exception_int_div_zero 0
	.end_amdhsa_kernel
	.section	.text._ZN7rocprim17ROCPRIM_400000_NS6detail17trampoline_kernelINS0_14default_configENS1_25transform_config_selectorIlLb0EEEZNS1_14transform_implILb0ES3_S5_NS0_18transform_iteratorINS0_17counting_iteratorImlEEZNS1_24adjacent_difference_implIS3_Lb1ELb0EPlSB_ZN2at6native12_GLOBAL__N_124unique_dim_cuda_templateItEESt5tupleIJNSC_6TensorESH_SH_EERKSH_lbbbEUlllE1_EE10hipError_tPvRmT2_T3_mT4_P12ihipStream_tbEUlmE_lEESB_NS0_8identityIvEEEESM_SP_SQ_mSR_ST_bEUlT_E_NS1_11comp_targetILNS1_3genE10ELNS1_11target_archE1201ELNS1_3gpuE5ELNS1_3repE0EEENS1_30default_config_static_selectorELNS0_4arch9wavefront6targetE0EEEvT1_,"axG",@progbits,_ZN7rocprim17ROCPRIM_400000_NS6detail17trampoline_kernelINS0_14default_configENS1_25transform_config_selectorIlLb0EEEZNS1_14transform_implILb0ES3_S5_NS0_18transform_iteratorINS0_17counting_iteratorImlEEZNS1_24adjacent_difference_implIS3_Lb1ELb0EPlSB_ZN2at6native12_GLOBAL__N_124unique_dim_cuda_templateItEESt5tupleIJNSC_6TensorESH_SH_EERKSH_lbbbEUlllE1_EE10hipError_tPvRmT2_T3_mT4_P12ihipStream_tbEUlmE_lEESB_NS0_8identityIvEEEESM_SP_SQ_mSR_ST_bEUlT_E_NS1_11comp_targetILNS1_3genE10ELNS1_11target_archE1201ELNS1_3gpuE5ELNS1_3repE0EEENS1_30default_config_static_selectorELNS0_4arch9wavefront6targetE0EEEvT1_,comdat
.Lfunc_end1407:
	.size	_ZN7rocprim17ROCPRIM_400000_NS6detail17trampoline_kernelINS0_14default_configENS1_25transform_config_selectorIlLb0EEEZNS1_14transform_implILb0ES3_S5_NS0_18transform_iteratorINS0_17counting_iteratorImlEEZNS1_24adjacent_difference_implIS3_Lb1ELb0EPlSB_ZN2at6native12_GLOBAL__N_124unique_dim_cuda_templateItEESt5tupleIJNSC_6TensorESH_SH_EERKSH_lbbbEUlllE1_EE10hipError_tPvRmT2_T3_mT4_P12ihipStream_tbEUlmE_lEESB_NS0_8identityIvEEEESM_SP_SQ_mSR_ST_bEUlT_E_NS1_11comp_targetILNS1_3genE10ELNS1_11target_archE1201ELNS1_3gpuE5ELNS1_3repE0EEENS1_30default_config_static_selectorELNS0_4arch9wavefront6targetE0EEEvT1_, .Lfunc_end1407-_ZN7rocprim17ROCPRIM_400000_NS6detail17trampoline_kernelINS0_14default_configENS1_25transform_config_selectorIlLb0EEEZNS1_14transform_implILb0ES3_S5_NS0_18transform_iteratorINS0_17counting_iteratorImlEEZNS1_24adjacent_difference_implIS3_Lb1ELb0EPlSB_ZN2at6native12_GLOBAL__N_124unique_dim_cuda_templateItEESt5tupleIJNSC_6TensorESH_SH_EERKSH_lbbbEUlllE1_EE10hipError_tPvRmT2_T3_mT4_P12ihipStream_tbEUlmE_lEESB_NS0_8identityIvEEEESM_SP_SQ_mSR_ST_bEUlT_E_NS1_11comp_targetILNS1_3genE10ELNS1_11target_archE1201ELNS1_3gpuE5ELNS1_3repE0EEENS1_30default_config_static_selectorELNS0_4arch9wavefront6targetE0EEEvT1_
                                        ; -- End function
	.set _ZN7rocprim17ROCPRIM_400000_NS6detail17trampoline_kernelINS0_14default_configENS1_25transform_config_selectorIlLb0EEEZNS1_14transform_implILb0ES3_S5_NS0_18transform_iteratorINS0_17counting_iteratorImlEEZNS1_24adjacent_difference_implIS3_Lb1ELb0EPlSB_ZN2at6native12_GLOBAL__N_124unique_dim_cuda_templateItEESt5tupleIJNSC_6TensorESH_SH_EERKSH_lbbbEUlllE1_EE10hipError_tPvRmT2_T3_mT4_P12ihipStream_tbEUlmE_lEESB_NS0_8identityIvEEEESM_SP_SQ_mSR_ST_bEUlT_E_NS1_11comp_targetILNS1_3genE10ELNS1_11target_archE1201ELNS1_3gpuE5ELNS1_3repE0EEENS1_30default_config_static_selectorELNS0_4arch9wavefront6targetE0EEEvT1_.num_vgpr, 0
	.set _ZN7rocprim17ROCPRIM_400000_NS6detail17trampoline_kernelINS0_14default_configENS1_25transform_config_selectorIlLb0EEEZNS1_14transform_implILb0ES3_S5_NS0_18transform_iteratorINS0_17counting_iteratorImlEEZNS1_24adjacent_difference_implIS3_Lb1ELb0EPlSB_ZN2at6native12_GLOBAL__N_124unique_dim_cuda_templateItEESt5tupleIJNSC_6TensorESH_SH_EERKSH_lbbbEUlllE1_EE10hipError_tPvRmT2_T3_mT4_P12ihipStream_tbEUlmE_lEESB_NS0_8identityIvEEEESM_SP_SQ_mSR_ST_bEUlT_E_NS1_11comp_targetILNS1_3genE10ELNS1_11target_archE1201ELNS1_3gpuE5ELNS1_3repE0EEENS1_30default_config_static_selectorELNS0_4arch9wavefront6targetE0EEEvT1_.num_agpr, 0
	.set _ZN7rocprim17ROCPRIM_400000_NS6detail17trampoline_kernelINS0_14default_configENS1_25transform_config_selectorIlLb0EEEZNS1_14transform_implILb0ES3_S5_NS0_18transform_iteratorINS0_17counting_iteratorImlEEZNS1_24adjacent_difference_implIS3_Lb1ELb0EPlSB_ZN2at6native12_GLOBAL__N_124unique_dim_cuda_templateItEESt5tupleIJNSC_6TensorESH_SH_EERKSH_lbbbEUlllE1_EE10hipError_tPvRmT2_T3_mT4_P12ihipStream_tbEUlmE_lEESB_NS0_8identityIvEEEESM_SP_SQ_mSR_ST_bEUlT_E_NS1_11comp_targetILNS1_3genE10ELNS1_11target_archE1201ELNS1_3gpuE5ELNS1_3repE0EEENS1_30default_config_static_selectorELNS0_4arch9wavefront6targetE0EEEvT1_.numbered_sgpr, 0
	.set _ZN7rocprim17ROCPRIM_400000_NS6detail17trampoline_kernelINS0_14default_configENS1_25transform_config_selectorIlLb0EEEZNS1_14transform_implILb0ES3_S5_NS0_18transform_iteratorINS0_17counting_iteratorImlEEZNS1_24adjacent_difference_implIS3_Lb1ELb0EPlSB_ZN2at6native12_GLOBAL__N_124unique_dim_cuda_templateItEESt5tupleIJNSC_6TensorESH_SH_EERKSH_lbbbEUlllE1_EE10hipError_tPvRmT2_T3_mT4_P12ihipStream_tbEUlmE_lEESB_NS0_8identityIvEEEESM_SP_SQ_mSR_ST_bEUlT_E_NS1_11comp_targetILNS1_3genE10ELNS1_11target_archE1201ELNS1_3gpuE5ELNS1_3repE0EEENS1_30default_config_static_selectorELNS0_4arch9wavefront6targetE0EEEvT1_.num_named_barrier, 0
	.set _ZN7rocprim17ROCPRIM_400000_NS6detail17trampoline_kernelINS0_14default_configENS1_25transform_config_selectorIlLb0EEEZNS1_14transform_implILb0ES3_S5_NS0_18transform_iteratorINS0_17counting_iteratorImlEEZNS1_24adjacent_difference_implIS3_Lb1ELb0EPlSB_ZN2at6native12_GLOBAL__N_124unique_dim_cuda_templateItEESt5tupleIJNSC_6TensorESH_SH_EERKSH_lbbbEUlllE1_EE10hipError_tPvRmT2_T3_mT4_P12ihipStream_tbEUlmE_lEESB_NS0_8identityIvEEEESM_SP_SQ_mSR_ST_bEUlT_E_NS1_11comp_targetILNS1_3genE10ELNS1_11target_archE1201ELNS1_3gpuE5ELNS1_3repE0EEENS1_30default_config_static_selectorELNS0_4arch9wavefront6targetE0EEEvT1_.private_seg_size, 0
	.set _ZN7rocprim17ROCPRIM_400000_NS6detail17trampoline_kernelINS0_14default_configENS1_25transform_config_selectorIlLb0EEEZNS1_14transform_implILb0ES3_S5_NS0_18transform_iteratorINS0_17counting_iteratorImlEEZNS1_24adjacent_difference_implIS3_Lb1ELb0EPlSB_ZN2at6native12_GLOBAL__N_124unique_dim_cuda_templateItEESt5tupleIJNSC_6TensorESH_SH_EERKSH_lbbbEUlllE1_EE10hipError_tPvRmT2_T3_mT4_P12ihipStream_tbEUlmE_lEESB_NS0_8identityIvEEEESM_SP_SQ_mSR_ST_bEUlT_E_NS1_11comp_targetILNS1_3genE10ELNS1_11target_archE1201ELNS1_3gpuE5ELNS1_3repE0EEENS1_30default_config_static_selectorELNS0_4arch9wavefront6targetE0EEEvT1_.uses_vcc, 0
	.set _ZN7rocprim17ROCPRIM_400000_NS6detail17trampoline_kernelINS0_14default_configENS1_25transform_config_selectorIlLb0EEEZNS1_14transform_implILb0ES3_S5_NS0_18transform_iteratorINS0_17counting_iteratorImlEEZNS1_24adjacent_difference_implIS3_Lb1ELb0EPlSB_ZN2at6native12_GLOBAL__N_124unique_dim_cuda_templateItEESt5tupleIJNSC_6TensorESH_SH_EERKSH_lbbbEUlllE1_EE10hipError_tPvRmT2_T3_mT4_P12ihipStream_tbEUlmE_lEESB_NS0_8identityIvEEEESM_SP_SQ_mSR_ST_bEUlT_E_NS1_11comp_targetILNS1_3genE10ELNS1_11target_archE1201ELNS1_3gpuE5ELNS1_3repE0EEENS1_30default_config_static_selectorELNS0_4arch9wavefront6targetE0EEEvT1_.uses_flat_scratch, 0
	.set _ZN7rocprim17ROCPRIM_400000_NS6detail17trampoline_kernelINS0_14default_configENS1_25transform_config_selectorIlLb0EEEZNS1_14transform_implILb0ES3_S5_NS0_18transform_iteratorINS0_17counting_iteratorImlEEZNS1_24adjacent_difference_implIS3_Lb1ELb0EPlSB_ZN2at6native12_GLOBAL__N_124unique_dim_cuda_templateItEESt5tupleIJNSC_6TensorESH_SH_EERKSH_lbbbEUlllE1_EE10hipError_tPvRmT2_T3_mT4_P12ihipStream_tbEUlmE_lEESB_NS0_8identityIvEEEESM_SP_SQ_mSR_ST_bEUlT_E_NS1_11comp_targetILNS1_3genE10ELNS1_11target_archE1201ELNS1_3gpuE5ELNS1_3repE0EEENS1_30default_config_static_selectorELNS0_4arch9wavefront6targetE0EEEvT1_.has_dyn_sized_stack, 0
	.set _ZN7rocprim17ROCPRIM_400000_NS6detail17trampoline_kernelINS0_14default_configENS1_25transform_config_selectorIlLb0EEEZNS1_14transform_implILb0ES3_S5_NS0_18transform_iteratorINS0_17counting_iteratorImlEEZNS1_24adjacent_difference_implIS3_Lb1ELb0EPlSB_ZN2at6native12_GLOBAL__N_124unique_dim_cuda_templateItEESt5tupleIJNSC_6TensorESH_SH_EERKSH_lbbbEUlllE1_EE10hipError_tPvRmT2_T3_mT4_P12ihipStream_tbEUlmE_lEESB_NS0_8identityIvEEEESM_SP_SQ_mSR_ST_bEUlT_E_NS1_11comp_targetILNS1_3genE10ELNS1_11target_archE1201ELNS1_3gpuE5ELNS1_3repE0EEENS1_30default_config_static_selectorELNS0_4arch9wavefront6targetE0EEEvT1_.has_recursion, 0
	.set _ZN7rocprim17ROCPRIM_400000_NS6detail17trampoline_kernelINS0_14default_configENS1_25transform_config_selectorIlLb0EEEZNS1_14transform_implILb0ES3_S5_NS0_18transform_iteratorINS0_17counting_iteratorImlEEZNS1_24adjacent_difference_implIS3_Lb1ELb0EPlSB_ZN2at6native12_GLOBAL__N_124unique_dim_cuda_templateItEESt5tupleIJNSC_6TensorESH_SH_EERKSH_lbbbEUlllE1_EE10hipError_tPvRmT2_T3_mT4_P12ihipStream_tbEUlmE_lEESB_NS0_8identityIvEEEESM_SP_SQ_mSR_ST_bEUlT_E_NS1_11comp_targetILNS1_3genE10ELNS1_11target_archE1201ELNS1_3gpuE5ELNS1_3repE0EEENS1_30default_config_static_selectorELNS0_4arch9wavefront6targetE0EEEvT1_.has_indirect_call, 0
	.section	.AMDGPU.csdata,"",@progbits
; Kernel info:
; codeLenInByte = 0
; TotalNumSgprs: 0
; NumVgprs: 0
; ScratchSize: 0
; MemoryBound: 0
; FloatMode: 240
; IeeeMode: 1
; LDSByteSize: 0 bytes/workgroup (compile time only)
; SGPRBlocks: 0
; VGPRBlocks: 0
; NumSGPRsForWavesPerEU: 1
; NumVGPRsForWavesPerEU: 1
; NamedBarCnt: 0
; Occupancy: 16
; WaveLimiterHint : 0
; COMPUTE_PGM_RSRC2:SCRATCH_EN: 0
; COMPUTE_PGM_RSRC2:USER_SGPR: 2
; COMPUTE_PGM_RSRC2:TRAP_HANDLER: 0
; COMPUTE_PGM_RSRC2:TGID_X_EN: 1
; COMPUTE_PGM_RSRC2:TGID_Y_EN: 0
; COMPUTE_PGM_RSRC2:TGID_Z_EN: 0
; COMPUTE_PGM_RSRC2:TIDIG_COMP_CNT: 0
	.section	.text._ZN7rocprim17ROCPRIM_400000_NS6detail17trampoline_kernelINS0_14default_configENS1_25transform_config_selectorIlLb0EEEZNS1_14transform_implILb0ES3_S5_NS0_18transform_iteratorINS0_17counting_iteratorImlEEZNS1_24adjacent_difference_implIS3_Lb1ELb0EPlSB_ZN2at6native12_GLOBAL__N_124unique_dim_cuda_templateItEESt5tupleIJNSC_6TensorESH_SH_EERKSH_lbbbEUlllE1_EE10hipError_tPvRmT2_T3_mT4_P12ihipStream_tbEUlmE_lEESB_NS0_8identityIvEEEESM_SP_SQ_mSR_ST_bEUlT_E_NS1_11comp_targetILNS1_3genE10ELNS1_11target_archE1200ELNS1_3gpuE4ELNS1_3repE0EEENS1_30default_config_static_selectorELNS0_4arch9wavefront6targetE0EEEvT1_,"axG",@progbits,_ZN7rocprim17ROCPRIM_400000_NS6detail17trampoline_kernelINS0_14default_configENS1_25transform_config_selectorIlLb0EEEZNS1_14transform_implILb0ES3_S5_NS0_18transform_iteratorINS0_17counting_iteratorImlEEZNS1_24adjacent_difference_implIS3_Lb1ELb0EPlSB_ZN2at6native12_GLOBAL__N_124unique_dim_cuda_templateItEESt5tupleIJNSC_6TensorESH_SH_EERKSH_lbbbEUlllE1_EE10hipError_tPvRmT2_T3_mT4_P12ihipStream_tbEUlmE_lEESB_NS0_8identityIvEEEESM_SP_SQ_mSR_ST_bEUlT_E_NS1_11comp_targetILNS1_3genE10ELNS1_11target_archE1200ELNS1_3gpuE4ELNS1_3repE0EEENS1_30default_config_static_selectorELNS0_4arch9wavefront6targetE0EEEvT1_,comdat
	.globl	_ZN7rocprim17ROCPRIM_400000_NS6detail17trampoline_kernelINS0_14default_configENS1_25transform_config_selectorIlLb0EEEZNS1_14transform_implILb0ES3_S5_NS0_18transform_iteratorINS0_17counting_iteratorImlEEZNS1_24adjacent_difference_implIS3_Lb1ELb0EPlSB_ZN2at6native12_GLOBAL__N_124unique_dim_cuda_templateItEESt5tupleIJNSC_6TensorESH_SH_EERKSH_lbbbEUlllE1_EE10hipError_tPvRmT2_T3_mT4_P12ihipStream_tbEUlmE_lEESB_NS0_8identityIvEEEESM_SP_SQ_mSR_ST_bEUlT_E_NS1_11comp_targetILNS1_3genE10ELNS1_11target_archE1200ELNS1_3gpuE4ELNS1_3repE0EEENS1_30default_config_static_selectorELNS0_4arch9wavefront6targetE0EEEvT1_ ; -- Begin function _ZN7rocprim17ROCPRIM_400000_NS6detail17trampoline_kernelINS0_14default_configENS1_25transform_config_selectorIlLb0EEEZNS1_14transform_implILb0ES3_S5_NS0_18transform_iteratorINS0_17counting_iteratorImlEEZNS1_24adjacent_difference_implIS3_Lb1ELb0EPlSB_ZN2at6native12_GLOBAL__N_124unique_dim_cuda_templateItEESt5tupleIJNSC_6TensorESH_SH_EERKSH_lbbbEUlllE1_EE10hipError_tPvRmT2_T3_mT4_P12ihipStream_tbEUlmE_lEESB_NS0_8identityIvEEEESM_SP_SQ_mSR_ST_bEUlT_E_NS1_11comp_targetILNS1_3genE10ELNS1_11target_archE1200ELNS1_3gpuE4ELNS1_3repE0EEENS1_30default_config_static_selectorELNS0_4arch9wavefront6targetE0EEEvT1_
	.p2align	8
	.type	_ZN7rocprim17ROCPRIM_400000_NS6detail17trampoline_kernelINS0_14default_configENS1_25transform_config_selectorIlLb0EEEZNS1_14transform_implILb0ES3_S5_NS0_18transform_iteratorINS0_17counting_iteratorImlEEZNS1_24adjacent_difference_implIS3_Lb1ELb0EPlSB_ZN2at6native12_GLOBAL__N_124unique_dim_cuda_templateItEESt5tupleIJNSC_6TensorESH_SH_EERKSH_lbbbEUlllE1_EE10hipError_tPvRmT2_T3_mT4_P12ihipStream_tbEUlmE_lEESB_NS0_8identityIvEEEESM_SP_SQ_mSR_ST_bEUlT_E_NS1_11comp_targetILNS1_3genE10ELNS1_11target_archE1200ELNS1_3gpuE4ELNS1_3repE0EEENS1_30default_config_static_selectorELNS0_4arch9wavefront6targetE0EEEvT1_,@function
_ZN7rocprim17ROCPRIM_400000_NS6detail17trampoline_kernelINS0_14default_configENS1_25transform_config_selectorIlLb0EEEZNS1_14transform_implILb0ES3_S5_NS0_18transform_iteratorINS0_17counting_iteratorImlEEZNS1_24adjacent_difference_implIS3_Lb1ELb0EPlSB_ZN2at6native12_GLOBAL__N_124unique_dim_cuda_templateItEESt5tupleIJNSC_6TensorESH_SH_EERKSH_lbbbEUlllE1_EE10hipError_tPvRmT2_T3_mT4_P12ihipStream_tbEUlmE_lEESB_NS0_8identityIvEEEESM_SP_SQ_mSR_ST_bEUlT_E_NS1_11comp_targetILNS1_3genE10ELNS1_11target_archE1200ELNS1_3gpuE4ELNS1_3repE0EEENS1_30default_config_static_selectorELNS0_4arch9wavefront6targetE0EEEvT1_: ; @_ZN7rocprim17ROCPRIM_400000_NS6detail17trampoline_kernelINS0_14default_configENS1_25transform_config_selectorIlLb0EEEZNS1_14transform_implILb0ES3_S5_NS0_18transform_iteratorINS0_17counting_iteratorImlEEZNS1_24adjacent_difference_implIS3_Lb1ELb0EPlSB_ZN2at6native12_GLOBAL__N_124unique_dim_cuda_templateItEESt5tupleIJNSC_6TensorESH_SH_EERKSH_lbbbEUlllE1_EE10hipError_tPvRmT2_T3_mT4_P12ihipStream_tbEUlmE_lEESB_NS0_8identityIvEEEESM_SP_SQ_mSR_ST_bEUlT_E_NS1_11comp_targetILNS1_3genE10ELNS1_11target_archE1200ELNS1_3gpuE4ELNS1_3repE0EEENS1_30default_config_static_selectorELNS0_4arch9wavefront6targetE0EEEvT1_
; %bb.0:
	.section	.rodata,"a",@progbits
	.p2align	6, 0x0
	.amdhsa_kernel _ZN7rocprim17ROCPRIM_400000_NS6detail17trampoline_kernelINS0_14default_configENS1_25transform_config_selectorIlLb0EEEZNS1_14transform_implILb0ES3_S5_NS0_18transform_iteratorINS0_17counting_iteratorImlEEZNS1_24adjacent_difference_implIS3_Lb1ELb0EPlSB_ZN2at6native12_GLOBAL__N_124unique_dim_cuda_templateItEESt5tupleIJNSC_6TensorESH_SH_EERKSH_lbbbEUlllE1_EE10hipError_tPvRmT2_T3_mT4_P12ihipStream_tbEUlmE_lEESB_NS0_8identityIvEEEESM_SP_SQ_mSR_ST_bEUlT_E_NS1_11comp_targetILNS1_3genE10ELNS1_11target_archE1200ELNS1_3gpuE4ELNS1_3repE0EEENS1_30default_config_static_selectorELNS0_4arch9wavefront6targetE0EEEvT1_
		.amdhsa_group_segment_fixed_size 0
		.amdhsa_private_segment_fixed_size 0
		.amdhsa_kernarg_size 56
		.amdhsa_user_sgpr_count 2
		.amdhsa_user_sgpr_dispatch_ptr 0
		.amdhsa_user_sgpr_queue_ptr 0
		.amdhsa_user_sgpr_kernarg_segment_ptr 1
		.amdhsa_user_sgpr_dispatch_id 0
		.amdhsa_user_sgpr_kernarg_preload_length 0
		.amdhsa_user_sgpr_kernarg_preload_offset 0
		.amdhsa_user_sgpr_private_segment_size 0
		.amdhsa_wavefront_size32 1
		.amdhsa_uses_dynamic_stack 0
		.amdhsa_enable_private_segment 0
		.amdhsa_system_sgpr_workgroup_id_x 1
		.amdhsa_system_sgpr_workgroup_id_y 0
		.amdhsa_system_sgpr_workgroup_id_z 0
		.amdhsa_system_sgpr_workgroup_info 0
		.amdhsa_system_vgpr_workitem_id 0
		.amdhsa_next_free_vgpr 1
		.amdhsa_next_free_sgpr 1
		.amdhsa_named_barrier_count 0
		.amdhsa_reserve_vcc 0
		.amdhsa_float_round_mode_32 0
		.amdhsa_float_round_mode_16_64 0
		.amdhsa_float_denorm_mode_32 3
		.amdhsa_float_denorm_mode_16_64 3
		.amdhsa_fp16_overflow 0
		.amdhsa_memory_ordered 1
		.amdhsa_forward_progress 1
		.amdhsa_inst_pref_size 0
		.amdhsa_round_robin_scheduling 0
		.amdhsa_exception_fp_ieee_invalid_op 0
		.amdhsa_exception_fp_denorm_src 0
		.amdhsa_exception_fp_ieee_div_zero 0
		.amdhsa_exception_fp_ieee_overflow 0
		.amdhsa_exception_fp_ieee_underflow 0
		.amdhsa_exception_fp_ieee_inexact 0
		.amdhsa_exception_int_div_zero 0
	.end_amdhsa_kernel
	.section	.text._ZN7rocprim17ROCPRIM_400000_NS6detail17trampoline_kernelINS0_14default_configENS1_25transform_config_selectorIlLb0EEEZNS1_14transform_implILb0ES3_S5_NS0_18transform_iteratorINS0_17counting_iteratorImlEEZNS1_24adjacent_difference_implIS3_Lb1ELb0EPlSB_ZN2at6native12_GLOBAL__N_124unique_dim_cuda_templateItEESt5tupleIJNSC_6TensorESH_SH_EERKSH_lbbbEUlllE1_EE10hipError_tPvRmT2_T3_mT4_P12ihipStream_tbEUlmE_lEESB_NS0_8identityIvEEEESM_SP_SQ_mSR_ST_bEUlT_E_NS1_11comp_targetILNS1_3genE10ELNS1_11target_archE1200ELNS1_3gpuE4ELNS1_3repE0EEENS1_30default_config_static_selectorELNS0_4arch9wavefront6targetE0EEEvT1_,"axG",@progbits,_ZN7rocprim17ROCPRIM_400000_NS6detail17trampoline_kernelINS0_14default_configENS1_25transform_config_selectorIlLb0EEEZNS1_14transform_implILb0ES3_S5_NS0_18transform_iteratorINS0_17counting_iteratorImlEEZNS1_24adjacent_difference_implIS3_Lb1ELb0EPlSB_ZN2at6native12_GLOBAL__N_124unique_dim_cuda_templateItEESt5tupleIJNSC_6TensorESH_SH_EERKSH_lbbbEUlllE1_EE10hipError_tPvRmT2_T3_mT4_P12ihipStream_tbEUlmE_lEESB_NS0_8identityIvEEEESM_SP_SQ_mSR_ST_bEUlT_E_NS1_11comp_targetILNS1_3genE10ELNS1_11target_archE1200ELNS1_3gpuE4ELNS1_3repE0EEENS1_30default_config_static_selectorELNS0_4arch9wavefront6targetE0EEEvT1_,comdat
.Lfunc_end1408:
	.size	_ZN7rocprim17ROCPRIM_400000_NS6detail17trampoline_kernelINS0_14default_configENS1_25transform_config_selectorIlLb0EEEZNS1_14transform_implILb0ES3_S5_NS0_18transform_iteratorINS0_17counting_iteratorImlEEZNS1_24adjacent_difference_implIS3_Lb1ELb0EPlSB_ZN2at6native12_GLOBAL__N_124unique_dim_cuda_templateItEESt5tupleIJNSC_6TensorESH_SH_EERKSH_lbbbEUlllE1_EE10hipError_tPvRmT2_T3_mT4_P12ihipStream_tbEUlmE_lEESB_NS0_8identityIvEEEESM_SP_SQ_mSR_ST_bEUlT_E_NS1_11comp_targetILNS1_3genE10ELNS1_11target_archE1200ELNS1_3gpuE4ELNS1_3repE0EEENS1_30default_config_static_selectorELNS0_4arch9wavefront6targetE0EEEvT1_, .Lfunc_end1408-_ZN7rocprim17ROCPRIM_400000_NS6detail17trampoline_kernelINS0_14default_configENS1_25transform_config_selectorIlLb0EEEZNS1_14transform_implILb0ES3_S5_NS0_18transform_iteratorINS0_17counting_iteratorImlEEZNS1_24adjacent_difference_implIS3_Lb1ELb0EPlSB_ZN2at6native12_GLOBAL__N_124unique_dim_cuda_templateItEESt5tupleIJNSC_6TensorESH_SH_EERKSH_lbbbEUlllE1_EE10hipError_tPvRmT2_T3_mT4_P12ihipStream_tbEUlmE_lEESB_NS0_8identityIvEEEESM_SP_SQ_mSR_ST_bEUlT_E_NS1_11comp_targetILNS1_3genE10ELNS1_11target_archE1200ELNS1_3gpuE4ELNS1_3repE0EEENS1_30default_config_static_selectorELNS0_4arch9wavefront6targetE0EEEvT1_
                                        ; -- End function
	.set _ZN7rocprim17ROCPRIM_400000_NS6detail17trampoline_kernelINS0_14default_configENS1_25transform_config_selectorIlLb0EEEZNS1_14transform_implILb0ES3_S5_NS0_18transform_iteratorINS0_17counting_iteratorImlEEZNS1_24adjacent_difference_implIS3_Lb1ELb0EPlSB_ZN2at6native12_GLOBAL__N_124unique_dim_cuda_templateItEESt5tupleIJNSC_6TensorESH_SH_EERKSH_lbbbEUlllE1_EE10hipError_tPvRmT2_T3_mT4_P12ihipStream_tbEUlmE_lEESB_NS0_8identityIvEEEESM_SP_SQ_mSR_ST_bEUlT_E_NS1_11comp_targetILNS1_3genE10ELNS1_11target_archE1200ELNS1_3gpuE4ELNS1_3repE0EEENS1_30default_config_static_selectorELNS0_4arch9wavefront6targetE0EEEvT1_.num_vgpr, 0
	.set _ZN7rocprim17ROCPRIM_400000_NS6detail17trampoline_kernelINS0_14default_configENS1_25transform_config_selectorIlLb0EEEZNS1_14transform_implILb0ES3_S5_NS0_18transform_iteratorINS0_17counting_iteratorImlEEZNS1_24adjacent_difference_implIS3_Lb1ELb0EPlSB_ZN2at6native12_GLOBAL__N_124unique_dim_cuda_templateItEESt5tupleIJNSC_6TensorESH_SH_EERKSH_lbbbEUlllE1_EE10hipError_tPvRmT2_T3_mT4_P12ihipStream_tbEUlmE_lEESB_NS0_8identityIvEEEESM_SP_SQ_mSR_ST_bEUlT_E_NS1_11comp_targetILNS1_3genE10ELNS1_11target_archE1200ELNS1_3gpuE4ELNS1_3repE0EEENS1_30default_config_static_selectorELNS0_4arch9wavefront6targetE0EEEvT1_.num_agpr, 0
	.set _ZN7rocprim17ROCPRIM_400000_NS6detail17trampoline_kernelINS0_14default_configENS1_25transform_config_selectorIlLb0EEEZNS1_14transform_implILb0ES3_S5_NS0_18transform_iteratorINS0_17counting_iteratorImlEEZNS1_24adjacent_difference_implIS3_Lb1ELb0EPlSB_ZN2at6native12_GLOBAL__N_124unique_dim_cuda_templateItEESt5tupleIJNSC_6TensorESH_SH_EERKSH_lbbbEUlllE1_EE10hipError_tPvRmT2_T3_mT4_P12ihipStream_tbEUlmE_lEESB_NS0_8identityIvEEEESM_SP_SQ_mSR_ST_bEUlT_E_NS1_11comp_targetILNS1_3genE10ELNS1_11target_archE1200ELNS1_3gpuE4ELNS1_3repE0EEENS1_30default_config_static_selectorELNS0_4arch9wavefront6targetE0EEEvT1_.numbered_sgpr, 0
	.set _ZN7rocprim17ROCPRIM_400000_NS6detail17trampoline_kernelINS0_14default_configENS1_25transform_config_selectorIlLb0EEEZNS1_14transform_implILb0ES3_S5_NS0_18transform_iteratorINS0_17counting_iteratorImlEEZNS1_24adjacent_difference_implIS3_Lb1ELb0EPlSB_ZN2at6native12_GLOBAL__N_124unique_dim_cuda_templateItEESt5tupleIJNSC_6TensorESH_SH_EERKSH_lbbbEUlllE1_EE10hipError_tPvRmT2_T3_mT4_P12ihipStream_tbEUlmE_lEESB_NS0_8identityIvEEEESM_SP_SQ_mSR_ST_bEUlT_E_NS1_11comp_targetILNS1_3genE10ELNS1_11target_archE1200ELNS1_3gpuE4ELNS1_3repE0EEENS1_30default_config_static_selectorELNS0_4arch9wavefront6targetE0EEEvT1_.num_named_barrier, 0
	.set _ZN7rocprim17ROCPRIM_400000_NS6detail17trampoline_kernelINS0_14default_configENS1_25transform_config_selectorIlLb0EEEZNS1_14transform_implILb0ES3_S5_NS0_18transform_iteratorINS0_17counting_iteratorImlEEZNS1_24adjacent_difference_implIS3_Lb1ELb0EPlSB_ZN2at6native12_GLOBAL__N_124unique_dim_cuda_templateItEESt5tupleIJNSC_6TensorESH_SH_EERKSH_lbbbEUlllE1_EE10hipError_tPvRmT2_T3_mT4_P12ihipStream_tbEUlmE_lEESB_NS0_8identityIvEEEESM_SP_SQ_mSR_ST_bEUlT_E_NS1_11comp_targetILNS1_3genE10ELNS1_11target_archE1200ELNS1_3gpuE4ELNS1_3repE0EEENS1_30default_config_static_selectorELNS0_4arch9wavefront6targetE0EEEvT1_.private_seg_size, 0
	.set _ZN7rocprim17ROCPRIM_400000_NS6detail17trampoline_kernelINS0_14default_configENS1_25transform_config_selectorIlLb0EEEZNS1_14transform_implILb0ES3_S5_NS0_18transform_iteratorINS0_17counting_iteratorImlEEZNS1_24adjacent_difference_implIS3_Lb1ELb0EPlSB_ZN2at6native12_GLOBAL__N_124unique_dim_cuda_templateItEESt5tupleIJNSC_6TensorESH_SH_EERKSH_lbbbEUlllE1_EE10hipError_tPvRmT2_T3_mT4_P12ihipStream_tbEUlmE_lEESB_NS0_8identityIvEEEESM_SP_SQ_mSR_ST_bEUlT_E_NS1_11comp_targetILNS1_3genE10ELNS1_11target_archE1200ELNS1_3gpuE4ELNS1_3repE0EEENS1_30default_config_static_selectorELNS0_4arch9wavefront6targetE0EEEvT1_.uses_vcc, 0
	.set _ZN7rocprim17ROCPRIM_400000_NS6detail17trampoline_kernelINS0_14default_configENS1_25transform_config_selectorIlLb0EEEZNS1_14transform_implILb0ES3_S5_NS0_18transform_iteratorINS0_17counting_iteratorImlEEZNS1_24adjacent_difference_implIS3_Lb1ELb0EPlSB_ZN2at6native12_GLOBAL__N_124unique_dim_cuda_templateItEESt5tupleIJNSC_6TensorESH_SH_EERKSH_lbbbEUlllE1_EE10hipError_tPvRmT2_T3_mT4_P12ihipStream_tbEUlmE_lEESB_NS0_8identityIvEEEESM_SP_SQ_mSR_ST_bEUlT_E_NS1_11comp_targetILNS1_3genE10ELNS1_11target_archE1200ELNS1_3gpuE4ELNS1_3repE0EEENS1_30default_config_static_selectorELNS0_4arch9wavefront6targetE0EEEvT1_.uses_flat_scratch, 0
	.set _ZN7rocprim17ROCPRIM_400000_NS6detail17trampoline_kernelINS0_14default_configENS1_25transform_config_selectorIlLb0EEEZNS1_14transform_implILb0ES3_S5_NS0_18transform_iteratorINS0_17counting_iteratorImlEEZNS1_24adjacent_difference_implIS3_Lb1ELb0EPlSB_ZN2at6native12_GLOBAL__N_124unique_dim_cuda_templateItEESt5tupleIJNSC_6TensorESH_SH_EERKSH_lbbbEUlllE1_EE10hipError_tPvRmT2_T3_mT4_P12ihipStream_tbEUlmE_lEESB_NS0_8identityIvEEEESM_SP_SQ_mSR_ST_bEUlT_E_NS1_11comp_targetILNS1_3genE10ELNS1_11target_archE1200ELNS1_3gpuE4ELNS1_3repE0EEENS1_30default_config_static_selectorELNS0_4arch9wavefront6targetE0EEEvT1_.has_dyn_sized_stack, 0
	.set _ZN7rocprim17ROCPRIM_400000_NS6detail17trampoline_kernelINS0_14default_configENS1_25transform_config_selectorIlLb0EEEZNS1_14transform_implILb0ES3_S5_NS0_18transform_iteratorINS0_17counting_iteratorImlEEZNS1_24adjacent_difference_implIS3_Lb1ELb0EPlSB_ZN2at6native12_GLOBAL__N_124unique_dim_cuda_templateItEESt5tupleIJNSC_6TensorESH_SH_EERKSH_lbbbEUlllE1_EE10hipError_tPvRmT2_T3_mT4_P12ihipStream_tbEUlmE_lEESB_NS0_8identityIvEEEESM_SP_SQ_mSR_ST_bEUlT_E_NS1_11comp_targetILNS1_3genE10ELNS1_11target_archE1200ELNS1_3gpuE4ELNS1_3repE0EEENS1_30default_config_static_selectorELNS0_4arch9wavefront6targetE0EEEvT1_.has_recursion, 0
	.set _ZN7rocprim17ROCPRIM_400000_NS6detail17trampoline_kernelINS0_14default_configENS1_25transform_config_selectorIlLb0EEEZNS1_14transform_implILb0ES3_S5_NS0_18transform_iteratorINS0_17counting_iteratorImlEEZNS1_24adjacent_difference_implIS3_Lb1ELb0EPlSB_ZN2at6native12_GLOBAL__N_124unique_dim_cuda_templateItEESt5tupleIJNSC_6TensorESH_SH_EERKSH_lbbbEUlllE1_EE10hipError_tPvRmT2_T3_mT4_P12ihipStream_tbEUlmE_lEESB_NS0_8identityIvEEEESM_SP_SQ_mSR_ST_bEUlT_E_NS1_11comp_targetILNS1_3genE10ELNS1_11target_archE1200ELNS1_3gpuE4ELNS1_3repE0EEENS1_30default_config_static_selectorELNS0_4arch9wavefront6targetE0EEEvT1_.has_indirect_call, 0
	.section	.AMDGPU.csdata,"",@progbits
; Kernel info:
; codeLenInByte = 0
; TotalNumSgprs: 0
; NumVgprs: 0
; ScratchSize: 0
; MemoryBound: 0
; FloatMode: 240
; IeeeMode: 1
; LDSByteSize: 0 bytes/workgroup (compile time only)
; SGPRBlocks: 0
; VGPRBlocks: 0
; NumSGPRsForWavesPerEU: 1
; NumVGPRsForWavesPerEU: 1
; NamedBarCnt: 0
; Occupancy: 16
; WaveLimiterHint : 0
; COMPUTE_PGM_RSRC2:SCRATCH_EN: 0
; COMPUTE_PGM_RSRC2:USER_SGPR: 2
; COMPUTE_PGM_RSRC2:TRAP_HANDLER: 0
; COMPUTE_PGM_RSRC2:TGID_X_EN: 1
; COMPUTE_PGM_RSRC2:TGID_Y_EN: 0
; COMPUTE_PGM_RSRC2:TGID_Z_EN: 0
; COMPUTE_PGM_RSRC2:TIDIG_COMP_CNT: 0
	.section	.text._ZN7rocprim17ROCPRIM_400000_NS6detail17trampoline_kernelINS0_14default_configENS1_25transform_config_selectorIlLb0EEEZNS1_14transform_implILb0ES3_S5_NS0_18transform_iteratorINS0_17counting_iteratorImlEEZNS1_24adjacent_difference_implIS3_Lb1ELb0EPlSB_ZN2at6native12_GLOBAL__N_124unique_dim_cuda_templateItEESt5tupleIJNSC_6TensorESH_SH_EERKSH_lbbbEUlllE1_EE10hipError_tPvRmT2_T3_mT4_P12ihipStream_tbEUlmE_lEESB_NS0_8identityIvEEEESM_SP_SQ_mSR_ST_bEUlT_E_NS1_11comp_targetILNS1_3genE9ELNS1_11target_archE1100ELNS1_3gpuE3ELNS1_3repE0EEENS1_30default_config_static_selectorELNS0_4arch9wavefront6targetE0EEEvT1_,"axG",@progbits,_ZN7rocprim17ROCPRIM_400000_NS6detail17trampoline_kernelINS0_14default_configENS1_25transform_config_selectorIlLb0EEEZNS1_14transform_implILb0ES3_S5_NS0_18transform_iteratorINS0_17counting_iteratorImlEEZNS1_24adjacent_difference_implIS3_Lb1ELb0EPlSB_ZN2at6native12_GLOBAL__N_124unique_dim_cuda_templateItEESt5tupleIJNSC_6TensorESH_SH_EERKSH_lbbbEUlllE1_EE10hipError_tPvRmT2_T3_mT4_P12ihipStream_tbEUlmE_lEESB_NS0_8identityIvEEEESM_SP_SQ_mSR_ST_bEUlT_E_NS1_11comp_targetILNS1_3genE9ELNS1_11target_archE1100ELNS1_3gpuE3ELNS1_3repE0EEENS1_30default_config_static_selectorELNS0_4arch9wavefront6targetE0EEEvT1_,comdat
	.globl	_ZN7rocprim17ROCPRIM_400000_NS6detail17trampoline_kernelINS0_14default_configENS1_25transform_config_selectorIlLb0EEEZNS1_14transform_implILb0ES3_S5_NS0_18transform_iteratorINS0_17counting_iteratorImlEEZNS1_24adjacent_difference_implIS3_Lb1ELb0EPlSB_ZN2at6native12_GLOBAL__N_124unique_dim_cuda_templateItEESt5tupleIJNSC_6TensorESH_SH_EERKSH_lbbbEUlllE1_EE10hipError_tPvRmT2_T3_mT4_P12ihipStream_tbEUlmE_lEESB_NS0_8identityIvEEEESM_SP_SQ_mSR_ST_bEUlT_E_NS1_11comp_targetILNS1_3genE9ELNS1_11target_archE1100ELNS1_3gpuE3ELNS1_3repE0EEENS1_30default_config_static_selectorELNS0_4arch9wavefront6targetE0EEEvT1_ ; -- Begin function _ZN7rocprim17ROCPRIM_400000_NS6detail17trampoline_kernelINS0_14default_configENS1_25transform_config_selectorIlLb0EEEZNS1_14transform_implILb0ES3_S5_NS0_18transform_iteratorINS0_17counting_iteratorImlEEZNS1_24adjacent_difference_implIS3_Lb1ELb0EPlSB_ZN2at6native12_GLOBAL__N_124unique_dim_cuda_templateItEESt5tupleIJNSC_6TensorESH_SH_EERKSH_lbbbEUlllE1_EE10hipError_tPvRmT2_T3_mT4_P12ihipStream_tbEUlmE_lEESB_NS0_8identityIvEEEESM_SP_SQ_mSR_ST_bEUlT_E_NS1_11comp_targetILNS1_3genE9ELNS1_11target_archE1100ELNS1_3gpuE3ELNS1_3repE0EEENS1_30default_config_static_selectorELNS0_4arch9wavefront6targetE0EEEvT1_
	.p2align	8
	.type	_ZN7rocprim17ROCPRIM_400000_NS6detail17trampoline_kernelINS0_14default_configENS1_25transform_config_selectorIlLb0EEEZNS1_14transform_implILb0ES3_S5_NS0_18transform_iteratorINS0_17counting_iteratorImlEEZNS1_24adjacent_difference_implIS3_Lb1ELb0EPlSB_ZN2at6native12_GLOBAL__N_124unique_dim_cuda_templateItEESt5tupleIJNSC_6TensorESH_SH_EERKSH_lbbbEUlllE1_EE10hipError_tPvRmT2_T3_mT4_P12ihipStream_tbEUlmE_lEESB_NS0_8identityIvEEEESM_SP_SQ_mSR_ST_bEUlT_E_NS1_11comp_targetILNS1_3genE9ELNS1_11target_archE1100ELNS1_3gpuE3ELNS1_3repE0EEENS1_30default_config_static_selectorELNS0_4arch9wavefront6targetE0EEEvT1_,@function
_ZN7rocprim17ROCPRIM_400000_NS6detail17trampoline_kernelINS0_14default_configENS1_25transform_config_selectorIlLb0EEEZNS1_14transform_implILb0ES3_S5_NS0_18transform_iteratorINS0_17counting_iteratorImlEEZNS1_24adjacent_difference_implIS3_Lb1ELb0EPlSB_ZN2at6native12_GLOBAL__N_124unique_dim_cuda_templateItEESt5tupleIJNSC_6TensorESH_SH_EERKSH_lbbbEUlllE1_EE10hipError_tPvRmT2_T3_mT4_P12ihipStream_tbEUlmE_lEESB_NS0_8identityIvEEEESM_SP_SQ_mSR_ST_bEUlT_E_NS1_11comp_targetILNS1_3genE9ELNS1_11target_archE1100ELNS1_3gpuE3ELNS1_3repE0EEENS1_30default_config_static_selectorELNS0_4arch9wavefront6targetE0EEEvT1_: ; @_ZN7rocprim17ROCPRIM_400000_NS6detail17trampoline_kernelINS0_14default_configENS1_25transform_config_selectorIlLb0EEEZNS1_14transform_implILb0ES3_S5_NS0_18transform_iteratorINS0_17counting_iteratorImlEEZNS1_24adjacent_difference_implIS3_Lb1ELb0EPlSB_ZN2at6native12_GLOBAL__N_124unique_dim_cuda_templateItEESt5tupleIJNSC_6TensorESH_SH_EERKSH_lbbbEUlllE1_EE10hipError_tPvRmT2_T3_mT4_P12ihipStream_tbEUlmE_lEESB_NS0_8identityIvEEEESM_SP_SQ_mSR_ST_bEUlT_E_NS1_11comp_targetILNS1_3genE9ELNS1_11target_archE1100ELNS1_3gpuE3ELNS1_3repE0EEENS1_30default_config_static_selectorELNS0_4arch9wavefront6targetE0EEEvT1_
; %bb.0:
	.section	.rodata,"a",@progbits
	.p2align	6, 0x0
	.amdhsa_kernel _ZN7rocprim17ROCPRIM_400000_NS6detail17trampoline_kernelINS0_14default_configENS1_25transform_config_selectorIlLb0EEEZNS1_14transform_implILb0ES3_S5_NS0_18transform_iteratorINS0_17counting_iteratorImlEEZNS1_24adjacent_difference_implIS3_Lb1ELb0EPlSB_ZN2at6native12_GLOBAL__N_124unique_dim_cuda_templateItEESt5tupleIJNSC_6TensorESH_SH_EERKSH_lbbbEUlllE1_EE10hipError_tPvRmT2_T3_mT4_P12ihipStream_tbEUlmE_lEESB_NS0_8identityIvEEEESM_SP_SQ_mSR_ST_bEUlT_E_NS1_11comp_targetILNS1_3genE9ELNS1_11target_archE1100ELNS1_3gpuE3ELNS1_3repE0EEENS1_30default_config_static_selectorELNS0_4arch9wavefront6targetE0EEEvT1_
		.amdhsa_group_segment_fixed_size 0
		.amdhsa_private_segment_fixed_size 0
		.amdhsa_kernarg_size 56
		.amdhsa_user_sgpr_count 2
		.amdhsa_user_sgpr_dispatch_ptr 0
		.amdhsa_user_sgpr_queue_ptr 0
		.amdhsa_user_sgpr_kernarg_segment_ptr 1
		.amdhsa_user_sgpr_dispatch_id 0
		.amdhsa_user_sgpr_kernarg_preload_length 0
		.amdhsa_user_sgpr_kernarg_preload_offset 0
		.amdhsa_user_sgpr_private_segment_size 0
		.amdhsa_wavefront_size32 1
		.amdhsa_uses_dynamic_stack 0
		.amdhsa_enable_private_segment 0
		.amdhsa_system_sgpr_workgroup_id_x 1
		.amdhsa_system_sgpr_workgroup_id_y 0
		.amdhsa_system_sgpr_workgroup_id_z 0
		.amdhsa_system_sgpr_workgroup_info 0
		.amdhsa_system_vgpr_workitem_id 0
		.amdhsa_next_free_vgpr 1
		.amdhsa_next_free_sgpr 1
		.amdhsa_named_barrier_count 0
		.amdhsa_reserve_vcc 0
		.amdhsa_float_round_mode_32 0
		.amdhsa_float_round_mode_16_64 0
		.amdhsa_float_denorm_mode_32 3
		.amdhsa_float_denorm_mode_16_64 3
		.amdhsa_fp16_overflow 0
		.amdhsa_memory_ordered 1
		.amdhsa_forward_progress 1
		.amdhsa_inst_pref_size 0
		.amdhsa_round_robin_scheduling 0
		.amdhsa_exception_fp_ieee_invalid_op 0
		.amdhsa_exception_fp_denorm_src 0
		.amdhsa_exception_fp_ieee_div_zero 0
		.amdhsa_exception_fp_ieee_overflow 0
		.amdhsa_exception_fp_ieee_underflow 0
		.amdhsa_exception_fp_ieee_inexact 0
		.amdhsa_exception_int_div_zero 0
	.end_amdhsa_kernel
	.section	.text._ZN7rocprim17ROCPRIM_400000_NS6detail17trampoline_kernelINS0_14default_configENS1_25transform_config_selectorIlLb0EEEZNS1_14transform_implILb0ES3_S5_NS0_18transform_iteratorINS0_17counting_iteratorImlEEZNS1_24adjacent_difference_implIS3_Lb1ELb0EPlSB_ZN2at6native12_GLOBAL__N_124unique_dim_cuda_templateItEESt5tupleIJNSC_6TensorESH_SH_EERKSH_lbbbEUlllE1_EE10hipError_tPvRmT2_T3_mT4_P12ihipStream_tbEUlmE_lEESB_NS0_8identityIvEEEESM_SP_SQ_mSR_ST_bEUlT_E_NS1_11comp_targetILNS1_3genE9ELNS1_11target_archE1100ELNS1_3gpuE3ELNS1_3repE0EEENS1_30default_config_static_selectorELNS0_4arch9wavefront6targetE0EEEvT1_,"axG",@progbits,_ZN7rocprim17ROCPRIM_400000_NS6detail17trampoline_kernelINS0_14default_configENS1_25transform_config_selectorIlLb0EEEZNS1_14transform_implILb0ES3_S5_NS0_18transform_iteratorINS0_17counting_iteratorImlEEZNS1_24adjacent_difference_implIS3_Lb1ELb0EPlSB_ZN2at6native12_GLOBAL__N_124unique_dim_cuda_templateItEESt5tupleIJNSC_6TensorESH_SH_EERKSH_lbbbEUlllE1_EE10hipError_tPvRmT2_T3_mT4_P12ihipStream_tbEUlmE_lEESB_NS0_8identityIvEEEESM_SP_SQ_mSR_ST_bEUlT_E_NS1_11comp_targetILNS1_3genE9ELNS1_11target_archE1100ELNS1_3gpuE3ELNS1_3repE0EEENS1_30default_config_static_selectorELNS0_4arch9wavefront6targetE0EEEvT1_,comdat
.Lfunc_end1409:
	.size	_ZN7rocprim17ROCPRIM_400000_NS6detail17trampoline_kernelINS0_14default_configENS1_25transform_config_selectorIlLb0EEEZNS1_14transform_implILb0ES3_S5_NS0_18transform_iteratorINS0_17counting_iteratorImlEEZNS1_24adjacent_difference_implIS3_Lb1ELb0EPlSB_ZN2at6native12_GLOBAL__N_124unique_dim_cuda_templateItEESt5tupleIJNSC_6TensorESH_SH_EERKSH_lbbbEUlllE1_EE10hipError_tPvRmT2_T3_mT4_P12ihipStream_tbEUlmE_lEESB_NS0_8identityIvEEEESM_SP_SQ_mSR_ST_bEUlT_E_NS1_11comp_targetILNS1_3genE9ELNS1_11target_archE1100ELNS1_3gpuE3ELNS1_3repE0EEENS1_30default_config_static_selectorELNS0_4arch9wavefront6targetE0EEEvT1_, .Lfunc_end1409-_ZN7rocprim17ROCPRIM_400000_NS6detail17trampoline_kernelINS0_14default_configENS1_25transform_config_selectorIlLb0EEEZNS1_14transform_implILb0ES3_S5_NS0_18transform_iteratorINS0_17counting_iteratorImlEEZNS1_24adjacent_difference_implIS3_Lb1ELb0EPlSB_ZN2at6native12_GLOBAL__N_124unique_dim_cuda_templateItEESt5tupleIJNSC_6TensorESH_SH_EERKSH_lbbbEUlllE1_EE10hipError_tPvRmT2_T3_mT4_P12ihipStream_tbEUlmE_lEESB_NS0_8identityIvEEEESM_SP_SQ_mSR_ST_bEUlT_E_NS1_11comp_targetILNS1_3genE9ELNS1_11target_archE1100ELNS1_3gpuE3ELNS1_3repE0EEENS1_30default_config_static_selectorELNS0_4arch9wavefront6targetE0EEEvT1_
                                        ; -- End function
	.set _ZN7rocprim17ROCPRIM_400000_NS6detail17trampoline_kernelINS0_14default_configENS1_25transform_config_selectorIlLb0EEEZNS1_14transform_implILb0ES3_S5_NS0_18transform_iteratorINS0_17counting_iteratorImlEEZNS1_24adjacent_difference_implIS3_Lb1ELb0EPlSB_ZN2at6native12_GLOBAL__N_124unique_dim_cuda_templateItEESt5tupleIJNSC_6TensorESH_SH_EERKSH_lbbbEUlllE1_EE10hipError_tPvRmT2_T3_mT4_P12ihipStream_tbEUlmE_lEESB_NS0_8identityIvEEEESM_SP_SQ_mSR_ST_bEUlT_E_NS1_11comp_targetILNS1_3genE9ELNS1_11target_archE1100ELNS1_3gpuE3ELNS1_3repE0EEENS1_30default_config_static_selectorELNS0_4arch9wavefront6targetE0EEEvT1_.num_vgpr, 0
	.set _ZN7rocprim17ROCPRIM_400000_NS6detail17trampoline_kernelINS0_14default_configENS1_25transform_config_selectorIlLb0EEEZNS1_14transform_implILb0ES3_S5_NS0_18transform_iteratorINS0_17counting_iteratorImlEEZNS1_24adjacent_difference_implIS3_Lb1ELb0EPlSB_ZN2at6native12_GLOBAL__N_124unique_dim_cuda_templateItEESt5tupleIJNSC_6TensorESH_SH_EERKSH_lbbbEUlllE1_EE10hipError_tPvRmT2_T3_mT4_P12ihipStream_tbEUlmE_lEESB_NS0_8identityIvEEEESM_SP_SQ_mSR_ST_bEUlT_E_NS1_11comp_targetILNS1_3genE9ELNS1_11target_archE1100ELNS1_3gpuE3ELNS1_3repE0EEENS1_30default_config_static_selectorELNS0_4arch9wavefront6targetE0EEEvT1_.num_agpr, 0
	.set _ZN7rocprim17ROCPRIM_400000_NS6detail17trampoline_kernelINS0_14default_configENS1_25transform_config_selectorIlLb0EEEZNS1_14transform_implILb0ES3_S5_NS0_18transform_iteratorINS0_17counting_iteratorImlEEZNS1_24adjacent_difference_implIS3_Lb1ELb0EPlSB_ZN2at6native12_GLOBAL__N_124unique_dim_cuda_templateItEESt5tupleIJNSC_6TensorESH_SH_EERKSH_lbbbEUlllE1_EE10hipError_tPvRmT2_T3_mT4_P12ihipStream_tbEUlmE_lEESB_NS0_8identityIvEEEESM_SP_SQ_mSR_ST_bEUlT_E_NS1_11comp_targetILNS1_3genE9ELNS1_11target_archE1100ELNS1_3gpuE3ELNS1_3repE0EEENS1_30default_config_static_selectorELNS0_4arch9wavefront6targetE0EEEvT1_.numbered_sgpr, 0
	.set _ZN7rocprim17ROCPRIM_400000_NS6detail17trampoline_kernelINS0_14default_configENS1_25transform_config_selectorIlLb0EEEZNS1_14transform_implILb0ES3_S5_NS0_18transform_iteratorINS0_17counting_iteratorImlEEZNS1_24adjacent_difference_implIS3_Lb1ELb0EPlSB_ZN2at6native12_GLOBAL__N_124unique_dim_cuda_templateItEESt5tupleIJNSC_6TensorESH_SH_EERKSH_lbbbEUlllE1_EE10hipError_tPvRmT2_T3_mT4_P12ihipStream_tbEUlmE_lEESB_NS0_8identityIvEEEESM_SP_SQ_mSR_ST_bEUlT_E_NS1_11comp_targetILNS1_3genE9ELNS1_11target_archE1100ELNS1_3gpuE3ELNS1_3repE0EEENS1_30default_config_static_selectorELNS0_4arch9wavefront6targetE0EEEvT1_.num_named_barrier, 0
	.set _ZN7rocprim17ROCPRIM_400000_NS6detail17trampoline_kernelINS0_14default_configENS1_25transform_config_selectorIlLb0EEEZNS1_14transform_implILb0ES3_S5_NS0_18transform_iteratorINS0_17counting_iteratorImlEEZNS1_24adjacent_difference_implIS3_Lb1ELb0EPlSB_ZN2at6native12_GLOBAL__N_124unique_dim_cuda_templateItEESt5tupleIJNSC_6TensorESH_SH_EERKSH_lbbbEUlllE1_EE10hipError_tPvRmT2_T3_mT4_P12ihipStream_tbEUlmE_lEESB_NS0_8identityIvEEEESM_SP_SQ_mSR_ST_bEUlT_E_NS1_11comp_targetILNS1_3genE9ELNS1_11target_archE1100ELNS1_3gpuE3ELNS1_3repE0EEENS1_30default_config_static_selectorELNS0_4arch9wavefront6targetE0EEEvT1_.private_seg_size, 0
	.set _ZN7rocprim17ROCPRIM_400000_NS6detail17trampoline_kernelINS0_14default_configENS1_25transform_config_selectorIlLb0EEEZNS1_14transform_implILb0ES3_S5_NS0_18transform_iteratorINS0_17counting_iteratorImlEEZNS1_24adjacent_difference_implIS3_Lb1ELb0EPlSB_ZN2at6native12_GLOBAL__N_124unique_dim_cuda_templateItEESt5tupleIJNSC_6TensorESH_SH_EERKSH_lbbbEUlllE1_EE10hipError_tPvRmT2_T3_mT4_P12ihipStream_tbEUlmE_lEESB_NS0_8identityIvEEEESM_SP_SQ_mSR_ST_bEUlT_E_NS1_11comp_targetILNS1_3genE9ELNS1_11target_archE1100ELNS1_3gpuE3ELNS1_3repE0EEENS1_30default_config_static_selectorELNS0_4arch9wavefront6targetE0EEEvT1_.uses_vcc, 0
	.set _ZN7rocprim17ROCPRIM_400000_NS6detail17trampoline_kernelINS0_14default_configENS1_25transform_config_selectorIlLb0EEEZNS1_14transform_implILb0ES3_S5_NS0_18transform_iteratorINS0_17counting_iteratorImlEEZNS1_24adjacent_difference_implIS3_Lb1ELb0EPlSB_ZN2at6native12_GLOBAL__N_124unique_dim_cuda_templateItEESt5tupleIJNSC_6TensorESH_SH_EERKSH_lbbbEUlllE1_EE10hipError_tPvRmT2_T3_mT4_P12ihipStream_tbEUlmE_lEESB_NS0_8identityIvEEEESM_SP_SQ_mSR_ST_bEUlT_E_NS1_11comp_targetILNS1_3genE9ELNS1_11target_archE1100ELNS1_3gpuE3ELNS1_3repE0EEENS1_30default_config_static_selectorELNS0_4arch9wavefront6targetE0EEEvT1_.uses_flat_scratch, 0
	.set _ZN7rocprim17ROCPRIM_400000_NS6detail17trampoline_kernelINS0_14default_configENS1_25transform_config_selectorIlLb0EEEZNS1_14transform_implILb0ES3_S5_NS0_18transform_iteratorINS0_17counting_iteratorImlEEZNS1_24adjacent_difference_implIS3_Lb1ELb0EPlSB_ZN2at6native12_GLOBAL__N_124unique_dim_cuda_templateItEESt5tupleIJNSC_6TensorESH_SH_EERKSH_lbbbEUlllE1_EE10hipError_tPvRmT2_T3_mT4_P12ihipStream_tbEUlmE_lEESB_NS0_8identityIvEEEESM_SP_SQ_mSR_ST_bEUlT_E_NS1_11comp_targetILNS1_3genE9ELNS1_11target_archE1100ELNS1_3gpuE3ELNS1_3repE0EEENS1_30default_config_static_selectorELNS0_4arch9wavefront6targetE0EEEvT1_.has_dyn_sized_stack, 0
	.set _ZN7rocprim17ROCPRIM_400000_NS6detail17trampoline_kernelINS0_14default_configENS1_25transform_config_selectorIlLb0EEEZNS1_14transform_implILb0ES3_S5_NS0_18transform_iteratorINS0_17counting_iteratorImlEEZNS1_24adjacent_difference_implIS3_Lb1ELb0EPlSB_ZN2at6native12_GLOBAL__N_124unique_dim_cuda_templateItEESt5tupleIJNSC_6TensorESH_SH_EERKSH_lbbbEUlllE1_EE10hipError_tPvRmT2_T3_mT4_P12ihipStream_tbEUlmE_lEESB_NS0_8identityIvEEEESM_SP_SQ_mSR_ST_bEUlT_E_NS1_11comp_targetILNS1_3genE9ELNS1_11target_archE1100ELNS1_3gpuE3ELNS1_3repE0EEENS1_30default_config_static_selectorELNS0_4arch9wavefront6targetE0EEEvT1_.has_recursion, 0
	.set _ZN7rocprim17ROCPRIM_400000_NS6detail17trampoline_kernelINS0_14default_configENS1_25transform_config_selectorIlLb0EEEZNS1_14transform_implILb0ES3_S5_NS0_18transform_iteratorINS0_17counting_iteratorImlEEZNS1_24adjacent_difference_implIS3_Lb1ELb0EPlSB_ZN2at6native12_GLOBAL__N_124unique_dim_cuda_templateItEESt5tupleIJNSC_6TensorESH_SH_EERKSH_lbbbEUlllE1_EE10hipError_tPvRmT2_T3_mT4_P12ihipStream_tbEUlmE_lEESB_NS0_8identityIvEEEESM_SP_SQ_mSR_ST_bEUlT_E_NS1_11comp_targetILNS1_3genE9ELNS1_11target_archE1100ELNS1_3gpuE3ELNS1_3repE0EEENS1_30default_config_static_selectorELNS0_4arch9wavefront6targetE0EEEvT1_.has_indirect_call, 0
	.section	.AMDGPU.csdata,"",@progbits
; Kernel info:
; codeLenInByte = 0
; TotalNumSgprs: 0
; NumVgprs: 0
; ScratchSize: 0
; MemoryBound: 0
; FloatMode: 240
; IeeeMode: 1
; LDSByteSize: 0 bytes/workgroup (compile time only)
; SGPRBlocks: 0
; VGPRBlocks: 0
; NumSGPRsForWavesPerEU: 1
; NumVGPRsForWavesPerEU: 1
; NamedBarCnt: 0
; Occupancy: 16
; WaveLimiterHint : 0
; COMPUTE_PGM_RSRC2:SCRATCH_EN: 0
; COMPUTE_PGM_RSRC2:USER_SGPR: 2
; COMPUTE_PGM_RSRC2:TRAP_HANDLER: 0
; COMPUTE_PGM_RSRC2:TGID_X_EN: 1
; COMPUTE_PGM_RSRC2:TGID_Y_EN: 0
; COMPUTE_PGM_RSRC2:TGID_Z_EN: 0
; COMPUTE_PGM_RSRC2:TIDIG_COMP_CNT: 0
	.section	.text._ZN7rocprim17ROCPRIM_400000_NS6detail17trampoline_kernelINS0_14default_configENS1_25transform_config_selectorIlLb0EEEZNS1_14transform_implILb0ES3_S5_NS0_18transform_iteratorINS0_17counting_iteratorImlEEZNS1_24adjacent_difference_implIS3_Lb1ELb0EPlSB_ZN2at6native12_GLOBAL__N_124unique_dim_cuda_templateItEESt5tupleIJNSC_6TensorESH_SH_EERKSH_lbbbEUlllE1_EE10hipError_tPvRmT2_T3_mT4_P12ihipStream_tbEUlmE_lEESB_NS0_8identityIvEEEESM_SP_SQ_mSR_ST_bEUlT_E_NS1_11comp_targetILNS1_3genE8ELNS1_11target_archE1030ELNS1_3gpuE2ELNS1_3repE0EEENS1_30default_config_static_selectorELNS0_4arch9wavefront6targetE0EEEvT1_,"axG",@progbits,_ZN7rocprim17ROCPRIM_400000_NS6detail17trampoline_kernelINS0_14default_configENS1_25transform_config_selectorIlLb0EEEZNS1_14transform_implILb0ES3_S5_NS0_18transform_iteratorINS0_17counting_iteratorImlEEZNS1_24adjacent_difference_implIS3_Lb1ELb0EPlSB_ZN2at6native12_GLOBAL__N_124unique_dim_cuda_templateItEESt5tupleIJNSC_6TensorESH_SH_EERKSH_lbbbEUlllE1_EE10hipError_tPvRmT2_T3_mT4_P12ihipStream_tbEUlmE_lEESB_NS0_8identityIvEEEESM_SP_SQ_mSR_ST_bEUlT_E_NS1_11comp_targetILNS1_3genE8ELNS1_11target_archE1030ELNS1_3gpuE2ELNS1_3repE0EEENS1_30default_config_static_selectorELNS0_4arch9wavefront6targetE0EEEvT1_,comdat
	.globl	_ZN7rocprim17ROCPRIM_400000_NS6detail17trampoline_kernelINS0_14default_configENS1_25transform_config_selectorIlLb0EEEZNS1_14transform_implILb0ES3_S5_NS0_18transform_iteratorINS0_17counting_iteratorImlEEZNS1_24adjacent_difference_implIS3_Lb1ELb0EPlSB_ZN2at6native12_GLOBAL__N_124unique_dim_cuda_templateItEESt5tupleIJNSC_6TensorESH_SH_EERKSH_lbbbEUlllE1_EE10hipError_tPvRmT2_T3_mT4_P12ihipStream_tbEUlmE_lEESB_NS0_8identityIvEEEESM_SP_SQ_mSR_ST_bEUlT_E_NS1_11comp_targetILNS1_3genE8ELNS1_11target_archE1030ELNS1_3gpuE2ELNS1_3repE0EEENS1_30default_config_static_selectorELNS0_4arch9wavefront6targetE0EEEvT1_ ; -- Begin function _ZN7rocprim17ROCPRIM_400000_NS6detail17trampoline_kernelINS0_14default_configENS1_25transform_config_selectorIlLb0EEEZNS1_14transform_implILb0ES3_S5_NS0_18transform_iteratorINS0_17counting_iteratorImlEEZNS1_24adjacent_difference_implIS3_Lb1ELb0EPlSB_ZN2at6native12_GLOBAL__N_124unique_dim_cuda_templateItEESt5tupleIJNSC_6TensorESH_SH_EERKSH_lbbbEUlllE1_EE10hipError_tPvRmT2_T3_mT4_P12ihipStream_tbEUlmE_lEESB_NS0_8identityIvEEEESM_SP_SQ_mSR_ST_bEUlT_E_NS1_11comp_targetILNS1_3genE8ELNS1_11target_archE1030ELNS1_3gpuE2ELNS1_3repE0EEENS1_30default_config_static_selectorELNS0_4arch9wavefront6targetE0EEEvT1_
	.p2align	8
	.type	_ZN7rocprim17ROCPRIM_400000_NS6detail17trampoline_kernelINS0_14default_configENS1_25transform_config_selectorIlLb0EEEZNS1_14transform_implILb0ES3_S5_NS0_18transform_iteratorINS0_17counting_iteratorImlEEZNS1_24adjacent_difference_implIS3_Lb1ELb0EPlSB_ZN2at6native12_GLOBAL__N_124unique_dim_cuda_templateItEESt5tupleIJNSC_6TensorESH_SH_EERKSH_lbbbEUlllE1_EE10hipError_tPvRmT2_T3_mT4_P12ihipStream_tbEUlmE_lEESB_NS0_8identityIvEEEESM_SP_SQ_mSR_ST_bEUlT_E_NS1_11comp_targetILNS1_3genE8ELNS1_11target_archE1030ELNS1_3gpuE2ELNS1_3repE0EEENS1_30default_config_static_selectorELNS0_4arch9wavefront6targetE0EEEvT1_,@function
_ZN7rocprim17ROCPRIM_400000_NS6detail17trampoline_kernelINS0_14default_configENS1_25transform_config_selectorIlLb0EEEZNS1_14transform_implILb0ES3_S5_NS0_18transform_iteratorINS0_17counting_iteratorImlEEZNS1_24adjacent_difference_implIS3_Lb1ELb0EPlSB_ZN2at6native12_GLOBAL__N_124unique_dim_cuda_templateItEESt5tupleIJNSC_6TensorESH_SH_EERKSH_lbbbEUlllE1_EE10hipError_tPvRmT2_T3_mT4_P12ihipStream_tbEUlmE_lEESB_NS0_8identityIvEEEESM_SP_SQ_mSR_ST_bEUlT_E_NS1_11comp_targetILNS1_3genE8ELNS1_11target_archE1030ELNS1_3gpuE2ELNS1_3repE0EEENS1_30default_config_static_selectorELNS0_4arch9wavefront6targetE0EEEvT1_: ; @_ZN7rocprim17ROCPRIM_400000_NS6detail17trampoline_kernelINS0_14default_configENS1_25transform_config_selectorIlLb0EEEZNS1_14transform_implILb0ES3_S5_NS0_18transform_iteratorINS0_17counting_iteratorImlEEZNS1_24adjacent_difference_implIS3_Lb1ELb0EPlSB_ZN2at6native12_GLOBAL__N_124unique_dim_cuda_templateItEESt5tupleIJNSC_6TensorESH_SH_EERKSH_lbbbEUlllE1_EE10hipError_tPvRmT2_T3_mT4_P12ihipStream_tbEUlmE_lEESB_NS0_8identityIvEEEESM_SP_SQ_mSR_ST_bEUlT_E_NS1_11comp_targetILNS1_3genE8ELNS1_11target_archE1030ELNS1_3gpuE2ELNS1_3repE0EEENS1_30default_config_static_selectorELNS0_4arch9wavefront6targetE0EEEvT1_
; %bb.0:
	.section	.rodata,"a",@progbits
	.p2align	6, 0x0
	.amdhsa_kernel _ZN7rocprim17ROCPRIM_400000_NS6detail17trampoline_kernelINS0_14default_configENS1_25transform_config_selectorIlLb0EEEZNS1_14transform_implILb0ES3_S5_NS0_18transform_iteratorINS0_17counting_iteratorImlEEZNS1_24adjacent_difference_implIS3_Lb1ELb0EPlSB_ZN2at6native12_GLOBAL__N_124unique_dim_cuda_templateItEESt5tupleIJNSC_6TensorESH_SH_EERKSH_lbbbEUlllE1_EE10hipError_tPvRmT2_T3_mT4_P12ihipStream_tbEUlmE_lEESB_NS0_8identityIvEEEESM_SP_SQ_mSR_ST_bEUlT_E_NS1_11comp_targetILNS1_3genE8ELNS1_11target_archE1030ELNS1_3gpuE2ELNS1_3repE0EEENS1_30default_config_static_selectorELNS0_4arch9wavefront6targetE0EEEvT1_
		.amdhsa_group_segment_fixed_size 0
		.amdhsa_private_segment_fixed_size 0
		.amdhsa_kernarg_size 56
		.amdhsa_user_sgpr_count 2
		.amdhsa_user_sgpr_dispatch_ptr 0
		.amdhsa_user_sgpr_queue_ptr 0
		.amdhsa_user_sgpr_kernarg_segment_ptr 1
		.amdhsa_user_sgpr_dispatch_id 0
		.amdhsa_user_sgpr_kernarg_preload_length 0
		.amdhsa_user_sgpr_kernarg_preload_offset 0
		.amdhsa_user_sgpr_private_segment_size 0
		.amdhsa_wavefront_size32 1
		.amdhsa_uses_dynamic_stack 0
		.amdhsa_enable_private_segment 0
		.amdhsa_system_sgpr_workgroup_id_x 1
		.amdhsa_system_sgpr_workgroup_id_y 0
		.amdhsa_system_sgpr_workgroup_id_z 0
		.amdhsa_system_sgpr_workgroup_info 0
		.amdhsa_system_vgpr_workitem_id 0
		.amdhsa_next_free_vgpr 1
		.amdhsa_next_free_sgpr 1
		.amdhsa_named_barrier_count 0
		.amdhsa_reserve_vcc 0
		.amdhsa_float_round_mode_32 0
		.amdhsa_float_round_mode_16_64 0
		.amdhsa_float_denorm_mode_32 3
		.amdhsa_float_denorm_mode_16_64 3
		.amdhsa_fp16_overflow 0
		.amdhsa_memory_ordered 1
		.amdhsa_forward_progress 1
		.amdhsa_inst_pref_size 0
		.amdhsa_round_robin_scheduling 0
		.amdhsa_exception_fp_ieee_invalid_op 0
		.amdhsa_exception_fp_denorm_src 0
		.amdhsa_exception_fp_ieee_div_zero 0
		.amdhsa_exception_fp_ieee_overflow 0
		.amdhsa_exception_fp_ieee_underflow 0
		.amdhsa_exception_fp_ieee_inexact 0
		.amdhsa_exception_int_div_zero 0
	.end_amdhsa_kernel
	.section	.text._ZN7rocprim17ROCPRIM_400000_NS6detail17trampoline_kernelINS0_14default_configENS1_25transform_config_selectorIlLb0EEEZNS1_14transform_implILb0ES3_S5_NS0_18transform_iteratorINS0_17counting_iteratorImlEEZNS1_24adjacent_difference_implIS3_Lb1ELb0EPlSB_ZN2at6native12_GLOBAL__N_124unique_dim_cuda_templateItEESt5tupleIJNSC_6TensorESH_SH_EERKSH_lbbbEUlllE1_EE10hipError_tPvRmT2_T3_mT4_P12ihipStream_tbEUlmE_lEESB_NS0_8identityIvEEEESM_SP_SQ_mSR_ST_bEUlT_E_NS1_11comp_targetILNS1_3genE8ELNS1_11target_archE1030ELNS1_3gpuE2ELNS1_3repE0EEENS1_30default_config_static_selectorELNS0_4arch9wavefront6targetE0EEEvT1_,"axG",@progbits,_ZN7rocprim17ROCPRIM_400000_NS6detail17trampoline_kernelINS0_14default_configENS1_25transform_config_selectorIlLb0EEEZNS1_14transform_implILb0ES3_S5_NS0_18transform_iteratorINS0_17counting_iteratorImlEEZNS1_24adjacent_difference_implIS3_Lb1ELb0EPlSB_ZN2at6native12_GLOBAL__N_124unique_dim_cuda_templateItEESt5tupleIJNSC_6TensorESH_SH_EERKSH_lbbbEUlllE1_EE10hipError_tPvRmT2_T3_mT4_P12ihipStream_tbEUlmE_lEESB_NS0_8identityIvEEEESM_SP_SQ_mSR_ST_bEUlT_E_NS1_11comp_targetILNS1_3genE8ELNS1_11target_archE1030ELNS1_3gpuE2ELNS1_3repE0EEENS1_30default_config_static_selectorELNS0_4arch9wavefront6targetE0EEEvT1_,comdat
.Lfunc_end1410:
	.size	_ZN7rocprim17ROCPRIM_400000_NS6detail17trampoline_kernelINS0_14default_configENS1_25transform_config_selectorIlLb0EEEZNS1_14transform_implILb0ES3_S5_NS0_18transform_iteratorINS0_17counting_iteratorImlEEZNS1_24adjacent_difference_implIS3_Lb1ELb0EPlSB_ZN2at6native12_GLOBAL__N_124unique_dim_cuda_templateItEESt5tupleIJNSC_6TensorESH_SH_EERKSH_lbbbEUlllE1_EE10hipError_tPvRmT2_T3_mT4_P12ihipStream_tbEUlmE_lEESB_NS0_8identityIvEEEESM_SP_SQ_mSR_ST_bEUlT_E_NS1_11comp_targetILNS1_3genE8ELNS1_11target_archE1030ELNS1_3gpuE2ELNS1_3repE0EEENS1_30default_config_static_selectorELNS0_4arch9wavefront6targetE0EEEvT1_, .Lfunc_end1410-_ZN7rocprim17ROCPRIM_400000_NS6detail17trampoline_kernelINS0_14default_configENS1_25transform_config_selectorIlLb0EEEZNS1_14transform_implILb0ES3_S5_NS0_18transform_iteratorINS0_17counting_iteratorImlEEZNS1_24adjacent_difference_implIS3_Lb1ELb0EPlSB_ZN2at6native12_GLOBAL__N_124unique_dim_cuda_templateItEESt5tupleIJNSC_6TensorESH_SH_EERKSH_lbbbEUlllE1_EE10hipError_tPvRmT2_T3_mT4_P12ihipStream_tbEUlmE_lEESB_NS0_8identityIvEEEESM_SP_SQ_mSR_ST_bEUlT_E_NS1_11comp_targetILNS1_3genE8ELNS1_11target_archE1030ELNS1_3gpuE2ELNS1_3repE0EEENS1_30default_config_static_selectorELNS0_4arch9wavefront6targetE0EEEvT1_
                                        ; -- End function
	.set _ZN7rocprim17ROCPRIM_400000_NS6detail17trampoline_kernelINS0_14default_configENS1_25transform_config_selectorIlLb0EEEZNS1_14transform_implILb0ES3_S5_NS0_18transform_iteratorINS0_17counting_iteratorImlEEZNS1_24adjacent_difference_implIS3_Lb1ELb0EPlSB_ZN2at6native12_GLOBAL__N_124unique_dim_cuda_templateItEESt5tupleIJNSC_6TensorESH_SH_EERKSH_lbbbEUlllE1_EE10hipError_tPvRmT2_T3_mT4_P12ihipStream_tbEUlmE_lEESB_NS0_8identityIvEEEESM_SP_SQ_mSR_ST_bEUlT_E_NS1_11comp_targetILNS1_3genE8ELNS1_11target_archE1030ELNS1_3gpuE2ELNS1_3repE0EEENS1_30default_config_static_selectorELNS0_4arch9wavefront6targetE0EEEvT1_.num_vgpr, 0
	.set _ZN7rocprim17ROCPRIM_400000_NS6detail17trampoline_kernelINS0_14default_configENS1_25transform_config_selectorIlLb0EEEZNS1_14transform_implILb0ES3_S5_NS0_18transform_iteratorINS0_17counting_iteratorImlEEZNS1_24adjacent_difference_implIS3_Lb1ELb0EPlSB_ZN2at6native12_GLOBAL__N_124unique_dim_cuda_templateItEESt5tupleIJNSC_6TensorESH_SH_EERKSH_lbbbEUlllE1_EE10hipError_tPvRmT2_T3_mT4_P12ihipStream_tbEUlmE_lEESB_NS0_8identityIvEEEESM_SP_SQ_mSR_ST_bEUlT_E_NS1_11comp_targetILNS1_3genE8ELNS1_11target_archE1030ELNS1_3gpuE2ELNS1_3repE0EEENS1_30default_config_static_selectorELNS0_4arch9wavefront6targetE0EEEvT1_.num_agpr, 0
	.set _ZN7rocprim17ROCPRIM_400000_NS6detail17trampoline_kernelINS0_14default_configENS1_25transform_config_selectorIlLb0EEEZNS1_14transform_implILb0ES3_S5_NS0_18transform_iteratorINS0_17counting_iteratorImlEEZNS1_24adjacent_difference_implIS3_Lb1ELb0EPlSB_ZN2at6native12_GLOBAL__N_124unique_dim_cuda_templateItEESt5tupleIJNSC_6TensorESH_SH_EERKSH_lbbbEUlllE1_EE10hipError_tPvRmT2_T3_mT4_P12ihipStream_tbEUlmE_lEESB_NS0_8identityIvEEEESM_SP_SQ_mSR_ST_bEUlT_E_NS1_11comp_targetILNS1_3genE8ELNS1_11target_archE1030ELNS1_3gpuE2ELNS1_3repE0EEENS1_30default_config_static_selectorELNS0_4arch9wavefront6targetE0EEEvT1_.numbered_sgpr, 0
	.set _ZN7rocprim17ROCPRIM_400000_NS6detail17trampoline_kernelINS0_14default_configENS1_25transform_config_selectorIlLb0EEEZNS1_14transform_implILb0ES3_S5_NS0_18transform_iteratorINS0_17counting_iteratorImlEEZNS1_24adjacent_difference_implIS3_Lb1ELb0EPlSB_ZN2at6native12_GLOBAL__N_124unique_dim_cuda_templateItEESt5tupleIJNSC_6TensorESH_SH_EERKSH_lbbbEUlllE1_EE10hipError_tPvRmT2_T3_mT4_P12ihipStream_tbEUlmE_lEESB_NS0_8identityIvEEEESM_SP_SQ_mSR_ST_bEUlT_E_NS1_11comp_targetILNS1_3genE8ELNS1_11target_archE1030ELNS1_3gpuE2ELNS1_3repE0EEENS1_30default_config_static_selectorELNS0_4arch9wavefront6targetE0EEEvT1_.num_named_barrier, 0
	.set _ZN7rocprim17ROCPRIM_400000_NS6detail17trampoline_kernelINS0_14default_configENS1_25transform_config_selectorIlLb0EEEZNS1_14transform_implILb0ES3_S5_NS0_18transform_iteratorINS0_17counting_iteratorImlEEZNS1_24adjacent_difference_implIS3_Lb1ELb0EPlSB_ZN2at6native12_GLOBAL__N_124unique_dim_cuda_templateItEESt5tupleIJNSC_6TensorESH_SH_EERKSH_lbbbEUlllE1_EE10hipError_tPvRmT2_T3_mT4_P12ihipStream_tbEUlmE_lEESB_NS0_8identityIvEEEESM_SP_SQ_mSR_ST_bEUlT_E_NS1_11comp_targetILNS1_3genE8ELNS1_11target_archE1030ELNS1_3gpuE2ELNS1_3repE0EEENS1_30default_config_static_selectorELNS0_4arch9wavefront6targetE0EEEvT1_.private_seg_size, 0
	.set _ZN7rocprim17ROCPRIM_400000_NS6detail17trampoline_kernelINS0_14default_configENS1_25transform_config_selectorIlLb0EEEZNS1_14transform_implILb0ES3_S5_NS0_18transform_iteratorINS0_17counting_iteratorImlEEZNS1_24adjacent_difference_implIS3_Lb1ELb0EPlSB_ZN2at6native12_GLOBAL__N_124unique_dim_cuda_templateItEESt5tupleIJNSC_6TensorESH_SH_EERKSH_lbbbEUlllE1_EE10hipError_tPvRmT2_T3_mT4_P12ihipStream_tbEUlmE_lEESB_NS0_8identityIvEEEESM_SP_SQ_mSR_ST_bEUlT_E_NS1_11comp_targetILNS1_3genE8ELNS1_11target_archE1030ELNS1_3gpuE2ELNS1_3repE0EEENS1_30default_config_static_selectorELNS0_4arch9wavefront6targetE0EEEvT1_.uses_vcc, 0
	.set _ZN7rocprim17ROCPRIM_400000_NS6detail17trampoline_kernelINS0_14default_configENS1_25transform_config_selectorIlLb0EEEZNS1_14transform_implILb0ES3_S5_NS0_18transform_iteratorINS0_17counting_iteratorImlEEZNS1_24adjacent_difference_implIS3_Lb1ELb0EPlSB_ZN2at6native12_GLOBAL__N_124unique_dim_cuda_templateItEESt5tupleIJNSC_6TensorESH_SH_EERKSH_lbbbEUlllE1_EE10hipError_tPvRmT2_T3_mT4_P12ihipStream_tbEUlmE_lEESB_NS0_8identityIvEEEESM_SP_SQ_mSR_ST_bEUlT_E_NS1_11comp_targetILNS1_3genE8ELNS1_11target_archE1030ELNS1_3gpuE2ELNS1_3repE0EEENS1_30default_config_static_selectorELNS0_4arch9wavefront6targetE0EEEvT1_.uses_flat_scratch, 0
	.set _ZN7rocprim17ROCPRIM_400000_NS6detail17trampoline_kernelINS0_14default_configENS1_25transform_config_selectorIlLb0EEEZNS1_14transform_implILb0ES3_S5_NS0_18transform_iteratorINS0_17counting_iteratorImlEEZNS1_24adjacent_difference_implIS3_Lb1ELb0EPlSB_ZN2at6native12_GLOBAL__N_124unique_dim_cuda_templateItEESt5tupleIJNSC_6TensorESH_SH_EERKSH_lbbbEUlllE1_EE10hipError_tPvRmT2_T3_mT4_P12ihipStream_tbEUlmE_lEESB_NS0_8identityIvEEEESM_SP_SQ_mSR_ST_bEUlT_E_NS1_11comp_targetILNS1_3genE8ELNS1_11target_archE1030ELNS1_3gpuE2ELNS1_3repE0EEENS1_30default_config_static_selectorELNS0_4arch9wavefront6targetE0EEEvT1_.has_dyn_sized_stack, 0
	.set _ZN7rocprim17ROCPRIM_400000_NS6detail17trampoline_kernelINS0_14default_configENS1_25transform_config_selectorIlLb0EEEZNS1_14transform_implILb0ES3_S5_NS0_18transform_iteratorINS0_17counting_iteratorImlEEZNS1_24adjacent_difference_implIS3_Lb1ELb0EPlSB_ZN2at6native12_GLOBAL__N_124unique_dim_cuda_templateItEESt5tupleIJNSC_6TensorESH_SH_EERKSH_lbbbEUlllE1_EE10hipError_tPvRmT2_T3_mT4_P12ihipStream_tbEUlmE_lEESB_NS0_8identityIvEEEESM_SP_SQ_mSR_ST_bEUlT_E_NS1_11comp_targetILNS1_3genE8ELNS1_11target_archE1030ELNS1_3gpuE2ELNS1_3repE0EEENS1_30default_config_static_selectorELNS0_4arch9wavefront6targetE0EEEvT1_.has_recursion, 0
	.set _ZN7rocprim17ROCPRIM_400000_NS6detail17trampoline_kernelINS0_14default_configENS1_25transform_config_selectorIlLb0EEEZNS1_14transform_implILb0ES3_S5_NS0_18transform_iteratorINS0_17counting_iteratorImlEEZNS1_24adjacent_difference_implIS3_Lb1ELb0EPlSB_ZN2at6native12_GLOBAL__N_124unique_dim_cuda_templateItEESt5tupleIJNSC_6TensorESH_SH_EERKSH_lbbbEUlllE1_EE10hipError_tPvRmT2_T3_mT4_P12ihipStream_tbEUlmE_lEESB_NS0_8identityIvEEEESM_SP_SQ_mSR_ST_bEUlT_E_NS1_11comp_targetILNS1_3genE8ELNS1_11target_archE1030ELNS1_3gpuE2ELNS1_3repE0EEENS1_30default_config_static_selectorELNS0_4arch9wavefront6targetE0EEEvT1_.has_indirect_call, 0
	.section	.AMDGPU.csdata,"",@progbits
; Kernel info:
; codeLenInByte = 0
; TotalNumSgprs: 0
; NumVgprs: 0
; ScratchSize: 0
; MemoryBound: 0
; FloatMode: 240
; IeeeMode: 1
; LDSByteSize: 0 bytes/workgroup (compile time only)
; SGPRBlocks: 0
; VGPRBlocks: 0
; NumSGPRsForWavesPerEU: 1
; NumVGPRsForWavesPerEU: 1
; NamedBarCnt: 0
; Occupancy: 16
; WaveLimiterHint : 0
; COMPUTE_PGM_RSRC2:SCRATCH_EN: 0
; COMPUTE_PGM_RSRC2:USER_SGPR: 2
; COMPUTE_PGM_RSRC2:TRAP_HANDLER: 0
; COMPUTE_PGM_RSRC2:TGID_X_EN: 1
; COMPUTE_PGM_RSRC2:TGID_Y_EN: 0
; COMPUTE_PGM_RSRC2:TGID_Z_EN: 0
; COMPUTE_PGM_RSRC2:TIDIG_COMP_CNT: 0
	.section	.text._ZN7rocprim17ROCPRIM_400000_NS6detail17trampoline_kernelINS0_14default_configENS1_35adjacent_difference_config_selectorILb1ElEEZNS1_24adjacent_difference_implIS3_Lb1ELb0EPlS7_ZN2at6native12_GLOBAL__N_124unique_dim_cuda_templateItEESt5tupleIJNS8_6TensorESD_SD_EERKSD_lbbbEUlllE1_EE10hipError_tPvRmT2_T3_mT4_P12ihipStream_tbEUlT_E_NS1_11comp_targetILNS1_3genE0ELNS1_11target_archE4294967295ELNS1_3gpuE0ELNS1_3repE0EEENS1_30default_config_static_selectorELNS0_4arch9wavefront6targetE0EEEvT1_,"axG",@progbits,_ZN7rocprim17ROCPRIM_400000_NS6detail17trampoline_kernelINS0_14default_configENS1_35adjacent_difference_config_selectorILb1ElEEZNS1_24adjacent_difference_implIS3_Lb1ELb0EPlS7_ZN2at6native12_GLOBAL__N_124unique_dim_cuda_templateItEESt5tupleIJNS8_6TensorESD_SD_EERKSD_lbbbEUlllE1_EE10hipError_tPvRmT2_T3_mT4_P12ihipStream_tbEUlT_E_NS1_11comp_targetILNS1_3genE0ELNS1_11target_archE4294967295ELNS1_3gpuE0ELNS1_3repE0EEENS1_30default_config_static_selectorELNS0_4arch9wavefront6targetE0EEEvT1_,comdat
	.globl	_ZN7rocprim17ROCPRIM_400000_NS6detail17trampoline_kernelINS0_14default_configENS1_35adjacent_difference_config_selectorILb1ElEEZNS1_24adjacent_difference_implIS3_Lb1ELb0EPlS7_ZN2at6native12_GLOBAL__N_124unique_dim_cuda_templateItEESt5tupleIJNS8_6TensorESD_SD_EERKSD_lbbbEUlllE1_EE10hipError_tPvRmT2_T3_mT4_P12ihipStream_tbEUlT_E_NS1_11comp_targetILNS1_3genE0ELNS1_11target_archE4294967295ELNS1_3gpuE0ELNS1_3repE0EEENS1_30default_config_static_selectorELNS0_4arch9wavefront6targetE0EEEvT1_ ; -- Begin function _ZN7rocprim17ROCPRIM_400000_NS6detail17trampoline_kernelINS0_14default_configENS1_35adjacent_difference_config_selectorILb1ElEEZNS1_24adjacent_difference_implIS3_Lb1ELb0EPlS7_ZN2at6native12_GLOBAL__N_124unique_dim_cuda_templateItEESt5tupleIJNS8_6TensorESD_SD_EERKSD_lbbbEUlllE1_EE10hipError_tPvRmT2_T3_mT4_P12ihipStream_tbEUlT_E_NS1_11comp_targetILNS1_3genE0ELNS1_11target_archE4294967295ELNS1_3gpuE0ELNS1_3repE0EEENS1_30default_config_static_selectorELNS0_4arch9wavefront6targetE0EEEvT1_
	.p2align	8
	.type	_ZN7rocprim17ROCPRIM_400000_NS6detail17trampoline_kernelINS0_14default_configENS1_35adjacent_difference_config_selectorILb1ElEEZNS1_24adjacent_difference_implIS3_Lb1ELb0EPlS7_ZN2at6native12_GLOBAL__N_124unique_dim_cuda_templateItEESt5tupleIJNS8_6TensorESD_SD_EERKSD_lbbbEUlllE1_EE10hipError_tPvRmT2_T3_mT4_P12ihipStream_tbEUlT_E_NS1_11comp_targetILNS1_3genE0ELNS1_11target_archE4294967295ELNS1_3gpuE0ELNS1_3repE0EEENS1_30default_config_static_selectorELNS0_4arch9wavefront6targetE0EEEvT1_,@function
_ZN7rocprim17ROCPRIM_400000_NS6detail17trampoline_kernelINS0_14default_configENS1_35adjacent_difference_config_selectorILb1ElEEZNS1_24adjacent_difference_implIS3_Lb1ELb0EPlS7_ZN2at6native12_GLOBAL__N_124unique_dim_cuda_templateItEESt5tupleIJNS8_6TensorESD_SD_EERKSD_lbbbEUlllE1_EE10hipError_tPvRmT2_T3_mT4_P12ihipStream_tbEUlT_E_NS1_11comp_targetILNS1_3genE0ELNS1_11target_archE4294967295ELNS1_3gpuE0ELNS1_3repE0EEENS1_30default_config_static_selectorELNS0_4arch9wavefront6targetE0EEEvT1_: ; @_ZN7rocprim17ROCPRIM_400000_NS6detail17trampoline_kernelINS0_14default_configENS1_35adjacent_difference_config_selectorILb1ElEEZNS1_24adjacent_difference_implIS3_Lb1ELb0EPlS7_ZN2at6native12_GLOBAL__N_124unique_dim_cuda_templateItEESt5tupleIJNS8_6TensorESD_SD_EERKSD_lbbbEUlllE1_EE10hipError_tPvRmT2_T3_mT4_P12ihipStream_tbEUlT_E_NS1_11comp_targetILNS1_3genE0ELNS1_11target_archE4294967295ELNS1_3gpuE0ELNS1_3repE0EEENS1_30default_config_static_selectorELNS0_4arch9wavefront6targetE0EEEvT1_
; %bb.0:
	s_load_b512 s[4:19], s[0:1], 0x0
	s_wait_xcnt 0x0
	s_bfe_u32 s0, ttmp6, 0x4000c
	s_and_b32 s1, ttmp6, 15
	s_add_co_i32 s0, s0, 1
	s_getreg_b32 s2, hwreg(HW_REG_IB_STS2, 6, 4)
	s_mul_i32 s0, ttmp9, s0
	s_mov_b32 s25, 0
	s_add_co_i32 s1, s1, s0
	s_wait_kmcnt 0x0
	s_lshl_b64 s[20:21], s[6:7], 3
	s_cmp_eq_u32 s2, 0
	s_add_nc_u64 s[4:5], s[4:5], s[20:21]
	s_cselect_b32 s3, ttmp9, s1
	s_and_b64 s[6:7], s[10:11], 0x3ff
	s_lshr_b64 s[0:1], s[10:11], 10
	s_lshl_b32 s2, s3, 10
	s_cmp_lg_u64 s[6:7], 0
	s_cselect_b32 s6, -1, 0
	s_delay_alu instid0(SALU_CYCLE_1) | instskip(NEXT) | instid1(VALU_DEP_1)
	v_cndmask_b32_e64 v1, 0, 1, s6
	v_readfirstlane_b32 s24, v1
	s_add_nc_u64 s[0:1], s[0:1], s[24:25]
	s_mov_b32 s24, s3
	s_add_nc_u64 s[6:7], s[0:1], -1
	s_add_nc_u64 s[22:23], s[18:19], s[24:25]
	s_mov_b32 s3, -1
	v_cmp_ge_u64_e64 s11, s[22:23], s[6:7]
	s_and_b32 vcc_lo, exec_lo, s11
	s_cbranch_vccz .LBB1411_6
; %bb.1:
	v_mov_b32_e32 v2, 0
	s_lshl_b32 s3, s6, 10
	s_delay_alu instid0(SALU_CYCLE_1) | instskip(SKIP_1) | instid1(VALU_DEP_1)
	s_sub_co_i32 s28, s10, s3
	s_mov_b32 s3, s25
	v_dual_mov_b32 v3, v2 :: v_dual_mov_b32 v4, v2
	v_mov_b32_e32 v5, v2
	s_lshl_b64 s[26:27], s[2:3], 3
	s_mov_b32 s3, exec_lo
	s_add_nc_u64 s[26:27], s[4:5], s[26:27]
	v_cmpx_gt_u32_e64 s28, v0
	s_cbranch_execz .LBB1411_3
; %bb.2:
	global_load_b64 v[4:5], v0, s[26:27] scale_offset
	v_dual_mov_b32 v6, v2 :: v_dual_mov_b32 v7, v2
	s_wait_loadcnt 0x0
	v_mov_b64_e32 v[2:3], v[4:5]
	s_delay_alu instid0(VALU_DEP_2)
	v_mov_b64_e32 v[4:5], v[6:7]
.LBB1411_3:
	s_or_b32 exec_lo, exec_lo, s3
	v_or_b32_e32 v1, 0x200, v0
	s_mov_b32 s3, exec_lo
	s_delay_alu instid0(VALU_DEP_1)
	v_cmpx_gt_u32_e64 s28, v1
	s_cbranch_execz .LBB1411_5
; %bb.4:
	global_load_b64 v[4:5], v0, s[26:27] offset:4096 scale_offset
.LBB1411_5:
	s_wait_xcnt 0x0
	s_or_b32 exec_lo, exec_lo, s3
	v_dual_lshrrev_b32 v6, 2, v0 :: v_dual_lshrrev_b32 v1, 2, v1
	v_lshlrev_b32_e32 v7, 3, v0
	s_mov_b32 s3, 0
	s_delay_alu instid0(VALU_DEP_2) | instskip(NEXT) | instid1(VALU_DEP_3)
	v_and_b32_e32 v6, 0x78, v6
	v_and_b32_e32 v1, 0xf8, v1
	s_delay_alu instid0(VALU_DEP_1)
	v_dual_add_nc_u32 v6, v6, v7 :: v_dual_add_nc_u32 v1, v1, v7
	ds_store_b64 v6, v[2:3]
	s_wait_loadcnt 0x0
	ds_store_b64 v1, v[4:5] offset:4096
	s_wait_dscnt 0x0
	s_barrier_signal -1
	s_barrier_wait -1
.LBB1411_6:
	s_and_b32 vcc_lo, exec_lo, s3
	s_cbranch_vccz .LBB1411_8
; %bb.7:
	s_mov_b32 s3, 0
	v_or_b32_e32 v1, 0x200, v0
	s_lshl_b64 s[26:27], s[2:3], 3
	v_lshrrev_b32_e32 v6, 2, v0
	s_add_nc_u64 s[4:5], s[4:5], s[26:27]
	v_lshlrev_b32_e32 v7, 3, v0
	s_clause 0x1
	global_load_b64 v[2:3], v0, s[4:5] scale_offset
	global_load_b64 v[4:5], v0, s[4:5] offset:4096 scale_offset
	v_lshrrev_b32_e32 v1, 2, v1
	v_and_b32_e32 v6, 0x78, v6
	s_delay_alu instid0(VALU_DEP_2) | instskip(NEXT) | instid1(VALU_DEP_1)
	v_and_b32_e32 v1, 0xf8, v1
	v_dual_add_nc_u32 v6, v6, v7 :: v_dual_add_nc_u32 v1, v1, v7
	s_wait_loadcnt 0x1
	ds_store_b64 v6, v[2:3]
	s_wait_loadcnt 0x0
	ds_store_b64 v1, v[4:5] offset:4096
	s_wait_dscnt 0x0
	s_barrier_signal -1
	s_barrier_wait -1
.LBB1411_8:
	v_lshrrev_b32_e32 v1, 1, v0
	s_cmp_eq_u64 s[22:23], 0
	s_delay_alu instid0(VALU_DEP_1) | instskip(NEXT) | instid1(VALU_DEP_1)
	v_and_b32_e32 v1, 0xf8, v1
	v_lshl_add_u32 v1, v0, 4, v1
	ds_load_2addr_b64 v[2:5], v1 offset1:1
	s_wait_dscnt 0x0
	s_barrier_signal -1
	s_barrier_wait -1
	s_cbranch_scc1 .LBB1411_15
; %bb.9:
	s_lshl_b64 s[4:5], s[18:19], 3
	s_delay_alu instid0(SALU_CYCLE_1) | instskip(SKIP_3) | instid1(SALU_CYCLE_1)
	s_add_nc_u64 s[4:5], s[16:17], s[4:5]
	s_lshl_b64 s[16:17], s[24:25], 3
	s_cmp_eq_u64 s[22:23], s[6:7]
	s_add_nc_u64 s[4:5], s[4:5], s[16:17]
	s_add_nc_u64 s[4:5], s[4:5], -8
	s_load_b64 s[4:5], s[4:5], 0x0
	s_cbranch_scc1 .LBB1411_16
; %bb.10:
	v_cmp_lt_i64_e64 s7, s[12:13], 1
	v_mov_b64_e32 v[8:9], 0
	v_cmp_gt_i64_e64 s3, s[12:13], 0
	v_lshlrev_b32_e32 v12, 3, v0
	s_and_b32 vcc_lo, exec_lo, s7
	ds_store_b64 v12, v[4:5]
	s_cbranch_vccnz .LBB1411_18
; %bb.11:
	v_mul_u64_e32 v[6:7], s[12:13], v[4:5]
	v_mul_u64_e32 v[8:9], s[12:13], v[2:3]
	s_mov_b32 s7, 0
	s_mov_b64 s[16:17], s[12:13]
                                        ; implicit-def: $sgpr18
	s_delay_alu instid0(VALU_DEP_2) | instskip(NEXT) | instid1(VALU_DEP_2)
	v_lshl_add_u64 v[6:7], v[6:7], 1, s[14:15]
	v_lshl_add_u64 v[10:11], v[8:9], 1, s[14:15]
	s_branch .LBB1411_13
.LBB1411_12:                            ;   in Loop: Header=BB1411_13 Depth=1
	s_or_b32 exec_lo, exec_lo, s19
	s_delay_alu instid0(SALU_CYCLE_1) | instskip(NEXT) | instid1(SALU_CYCLE_1)
	s_and_b32 s19, exec_lo, s18
	s_or_b32 s7, s19, s7
	s_delay_alu instid0(SALU_CYCLE_1)
	s_and_not1_b32 exec_lo, exec_lo, s7
	s_cbranch_execz .LBB1411_17
.LBB1411_13:                            ; =>This Inner Loop Header: Depth=1
	global_load_u16 v13, v[6:7], off
	global_load_u16 v14, v[10:11], off
	v_mov_b64_e32 v[8:9], 1
	s_or_b32 s18, s18, exec_lo
	s_mov_b32 s19, exec_lo
	s_wait_loadcnt 0x0
	v_cmpx_eq_u16_e64 v13, v14
	s_cbranch_execz .LBB1411_12
; %bb.14:                               ;   in Loop: Header=BB1411_13 Depth=1
	s_add_nc_u64 s[16:17], s[16:17], -1
	v_add_nc_u64_e32 v[6:7], 2, v[6:7]
	s_cmp_eq_u64 s[16:17], 0
	v_add_nc_u64_e32 v[10:11], 2, v[10:11]
	v_mov_b64_e32 v[8:9], 0
	s_cselect_b32 s23, -1, 0
	s_and_not1_b32 s18, s18, exec_lo
	s_and_b32 s23, s23, exec_lo
	s_delay_alu instid0(SALU_CYCLE_1)
	s_or_b32 s18, s18, s23
	s_branch .LBB1411_12
.LBB1411_15:
                                        ; implicit-def: $vgpr8_vgpr9
                                        ; implicit-def: $vgpr6_vgpr7
	s_branch .LBB1411_47
.LBB1411_16:
                                        ; implicit-def: $vgpr8_vgpr9
                                        ; implicit-def: $vgpr6_vgpr7
	s_cbranch_execnz .LBB1411_27
	s_branch .LBB1411_46
.LBB1411_17:
	s_or_b32 exec_lo, exec_lo, s7
.LBB1411_18:
	s_wait_kmcnt 0x0
	v_mov_b64_e32 v[6:7], s[4:5]
	s_mov_b32 s7, exec_lo
	s_wait_dscnt 0x0
	s_barrier_signal -1
	s_barrier_wait -1
	v_cmpx_ne_u32_e32 0, v0
; %bb.19:
	v_add_nc_u32_e32 v6, -8, v12
	ds_load_b64 v[6:7], v6
; %bb.20:
	s_or_b32 exec_lo, exec_lo, s7
	s_delay_alu instid0(SALU_CYCLE_1)
	s_and_not1_b32 vcc_lo, exec_lo, s3
	s_cbranch_vccnz .LBB1411_26
; %bb.21:
	v_mul_u64_e32 v[10:11], s[12:13], v[2:3]
	s_wait_dscnt 0x0
	v_mul_u64_e32 v[6:7], s[12:13], v[6:7]
	s_mov_b32 s3, 0
	s_mov_b64 s[16:17], s[12:13]
                                        ; implicit-def: $sgpr7
	s_delay_alu instid0(VALU_DEP_2) | instskip(NEXT) | instid1(VALU_DEP_2)
	v_lshl_add_u64 v[10:11], v[10:11], 1, s[14:15]
	v_lshl_add_u64 v[12:13], v[6:7], 1, s[14:15]
	s_branch .LBB1411_23
.LBB1411_22:                            ;   in Loop: Header=BB1411_23 Depth=1
	s_or_b32 exec_lo, exec_lo, s18
	s_delay_alu instid0(SALU_CYCLE_1) | instskip(NEXT) | instid1(SALU_CYCLE_1)
	s_and_b32 s18, exec_lo, s7
	s_or_b32 s3, s18, s3
	s_delay_alu instid0(SALU_CYCLE_1)
	s_and_not1_b32 exec_lo, exec_lo, s3
	s_cbranch_execz .LBB1411_25
.LBB1411_23:                            ; =>This Inner Loop Header: Depth=1
	global_load_u16 v14, v[10:11], off
	global_load_u16 v15, v[12:13], off
	v_mov_b64_e32 v[6:7], 1
	s_or_b32 s7, s7, exec_lo
	s_mov_b32 s18, exec_lo
	s_wait_loadcnt 0x0
	v_cmpx_eq_u16_e64 v14, v15
	s_cbranch_execz .LBB1411_22
; %bb.24:                               ;   in Loop: Header=BB1411_23 Depth=1
	s_add_nc_u64 s[16:17], s[16:17], -1
	v_add_nc_u64_e32 v[10:11], 2, v[10:11]
	s_cmp_eq_u64 s[16:17], 0
	v_add_nc_u64_e32 v[12:13], 2, v[12:13]
	v_mov_b64_e32 v[6:7], 0
	s_cselect_b32 s19, -1, 0
	s_and_not1_b32 s7, s7, exec_lo
	s_and_b32 s19, s19, exec_lo
	s_delay_alu instid0(SALU_CYCLE_1)
	s_or_b32 s7, s7, s19
	s_branch .LBB1411_22
.LBB1411_25:
	s_or_b32 exec_lo, exec_lo, s3
	s_branch .LBB1411_46
.LBB1411_26:
	s_wait_dscnt 0x0
	v_mov_b64_e32 v[6:7], 0
	s_branch .LBB1411_46
.LBB1411_27:
	v_dual_lshlrev_b32 v12, 1, v0 :: v_dual_lshlrev_b32 v13, 3, v0
	v_mov_b64_e32 v[8:9], v[4:5]
	s_lshl_b32 s3, s22, 10
	s_mov_b32 s7, exec_lo
	s_delay_alu instid0(VALU_DEP_2)
	v_or_b32_e32 v10, 1, v12
	s_sub_co_i32 s3, s10, s3
	v_mov_b64_e32 v[6:7], v[2:3]
	ds_store_b64 v13, v[4:5]
	v_cmpx_gt_u32_e64 s3, v10
	s_cbranch_execz .LBB1411_35
; %bb.28:
	v_cmp_lt_i64_e64 s16, s[12:13], 1
	s_and_b32 vcc_lo, exec_lo, s16
	s_cbranch_vccnz .LBB1411_34
; %bb.29:
	v_mul_u64_e32 v[6:7], s[12:13], v[4:5]
	v_mul_u64_e32 v[8:9], s[12:13], v[2:3]
	s_mov_b32 s18, 0
	s_mov_b64 s[16:17], s[12:13]
                                        ; implicit-def: $sgpr19
	s_delay_alu instid0(VALU_DEP_2) | instskip(NEXT) | instid1(VALU_DEP_2)
	v_lshl_add_u64 v[6:7], v[6:7], 1, s[14:15]
	v_lshl_add_u64 v[10:11], v[8:9], 1, s[14:15]
	s_branch .LBB1411_31
.LBB1411_30:                            ;   in Loop: Header=BB1411_31 Depth=1
	s_or_b32 exec_lo, exec_lo, s22
	s_delay_alu instid0(SALU_CYCLE_1) | instskip(NEXT) | instid1(SALU_CYCLE_1)
	s_and_b32 s22, exec_lo, s19
	s_or_b32 s18, s22, s18
	s_delay_alu instid0(SALU_CYCLE_1)
	s_and_not1_b32 exec_lo, exec_lo, s18
	s_cbranch_execz .LBB1411_33
.LBB1411_31:                            ; =>This Inner Loop Header: Depth=1
	global_load_u16 v14, v[6:7], off
	global_load_u16 v15, v[10:11], off
	v_mov_b64_e32 v[8:9], 1
	s_or_b32 s19, s19, exec_lo
	s_mov_b32 s22, exec_lo
	s_wait_loadcnt 0x0
	v_cmpx_eq_u16_e64 v14, v15
	s_cbranch_execz .LBB1411_30
; %bb.32:                               ;   in Loop: Header=BB1411_31 Depth=1
	s_add_nc_u64 s[16:17], s[16:17], -1
	v_add_nc_u64_e32 v[6:7], 2, v[6:7]
	s_cmp_eq_u64 s[16:17], 0
	v_add_nc_u64_e32 v[10:11], 2, v[10:11]
	s_cselect_b32 s23, -1, 0
	s_and_not1_b32 s19, s19, exec_lo
	s_and_b32 s23, s23, exec_lo
	v_mov_b64_e32 v[8:9], 0
	s_or_b32 s19, s19, s23
	s_branch .LBB1411_30
.LBB1411_33:
	s_or_b32 exec_lo, exec_lo, s18
	s_branch .LBB1411_35
.LBB1411_34:
	v_mov_b64_e32 v[8:9], 0
.LBB1411_35:
	s_or_b32 exec_lo, exec_lo, s7
	s_wait_kmcnt 0x0
	v_mov_b64_e32 v[10:11], s[4:5]
	s_mov_b32 s4, exec_lo
	s_wait_dscnt 0x0
	s_barrier_signal -1
	s_barrier_wait -1
	v_cmpx_ne_u32_e32 0, v0
; %bb.36:
	v_add_nc_u32_e32 v6, -8, v13
	ds_load_b64 v[10:11], v6
; %bb.37:
	s_or_b32 exec_lo, exec_lo, s4
	v_mov_b64_e32 v[6:7], v[2:3]
	v_cmp_gt_u32_e32 vcc_lo, s3, v12
	s_and_saveexec_b32 s3, vcc_lo
	s_cbranch_execz .LBB1411_45
; %bb.38:
	v_cmp_lt_i64_e64 s4, s[12:13], 1
	s_and_b32 vcc_lo, exec_lo, s4
	s_cbranch_vccnz .LBB1411_44
; %bb.39:
	v_mul_u64_e32 v[6:7], s[12:13], v[2:3]
	s_wait_dscnt 0x0
	v_mul_u64_e32 v[12:13], s[12:13], v[10:11]
	s_mov_b32 s7, 0
	s_mov_b64 s[4:5], s[12:13]
                                        ; implicit-def: $sgpr16
	s_delay_alu instid0(VALU_DEP_2) | instskip(NEXT) | instid1(VALU_DEP_2)
	v_lshl_add_u64 v[10:11], v[6:7], 1, s[14:15]
	v_lshl_add_u64 v[12:13], v[12:13], 1, s[14:15]
	s_branch .LBB1411_41
.LBB1411_40:                            ;   in Loop: Header=BB1411_41 Depth=1
	s_or_b32 exec_lo, exec_lo, s17
	s_delay_alu instid0(SALU_CYCLE_1) | instskip(NEXT) | instid1(SALU_CYCLE_1)
	s_and_b32 s17, exec_lo, s16
	s_or_b32 s7, s17, s7
	s_delay_alu instid0(SALU_CYCLE_1)
	s_and_not1_b32 exec_lo, exec_lo, s7
	s_cbranch_execz .LBB1411_43
.LBB1411_41:                            ; =>This Inner Loop Header: Depth=1
	global_load_u16 v14, v[10:11], off
	global_load_u16 v15, v[12:13], off
	v_mov_b64_e32 v[6:7], 1
	s_or_b32 s16, s16, exec_lo
	s_mov_b32 s17, exec_lo
	s_wait_loadcnt 0x0
	v_cmpx_eq_u16_e64 v14, v15
	s_cbranch_execz .LBB1411_40
; %bb.42:                               ;   in Loop: Header=BB1411_41 Depth=1
	s_add_nc_u64 s[4:5], s[4:5], -1
	v_add_nc_u64_e32 v[10:11], 2, v[10:11]
	s_cmp_eq_u64 s[4:5], 0
	v_add_nc_u64_e32 v[12:13], 2, v[12:13]
	v_mov_b64_e32 v[6:7], 0
	s_cselect_b32 s18, -1, 0
	s_and_not1_b32 s16, s16, exec_lo
	s_and_b32 s18, s18, exec_lo
	s_delay_alu instid0(SALU_CYCLE_1)
	s_or_b32 s16, s16, s18
	s_branch .LBB1411_40
.LBB1411_43:
	s_or_b32 exec_lo, exec_lo, s7
	s_branch .LBB1411_45
.LBB1411_44:
	v_mov_b64_e32 v[6:7], 0
.LBB1411_45:
	s_or_b32 exec_lo, exec_lo, s3
.LBB1411_46:
	s_cbranch_execnz .LBB1411_81
.LBB1411_47:
	s_cmp_eq_u64 s[0:1], 1
	s_cbranch_scc1 .LBB1411_53
; %bb.48:
	v_cmp_lt_i64_e64 s0, s[12:13], 1
	v_mov_b64_e32 v[8:9], 0
	s_wait_kmcnt 0x0
	v_cmp_gt_i64_e64 s4, s[12:13], 0
	v_lshlrev_b32_e32 v12, 3, v0
	s_and_b32 vcc_lo, exec_lo, s0
	ds_store_b64 v12, v[4:5]
	s_cbranch_vccnz .LBB1411_55
; %bb.49:
	v_mul_u64_e32 v[6:7], s[12:13], v[4:5]
	v_mul_u64_e32 v[8:9], s[12:13], v[2:3]
	s_mov_b32 s3, 0
	s_mov_b64 s[0:1], s[12:13]
                                        ; implicit-def: $sgpr5
	s_delay_alu instid0(VALU_DEP_2) | instskip(SKIP_1) | instid1(VALU_DEP_2)
	v_lshl_add_u64 v[6:7], v[6:7], 1, s[14:15]
	s_wait_dscnt 0x1
	v_lshl_add_u64 v[10:11], v[8:9], 1, s[14:15]
	s_branch .LBB1411_51
.LBB1411_50:                            ;   in Loop: Header=BB1411_51 Depth=1
	s_or_b32 exec_lo, exec_lo, s7
	s_delay_alu instid0(SALU_CYCLE_1) | instskip(NEXT) | instid1(SALU_CYCLE_1)
	s_and_b32 s7, exec_lo, s5
	s_or_b32 s3, s7, s3
	s_delay_alu instid0(SALU_CYCLE_1)
	s_and_not1_b32 exec_lo, exec_lo, s3
	s_cbranch_execz .LBB1411_54
.LBB1411_51:                            ; =>This Inner Loop Header: Depth=1
	global_load_u16 v13, v[6:7], off
	global_load_u16 v14, v[10:11], off
	v_mov_b64_e32 v[8:9], 1
	s_or_b32 s5, s5, exec_lo
	s_mov_b32 s7, exec_lo
	s_wait_loadcnt 0x0
	v_cmpx_eq_u16_e64 v13, v14
	s_cbranch_execz .LBB1411_50
; %bb.52:                               ;   in Loop: Header=BB1411_51 Depth=1
	s_add_nc_u64 s[0:1], s[0:1], -1
	v_add_nc_u64_e32 v[6:7], 2, v[6:7]
	s_cmp_eq_u64 s[0:1], 0
	v_add_nc_u64_e32 v[10:11], 2, v[10:11]
	v_mov_b64_e32 v[8:9], 0
	s_cselect_b32 s16, -1, 0
	s_and_not1_b32 s5, s5, exec_lo
	s_and_b32 s16, s16, exec_lo
	s_delay_alu instid0(SALU_CYCLE_1)
	s_or_b32 s5, s5, s16
	s_branch .LBB1411_50
.LBB1411_53:
                                        ; implicit-def: $vgpr8_vgpr9
                                        ; implicit-def: $vgpr6_vgpr7
	s_cbranch_execnz .LBB1411_63
	s_branch .LBB1411_81
.LBB1411_54:
	s_or_b32 exec_lo, exec_lo, s3
.LBB1411_55:
	v_mov_b64_e32 v[6:7], v[2:3]
	s_mov_b32 s3, 0
	s_mov_b32 s5, exec_lo
	s_wait_dscnt 0x0
	s_barrier_signal -1
	s_barrier_wait -1
	v_cmpx_ne_u32_e32 0, v0
	s_cbranch_execz .LBB1411_62
; %bb.56:
	s_and_not1_b32 vcc_lo, exec_lo, s4
	s_cbranch_vccnz .LBB1411_70
; %bb.57:
	v_add_nc_u32_e32 v6, -8, v12
	v_mul_u64_e32 v[10:11], s[12:13], v[2:3]
	s_mov_b32 s4, 0
	s_mov_b64 s[0:1], s[12:13]
                                        ; implicit-def: $sgpr7
	ds_load_b64 v[6:7], v6
	s_wait_dscnt 0x0
	v_mul_u64_e32 v[6:7], s[12:13], v[6:7]
	v_lshl_add_u64 v[10:11], v[10:11], 1, s[14:15]
	s_delay_alu instid0(VALU_DEP_2)
	v_lshl_add_u64 v[12:13], v[6:7], 1, s[14:15]
	s_branch .LBB1411_59
.LBB1411_58:                            ;   in Loop: Header=BB1411_59 Depth=1
	s_or_b32 exec_lo, exec_lo, s16
	s_delay_alu instid0(SALU_CYCLE_1) | instskip(NEXT) | instid1(SALU_CYCLE_1)
	s_and_b32 s16, exec_lo, s7
	s_or_b32 s4, s16, s4
	s_delay_alu instid0(SALU_CYCLE_1)
	s_and_not1_b32 exec_lo, exec_lo, s4
	s_cbranch_execz .LBB1411_61
.LBB1411_59:                            ; =>This Inner Loop Header: Depth=1
	global_load_u16 v14, v[10:11], off
	global_load_u16 v15, v[12:13], off
	v_mov_b64_e32 v[6:7], 1
	s_or_b32 s7, s7, exec_lo
	s_mov_b32 s16, exec_lo
	s_wait_loadcnt 0x0
	v_cmpx_eq_u16_e64 v14, v15
	s_cbranch_execz .LBB1411_58
; %bb.60:                               ;   in Loop: Header=BB1411_59 Depth=1
	s_add_nc_u64 s[0:1], s[0:1], -1
	v_add_nc_u64_e32 v[10:11], 2, v[10:11]
	s_cmp_eq_u64 s[0:1], 0
	v_add_nc_u64_e32 v[12:13], 2, v[12:13]
	v_mov_b64_e32 v[6:7], 0
	s_cselect_b32 s17, -1, 0
	s_and_not1_b32 s7, s7, exec_lo
	s_and_b32 s17, s17, exec_lo
	s_delay_alu instid0(SALU_CYCLE_1)
	s_or_b32 s7, s7, s17
	s_branch .LBB1411_58
.LBB1411_61:
	s_or_b32 exec_lo, exec_lo, s4
.LBB1411_62:
	s_delay_alu instid0(SALU_CYCLE_1) | instskip(NEXT) | instid1(SALU_CYCLE_1)
	s_or_b32 exec_lo, exec_lo, s5
	s_and_b32 vcc_lo, exec_lo, s3
	s_cbranch_vccz .LBB1411_81
.LBB1411_63:
	s_wait_dscnt 0x0
	v_dual_lshlrev_b32 v11, 1, v0 :: v_dual_lshlrev_b32 v10, 3, v0
	v_mov_b64_e32 v[8:9], v[4:5]
	s_mov_b32 s3, exec_lo
	v_mov_b64_e32 v[6:7], v[2:3]
	s_delay_alu instid0(VALU_DEP_3)
	v_or_b32_e32 v12, 1, v11
	ds_store_b64 v10, v[4:5]
	v_cmpx_gt_u32_e64 s10, v12
	s_cbranch_execz .LBB1411_72
; %bb.64:
	v_cmp_lt_i64_e64 s0, s[12:13], 1
	s_and_b32 vcc_lo, exec_lo, s0
	s_cbranch_vccnz .LBB1411_71
; %bb.65:
	v_mul_u64_e32 v[4:5], s[12:13], v[4:5]
	v_mul_u64_e32 v[6:7], s[12:13], v[2:3]
	s_wait_kmcnt 0x0
	s_mov_b32 s4, 0
	s_mov_b64 s[0:1], s[12:13]
                                        ; implicit-def: $sgpr5
	s_delay_alu instid0(VALU_DEP_2) | instskip(NEXT) | instid1(VALU_DEP_2)
	v_lshl_add_u64 v[4:5], v[4:5], 1, s[14:15]
	v_lshl_add_u64 v[6:7], v[6:7], 1, s[14:15]
	s_branch .LBB1411_67
.LBB1411_66:                            ;   in Loop: Header=BB1411_67 Depth=1
	s_or_b32 exec_lo, exec_lo, s7
	s_delay_alu instid0(SALU_CYCLE_1) | instskip(NEXT) | instid1(SALU_CYCLE_1)
	s_and_b32 s7, exec_lo, s5
	s_or_b32 s4, s7, s4
	s_delay_alu instid0(SALU_CYCLE_1)
	s_and_not1_b32 exec_lo, exec_lo, s4
	s_cbranch_execz .LBB1411_69
.LBB1411_67:                            ; =>This Inner Loop Header: Depth=1
	global_load_u16 v12, v[4:5], off
	global_load_u16 v13, v[6:7], off
	v_mov_b64_e32 v[8:9], 1
	s_or_b32 s5, s5, exec_lo
	s_mov_b32 s7, exec_lo
	s_wait_loadcnt 0x0
	v_cmpx_eq_u16_e64 v12, v13
	s_cbranch_execz .LBB1411_66
; %bb.68:                               ;   in Loop: Header=BB1411_67 Depth=1
	s_add_nc_u64 s[0:1], s[0:1], -1
	v_add_nc_u64_e32 v[4:5], 2, v[4:5]
	s_cmp_eq_u64 s[0:1], 0
	v_add_nc_u64_e32 v[6:7], 2, v[6:7]
	s_cselect_b32 s16, -1, 0
	s_and_not1_b32 s5, s5, exec_lo
	s_and_b32 s16, s16, exec_lo
	v_mov_b64_e32 v[8:9], 0
	s_or_b32 s5, s5, s16
	s_branch .LBB1411_66
.LBB1411_69:
	s_or_b32 exec_lo, exec_lo, s4
	s_branch .LBB1411_72
.LBB1411_70:
	v_mov_b64_e32 v[6:7], 0
	s_or_b32 exec_lo, exec_lo, s5
	s_delay_alu instid0(SALU_CYCLE_1)
	s_and_b32 vcc_lo, exec_lo, s3
	s_cbranch_vccnz .LBB1411_63
	s_branch .LBB1411_81
.LBB1411_71:
	v_mov_b64_e32 v[8:9], 0
.LBB1411_72:
	s_or_b32 exec_lo, exec_lo, s3
	v_cmp_ne_u32_e32 vcc_lo, 0, v0
	v_cmp_gt_u32_e64 s0, s10, v11
	s_wait_dscnt 0x0
	s_barrier_signal -1
	s_barrier_wait -1
	s_and_b32 s1, vcc_lo, s0
	s_delay_alu instid0(SALU_CYCLE_1)
	s_and_saveexec_b32 s0, s1
	s_cbranch_execz .LBB1411_80
; %bb.73:
	v_cmp_lt_i64_e64 s1, s[12:13], 1
	s_and_b32 vcc_lo, exec_lo, s1
	s_cbranch_vccnz .LBB1411_79
; %bb.74:
	v_add_nc_u32_e32 v4, -8, v10
	v_mul_u64_e32 v[2:3], s[12:13], v[2:3]
	s_mov_b32 s1, 0
                                        ; implicit-def: $sgpr3
	ds_load_b64 v[4:5], v4
	s_wait_dscnt 0x0
	v_mul_u64_e32 v[6:7], s[12:13], v[4:5]
	v_lshl_add_u64 v[4:5], v[2:3], 1, s[14:15]
	s_delay_alu instid0(VALU_DEP_2)
	v_lshl_add_u64 v[6:7], v[6:7], 1, s[14:15]
	s_branch .LBB1411_76
.LBB1411_75:                            ;   in Loop: Header=BB1411_76 Depth=1
	s_or_b32 exec_lo, exec_lo, s4
	s_delay_alu instid0(SALU_CYCLE_1) | instskip(NEXT) | instid1(SALU_CYCLE_1)
	s_and_b32 s4, exec_lo, s3
	s_or_b32 s1, s4, s1
	s_delay_alu instid0(SALU_CYCLE_1)
	s_and_not1_b32 exec_lo, exec_lo, s1
	s_cbranch_execz .LBB1411_78
.LBB1411_76:                            ; =>This Inner Loop Header: Depth=1
	global_load_u16 v10, v[4:5], off
	global_load_u16 v11, v[6:7], off
	v_mov_b64_e32 v[2:3], 1
	s_or_b32 s3, s3, exec_lo
	s_wait_kmcnt 0x0
	s_mov_b32 s4, exec_lo
	s_wait_loadcnt 0x0
	v_cmpx_eq_u16_e64 v10, v11
	s_cbranch_execz .LBB1411_75
; %bb.77:                               ;   in Loop: Header=BB1411_76 Depth=1
	s_add_nc_u64 s[12:13], s[12:13], -1
	v_add_nc_u64_e32 v[4:5], 2, v[4:5]
	s_cmp_eq_u64 s[12:13], 0
	v_add_nc_u64_e32 v[6:7], 2, v[6:7]
	v_mov_b64_e32 v[2:3], 0
	s_cselect_b32 s5, -1, 0
	s_and_not1_b32 s3, s3, exec_lo
	s_and_b32 s5, s5, exec_lo
	s_delay_alu instid0(SALU_CYCLE_1)
	s_or_b32 s3, s3, s5
	s_branch .LBB1411_75
.LBB1411_78:
	s_or_b32 exec_lo, exec_lo, s1
	s_branch .LBB1411_80
.LBB1411_79:
	v_mov_b64_e32 v[2:3], 0
.LBB1411_80:
	s_or_b32 exec_lo, exec_lo, s0
	s_delay_alu instid0(VALU_DEP_1)
	v_mov_b64_e32 v[6:7], v[2:3]
.LBB1411_81:
	s_add_nc_u64 s[0:1], s[8:9], s[20:21]
	s_and_b32 vcc_lo, exec_lo, s11
	s_wait_dscnt 0x0
	s_barrier_signal -1
	s_barrier_wait -1
	s_cbranch_vccz .LBB1411_85
; %bb.82:
	v_or_b32_e32 v10, 0x200, v0
	ds_store_2addr_b64 v1, v[6:7], v[8:9] offset1:1
	s_wait_dscnt 0x0
	s_barrier_signal -1
	s_barrier_wait -1
	v_dual_lshrrev_b32 v2, 2, v10 :: v_dual_lshlrev_b32 v4, 3, v0
	s_mov_b32 s3, 0
	s_lshl_b32 s8, s6, 10
	s_delay_alu instid0(VALU_DEP_1)
	v_and_b32_e32 v2, 0xf8, v2
	s_wait_kmcnt 0x0
	s_lshl_b64 s[4:5], s[2:3], 3
	v_mov_b32_e32 v5, 0
	s_add_nc_u64 s[6:7], s[0:1], s[4:5]
	s_sub_co_i32 s4, s10, s8
	v_add_nc_u32_e32 v2, v2, v4
	s_mov_b32 s5, exec_lo
	v_add_nc_u64_e32 v[4:5], s[6:7], v[4:5]
	ds_load_b64 v[2:3], v2 offset:4096
	v_cmpx_gt_u32_e64 s4, v0
	s_cbranch_execz .LBB1411_84
; %bb.83:
	v_lshrrev_b32_e32 v11, 2, v0
	s_delay_alu instid0(VALU_DEP_1) | instskip(NEXT) | instid1(VALU_DEP_1)
	v_and_b32_e32 v11, 0x78, v11
	v_lshl_add_u32 v11, v0, 3, v11
	ds_load_b64 v[12:13], v11
	s_wait_dscnt 0x0
	global_store_b64 v[4:5], v[12:13], off
.LBB1411_84:
	s_wait_xcnt 0x0
	s_or_b32 exec_lo, exec_lo, s5
	v_cmp_gt_u32_e64 s4, s4, v10
	s_and_b32 vcc_lo, exec_lo, s3
	s_cbranch_vccnz .LBB1411_86
	s_branch .LBB1411_87
.LBB1411_85:
	s_wait_kmcnt 0x0
	s_mov_b32 s4, 0
                                        ; implicit-def: $vgpr2_vgpr3
                                        ; implicit-def: $vgpr4_vgpr5
	s_cbranch_execz .LBB1411_87
.LBB1411_86:
	s_wait_dscnt 0x0
	v_or_b32_e32 v2, 0x200, v0
	v_dual_lshrrev_b32 v3, 2, v0 :: v_dual_lshlrev_b32 v4, 3, v0
	v_mov_b32_e32 v5, 0
	ds_store_2addr_b64 v1, v[6:7], v[8:9] offset1:1
	v_lshrrev_b32_e32 v2, 2, v2
	v_and_b32_e32 v3, 0x78, v3
	s_wait_storecnt_dscnt 0x0
	s_barrier_signal -1
	s_barrier_wait -1
	v_and_b32_e32 v2, 0xf8, v2
	v_add_nc_u32_e32 v1, v3, v4
	s_mov_b32 s3, 0
	s_or_b32 s4, s4, exec_lo
	s_delay_alu instid0(VALU_DEP_2) | instskip(SKIP_4) | instid1(SALU_CYCLE_1)
	v_add_nc_u32_e32 v2, v2, v4
	s_lshl_b64 s[2:3], s[2:3], 3
	ds_load_b64 v[6:7], v1
	ds_load_b64 v[2:3], v2 offset:4096
	s_add_nc_u64 s[0:1], s[0:1], s[2:3]
	v_add_nc_u64_e32 v[4:5], s[0:1], v[4:5]
	s_wait_dscnt 0x1
	global_store_b64 v0, v[6:7], s[0:1] scale_offset
.LBB1411_87:
	s_wait_xcnt 0x0
	s_and_saveexec_b32 s0, s4
	s_cbranch_execnz .LBB1411_89
; %bb.88:
	s_endpgm
.LBB1411_89:
	s_wait_dscnt 0x0
	global_store_b64 v[4:5], v[2:3], off offset:4096
	s_endpgm
	.section	.rodata,"a",@progbits
	.p2align	6, 0x0
	.amdhsa_kernel _ZN7rocprim17ROCPRIM_400000_NS6detail17trampoline_kernelINS0_14default_configENS1_35adjacent_difference_config_selectorILb1ElEEZNS1_24adjacent_difference_implIS3_Lb1ELb0EPlS7_ZN2at6native12_GLOBAL__N_124unique_dim_cuda_templateItEESt5tupleIJNS8_6TensorESD_SD_EERKSD_lbbbEUlllE1_EE10hipError_tPvRmT2_T3_mT4_P12ihipStream_tbEUlT_E_NS1_11comp_targetILNS1_3genE0ELNS1_11target_archE4294967295ELNS1_3gpuE0ELNS1_3repE0EEENS1_30default_config_static_selectorELNS0_4arch9wavefront6targetE0EEEvT1_
		.amdhsa_group_segment_fixed_size 8448
		.amdhsa_private_segment_fixed_size 0
		.amdhsa_kernarg_size 64
		.amdhsa_user_sgpr_count 2
		.amdhsa_user_sgpr_dispatch_ptr 0
		.amdhsa_user_sgpr_queue_ptr 0
		.amdhsa_user_sgpr_kernarg_segment_ptr 1
		.amdhsa_user_sgpr_dispatch_id 0
		.amdhsa_user_sgpr_kernarg_preload_length 0
		.amdhsa_user_sgpr_kernarg_preload_offset 0
		.amdhsa_user_sgpr_private_segment_size 0
		.amdhsa_wavefront_size32 1
		.amdhsa_uses_dynamic_stack 0
		.amdhsa_enable_private_segment 0
		.amdhsa_system_sgpr_workgroup_id_x 1
		.amdhsa_system_sgpr_workgroup_id_y 0
		.amdhsa_system_sgpr_workgroup_id_z 0
		.amdhsa_system_sgpr_workgroup_info 0
		.amdhsa_system_vgpr_workitem_id 0
		.amdhsa_next_free_vgpr 16
		.amdhsa_next_free_sgpr 29
		.amdhsa_named_barrier_count 0
		.amdhsa_reserve_vcc 1
		.amdhsa_float_round_mode_32 0
		.amdhsa_float_round_mode_16_64 0
		.amdhsa_float_denorm_mode_32 3
		.amdhsa_float_denorm_mode_16_64 3
		.amdhsa_fp16_overflow 0
		.amdhsa_memory_ordered 1
		.amdhsa_forward_progress 1
		.amdhsa_inst_pref_size 24
		.amdhsa_round_robin_scheduling 0
		.amdhsa_exception_fp_ieee_invalid_op 0
		.amdhsa_exception_fp_denorm_src 0
		.amdhsa_exception_fp_ieee_div_zero 0
		.amdhsa_exception_fp_ieee_overflow 0
		.amdhsa_exception_fp_ieee_underflow 0
		.amdhsa_exception_fp_ieee_inexact 0
		.amdhsa_exception_int_div_zero 0
	.end_amdhsa_kernel
	.section	.text._ZN7rocprim17ROCPRIM_400000_NS6detail17trampoline_kernelINS0_14default_configENS1_35adjacent_difference_config_selectorILb1ElEEZNS1_24adjacent_difference_implIS3_Lb1ELb0EPlS7_ZN2at6native12_GLOBAL__N_124unique_dim_cuda_templateItEESt5tupleIJNS8_6TensorESD_SD_EERKSD_lbbbEUlllE1_EE10hipError_tPvRmT2_T3_mT4_P12ihipStream_tbEUlT_E_NS1_11comp_targetILNS1_3genE0ELNS1_11target_archE4294967295ELNS1_3gpuE0ELNS1_3repE0EEENS1_30default_config_static_selectorELNS0_4arch9wavefront6targetE0EEEvT1_,"axG",@progbits,_ZN7rocprim17ROCPRIM_400000_NS6detail17trampoline_kernelINS0_14default_configENS1_35adjacent_difference_config_selectorILb1ElEEZNS1_24adjacent_difference_implIS3_Lb1ELb0EPlS7_ZN2at6native12_GLOBAL__N_124unique_dim_cuda_templateItEESt5tupleIJNS8_6TensorESD_SD_EERKSD_lbbbEUlllE1_EE10hipError_tPvRmT2_T3_mT4_P12ihipStream_tbEUlT_E_NS1_11comp_targetILNS1_3genE0ELNS1_11target_archE4294967295ELNS1_3gpuE0ELNS1_3repE0EEENS1_30default_config_static_selectorELNS0_4arch9wavefront6targetE0EEEvT1_,comdat
.Lfunc_end1411:
	.size	_ZN7rocprim17ROCPRIM_400000_NS6detail17trampoline_kernelINS0_14default_configENS1_35adjacent_difference_config_selectorILb1ElEEZNS1_24adjacent_difference_implIS3_Lb1ELb0EPlS7_ZN2at6native12_GLOBAL__N_124unique_dim_cuda_templateItEESt5tupleIJNS8_6TensorESD_SD_EERKSD_lbbbEUlllE1_EE10hipError_tPvRmT2_T3_mT4_P12ihipStream_tbEUlT_E_NS1_11comp_targetILNS1_3genE0ELNS1_11target_archE4294967295ELNS1_3gpuE0ELNS1_3repE0EEENS1_30default_config_static_selectorELNS0_4arch9wavefront6targetE0EEEvT1_, .Lfunc_end1411-_ZN7rocprim17ROCPRIM_400000_NS6detail17trampoline_kernelINS0_14default_configENS1_35adjacent_difference_config_selectorILb1ElEEZNS1_24adjacent_difference_implIS3_Lb1ELb0EPlS7_ZN2at6native12_GLOBAL__N_124unique_dim_cuda_templateItEESt5tupleIJNS8_6TensorESD_SD_EERKSD_lbbbEUlllE1_EE10hipError_tPvRmT2_T3_mT4_P12ihipStream_tbEUlT_E_NS1_11comp_targetILNS1_3genE0ELNS1_11target_archE4294967295ELNS1_3gpuE0ELNS1_3repE0EEENS1_30default_config_static_selectorELNS0_4arch9wavefront6targetE0EEEvT1_
                                        ; -- End function
	.set _ZN7rocprim17ROCPRIM_400000_NS6detail17trampoline_kernelINS0_14default_configENS1_35adjacent_difference_config_selectorILb1ElEEZNS1_24adjacent_difference_implIS3_Lb1ELb0EPlS7_ZN2at6native12_GLOBAL__N_124unique_dim_cuda_templateItEESt5tupleIJNS8_6TensorESD_SD_EERKSD_lbbbEUlllE1_EE10hipError_tPvRmT2_T3_mT4_P12ihipStream_tbEUlT_E_NS1_11comp_targetILNS1_3genE0ELNS1_11target_archE4294967295ELNS1_3gpuE0ELNS1_3repE0EEENS1_30default_config_static_selectorELNS0_4arch9wavefront6targetE0EEEvT1_.num_vgpr, 16
	.set _ZN7rocprim17ROCPRIM_400000_NS6detail17trampoline_kernelINS0_14default_configENS1_35adjacent_difference_config_selectorILb1ElEEZNS1_24adjacent_difference_implIS3_Lb1ELb0EPlS7_ZN2at6native12_GLOBAL__N_124unique_dim_cuda_templateItEESt5tupleIJNS8_6TensorESD_SD_EERKSD_lbbbEUlllE1_EE10hipError_tPvRmT2_T3_mT4_P12ihipStream_tbEUlT_E_NS1_11comp_targetILNS1_3genE0ELNS1_11target_archE4294967295ELNS1_3gpuE0ELNS1_3repE0EEENS1_30default_config_static_selectorELNS0_4arch9wavefront6targetE0EEEvT1_.num_agpr, 0
	.set _ZN7rocprim17ROCPRIM_400000_NS6detail17trampoline_kernelINS0_14default_configENS1_35adjacent_difference_config_selectorILb1ElEEZNS1_24adjacent_difference_implIS3_Lb1ELb0EPlS7_ZN2at6native12_GLOBAL__N_124unique_dim_cuda_templateItEESt5tupleIJNS8_6TensorESD_SD_EERKSD_lbbbEUlllE1_EE10hipError_tPvRmT2_T3_mT4_P12ihipStream_tbEUlT_E_NS1_11comp_targetILNS1_3genE0ELNS1_11target_archE4294967295ELNS1_3gpuE0ELNS1_3repE0EEENS1_30default_config_static_selectorELNS0_4arch9wavefront6targetE0EEEvT1_.numbered_sgpr, 29
	.set _ZN7rocprim17ROCPRIM_400000_NS6detail17trampoline_kernelINS0_14default_configENS1_35adjacent_difference_config_selectorILb1ElEEZNS1_24adjacent_difference_implIS3_Lb1ELb0EPlS7_ZN2at6native12_GLOBAL__N_124unique_dim_cuda_templateItEESt5tupleIJNS8_6TensorESD_SD_EERKSD_lbbbEUlllE1_EE10hipError_tPvRmT2_T3_mT4_P12ihipStream_tbEUlT_E_NS1_11comp_targetILNS1_3genE0ELNS1_11target_archE4294967295ELNS1_3gpuE0ELNS1_3repE0EEENS1_30default_config_static_selectorELNS0_4arch9wavefront6targetE0EEEvT1_.num_named_barrier, 0
	.set _ZN7rocprim17ROCPRIM_400000_NS6detail17trampoline_kernelINS0_14default_configENS1_35adjacent_difference_config_selectorILb1ElEEZNS1_24adjacent_difference_implIS3_Lb1ELb0EPlS7_ZN2at6native12_GLOBAL__N_124unique_dim_cuda_templateItEESt5tupleIJNS8_6TensorESD_SD_EERKSD_lbbbEUlllE1_EE10hipError_tPvRmT2_T3_mT4_P12ihipStream_tbEUlT_E_NS1_11comp_targetILNS1_3genE0ELNS1_11target_archE4294967295ELNS1_3gpuE0ELNS1_3repE0EEENS1_30default_config_static_selectorELNS0_4arch9wavefront6targetE0EEEvT1_.private_seg_size, 0
	.set _ZN7rocprim17ROCPRIM_400000_NS6detail17trampoline_kernelINS0_14default_configENS1_35adjacent_difference_config_selectorILb1ElEEZNS1_24adjacent_difference_implIS3_Lb1ELb0EPlS7_ZN2at6native12_GLOBAL__N_124unique_dim_cuda_templateItEESt5tupleIJNS8_6TensorESD_SD_EERKSD_lbbbEUlllE1_EE10hipError_tPvRmT2_T3_mT4_P12ihipStream_tbEUlT_E_NS1_11comp_targetILNS1_3genE0ELNS1_11target_archE4294967295ELNS1_3gpuE0ELNS1_3repE0EEENS1_30default_config_static_selectorELNS0_4arch9wavefront6targetE0EEEvT1_.uses_vcc, 1
	.set _ZN7rocprim17ROCPRIM_400000_NS6detail17trampoline_kernelINS0_14default_configENS1_35adjacent_difference_config_selectorILb1ElEEZNS1_24adjacent_difference_implIS3_Lb1ELb0EPlS7_ZN2at6native12_GLOBAL__N_124unique_dim_cuda_templateItEESt5tupleIJNS8_6TensorESD_SD_EERKSD_lbbbEUlllE1_EE10hipError_tPvRmT2_T3_mT4_P12ihipStream_tbEUlT_E_NS1_11comp_targetILNS1_3genE0ELNS1_11target_archE4294967295ELNS1_3gpuE0ELNS1_3repE0EEENS1_30default_config_static_selectorELNS0_4arch9wavefront6targetE0EEEvT1_.uses_flat_scratch, 0
	.set _ZN7rocprim17ROCPRIM_400000_NS6detail17trampoline_kernelINS0_14default_configENS1_35adjacent_difference_config_selectorILb1ElEEZNS1_24adjacent_difference_implIS3_Lb1ELb0EPlS7_ZN2at6native12_GLOBAL__N_124unique_dim_cuda_templateItEESt5tupleIJNS8_6TensorESD_SD_EERKSD_lbbbEUlllE1_EE10hipError_tPvRmT2_T3_mT4_P12ihipStream_tbEUlT_E_NS1_11comp_targetILNS1_3genE0ELNS1_11target_archE4294967295ELNS1_3gpuE0ELNS1_3repE0EEENS1_30default_config_static_selectorELNS0_4arch9wavefront6targetE0EEEvT1_.has_dyn_sized_stack, 0
	.set _ZN7rocprim17ROCPRIM_400000_NS6detail17trampoline_kernelINS0_14default_configENS1_35adjacent_difference_config_selectorILb1ElEEZNS1_24adjacent_difference_implIS3_Lb1ELb0EPlS7_ZN2at6native12_GLOBAL__N_124unique_dim_cuda_templateItEESt5tupleIJNS8_6TensorESD_SD_EERKSD_lbbbEUlllE1_EE10hipError_tPvRmT2_T3_mT4_P12ihipStream_tbEUlT_E_NS1_11comp_targetILNS1_3genE0ELNS1_11target_archE4294967295ELNS1_3gpuE0ELNS1_3repE0EEENS1_30default_config_static_selectorELNS0_4arch9wavefront6targetE0EEEvT1_.has_recursion, 0
	.set _ZN7rocprim17ROCPRIM_400000_NS6detail17trampoline_kernelINS0_14default_configENS1_35adjacent_difference_config_selectorILb1ElEEZNS1_24adjacent_difference_implIS3_Lb1ELb0EPlS7_ZN2at6native12_GLOBAL__N_124unique_dim_cuda_templateItEESt5tupleIJNS8_6TensorESD_SD_EERKSD_lbbbEUlllE1_EE10hipError_tPvRmT2_T3_mT4_P12ihipStream_tbEUlT_E_NS1_11comp_targetILNS1_3genE0ELNS1_11target_archE4294967295ELNS1_3gpuE0ELNS1_3repE0EEENS1_30default_config_static_selectorELNS0_4arch9wavefront6targetE0EEEvT1_.has_indirect_call, 0
	.section	.AMDGPU.csdata,"",@progbits
; Kernel info:
; codeLenInByte = 2980
; TotalNumSgprs: 31
; NumVgprs: 16
; ScratchSize: 0
; MemoryBound: 0
; FloatMode: 240
; IeeeMode: 1
; LDSByteSize: 8448 bytes/workgroup (compile time only)
; SGPRBlocks: 0
; VGPRBlocks: 0
; NumSGPRsForWavesPerEU: 31
; NumVGPRsForWavesPerEU: 16
; NamedBarCnt: 0
; Occupancy: 16
; WaveLimiterHint : 1
; COMPUTE_PGM_RSRC2:SCRATCH_EN: 0
; COMPUTE_PGM_RSRC2:USER_SGPR: 2
; COMPUTE_PGM_RSRC2:TRAP_HANDLER: 0
; COMPUTE_PGM_RSRC2:TGID_X_EN: 1
; COMPUTE_PGM_RSRC2:TGID_Y_EN: 0
; COMPUTE_PGM_RSRC2:TGID_Z_EN: 0
; COMPUTE_PGM_RSRC2:TIDIG_COMP_CNT: 0
	.section	.text._ZN7rocprim17ROCPRIM_400000_NS6detail17trampoline_kernelINS0_14default_configENS1_35adjacent_difference_config_selectorILb1ElEEZNS1_24adjacent_difference_implIS3_Lb1ELb0EPlS7_ZN2at6native12_GLOBAL__N_124unique_dim_cuda_templateItEESt5tupleIJNS8_6TensorESD_SD_EERKSD_lbbbEUlllE1_EE10hipError_tPvRmT2_T3_mT4_P12ihipStream_tbEUlT_E_NS1_11comp_targetILNS1_3genE10ELNS1_11target_archE1201ELNS1_3gpuE5ELNS1_3repE0EEENS1_30default_config_static_selectorELNS0_4arch9wavefront6targetE0EEEvT1_,"axG",@progbits,_ZN7rocprim17ROCPRIM_400000_NS6detail17trampoline_kernelINS0_14default_configENS1_35adjacent_difference_config_selectorILb1ElEEZNS1_24adjacent_difference_implIS3_Lb1ELb0EPlS7_ZN2at6native12_GLOBAL__N_124unique_dim_cuda_templateItEESt5tupleIJNS8_6TensorESD_SD_EERKSD_lbbbEUlllE1_EE10hipError_tPvRmT2_T3_mT4_P12ihipStream_tbEUlT_E_NS1_11comp_targetILNS1_3genE10ELNS1_11target_archE1201ELNS1_3gpuE5ELNS1_3repE0EEENS1_30default_config_static_selectorELNS0_4arch9wavefront6targetE0EEEvT1_,comdat
	.globl	_ZN7rocprim17ROCPRIM_400000_NS6detail17trampoline_kernelINS0_14default_configENS1_35adjacent_difference_config_selectorILb1ElEEZNS1_24adjacent_difference_implIS3_Lb1ELb0EPlS7_ZN2at6native12_GLOBAL__N_124unique_dim_cuda_templateItEESt5tupleIJNS8_6TensorESD_SD_EERKSD_lbbbEUlllE1_EE10hipError_tPvRmT2_T3_mT4_P12ihipStream_tbEUlT_E_NS1_11comp_targetILNS1_3genE10ELNS1_11target_archE1201ELNS1_3gpuE5ELNS1_3repE0EEENS1_30default_config_static_selectorELNS0_4arch9wavefront6targetE0EEEvT1_ ; -- Begin function _ZN7rocprim17ROCPRIM_400000_NS6detail17trampoline_kernelINS0_14default_configENS1_35adjacent_difference_config_selectorILb1ElEEZNS1_24adjacent_difference_implIS3_Lb1ELb0EPlS7_ZN2at6native12_GLOBAL__N_124unique_dim_cuda_templateItEESt5tupleIJNS8_6TensorESD_SD_EERKSD_lbbbEUlllE1_EE10hipError_tPvRmT2_T3_mT4_P12ihipStream_tbEUlT_E_NS1_11comp_targetILNS1_3genE10ELNS1_11target_archE1201ELNS1_3gpuE5ELNS1_3repE0EEENS1_30default_config_static_selectorELNS0_4arch9wavefront6targetE0EEEvT1_
	.p2align	8
	.type	_ZN7rocprim17ROCPRIM_400000_NS6detail17trampoline_kernelINS0_14default_configENS1_35adjacent_difference_config_selectorILb1ElEEZNS1_24adjacent_difference_implIS3_Lb1ELb0EPlS7_ZN2at6native12_GLOBAL__N_124unique_dim_cuda_templateItEESt5tupleIJNS8_6TensorESD_SD_EERKSD_lbbbEUlllE1_EE10hipError_tPvRmT2_T3_mT4_P12ihipStream_tbEUlT_E_NS1_11comp_targetILNS1_3genE10ELNS1_11target_archE1201ELNS1_3gpuE5ELNS1_3repE0EEENS1_30default_config_static_selectorELNS0_4arch9wavefront6targetE0EEEvT1_,@function
_ZN7rocprim17ROCPRIM_400000_NS6detail17trampoline_kernelINS0_14default_configENS1_35adjacent_difference_config_selectorILb1ElEEZNS1_24adjacent_difference_implIS3_Lb1ELb0EPlS7_ZN2at6native12_GLOBAL__N_124unique_dim_cuda_templateItEESt5tupleIJNS8_6TensorESD_SD_EERKSD_lbbbEUlllE1_EE10hipError_tPvRmT2_T3_mT4_P12ihipStream_tbEUlT_E_NS1_11comp_targetILNS1_3genE10ELNS1_11target_archE1201ELNS1_3gpuE5ELNS1_3repE0EEENS1_30default_config_static_selectorELNS0_4arch9wavefront6targetE0EEEvT1_: ; @_ZN7rocprim17ROCPRIM_400000_NS6detail17trampoline_kernelINS0_14default_configENS1_35adjacent_difference_config_selectorILb1ElEEZNS1_24adjacent_difference_implIS3_Lb1ELb0EPlS7_ZN2at6native12_GLOBAL__N_124unique_dim_cuda_templateItEESt5tupleIJNS8_6TensorESD_SD_EERKSD_lbbbEUlllE1_EE10hipError_tPvRmT2_T3_mT4_P12ihipStream_tbEUlT_E_NS1_11comp_targetILNS1_3genE10ELNS1_11target_archE1201ELNS1_3gpuE5ELNS1_3repE0EEENS1_30default_config_static_selectorELNS0_4arch9wavefront6targetE0EEEvT1_
; %bb.0:
	.section	.rodata,"a",@progbits
	.p2align	6, 0x0
	.amdhsa_kernel _ZN7rocprim17ROCPRIM_400000_NS6detail17trampoline_kernelINS0_14default_configENS1_35adjacent_difference_config_selectorILb1ElEEZNS1_24adjacent_difference_implIS3_Lb1ELb0EPlS7_ZN2at6native12_GLOBAL__N_124unique_dim_cuda_templateItEESt5tupleIJNS8_6TensorESD_SD_EERKSD_lbbbEUlllE1_EE10hipError_tPvRmT2_T3_mT4_P12ihipStream_tbEUlT_E_NS1_11comp_targetILNS1_3genE10ELNS1_11target_archE1201ELNS1_3gpuE5ELNS1_3repE0EEENS1_30default_config_static_selectorELNS0_4arch9wavefront6targetE0EEEvT1_
		.amdhsa_group_segment_fixed_size 0
		.amdhsa_private_segment_fixed_size 0
		.amdhsa_kernarg_size 64
		.amdhsa_user_sgpr_count 2
		.amdhsa_user_sgpr_dispatch_ptr 0
		.amdhsa_user_sgpr_queue_ptr 0
		.amdhsa_user_sgpr_kernarg_segment_ptr 1
		.amdhsa_user_sgpr_dispatch_id 0
		.amdhsa_user_sgpr_kernarg_preload_length 0
		.amdhsa_user_sgpr_kernarg_preload_offset 0
		.amdhsa_user_sgpr_private_segment_size 0
		.amdhsa_wavefront_size32 1
		.amdhsa_uses_dynamic_stack 0
		.amdhsa_enable_private_segment 0
		.amdhsa_system_sgpr_workgroup_id_x 1
		.amdhsa_system_sgpr_workgroup_id_y 0
		.amdhsa_system_sgpr_workgroup_id_z 0
		.amdhsa_system_sgpr_workgroup_info 0
		.amdhsa_system_vgpr_workitem_id 0
		.amdhsa_next_free_vgpr 1
		.amdhsa_next_free_sgpr 1
		.amdhsa_named_barrier_count 0
		.amdhsa_reserve_vcc 0
		.amdhsa_float_round_mode_32 0
		.amdhsa_float_round_mode_16_64 0
		.amdhsa_float_denorm_mode_32 3
		.amdhsa_float_denorm_mode_16_64 3
		.amdhsa_fp16_overflow 0
		.amdhsa_memory_ordered 1
		.amdhsa_forward_progress 1
		.amdhsa_inst_pref_size 0
		.amdhsa_round_robin_scheduling 0
		.amdhsa_exception_fp_ieee_invalid_op 0
		.amdhsa_exception_fp_denorm_src 0
		.amdhsa_exception_fp_ieee_div_zero 0
		.amdhsa_exception_fp_ieee_overflow 0
		.amdhsa_exception_fp_ieee_underflow 0
		.amdhsa_exception_fp_ieee_inexact 0
		.amdhsa_exception_int_div_zero 0
	.end_amdhsa_kernel
	.section	.text._ZN7rocprim17ROCPRIM_400000_NS6detail17trampoline_kernelINS0_14default_configENS1_35adjacent_difference_config_selectorILb1ElEEZNS1_24adjacent_difference_implIS3_Lb1ELb0EPlS7_ZN2at6native12_GLOBAL__N_124unique_dim_cuda_templateItEESt5tupleIJNS8_6TensorESD_SD_EERKSD_lbbbEUlllE1_EE10hipError_tPvRmT2_T3_mT4_P12ihipStream_tbEUlT_E_NS1_11comp_targetILNS1_3genE10ELNS1_11target_archE1201ELNS1_3gpuE5ELNS1_3repE0EEENS1_30default_config_static_selectorELNS0_4arch9wavefront6targetE0EEEvT1_,"axG",@progbits,_ZN7rocprim17ROCPRIM_400000_NS6detail17trampoline_kernelINS0_14default_configENS1_35adjacent_difference_config_selectorILb1ElEEZNS1_24adjacent_difference_implIS3_Lb1ELb0EPlS7_ZN2at6native12_GLOBAL__N_124unique_dim_cuda_templateItEESt5tupleIJNS8_6TensorESD_SD_EERKSD_lbbbEUlllE1_EE10hipError_tPvRmT2_T3_mT4_P12ihipStream_tbEUlT_E_NS1_11comp_targetILNS1_3genE10ELNS1_11target_archE1201ELNS1_3gpuE5ELNS1_3repE0EEENS1_30default_config_static_selectorELNS0_4arch9wavefront6targetE0EEEvT1_,comdat
.Lfunc_end1412:
	.size	_ZN7rocprim17ROCPRIM_400000_NS6detail17trampoline_kernelINS0_14default_configENS1_35adjacent_difference_config_selectorILb1ElEEZNS1_24adjacent_difference_implIS3_Lb1ELb0EPlS7_ZN2at6native12_GLOBAL__N_124unique_dim_cuda_templateItEESt5tupleIJNS8_6TensorESD_SD_EERKSD_lbbbEUlllE1_EE10hipError_tPvRmT2_T3_mT4_P12ihipStream_tbEUlT_E_NS1_11comp_targetILNS1_3genE10ELNS1_11target_archE1201ELNS1_3gpuE5ELNS1_3repE0EEENS1_30default_config_static_selectorELNS0_4arch9wavefront6targetE0EEEvT1_, .Lfunc_end1412-_ZN7rocprim17ROCPRIM_400000_NS6detail17trampoline_kernelINS0_14default_configENS1_35adjacent_difference_config_selectorILb1ElEEZNS1_24adjacent_difference_implIS3_Lb1ELb0EPlS7_ZN2at6native12_GLOBAL__N_124unique_dim_cuda_templateItEESt5tupleIJNS8_6TensorESD_SD_EERKSD_lbbbEUlllE1_EE10hipError_tPvRmT2_T3_mT4_P12ihipStream_tbEUlT_E_NS1_11comp_targetILNS1_3genE10ELNS1_11target_archE1201ELNS1_3gpuE5ELNS1_3repE0EEENS1_30default_config_static_selectorELNS0_4arch9wavefront6targetE0EEEvT1_
                                        ; -- End function
	.set _ZN7rocprim17ROCPRIM_400000_NS6detail17trampoline_kernelINS0_14default_configENS1_35adjacent_difference_config_selectorILb1ElEEZNS1_24adjacent_difference_implIS3_Lb1ELb0EPlS7_ZN2at6native12_GLOBAL__N_124unique_dim_cuda_templateItEESt5tupleIJNS8_6TensorESD_SD_EERKSD_lbbbEUlllE1_EE10hipError_tPvRmT2_T3_mT4_P12ihipStream_tbEUlT_E_NS1_11comp_targetILNS1_3genE10ELNS1_11target_archE1201ELNS1_3gpuE5ELNS1_3repE0EEENS1_30default_config_static_selectorELNS0_4arch9wavefront6targetE0EEEvT1_.num_vgpr, 0
	.set _ZN7rocprim17ROCPRIM_400000_NS6detail17trampoline_kernelINS0_14default_configENS1_35adjacent_difference_config_selectorILb1ElEEZNS1_24adjacent_difference_implIS3_Lb1ELb0EPlS7_ZN2at6native12_GLOBAL__N_124unique_dim_cuda_templateItEESt5tupleIJNS8_6TensorESD_SD_EERKSD_lbbbEUlllE1_EE10hipError_tPvRmT2_T3_mT4_P12ihipStream_tbEUlT_E_NS1_11comp_targetILNS1_3genE10ELNS1_11target_archE1201ELNS1_3gpuE5ELNS1_3repE0EEENS1_30default_config_static_selectorELNS0_4arch9wavefront6targetE0EEEvT1_.num_agpr, 0
	.set _ZN7rocprim17ROCPRIM_400000_NS6detail17trampoline_kernelINS0_14default_configENS1_35adjacent_difference_config_selectorILb1ElEEZNS1_24adjacent_difference_implIS3_Lb1ELb0EPlS7_ZN2at6native12_GLOBAL__N_124unique_dim_cuda_templateItEESt5tupleIJNS8_6TensorESD_SD_EERKSD_lbbbEUlllE1_EE10hipError_tPvRmT2_T3_mT4_P12ihipStream_tbEUlT_E_NS1_11comp_targetILNS1_3genE10ELNS1_11target_archE1201ELNS1_3gpuE5ELNS1_3repE0EEENS1_30default_config_static_selectorELNS0_4arch9wavefront6targetE0EEEvT1_.numbered_sgpr, 0
	.set _ZN7rocprim17ROCPRIM_400000_NS6detail17trampoline_kernelINS0_14default_configENS1_35adjacent_difference_config_selectorILb1ElEEZNS1_24adjacent_difference_implIS3_Lb1ELb0EPlS7_ZN2at6native12_GLOBAL__N_124unique_dim_cuda_templateItEESt5tupleIJNS8_6TensorESD_SD_EERKSD_lbbbEUlllE1_EE10hipError_tPvRmT2_T3_mT4_P12ihipStream_tbEUlT_E_NS1_11comp_targetILNS1_3genE10ELNS1_11target_archE1201ELNS1_3gpuE5ELNS1_3repE0EEENS1_30default_config_static_selectorELNS0_4arch9wavefront6targetE0EEEvT1_.num_named_barrier, 0
	.set _ZN7rocprim17ROCPRIM_400000_NS6detail17trampoline_kernelINS0_14default_configENS1_35adjacent_difference_config_selectorILb1ElEEZNS1_24adjacent_difference_implIS3_Lb1ELb0EPlS7_ZN2at6native12_GLOBAL__N_124unique_dim_cuda_templateItEESt5tupleIJNS8_6TensorESD_SD_EERKSD_lbbbEUlllE1_EE10hipError_tPvRmT2_T3_mT4_P12ihipStream_tbEUlT_E_NS1_11comp_targetILNS1_3genE10ELNS1_11target_archE1201ELNS1_3gpuE5ELNS1_3repE0EEENS1_30default_config_static_selectorELNS0_4arch9wavefront6targetE0EEEvT1_.private_seg_size, 0
	.set _ZN7rocprim17ROCPRIM_400000_NS6detail17trampoline_kernelINS0_14default_configENS1_35adjacent_difference_config_selectorILb1ElEEZNS1_24adjacent_difference_implIS3_Lb1ELb0EPlS7_ZN2at6native12_GLOBAL__N_124unique_dim_cuda_templateItEESt5tupleIJNS8_6TensorESD_SD_EERKSD_lbbbEUlllE1_EE10hipError_tPvRmT2_T3_mT4_P12ihipStream_tbEUlT_E_NS1_11comp_targetILNS1_3genE10ELNS1_11target_archE1201ELNS1_3gpuE5ELNS1_3repE0EEENS1_30default_config_static_selectorELNS0_4arch9wavefront6targetE0EEEvT1_.uses_vcc, 0
	.set _ZN7rocprim17ROCPRIM_400000_NS6detail17trampoline_kernelINS0_14default_configENS1_35adjacent_difference_config_selectorILb1ElEEZNS1_24adjacent_difference_implIS3_Lb1ELb0EPlS7_ZN2at6native12_GLOBAL__N_124unique_dim_cuda_templateItEESt5tupleIJNS8_6TensorESD_SD_EERKSD_lbbbEUlllE1_EE10hipError_tPvRmT2_T3_mT4_P12ihipStream_tbEUlT_E_NS1_11comp_targetILNS1_3genE10ELNS1_11target_archE1201ELNS1_3gpuE5ELNS1_3repE0EEENS1_30default_config_static_selectorELNS0_4arch9wavefront6targetE0EEEvT1_.uses_flat_scratch, 0
	.set _ZN7rocprim17ROCPRIM_400000_NS6detail17trampoline_kernelINS0_14default_configENS1_35adjacent_difference_config_selectorILb1ElEEZNS1_24adjacent_difference_implIS3_Lb1ELb0EPlS7_ZN2at6native12_GLOBAL__N_124unique_dim_cuda_templateItEESt5tupleIJNS8_6TensorESD_SD_EERKSD_lbbbEUlllE1_EE10hipError_tPvRmT2_T3_mT4_P12ihipStream_tbEUlT_E_NS1_11comp_targetILNS1_3genE10ELNS1_11target_archE1201ELNS1_3gpuE5ELNS1_3repE0EEENS1_30default_config_static_selectorELNS0_4arch9wavefront6targetE0EEEvT1_.has_dyn_sized_stack, 0
	.set _ZN7rocprim17ROCPRIM_400000_NS6detail17trampoline_kernelINS0_14default_configENS1_35adjacent_difference_config_selectorILb1ElEEZNS1_24adjacent_difference_implIS3_Lb1ELb0EPlS7_ZN2at6native12_GLOBAL__N_124unique_dim_cuda_templateItEESt5tupleIJNS8_6TensorESD_SD_EERKSD_lbbbEUlllE1_EE10hipError_tPvRmT2_T3_mT4_P12ihipStream_tbEUlT_E_NS1_11comp_targetILNS1_3genE10ELNS1_11target_archE1201ELNS1_3gpuE5ELNS1_3repE0EEENS1_30default_config_static_selectorELNS0_4arch9wavefront6targetE0EEEvT1_.has_recursion, 0
	.set _ZN7rocprim17ROCPRIM_400000_NS6detail17trampoline_kernelINS0_14default_configENS1_35adjacent_difference_config_selectorILb1ElEEZNS1_24adjacent_difference_implIS3_Lb1ELb0EPlS7_ZN2at6native12_GLOBAL__N_124unique_dim_cuda_templateItEESt5tupleIJNS8_6TensorESD_SD_EERKSD_lbbbEUlllE1_EE10hipError_tPvRmT2_T3_mT4_P12ihipStream_tbEUlT_E_NS1_11comp_targetILNS1_3genE10ELNS1_11target_archE1201ELNS1_3gpuE5ELNS1_3repE0EEENS1_30default_config_static_selectorELNS0_4arch9wavefront6targetE0EEEvT1_.has_indirect_call, 0
	.section	.AMDGPU.csdata,"",@progbits
; Kernel info:
; codeLenInByte = 0
; TotalNumSgprs: 0
; NumVgprs: 0
; ScratchSize: 0
; MemoryBound: 0
; FloatMode: 240
; IeeeMode: 1
; LDSByteSize: 0 bytes/workgroup (compile time only)
; SGPRBlocks: 0
; VGPRBlocks: 0
; NumSGPRsForWavesPerEU: 1
; NumVGPRsForWavesPerEU: 1
; NamedBarCnt: 0
; Occupancy: 16
; WaveLimiterHint : 0
; COMPUTE_PGM_RSRC2:SCRATCH_EN: 0
; COMPUTE_PGM_RSRC2:USER_SGPR: 2
; COMPUTE_PGM_RSRC2:TRAP_HANDLER: 0
; COMPUTE_PGM_RSRC2:TGID_X_EN: 1
; COMPUTE_PGM_RSRC2:TGID_Y_EN: 0
; COMPUTE_PGM_RSRC2:TGID_Z_EN: 0
; COMPUTE_PGM_RSRC2:TIDIG_COMP_CNT: 0
	.section	.text._ZN7rocprim17ROCPRIM_400000_NS6detail17trampoline_kernelINS0_14default_configENS1_35adjacent_difference_config_selectorILb1ElEEZNS1_24adjacent_difference_implIS3_Lb1ELb0EPlS7_ZN2at6native12_GLOBAL__N_124unique_dim_cuda_templateItEESt5tupleIJNS8_6TensorESD_SD_EERKSD_lbbbEUlllE1_EE10hipError_tPvRmT2_T3_mT4_P12ihipStream_tbEUlT_E_NS1_11comp_targetILNS1_3genE5ELNS1_11target_archE942ELNS1_3gpuE9ELNS1_3repE0EEENS1_30default_config_static_selectorELNS0_4arch9wavefront6targetE0EEEvT1_,"axG",@progbits,_ZN7rocprim17ROCPRIM_400000_NS6detail17trampoline_kernelINS0_14default_configENS1_35adjacent_difference_config_selectorILb1ElEEZNS1_24adjacent_difference_implIS3_Lb1ELb0EPlS7_ZN2at6native12_GLOBAL__N_124unique_dim_cuda_templateItEESt5tupleIJNS8_6TensorESD_SD_EERKSD_lbbbEUlllE1_EE10hipError_tPvRmT2_T3_mT4_P12ihipStream_tbEUlT_E_NS1_11comp_targetILNS1_3genE5ELNS1_11target_archE942ELNS1_3gpuE9ELNS1_3repE0EEENS1_30default_config_static_selectorELNS0_4arch9wavefront6targetE0EEEvT1_,comdat
	.globl	_ZN7rocprim17ROCPRIM_400000_NS6detail17trampoline_kernelINS0_14default_configENS1_35adjacent_difference_config_selectorILb1ElEEZNS1_24adjacent_difference_implIS3_Lb1ELb0EPlS7_ZN2at6native12_GLOBAL__N_124unique_dim_cuda_templateItEESt5tupleIJNS8_6TensorESD_SD_EERKSD_lbbbEUlllE1_EE10hipError_tPvRmT2_T3_mT4_P12ihipStream_tbEUlT_E_NS1_11comp_targetILNS1_3genE5ELNS1_11target_archE942ELNS1_3gpuE9ELNS1_3repE0EEENS1_30default_config_static_selectorELNS0_4arch9wavefront6targetE0EEEvT1_ ; -- Begin function _ZN7rocprim17ROCPRIM_400000_NS6detail17trampoline_kernelINS0_14default_configENS1_35adjacent_difference_config_selectorILb1ElEEZNS1_24adjacent_difference_implIS3_Lb1ELb0EPlS7_ZN2at6native12_GLOBAL__N_124unique_dim_cuda_templateItEESt5tupleIJNS8_6TensorESD_SD_EERKSD_lbbbEUlllE1_EE10hipError_tPvRmT2_T3_mT4_P12ihipStream_tbEUlT_E_NS1_11comp_targetILNS1_3genE5ELNS1_11target_archE942ELNS1_3gpuE9ELNS1_3repE0EEENS1_30default_config_static_selectorELNS0_4arch9wavefront6targetE0EEEvT1_
	.p2align	8
	.type	_ZN7rocprim17ROCPRIM_400000_NS6detail17trampoline_kernelINS0_14default_configENS1_35adjacent_difference_config_selectorILb1ElEEZNS1_24adjacent_difference_implIS3_Lb1ELb0EPlS7_ZN2at6native12_GLOBAL__N_124unique_dim_cuda_templateItEESt5tupleIJNS8_6TensorESD_SD_EERKSD_lbbbEUlllE1_EE10hipError_tPvRmT2_T3_mT4_P12ihipStream_tbEUlT_E_NS1_11comp_targetILNS1_3genE5ELNS1_11target_archE942ELNS1_3gpuE9ELNS1_3repE0EEENS1_30default_config_static_selectorELNS0_4arch9wavefront6targetE0EEEvT1_,@function
_ZN7rocprim17ROCPRIM_400000_NS6detail17trampoline_kernelINS0_14default_configENS1_35adjacent_difference_config_selectorILb1ElEEZNS1_24adjacent_difference_implIS3_Lb1ELb0EPlS7_ZN2at6native12_GLOBAL__N_124unique_dim_cuda_templateItEESt5tupleIJNS8_6TensorESD_SD_EERKSD_lbbbEUlllE1_EE10hipError_tPvRmT2_T3_mT4_P12ihipStream_tbEUlT_E_NS1_11comp_targetILNS1_3genE5ELNS1_11target_archE942ELNS1_3gpuE9ELNS1_3repE0EEENS1_30default_config_static_selectorELNS0_4arch9wavefront6targetE0EEEvT1_: ; @_ZN7rocprim17ROCPRIM_400000_NS6detail17trampoline_kernelINS0_14default_configENS1_35adjacent_difference_config_selectorILb1ElEEZNS1_24adjacent_difference_implIS3_Lb1ELb0EPlS7_ZN2at6native12_GLOBAL__N_124unique_dim_cuda_templateItEESt5tupleIJNS8_6TensorESD_SD_EERKSD_lbbbEUlllE1_EE10hipError_tPvRmT2_T3_mT4_P12ihipStream_tbEUlT_E_NS1_11comp_targetILNS1_3genE5ELNS1_11target_archE942ELNS1_3gpuE9ELNS1_3repE0EEENS1_30default_config_static_selectorELNS0_4arch9wavefront6targetE0EEEvT1_
; %bb.0:
	.section	.rodata,"a",@progbits
	.p2align	6, 0x0
	.amdhsa_kernel _ZN7rocprim17ROCPRIM_400000_NS6detail17trampoline_kernelINS0_14default_configENS1_35adjacent_difference_config_selectorILb1ElEEZNS1_24adjacent_difference_implIS3_Lb1ELb0EPlS7_ZN2at6native12_GLOBAL__N_124unique_dim_cuda_templateItEESt5tupleIJNS8_6TensorESD_SD_EERKSD_lbbbEUlllE1_EE10hipError_tPvRmT2_T3_mT4_P12ihipStream_tbEUlT_E_NS1_11comp_targetILNS1_3genE5ELNS1_11target_archE942ELNS1_3gpuE9ELNS1_3repE0EEENS1_30default_config_static_selectorELNS0_4arch9wavefront6targetE0EEEvT1_
		.amdhsa_group_segment_fixed_size 0
		.amdhsa_private_segment_fixed_size 0
		.amdhsa_kernarg_size 64
		.amdhsa_user_sgpr_count 2
		.amdhsa_user_sgpr_dispatch_ptr 0
		.amdhsa_user_sgpr_queue_ptr 0
		.amdhsa_user_sgpr_kernarg_segment_ptr 1
		.amdhsa_user_sgpr_dispatch_id 0
		.amdhsa_user_sgpr_kernarg_preload_length 0
		.amdhsa_user_sgpr_kernarg_preload_offset 0
		.amdhsa_user_sgpr_private_segment_size 0
		.amdhsa_wavefront_size32 1
		.amdhsa_uses_dynamic_stack 0
		.amdhsa_enable_private_segment 0
		.amdhsa_system_sgpr_workgroup_id_x 1
		.amdhsa_system_sgpr_workgroup_id_y 0
		.amdhsa_system_sgpr_workgroup_id_z 0
		.amdhsa_system_sgpr_workgroup_info 0
		.amdhsa_system_vgpr_workitem_id 0
		.amdhsa_next_free_vgpr 1
		.amdhsa_next_free_sgpr 1
		.amdhsa_named_barrier_count 0
		.amdhsa_reserve_vcc 0
		.amdhsa_float_round_mode_32 0
		.amdhsa_float_round_mode_16_64 0
		.amdhsa_float_denorm_mode_32 3
		.amdhsa_float_denorm_mode_16_64 3
		.amdhsa_fp16_overflow 0
		.amdhsa_memory_ordered 1
		.amdhsa_forward_progress 1
		.amdhsa_inst_pref_size 0
		.amdhsa_round_robin_scheduling 0
		.amdhsa_exception_fp_ieee_invalid_op 0
		.amdhsa_exception_fp_denorm_src 0
		.amdhsa_exception_fp_ieee_div_zero 0
		.amdhsa_exception_fp_ieee_overflow 0
		.amdhsa_exception_fp_ieee_underflow 0
		.amdhsa_exception_fp_ieee_inexact 0
		.amdhsa_exception_int_div_zero 0
	.end_amdhsa_kernel
	.section	.text._ZN7rocprim17ROCPRIM_400000_NS6detail17trampoline_kernelINS0_14default_configENS1_35adjacent_difference_config_selectorILb1ElEEZNS1_24adjacent_difference_implIS3_Lb1ELb0EPlS7_ZN2at6native12_GLOBAL__N_124unique_dim_cuda_templateItEESt5tupleIJNS8_6TensorESD_SD_EERKSD_lbbbEUlllE1_EE10hipError_tPvRmT2_T3_mT4_P12ihipStream_tbEUlT_E_NS1_11comp_targetILNS1_3genE5ELNS1_11target_archE942ELNS1_3gpuE9ELNS1_3repE0EEENS1_30default_config_static_selectorELNS0_4arch9wavefront6targetE0EEEvT1_,"axG",@progbits,_ZN7rocprim17ROCPRIM_400000_NS6detail17trampoline_kernelINS0_14default_configENS1_35adjacent_difference_config_selectorILb1ElEEZNS1_24adjacent_difference_implIS3_Lb1ELb0EPlS7_ZN2at6native12_GLOBAL__N_124unique_dim_cuda_templateItEESt5tupleIJNS8_6TensorESD_SD_EERKSD_lbbbEUlllE1_EE10hipError_tPvRmT2_T3_mT4_P12ihipStream_tbEUlT_E_NS1_11comp_targetILNS1_3genE5ELNS1_11target_archE942ELNS1_3gpuE9ELNS1_3repE0EEENS1_30default_config_static_selectorELNS0_4arch9wavefront6targetE0EEEvT1_,comdat
.Lfunc_end1413:
	.size	_ZN7rocprim17ROCPRIM_400000_NS6detail17trampoline_kernelINS0_14default_configENS1_35adjacent_difference_config_selectorILb1ElEEZNS1_24adjacent_difference_implIS3_Lb1ELb0EPlS7_ZN2at6native12_GLOBAL__N_124unique_dim_cuda_templateItEESt5tupleIJNS8_6TensorESD_SD_EERKSD_lbbbEUlllE1_EE10hipError_tPvRmT2_T3_mT4_P12ihipStream_tbEUlT_E_NS1_11comp_targetILNS1_3genE5ELNS1_11target_archE942ELNS1_3gpuE9ELNS1_3repE0EEENS1_30default_config_static_selectorELNS0_4arch9wavefront6targetE0EEEvT1_, .Lfunc_end1413-_ZN7rocprim17ROCPRIM_400000_NS6detail17trampoline_kernelINS0_14default_configENS1_35adjacent_difference_config_selectorILb1ElEEZNS1_24adjacent_difference_implIS3_Lb1ELb0EPlS7_ZN2at6native12_GLOBAL__N_124unique_dim_cuda_templateItEESt5tupleIJNS8_6TensorESD_SD_EERKSD_lbbbEUlllE1_EE10hipError_tPvRmT2_T3_mT4_P12ihipStream_tbEUlT_E_NS1_11comp_targetILNS1_3genE5ELNS1_11target_archE942ELNS1_3gpuE9ELNS1_3repE0EEENS1_30default_config_static_selectorELNS0_4arch9wavefront6targetE0EEEvT1_
                                        ; -- End function
	.set _ZN7rocprim17ROCPRIM_400000_NS6detail17trampoline_kernelINS0_14default_configENS1_35adjacent_difference_config_selectorILb1ElEEZNS1_24adjacent_difference_implIS3_Lb1ELb0EPlS7_ZN2at6native12_GLOBAL__N_124unique_dim_cuda_templateItEESt5tupleIJNS8_6TensorESD_SD_EERKSD_lbbbEUlllE1_EE10hipError_tPvRmT2_T3_mT4_P12ihipStream_tbEUlT_E_NS1_11comp_targetILNS1_3genE5ELNS1_11target_archE942ELNS1_3gpuE9ELNS1_3repE0EEENS1_30default_config_static_selectorELNS0_4arch9wavefront6targetE0EEEvT1_.num_vgpr, 0
	.set _ZN7rocprim17ROCPRIM_400000_NS6detail17trampoline_kernelINS0_14default_configENS1_35adjacent_difference_config_selectorILb1ElEEZNS1_24adjacent_difference_implIS3_Lb1ELb0EPlS7_ZN2at6native12_GLOBAL__N_124unique_dim_cuda_templateItEESt5tupleIJNS8_6TensorESD_SD_EERKSD_lbbbEUlllE1_EE10hipError_tPvRmT2_T3_mT4_P12ihipStream_tbEUlT_E_NS1_11comp_targetILNS1_3genE5ELNS1_11target_archE942ELNS1_3gpuE9ELNS1_3repE0EEENS1_30default_config_static_selectorELNS0_4arch9wavefront6targetE0EEEvT1_.num_agpr, 0
	.set _ZN7rocprim17ROCPRIM_400000_NS6detail17trampoline_kernelINS0_14default_configENS1_35adjacent_difference_config_selectorILb1ElEEZNS1_24adjacent_difference_implIS3_Lb1ELb0EPlS7_ZN2at6native12_GLOBAL__N_124unique_dim_cuda_templateItEESt5tupleIJNS8_6TensorESD_SD_EERKSD_lbbbEUlllE1_EE10hipError_tPvRmT2_T3_mT4_P12ihipStream_tbEUlT_E_NS1_11comp_targetILNS1_3genE5ELNS1_11target_archE942ELNS1_3gpuE9ELNS1_3repE0EEENS1_30default_config_static_selectorELNS0_4arch9wavefront6targetE0EEEvT1_.numbered_sgpr, 0
	.set _ZN7rocprim17ROCPRIM_400000_NS6detail17trampoline_kernelINS0_14default_configENS1_35adjacent_difference_config_selectorILb1ElEEZNS1_24adjacent_difference_implIS3_Lb1ELb0EPlS7_ZN2at6native12_GLOBAL__N_124unique_dim_cuda_templateItEESt5tupleIJNS8_6TensorESD_SD_EERKSD_lbbbEUlllE1_EE10hipError_tPvRmT2_T3_mT4_P12ihipStream_tbEUlT_E_NS1_11comp_targetILNS1_3genE5ELNS1_11target_archE942ELNS1_3gpuE9ELNS1_3repE0EEENS1_30default_config_static_selectorELNS0_4arch9wavefront6targetE0EEEvT1_.num_named_barrier, 0
	.set _ZN7rocprim17ROCPRIM_400000_NS6detail17trampoline_kernelINS0_14default_configENS1_35adjacent_difference_config_selectorILb1ElEEZNS1_24adjacent_difference_implIS3_Lb1ELb0EPlS7_ZN2at6native12_GLOBAL__N_124unique_dim_cuda_templateItEESt5tupleIJNS8_6TensorESD_SD_EERKSD_lbbbEUlllE1_EE10hipError_tPvRmT2_T3_mT4_P12ihipStream_tbEUlT_E_NS1_11comp_targetILNS1_3genE5ELNS1_11target_archE942ELNS1_3gpuE9ELNS1_3repE0EEENS1_30default_config_static_selectorELNS0_4arch9wavefront6targetE0EEEvT1_.private_seg_size, 0
	.set _ZN7rocprim17ROCPRIM_400000_NS6detail17trampoline_kernelINS0_14default_configENS1_35adjacent_difference_config_selectorILb1ElEEZNS1_24adjacent_difference_implIS3_Lb1ELb0EPlS7_ZN2at6native12_GLOBAL__N_124unique_dim_cuda_templateItEESt5tupleIJNS8_6TensorESD_SD_EERKSD_lbbbEUlllE1_EE10hipError_tPvRmT2_T3_mT4_P12ihipStream_tbEUlT_E_NS1_11comp_targetILNS1_3genE5ELNS1_11target_archE942ELNS1_3gpuE9ELNS1_3repE0EEENS1_30default_config_static_selectorELNS0_4arch9wavefront6targetE0EEEvT1_.uses_vcc, 0
	.set _ZN7rocprim17ROCPRIM_400000_NS6detail17trampoline_kernelINS0_14default_configENS1_35adjacent_difference_config_selectorILb1ElEEZNS1_24adjacent_difference_implIS3_Lb1ELb0EPlS7_ZN2at6native12_GLOBAL__N_124unique_dim_cuda_templateItEESt5tupleIJNS8_6TensorESD_SD_EERKSD_lbbbEUlllE1_EE10hipError_tPvRmT2_T3_mT4_P12ihipStream_tbEUlT_E_NS1_11comp_targetILNS1_3genE5ELNS1_11target_archE942ELNS1_3gpuE9ELNS1_3repE0EEENS1_30default_config_static_selectorELNS0_4arch9wavefront6targetE0EEEvT1_.uses_flat_scratch, 0
	.set _ZN7rocprim17ROCPRIM_400000_NS6detail17trampoline_kernelINS0_14default_configENS1_35adjacent_difference_config_selectorILb1ElEEZNS1_24adjacent_difference_implIS3_Lb1ELb0EPlS7_ZN2at6native12_GLOBAL__N_124unique_dim_cuda_templateItEESt5tupleIJNS8_6TensorESD_SD_EERKSD_lbbbEUlllE1_EE10hipError_tPvRmT2_T3_mT4_P12ihipStream_tbEUlT_E_NS1_11comp_targetILNS1_3genE5ELNS1_11target_archE942ELNS1_3gpuE9ELNS1_3repE0EEENS1_30default_config_static_selectorELNS0_4arch9wavefront6targetE0EEEvT1_.has_dyn_sized_stack, 0
	.set _ZN7rocprim17ROCPRIM_400000_NS6detail17trampoline_kernelINS0_14default_configENS1_35adjacent_difference_config_selectorILb1ElEEZNS1_24adjacent_difference_implIS3_Lb1ELb0EPlS7_ZN2at6native12_GLOBAL__N_124unique_dim_cuda_templateItEESt5tupleIJNS8_6TensorESD_SD_EERKSD_lbbbEUlllE1_EE10hipError_tPvRmT2_T3_mT4_P12ihipStream_tbEUlT_E_NS1_11comp_targetILNS1_3genE5ELNS1_11target_archE942ELNS1_3gpuE9ELNS1_3repE0EEENS1_30default_config_static_selectorELNS0_4arch9wavefront6targetE0EEEvT1_.has_recursion, 0
	.set _ZN7rocprim17ROCPRIM_400000_NS6detail17trampoline_kernelINS0_14default_configENS1_35adjacent_difference_config_selectorILb1ElEEZNS1_24adjacent_difference_implIS3_Lb1ELb0EPlS7_ZN2at6native12_GLOBAL__N_124unique_dim_cuda_templateItEESt5tupleIJNS8_6TensorESD_SD_EERKSD_lbbbEUlllE1_EE10hipError_tPvRmT2_T3_mT4_P12ihipStream_tbEUlT_E_NS1_11comp_targetILNS1_3genE5ELNS1_11target_archE942ELNS1_3gpuE9ELNS1_3repE0EEENS1_30default_config_static_selectorELNS0_4arch9wavefront6targetE0EEEvT1_.has_indirect_call, 0
	.section	.AMDGPU.csdata,"",@progbits
; Kernel info:
; codeLenInByte = 0
; TotalNumSgprs: 0
; NumVgprs: 0
; ScratchSize: 0
; MemoryBound: 0
; FloatMode: 240
; IeeeMode: 1
; LDSByteSize: 0 bytes/workgroup (compile time only)
; SGPRBlocks: 0
; VGPRBlocks: 0
; NumSGPRsForWavesPerEU: 1
; NumVGPRsForWavesPerEU: 1
; NamedBarCnt: 0
; Occupancy: 16
; WaveLimiterHint : 0
; COMPUTE_PGM_RSRC2:SCRATCH_EN: 0
; COMPUTE_PGM_RSRC2:USER_SGPR: 2
; COMPUTE_PGM_RSRC2:TRAP_HANDLER: 0
; COMPUTE_PGM_RSRC2:TGID_X_EN: 1
; COMPUTE_PGM_RSRC2:TGID_Y_EN: 0
; COMPUTE_PGM_RSRC2:TGID_Z_EN: 0
; COMPUTE_PGM_RSRC2:TIDIG_COMP_CNT: 0
	.section	.text._ZN7rocprim17ROCPRIM_400000_NS6detail17trampoline_kernelINS0_14default_configENS1_35adjacent_difference_config_selectorILb1ElEEZNS1_24adjacent_difference_implIS3_Lb1ELb0EPlS7_ZN2at6native12_GLOBAL__N_124unique_dim_cuda_templateItEESt5tupleIJNS8_6TensorESD_SD_EERKSD_lbbbEUlllE1_EE10hipError_tPvRmT2_T3_mT4_P12ihipStream_tbEUlT_E_NS1_11comp_targetILNS1_3genE4ELNS1_11target_archE910ELNS1_3gpuE8ELNS1_3repE0EEENS1_30default_config_static_selectorELNS0_4arch9wavefront6targetE0EEEvT1_,"axG",@progbits,_ZN7rocprim17ROCPRIM_400000_NS6detail17trampoline_kernelINS0_14default_configENS1_35adjacent_difference_config_selectorILb1ElEEZNS1_24adjacent_difference_implIS3_Lb1ELb0EPlS7_ZN2at6native12_GLOBAL__N_124unique_dim_cuda_templateItEESt5tupleIJNS8_6TensorESD_SD_EERKSD_lbbbEUlllE1_EE10hipError_tPvRmT2_T3_mT4_P12ihipStream_tbEUlT_E_NS1_11comp_targetILNS1_3genE4ELNS1_11target_archE910ELNS1_3gpuE8ELNS1_3repE0EEENS1_30default_config_static_selectorELNS0_4arch9wavefront6targetE0EEEvT1_,comdat
	.globl	_ZN7rocprim17ROCPRIM_400000_NS6detail17trampoline_kernelINS0_14default_configENS1_35adjacent_difference_config_selectorILb1ElEEZNS1_24adjacent_difference_implIS3_Lb1ELb0EPlS7_ZN2at6native12_GLOBAL__N_124unique_dim_cuda_templateItEESt5tupleIJNS8_6TensorESD_SD_EERKSD_lbbbEUlllE1_EE10hipError_tPvRmT2_T3_mT4_P12ihipStream_tbEUlT_E_NS1_11comp_targetILNS1_3genE4ELNS1_11target_archE910ELNS1_3gpuE8ELNS1_3repE0EEENS1_30default_config_static_selectorELNS0_4arch9wavefront6targetE0EEEvT1_ ; -- Begin function _ZN7rocprim17ROCPRIM_400000_NS6detail17trampoline_kernelINS0_14default_configENS1_35adjacent_difference_config_selectorILb1ElEEZNS1_24adjacent_difference_implIS3_Lb1ELb0EPlS7_ZN2at6native12_GLOBAL__N_124unique_dim_cuda_templateItEESt5tupleIJNS8_6TensorESD_SD_EERKSD_lbbbEUlllE1_EE10hipError_tPvRmT2_T3_mT4_P12ihipStream_tbEUlT_E_NS1_11comp_targetILNS1_3genE4ELNS1_11target_archE910ELNS1_3gpuE8ELNS1_3repE0EEENS1_30default_config_static_selectorELNS0_4arch9wavefront6targetE0EEEvT1_
	.p2align	8
	.type	_ZN7rocprim17ROCPRIM_400000_NS6detail17trampoline_kernelINS0_14default_configENS1_35adjacent_difference_config_selectorILb1ElEEZNS1_24adjacent_difference_implIS3_Lb1ELb0EPlS7_ZN2at6native12_GLOBAL__N_124unique_dim_cuda_templateItEESt5tupleIJNS8_6TensorESD_SD_EERKSD_lbbbEUlllE1_EE10hipError_tPvRmT2_T3_mT4_P12ihipStream_tbEUlT_E_NS1_11comp_targetILNS1_3genE4ELNS1_11target_archE910ELNS1_3gpuE8ELNS1_3repE0EEENS1_30default_config_static_selectorELNS0_4arch9wavefront6targetE0EEEvT1_,@function
_ZN7rocprim17ROCPRIM_400000_NS6detail17trampoline_kernelINS0_14default_configENS1_35adjacent_difference_config_selectorILb1ElEEZNS1_24adjacent_difference_implIS3_Lb1ELb0EPlS7_ZN2at6native12_GLOBAL__N_124unique_dim_cuda_templateItEESt5tupleIJNS8_6TensorESD_SD_EERKSD_lbbbEUlllE1_EE10hipError_tPvRmT2_T3_mT4_P12ihipStream_tbEUlT_E_NS1_11comp_targetILNS1_3genE4ELNS1_11target_archE910ELNS1_3gpuE8ELNS1_3repE0EEENS1_30default_config_static_selectorELNS0_4arch9wavefront6targetE0EEEvT1_: ; @_ZN7rocprim17ROCPRIM_400000_NS6detail17trampoline_kernelINS0_14default_configENS1_35adjacent_difference_config_selectorILb1ElEEZNS1_24adjacent_difference_implIS3_Lb1ELb0EPlS7_ZN2at6native12_GLOBAL__N_124unique_dim_cuda_templateItEESt5tupleIJNS8_6TensorESD_SD_EERKSD_lbbbEUlllE1_EE10hipError_tPvRmT2_T3_mT4_P12ihipStream_tbEUlT_E_NS1_11comp_targetILNS1_3genE4ELNS1_11target_archE910ELNS1_3gpuE8ELNS1_3repE0EEENS1_30default_config_static_selectorELNS0_4arch9wavefront6targetE0EEEvT1_
; %bb.0:
	.section	.rodata,"a",@progbits
	.p2align	6, 0x0
	.amdhsa_kernel _ZN7rocprim17ROCPRIM_400000_NS6detail17trampoline_kernelINS0_14default_configENS1_35adjacent_difference_config_selectorILb1ElEEZNS1_24adjacent_difference_implIS3_Lb1ELb0EPlS7_ZN2at6native12_GLOBAL__N_124unique_dim_cuda_templateItEESt5tupleIJNS8_6TensorESD_SD_EERKSD_lbbbEUlllE1_EE10hipError_tPvRmT2_T3_mT4_P12ihipStream_tbEUlT_E_NS1_11comp_targetILNS1_3genE4ELNS1_11target_archE910ELNS1_3gpuE8ELNS1_3repE0EEENS1_30default_config_static_selectorELNS0_4arch9wavefront6targetE0EEEvT1_
		.amdhsa_group_segment_fixed_size 0
		.amdhsa_private_segment_fixed_size 0
		.amdhsa_kernarg_size 64
		.amdhsa_user_sgpr_count 2
		.amdhsa_user_sgpr_dispatch_ptr 0
		.amdhsa_user_sgpr_queue_ptr 0
		.amdhsa_user_sgpr_kernarg_segment_ptr 1
		.amdhsa_user_sgpr_dispatch_id 0
		.amdhsa_user_sgpr_kernarg_preload_length 0
		.amdhsa_user_sgpr_kernarg_preload_offset 0
		.amdhsa_user_sgpr_private_segment_size 0
		.amdhsa_wavefront_size32 1
		.amdhsa_uses_dynamic_stack 0
		.amdhsa_enable_private_segment 0
		.amdhsa_system_sgpr_workgroup_id_x 1
		.amdhsa_system_sgpr_workgroup_id_y 0
		.amdhsa_system_sgpr_workgroup_id_z 0
		.amdhsa_system_sgpr_workgroup_info 0
		.amdhsa_system_vgpr_workitem_id 0
		.amdhsa_next_free_vgpr 1
		.amdhsa_next_free_sgpr 1
		.amdhsa_named_barrier_count 0
		.amdhsa_reserve_vcc 0
		.amdhsa_float_round_mode_32 0
		.amdhsa_float_round_mode_16_64 0
		.amdhsa_float_denorm_mode_32 3
		.amdhsa_float_denorm_mode_16_64 3
		.amdhsa_fp16_overflow 0
		.amdhsa_memory_ordered 1
		.amdhsa_forward_progress 1
		.amdhsa_inst_pref_size 0
		.amdhsa_round_robin_scheduling 0
		.amdhsa_exception_fp_ieee_invalid_op 0
		.amdhsa_exception_fp_denorm_src 0
		.amdhsa_exception_fp_ieee_div_zero 0
		.amdhsa_exception_fp_ieee_overflow 0
		.amdhsa_exception_fp_ieee_underflow 0
		.amdhsa_exception_fp_ieee_inexact 0
		.amdhsa_exception_int_div_zero 0
	.end_amdhsa_kernel
	.section	.text._ZN7rocprim17ROCPRIM_400000_NS6detail17trampoline_kernelINS0_14default_configENS1_35adjacent_difference_config_selectorILb1ElEEZNS1_24adjacent_difference_implIS3_Lb1ELb0EPlS7_ZN2at6native12_GLOBAL__N_124unique_dim_cuda_templateItEESt5tupleIJNS8_6TensorESD_SD_EERKSD_lbbbEUlllE1_EE10hipError_tPvRmT2_T3_mT4_P12ihipStream_tbEUlT_E_NS1_11comp_targetILNS1_3genE4ELNS1_11target_archE910ELNS1_3gpuE8ELNS1_3repE0EEENS1_30default_config_static_selectorELNS0_4arch9wavefront6targetE0EEEvT1_,"axG",@progbits,_ZN7rocprim17ROCPRIM_400000_NS6detail17trampoline_kernelINS0_14default_configENS1_35adjacent_difference_config_selectorILb1ElEEZNS1_24adjacent_difference_implIS3_Lb1ELb0EPlS7_ZN2at6native12_GLOBAL__N_124unique_dim_cuda_templateItEESt5tupleIJNS8_6TensorESD_SD_EERKSD_lbbbEUlllE1_EE10hipError_tPvRmT2_T3_mT4_P12ihipStream_tbEUlT_E_NS1_11comp_targetILNS1_3genE4ELNS1_11target_archE910ELNS1_3gpuE8ELNS1_3repE0EEENS1_30default_config_static_selectorELNS0_4arch9wavefront6targetE0EEEvT1_,comdat
.Lfunc_end1414:
	.size	_ZN7rocprim17ROCPRIM_400000_NS6detail17trampoline_kernelINS0_14default_configENS1_35adjacent_difference_config_selectorILb1ElEEZNS1_24adjacent_difference_implIS3_Lb1ELb0EPlS7_ZN2at6native12_GLOBAL__N_124unique_dim_cuda_templateItEESt5tupleIJNS8_6TensorESD_SD_EERKSD_lbbbEUlllE1_EE10hipError_tPvRmT2_T3_mT4_P12ihipStream_tbEUlT_E_NS1_11comp_targetILNS1_3genE4ELNS1_11target_archE910ELNS1_3gpuE8ELNS1_3repE0EEENS1_30default_config_static_selectorELNS0_4arch9wavefront6targetE0EEEvT1_, .Lfunc_end1414-_ZN7rocprim17ROCPRIM_400000_NS6detail17trampoline_kernelINS0_14default_configENS1_35adjacent_difference_config_selectorILb1ElEEZNS1_24adjacent_difference_implIS3_Lb1ELb0EPlS7_ZN2at6native12_GLOBAL__N_124unique_dim_cuda_templateItEESt5tupleIJNS8_6TensorESD_SD_EERKSD_lbbbEUlllE1_EE10hipError_tPvRmT2_T3_mT4_P12ihipStream_tbEUlT_E_NS1_11comp_targetILNS1_3genE4ELNS1_11target_archE910ELNS1_3gpuE8ELNS1_3repE0EEENS1_30default_config_static_selectorELNS0_4arch9wavefront6targetE0EEEvT1_
                                        ; -- End function
	.set _ZN7rocprim17ROCPRIM_400000_NS6detail17trampoline_kernelINS0_14default_configENS1_35adjacent_difference_config_selectorILb1ElEEZNS1_24adjacent_difference_implIS3_Lb1ELb0EPlS7_ZN2at6native12_GLOBAL__N_124unique_dim_cuda_templateItEESt5tupleIJNS8_6TensorESD_SD_EERKSD_lbbbEUlllE1_EE10hipError_tPvRmT2_T3_mT4_P12ihipStream_tbEUlT_E_NS1_11comp_targetILNS1_3genE4ELNS1_11target_archE910ELNS1_3gpuE8ELNS1_3repE0EEENS1_30default_config_static_selectorELNS0_4arch9wavefront6targetE0EEEvT1_.num_vgpr, 0
	.set _ZN7rocprim17ROCPRIM_400000_NS6detail17trampoline_kernelINS0_14default_configENS1_35adjacent_difference_config_selectorILb1ElEEZNS1_24adjacent_difference_implIS3_Lb1ELb0EPlS7_ZN2at6native12_GLOBAL__N_124unique_dim_cuda_templateItEESt5tupleIJNS8_6TensorESD_SD_EERKSD_lbbbEUlllE1_EE10hipError_tPvRmT2_T3_mT4_P12ihipStream_tbEUlT_E_NS1_11comp_targetILNS1_3genE4ELNS1_11target_archE910ELNS1_3gpuE8ELNS1_3repE0EEENS1_30default_config_static_selectorELNS0_4arch9wavefront6targetE0EEEvT1_.num_agpr, 0
	.set _ZN7rocprim17ROCPRIM_400000_NS6detail17trampoline_kernelINS0_14default_configENS1_35adjacent_difference_config_selectorILb1ElEEZNS1_24adjacent_difference_implIS3_Lb1ELb0EPlS7_ZN2at6native12_GLOBAL__N_124unique_dim_cuda_templateItEESt5tupleIJNS8_6TensorESD_SD_EERKSD_lbbbEUlllE1_EE10hipError_tPvRmT2_T3_mT4_P12ihipStream_tbEUlT_E_NS1_11comp_targetILNS1_3genE4ELNS1_11target_archE910ELNS1_3gpuE8ELNS1_3repE0EEENS1_30default_config_static_selectorELNS0_4arch9wavefront6targetE0EEEvT1_.numbered_sgpr, 0
	.set _ZN7rocprim17ROCPRIM_400000_NS6detail17trampoline_kernelINS0_14default_configENS1_35adjacent_difference_config_selectorILb1ElEEZNS1_24adjacent_difference_implIS3_Lb1ELb0EPlS7_ZN2at6native12_GLOBAL__N_124unique_dim_cuda_templateItEESt5tupleIJNS8_6TensorESD_SD_EERKSD_lbbbEUlllE1_EE10hipError_tPvRmT2_T3_mT4_P12ihipStream_tbEUlT_E_NS1_11comp_targetILNS1_3genE4ELNS1_11target_archE910ELNS1_3gpuE8ELNS1_3repE0EEENS1_30default_config_static_selectorELNS0_4arch9wavefront6targetE0EEEvT1_.num_named_barrier, 0
	.set _ZN7rocprim17ROCPRIM_400000_NS6detail17trampoline_kernelINS0_14default_configENS1_35adjacent_difference_config_selectorILb1ElEEZNS1_24adjacent_difference_implIS3_Lb1ELb0EPlS7_ZN2at6native12_GLOBAL__N_124unique_dim_cuda_templateItEESt5tupleIJNS8_6TensorESD_SD_EERKSD_lbbbEUlllE1_EE10hipError_tPvRmT2_T3_mT4_P12ihipStream_tbEUlT_E_NS1_11comp_targetILNS1_3genE4ELNS1_11target_archE910ELNS1_3gpuE8ELNS1_3repE0EEENS1_30default_config_static_selectorELNS0_4arch9wavefront6targetE0EEEvT1_.private_seg_size, 0
	.set _ZN7rocprim17ROCPRIM_400000_NS6detail17trampoline_kernelINS0_14default_configENS1_35adjacent_difference_config_selectorILb1ElEEZNS1_24adjacent_difference_implIS3_Lb1ELb0EPlS7_ZN2at6native12_GLOBAL__N_124unique_dim_cuda_templateItEESt5tupleIJNS8_6TensorESD_SD_EERKSD_lbbbEUlllE1_EE10hipError_tPvRmT2_T3_mT4_P12ihipStream_tbEUlT_E_NS1_11comp_targetILNS1_3genE4ELNS1_11target_archE910ELNS1_3gpuE8ELNS1_3repE0EEENS1_30default_config_static_selectorELNS0_4arch9wavefront6targetE0EEEvT1_.uses_vcc, 0
	.set _ZN7rocprim17ROCPRIM_400000_NS6detail17trampoline_kernelINS0_14default_configENS1_35adjacent_difference_config_selectorILb1ElEEZNS1_24adjacent_difference_implIS3_Lb1ELb0EPlS7_ZN2at6native12_GLOBAL__N_124unique_dim_cuda_templateItEESt5tupleIJNS8_6TensorESD_SD_EERKSD_lbbbEUlllE1_EE10hipError_tPvRmT2_T3_mT4_P12ihipStream_tbEUlT_E_NS1_11comp_targetILNS1_3genE4ELNS1_11target_archE910ELNS1_3gpuE8ELNS1_3repE0EEENS1_30default_config_static_selectorELNS0_4arch9wavefront6targetE0EEEvT1_.uses_flat_scratch, 0
	.set _ZN7rocprim17ROCPRIM_400000_NS6detail17trampoline_kernelINS0_14default_configENS1_35adjacent_difference_config_selectorILb1ElEEZNS1_24adjacent_difference_implIS3_Lb1ELb0EPlS7_ZN2at6native12_GLOBAL__N_124unique_dim_cuda_templateItEESt5tupleIJNS8_6TensorESD_SD_EERKSD_lbbbEUlllE1_EE10hipError_tPvRmT2_T3_mT4_P12ihipStream_tbEUlT_E_NS1_11comp_targetILNS1_3genE4ELNS1_11target_archE910ELNS1_3gpuE8ELNS1_3repE0EEENS1_30default_config_static_selectorELNS0_4arch9wavefront6targetE0EEEvT1_.has_dyn_sized_stack, 0
	.set _ZN7rocprim17ROCPRIM_400000_NS6detail17trampoline_kernelINS0_14default_configENS1_35adjacent_difference_config_selectorILb1ElEEZNS1_24adjacent_difference_implIS3_Lb1ELb0EPlS7_ZN2at6native12_GLOBAL__N_124unique_dim_cuda_templateItEESt5tupleIJNS8_6TensorESD_SD_EERKSD_lbbbEUlllE1_EE10hipError_tPvRmT2_T3_mT4_P12ihipStream_tbEUlT_E_NS1_11comp_targetILNS1_3genE4ELNS1_11target_archE910ELNS1_3gpuE8ELNS1_3repE0EEENS1_30default_config_static_selectorELNS0_4arch9wavefront6targetE0EEEvT1_.has_recursion, 0
	.set _ZN7rocprim17ROCPRIM_400000_NS6detail17trampoline_kernelINS0_14default_configENS1_35adjacent_difference_config_selectorILb1ElEEZNS1_24adjacent_difference_implIS3_Lb1ELb0EPlS7_ZN2at6native12_GLOBAL__N_124unique_dim_cuda_templateItEESt5tupleIJNS8_6TensorESD_SD_EERKSD_lbbbEUlllE1_EE10hipError_tPvRmT2_T3_mT4_P12ihipStream_tbEUlT_E_NS1_11comp_targetILNS1_3genE4ELNS1_11target_archE910ELNS1_3gpuE8ELNS1_3repE0EEENS1_30default_config_static_selectorELNS0_4arch9wavefront6targetE0EEEvT1_.has_indirect_call, 0
	.section	.AMDGPU.csdata,"",@progbits
; Kernel info:
; codeLenInByte = 0
; TotalNumSgprs: 0
; NumVgprs: 0
; ScratchSize: 0
; MemoryBound: 0
; FloatMode: 240
; IeeeMode: 1
; LDSByteSize: 0 bytes/workgroup (compile time only)
; SGPRBlocks: 0
; VGPRBlocks: 0
; NumSGPRsForWavesPerEU: 1
; NumVGPRsForWavesPerEU: 1
; NamedBarCnt: 0
; Occupancy: 16
; WaveLimiterHint : 0
; COMPUTE_PGM_RSRC2:SCRATCH_EN: 0
; COMPUTE_PGM_RSRC2:USER_SGPR: 2
; COMPUTE_PGM_RSRC2:TRAP_HANDLER: 0
; COMPUTE_PGM_RSRC2:TGID_X_EN: 1
; COMPUTE_PGM_RSRC2:TGID_Y_EN: 0
; COMPUTE_PGM_RSRC2:TGID_Z_EN: 0
; COMPUTE_PGM_RSRC2:TIDIG_COMP_CNT: 0
	.section	.text._ZN7rocprim17ROCPRIM_400000_NS6detail17trampoline_kernelINS0_14default_configENS1_35adjacent_difference_config_selectorILb1ElEEZNS1_24adjacent_difference_implIS3_Lb1ELb0EPlS7_ZN2at6native12_GLOBAL__N_124unique_dim_cuda_templateItEESt5tupleIJNS8_6TensorESD_SD_EERKSD_lbbbEUlllE1_EE10hipError_tPvRmT2_T3_mT4_P12ihipStream_tbEUlT_E_NS1_11comp_targetILNS1_3genE3ELNS1_11target_archE908ELNS1_3gpuE7ELNS1_3repE0EEENS1_30default_config_static_selectorELNS0_4arch9wavefront6targetE0EEEvT1_,"axG",@progbits,_ZN7rocprim17ROCPRIM_400000_NS6detail17trampoline_kernelINS0_14default_configENS1_35adjacent_difference_config_selectorILb1ElEEZNS1_24adjacent_difference_implIS3_Lb1ELb0EPlS7_ZN2at6native12_GLOBAL__N_124unique_dim_cuda_templateItEESt5tupleIJNS8_6TensorESD_SD_EERKSD_lbbbEUlllE1_EE10hipError_tPvRmT2_T3_mT4_P12ihipStream_tbEUlT_E_NS1_11comp_targetILNS1_3genE3ELNS1_11target_archE908ELNS1_3gpuE7ELNS1_3repE0EEENS1_30default_config_static_selectorELNS0_4arch9wavefront6targetE0EEEvT1_,comdat
	.globl	_ZN7rocprim17ROCPRIM_400000_NS6detail17trampoline_kernelINS0_14default_configENS1_35adjacent_difference_config_selectorILb1ElEEZNS1_24adjacent_difference_implIS3_Lb1ELb0EPlS7_ZN2at6native12_GLOBAL__N_124unique_dim_cuda_templateItEESt5tupleIJNS8_6TensorESD_SD_EERKSD_lbbbEUlllE1_EE10hipError_tPvRmT2_T3_mT4_P12ihipStream_tbEUlT_E_NS1_11comp_targetILNS1_3genE3ELNS1_11target_archE908ELNS1_3gpuE7ELNS1_3repE0EEENS1_30default_config_static_selectorELNS0_4arch9wavefront6targetE0EEEvT1_ ; -- Begin function _ZN7rocprim17ROCPRIM_400000_NS6detail17trampoline_kernelINS0_14default_configENS1_35adjacent_difference_config_selectorILb1ElEEZNS1_24adjacent_difference_implIS3_Lb1ELb0EPlS7_ZN2at6native12_GLOBAL__N_124unique_dim_cuda_templateItEESt5tupleIJNS8_6TensorESD_SD_EERKSD_lbbbEUlllE1_EE10hipError_tPvRmT2_T3_mT4_P12ihipStream_tbEUlT_E_NS1_11comp_targetILNS1_3genE3ELNS1_11target_archE908ELNS1_3gpuE7ELNS1_3repE0EEENS1_30default_config_static_selectorELNS0_4arch9wavefront6targetE0EEEvT1_
	.p2align	8
	.type	_ZN7rocprim17ROCPRIM_400000_NS6detail17trampoline_kernelINS0_14default_configENS1_35adjacent_difference_config_selectorILb1ElEEZNS1_24adjacent_difference_implIS3_Lb1ELb0EPlS7_ZN2at6native12_GLOBAL__N_124unique_dim_cuda_templateItEESt5tupleIJNS8_6TensorESD_SD_EERKSD_lbbbEUlllE1_EE10hipError_tPvRmT2_T3_mT4_P12ihipStream_tbEUlT_E_NS1_11comp_targetILNS1_3genE3ELNS1_11target_archE908ELNS1_3gpuE7ELNS1_3repE0EEENS1_30default_config_static_selectorELNS0_4arch9wavefront6targetE0EEEvT1_,@function
_ZN7rocprim17ROCPRIM_400000_NS6detail17trampoline_kernelINS0_14default_configENS1_35adjacent_difference_config_selectorILb1ElEEZNS1_24adjacent_difference_implIS3_Lb1ELb0EPlS7_ZN2at6native12_GLOBAL__N_124unique_dim_cuda_templateItEESt5tupleIJNS8_6TensorESD_SD_EERKSD_lbbbEUlllE1_EE10hipError_tPvRmT2_T3_mT4_P12ihipStream_tbEUlT_E_NS1_11comp_targetILNS1_3genE3ELNS1_11target_archE908ELNS1_3gpuE7ELNS1_3repE0EEENS1_30default_config_static_selectorELNS0_4arch9wavefront6targetE0EEEvT1_: ; @_ZN7rocprim17ROCPRIM_400000_NS6detail17trampoline_kernelINS0_14default_configENS1_35adjacent_difference_config_selectorILb1ElEEZNS1_24adjacent_difference_implIS3_Lb1ELb0EPlS7_ZN2at6native12_GLOBAL__N_124unique_dim_cuda_templateItEESt5tupleIJNS8_6TensorESD_SD_EERKSD_lbbbEUlllE1_EE10hipError_tPvRmT2_T3_mT4_P12ihipStream_tbEUlT_E_NS1_11comp_targetILNS1_3genE3ELNS1_11target_archE908ELNS1_3gpuE7ELNS1_3repE0EEENS1_30default_config_static_selectorELNS0_4arch9wavefront6targetE0EEEvT1_
; %bb.0:
	.section	.rodata,"a",@progbits
	.p2align	6, 0x0
	.amdhsa_kernel _ZN7rocprim17ROCPRIM_400000_NS6detail17trampoline_kernelINS0_14default_configENS1_35adjacent_difference_config_selectorILb1ElEEZNS1_24adjacent_difference_implIS3_Lb1ELb0EPlS7_ZN2at6native12_GLOBAL__N_124unique_dim_cuda_templateItEESt5tupleIJNS8_6TensorESD_SD_EERKSD_lbbbEUlllE1_EE10hipError_tPvRmT2_T3_mT4_P12ihipStream_tbEUlT_E_NS1_11comp_targetILNS1_3genE3ELNS1_11target_archE908ELNS1_3gpuE7ELNS1_3repE0EEENS1_30default_config_static_selectorELNS0_4arch9wavefront6targetE0EEEvT1_
		.amdhsa_group_segment_fixed_size 0
		.amdhsa_private_segment_fixed_size 0
		.amdhsa_kernarg_size 64
		.amdhsa_user_sgpr_count 2
		.amdhsa_user_sgpr_dispatch_ptr 0
		.amdhsa_user_sgpr_queue_ptr 0
		.amdhsa_user_sgpr_kernarg_segment_ptr 1
		.amdhsa_user_sgpr_dispatch_id 0
		.amdhsa_user_sgpr_kernarg_preload_length 0
		.amdhsa_user_sgpr_kernarg_preload_offset 0
		.amdhsa_user_sgpr_private_segment_size 0
		.amdhsa_wavefront_size32 1
		.amdhsa_uses_dynamic_stack 0
		.amdhsa_enable_private_segment 0
		.amdhsa_system_sgpr_workgroup_id_x 1
		.amdhsa_system_sgpr_workgroup_id_y 0
		.amdhsa_system_sgpr_workgroup_id_z 0
		.amdhsa_system_sgpr_workgroup_info 0
		.amdhsa_system_vgpr_workitem_id 0
		.amdhsa_next_free_vgpr 1
		.amdhsa_next_free_sgpr 1
		.amdhsa_named_barrier_count 0
		.amdhsa_reserve_vcc 0
		.amdhsa_float_round_mode_32 0
		.amdhsa_float_round_mode_16_64 0
		.amdhsa_float_denorm_mode_32 3
		.amdhsa_float_denorm_mode_16_64 3
		.amdhsa_fp16_overflow 0
		.amdhsa_memory_ordered 1
		.amdhsa_forward_progress 1
		.amdhsa_inst_pref_size 0
		.amdhsa_round_robin_scheduling 0
		.amdhsa_exception_fp_ieee_invalid_op 0
		.amdhsa_exception_fp_denorm_src 0
		.amdhsa_exception_fp_ieee_div_zero 0
		.amdhsa_exception_fp_ieee_overflow 0
		.amdhsa_exception_fp_ieee_underflow 0
		.amdhsa_exception_fp_ieee_inexact 0
		.amdhsa_exception_int_div_zero 0
	.end_amdhsa_kernel
	.section	.text._ZN7rocprim17ROCPRIM_400000_NS6detail17trampoline_kernelINS0_14default_configENS1_35adjacent_difference_config_selectorILb1ElEEZNS1_24adjacent_difference_implIS3_Lb1ELb0EPlS7_ZN2at6native12_GLOBAL__N_124unique_dim_cuda_templateItEESt5tupleIJNS8_6TensorESD_SD_EERKSD_lbbbEUlllE1_EE10hipError_tPvRmT2_T3_mT4_P12ihipStream_tbEUlT_E_NS1_11comp_targetILNS1_3genE3ELNS1_11target_archE908ELNS1_3gpuE7ELNS1_3repE0EEENS1_30default_config_static_selectorELNS0_4arch9wavefront6targetE0EEEvT1_,"axG",@progbits,_ZN7rocprim17ROCPRIM_400000_NS6detail17trampoline_kernelINS0_14default_configENS1_35adjacent_difference_config_selectorILb1ElEEZNS1_24adjacent_difference_implIS3_Lb1ELb0EPlS7_ZN2at6native12_GLOBAL__N_124unique_dim_cuda_templateItEESt5tupleIJNS8_6TensorESD_SD_EERKSD_lbbbEUlllE1_EE10hipError_tPvRmT2_T3_mT4_P12ihipStream_tbEUlT_E_NS1_11comp_targetILNS1_3genE3ELNS1_11target_archE908ELNS1_3gpuE7ELNS1_3repE0EEENS1_30default_config_static_selectorELNS0_4arch9wavefront6targetE0EEEvT1_,comdat
.Lfunc_end1415:
	.size	_ZN7rocprim17ROCPRIM_400000_NS6detail17trampoline_kernelINS0_14default_configENS1_35adjacent_difference_config_selectorILb1ElEEZNS1_24adjacent_difference_implIS3_Lb1ELb0EPlS7_ZN2at6native12_GLOBAL__N_124unique_dim_cuda_templateItEESt5tupleIJNS8_6TensorESD_SD_EERKSD_lbbbEUlllE1_EE10hipError_tPvRmT2_T3_mT4_P12ihipStream_tbEUlT_E_NS1_11comp_targetILNS1_3genE3ELNS1_11target_archE908ELNS1_3gpuE7ELNS1_3repE0EEENS1_30default_config_static_selectorELNS0_4arch9wavefront6targetE0EEEvT1_, .Lfunc_end1415-_ZN7rocprim17ROCPRIM_400000_NS6detail17trampoline_kernelINS0_14default_configENS1_35adjacent_difference_config_selectorILb1ElEEZNS1_24adjacent_difference_implIS3_Lb1ELb0EPlS7_ZN2at6native12_GLOBAL__N_124unique_dim_cuda_templateItEESt5tupleIJNS8_6TensorESD_SD_EERKSD_lbbbEUlllE1_EE10hipError_tPvRmT2_T3_mT4_P12ihipStream_tbEUlT_E_NS1_11comp_targetILNS1_3genE3ELNS1_11target_archE908ELNS1_3gpuE7ELNS1_3repE0EEENS1_30default_config_static_selectorELNS0_4arch9wavefront6targetE0EEEvT1_
                                        ; -- End function
	.set _ZN7rocprim17ROCPRIM_400000_NS6detail17trampoline_kernelINS0_14default_configENS1_35adjacent_difference_config_selectorILb1ElEEZNS1_24adjacent_difference_implIS3_Lb1ELb0EPlS7_ZN2at6native12_GLOBAL__N_124unique_dim_cuda_templateItEESt5tupleIJNS8_6TensorESD_SD_EERKSD_lbbbEUlllE1_EE10hipError_tPvRmT2_T3_mT4_P12ihipStream_tbEUlT_E_NS1_11comp_targetILNS1_3genE3ELNS1_11target_archE908ELNS1_3gpuE7ELNS1_3repE0EEENS1_30default_config_static_selectorELNS0_4arch9wavefront6targetE0EEEvT1_.num_vgpr, 0
	.set _ZN7rocprim17ROCPRIM_400000_NS6detail17trampoline_kernelINS0_14default_configENS1_35adjacent_difference_config_selectorILb1ElEEZNS1_24adjacent_difference_implIS3_Lb1ELb0EPlS7_ZN2at6native12_GLOBAL__N_124unique_dim_cuda_templateItEESt5tupleIJNS8_6TensorESD_SD_EERKSD_lbbbEUlllE1_EE10hipError_tPvRmT2_T3_mT4_P12ihipStream_tbEUlT_E_NS1_11comp_targetILNS1_3genE3ELNS1_11target_archE908ELNS1_3gpuE7ELNS1_3repE0EEENS1_30default_config_static_selectorELNS0_4arch9wavefront6targetE0EEEvT1_.num_agpr, 0
	.set _ZN7rocprim17ROCPRIM_400000_NS6detail17trampoline_kernelINS0_14default_configENS1_35adjacent_difference_config_selectorILb1ElEEZNS1_24adjacent_difference_implIS3_Lb1ELb0EPlS7_ZN2at6native12_GLOBAL__N_124unique_dim_cuda_templateItEESt5tupleIJNS8_6TensorESD_SD_EERKSD_lbbbEUlllE1_EE10hipError_tPvRmT2_T3_mT4_P12ihipStream_tbEUlT_E_NS1_11comp_targetILNS1_3genE3ELNS1_11target_archE908ELNS1_3gpuE7ELNS1_3repE0EEENS1_30default_config_static_selectorELNS0_4arch9wavefront6targetE0EEEvT1_.numbered_sgpr, 0
	.set _ZN7rocprim17ROCPRIM_400000_NS6detail17trampoline_kernelINS0_14default_configENS1_35adjacent_difference_config_selectorILb1ElEEZNS1_24adjacent_difference_implIS3_Lb1ELb0EPlS7_ZN2at6native12_GLOBAL__N_124unique_dim_cuda_templateItEESt5tupleIJNS8_6TensorESD_SD_EERKSD_lbbbEUlllE1_EE10hipError_tPvRmT2_T3_mT4_P12ihipStream_tbEUlT_E_NS1_11comp_targetILNS1_3genE3ELNS1_11target_archE908ELNS1_3gpuE7ELNS1_3repE0EEENS1_30default_config_static_selectorELNS0_4arch9wavefront6targetE0EEEvT1_.num_named_barrier, 0
	.set _ZN7rocprim17ROCPRIM_400000_NS6detail17trampoline_kernelINS0_14default_configENS1_35adjacent_difference_config_selectorILb1ElEEZNS1_24adjacent_difference_implIS3_Lb1ELb0EPlS7_ZN2at6native12_GLOBAL__N_124unique_dim_cuda_templateItEESt5tupleIJNS8_6TensorESD_SD_EERKSD_lbbbEUlllE1_EE10hipError_tPvRmT2_T3_mT4_P12ihipStream_tbEUlT_E_NS1_11comp_targetILNS1_3genE3ELNS1_11target_archE908ELNS1_3gpuE7ELNS1_3repE0EEENS1_30default_config_static_selectorELNS0_4arch9wavefront6targetE0EEEvT1_.private_seg_size, 0
	.set _ZN7rocprim17ROCPRIM_400000_NS6detail17trampoline_kernelINS0_14default_configENS1_35adjacent_difference_config_selectorILb1ElEEZNS1_24adjacent_difference_implIS3_Lb1ELb0EPlS7_ZN2at6native12_GLOBAL__N_124unique_dim_cuda_templateItEESt5tupleIJNS8_6TensorESD_SD_EERKSD_lbbbEUlllE1_EE10hipError_tPvRmT2_T3_mT4_P12ihipStream_tbEUlT_E_NS1_11comp_targetILNS1_3genE3ELNS1_11target_archE908ELNS1_3gpuE7ELNS1_3repE0EEENS1_30default_config_static_selectorELNS0_4arch9wavefront6targetE0EEEvT1_.uses_vcc, 0
	.set _ZN7rocprim17ROCPRIM_400000_NS6detail17trampoline_kernelINS0_14default_configENS1_35adjacent_difference_config_selectorILb1ElEEZNS1_24adjacent_difference_implIS3_Lb1ELb0EPlS7_ZN2at6native12_GLOBAL__N_124unique_dim_cuda_templateItEESt5tupleIJNS8_6TensorESD_SD_EERKSD_lbbbEUlllE1_EE10hipError_tPvRmT2_T3_mT4_P12ihipStream_tbEUlT_E_NS1_11comp_targetILNS1_3genE3ELNS1_11target_archE908ELNS1_3gpuE7ELNS1_3repE0EEENS1_30default_config_static_selectorELNS0_4arch9wavefront6targetE0EEEvT1_.uses_flat_scratch, 0
	.set _ZN7rocprim17ROCPRIM_400000_NS6detail17trampoline_kernelINS0_14default_configENS1_35adjacent_difference_config_selectorILb1ElEEZNS1_24adjacent_difference_implIS3_Lb1ELb0EPlS7_ZN2at6native12_GLOBAL__N_124unique_dim_cuda_templateItEESt5tupleIJNS8_6TensorESD_SD_EERKSD_lbbbEUlllE1_EE10hipError_tPvRmT2_T3_mT4_P12ihipStream_tbEUlT_E_NS1_11comp_targetILNS1_3genE3ELNS1_11target_archE908ELNS1_3gpuE7ELNS1_3repE0EEENS1_30default_config_static_selectorELNS0_4arch9wavefront6targetE0EEEvT1_.has_dyn_sized_stack, 0
	.set _ZN7rocprim17ROCPRIM_400000_NS6detail17trampoline_kernelINS0_14default_configENS1_35adjacent_difference_config_selectorILb1ElEEZNS1_24adjacent_difference_implIS3_Lb1ELb0EPlS7_ZN2at6native12_GLOBAL__N_124unique_dim_cuda_templateItEESt5tupleIJNS8_6TensorESD_SD_EERKSD_lbbbEUlllE1_EE10hipError_tPvRmT2_T3_mT4_P12ihipStream_tbEUlT_E_NS1_11comp_targetILNS1_3genE3ELNS1_11target_archE908ELNS1_3gpuE7ELNS1_3repE0EEENS1_30default_config_static_selectorELNS0_4arch9wavefront6targetE0EEEvT1_.has_recursion, 0
	.set _ZN7rocprim17ROCPRIM_400000_NS6detail17trampoline_kernelINS0_14default_configENS1_35adjacent_difference_config_selectorILb1ElEEZNS1_24adjacent_difference_implIS3_Lb1ELb0EPlS7_ZN2at6native12_GLOBAL__N_124unique_dim_cuda_templateItEESt5tupleIJNS8_6TensorESD_SD_EERKSD_lbbbEUlllE1_EE10hipError_tPvRmT2_T3_mT4_P12ihipStream_tbEUlT_E_NS1_11comp_targetILNS1_3genE3ELNS1_11target_archE908ELNS1_3gpuE7ELNS1_3repE0EEENS1_30default_config_static_selectorELNS0_4arch9wavefront6targetE0EEEvT1_.has_indirect_call, 0
	.section	.AMDGPU.csdata,"",@progbits
; Kernel info:
; codeLenInByte = 0
; TotalNumSgprs: 0
; NumVgprs: 0
; ScratchSize: 0
; MemoryBound: 0
; FloatMode: 240
; IeeeMode: 1
; LDSByteSize: 0 bytes/workgroup (compile time only)
; SGPRBlocks: 0
; VGPRBlocks: 0
; NumSGPRsForWavesPerEU: 1
; NumVGPRsForWavesPerEU: 1
; NamedBarCnt: 0
; Occupancy: 16
; WaveLimiterHint : 0
; COMPUTE_PGM_RSRC2:SCRATCH_EN: 0
; COMPUTE_PGM_RSRC2:USER_SGPR: 2
; COMPUTE_PGM_RSRC2:TRAP_HANDLER: 0
; COMPUTE_PGM_RSRC2:TGID_X_EN: 1
; COMPUTE_PGM_RSRC2:TGID_Y_EN: 0
; COMPUTE_PGM_RSRC2:TGID_Z_EN: 0
; COMPUTE_PGM_RSRC2:TIDIG_COMP_CNT: 0
	.section	.text._ZN7rocprim17ROCPRIM_400000_NS6detail17trampoline_kernelINS0_14default_configENS1_35adjacent_difference_config_selectorILb1ElEEZNS1_24adjacent_difference_implIS3_Lb1ELb0EPlS7_ZN2at6native12_GLOBAL__N_124unique_dim_cuda_templateItEESt5tupleIJNS8_6TensorESD_SD_EERKSD_lbbbEUlllE1_EE10hipError_tPvRmT2_T3_mT4_P12ihipStream_tbEUlT_E_NS1_11comp_targetILNS1_3genE2ELNS1_11target_archE906ELNS1_3gpuE6ELNS1_3repE0EEENS1_30default_config_static_selectorELNS0_4arch9wavefront6targetE0EEEvT1_,"axG",@progbits,_ZN7rocprim17ROCPRIM_400000_NS6detail17trampoline_kernelINS0_14default_configENS1_35adjacent_difference_config_selectorILb1ElEEZNS1_24adjacent_difference_implIS3_Lb1ELb0EPlS7_ZN2at6native12_GLOBAL__N_124unique_dim_cuda_templateItEESt5tupleIJNS8_6TensorESD_SD_EERKSD_lbbbEUlllE1_EE10hipError_tPvRmT2_T3_mT4_P12ihipStream_tbEUlT_E_NS1_11comp_targetILNS1_3genE2ELNS1_11target_archE906ELNS1_3gpuE6ELNS1_3repE0EEENS1_30default_config_static_selectorELNS0_4arch9wavefront6targetE0EEEvT1_,comdat
	.globl	_ZN7rocprim17ROCPRIM_400000_NS6detail17trampoline_kernelINS0_14default_configENS1_35adjacent_difference_config_selectorILb1ElEEZNS1_24adjacent_difference_implIS3_Lb1ELb0EPlS7_ZN2at6native12_GLOBAL__N_124unique_dim_cuda_templateItEESt5tupleIJNS8_6TensorESD_SD_EERKSD_lbbbEUlllE1_EE10hipError_tPvRmT2_T3_mT4_P12ihipStream_tbEUlT_E_NS1_11comp_targetILNS1_3genE2ELNS1_11target_archE906ELNS1_3gpuE6ELNS1_3repE0EEENS1_30default_config_static_selectorELNS0_4arch9wavefront6targetE0EEEvT1_ ; -- Begin function _ZN7rocprim17ROCPRIM_400000_NS6detail17trampoline_kernelINS0_14default_configENS1_35adjacent_difference_config_selectorILb1ElEEZNS1_24adjacent_difference_implIS3_Lb1ELb0EPlS7_ZN2at6native12_GLOBAL__N_124unique_dim_cuda_templateItEESt5tupleIJNS8_6TensorESD_SD_EERKSD_lbbbEUlllE1_EE10hipError_tPvRmT2_T3_mT4_P12ihipStream_tbEUlT_E_NS1_11comp_targetILNS1_3genE2ELNS1_11target_archE906ELNS1_3gpuE6ELNS1_3repE0EEENS1_30default_config_static_selectorELNS0_4arch9wavefront6targetE0EEEvT1_
	.p2align	8
	.type	_ZN7rocprim17ROCPRIM_400000_NS6detail17trampoline_kernelINS0_14default_configENS1_35adjacent_difference_config_selectorILb1ElEEZNS1_24adjacent_difference_implIS3_Lb1ELb0EPlS7_ZN2at6native12_GLOBAL__N_124unique_dim_cuda_templateItEESt5tupleIJNS8_6TensorESD_SD_EERKSD_lbbbEUlllE1_EE10hipError_tPvRmT2_T3_mT4_P12ihipStream_tbEUlT_E_NS1_11comp_targetILNS1_3genE2ELNS1_11target_archE906ELNS1_3gpuE6ELNS1_3repE0EEENS1_30default_config_static_selectorELNS0_4arch9wavefront6targetE0EEEvT1_,@function
_ZN7rocprim17ROCPRIM_400000_NS6detail17trampoline_kernelINS0_14default_configENS1_35adjacent_difference_config_selectorILb1ElEEZNS1_24adjacent_difference_implIS3_Lb1ELb0EPlS7_ZN2at6native12_GLOBAL__N_124unique_dim_cuda_templateItEESt5tupleIJNS8_6TensorESD_SD_EERKSD_lbbbEUlllE1_EE10hipError_tPvRmT2_T3_mT4_P12ihipStream_tbEUlT_E_NS1_11comp_targetILNS1_3genE2ELNS1_11target_archE906ELNS1_3gpuE6ELNS1_3repE0EEENS1_30default_config_static_selectorELNS0_4arch9wavefront6targetE0EEEvT1_: ; @_ZN7rocprim17ROCPRIM_400000_NS6detail17trampoline_kernelINS0_14default_configENS1_35adjacent_difference_config_selectorILb1ElEEZNS1_24adjacent_difference_implIS3_Lb1ELb0EPlS7_ZN2at6native12_GLOBAL__N_124unique_dim_cuda_templateItEESt5tupleIJNS8_6TensorESD_SD_EERKSD_lbbbEUlllE1_EE10hipError_tPvRmT2_T3_mT4_P12ihipStream_tbEUlT_E_NS1_11comp_targetILNS1_3genE2ELNS1_11target_archE906ELNS1_3gpuE6ELNS1_3repE0EEENS1_30default_config_static_selectorELNS0_4arch9wavefront6targetE0EEEvT1_
; %bb.0:
	.section	.rodata,"a",@progbits
	.p2align	6, 0x0
	.amdhsa_kernel _ZN7rocprim17ROCPRIM_400000_NS6detail17trampoline_kernelINS0_14default_configENS1_35adjacent_difference_config_selectorILb1ElEEZNS1_24adjacent_difference_implIS3_Lb1ELb0EPlS7_ZN2at6native12_GLOBAL__N_124unique_dim_cuda_templateItEESt5tupleIJNS8_6TensorESD_SD_EERKSD_lbbbEUlllE1_EE10hipError_tPvRmT2_T3_mT4_P12ihipStream_tbEUlT_E_NS1_11comp_targetILNS1_3genE2ELNS1_11target_archE906ELNS1_3gpuE6ELNS1_3repE0EEENS1_30default_config_static_selectorELNS0_4arch9wavefront6targetE0EEEvT1_
		.amdhsa_group_segment_fixed_size 0
		.amdhsa_private_segment_fixed_size 0
		.amdhsa_kernarg_size 64
		.amdhsa_user_sgpr_count 2
		.amdhsa_user_sgpr_dispatch_ptr 0
		.amdhsa_user_sgpr_queue_ptr 0
		.amdhsa_user_sgpr_kernarg_segment_ptr 1
		.amdhsa_user_sgpr_dispatch_id 0
		.amdhsa_user_sgpr_kernarg_preload_length 0
		.amdhsa_user_sgpr_kernarg_preload_offset 0
		.amdhsa_user_sgpr_private_segment_size 0
		.amdhsa_wavefront_size32 1
		.amdhsa_uses_dynamic_stack 0
		.amdhsa_enable_private_segment 0
		.amdhsa_system_sgpr_workgroup_id_x 1
		.amdhsa_system_sgpr_workgroup_id_y 0
		.amdhsa_system_sgpr_workgroup_id_z 0
		.amdhsa_system_sgpr_workgroup_info 0
		.amdhsa_system_vgpr_workitem_id 0
		.amdhsa_next_free_vgpr 1
		.amdhsa_next_free_sgpr 1
		.amdhsa_named_barrier_count 0
		.amdhsa_reserve_vcc 0
		.amdhsa_float_round_mode_32 0
		.amdhsa_float_round_mode_16_64 0
		.amdhsa_float_denorm_mode_32 3
		.amdhsa_float_denorm_mode_16_64 3
		.amdhsa_fp16_overflow 0
		.amdhsa_memory_ordered 1
		.amdhsa_forward_progress 1
		.amdhsa_inst_pref_size 0
		.amdhsa_round_robin_scheduling 0
		.amdhsa_exception_fp_ieee_invalid_op 0
		.amdhsa_exception_fp_denorm_src 0
		.amdhsa_exception_fp_ieee_div_zero 0
		.amdhsa_exception_fp_ieee_overflow 0
		.amdhsa_exception_fp_ieee_underflow 0
		.amdhsa_exception_fp_ieee_inexact 0
		.amdhsa_exception_int_div_zero 0
	.end_amdhsa_kernel
	.section	.text._ZN7rocprim17ROCPRIM_400000_NS6detail17trampoline_kernelINS0_14default_configENS1_35adjacent_difference_config_selectorILb1ElEEZNS1_24adjacent_difference_implIS3_Lb1ELb0EPlS7_ZN2at6native12_GLOBAL__N_124unique_dim_cuda_templateItEESt5tupleIJNS8_6TensorESD_SD_EERKSD_lbbbEUlllE1_EE10hipError_tPvRmT2_T3_mT4_P12ihipStream_tbEUlT_E_NS1_11comp_targetILNS1_3genE2ELNS1_11target_archE906ELNS1_3gpuE6ELNS1_3repE0EEENS1_30default_config_static_selectorELNS0_4arch9wavefront6targetE0EEEvT1_,"axG",@progbits,_ZN7rocprim17ROCPRIM_400000_NS6detail17trampoline_kernelINS0_14default_configENS1_35adjacent_difference_config_selectorILb1ElEEZNS1_24adjacent_difference_implIS3_Lb1ELb0EPlS7_ZN2at6native12_GLOBAL__N_124unique_dim_cuda_templateItEESt5tupleIJNS8_6TensorESD_SD_EERKSD_lbbbEUlllE1_EE10hipError_tPvRmT2_T3_mT4_P12ihipStream_tbEUlT_E_NS1_11comp_targetILNS1_3genE2ELNS1_11target_archE906ELNS1_3gpuE6ELNS1_3repE0EEENS1_30default_config_static_selectorELNS0_4arch9wavefront6targetE0EEEvT1_,comdat
.Lfunc_end1416:
	.size	_ZN7rocprim17ROCPRIM_400000_NS6detail17trampoline_kernelINS0_14default_configENS1_35adjacent_difference_config_selectorILb1ElEEZNS1_24adjacent_difference_implIS3_Lb1ELb0EPlS7_ZN2at6native12_GLOBAL__N_124unique_dim_cuda_templateItEESt5tupleIJNS8_6TensorESD_SD_EERKSD_lbbbEUlllE1_EE10hipError_tPvRmT2_T3_mT4_P12ihipStream_tbEUlT_E_NS1_11comp_targetILNS1_3genE2ELNS1_11target_archE906ELNS1_3gpuE6ELNS1_3repE0EEENS1_30default_config_static_selectorELNS0_4arch9wavefront6targetE0EEEvT1_, .Lfunc_end1416-_ZN7rocprim17ROCPRIM_400000_NS6detail17trampoline_kernelINS0_14default_configENS1_35adjacent_difference_config_selectorILb1ElEEZNS1_24adjacent_difference_implIS3_Lb1ELb0EPlS7_ZN2at6native12_GLOBAL__N_124unique_dim_cuda_templateItEESt5tupleIJNS8_6TensorESD_SD_EERKSD_lbbbEUlllE1_EE10hipError_tPvRmT2_T3_mT4_P12ihipStream_tbEUlT_E_NS1_11comp_targetILNS1_3genE2ELNS1_11target_archE906ELNS1_3gpuE6ELNS1_3repE0EEENS1_30default_config_static_selectorELNS0_4arch9wavefront6targetE0EEEvT1_
                                        ; -- End function
	.set _ZN7rocprim17ROCPRIM_400000_NS6detail17trampoline_kernelINS0_14default_configENS1_35adjacent_difference_config_selectorILb1ElEEZNS1_24adjacent_difference_implIS3_Lb1ELb0EPlS7_ZN2at6native12_GLOBAL__N_124unique_dim_cuda_templateItEESt5tupleIJNS8_6TensorESD_SD_EERKSD_lbbbEUlllE1_EE10hipError_tPvRmT2_T3_mT4_P12ihipStream_tbEUlT_E_NS1_11comp_targetILNS1_3genE2ELNS1_11target_archE906ELNS1_3gpuE6ELNS1_3repE0EEENS1_30default_config_static_selectorELNS0_4arch9wavefront6targetE0EEEvT1_.num_vgpr, 0
	.set _ZN7rocprim17ROCPRIM_400000_NS6detail17trampoline_kernelINS0_14default_configENS1_35adjacent_difference_config_selectorILb1ElEEZNS1_24adjacent_difference_implIS3_Lb1ELb0EPlS7_ZN2at6native12_GLOBAL__N_124unique_dim_cuda_templateItEESt5tupleIJNS8_6TensorESD_SD_EERKSD_lbbbEUlllE1_EE10hipError_tPvRmT2_T3_mT4_P12ihipStream_tbEUlT_E_NS1_11comp_targetILNS1_3genE2ELNS1_11target_archE906ELNS1_3gpuE6ELNS1_3repE0EEENS1_30default_config_static_selectorELNS0_4arch9wavefront6targetE0EEEvT1_.num_agpr, 0
	.set _ZN7rocprim17ROCPRIM_400000_NS6detail17trampoline_kernelINS0_14default_configENS1_35adjacent_difference_config_selectorILb1ElEEZNS1_24adjacent_difference_implIS3_Lb1ELb0EPlS7_ZN2at6native12_GLOBAL__N_124unique_dim_cuda_templateItEESt5tupleIJNS8_6TensorESD_SD_EERKSD_lbbbEUlllE1_EE10hipError_tPvRmT2_T3_mT4_P12ihipStream_tbEUlT_E_NS1_11comp_targetILNS1_3genE2ELNS1_11target_archE906ELNS1_3gpuE6ELNS1_3repE0EEENS1_30default_config_static_selectorELNS0_4arch9wavefront6targetE0EEEvT1_.numbered_sgpr, 0
	.set _ZN7rocprim17ROCPRIM_400000_NS6detail17trampoline_kernelINS0_14default_configENS1_35adjacent_difference_config_selectorILb1ElEEZNS1_24adjacent_difference_implIS3_Lb1ELb0EPlS7_ZN2at6native12_GLOBAL__N_124unique_dim_cuda_templateItEESt5tupleIJNS8_6TensorESD_SD_EERKSD_lbbbEUlllE1_EE10hipError_tPvRmT2_T3_mT4_P12ihipStream_tbEUlT_E_NS1_11comp_targetILNS1_3genE2ELNS1_11target_archE906ELNS1_3gpuE6ELNS1_3repE0EEENS1_30default_config_static_selectorELNS0_4arch9wavefront6targetE0EEEvT1_.num_named_barrier, 0
	.set _ZN7rocprim17ROCPRIM_400000_NS6detail17trampoline_kernelINS0_14default_configENS1_35adjacent_difference_config_selectorILb1ElEEZNS1_24adjacent_difference_implIS3_Lb1ELb0EPlS7_ZN2at6native12_GLOBAL__N_124unique_dim_cuda_templateItEESt5tupleIJNS8_6TensorESD_SD_EERKSD_lbbbEUlllE1_EE10hipError_tPvRmT2_T3_mT4_P12ihipStream_tbEUlT_E_NS1_11comp_targetILNS1_3genE2ELNS1_11target_archE906ELNS1_3gpuE6ELNS1_3repE0EEENS1_30default_config_static_selectorELNS0_4arch9wavefront6targetE0EEEvT1_.private_seg_size, 0
	.set _ZN7rocprim17ROCPRIM_400000_NS6detail17trampoline_kernelINS0_14default_configENS1_35adjacent_difference_config_selectorILb1ElEEZNS1_24adjacent_difference_implIS3_Lb1ELb0EPlS7_ZN2at6native12_GLOBAL__N_124unique_dim_cuda_templateItEESt5tupleIJNS8_6TensorESD_SD_EERKSD_lbbbEUlllE1_EE10hipError_tPvRmT2_T3_mT4_P12ihipStream_tbEUlT_E_NS1_11comp_targetILNS1_3genE2ELNS1_11target_archE906ELNS1_3gpuE6ELNS1_3repE0EEENS1_30default_config_static_selectorELNS0_4arch9wavefront6targetE0EEEvT1_.uses_vcc, 0
	.set _ZN7rocprim17ROCPRIM_400000_NS6detail17trampoline_kernelINS0_14default_configENS1_35adjacent_difference_config_selectorILb1ElEEZNS1_24adjacent_difference_implIS3_Lb1ELb0EPlS7_ZN2at6native12_GLOBAL__N_124unique_dim_cuda_templateItEESt5tupleIJNS8_6TensorESD_SD_EERKSD_lbbbEUlllE1_EE10hipError_tPvRmT2_T3_mT4_P12ihipStream_tbEUlT_E_NS1_11comp_targetILNS1_3genE2ELNS1_11target_archE906ELNS1_3gpuE6ELNS1_3repE0EEENS1_30default_config_static_selectorELNS0_4arch9wavefront6targetE0EEEvT1_.uses_flat_scratch, 0
	.set _ZN7rocprim17ROCPRIM_400000_NS6detail17trampoline_kernelINS0_14default_configENS1_35adjacent_difference_config_selectorILb1ElEEZNS1_24adjacent_difference_implIS3_Lb1ELb0EPlS7_ZN2at6native12_GLOBAL__N_124unique_dim_cuda_templateItEESt5tupleIJNS8_6TensorESD_SD_EERKSD_lbbbEUlllE1_EE10hipError_tPvRmT2_T3_mT4_P12ihipStream_tbEUlT_E_NS1_11comp_targetILNS1_3genE2ELNS1_11target_archE906ELNS1_3gpuE6ELNS1_3repE0EEENS1_30default_config_static_selectorELNS0_4arch9wavefront6targetE0EEEvT1_.has_dyn_sized_stack, 0
	.set _ZN7rocprim17ROCPRIM_400000_NS6detail17trampoline_kernelINS0_14default_configENS1_35adjacent_difference_config_selectorILb1ElEEZNS1_24adjacent_difference_implIS3_Lb1ELb0EPlS7_ZN2at6native12_GLOBAL__N_124unique_dim_cuda_templateItEESt5tupleIJNS8_6TensorESD_SD_EERKSD_lbbbEUlllE1_EE10hipError_tPvRmT2_T3_mT4_P12ihipStream_tbEUlT_E_NS1_11comp_targetILNS1_3genE2ELNS1_11target_archE906ELNS1_3gpuE6ELNS1_3repE0EEENS1_30default_config_static_selectorELNS0_4arch9wavefront6targetE0EEEvT1_.has_recursion, 0
	.set _ZN7rocprim17ROCPRIM_400000_NS6detail17trampoline_kernelINS0_14default_configENS1_35adjacent_difference_config_selectorILb1ElEEZNS1_24adjacent_difference_implIS3_Lb1ELb0EPlS7_ZN2at6native12_GLOBAL__N_124unique_dim_cuda_templateItEESt5tupleIJNS8_6TensorESD_SD_EERKSD_lbbbEUlllE1_EE10hipError_tPvRmT2_T3_mT4_P12ihipStream_tbEUlT_E_NS1_11comp_targetILNS1_3genE2ELNS1_11target_archE906ELNS1_3gpuE6ELNS1_3repE0EEENS1_30default_config_static_selectorELNS0_4arch9wavefront6targetE0EEEvT1_.has_indirect_call, 0
	.section	.AMDGPU.csdata,"",@progbits
; Kernel info:
; codeLenInByte = 0
; TotalNumSgprs: 0
; NumVgprs: 0
; ScratchSize: 0
; MemoryBound: 0
; FloatMode: 240
; IeeeMode: 1
; LDSByteSize: 0 bytes/workgroup (compile time only)
; SGPRBlocks: 0
; VGPRBlocks: 0
; NumSGPRsForWavesPerEU: 1
; NumVGPRsForWavesPerEU: 1
; NamedBarCnt: 0
; Occupancy: 16
; WaveLimiterHint : 0
; COMPUTE_PGM_RSRC2:SCRATCH_EN: 0
; COMPUTE_PGM_RSRC2:USER_SGPR: 2
; COMPUTE_PGM_RSRC2:TRAP_HANDLER: 0
; COMPUTE_PGM_RSRC2:TGID_X_EN: 1
; COMPUTE_PGM_RSRC2:TGID_Y_EN: 0
; COMPUTE_PGM_RSRC2:TGID_Z_EN: 0
; COMPUTE_PGM_RSRC2:TIDIG_COMP_CNT: 0
	.section	.text._ZN7rocprim17ROCPRIM_400000_NS6detail17trampoline_kernelINS0_14default_configENS1_35adjacent_difference_config_selectorILb1ElEEZNS1_24adjacent_difference_implIS3_Lb1ELb0EPlS7_ZN2at6native12_GLOBAL__N_124unique_dim_cuda_templateItEESt5tupleIJNS8_6TensorESD_SD_EERKSD_lbbbEUlllE1_EE10hipError_tPvRmT2_T3_mT4_P12ihipStream_tbEUlT_E_NS1_11comp_targetILNS1_3genE9ELNS1_11target_archE1100ELNS1_3gpuE3ELNS1_3repE0EEENS1_30default_config_static_selectorELNS0_4arch9wavefront6targetE0EEEvT1_,"axG",@progbits,_ZN7rocprim17ROCPRIM_400000_NS6detail17trampoline_kernelINS0_14default_configENS1_35adjacent_difference_config_selectorILb1ElEEZNS1_24adjacent_difference_implIS3_Lb1ELb0EPlS7_ZN2at6native12_GLOBAL__N_124unique_dim_cuda_templateItEESt5tupleIJNS8_6TensorESD_SD_EERKSD_lbbbEUlllE1_EE10hipError_tPvRmT2_T3_mT4_P12ihipStream_tbEUlT_E_NS1_11comp_targetILNS1_3genE9ELNS1_11target_archE1100ELNS1_3gpuE3ELNS1_3repE0EEENS1_30default_config_static_selectorELNS0_4arch9wavefront6targetE0EEEvT1_,comdat
	.globl	_ZN7rocprim17ROCPRIM_400000_NS6detail17trampoline_kernelINS0_14default_configENS1_35adjacent_difference_config_selectorILb1ElEEZNS1_24adjacent_difference_implIS3_Lb1ELb0EPlS7_ZN2at6native12_GLOBAL__N_124unique_dim_cuda_templateItEESt5tupleIJNS8_6TensorESD_SD_EERKSD_lbbbEUlllE1_EE10hipError_tPvRmT2_T3_mT4_P12ihipStream_tbEUlT_E_NS1_11comp_targetILNS1_3genE9ELNS1_11target_archE1100ELNS1_3gpuE3ELNS1_3repE0EEENS1_30default_config_static_selectorELNS0_4arch9wavefront6targetE0EEEvT1_ ; -- Begin function _ZN7rocprim17ROCPRIM_400000_NS6detail17trampoline_kernelINS0_14default_configENS1_35adjacent_difference_config_selectorILb1ElEEZNS1_24adjacent_difference_implIS3_Lb1ELb0EPlS7_ZN2at6native12_GLOBAL__N_124unique_dim_cuda_templateItEESt5tupleIJNS8_6TensorESD_SD_EERKSD_lbbbEUlllE1_EE10hipError_tPvRmT2_T3_mT4_P12ihipStream_tbEUlT_E_NS1_11comp_targetILNS1_3genE9ELNS1_11target_archE1100ELNS1_3gpuE3ELNS1_3repE0EEENS1_30default_config_static_selectorELNS0_4arch9wavefront6targetE0EEEvT1_
	.p2align	8
	.type	_ZN7rocprim17ROCPRIM_400000_NS6detail17trampoline_kernelINS0_14default_configENS1_35adjacent_difference_config_selectorILb1ElEEZNS1_24adjacent_difference_implIS3_Lb1ELb0EPlS7_ZN2at6native12_GLOBAL__N_124unique_dim_cuda_templateItEESt5tupleIJNS8_6TensorESD_SD_EERKSD_lbbbEUlllE1_EE10hipError_tPvRmT2_T3_mT4_P12ihipStream_tbEUlT_E_NS1_11comp_targetILNS1_3genE9ELNS1_11target_archE1100ELNS1_3gpuE3ELNS1_3repE0EEENS1_30default_config_static_selectorELNS0_4arch9wavefront6targetE0EEEvT1_,@function
_ZN7rocprim17ROCPRIM_400000_NS6detail17trampoline_kernelINS0_14default_configENS1_35adjacent_difference_config_selectorILb1ElEEZNS1_24adjacent_difference_implIS3_Lb1ELb0EPlS7_ZN2at6native12_GLOBAL__N_124unique_dim_cuda_templateItEESt5tupleIJNS8_6TensorESD_SD_EERKSD_lbbbEUlllE1_EE10hipError_tPvRmT2_T3_mT4_P12ihipStream_tbEUlT_E_NS1_11comp_targetILNS1_3genE9ELNS1_11target_archE1100ELNS1_3gpuE3ELNS1_3repE0EEENS1_30default_config_static_selectorELNS0_4arch9wavefront6targetE0EEEvT1_: ; @_ZN7rocprim17ROCPRIM_400000_NS6detail17trampoline_kernelINS0_14default_configENS1_35adjacent_difference_config_selectorILb1ElEEZNS1_24adjacent_difference_implIS3_Lb1ELb0EPlS7_ZN2at6native12_GLOBAL__N_124unique_dim_cuda_templateItEESt5tupleIJNS8_6TensorESD_SD_EERKSD_lbbbEUlllE1_EE10hipError_tPvRmT2_T3_mT4_P12ihipStream_tbEUlT_E_NS1_11comp_targetILNS1_3genE9ELNS1_11target_archE1100ELNS1_3gpuE3ELNS1_3repE0EEENS1_30default_config_static_selectorELNS0_4arch9wavefront6targetE0EEEvT1_
; %bb.0:
	.section	.rodata,"a",@progbits
	.p2align	6, 0x0
	.amdhsa_kernel _ZN7rocprim17ROCPRIM_400000_NS6detail17trampoline_kernelINS0_14default_configENS1_35adjacent_difference_config_selectorILb1ElEEZNS1_24adjacent_difference_implIS3_Lb1ELb0EPlS7_ZN2at6native12_GLOBAL__N_124unique_dim_cuda_templateItEESt5tupleIJNS8_6TensorESD_SD_EERKSD_lbbbEUlllE1_EE10hipError_tPvRmT2_T3_mT4_P12ihipStream_tbEUlT_E_NS1_11comp_targetILNS1_3genE9ELNS1_11target_archE1100ELNS1_3gpuE3ELNS1_3repE0EEENS1_30default_config_static_selectorELNS0_4arch9wavefront6targetE0EEEvT1_
		.amdhsa_group_segment_fixed_size 0
		.amdhsa_private_segment_fixed_size 0
		.amdhsa_kernarg_size 64
		.amdhsa_user_sgpr_count 2
		.amdhsa_user_sgpr_dispatch_ptr 0
		.amdhsa_user_sgpr_queue_ptr 0
		.amdhsa_user_sgpr_kernarg_segment_ptr 1
		.amdhsa_user_sgpr_dispatch_id 0
		.amdhsa_user_sgpr_kernarg_preload_length 0
		.amdhsa_user_sgpr_kernarg_preload_offset 0
		.amdhsa_user_sgpr_private_segment_size 0
		.amdhsa_wavefront_size32 1
		.amdhsa_uses_dynamic_stack 0
		.amdhsa_enable_private_segment 0
		.amdhsa_system_sgpr_workgroup_id_x 1
		.amdhsa_system_sgpr_workgroup_id_y 0
		.amdhsa_system_sgpr_workgroup_id_z 0
		.amdhsa_system_sgpr_workgroup_info 0
		.amdhsa_system_vgpr_workitem_id 0
		.amdhsa_next_free_vgpr 1
		.amdhsa_next_free_sgpr 1
		.amdhsa_named_barrier_count 0
		.amdhsa_reserve_vcc 0
		.amdhsa_float_round_mode_32 0
		.amdhsa_float_round_mode_16_64 0
		.amdhsa_float_denorm_mode_32 3
		.amdhsa_float_denorm_mode_16_64 3
		.amdhsa_fp16_overflow 0
		.amdhsa_memory_ordered 1
		.amdhsa_forward_progress 1
		.amdhsa_inst_pref_size 0
		.amdhsa_round_robin_scheduling 0
		.amdhsa_exception_fp_ieee_invalid_op 0
		.amdhsa_exception_fp_denorm_src 0
		.amdhsa_exception_fp_ieee_div_zero 0
		.amdhsa_exception_fp_ieee_overflow 0
		.amdhsa_exception_fp_ieee_underflow 0
		.amdhsa_exception_fp_ieee_inexact 0
		.amdhsa_exception_int_div_zero 0
	.end_amdhsa_kernel
	.section	.text._ZN7rocprim17ROCPRIM_400000_NS6detail17trampoline_kernelINS0_14default_configENS1_35adjacent_difference_config_selectorILb1ElEEZNS1_24adjacent_difference_implIS3_Lb1ELb0EPlS7_ZN2at6native12_GLOBAL__N_124unique_dim_cuda_templateItEESt5tupleIJNS8_6TensorESD_SD_EERKSD_lbbbEUlllE1_EE10hipError_tPvRmT2_T3_mT4_P12ihipStream_tbEUlT_E_NS1_11comp_targetILNS1_3genE9ELNS1_11target_archE1100ELNS1_3gpuE3ELNS1_3repE0EEENS1_30default_config_static_selectorELNS0_4arch9wavefront6targetE0EEEvT1_,"axG",@progbits,_ZN7rocprim17ROCPRIM_400000_NS6detail17trampoline_kernelINS0_14default_configENS1_35adjacent_difference_config_selectorILb1ElEEZNS1_24adjacent_difference_implIS3_Lb1ELb0EPlS7_ZN2at6native12_GLOBAL__N_124unique_dim_cuda_templateItEESt5tupleIJNS8_6TensorESD_SD_EERKSD_lbbbEUlllE1_EE10hipError_tPvRmT2_T3_mT4_P12ihipStream_tbEUlT_E_NS1_11comp_targetILNS1_3genE9ELNS1_11target_archE1100ELNS1_3gpuE3ELNS1_3repE0EEENS1_30default_config_static_selectorELNS0_4arch9wavefront6targetE0EEEvT1_,comdat
.Lfunc_end1417:
	.size	_ZN7rocprim17ROCPRIM_400000_NS6detail17trampoline_kernelINS0_14default_configENS1_35adjacent_difference_config_selectorILb1ElEEZNS1_24adjacent_difference_implIS3_Lb1ELb0EPlS7_ZN2at6native12_GLOBAL__N_124unique_dim_cuda_templateItEESt5tupleIJNS8_6TensorESD_SD_EERKSD_lbbbEUlllE1_EE10hipError_tPvRmT2_T3_mT4_P12ihipStream_tbEUlT_E_NS1_11comp_targetILNS1_3genE9ELNS1_11target_archE1100ELNS1_3gpuE3ELNS1_3repE0EEENS1_30default_config_static_selectorELNS0_4arch9wavefront6targetE0EEEvT1_, .Lfunc_end1417-_ZN7rocprim17ROCPRIM_400000_NS6detail17trampoline_kernelINS0_14default_configENS1_35adjacent_difference_config_selectorILb1ElEEZNS1_24adjacent_difference_implIS3_Lb1ELb0EPlS7_ZN2at6native12_GLOBAL__N_124unique_dim_cuda_templateItEESt5tupleIJNS8_6TensorESD_SD_EERKSD_lbbbEUlllE1_EE10hipError_tPvRmT2_T3_mT4_P12ihipStream_tbEUlT_E_NS1_11comp_targetILNS1_3genE9ELNS1_11target_archE1100ELNS1_3gpuE3ELNS1_3repE0EEENS1_30default_config_static_selectorELNS0_4arch9wavefront6targetE0EEEvT1_
                                        ; -- End function
	.set _ZN7rocprim17ROCPRIM_400000_NS6detail17trampoline_kernelINS0_14default_configENS1_35adjacent_difference_config_selectorILb1ElEEZNS1_24adjacent_difference_implIS3_Lb1ELb0EPlS7_ZN2at6native12_GLOBAL__N_124unique_dim_cuda_templateItEESt5tupleIJNS8_6TensorESD_SD_EERKSD_lbbbEUlllE1_EE10hipError_tPvRmT2_T3_mT4_P12ihipStream_tbEUlT_E_NS1_11comp_targetILNS1_3genE9ELNS1_11target_archE1100ELNS1_3gpuE3ELNS1_3repE0EEENS1_30default_config_static_selectorELNS0_4arch9wavefront6targetE0EEEvT1_.num_vgpr, 0
	.set _ZN7rocprim17ROCPRIM_400000_NS6detail17trampoline_kernelINS0_14default_configENS1_35adjacent_difference_config_selectorILb1ElEEZNS1_24adjacent_difference_implIS3_Lb1ELb0EPlS7_ZN2at6native12_GLOBAL__N_124unique_dim_cuda_templateItEESt5tupleIJNS8_6TensorESD_SD_EERKSD_lbbbEUlllE1_EE10hipError_tPvRmT2_T3_mT4_P12ihipStream_tbEUlT_E_NS1_11comp_targetILNS1_3genE9ELNS1_11target_archE1100ELNS1_3gpuE3ELNS1_3repE0EEENS1_30default_config_static_selectorELNS0_4arch9wavefront6targetE0EEEvT1_.num_agpr, 0
	.set _ZN7rocprim17ROCPRIM_400000_NS6detail17trampoline_kernelINS0_14default_configENS1_35adjacent_difference_config_selectorILb1ElEEZNS1_24adjacent_difference_implIS3_Lb1ELb0EPlS7_ZN2at6native12_GLOBAL__N_124unique_dim_cuda_templateItEESt5tupleIJNS8_6TensorESD_SD_EERKSD_lbbbEUlllE1_EE10hipError_tPvRmT2_T3_mT4_P12ihipStream_tbEUlT_E_NS1_11comp_targetILNS1_3genE9ELNS1_11target_archE1100ELNS1_3gpuE3ELNS1_3repE0EEENS1_30default_config_static_selectorELNS0_4arch9wavefront6targetE0EEEvT1_.numbered_sgpr, 0
	.set _ZN7rocprim17ROCPRIM_400000_NS6detail17trampoline_kernelINS0_14default_configENS1_35adjacent_difference_config_selectorILb1ElEEZNS1_24adjacent_difference_implIS3_Lb1ELb0EPlS7_ZN2at6native12_GLOBAL__N_124unique_dim_cuda_templateItEESt5tupleIJNS8_6TensorESD_SD_EERKSD_lbbbEUlllE1_EE10hipError_tPvRmT2_T3_mT4_P12ihipStream_tbEUlT_E_NS1_11comp_targetILNS1_3genE9ELNS1_11target_archE1100ELNS1_3gpuE3ELNS1_3repE0EEENS1_30default_config_static_selectorELNS0_4arch9wavefront6targetE0EEEvT1_.num_named_barrier, 0
	.set _ZN7rocprim17ROCPRIM_400000_NS6detail17trampoline_kernelINS0_14default_configENS1_35adjacent_difference_config_selectorILb1ElEEZNS1_24adjacent_difference_implIS3_Lb1ELb0EPlS7_ZN2at6native12_GLOBAL__N_124unique_dim_cuda_templateItEESt5tupleIJNS8_6TensorESD_SD_EERKSD_lbbbEUlllE1_EE10hipError_tPvRmT2_T3_mT4_P12ihipStream_tbEUlT_E_NS1_11comp_targetILNS1_3genE9ELNS1_11target_archE1100ELNS1_3gpuE3ELNS1_3repE0EEENS1_30default_config_static_selectorELNS0_4arch9wavefront6targetE0EEEvT1_.private_seg_size, 0
	.set _ZN7rocprim17ROCPRIM_400000_NS6detail17trampoline_kernelINS0_14default_configENS1_35adjacent_difference_config_selectorILb1ElEEZNS1_24adjacent_difference_implIS3_Lb1ELb0EPlS7_ZN2at6native12_GLOBAL__N_124unique_dim_cuda_templateItEESt5tupleIJNS8_6TensorESD_SD_EERKSD_lbbbEUlllE1_EE10hipError_tPvRmT2_T3_mT4_P12ihipStream_tbEUlT_E_NS1_11comp_targetILNS1_3genE9ELNS1_11target_archE1100ELNS1_3gpuE3ELNS1_3repE0EEENS1_30default_config_static_selectorELNS0_4arch9wavefront6targetE0EEEvT1_.uses_vcc, 0
	.set _ZN7rocprim17ROCPRIM_400000_NS6detail17trampoline_kernelINS0_14default_configENS1_35adjacent_difference_config_selectorILb1ElEEZNS1_24adjacent_difference_implIS3_Lb1ELb0EPlS7_ZN2at6native12_GLOBAL__N_124unique_dim_cuda_templateItEESt5tupleIJNS8_6TensorESD_SD_EERKSD_lbbbEUlllE1_EE10hipError_tPvRmT2_T3_mT4_P12ihipStream_tbEUlT_E_NS1_11comp_targetILNS1_3genE9ELNS1_11target_archE1100ELNS1_3gpuE3ELNS1_3repE0EEENS1_30default_config_static_selectorELNS0_4arch9wavefront6targetE0EEEvT1_.uses_flat_scratch, 0
	.set _ZN7rocprim17ROCPRIM_400000_NS6detail17trampoline_kernelINS0_14default_configENS1_35adjacent_difference_config_selectorILb1ElEEZNS1_24adjacent_difference_implIS3_Lb1ELb0EPlS7_ZN2at6native12_GLOBAL__N_124unique_dim_cuda_templateItEESt5tupleIJNS8_6TensorESD_SD_EERKSD_lbbbEUlllE1_EE10hipError_tPvRmT2_T3_mT4_P12ihipStream_tbEUlT_E_NS1_11comp_targetILNS1_3genE9ELNS1_11target_archE1100ELNS1_3gpuE3ELNS1_3repE0EEENS1_30default_config_static_selectorELNS0_4arch9wavefront6targetE0EEEvT1_.has_dyn_sized_stack, 0
	.set _ZN7rocprim17ROCPRIM_400000_NS6detail17trampoline_kernelINS0_14default_configENS1_35adjacent_difference_config_selectorILb1ElEEZNS1_24adjacent_difference_implIS3_Lb1ELb0EPlS7_ZN2at6native12_GLOBAL__N_124unique_dim_cuda_templateItEESt5tupleIJNS8_6TensorESD_SD_EERKSD_lbbbEUlllE1_EE10hipError_tPvRmT2_T3_mT4_P12ihipStream_tbEUlT_E_NS1_11comp_targetILNS1_3genE9ELNS1_11target_archE1100ELNS1_3gpuE3ELNS1_3repE0EEENS1_30default_config_static_selectorELNS0_4arch9wavefront6targetE0EEEvT1_.has_recursion, 0
	.set _ZN7rocprim17ROCPRIM_400000_NS6detail17trampoline_kernelINS0_14default_configENS1_35adjacent_difference_config_selectorILb1ElEEZNS1_24adjacent_difference_implIS3_Lb1ELb0EPlS7_ZN2at6native12_GLOBAL__N_124unique_dim_cuda_templateItEESt5tupleIJNS8_6TensorESD_SD_EERKSD_lbbbEUlllE1_EE10hipError_tPvRmT2_T3_mT4_P12ihipStream_tbEUlT_E_NS1_11comp_targetILNS1_3genE9ELNS1_11target_archE1100ELNS1_3gpuE3ELNS1_3repE0EEENS1_30default_config_static_selectorELNS0_4arch9wavefront6targetE0EEEvT1_.has_indirect_call, 0
	.section	.AMDGPU.csdata,"",@progbits
; Kernel info:
; codeLenInByte = 0
; TotalNumSgprs: 0
; NumVgprs: 0
; ScratchSize: 0
; MemoryBound: 0
; FloatMode: 240
; IeeeMode: 1
; LDSByteSize: 0 bytes/workgroup (compile time only)
; SGPRBlocks: 0
; VGPRBlocks: 0
; NumSGPRsForWavesPerEU: 1
; NumVGPRsForWavesPerEU: 1
; NamedBarCnt: 0
; Occupancy: 16
; WaveLimiterHint : 0
; COMPUTE_PGM_RSRC2:SCRATCH_EN: 0
; COMPUTE_PGM_RSRC2:USER_SGPR: 2
; COMPUTE_PGM_RSRC2:TRAP_HANDLER: 0
; COMPUTE_PGM_RSRC2:TGID_X_EN: 1
; COMPUTE_PGM_RSRC2:TGID_Y_EN: 0
; COMPUTE_PGM_RSRC2:TGID_Z_EN: 0
; COMPUTE_PGM_RSRC2:TIDIG_COMP_CNT: 0
	.section	.text._ZN7rocprim17ROCPRIM_400000_NS6detail17trampoline_kernelINS0_14default_configENS1_35adjacent_difference_config_selectorILb1ElEEZNS1_24adjacent_difference_implIS3_Lb1ELb0EPlS7_ZN2at6native12_GLOBAL__N_124unique_dim_cuda_templateItEESt5tupleIJNS8_6TensorESD_SD_EERKSD_lbbbEUlllE1_EE10hipError_tPvRmT2_T3_mT4_P12ihipStream_tbEUlT_E_NS1_11comp_targetILNS1_3genE8ELNS1_11target_archE1030ELNS1_3gpuE2ELNS1_3repE0EEENS1_30default_config_static_selectorELNS0_4arch9wavefront6targetE0EEEvT1_,"axG",@progbits,_ZN7rocprim17ROCPRIM_400000_NS6detail17trampoline_kernelINS0_14default_configENS1_35adjacent_difference_config_selectorILb1ElEEZNS1_24adjacent_difference_implIS3_Lb1ELb0EPlS7_ZN2at6native12_GLOBAL__N_124unique_dim_cuda_templateItEESt5tupleIJNS8_6TensorESD_SD_EERKSD_lbbbEUlllE1_EE10hipError_tPvRmT2_T3_mT4_P12ihipStream_tbEUlT_E_NS1_11comp_targetILNS1_3genE8ELNS1_11target_archE1030ELNS1_3gpuE2ELNS1_3repE0EEENS1_30default_config_static_selectorELNS0_4arch9wavefront6targetE0EEEvT1_,comdat
	.globl	_ZN7rocprim17ROCPRIM_400000_NS6detail17trampoline_kernelINS0_14default_configENS1_35adjacent_difference_config_selectorILb1ElEEZNS1_24adjacent_difference_implIS3_Lb1ELb0EPlS7_ZN2at6native12_GLOBAL__N_124unique_dim_cuda_templateItEESt5tupleIJNS8_6TensorESD_SD_EERKSD_lbbbEUlllE1_EE10hipError_tPvRmT2_T3_mT4_P12ihipStream_tbEUlT_E_NS1_11comp_targetILNS1_3genE8ELNS1_11target_archE1030ELNS1_3gpuE2ELNS1_3repE0EEENS1_30default_config_static_selectorELNS0_4arch9wavefront6targetE0EEEvT1_ ; -- Begin function _ZN7rocprim17ROCPRIM_400000_NS6detail17trampoline_kernelINS0_14default_configENS1_35adjacent_difference_config_selectorILb1ElEEZNS1_24adjacent_difference_implIS3_Lb1ELb0EPlS7_ZN2at6native12_GLOBAL__N_124unique_dim_cuda_templateItEESt5tupleIJNS8_6TensorESD_SD_EERKSD_lbbbEUlllE1_EE10hipError_tPvRmT2_T3_mT4_P12ihipStream_tbEUlT_E_NS1_11comp_targetILNS1_3genE8ELNS1_11target_archE1030ELNS1_3gpuE2ELNS1_3repE0EEENS1_30default_config_static_selectorELNS0_4arch9wavefront6targetE0EEEvT1_
	.p2align	8
	.type	_ZN7rocprim17ROCPRIM_400000_NS6detail17trampoline_kernelINS0_14default_configENS1_35adjacent_difference_config_selectorILb1ElEEZNS1_24adjacent_difference_implIS3_Lb1ELb0EPlS7_ZN2at6native12_GLOBAL__N_124unique_dim_cuda_templateItEESt5tupleIJNS8_6TensorESD_SD_EERKSD_lbbbEUlllE1_EE10hipError_tPvRmT2_T3_mT4_P12ihipStream_tbEUlT_E_NS1_11comp_targetILNS1_3genE8ELNS1_11target_archE1030ELNS1_3gpuE2ELNS1_3repE0EEENS1_30default_config_static_selectorELNS0_4arch9wavefront6targetE0EEEvT1_,@function
_ZN7rocprim17ROCPRIM_400000_NS6detail17trampoline_kernelINS0_14default_configENS1_35adjacent_difference_config_selectorILb1ElEEZNS1_24adjacent_difference_implIS3_Lb1ELb0EPlS7_ZN2at6native12_GLOBAL__N_124unique_dim_cuda_templateItEESt5tupleIJNS8_6TensorESD_SD_EERKSD_lbbbEUlllE1_EE10hipError_tPvRmT2_T3_mT4_P12ihipStream_tbEUlT_E_NS1_11comp_targetILNS1_3genE8ELNS1_11target_archE1030ELNS1_3gpuE2ELNS1_3repE0EEENS1_30default_config_static_selectorELNS0_4arch9wavefront6targetE0EEEvT1_: ; @_ZN7rocprim17ROCPRIM_400000_NS6detail17trampoline_kernelINS0_14default_configENS1_35adjacent_difference_config_selectorILb1ElEEZNS1_24adjacent_difference_implIS3_Lb1ELb0EPlS7_ZN2at6native12_GLOBAL__N_124unique_dim_cuda_templateItEESt5tupleIJNS8_6TensorESD_SD_EERKSD_lbbbEUlllE1_EE10hipError_tPvRmT2_T3_mT4_P12ihipStream_tbEUlT_E_NS1_11comp_targetILNS1_3genE8ELNS1_11target_archE1030ELNS1_3gpuE2ELNS1_3repE0EEENS1_30default_config_static_selectorELNS0_4arch9wavefront6targetE0EEEvT1_
; %bb.0:
	.section	.rodata,"a",@progbits
	.p2align	6, 0x0
	.amdhsa_kernel _ZN7rocprim17ROCPRIM_400000_NS6detail17trampoline_kernelINS0_14default_configENS1_35adjacent_difference_config_selectorILb1ElEEZNS1_24adjacent_difference_implIS3_Lb1ELb0EPlS7_ZN2at6native12_GLOBAL__N_124unique_dim_cuda_templateItEESt5tupleIJNS8_6TensorESD_SD_EERKSD_lbbbEUlllE1_EE10hipError_tPvRmT2_T3_mT4_P12ihipStream_tbEUlT_E_NS1_11comp_targetILNS1_3genE8ELNS1_11target_archE1030ELNS1_3gpuE2ELNS1_3repE0EEENS1_30default_config_static_selectorELNS0_4arch9wavefront6targetE0EEEvT1_
		.amdhsa_group_segment_fixed_size 0
		.amdhsa_private_segment_fixed_size 0
		.amdhsa_kernarg_size 64
		.amdhsa_user_sgpr_count 2
		.amdhsa_user_sgpr_dispatch_ptr 0
		.amdhsa_user_sgpr_queue_ptr 0
		.amdhsa_user_sgpr_kernarg_segment_ptr 1
		.amdhsa_user_sgpr_dispatch_id 0
		.amdhsa_user_sgpr_kernarg_preload_length 0
		.amdhsa_user_sgpr_kernarg_preload_offset 0
		.amdhsa_user_sgpr_private_segment_size 0
		.amdhsa_wavefront_size32 1
		.amdhsa_uses_dynamic_stack 0
		.amdhsa_enable_private_segment 0
		.amdhsa_system_sgpr_workgroup_id_x 1
		.amdhsa_system_sgpr_workgroup_id_y 0
		.amdhsa_system_sgpr_workgroup_id_z 0
		.amdhsa_system_sgpr_workgroup_info 0
		.amdhsa_system_vgpr_workitem_id 0
		.amdhsa_next_free_vgpr 1
		.amdhsa_next_free_sgpr 1
		.amdhsa_named_barrier_count 0
		.amdhsa_reserve_vcc 0
		.amdhsa_float_round_mode_32 0
		.amdhsa_float_round_mode_16_64 0
		.amdhsa_float_denorm_mode_32 3
		.amdhsa_float_denorm_mode_16_64 3
		.amdhsa_fp16_overflow 0
		.amdhsa_memory_ordered 1
		.amdhsa_forward_progress 1
		.amdhsa_inst_pref_size 0
		.amdhsa_round_robin_scheduling 0
		.amdhsa_exception_fp_ieee_invalid_op 0
		.amdhsa_exception_fp_denorm_src 0
		.amdhsa_exception_fp_ieee_div_zero 0
		.amdhsa_exception_fp_ieee_overflow 0
		.amdhsa_exception_fp_ieee_underflow 0
		.amdhsa_exception_fp_ieee_inexact 0
		.amdhsa_exception_int_div_zero 0
	.end_amdhsa_kernel
	.section	.text._ZN7rocprim17ROCPRIM_400000_NS6detail17trampoline_kernelINS0_14default_configENS1_35adjacent_difference_config_selectorILb1ElEEZNS1_24adjacent_difference_implIS3_Lb1ELb0EPlS7_ZN2at6native12_GLOBAL__N_124unique_dim_cuda_templateItEESt5tupleIJNS8_6TensorESD_SD_EERKSD_lbbbEUlllE1_EE10hipError_tPvRmT2_T3_mT4_P12ihipStream_tbEUlT_E_NS1_11comp_targetILNS1_3genE8ELNS1_11target_archE1030ELNS1_3gpuE2ELNS1_3repE0EEENS1_30default_config_static_selectorELNS0_4arch9wavefront6targetE0EEEvT1_,"axG",@progbits,_ZN7rocprim17ROCPRIM_400000_NS6detail17trampoline_kernelINS0_14default_configENS1_35adjacent_difference_config_selectorILb1ElEEZNS1_24adjacent_difference_implIS3_Lb1ELb0EPlS7_ZN2at6native12_GLOBAL__N_124unique_dim_cuda_templateItEESt5tupleIJNS8_6TensorESD_SD_EERKSD_lbbbEUlllE1_EE10hipError_tPvRmT2_T3_mT4_P12ihipStream_tbEUlT_E_NS1_11comp_targetILNS1_3genE8ELNS1_11target_archE1030ELNS1_3gpuE2ELNS1_3repE0EEENS1_30default_config_static_selectorELNS0_4arch9wavefront6targetE0EEEvT1_,comdat
.Lfunc_end1418:
	.size	_ZN7rocprim17ROCPRIM_400000_NS6detail17trampoline_kernelINS0_14default_configENS1_35adjacent_difference_config_selectorILb1ElEEZNS1_24adjacent_difference_implIS3_Lb1ELb0EPlS7_ZN2at6native12_GLOBAL__N_124unique_dim_cuda_templateItEESt5tupleIJNS8_6TensorESD_SD_EERKSD_lbbbEUlllE1_EE10hipError_tPvRmT2_T3_mT4_P12ihipStream_tbEUlT_E_NS1_11comp_targetILNS1_3genE8ELNS1_11target_archE1030ELNS1_3gpuE2ELNS1_3repE0EEENS1_30default_config_static_selectorELNS0_4arch9wavefront6targetE0EEEvT1_, .Lfunc_end1418-_ZN7rocprim17ROCPRIM_400000_NS6detail17trampoline_kernelINS0_14default_configENS1_35adjacent_difference_config_selectorILb1ElEEZNS1_24adjacent_difference_implIS3_Lb1ELb0EPlS7_ZN2at6native12_GLOBAL__N_124unique_dim_cuda_templateItEESt5tupleIJNS8_6TensorESD_SD_EERKSD_lbbbEUlllE1_EE10hipError_tPvRmT2_T3_mT4_P12ihipStream_tbEUlT_E_NS1_11comp_targetILNS1_3genE8ELNS1_11target_archE1030ELNS1_3gpuE2ELNS1_3repE0EEENS1_30default_config_static_selectorELNS0_4arch9wavefront6targetE0EEEvT1_
                                        ; -- End function
	.set _ZN7rocprim17ROCPRIM_400000_NS6detail17trampoline_kernelINS0_14default_configENS1_35adjacent_difference_config_selectorILb1ElEEZNS1_24adjacent_difference_implIS3_Lb1ELb0EPlS7_ZN2at6native12_GLOBAL__N_124unique_dim_cuda_templateItEESt5tupleIJNS8_6TensorESD_SD_EERKSD_lbbbEUlllE1_EE10hipError_tPvRmT2_T3_mT4_P12ihipStream_tbEUlT_E_NS1_11comp_targetILNS1_3genE8ELNS1_11target_archE1030ELNS1_3gpuE2ELNS1_3repE0EEENS1_30default_config_static_selectorELNS0_4arch9wavefront6targetE0EEEvT1_.num_vgpr, 0
	.set _ZN7rocprim17ROCPRIM_400000_NS6detail17trampoline_kernelINS0_14default_configENS1_35adjacent_difference_config_selectorILb1ElEEZNS1_24adjacent_difference_implIS3_Lb1ELb0EPlS7_ZN2at6native12_GLOBAL__N_124unique_dim_cuda_templateItEESt5tupleIJNS8_6TensorESD_SD_EERKSD_lbbbEUlllE1_EE10hipError_tPvRmT2_T3_mT4_P12ihipStream_tbEUlT_E_NS1_11comp_targetILNS1_3genE8ELNS1_11target_archE1030ELNS1_3gpuE2ELNS1_3repE0EEENS1_30default_config_static_selectorELNS0_4arch9wavefront6targetE0EEEvT1_.num_agpr, 0
	.set _ZN7rocprim17ROCPRIM_400000_NS6detail17trampoline_kernelINS0_14default_configENS1_35adjacent_difference_config_selectorILb1ElEEZNS1_24adjacent_difference_implIS3_Lb1ELb0EPlS7_ZN2at6native12_GLOBAL__N_124unique_dim_cuda_templateItEESt5tupleIJNS8_6TensorESD_SD_EERKSD_lbbbEUlllE1_EE10hipError_tPvRmT2_T3_mT4_P12ihipStream_tbEUlT_E_NS1_11comp_targetILNS1_3genE8ELNS1_11target_archE1030ELNS1_3gpuE2ELNS1_3repE0EEENS1_30default_config_static_selectorELNS0_4arch9wavefront6targetE0EEEvT1_.numbered_sgpr, 0
	.set _ZN7rocprim17ROCPRIM_400000_NS6detail17trampoline_kernelINS0_14default_configENS1_35adjacent_difference_config_selectorILb1ElEEZNS1_24adjacent_difference_implIS3_Lb1ELb0EPlS7_ZN2at6native12_GLOBAL__N_124unique_dim_cuda_templateItEESt5tupleIJNS8_6TensorESD_SD_EERKSD_lbbbEUlllE1_EE10hipError_tPvRmT2_T3_mT4_P12ihipStream_tbEUlT_E_NS1_11comp_targetILNS1_3genE8ELNS1_11target_archE1030ELNS1_3gpuE2ELNS1_3repE0EEENS1_30default_config_static_selectorELNS0_4arch9wavefront6targetE0EEEvT1_.num_named_barrier, 0
	.set _ZN7rocprim17ROCPRIM_400000_NS6detail17trampoline_kernelINS0_14default_configENS1_35adjacent_difference_config_selectorILb1ElEEZNS1_24adjacent_difference_implIS3_Lb1ELb0EPlS7_ZN2at6native12_GLOBAL__N_124unique_dim_cuda_templateItEESt5tupleIJNS8_6TensorESD_SD_EERKSD_lbbbEUlllE1_EE10hipError_tPvRmT2_T3_mT4_P12ihipStream_tbEUlT_E_NS1_11comp_targetILNS1_3genE8ELNS1_11target_archE1030ELNS1_3gpuE2ELNS1_3repE0EEENS1_30default_config_static_selectorELNS0_4arch9wavefront6targetE0EEEvT1_.private_seg_size, 0
	.set _ZN7rocprim17ROCPRIM_400000_NS6detail17trampoline_kernelINS0_14default_configENS1_35adjacent_difference_config_selectorILb1ElEEZNS1_24adjacent_difference_implIS3_Lb1ELb0EPlS7_ZN2at6native12_GLOBAL__N_124unique_dim_cuda_templateItEESt5tupleIJNS8_6TensorESD_SD_EERKSD_lbbbEUlllE1_EE10hipError_tPvRmT2_T3_mT4_P12ihipStream_tbEUlT_E_NS1_11comp_targetILNS1_3genE8ELNS1_11target_archE1030ELNS1_3gpuE2ELNS1_3repE0EEENS1_30default_config_static_selectorELNS0_4arch9wavefront6targetE0EEEvT1_.uses_vcc, 0
	.set _ZN7rocprim17ROCPRIM_400000_NS6detail17trampoline_kernelINS0_14default_configENS1_35adjacent_difference_config_selectorILb1ElEEZNS1_24adjacent_difference_implIS3_Lb1ELb0EPlS7_ZN2at6native12_GLOBAL__N_124unique_dim_cuda_templateItEESt5tupleIJNS8_6TensorESD_SD_EERKSD_lbbbEUlllE1_EE10hipError_tPvRmT2_T3_mT4_P12ihipStream_tbEUlT_E_NS1_11comp_targetILNS1_3genE8ELNS1_11target_archE1030ELNS1_3gpuE2ELNS1_3repE0EEENS1_30default_config_static_selectorELNS0_4arch9wavefront6targetE0EEEvT1_.uses_flat_scratch, 0
	.set _ZN7rocprim17ROCPRIM_400000_NS6detail17trampoline_kernelINS0_14default_configENS1_35adjacent_difference_config_selectorILb1ElEEZNS1_24adjacent_difference_implIS3_Lb1ELb0EPlS7_ZN2at6native12_GLOBAL__N_124unique_dim_cuda_templateItEESt5tupleIJNS8_6TensorESD_SD_EERKSD_lbbbEUlllE1_EE10hipError_tPvRmT2_T3_mT4_P12ihipStream_tbEUlT_E_NS1_11comp_targetILNS1_3genE8ELNS1_11target_archE1030ELNS1_3gpuE2ELNS1_3repE0EEENS1_30default_config_static_selectorELNS0_4arch9wavefront6targetE0EEEvT1_.has_dyn_sized_stack, 0
	.set _ZN7rocprim17ROCPRIM_400000_NS6detail17trampoline_kernelINS0_14default_configENS1_35adjacent_difference_config_selectorILb1ElEEZNS1_24adjacent_difference_implIS3_Lb1ELb0EPlS7_ZN2at6native12_GLOBAL__N_124unique_dim_cuda_templateItEESt5tupleIJNS8_6TensorESD_SD_EERKSD_lbbbEUlllE1_EE10hipError_tPvRmT2_T3_mT4_P12ihipStream_tbEUlT_E_NS1_11comp_targetILNS1_3genE8ELNS1_11target_archE1030ELNS1_3gpuE2ELNS1_3repE0EEENS1_30default_config_static_selectorELNS0_4arch9wavefront6targetE0EEEvT1_.has_recursion, 0
	.set _ZN7rocprim17ROCPRIM_400000_NS6detail17trampoline_kernelINS0_14default_configENS1_35adjacent_difference_config_selectorILb1ElEEZNS1_24adjacent_difference_implIS3_Lb1ELb0EPlS7_ZN2at6native12_GLOBAL__N_124unique_dim_cuda_templateItEESt5tupleIJNS8_6TensorESD_SD_EERKSD_lbbbEUlllE1_EE10hipError_tPvRmT2_T3_mT4_P12ihipStream_tbEUlT_E_NS1_11comp_targetILNS1_3genE8ELNS1_11target_archE1030ELNS1_3gpuE2ELNS1_3repE0EEENS1_30default_config_static_selectorELNS0_4arch9wavefront6targetE0EEEvT1_.has_indirect_call, 0
	.section	.AMDGPU.csdata,"",@progbits
; Kernel info:
; codeLenInByte = 0
; TotalNumSgprs: 0
; NumVgprs: 0
; ScratchSize: 0
; MemoryBound: 0
; FloatMode: 240
; IeeeMode: 1
; LDSByteSize: 0 bytes/workgroup (compile time only)
; SGPRBlocks: 0
; VGPRBlocks: 0
; NumSGPRsForWavesPerEU: 1
; NumVGPRsForWavesPerEU: 1
; NamedBarCnt: 0
; Occupancy: 16
; WaveLimiterHint : 0
; COMPUTE_PGM_RSRC2:SCRATCH_EN: 0
; COMPUTE_PGM_RSRC2:USER_SGPR: 2
; COMPUTE_PGM_RSRC2:TRAP_HANDLER: 0
; COMPUTE_PGM_RSRC2:TGID_X_EN: 1
; COMPUTE_PGM_RSRC2:TGID_Y_EN: 0
; COMPUTE_PGM_RSRC2:TGID_Z_EN: 0
; COMPUTE_PGM_RSRC2:TIDIG_COMP_CNT: 0
	.section	.text._ZN7rocprim17ROCPRIM_400000_NS6detail17trampoline_kernelINS0_14default_configENS1_25partition_config_selectorILNS1_17partition_subalgoE8ElNS0_10empty_typeEbEEZZNS1_14partition_implILS5_8ELb0ES3_jPlPS6_PKS6_NS0_5tupleIJS9_S6_EEENSD_IJSA_SA_EEENS0_18inequality_wrapperIZN2at6native12_GLOBAL__N_124unique_dim_cuda_templateItEESt5tupleIJNSH_6TensorESM_SM_EERKSM_lbbbEUlllE0_EEPmJS6_EEE10hipError_tPvRmT3_T4_T5_T6_T7_T9_mT8_P12ihipStream_tbDpT10_ENKUlT_T0_E_clISt17integral_constantIbLb0EES1C_EEDaS17_S18_EUlS17_E_NS1_11comp_targetILNS1_3genE0ELNS1_11target_archE4294967295ELNS1_3gpuE0ELNS1_3repE0EEENS1_30default_config_static_selectorELNS0_4arch9wavefront6targetE0EEEvT1_,"axG",@progbits,_ZN7rocprim17ROCPRIM_400000_NS6detail17trampoline_kernelINS0_14default_configENS1_25partition_config_selectorILNS1_17partition_subalgoE8ElNS0_10empty_typeEbEEZZNS1_14partition_implILS5_8ELb0ES3_jPlPS6_PKS6_NS0_5tupleIJS9_S6_EEENSD_IJSA_SA_EEENS0_18inequality_wrapperIZN2at6native12_GLOBAL__N_124unique_dim_cuda_templateItEESt5tupleIJNSH_6TensorESM_SM_EERKSM_lbbbEUlllE0_EEPmJS6_EEE10hipError_tPvRmT3_T4_T5_T6_T7_T9_mT8_P12ihipStream_tbDpT10_ENKUlT_T0_E_clISt17integral_constantIbLb0EES1C_EEDaS17_S18_EUlS17_E_NS1_11comp_targetILNS1_3genE0ELNS1_11target_archE4294967295ELNS1_3gpuE0ELNS1_3repE0EEENS1_30default_config_static_selectorELNS0_4arch9wavefront6targetE0EEEvT1_,comdat
	.globl	_ZN7rocprim17ROCPRIM_400000_NS6detail17trampoline_kernelINS0_14default_configENS1_25partition_config_selectorILNS1_17partition_subalgoE8ElNS0_10empty_typeEbEEZZNS1_14partition_implILS5_8ELb0ES3_jPlPS6_PKS6_NS0_5tupleIJS9_S6_EEENSD_IJSA_SA_EEENS0_18inequality_wrapperIZN2at6native12_GLOBAL__N_124unique_dim_cuda_templateItEESt5tupleIJNSH_6TensorESM_SM_EERKSM_lbbbEUlllE0_EEPmJS6_EEE10hipError_tPvRmT3_T4_T5_T6_T7_T9_mT8_P12ihipStream_tbDpT10_ENKUlT_T0_E_clISt17integral_constantIbLb0EES1C_EEDaS17_S18_EUlS17_E_NS1_11comp_targetILNS1_3genE0ELNS1_11target_archE4294967295ELNS1_3gpuE0ELNS1_3repE0EEENS1_30default_config_static_selectorELNS0_4arch9wavefront6targetE0EEEvT1_ ; -- Begin function _ZN7rocprim17ROCPRIM_400000_NS6detail17trampoline_kernelINS0_14default_configENS1_25partition_config_selectorILNS1_17partition_subalgoE8ElNS0_10empty_typeEbEEZZNS1_14partition_implILS5_8ELb0ES3_jPlPS6_PKS6_NS0_5tupleIJS9_S6_EEENSD_IJSA_SA_EEENS0_18inequality_wrapperIZN2at6native12_GLOBAL__N_124unique_dim_cuda_templateItEESt5tupleIJNSH_6TensorESM_SM_EERKSM_lbbbEUlllE0_EEPmJS6_EEE10hipError_tPvRmT3_T4_T5_T6_T7_T9_mT8_P12ihipStream_tbDpT10_ENKUlT_T0_E_clISt17integral_constantIbLb0EES1C_EEDaS17_S18_EUlS17_E_NS1_11comp_targetILNS1_3genE0ELNS1_11target_archE4294967295ELNS1_3gpuE0ELNS1_3repE0EEENS1_30default_config_static_selectorELNS0_4arch9wavefront6targetE0EEEvT1_
	.p2align	8
	.type	_ZN7rocprim17ROCPRIM_400000_NS6detail17trampoline_kernelINS0_14default_configENS1_25partition_config_selectorILNS1_17partition_subalgoE8ElNS0_10empty_typeEbEEZZNS1_14partition_implILS5_8ELb0ES3_jPlPS6_PKS6_NS0_5tupleIJS9_S6_EEENSD_IJSA_SA_EEENS0_18inequality_wrapperIZN2at6native12_GLOBAL__N_124unique_dim_cuda_templateItEESt5tupleIJNSH_6TensorESM_SM_EERKSM_lbbbEUlllE0_EEPmJS6_EEE10hipError_tPvRmT3_T4_T5_T6_T7_T9_mT8_P12ihipStream_tbDpT10_ENKUlT_T0_E_clISt17integral_constantIbLb0EES1C_EEDaS17_S18_EUlS17_E_NS1_11comp_targetILNS1_3genE0ELNS1_11target_archE4294967295ELNS1_3gpuE0ELNS1_3repE0EEENS1_30default_config_static_selectorELNS0_4arch9wavefront6targetE0EEEvT1_,@function
_ZN7rocprim17ROCPRIM_400000_NS6detail17trampoline_kernelINS0_14default_configENS1_25partition_config_selectorILNS1_17partition_subalgoE8ElNS0_10empty_typeEbEEZZNS1_14partition_implILS5_8ELb0ES3_jPlPS6_PKS6_NS0_5tupleIJS9_S6_EEENSD_IJSA_SA_EEENS0_18inequality_wrapperIZN2at6native12_GLOBAL__N_124unique_dim_cuda_templateItEESt5tupleIJNSH_6TensorESM_SM_EERKSM_lbbbEUlllE0_EEPmJS6_EEE10hipError_tPvRmT3_T4_T5_T6_T7_T9_mT8_P12ihipStream_tbDpT10_ENKUlT_T0_E_clISt17integral_constantIbLb0EES1C_EEDaS17_S18_EUlS17_E_NS1_11comp_targetILNS1_3genE0ELNS1_11target_archE4294967295ELNS1_3gpuE0ELNS1_3repE0EEENS1_30default_config_static_selectorELNS0_4arch9wavefront6targetE0EEEvT1_: ; @_ZN7rocprim17ROCPRIM_400000_NS6detail17trampoline_kernelINS0_14default_configENS1_25partition_config_selectorILNS1_17partition_subalgoE8ElNS0_10empty_typeEbEEZZNS1_14partition_implILS5_8ELb0ES3_jPlPS6_PKS6_NS0_5tupleIJS9_S6_EEENSD_IJSA_SA_EEENS0_18inequality_wrapperIZN2at6native12_GLOBAL__N_124unique_dim_cuda_templateItEESt5tupleIJNSH_6TensorESM_SM_EERKSM_lbbbEUlllE0_EEPmJS6_EEE10hipError_tPvRmT3_T4_T5_T6_T7_T9_mT8_P12ihipStream_tbDpT10_ENKUlT_T0_E_clISt17integral_constantIbLb0EES1C_EEDaS17_S18_EUlS17_E_NS1_11comp_targetILNS1_3genE0ELNS1_11target_archE4294967295ELNS1_3gpuE0ELNS1_3repE0EEENS1_30default_config_static_selectorELNS0_4arch9wavefront6targetE0EEEvT1_
; %bb.0:
	s_clause 0x3
	s_load_b128 s[4:7], s[0:1], 0x8
	s_load_b256 s[12:19], s[0:1], 0x40
	s_load_b32 s24, s[0:1], 0x70
	s_load_b128 s[8:11], s[0:1], 0x60
	s_bfe_u32 s20, ttmp6, 0x4000c
	s_and_b32 s2, ttmp6, 15
	s_add_co_i32 s20, s20, 1
	s_mov_b32 s3, 0
	s_mul_i32 s20, ttmp9, s20
	s_getreg_b32 s22, hwreg(HW_REG_IB_STS2, 6, 4)
	s_add_co_i32 s20, s2, s20
	s_mov_b32 s25, s3
	v_dual_mov_b32 v1, v0 :: v_dual_lshlrev_b32 v18, 3, v0
	s_mov_b32 s21, -1
	s_wait_kmcnt 0x0
	s_lshl_b64 s[26:27], s[6:7], 3
	s_load_b64 s[14:15], s[14:15], 0x0
	s_mul_i32 s2, s24, 0xe00
	s_cmp_eq_u32 s22, 0
	s_add_nc_u64 s[22:23], s[6:7], s[2:3]
	s_cselect_b32 s20, ttmp9, s20
	s_add_co_i32 s2, s2, s6
	v_cmp_le_u64_e64 s17, s[16:17], s[22:23]
	s_add_co_i32 s24, s24, -1
	s_sub_co_i32 s23, s16, s2
	s_cmp_eq_u32 s20, s24
	s_mul_i32 s24, s20, 0xe00
	s_cselect_b32 s16, -1, 0
	s_add_nc_u64 s[2:3], s[4:5], s[26:27]
	s_and_b32 s22, s16, s17
	s_lshl_b64 s[4:5], s[24:25], 3
	s_xor_b32 s17, s22, -1
	s_add_nc_u64 s[2:3], s[2:3], s[4:5]
	s_and_b32 vcc_lo, exec_lo, s17
	s_cbranch_vccz .LBB1419_2
; %bb.1:
	s_clause 0x6
	global_load_b64 v[2:3], v0, s[2:3] scale_offset
	global_load_b64 v[4:5], v0, s[2:3] offset:4096 scale_offset
	global_load_b64 v[6:7], v0, s[2:3] offset:8192 scale_offset
	;; [unrolled: 1-line block ×6, first 2 shown]
	v_lshlrev_b32_e32 v16, 3, v0
	s_mov_b32 s21, 0
	s_wait_loadcnt 0x5
	ds_store_2addr_stride64_b64 v16, v[2:3], v[4:5] offset1:8
	s_wait_loadcnt 0x3
	ds_store_2addr_stride64_b64 v16, v[6:7], v[8:9] offset0:16 offset1:24
	s_wait_loadcnt 0x1
	ds_store_2addr_stride64_b64 v16, v[10:11], v[12:13] offset0:32 offset1:40
	s_wait_loadcnt 0x0
	ds_store_b64 v16, v[14:15] offset:24576
	s_wait_dscnt 0x0
	s_barrier_signal -1
	s_barrier_wait -1
.LBB1419_2:
	s_and_not1_b32 vcc_lo, exec_lo, s21
	s_add_co_i32 s21, s23, 0xe00
	s_cbranch_vccnz .LBB1419_18
; %bb.3:
	v_mov_b32_e32 v2, 0
	s_mov_b32 s4, exec_lo
	s_delay_alu instid0(VALU_DEP_1)
	v_dual_mov_b32 v3, v2 :: v_dual_mov_b32 v4, v2
	v_dual_mov_b32 v5, v2 :: v_dual_mov_b32 v6, v2
	;; [unrolled: 1-line block ×6, first 2 shown]
	v_mov_b32_e32 v15, v2
	v_cmpx_gt_u32_e64 s21, v0
	s_cbranch_execz .LBB1419_5
; %bb.4:
	global_load_b64 v[4:5], v0, s[2:3] scale_offset
	v_dual_mov_b32 v6, v2 :: v_dual_mov_b32 v7, v2
	v_dual_mov_b32 v8, v2 :: v_dual_mov_b32 v9, v2
	;; [unrolled: 1-line block ×6, first 2 shown]
	s_wait_loadcnt 0x0
	v_mov_b64_e32 v[2:3], v[4:5]
	v_mov_b64_e32 v[4:5], v[6:7]
	;; [unrolled: 1-line block ×8, first 2 shown]
.LBB1419_5:
	s_or_b32 exec_lo, exec_lo, s4
	v_or_b32_e32 v16, 0x200, v0
	s_mov_b32 s4, exec_lo
	s_delay_alu instid0(VALU_DEP_1)
	v_cmpx_gt_u32_e64 s21, v16
	s_cbranch_execz .LBB1419_7
; %bb.6:
	global_load_b64 v[4:5], v0, s[2:3] offset:4096 scale_offset
.LBB1419_7:
	s_wait_xcnt 0x0
	s_or_b32 exec_lo, exec_lo, s4
	v_or_b32_e32 v16, 0x400, v0
	s_mov_b32 s4, exec_lo
	s_delay_alu instid0(VALU_DEP_1)
	v_cmpx_gt_u32_e64 s21, v16
	s_cbranch_execz .LBB1419_9
; %bb.8:
	global_load_b64 v[6:7], v0, s[2:3] offset:8192 scale_offset
.LBB1419_9:
	s_wait_xcnt 0x0
	s_or_b32 exec_lo, exec_lo, s4
	v_or_b32_e32 v16, 0x600, v0
	s_mov_b32 s4, exec_lo
	s_delay_alu instid0(VALU_DEP_1)
	v_cmpx_gt_u32_e64 s21, v16
	s_cbranch_execz .LBB1419_11
; %bb.10:
	global_load_b64 v[8:9], v0, s[2:3] offset:12288 scale_offset
.LBB1419_11:
	s_wait_xcnt 0x0
	s_or_b32 exec_lo, exec_lo, s4
	v_or_b32_e32 v16, 0x800, v0
	s_mov_b32 s4, exec_lo
	s_delay_alu instid0(VALU_DEP_1)
	v_cmpx_gt_u32_e64 s21, v16
	s_cbranch_execz .LBB1419_13
; %bb.12:
	global_load_b64 v[10:11], v0, s[2:3] offset:16384 scale_offset
.LBB1419_13:
	s_wait_xcnt 0x0
	s_or_b32 exec_lo, exec_lo, s4
	v_or_b32_e32 v16, 0xa00, v0
	s_mov_b32 s4, exec_lo
	s_delay_alu instid0(VALU_DEP_1)
	v_cmpx_gt_u32_e64 s21, v16
	s_cbranch_execz .LBB1419_15
; %bb.14:
	global_load_b64 v[12:13], v0, s[2:3] offset:20480 scale_offset
.LBB1419_15:
	s_wait_xcnt 0x0
	s_or_b32 exec_lo, exec_lo, s4
	v_or_b32_e32 v16, 0xc00, v0
	s_mov_b32 s4, exec_lo
	s_delay_alu instid0(VALU_DEP_1)
	v_cmpx_gt_u32_e64 s21, v16
	s_cbranch_execz .LBB1419_17
; %bb.16:
	global_load_b64 v[14:15], v0, s[2:3] offset:24576 scale_offset
.LBB1419_17:
	s_wait_xcnt 0x0
	s_or_b32 exec_lo, exec_lo, s4
	v_lshlrev_b32_e32 v16, 3, v0
	s_wait_loadcnt 0x0
	ds_store_2addr_stride64_b64 v16, v[2:3], v[4:5] offset1:8
	ds_store_2addr_stride64_b64 v16, v[6:7], v[8:9] offset0:16 offset1:24
	ds_store_2addr_stride64_b64 v16, v[10:11], v[12:13] offset0:32 offset1:40
	ds_store_b64 v16, v[14:15] offset:24576
	s_wait_dscnt 0x0
	s_barrier_signal -1
	s_barrier_wait -1
.LBB1419_18:
	v_mul_u32_u24_e32 v19, 7, v0
	s_cmp_lg_u32 s20, 0
	v_cmp_gt_i64_e64 s24, s[18:19], 0
	s_cselect_b32 s23, -1, 0
	v_lshlrev_b32_e32 v24, 3, v19
	s_cmp_lg_u64 s[6:7], 0
	s_mov_b32 s6, 0
	s_cselect_b32 s4, -1, 0
	ds_load_2addr_b64 v[10:13], v24 offset1:1
	ds_load_2addr_b64 v[6:9], v24 offset0:2 offset1:3
	ds_load_2addr_b64 v[2:5], v24 offset0:4 offset1:5
	ds_load_b64 v[14:15], v24 offset:48
	s_or_b32 s4, s23, s4
	s_wait_dscnt 0x0
	s_and_b32 vcc_lo, exec_lo, s4
	s_barrier_signal -1
	s_barrier_wait -1
	s_cbranch_vccz .LBB1419_34
; %bb.19:
	s_add_nc_u64 s[2:3], s[2:3], -8
	v_cndmask_b32_e64 v25, 0, 1, s24
	s_load_b64 s[4:5], s[2:3], 0x0
	v_lshlrev_b32_e32 v26, 3, v0
	s_and_b32 vcc_lo, exec_lo, s17
	s_wait_xcnt 0x0
	v_cmp_ne_u32_e64 s2, 1, v25
	ds_store_b64 v26, v[14:15]
	s_cbranch_vccz .LBB1419_36
; %bb.20:
	s_and_b32 vcc_lo, exec_lo, s2
	s_cbranch_vccnz .LBB1419_37
; %bb.21:
	v_mul_u64_e32 v[16:17], s[18:19], v[4:5]
	v_mul_u64_e32 v[20:21], s[18:19], v[14:15]
	s_add_nc_u64 s[6:7], s[18:19], -1
	s_mov_b32 s26, 0
	s_mov_b64 s[2:3], s[6:7]
                                        ; implicit-def: $sgpr25
	s_delay_alu instid0(VALU_DEP_2) | instskip(NEXT) | instid1(VALU_DEP_2)
	v_lshl_add_u64 v[16:17], v[16:17], 1, s[8:9]
	v_lshl_add_u64 v[20:21], v[20:21], 1, s[8:9]
	s_delay_alu instid0(VALU_DEP_2)
	v_mov_b64_e32 v[22:23], v[16:17]
.LBB1419_22:                            ; =>This Inner Loop Header: Depth=1
	global_load_u16 v27, v[22:23], off
	global_load_u16 v28, v[20:21], off
	s_cmp_eq_u64 s[2:3], 0
	s_add_nc_u64 s[28:29], s[2:3], -1
	s_cselect_b32 s3, -1, 0
	s_wait_xcnt 0x1
	v_add_nc_u64_e32 v[22:23], 2, v[22:23]
	s_wait_xcnt 0x0
	v_add_nc_u64_e32 v[20:21], 2, v[20:21]
	s_wait_loadcnt 0x0
	v_cmp_ne_u16_e32 vcc_lo, v27, v28
	v_cmp_eq_u16_e64 s2, v27, v28
	s_or_b32 s3, vcc_lo, s3
	s_delay_alu instid0(SALU_CYCLE_1) | instskip(NEXT) | instid1(SALU_CYCLE_1)
	s_and_b32 s3, exec_lo, s3
	s_or_b32 s26, s3, s26
	s_and_not1_b32 s25, s25, exec_lo
	s_and_b32 s27, s2, exec_lo
	s_mov_b64 s[2:3], s[28:29]
	s_or_b32 s25, s25, s27
	s_and_not1_b32 exec_lo, exec_lo, s26
	s_cbranch_execnz .LBB1419_22
; %bb.23:
	s_or_b32 exec_lo, exec_lo, s26
	v_mul_u64_e32 v[20:21], s[18:19], v[2:3]
	s_mov_b32 s27, 0
	s_mov_b64 s[2:3], s[6:7]
                                        ; implicit-def: $sgpr26
	s_delay_alu instid0(VALU_DEP_1) | instskip(NEXT) | instid1(VALU_DEP_1)
	v_lshl_add_u64 v[20:21], v[20:21], 1, s[8:9]
	v_mov_b64_e32 v[22:23], v[20:21]
.LBB1419_24:                            ; =>This Inner Loop Header: Depth=1
	global_load_u16 v27, v[22:23], off
	global_load_u16 v28, v[16:17], off
	s_cmp_eq_u64 s[2:3], 0
	s_add_nc_u64 s[28:29], s[2:3], -1
	s_cselect_b32 s3, -1, 0
	s_wait_xcnt 0x1
	v_add_nc_u64_e32 v[22:23], 2, v[22:23]
	s_wait_xcnt 0x0
	v_add_nc_u64_e32 v[16:17], 2, v[16:17]
	s_wait_loadcnt 0x0
	v_cmp_ne_u16_e32 vcc_lo, v27, v28
	v_cmp_eq_u16_e64 s2, v27, v28
	s_or_b32 s3, vcc_lo, s3
	s_delay_alu instid0(SALU_CYCLE_1) | instskip(NEXT) | instid1(SALU_CYCLE_1)
	s_and_b32 s3, exec_lo, s3
	s_or_b32 s27, s3, s27
	s_and_not1_b32 s26, s26, exec_lo
	s_and_b32 s30, s2, exec_lo
	s_mov_b64 s[2:3], s[28:29]
	s_or_b32 s26, s26, s30
	s_and_not1_b32 exec_lo, exec_lo, s27
	s_cbranch_execnz .LBB1419_24
; %bb.25:
	s_or_b32 exec_lo, exec_lo, s27
	v_mul_u64_e32 v[16:17], s[18:19], v[8:9]
	s_mov_b32 s28, 0
	s_mov_b64 s[2:3], s[6:7]
                                        ; implicit-def: $sgpr27
	s_delay_alu instid0(VALU_DEP_1) | instskip(NEXT) | instid1(VALU_DEP_1)
	v_lshl_add_u64 v[16:17], v[16:17], 1, s[8:9]
	v_mov_b64_e32 v[22:23], v[16:17]
.LBB1419_26:                            ; =>This Inner Loop Header: Depth=1
	global_load_u16 v27, v[22:23], off
	global_load_u16 v28, v[20:21], off
	s_cmp_eq_u64 s[2:3], 0
	s_add_nc_u64 s[30:31], s[2:3], -1
	s_cselect_b32 s3, -1, 0
	s_wait_xcnt 0x1
	v_add_nc_u64_e32 v[22:23], 2, v[22:23]
	s_wait_xcnt 0x0
	v_add_nc_u64_e32 v[20:21], 2, v[20:21]
	s_wait_loadcnt 0x0
	v_cmp_ne_u16_e32 vcc_lo, v27, v28
	v_cmp_eq_u16_e64 s2, v27, v28
	s_or_b32 s3, vcc_lo, s3
	s_delay_alu instid0(SALU_CYCLE_1) | instskip(NEXT) | instid1(SALU_CYCLE_1)
	s_and_b32 s3, exec_lo, s3
	s_or_b32 s28, s3, s28
	s_and_not1_b32 s27, s27, exec_lo
	s_and_b32 s29, s2, exec_lo
	s_mov_b64 s[2:3], s[30:31]
	s_or_b32 s27, s27, s29
	s_and_not1_b32 exec_lo, exec_lo, s28
	s_cbranch_execnz .LBB1419_26
; %bb.27:
	s_or_b32 exec_lo, exec_lo, s28
	v_mul_u64_e32 v[20:21], s[18:19], v[6:7]
	s_mov_b32 s29, 0
	s_mov_b64 s[2:3], s[6:7]
                                        ; implicit-def: $sgpr28
	s_delay_alu instid0(VALU_DEP_1) | instskip(NEXT) | instid1(VALU_DEP_1)
	v_lshl_add_u64 v[20:21], v[20:21], 1, s[8:9]
	v_mov_b64_e32 v[22:23], v[20:21]
.LBB1419_28:                            ; =>This Inner Loop Header: Depth=1
	global_load_u16 v27, v[22:23], off
	global_load_u16 v28, v[16:17], off
	s_cmp_eq_u64 s[2:3], 0
	s_add_nc_u64 s[30:31], s[2:3], -1
	s_cselect_b32 s3, -1, 0
	s_wait_xcnt 0x1
	v_add_nc_u64_e32 v[22:23], 2, v[22:23]
	s_wait_xcnt 0x0
	v_add_nc_u64_e32 v[16:17], 2, v[16:17]
	s_wait_loadcnt 0x0
	v_cmp_ne_u16_e32 vcc_lo, v27, v28
	v_cmp_eq_u16_e64 s2, v27, v28
	s_or_b32 s3, vcc_lo, s3
	s_delay_alu instid0(SALU_CYCLE_1) | instskip(NEXT) | instid1(SALU_CYCLE_1)
	s_and_b32 s3, exec_lo, s3
	s_or_b32 s29, s3, s29
	s_and_not1_b32 s28, s28, exec_lo
	s_and_b32 s33, s2, exec_lo
	s_mov_b64 s[2:3], s[30:31]
	s_or_b32 s28, s28, s33
	s_and_not1_b32 exec_lo, exec_lo, s29
	s_cbranch_execnz .LBB1419_28
; %bb.29:
	s_or_b32 exec_lo, exec_lo, s29
	v_mul_u64_e32 v[16:17], s[18:19], v[12:13]
	s_mov_b32 s30, 0
	s_mov_b64 s[2:3], s[6:7]
                                        ; implicit-def: $sgpr29
	s_delay_alu instid0(VALU_DEP_1) | instskip(NEXT) | instid1(VALU_DEP_1)
	v_lshl_add_u64 v[16:17], v[16:17], 1, s[8:9]
	v_mov_b64_e32 v[22:23], v[16:17]
.LBB1419_30:                            ; =>This Inner Loop Header: Depth=1
	global_load_u16 v27, v[22:23], off
	global_load_u16 v28, v[20:21], off
	s_cmp_eq_u64 s[2:3], 0
	s_add_nc_u64 s[34:35], s[2:3], -1
	s_cselect_b32 s3, -1, 0
	s_wait_xcnt 0x1
	v_add_nc_u64_e32 v[22:23], 2, v[22:23]
	s_wait_xcnt 0x0
	v_add_nc_u64_e32 v[20:21], 2, v[20:21]
	s_wait_loadcnt 0x0
	v_cmp_ne_u16_e32 vcc_lo, v27, v28
	v_cmp_eq_u16_e64 s2, v27, v28
	s_or_b32 s3, vcc_lo, s3
	s_delay_alu instid0(SALU_CYCLE_1) | instskip(NEXT) | instid1(SALU_CYCLE_1)
	s_and_b32 s3, exec_lo, s3
	s_or_b32 s30, s3, s30
	s_and_not1_b32 s29, s29, exec_lo
	s_and_b32 s31, s2, exec_lo
	s_mov_b64 s[2:3], s[34:35]
	s_or_b32 s29, s29, s31
	s_and_not1_b32 exec_lo, exec_lo, s30
	s_cbranch_execnz .LBB1419_30
; %bb.31:
	s_or_b32 exec_lo, exec_lo, s30
	v_mul_u64_e32 v[20:21], s[18:19], v[10:11]
	s_mov_b32 s30, 0
                                        ; implicit-def: $sgpr3
	s_delay_alu instid0(VALU_DEP_1)
	v_lshl_add_u64 v[20:21], v[20:21], 1, s[8:9]
.LBB1419_32:                            ; =>This Inner Loop Header: Depth=1
	global_load_u16 v22, v[20:21], off
	global_load_u16 v23, v[16:17], off
	s_cmp_eq_u64 s[6:7], 0
	s_add_nc_u64 s[34:35], s[6:7], -1
	s_cselect_b32 s6, -1, 0
	s_wait_xcnt 0x1
	v_add_nc_u64_e32 v[20:21], 2, v[20:21]
	s_wait_xcnt 0x0
	v_add_nc_u64_e32 v[16:17], 2, v[16:17]
	s_wait_loadcnt 0x0
	v_cmp_ne_u16_e32 vcc_lo, v22, v23
	v_cmp_eq_u16_e64 s2, v22, v23
	s_or_b32 s6, vcc_lo, s6
	s_delay_alu instid0(SALU_CYCLE_1) | instskip(NEXT) | instid1(SALU_CYCLE_1)
	s_and_b32 s6, exec_lo, s6
	s_or_b32 s30, s6, s30
	s_and_not1_b32 s3, s3, exec_lo
	s_and_b32 s2, s2, exec_lo
	s_mov_b64 s[6:7], s[34:35]
	s_or_b32 s3, s3, s2
	s_and_not1_b32 exec_lo, exec_lo, s30
	s_cbranch_execnz .LBB1419_32
; %bb.33:
	s_or_b32 exec_lo, exec_lo, s30
	s_xor_b32 s2, s28, -1
	s_xor_b32 s3, s3, -1
	v_cndmask_b32_e64 v16, 0, 1, s2
	s_xor_b32 s2, s29, -1
	s_delay_alu instid0(SALU_CYCLE_1) | instskip(SKIP_1) | instid1(VALU_DEP_2)
	v_cndmask_b32_e64 v17, 0, 1, s2
	s_xor_b32 s2, s26, -1
	v_lshlrev_b16 v16, 8, v16
	v_cndmask_b32_e64 v31, 0, 1, s2
	s_xor_b32 s2, s25, -1
	s_delay_alu instid0(SALU_CYCLE_1) | instskip(NEXT) | instid1(VALU_DEP_3)
	v_cndmask_b32_e64 v30, 0, 1, s2
	v_lshrrev_b32_e32 v16, 8, v16
	s_xor_b32 s2, s27, -1
	s_delay_alu instid0(VALU_DEP_1) | instskip(NEXT) | instid1(VALU_DEP_1)
	v_and_b32_e32 v16, 1, v16
	v_lshlrev_b16 v16, 8, v16
	s_delay_alu instid0(VALU_DEP_1) | instskip(SKIP_1) | instid1(VALU_DEP_2)
	v_or_b32_e32 v16, v17, v16
	v_cndmask_b32_e64 v17, 0, 1, s2
	v_lshlrev_b32_e32 v16, 16, v16
	s_branch .LBB1419_38
.LBB1419_34:
                                        ; implicit-def: $sgpr2
                                        ; implicit-def: $vgpr30
                                        ; implicit-def: $vgpr31
                                        ; implicit-def: $vgpr17
                                        ; implicit-def: $vgpr21
	s_branch .LBB1419_91
.LBB1419_35:
                                        ; implicit-def: $vgpr33
                                        ; implicit-def: $vgpr32
                                        ; implicit-def: $vgpr20
	s_branch .LBB1419_160
.LBB1419_36:
                                        ; implicit-def: $sgpr2
                                        ; implicit-def: $vgpr30
                                        ; implicit-def: $vgpr31
                                        ; implicit-def: $vgpr17
                                        ; implicit-def: $vgpr21
	s_cbranch_execnz .LBB1419_45
	s_branch .LBB1419_90
.LBB1419_37:
	v_dual_mov_b32 v16, 0 :: v_dual_mov_b32 v30, 0
	v_dual_mov_b32 v31, 0 :: v_dual_mov_b32 v17, 0
	s_mov_b32 s3, 0
.LBB1419_38:
	s_wait_kmcnt 0x0
	v_mov_b64_e32 v[20:21], s[4:5]
	s_mov_b32 s2, 0
	s_mov_b32 s6, exec_lo
	s_wait_dscnt 0x0
	s_barrier_signal -1
	s_barrier_wait -1
	v_cmpx_ne_u32_e32 0, v0
; %bb.39:
	v_add_nc_u32_e32 v20, -8, v26
	ds_load_b64 v[20:21], v20
; %bb.40:
	s_or_b32 exec_lo, exec_lo, s6
	v_cndmask_b32_e64 v22, 0, 1, s3
	v_lshrrev_b32_e32 v23, 16, v16
	s_and_not1_b32 vcc_lo, exec_lo, s24
	s_delay_alu instid0(VALU_DEP_2) | instskip(NEXT) | instid1(VALU_DEP_1)
	v_lshlrev_b16 v22, 8, v22
	v_bitop3_b16 v22, v16, v22, 0xff bitop3:0xec
	s_delay_alu instid0(VALU_DEP_3) | instskip(NEXT) | instid1(VALU_DEP_2)
	v_perm_b32 v16, v23, v16, 0xc0c0304
	v_and_b32_e32 v27, 0xffff, v22
	s_cbranch_vccnz .LBB1419_44
; %bb.41:
	s_wait_dscnt 0x0
	v_mul_u64_e32 v[20:21], s[18:19], v[20:21]
	v_mul_u64_e32 v[22:23], s[18:19], v[10:11]
	s_add_nc_u64 s[2:3], s[18:19], -1
	s_mov_b32 s6, 0
                                        ; implicit-def: $sgpr7
	s_delay_alu instid0(VALU_DEP_2) | instskip(NEXT) | instid1(VALU_DEP_2)
	v_lshl_add_u64 v[20:21], v[20:21], 1, s[8:9]
	v_lshl_add_u64 v[22:23], v[22:23], 1, s[8:9]
.LBB1419_42:                            ; =>This Inner Loop Header: Depth=1
	global_load_u16 v28, v[20:21], off
	global_load_u16 v29, v[22:23], off
	s_cmp_eq_u64 s[2:3], 0
	s_add_nc_u64 s[26:27], s[2:3], -1
	s_cselect_b32 s3, -1, 0
	s_wait_xcnt 0x1
	v_add_nc_u64_e32 v[20:21], 2, v[20:21]
	s_wait_xcnt 0x0
	v_add_nc_u64_e32 v[22:23], 2, v[22:23]
	s_wait_loadcnt 0x0
	v_cmp_ne_u16_e32 vcc_lo, v28, v29
	v_cmp_eq_u16_e64 s2, v28, v29
	s_or_b32 s3, vcc_lo, s3
	s_delay_alu instid0(SALU_CYCLE_1) | instskip(NEXT) | instid1(SALU_CYCLE_1)
	s_and_b32 s3, exec_lo, s3
	s_or_b32 s6, s3, s6
	s_and_not1_b32 s7, s7, exec_lo
	s_and_b32 s25, s2, exec_lo
	s_mov_b64 s[2:3], s[26:27]
	s_or_b32 s7, s7, s25
	s_and_not1_b32 exec_lo, exec_lo, s6
	s_cbranch_execnz .LBB1419_42
; %bb.43:
	s_or_b32 exec_lo, exec_lo, s6
	s_xor_b32 s2, s7, -1
.LBB1419_44:
	s_wait_dscnt 0x0
	s_delay_alu instid0(VALU_DEP_1)
	v_lshl_or_b32 v21, v16, 16, v27
	s_branch .LBB1419_90
.LBB1419_45:
	v_add_nc_u32_e32 v16, 6, v19
	s_mov_b32 s7, 0
	s_mov_b32 s6, 0
	s_mov_b32 s25, exec_lo
	s_delay_alu instid0(VALU_DEP_1)
	v_cmpx_gt_u32_e64 s21, v16
	s_cbranch_execz .LBB1419_51
; %bb.46:
	s_and_not1_b32 vcc_lo, exec_lo, s24
	s_mov_b32 s2, 0
	s_cbranch_vccnz .LBB1419_50
; %bb.47:
	v_mul_u64_e32 v[16:17], s[18:19], v[4:5]
	v_mul_u64_e32 v[20:21], s[18:19], v[14:15]
	s_add_nc_u64 s[2:3], s[18:19], -1
                                        ; implicit-def: $sgpr24
	s_delay_alu instid0(VALU_DEP_2) | instskip(NEXT) | instid1(VALU_DEP_2)
	v_lshl_add_u64 v[16:17], v[16:17], 1, s[8:9]
	v_lshl_add_u64 v[20:21], v[20:21], 1, s[8:9]
.LBB1419_48:                            ; =>This Inner Loop Header: Depth=1
	global_load_u16 v22, v[16:17], off
	global_load_u16 v23, v[20:21], off
	s_cmp_eq_u64 s[2:3], 0
	s_add_nc_u64 s[26:27], s[2:3], -1
	s_cselect_b32 s3, -1, 0
	s_wait_xcnt 0x1
	v_add_nc_u64_e32 v[16:17], 2, v[16:17]
	s_wait_xcnt 0x0
	v_add_nc_u64_e32 v[20:21], 2, v[20:21]
	s_wait_loadcnt 0x0
	v_cmp_ne_u16_e32 vcc_lo, v22, v23
	v_cmp_eq_u16_e64 s2, v22, v23
	s_or_b32 s3, vcc_lo, s3
	s_delay_alu instid0(SALU_CYCLE_1) | instskip(NEXT) | instid1(SALU_CYCLE_1)
	s_and_b32 s3, exec_lo, s3
	s_or_b32 s6, s3, s6
	s_and_not1_b32 s24, s24, exec_lo
	s_and_b32 s28, s2, exec_lo
	s_mov_b64 s[2:3], s[26:27]
	s_or_b32 s24, s24, s28
	s_and_not1_b32 exec_lo, exec_lo, s6
	s_cbranch_execnz .LBB1419_48
; %bb.49:
	s_or_b32 exec_lo, exec_lo, s6
	s_xor_b32 s2, s24, -1
.LBB1419_50:
	s_delay_alu instid0(SALU_CYCLE_1)
	s_and_b32 s6, s2, exec_lo
.LBB1419_51:
	s_or_b32 exec_lo, exec_lo, s25
	v_add_nc_u32_e32 v16, 5, v19
	s_mov_b32 s24, exec_lo
	s_delay_alu instid0(VALU_DEP_1)
	v_cmpx_gt_u32_e64 s21, v16
	s_cbranch_execz .LBB1419_57
; %bb.52:
	v_cmp_ne_u32_e32 vcc_lo, 1, v25
	s_mov_b32 s2, 0
	s_cbranch_vccnz .LBB1419_56
; %bb.53:
	v_mul_u64_e32 v[16:17], s[18:19], v[2:3]
	v_mul_u64_e32 v[20:21], s[18:19], v[4:5]
	s_add_nc_u64 s[2:3], s[18:19], -1
	s_mov_b32 s7, 0
                                        ; implicit-def: $sgpr25
	s_delay_alu instid0(VALU_DEP_2) | instskip(NEXT) | instid1(VALU_DEP_2)
	v_lshl_add_u64 v[16:17], v[16:17], 1, s[8:9]
	v_lshl_add_u64 v[20:21], v[20:21], 1, s[8:9]
.LBB1419_54:                            ; =>This Inner Loop Header: Depth=1
	global_load_u16 v22, v[16:17], off
	global_load_u16 v23, v[20:21], off
	s_cmp_eq_u64 s[2:3], 0
	s_add_nc_u64 s[26:27], s[2:3], -1
	s_cselect_b32 s3, -1, 0
	s_wait_xcnt 0x1
	v_add_nc_u64_e32 v[16:17], 2, v[16:17]
	s_wait_xcnt 0x0
	v_add_nc_u64_e32 v[20:21], 2, v[20:21]
	s_wait_loadcnt 0x0
	v_cmp_ne_u16_e32 vcc_lo, v22, v23
	v_cmp_eq_u16_e64 s2, v22, v23
	s_or_b32 s3, vcc_lo, s3
	s_delay_alu instid0(SALU_CYCLE_1) | instskip(NEXT) | instid1(SALU_CYCLE_1)
	s_and_b32 s3, exec_lo, s3
	s_or_b32 s7, s3, s7
	s_and_not1_b32 s25, s25, exec_lo
	s_and_b32 s28, s2, exec_lo
	s_mov_b64 s[2:3], s[26:27]
	s_or_b32 s25, s25, s28
	s_and_not1_b32 exec_lo, exec_lo, s7
	s_cbranch_execnz .LBB1419_54
; %bb.55:
	s_or_b32 exec_lo, exec_lo, s7
	s_xor_b32 s2, s25, -1
.LBB1419_56:
	s_delay_alu instid0(SALU_CYCLE_1)
	s_and_b32 s7, s2, exec_lo
.LBB1419_57:
	s_or_b32 exec_lo, exec_lo, s24
	v_add_nc_u32_e32 v16, 4, v19
	s_mov_b32 s25, 0
	s_mov_b32 s24, 0
	s_mov_b32 s26, exec_lo
	s_delay_alu instid0(VALU_DEP_1)
	v_cmpx_gt_u32_e64 s21, v16
	s_cbranch_execz .LBB1419_63
; %bb.58:
	v_cmp_ne_u32_e32 vcc_lo, 1, v25
	s_mov_b32 s2, 0
	s_cbranch_vccnz .LBB1419_62
; %bb.59:
	v_mul_u64_e32 v[16:17], s[18:19], v[8:9]
	v_mul_u64_e32 v[20:21], s[18:19], v[2:3]
	s_add_nc_u64 s[2:3], s[18:19], -1
                                        ; implicit-def: $sgpr27
	s_delay_alu instid0(VALU_DEP_2) | instskip(NEXT) | instid1(VALU_DEP_2)
	v_lshl_add_u64 v[16:17], v[16:17], 1, s[8:9]
	v_lshl_add_u64 v[20:21], v[20:21], 1, s[8:9]
.LBB1419_60:                            ; =>This Inner Loop Header: Depth=1
	global_load_u16 v22, v[16:17], off
	global_load_u16 v23, v[20:21], off
	s_cmp_eq_u64 s[2:3], 0
	s_add_nc_u64 s[28:29], s[2:3], -1
	s_cselect_b32 s3, -1, 0
	s_wait_xcnt 0x1
	v_add_nc_u64_e32 v[16:17], 2, v[16:17]
	s_wait_xcnt 0x0
	v_add_nc_u64_e32 v[20:21], 2, v[20:21]
	s_wait_loadcnt 0x0
	v_cmp_ne_u16_e32 vcc_lo, v22, v23
	v_cmp_eq_u16_e64 s2, v22, v23
	s_or_b32 s3, vcc_lo, s3
	s_delay_alu instid0(SALU_CYCLE_1) | instskip(NEXT) | instid1(SALU_CYCLE_1)
	s_and_b32 s3, exec_lo, s3
	s_or_b32 s24, s3, s24
	s_and_not1_b32 s27, s27, exec_lo
	s_and_b32 s30, s2, exec_lo
	s_mov_b64 s[2:3], s[28:29]
	s_or_b32 s27, s27, s30
	s_and_not1_b32 exec_lo, exec_lo, s24
	s_cbranch_execnz .LBB1419_60
; %bb.61:
	s_or_b32 exec_lo, exec_lo, s24
	s_xor_b32 s2, s27, -1
.LBB1419_62:
	s_delay_alu instid0(SALU_CYCLE_1)
	s_and_b32 s24, s2, exec_lo
.LBB1419_63:
	s_or_b32 exec_lo, exec_lo, s26
	v_add_nc_u32_e32 v16, 3, v19
	s_mov_b32 s26, exec_lo
	s_delay_alu instid0(VALU_DEP_1)
	v_cmpx_gt_u32_e64 s21, v16
	s_cbranch_execz .LBB1419_69
; %bb.64:
	v_cmp_ne_u32_e32 vcc_lo, 1, v25
	s_mov_b32 s2, 0
	s_cbranch_vccnz .LBB1419_68
; %bb.65:
	v_mul_u64_e32 v[16:17], s[18:19], v[6:7]
	v_mul_u64_e32 v[20:21], s[18:19], v[8:9]
	s_add_nc_u64 s[2:3], s[18:19], -1
	s_mov_b32 s25, 0
                                        ; implicit-def: $sgpr27
	s_delay_alu instid0(VALU_DEP_2) | instskip(NEXT) | instid1(VALU_DEP_2)
	v_lshl_add_u64 v[16:17], v[16:17], 1, s[8:9]
	v_lshl_add_u64 v[20:21], v[20:21], 1, s[8:9]
.LBB1419_66:                            ; =>This Inner Loop Header: Depth=1
	global_load_u16 v22, v[16:17], off
	global_load_u16 v23, v[20:21], off
	s_cmp_eq_u64 s[2:3], 0
	s_add_nc_u64 s[28:29], s[2:3], -1
	s_cselect_b32 s3, -1, 0
	s_wait_xcnt 0x1
	v_add_nc_u64_e32 v[16:17], 2, v[16:17]
	s_wait_xcnt 0x0
	v_add_nc_u64_e32 v[20:21], 2, v[20:21]
	s_wait_loadcnt 0x0
	v_cmp_ne_u16_e32 vcc_lo, v22, v23
	v_cmp_eq_u16_e64 s2, v22, v23
	s_or_b32 s3, vcc_lo, s3
	s_delay_alu instid0(SALU_CYCLE_1) | instskip(NEXT) | instid1(SALU_CYCLE_1)
	s_and_b32 s3, exec_lo, s3
	s_or_b32 s25, s3, s25
	s_and_not1_b32 s27, s27, exec_lo
	s_and_b32 s30, s2, exec_lo
	s_mov_b64 s[2:3], s[28:29]
	s_or_b32 s27, s27, s30
	s_and_not1_b32 exec_lo, exec_lo, s25
	s_cbranch_execnz .LBB1419_66
; %bb.67:
	s_or_b32 exec_lo, exec_lo, s25
	s_xor_b32 s2, s27, -1
.LBB1419_68:
	s_delay_alu instid0(SALU_CYCLE_1)
	s_and_b32 s25, s2, exec_lo
.LBB1419_69:
	s_or_b32 exec_lo, exec_lo, s26
	v_add_nc_u32_e32 v16, 2, v19
	s_mov_b32 s26, 0
	s_mov_b32 s27, 0
	s_mov_b32 s28, exec_lo
	s_delay_alu instid0(VALU_DEP_1)
	v_cmpx_gt_u32_e64 s21, v16
	s_cbranch_execz .LBB1419_75
; %bb.70:
	v_cmp_ne_u32_e32 vcc_lo, 1, v25
	s_mov_b32 s2, 0
	s_cbranch_vccnz .LBB1419_74
; %bb.71:
	v_mul_u64_e32 v[16:17], s[18:19], v[12:13]
	v_mul_u64_e32 v[20:21], s[18:19], v[6:7]
	s_add_nc_u64 s[2:3], s[18:19], -1
                                        ; implicit-def: $sgpr29
	s_delay_alu instid0(VALU_DEP_2) | instskip(NEXT) | instid1(VALU_DEP_2)
	v_lshl_add_u64 v[16:17], v[16:17], 1, s[8:9]
	v_lshl_add_u64 v[20:21], v[20:21], 1, s[8:9]
.LBB1419_72:                            ; =>This Inner Loop Header: Depth=1
	global_load_u16 v22, v[16:17], off
	global_load_u16 v23, v[20:21], off
	s_cmp_eq_u64 s[2:3], 0
	s_add_nc_u64 s[30:31], s[2:3], -1
	s_cselect_b32 s3, -1, 0
	s_wait_xcnt 0x1
	v_add_nc_u64_e32 v[16:17], 2, v[16:17]
	s_wait_xcnt 0x0
	v_add_nc_u64_e32 v[20:21], 2, v[20:21]
	s_wait_loadcnt 0x0
	v_cmp_ne_u16_e32 vcc_lo, v22, v23
	v_cmp_eq_u16_e64 s2, v22, v23
	s_or_b32 s3, vcc_lo, s3
	s_delay_alu instid0(SALU_CYCLE_1) | instskip(NEXT) | instid1(SALU_CYCLE_1)
	s_and_b32 s3, exec_lo, s3
	s_or_b32 s27, s3, s27
	s_and_not1_b32 s29, s29, exec_lo
	s_and_b32 s33, s2, exec_lo
	s_mov_b64 s[2:3], s[30:31]
	s_or_b32 s29, s29, s33
	s_and_not1_b32 exec_lo, exec_lo, s27
	s_cbranch_execnz .LBB1419_72
; %bb.73:
	s_or_b32 exec_lo, exec_lo, s27
	s_xor_b32 s2, s29, -1
.LBB1419_74:
	s_delay_alu instid0(SALU_CYCLE_1)
	s_and_b32 s27, s2, exec_lo
.LBB1419_75:
	s_or_b32 exec_lo, exec_lo, s28
	v_add_nc_u32_e32 v16, 1, v19
	s_mov_b32 s28, exec_lo
	s_delay_alu instid0(VALU_DEP_1)
	v_cmpx_gt_u32_e64 s21, v16
	s_cbranch_execz .LBB1419_81
; %bb.76:
	v_cmp_ne_u32_e32 vcc_lo, 1, v25
	s_mov_b32 s2, 0
	s_cbranch_vccnz .LBB1419_80
; %bb.77:
	v_mul_u64_e32 v[16:17], s[18:19], v[10:11]
	v_mul_u64_e32 v[20:21], s[18:19], v[12:13]
	s_add_nc_u64 s[2:3], s[18:19], -1
	s_mov_b32 s26, 0
                                        ; implicit-def: $sgpr29
	s_delay_alu instid0(VALU_DEP_2) | instskip(NEXT) | instid1(VALU_DEP_2)
	v_lshl_add_u64 v[16:17], v[16:17], 1, s[8:9]
	v_lshl_add_u64 v[20:21], v[20:21], 1, s[8:9]
.LBB1419_78:                            ; =>This Inner Loop Header: Depth=1
	global_load_u16 v22, v[16:17], off
	global_load_u16 v23, v[20:21], off
	s_cmp_eq_u64 s[2:3], 0
	s_add_nc_u64 s[30:31], s[2:3], -1
	s_cselect_b32 s3, -1, 0
	s_wait_xcnt 0x1
	v_add_nc_u64_e32 v[16:17], 2, v[16:17]
	s_wait_xcnt 0x0
	v_add_nc_u64_e32 v[20:21], 2, v[20:21]
	s_wait_loadcnt 0x0
	v_cmp_ne_u16_e32 vcc_lo, v22, v23
	v_cmp_eq_u16_e64 s2, v22, v23
	s_or_b32 s3, vcc_lo, s3
	s_delay_alu instid0(SALU_CYCLE_1) | instskip(NEXT) | instid1(SALU_CYCLE_1)
	s_and_b32 s3, exec_lo, s3
	s_or_b32 s26, s3, s26
	s_and_not1_b32 s29, s29, exec_lo
	s_and_b32 s33, s2, exec_lo
	s_mov_b64 s[2:3], s[30:31]
	s_or_b32 s29, s29, s33
	s_and_not1_b32 exec_lo, exec_lo, s26
	s_cbranch_execnz .LBB1419_78
; %bb.79:
	s_or_b32 exec_lo, exec_lo, s26
	s_xor_b32 s2, s29, -1
.LBB1419_80:
	s_delay_alu instid0(SALU_CYCLE_1)
	s_and_b32 s26, s2, exec_lo
.LBB1419_81:
	s_or_b32 exec_lo, exec_lo, s28
	s_wait_kmcnt 0x0
	v_mov_b64_e32 v[16:17], s[4:5]
	s_mov_b32 s2, 0
	s_mov_b32 s3, exec_lo
	s_wait_dscnt 0x0
	s_barrier_signal -1
	s_barrier_wait -1
	v_cmpx_ne_u32_e32 0, v0
; %bb.82:
	v_add_nc_u32_e32 v16, -8, v26
	ds_load_b64 v[16:17], v16
; %bb.83:
	s_or_b32 exec_lo, exec_lo, s3
	v_cndmask_b32_e64 v20, 0, 1, s25
	v_cndmask_b32_e64 v21, 0, 1, s27
	;; [unrolled: 1-line block ×3, first 2 shown]
	s_mov_b32 s4, exec_lo
	s_delay_alu instid0(VALU_DEP_3) | instskip(NEXT) | instid1(VALU_DEP_2)
	v_lshlrev_b16 v20, 8, v20
	v_lshlrev_b16 v22, 8, v22
	s_delay_alu instid0(VALU_DEP_2) | instskip(NEXT) | instid1(VALU_DEP_2)
	v_or_b32_e32 v20, v21, v20
	v_and_b32_e32 v22, 0xffff, v22
	s_delay_alu instid0(VALU_DEP_2)
	v_lshlrev_b32_e32 v23, 16, v20
	v_cmpx_gt_u32_e64 s21, v19
	s_cbranch_execz .LBB1419_89
; %bb.84:
	v_cmp_ne_u32_e32 vcc_lo, 1, v25
	s_cbranch_vccnz .LBB1419_88
; %bb.85:
	s_wait_dscnt 0x0
	v_mul_u64_e32 v[16:17], s[18:19], v[16:17]
	v_mul_u64_e32 v[20:21], s[18:19], v[10:11]
	s_add_nc_u64 s[2:3], s[18:19], -1
	s_mov_b32 s5, 0
                                        ; implicit-def: $sgpr25
	s_delay_alu instid0(VALU_DEP_2) | instskip(NEXT) | instid1(VALU_DEP_2)
	v_lshl_add_u64 v[16:17], v[16:17], 1, s[8:9]
	v_lshl_add_u64 v[20:21], v[20:21], 1, s[8:9]
.LBB1419_86:                            ; =>This Inner Loop Header: Depth=1
	global_load_u16 v25, v[16:17], off
	global_load_u16 v26, v[20:21], off
	s_cmp_eq_u64 s[2:3], 0
	s_add_nc_u64 s[26:27], s[2:3], -1
	s_cselect_b32 s3, -1, 0
	s_wait_xcnt 0x1
	v_add_nc_u64_e32 v[16:17], 2, v[16:17]
	s_wait_xcnt 0x0
	v_add_nc_u64_e32 v[20:21], 2, v[20:21]
	s_wait_loadcnt 0x0
	v_cmp_ne_u16_e32 vcc_lo, v25, v26
	v_cmp_eq_u16_e64 s2, v25, v26
	s_or_b32 s3, vcc_lo, s3
	s_delay_alu instid0(SALU_CYCLE_1) | instskip(NEXT) | instid1(SALU_CYCLE_1)
	s_and_b32 s3, exec_lo, s3
	s_or_b32 s5, s3, s5
	s_and_not1_b32 s25, s25, exec_lo
	s_and_b32 s28, s2, exec_lo
	s_mov_b64 s[2:3], s[26:27]
	s_or_b32 s25, s25, s28
	s_and_not1_b32 exec_lo, exec_lo, s5
	s_cbranch_execnz .LBB1419_86
; %bb.87:
	s_or_b32 exec_lo, exec_lo, s5
	s_xor_b32 s2, s25, -1
.LBB1419_88:
	s_delay_alu instid0(SALU_CYCLE_1)
	s_and_b32 s2, s2, exec_lo
.LBB1419_89:
	s_or_b32 exec_lo, exec_lo, s4
	s_wait_dscnt 0x0
	v_cndmask_b32_e64 v17, 0, 1, s24
	v_cndmask_b32_e64 v31, 0, 1, s7
	;; [unrolled: 1-line block ×3, first 2 shown]
	v_or_b32_e32 v21, v22, v23
.LBB1419_90:
	s_mov_b32 s6, -1
	s_cbranch_execnz .LBB1419_35
.LBB1419_91:
	v_cmp_gt_i64_e64 s7, s[18:19], 0
	v_mad_i32_i24 v26, 0xffffffd0, v0, v24
	s_and_b32 vcc_lo, exec_lo, s17
	ds_store_b64 v26, v[14:15]
	s_cbranch_vccz .LBB1419_106
; %bb.92:
	s_and_not1_b32 vcc_lo, exec_lo, s7
	s_cbranch_vccnz .LBB1419_107
; %bb.93:
	v_mul_u64_e32 v[16:17], s[18:19], v[4:5]
	v_mul_u64_e32 v[20:21], s[18:19], v[14:15]
	s_wait_kmcnt 0x0
	s_add_nc_u64 s[4:5], s[18:19], -1
	s_mov_b32 s25, 0
	s_mov_b64 s[2:3], s[4:5]
                                        ; implicit-def: $sgpr24
	s_delay_alu instid0(VALU_DEP_2) | instskip(NEXT) | instid1(VALU_DEP_2)
	v_lshl_add_u64 v[16:17], v[16:17], 1, s[8:9]
	v_lshl_add_u64 v[20:21], v[20:21], 1, s[8:9]
	s_delay_alu instid0(VALU_DEP_2)
	v_mov_b64_e32 v[22:23], v[16:17]
.LBB1419_94:                            ; =>This Inner Loop Header: Depth=1
	global_load_u16 v24, v[22:23], off
	global_load_u16 v25, v[20:21], off
	s_cmp_eq_u64 s[2:3], 0
	s_add_nc_u64 s[26:27], s[2:3], -1
	s_cselect_b32 s3, -1, 0
	s_wait_xcnt 0x1
	v_add_nc_u64_e32 v[22:23], 2, v[22:23]
	s_wait_xcnt 0x0
	v_add_nc_u64_e32 v[20:21], 2, v[20:21]
	s_wait_loadcnt 0x0
	v_cmp_ne_u16_e32 vcc_lo, v24, v25
	v_cmp_eq_u16_e64 s2, v24, v25
	s_or_b32 s3, vcc_lo, s3
	s_delay_alu instid0(SALU_CYCLE_1) | instskip(NEXT) | instid1(SALU_CYCLE_1)
	s_and_b32 s3, exec_lo, s3
	s_or_b32 s25, s3, s25
	s_and_not1_b32 s24, s24, exec_lo
	s_and_b32 s28, s2, exec_lo
	s_mov_b64 s[2:3], s[26:27]
	s_or_b32 s24, s24, s28
	s_and_not1_b32 exec_lo, exec_lo, s25
	s_cbranch_execnz .LBB1419_94
; %bb.95:
	s_or_b32 exec_lo, exec_lo, s25
	v_mul_u64_e32 v[20:21], s[18:19], v[2:3]
	s_mov_b32 s26, 0
	s_mov_b64 s[2:3], s[4:5]
                                        ; implicit-def: $sgpr25
	s_delay_alu instid0(VALU_DEP_1) | instskip(NEXT) | instid1(VALU_DEP_1)
	v_lshl_add_u64 v[20:21], v[20:21], 1, s[8:9]
	v_mov_b64_e32 v[22:23], v[20:21]
.LBB1419_96:                            ; =>This Inner Loop Header: Depth=1
	global_load_u16 v24, v[22:23], off
	global_load_u16 v25, v[16:17], off
	s_cmp_eq_u64 s[2:3], 0
	s_add_nc_u64 s[28:29], s[2:3], -1
	s_cselect_b32 s3, -1, 0
	s_wait_xcnt 0x1
	v_add_nc_u64_e32 v[22:23], 2, v[22:23]
	s_wait_xcnt 0x0
	v_add_nc_u64_e32 v[16:17], 2, v[16:17]
	s_wait_loadcnt 0x0
	v_cmp_ne_u16_e32 vcc_lo, v24, v25
	v_cmp_eq_u16_e64 s2, v24, v25
	s_or_b32 s3, vcc_lo, s3
	s_delay_alu instid0(SALU_CYCLE_1) | instskip(NEXT) | instid1(SALU_CYCLE_1)
	s_and_b32 s3, exec_lo, s3
	s_or_b32 s26, s3, s26
	s_and_not1_b32 s25, s25, exec_lo
	s_and_b32 s27, s2, exec_lo
	s_mov_b64 s[2:3], s[28:29]
	s_or_b32 s25, s25, s27
	s_and_not1_b32 exec_lo, exec_lo, s26
	s_cbranch_execnz .LBB1419_96
; %bb.97:
	s_or_b32 exec_lo, exec_lo, s26
	v_mul_u64_e32 v[16:17], s[18:19], v[8:9]
	s_mov_b32 s27, 0
	s_mov_b64 s[2:3], s[4:5]
                                        ; implicit-def: $sgpr26
	s_delay_alu instid0(VALU_DEP_1) | instskip(NEXT) | instid1(VALU_DEP_1)
	v_lshl_add_u64 v[16:17], v[16:17], 1, s[8:9]
	v_mov_b64_e32 v[22:23], v[16:17]
.LBB1419_98:                            ; =>This Inner Loop Header: Depth=1
	global_load_u16 v24, v[22:23], off
	global_load_u16 v25, v[20:21], off
	s_cmp_eq_u64 s[2:3], 0
	s_add_nc_u64 s[28:29], s[2:3], -1
	s_cselect_b32 s3, -1, 0
	s_wait_xcnt 0x1
	v_add_nc_u64_e32 v[22:23], 2, v[22:23]
	s_wait_xcnt 0x0
	v_add_nc_u64_e32 v[20:21], 2, v[20:21]
	s_wait_loadcnt 0x0
	v_cmp_ne_u16_e32 vcc_lo, v24, v25
	v_cmp_eq_u16_e64 s2, v24, v25
	s_or_b32 s3, vcc_lo, s3
	s_delay_alu instid0(SALU_CYCLE_1) | instskip(NEXT) | instid1(SALU_CYCLE_1)
	s_and_b32 s3, exec_lo, s3
	s_or_b32 s27, s3, s27
	s_and_not1_b32 s26, s26, exec_lo
	s_and_b32 s30, s2, exec_lo
	s_mov_b64 s[2:3], s[28:29]
	s_or_b32 s26, s26, s30
	s_and_not1_b32 exec_lo, exec_lo, s27
	s_cbranch_execnz .LBB1419_98
; %bb.99:
	s_or_b32 exec_lo, exec_lo, s27
	v_mul_u64_e32 v[20:21], s[18:19], v[6:7]
	s_mov_b32 s28, 0
	s_mov_b64 s[2:3], s[4:5]
                                        ; implicit-def: $sgpr27
	s_delay_alu instid0(VALU_DEP_1) | instskip(NEXT) | instid1(VALU_DEP_1)
	v_lshl_add_u64 v[20:21], v[20:21], 1, s[8:9]
	v_mov_b64_e32 v[22:23], v[20:21]
.LBB1419_100:                           ; =>This Inner Loop Header: Depth=1
	global_load_u16 v24, v[22:23], off
	global_load_u16 v25, v[16:17], off
	s_cmp_eq_u64 s[2:3], 0
	s_add_nc_u64 s[30:31], s[2:3], -1
	s_cselect_b32 s3, -1, 0
	s_wait_xcnt 0x1
	v_add_nc_u64_e32 v[22:23], 2, v[22:23]
	s_wait_xcnt 0x0
	v_add_nc_u64_e32 v[16:17], 2, v[16:17]
	s_wait_loadcnt 0x0
	v_cmp_ne_u16_e32 vcc_lo, v24, v25
	v_cmp_eq_u16_e64 s2, v24, v25
	s_or_b32 s3, vcc_lo, s3
	s_delay_alu instid0(SALU_CYCLE_1) | instskip(NEXT) | instid1(SALU_CYCLE_1)
	s_and_b32 s3, exec_lo, s3
	s_or_b32 s28, s3, s28
	s_and_not1_b32 s27, s27, exec_lo
	s_and_b32 s29, s2, exec_lo
	s_mov_b64 s[2:3], s[30:31]
	s_or_b32 s27, s27, s29
	s_and_not1_b32 exec_lo, exec_lo, s28
	s_cbranch_execnz .LBB1419_100
; %bb.101:
	s_or_b32 exec_lo, exec_lo, s28
	v_mul_u64_e32 v[16:17], s[18:19], v[12:13]
	s_mov_b32 s29, 0
	s_mov_b64 s[2:3], s[4:5]
                                        ; implicit-def: $sgpr28
	s_delay_alu instid0(VALU_DEP_1) | instskip(NEXT) | instid1(VALU_DEP_1)
	v_lshl_add_u64 v[16:17], v[16:17], 1, s[8:9]
	v_mov_b64_e32 v[22:23], v[16:17]
.LBB1419_102:                           ; =>This Inner Loop Header: Depth=1
	global_load_u16 v24, v[22:23], off
	global_load_u16 v25, v[20:21], off
	s_cmp_eq_u64 s[2:3], 0
	s_add_nc_u64 s[30:31], s[2:3], -1
	s_cselect_b32 s3, -1, 0
	s_wait_xcnt 0x1
	v_add_nc_u64_e32 v[22:23], 2, v[22:23]
	s_wait_xcnt 0x0
	v_add_nc_u64_e32 v[20:21], 2, v[20:21]
	s_wait_loadcnt 0x0
	v_cmp_ne_u16_e32 vcc_lo, v24, v25
	v_cmp_eq_u16_e64 s2, v24, v25
	s_or_b32 s3, vcc_lo, s3
	s_delay_alu instid0(SALU_CYCLE_1) | instskip(NEXT) | instid1(SALU_CYCLE_1)
	s_and_b32 s3, exec_lo, s3
	s_or_b32 s29, s3, s29
	s_and_not1_b32 s28, s28, exec_lo
	s_and_b32 s33, s2, exec_lo
	s_mov_b64 s[2:3], s[30:31]
	s_or_b32 s28, s28, s33
	s_and_not1_b32 exec_lo, exec_lo, s29
	s_cbranch_execnz .LBB1419_102
; %bb.103:
	s_or_b32 exec_lo, exec_lo, s29
	v_mul_u64_e32 v[20:21], s[18:19], v[10:11]
	s_mov_b32 s29, 0
                                        ; implicit-def: $sgpr3
	s_delay_alu instid0(VALU_DEP_1)
	v_lshl_add_u64 v[20:21], v[20:21], 1, s[8:9]
.LBB1419_104:                           ; =>This Inner Loop Header: Depth=1
	global_load_u16 v22, v[20:21], off
	global_load_u16 v23, v[16:17], off
	s_cmp_eq_u64 s[4:5], 0
	s_add_nc_u64 s[30:31], s[4:5], -1
	s_cselect_b32 s4, -1, 0
	s_wait_xcnt 0x1
	v_add_nc_u64_e32 v[20:21], 2, v[20:21]
	s_wait_xcnt 0x0
	v_add_nc_u64_e32 v[16:17], 2, v[16:17]
	s_wait_loadcnt 0x0
	v_cmp_ne_u16_e32 vcc_lo, v22, v23
	v_cmp_eq_u16_e64 s2, v22, v23
	s_or_b32 s4, vcc_lo, s4
	s_delay_alu instid0(SALU_CYCLE_1) | instskip(NEXT) | instid1(SALU_CYCLE_1)
	s_and_b32 s4, exec_lo, s4
	s_or_b32 s29, s4, s29
	s_and_not1_b32 s3, s3, exec_lo
	s_and_b32 s2, s2, exec_lo
	s_mov_b64 s[4:5], s[30:31]
	s_or_b32 s3, s3, s2
	s_and_not1_b32 exec_lo, exec_lo, s29
	s_cbranch_execnz .LBB1419_104
; %bb.105:
	s_or_b32 exec_lo, exec_lo, s29
	s_xor_b32 s2, s27, -1
	s_delay_alu instid0(SALU_CYCLE_1) | instskip(SKIP_1) | instid1(SALU_CYCLE_1)
	v_cndmask_b32_e64 v16, 0, 1, s2
	s_xor_b32 s2, s28, -1
	v_cndmask_b32_e64 v17, 0, 1, s2
	s_xor_b32 s2, s25, -1
	s_delay_alu instid0(VALU_DEP_2) | instskip(SKIP_2) | instid1(SALU_CYCLE_1)
	v_lshlrev_b16 v16, 8, v16
	v_cndmask_b32_e64 v31, 0, 1, s2
	s_xor_b32 s2, s24, -1
	v_cndmask_b32_e64 v30, 0, 1, s2
	s_delay_alu instid0(VALU_DEP_3) | instskip(SKIP_1) | instid1(VALU_DEP_1)
	v_lshrrev_b32_e32 v16, 8, v16
	s_xor_b32 s2, s26, -1
	v_and_b32_e32 v16, 1, v16
	s_delay_alu instid0(VALU_DEP_1) | instskip(NEXT) | instid1(VALU_DEP_1)
	v_lshlrev_b16 v16, 8, v16
	v_or_b32_e32 v16, v17, v16
	v_cndmask_b32_e64 v17, 0, 1, s2
	s_xor_b32 s2, s3, -1
	s_delay_alu instid0(VALU_DEP_2)
	v_lshlrev_b32_e32 v16, 16, v16
	s_branch .LBB1419_108
.LBB1419_106:
	s_wait_kmcnt 0x0
                                        ; implicit-def: $sgpr2
                                        ; implicit-def: $vgpr30
                                        ; implicit-def: $vgpr31
                                        ; implicit-def: $vgpr17
                                        ; implicit-def: $vgpr21
                                        ; implicit-def: $vgpr33
                                        ; implicit-def: $vgpr32
                                        ; implicit-def: $vgpr20
	s_cbranch_execnz .LBB1419_115
	s_branch .LBB1419_160
.LBB1419_107:
	v_dual_mov_b32 v16, 0 :: v_dual_mov_b32 v30, 0
	v_dual_mov_b32 v31, 0 :: v_dual_mov_b32 v17, 0
	s_mov_b32 s2, 0
.LBB1419_108:
	s_delay_alu instid0(VALU_DEP_1)
	v_dual_lshrrev_b32 v32, 16, v16 :: v_dual_lshrrev_b32 v20, 24, v16
	v_cndmask_b32_e64 v33, 0, 1, s2
	v_mov_b32_e32 v16, 1
	s_wait_kmcnt 0x0
	s_mov_b32 s4, 0
	s_wait_dscnt 0x0
	s_barrier_signal -1
	s_barrier_wait -1
                                        ; implicit-def: $sgpr2
                                        ; implicit-def: $vgpr21
	s_mov_b32 s3, exec_lo
	v_cmpx_ne_u32_e32 0, v0
	s_xor_b32 s5, exec_lo, s3
	s_cbranch_execz .LBB1419_114
; %bb.109:
	v_lshlrev_b16 v21, 8, v20
	v_lshlrev_b16 v22, 8, v33
	s_and_not1_b32 vcc_lo, exec_lo, s7
	s_mov_b32 s2, 0
	s_delay_alu instid0(VALU_DEP_2) | instskip(NEXT) | instid1(VALU_DEP_1)
	v_bitop3_b16 v21, v32, v21, 0xff bitop3:0xec
	v_dual_lshlrev_b32 v21, 16, v21 :: v_dual_bitop2_b32 v22, 1, v22 bitop3:0x54
	s_delay_alu instid0(VALU_DEP_1) | instskip(NEXT) | instid1(VALU_DEP_1)
	v_and_b32_e32 v22, 0xffff, v22
	v_or_b32_e32 v21, v22, v21
	s_cbranch_vccnz .LBB1419_113
; %bb.110:
	v_add_nc_u32_e32 v22, -8, v26
	v_mul_u64_e32 v[24:25], s[18:19], v[10:11]
	s_add_nc_u64 s[2:3], s[18:19], -1
	s_mov_b32 s24, 0
                                        ; implicit-def: $sgpr25
	ds_load_b64 v[22:23], v22
	s_wait_dscnt 0x0
	v_mul_u64_e32 v[22:23], s[18:19], v[22:23]
	v_lshl_add_u64 v[24:25], v[24:25], 1, s[8:9]
	s_delay_alu instid0(VALU_DEP_2)
	v_lshl_add_u64 v[22:23], v[22:23], 1, s[8:9]
.LBB1419_111:                           ; =>This Inner Loop Header: Depth=1
	global_load_u16 v27, v[22:23], off
	global_load_u16 v28, v[24:25], off
	s_cmp_eq_u64 s[2:3], 0
	s_add_nc_u64 s[26:27], s[2:3], -1
	s_cselect_b32 s3, -1, 0
	s_wait_xcnt 0x1
	v_add_nc_u64_e32 v[22:23], 2, v[22:23]
	s_wait_xcnt 0x0
	v_add_nc_u64_e32 v[24:25], 2, v[24:25]
	s_wait_loadcnt 0x0
	v_cmp_ne_u16_e32 vcc_lo, v27, v28
	v_cmp_eq_u16_e64 s2, v27, v28
	s_or_b32 s3, vcc_lo, s3
	s_delay_alu instid0(SALU_CYCLE_1) | instskip(NEXT) | instid1(SALU_CYCLE_1)
	s_and_b32 s3, exec_lo, s3
	s_or_b32 s24, s3, s24
	s_and_not1_b32 s25, s25, exec_lo
	s_and_b32 s28, s2, exec_lo
	s_mov_b64 s[2:3], s[26:27]
	s_or_b32 s25, s25, s28
	s_and_not1_b32 exec_lo, exec_lo, s24
	s_cbranch_execnz .LBB1419_111
; %bb.112:
	s_or_b32 exec_lo, exec_lo, s24
	s_xor_b32 s2, s25, -1
.LBB1419_113:
	s_delay_alu instid0(VALU_DEP_1)
	v_perm_b32 v21, v21, v21, 0x3020104
	s_or_b32 s6, s6, exec_lo
.LBB1419_114:
	s_or_b32 exec_lo, exec_lo, s5
	s_delay_alu instid0(SALU_CYCLE_1)
	s_and_b32 vcc_lo, exec_lo, s4
	s_cbranch_vccz .LBB1419_160
.LBB1419_115:
	v_add_nc_u32_e32 v16, 6, v19
	s_mov_b32 s5, 0
	s_mov_b32 s4, 0
	s_mov_b32 s24, exec_lo
	s_delay_alu instid0(VALU_DEP_1)
	v_cmpx_gt_u32_e64 s21, v16
	s_cbranch_execz .LBB1419_121
; %bb.116:
	s_and_not1_b32 vcc_lo, exec_lo, s7
	s_mov_b32 s2, 0
	s_cbranch_vccnz .LBB1419_120
; %bb.117:
	v_mul_u64_e32 v[16:17], s[18:19], v[4:5]
	v_mul_u64_e32 v[20:21], s[18:19], v[14:15]
	s_add_nc_u64 s[2:3], s[18:19], -1
                                        ; implicit-def: $sgpr25
	s_delay_alu instid0(VALU_DEP_2) | instskip(NEXT) | instid1(VALU_DEP_2)
	v_lshl_add_u64 v[16:17], v[16:17], 1, s[8:9]
	v_lshl_add_u64 v[20:21], v[20:21], 1, s[8:9]
.LBB1419_118:                           ; =>This Inner Loop Header: Depth=1
	global_load_u16 v22, v[16:17], off
	global_load_u16 v23, v[20:21], off
	s_cmp_eq_u64 s[2:3], 0
	s_add_nc_u64 s[26:27], s[2:3], -1
	s_cselect_b32 s3, -1, 0
	s_wait_xcnt 0x1
	v_add_nc_u64_e32 v[16:17], 2, v[16:17]
	s_wait_xcnt 0x0
	v_add_nc_u64_e32 v[20:21], 2, v[20:21]
	s_wait_loadcnt 0x0
	v_cmp_ne_u16_e32 vcc_lo, v22, v23
	v_cmp_eq_u16_e64 s2, v22, v23
	s_or_b32 s3, vcc_lo, s3
	s_delay_alu instid0(SALU_CYCLE_1) | instskip(NEXT) | instid1(SALU_CYCLE_1)
	s_and_b32 s3, exec_lo, s3
	s_or_b32 s4, s3, s4
	s_and_not1_b32 s25, s25, exec_lo
	s_and_b32 s28, s2, exec_lo
	s_mov_b64 s[2:3], s[26:27]
	s_or_b32 s25, s25, s28
	s_and_not1_b32 exec_lo, exec_lo, s4
	s_cbranch_execnz .LBB1419_118
; %bb.119:
	s_or_b32 exec_lo, exec_lo, s4
	s_xor_b32 s2, s25, -1
.LBB1419_120:
	s_delay_alu instid0(SALU_CYCLE_1)
	s_and_b32 s4, s2, exec_lo
.LBB1419_121:
	s_or_b32 exec_lo, exec_lo, s24
	v_add_nc_u32_e32 v16, 5, v19
	s_mov_b32 s24, exec_lo
	s_delay_alu instid0(VALU_DEP_1)
	v_cmpx_gt_u32_e64 s21, v16
	s_cbranch_execz .LBB1419_127
; %bb.122:
	s_and_not1_b32 vcc_lo, exec_lo, s7
	s_mov_b32 s2, 0
	s_cbranch_vccnz .LBB1419_126
; %bb.123:
	v_mul_u64_e32 v[16:17], s[18:19], v[2:3]
	v_mul_u64_e32 v[20:21], s[18:19], v[4:5]
	s_add_nc_u64 s[2:3], s[18:19], -1
	s_mov_b32 s5, 0
                                        ; implicit-def: $sgpr25
	s_delay_alu instid0(VALU_DEP_2) | instskip(NEXT) | instid1(VALU_DEP_2)
	v_lshl_add_u64 v[16:17], v[16:17], 1, s[8:9]
	v_lshl_add_u64 v[20:21], v[20:21], 1, s[8:9]
.LBB1419_124:                           ; =>This Inner Loop Header: Depth=1
	global_load_u16 v22, v[16:17], off
	global_load_u16 v23, v[20:21], off
	s_cmp_eq_u64 s[2:3], 0
	s_add_nc_u64 s[26:27], s[2:3], -1
	s_cselect_b32 s3, -1, 0
	s_wait_xcnt 0x1
	v_add_nc_u64_e32 v[16:17], 2, v[16:17]
	s_wait_xcnt 0x0
	v_add_nc_u64_e32 v[20:21], 2, v[20:21]
	s_wait_loadcnt 0x0
	v_cmp_ne_u16_e32 vcc_lo, v22, v23
	v_cmp_eq_u16_e64 s2, v22, v23
	s_or_b32 s3, vcc_lo, s3
	s_delay_alu instid0(SALU_CYCLE_1) | instskip(NEXT) | instid1(SALU_CYCLE_1)
	s_and_b32 s3, exec_lo, s3
	s_or_b32 s5, s3, s5
	s_and_not1_b32 s25, s25, exec_lo
	s_and_b32 s28, s2, exec_lo
	s_mov_b64 s[2:3], s[26:27]
	s_or_b32 s25, s25, s28
	s_and_not1_b32 exec_lo, exec_lo, s5
	s_cbranch_execnz .LBB1419_124
; %bb.125:
	s_or_b32 exec_lo, exec_lo, s5
	s_xor_b32 s2, s25, -1
.LBB1419_126:
	s_delay_alu instid0(SALU_CYCLE_1)
	s_and_b32 s5, s2, exec_lo
.LBB1419_127:
	s_or_b32 exec_lo, exec_lo, s24
	v_add_nc_u32_e32 v16, 4, v19
	s_mov_b32 s24, 0
	s_mov_b32 s25, 0
	s_mov_b32 s26, exec_lo
	s_delay_alu instid0(VALU_DEP_1)
	v_cmpx_gt_u32_e64 s21, v16
	s_cbranch_execz .LBB1419_133
; %bb.128:
	s_and_not1_b32 vcc_lo, exec_lo, s7
	s_mov_b32 s2, 0
	s_cbranch_vccnz .LBB1419_132
; %bb.129:
	v_mul_u64_e32 v[16:17], s[18:19], v[8:9]
	v_mul_u64_e32 v[20:21], s[18:19], v[2:3]
	s_add_nc_u64 s[2:3], s[18:19], -1
                                        ; implicit-def: $sgpr27
	s_delay_alu instid0(VALU_DEP_2) | instskip(NEXT) | instid1(VALU_DEP_2)
	v_lshl_add_u64 v[16:17], v[16:17], 1, s[8:9]
	v_lshl_add_u64 v[20:21], v[20:21], 1, s[8:9]
.LBB1419_130:                           ; =>This Inner Loop Header: Depth=1
	global_load_u16 v22, v[16:17], off
	global_load_u16 v23, v[20:21], off
	s_cmp_eq_u64 s[2:3], 0
	s_add_nc_u64 s[28:29], s[2:3], -1
	s_cselect_b32 s3, -1, 0
	s_wait_xcnt 0x1
	v_add_nc_u64_e32 v[16:17], 2, v[16:17]
	s_wait_xcnt 0x0
	v_add_nc_u64_e32 v[20:21], 2, v[20:21]
	s_wait_loadcnt 0x0
	v_cmp_ne_u16_e32 vcc_lo, v22, v23
	v_cmp_eq_u16_e64 s2, v22, v23
	s_or_b32 s3, vcc_lo, s3
	s_delay_alu instid0(SALU_CYCLE_1) | instskip(NEXT) | instid1(SALU_CYCLE_1)
	s_and_b32 s3, exec_lo, s3
	s_or_b32 s25, s3, s25
	s_and_not1_b32 s27, s27, exec_lo
	s_and_b32 s30, s2, exec_lo
	s_mov_b64 s[2:3], s[28:29]
	s_or_b32 s27, s27, s30
	s_and_not1_b32 exec_lo, exec_lo, s25
	s_cbranch_execnz .LBB1419_130
; %bb.131:
	s_or_b32 exec_lo, exec_lo, s25
	s_xor_b32 s2, s27, -1
.LBB1419_132:
	s_delay_alu instid0(SALU_CYCLE_1)
	s_and_b32 s25, s2, exec_lo
.LBB1419_133:
	s_or_b32 exec_lo, exec_lo, s26
	v_add_nc_u32_e32 v16, 3, v19
	s_mov_b32 s26, exec_lo
	s_delay_alu instid0(VALU_DEP_1)
	v_cmpx_gt_u32_e64 s21, v16
	s_cbranch_execz .LBB1419_139
; %bb.134:
	s_and_not1_b32 vcc_lo, exec_lo, s7
	s_mov_b32 s2, 0
	s_cbranch_vccnz .LBB1419_138
; %bb.135:
	v_mul_u64_e32 v[16:17], s[18:19], v[6:7]
	v_mul_u64_e32 v[20:21], s[18:19], v[8:9]
	s_add_nc_u64 s[2:3], s[18:19], -1
	s_mov_b32 s24, 0
                                        ; implicit-def: $sgpr27
	s_delay_alu instid0(VALU_DEP_2) | instskip(NEXT) | instid1(VALU_DEP_2)
	v_lshl_add_u64 v[16:17], v[16:17], 1, s[8:9]
	v_lshl_add_u64 v[20:21], v[20:21], 1, s[8:9]
.LBB1419_136:                           ; =>This Inner Loop Header: Depth=1
	global_load_u16 v22, v[16:17], off
	global_load_u16 v23, v[20:21], off
	s_cmp_eq_u64 s[2:3], 0
	s_add_nc_u64 s[28:29], s[2:3], -1
	s_cselect_b32 s3, -1, 0
	s_wait_xcnt 0x1
	v_add_nc_u64_e32 v[16:17], 2, v[16:17]
	s_wait_xcnt 0x0
	v_add_nc_u64_e32 v[20:21], 2, v[20:21]
	s_wait_loadcnt 0x0
	v_cmp_ne_u16_e32 vcc_lo, v22, v23
	v_cmp_eq_u16_e64 s2, v22, v23
	s_or_b32 s3, vcc_lo, s3
	s_delay_alu instid0(SALU_CYCLE_1) | instskip(NEXT) | instid1(SALU_CYCLE_1)
	s_and_b32 s3, exec_lo, s3
	s_or_b32 s24, s3, s24
	s_and_not1_b32 s27, s27, exec_lo
	s_and_b32 s30, s2, exec_lo
	s_mov_b64 s[2:3], s[28:29]
	s_or_b32 s27, s27, s30
	s_and_not1_b32 exec_lo, exec_lo, s24
	s_cbranch_execnz .LBB1419_136
; %bb.137:
	s_or_b32 exec_lo, exec_lo, s24
	s_xor_b32 s2, s27, -1
.LBB1419_138:
	s_delay_alu instid0(SALU_CYCLE_1)
	s_and_b32 s24, s2, exec_lo
.LBB1419_139:
	s_or_b32 exec_lo, exec_lo, s26
	v_add_nc_u32_e32 v16, 2, v19
	s_mov_b32 s26, 0
	s_mov_b32 s27, 0
	s_mov_b32 s28, exec_lo
	s_delay_alu instid0(VALU_DEP_1)
	v_cmpx_gt_u32_e64 s21, v16
	s_cbranch_execz .LBB1419_145
; %bb.140:
	s_and_not1_b32 vcc_lo, exec_lo, s7
	s_mov_b32 s2, 0
	s_cbranch_vccnz .LBB1419_144
; %bb.141:
	v_mul_u64_e32 v[16:17], s[18:19], v[12:13]
	v_mul_u64_e32 v[20:21], s[18:19], v[6:7]
	s_add_nc_u64 s[2:3], s[18:19], -1
                                        ; implicit-def: $sgpr29
	s_delay_alu instid0(VALU_DEP_2) | instskip(NEXT) | instid1(VALU_DEP_2)
	v_lshl_add_u64 v[16:17], v[16:17], 1, s[8:9]
	v_lshl_add_u64 v[20:21], v[20:21], 1, s[8:9]
.LBB1419_142:                           ; =>This Inner Loop Header: Depth=1
	global_load_u16 v22, v[16:17], off
	global_load_u16 v23, v[20:21], off
	s_cmp_eq_u64 s[2:3], 0
	s_add_nc_u64 s[30:31], s[2:3], -1
	s_cselect_b32 s3, -1, 0
	s_wait_xcnt 0x1
	v_add_nc_u64_e32 v[16:17], 2, v[16:17]
	s_wait_xcnt 0x0
	v_add_nc_u64_e32 v[20:21], 2, v[20:21]
	s_wait_loadcnt 0x0
	v_cmp_ne_u16_e32 vcc_lo, v22, v23
	v_cmp_eq_u16_e64 s2, v22, v23
	s_or_b32 s3, vcc_lo, s3
	s_delay_alu instid0(SALU_CYCLE_1) | instskip(NEXT) | instid1(SALU_CYCLE_1)
	s_and_b32 s3, exec_lo, s3
	s_or_b32 s27, s3, s27
	s_and_not1_b32 s29, s29, exec_lo
	s_and_b32 s33, s2, exec_lo
	s_mov_b64 s[2:3], s[30:31]
	s_or_b32 s29, s29, s33
	s_and_not1_b32 exec_lo, exec_lo, s27
	s_cbranch_execnz .LBB1419_142
; %bb.143:
	s_or_b32 exec_lo, exec_lo, s27
	s_xor_b32 s2, s29, -1
.LBB1419_144:
	s_delay_alu instid0(SALU_CYCLE_1)
	s_and_b32 s27, s2, exec_lo
.LBB1419_145:
	s_or_b32 exec_lo, exec_lo, s28
	v_add_nc_u32_e32 v16, 1, v19
	s_mov_b32 s28, exec_lo
	s_delay_alu instid0(VALU_DEP_1)
	v_cmpx_gt_u32_e64 s21, v16
	s_cbranch_execz .LBB1419_151
; %bb.146:
	s_and_not1_b32 vcc_lo, exec_lo, s7
	s_mov_b32 s2, 0
	s_cbranch_vccnz .LBB1419_150
; %bb.147:
	v_mul_u64_e32 v[16:17], s[18:19], v[10:11]
	v_mul_u64_e32 v[20:21], s[18:19], v[12:13]
	s_add_nc_u64 s[2:3], s[18:19], -1
	s_mov_b32 s26, 0
                                        ; implicit-def: $sgpr29
	s_delay_alu instid0(VALU_DEP_2) | instskip(NEXT) | instid1(VALU_DEP_2)
	v_lshl_add_u64 v[16:17], v[16:17], 1, s[8:9]
	v_lshl_add_u64 v[20:21], v[20:21], 1, s[8:9]
.LBB1419_148:                           ; =>This Inner Loop Header: Depth=1
	global_load_u16 v22, v[16:17], off
	global_load_u16 v23, v[20:21], off
	s_cmp_eq_u64 s[2:3], 0
	s_add_nc_u64 s[30:31], s[2:3], -1
	s_cselect_b32 s3, -1, 0
	s_wait_xcnt 0x1
	v_add_nc_u64_e32 v[16:17], 2, v[16:17]
	s_wait_xcnt 0x0
	v_add_nc_u64_e32 v[20:21], 2, v[20:21]
	s_wait_loadcnt 0x0
	v_cmp_ne_u16_e32 vcc_lo, v22, v23
	v_cmp_eq_u16_e64 s2, v22, v23
	s_or_b32 s3, vcc_lo, s3
	s_delay_alu instid0(SALU_CYCLE_1) | instskip(NEXT) | instid1(SALU_CYCLE_1)
	s_and_b32 s3, exec_lo, s3
	s_or_b32 s26, s3, s26
	s_and_not1_b32 s29, s29, exec_lo
	s_and_b32 s33, s2, exec_lo
	s_mov_b64 s[2:3], s[30:31]
	s_or_b32 s29, s29, s33
	s_and_not1_b32 exec_lo, exec_lo, s26
	s_cbranch_execnz .LBB1419_148
; %bb.149:
	s_or_b32 exec_lo, exec_lo, s26
	s_xor_b32 s2, s29, -1
.LBB1419_150:
	s_delay_alu instid0(SALU_CYCLE_1)
	s_and_b32 s26, s2, exec_lo
.LBB1419_151:
	s_or_b32 exec_lo, exec_lo, s28
	v_cndmask_b32_e64 v17, 0, 1, s25
	v_cndmask_b32_e64 v31, 0, 1, s5
	;; [unrolled: 1-line block ×6, first 2 shown]
	v_mov_b32_e32 v16, 1
	s_mov_b32 s2, 0
	s_mov_b32 s4, exec_lo
	s_wait_dscnt 0x0
	s_barrier_signal -1
	s_barrier_wait -1
                                        ; implicit-def: $vgpr21
	v_cmpx_ne_u32_e32 0, v0
	s_cbranch_execz .LBB1419_159
; %bb.152:
	v_lshlrev_b16 v21, 8, v33
	v_lshlrev_b16 v22, 8, v20
	s_mov_b32 s5, exec_lo
	s_delay_alu instid0(VALU_DEP_1) | instskip(NEXT) | instid1(VALU_DEP_1)
	v_or_b32_e32 v22, v32, v22
	v_dual_lshlrev_b32 v22, 16, v22 :: v_dual_bitop2_b32 v21, 1, v21 bitop3:0x54
	s_delay_alu instid0(VALU_DEP_1) | instskip(NEXT) | instid1(VALU_DEP_1)
	v_and_b32_e32 v21, 0xffff, v21
	v_or_b32_e32 v21, v21, v22
	v_cmpx_gt_u32_e64 s21, v19
	s_cbranch_execz .LBB1419_158
; %bb.153:
	s_and_not1_b32 vcc_lo, exec_lo, s7
	s_cbranch_vccnz .LBB1419_157
; %bb.154:
	v_add_nc_u32_e32 v22, -8, v26
	v_mul_u64_e32 v[24:25], s[18:19], v[10:11]
	s_add_nc_u64 s[2:3], s[18:19], -1
	s_mov_b32 s7, 0
	ds_load_b64 v[22:23], v22
	s_wait_dscnt 0x0
	v_mul_u64_e32 v[22:23], s[18:19], v[22:23]
	v_lshl_add_u64 v[24:25], v[24:25], 1, s[8:9]
	s_delay_alu instid0(VALU_DEP_2)
	v_lshl_add_u64 v[22:23], v[22:23], 1, s[8:9]
                                        ; implicit-def: $sgpr8
.LBB1419_155:                           ; =>This Inner Loop Header: Depth=1
	global_load_u16 v26, v[22:23], off
	global_load_u16 v27, v[24:25], off
	s_cmp_eq_u64 s[2:3], 0
	s_add_nc_u64 s[18:19], s[2:3], -1
	s_cselect_b32 s3, -1, 0
	s_wait_xcnt 0x1
	v_add_nc_u64_e32 v[22:23], 2, v[22:23]
	s_wait_xcnt 0x0
	v_add_nc_u64_e32 v[24:25], 2, v[24:25]
	s_wait_loadcnt 0x0
	v_cmp_ne_u16_e32 vcc_lo, v26, v27
	v_cmp_eq_u16_e64 s2, v26, v27
	s_or_b32 s3, vcc_lo, s3
	s_delay_alu instid0(SALU_CYCLE_1) | instskip(NEXT) | instid1(SALU_CYCLE_1)
	s_and_b32 s3, exec_lo, s3
	s_or_b32 s7, s3, s7
	s_and_not1_b32 s8, s8, exec_lo
	s_and_b32 s9, s2, exec_lo
	s_mov_b64 s[2:3], s[18:19]
	s_or_b32 s8, s8, s9
	s_and_not1_b32 exec_lo, exec_lo, s7
	s_cbranch_execnz .LBB1419_155
; %bb.156:
	s_or_b32 exec_lo, exec_lo, s7
	s_xor_b32 s2, s8, -1
.LBB1419_157:
	s_delay_alu instid0(SALU_CYCLE_1)
	s_and_b32 s2, s2, exec_lo
.LBB1419_158:
	s_or_b32 exec_lo, exec_lo, s5
	s_delay_alu instid0(VALU_DEP_2)
	v_perm_b32 v21, v21, v21, 0x3020104
	s_or_b32 s6, s6, exec_lo
.LBB1419_159:
	s_or_b32 exec_lo, exec_lo, s4
.LBB1419_160:
	s_and_saveexec_b32 s3, s6
; %bb.161:
	s_delay_alu instid0(VALU_DEP_1)
	v_dual_lshrrev_b32 v20, 24, v21 :: v_dual_lshrrev_b32 v32, 16, v21
	v_lshrrev_b32_e32 v33, 8, v21
	v_cndmask_b32_e64 v16, 0, 1, s2
; %bb.162:
	s_or_b32 exec_lo, exec_lo, s3
	s_delay_alu instid0(SALU_CYCLE_1)
	s_and_not1_b32 vcc_lo, exec_lo, s22
	s_cbranch_vccnz .LBB1419_166
; %bb.163:
	s_delay_alu instid0(VALU_DEP_1)
	v_perm_b32 v16, v16, v33, 0xc0c0004
	v_perm_b32 v20, v32, v20, 0xc0c0004
	v_cmp_gt_u32_e32 vcc_lo, s21, v19
	v_and_b32_e32 v22, 0xff, v30
	v_perm_b32 v17, v17, v31, 0xc0c0004
	v_add_nc_u32_e32 v21, 1, v19
	v_lshl_or_b32 v16, v20, 16, v16
	s_delay_alu instid0(VALU_DEP_1) | instskip(NEXT) | instid1(VALU_DEP_3)
	v_dual_cndmask_b32 v20, 0, v16 :: v_dual_add_nc_u32 v23, 4, v19
	v_cmp_gt_u32_e32 vcc_lo, s21, v21
	v_dual_lshlrev_b32 v21, 16, v22 :: v_dual_add_nc_u32 v22, 2, v19
	s_delay_alu instid0(VALU_DEP_3) | instskip(NEXT) | instid1(VALU_DEP_1)
	v_and_b32_e32 v20, 0xff, v20
	v_cndmask_b32_e32 v20, v20, v16, vcc_lo
	s_delay_alu instid0(VALU_DEP_3) | instskip(NEXT) | instid1(VALU_DEP_2)
	v_cmp_gt_u32_e32 vcc_lo, s21, v22
	v_and_b32_e32 v20, 0xffff, v20
	v_or_b32_e32 v24, v17, v21
	v_bitop3_b32 v17, v17, 0xffff00, v21 bitop3:0xc8
	s_delay_alu instid0(VALU_DEP_3) | instskip(SKIP_1) | instid1(VALU_DEP_2)
	v_dual_cndmask_b32 v20, v20, v16 :: v_dual_add_nc_u32 v21, 5, v19
	v_cmp_gt_u32_e32 vcc_lo, s21, v23
	v_cmp_gt_u32_e64 s2, s21, v21
	s_delay_alu instid0(VALU_DEP_3) | instskip(SKIP_3) | instid1(VALU_DEP_2)
	v_and_b32_e32 v20, 0xffffff, v20
	v_dual_cndmask_b32 v17, v17, v24 :: v_dual_add_nc_u32 v22, 3, v19
	s_or_b32 vcc_lo, s2, vcc_lo
	v_add_nc_u32_e32 v19, 6, v19
	v_cmp_gt_u32_e64 s3, s21, v22
	s_delay_alu instid0(VALU_DEP_3) | instskip(NEXT) | instid1(VALU_DEP_2)
	v_and_b32_e32 v17, 0xffff00ff, v17
	v_cndmask_b32_e64 v20, v20, v16, s3
	s_delay_alu instid0(VALU_DEP_2) | instskip(SKIP_1) | instid1(VALU_DEP_1)
	v_cndmask_b32_e64 v17, v17, v24, s2
	s_mov_b32 s2, exec_lo
	v_dual_cndmask_b32 v16, v20, v16, vcc_lo :: v_dual_lshrrev_b32 v30, 16, v17
	v_lshrrev_b32_e32 v31, 8, v17
	s_delay_alu instid0(VALU_DEP_2)
	v_lshrrev_b64 v[20:21], 24, v[16:17]
	v_dual_lshrrev_b32 v32, 16, v16 :: v_dual_lshrrev_b32 v33, 8, v16
	v_cmpx_le_u32_e64 s21, v19
; %bb.164:
	v_mov_b32_e32 v30, 0
; %bb.165:
	s_or_b32 exec_lo, exec_lo, s2
.LBB1419_166:
	s_delay_alu instid0(VALU_DEP_1)
	v_and_b32_e32 v19, 0xff, v16
	v_and_b32_e32 v21, 0xff, v33
	;; [unrolled: 1-line block ×5, first 2 shown]
	v_mbcnt_lo_u32_b32 v38, -1, 0
	v_and_b32_e32 v37, 0xff, v31
	v_add3_u32 v22, v21, v19, v34
	v_and_b32_e32 v23, 0xff, v30
	s_delay_alu instid0(VALU_DEP_4) | instskip(SKIP_1) | instid1(VALU_DEP_3)
	v_dual_lshrrev_b32 v39, 5, v0 :: v_dual_bitop2_b32 v24, 15, v38 bitop3:0x40
	s_and_b32 vcc_lo, exec_lo, s23
	v_add3_u32 v22, v22, v35, v36
	s_mov_b32 s8, -1
	s_wait_dscnt 0x0
	v_cmp_eq_u32_e64 s2, 0, v24
	s_wait_kmcnt 0x0
	v_cmp_lt_u32_e64 s4, 1, v24
	v_add3_u32 v40, v22, v37, v23
	v_and_b32_e32 v22, 16, v38
	v_or_b32_e32 v23, 31, v0
	v_cmp_lt_u32_e64 s5, 3, v24
	v_cmp_lt_u32_e64 s3, 7, v24
	s_barrier_signal -1
	v_cmp_eq_u32_e64 s7, 0, v22
	v_cmp_eq_u32_e64 s6, v0, v23
	s_barrier_wait -1
                                        ; implicit-def: $vgpr25
                                        ; implicit-def: $vgpr26
                                        ; implicit-def: $vgpr27
                                        ; implicit-def: $vgpr28
                                        ; implicit-def: $vgpr29
                                        ; implicit-def: $vgpr41
                                        ; implicit-def: $vgpr42
                                        ; implicit-def: $vgpr24
                                        ; implicit-def: $vgpr22
	s_cbranch_vccz .LBB1419_193
; %bb.167:
	v_mov_b32_dpp v22, v40 row_shr:1 row_mask:0xf bank_mask:0xf
	s_delay_alu instid0(VALU_DEP_1) | instskip(NEXT) | instid1(VALU_DEP_1)
	v_cndmask_b32_e64 v22, v22, 0, s2
	v_add_nc_u32_e32 v22, v22, v40
	s_delay_alu instid0(VALU_DEP_1) | instskip(NEXT) | instid1(VALU_DEP_1)
	v_mov_b32_dpp v23, v22 row_shr:2 row_mask:0xf bank_mask:0xf
	v_cndmask_b32_e64 v23, 0, v23, s4
	s_delay_alu instid0(VALU_DEP_1) | instskip(NEXT) | instid1(VALU_DEP_1)
	v_add_nc_u32_e32 v22, v22, v23
	v_mov_b32_dpp v23, v22 row_shr:4 row_mask:0xf bank_mask:0xf
	s_delay_alu instid0(VALU_DEP_1) | instskip(NEXT) | instid1(VALU_DEP_1)
	v_cndmask_b32_e64 v23, 0, v23, s5
	v_add_nc_u32_e32 v22, v22, v23
	s_delay_alu instid0(VALU_DEP_1) | instskip(NEXT) | instid1(VALU_DEP_1)
	v_mov_b32_dpp v23, v22 row_shr:8 row_mask:0xf bank_mask:0xf
	v_cndmask_b32_e64 v23, 0, v23, s3
	s_delay_alu instid0(VALU_DEP_1) | instskip(SKIP_3) | instid1(VALU_DEP_1)
	v_add_nc_u32_e32 v22, v22, v23
	ds_swizzle_b32 v23, v22 offset:swizzle(BROADCAST,32,15)
	s_wait_dscnt 0x0
	v_cndmask_b32_e64 v23, v23, 0, s7
	v_add_nc_u32_e32 v22, v22, v23
	s_and_saveexec_b32 s8, s6
; %bb.168:
	v_lshlrev_b32_e32 v23, 2, v39
	ds_store_b32 v23, v22
; %bb.169:
	s_or_b32 exec_lo, exec_lo, s8
	s_delay_alu instid0(SALU_CYCLE_1)
	s_mov_b32 s8, exec_lo
	s_wait_dscnt 0x0
	s_barrier_signal -1
	s_barrier_wait -1
	v_cmpx_gt_u32_e32 16, v0
	s_cbranch_execz .LBB1419_171
; %bb.170:
	v_lshlrev_b32_e32 v23, 2, v0
	ds_load_b32 v24, v23
	s_wait_dscnt 0x0
	v_mov_b32_dpp v25, v24 row_shr:1 row_mask:0xf bank_mask:0xf
	s_delay_alu instid0(VALU_DEP_1) | instskip(NEXT) | instid1(VALU_DEP_1)
	v_cndmask_b32_e64 v25, v25, 0, s2
	v_add_nc_u32_e32 v24, v25, v24
	s_delay_alu instid0(VALU_DEP_1) | instskip(NEXT) | instid1(VALU_DEP_1)
	v_mov_b32_dpp v25, v24 row_shr:2 row_mask:0xf bank_mask:0xf
	v_cndmask_b32_e64 v25, 0, v25, s4
	s_delay_alu instid0(VALU_DEP_1) | instskip(NEXT) | instid1(VALU_DEP_1)
	v_add_nc_u32_e32 v24, v24, v25
	v_mov_b32_dpp v25, v24 row_shr:4 row_mask:0xf bank_mask:0xf
	s_delay_alu instid0(VALU_DEP_1) | instskip(NEXT) | instid1(VALU_DEP_1)
	v_cndmask_b32_e64 v25, 0, v25, s5
	v_add_nc_u32_e32 v24, v24, v25
	s_delay_alu instid0(VALU_DEP_1) | instskip(NEXT) | instid1(VALU_DEP_1)
	v_mov_b32_dpp v25, v24 row_shr:8 row_mask:0xf bank_mask:0xf
	v_cndmask_b32_e64 v25, 0, v25, s3
	s_delay_alu instid0(VALU_DEP_1)
	v_add_nc_u32_e32 v24, v24, v25
	ds_store_b32 v23, v24
.LBB1419_171:
	s_or_b32 exec_lo, exec_lo, s8
	s_delay_alu instid0(SALU_CYCLE_1)
	s_mov_b32 s9, exec_lo
	v_cmp_gt_u32_e32 vcc_lo, 32, v0
	s_wait_dscnt 0x0
	s_barrier_signal -1
	s_barrier_wait -1
                                        ; implicit-def: $vgpr41
	v_cmpx_lt_u32_e32 31, v0
	s_cbranch_execz .LBB1419_173
; %bb.172:
	v_lshl_add_u32 v23, v39, 2, -4
	ds_load_b32 v41, v23
	s_wait_dscnt 0x0
	v_add_nc_u32_e32 v22, v41, v22
.LBB1419_173:
	s_or_b32 exec_lo, exec_lo, s9
	v_sub_co_u32 v23, s8, v38, 1
	s_delay_alu instid0(VALU_DEP_1) | instskip(NEXT) | instid1(VALU_DEP_1)
	v_cmp_gt_i32_e64 s9, 0, v23
	v_cndmask_b32_e64 v23, v23, v38, s9
	s_delay_alu instid0(VALU_DEP_1)
	v_lshlrev_b32_e32 v23, 2, v23
	ds_bpermute_b32 v42, v23, v22
	s_and_saveexec_b32 s9, vcc_lo
	s_cbranch_execz .LBB1419_192
; %bb.174:
	v_mov_b32_e32 v29, 0
	ds_load_b32 v22, v29 offset:60
	s_and_saveexec_b32 s18, s8
	s_cbranch_execz .LBB1419_176
; %bb.175:
	s_add_co_i32 s19, s20, 32
	s_delay_alu instid0(SALU_CYCLE_1)
	v_dual_mov_b32 v23, 1 :: v_dual_mov_b32 v24, s19
	s_wait_dscnt 0x0
	global_store_b64 v24, v[22:23], s[10:11] scale_offset scope:SCOPE_DEV
.LBB1419_176:
	s_wait_xcnt 0x0
	s_or_b32 exec_lo, exec_lo, s18
	v_xad_u32 v24, v38, -1, s20
	s_mov_b32 s19, 0
	s_mov_b32 s18, exec_lo
	s_delay_alu instid0(VALU_DEP_1) | instskip(SKIP_4) | instid1(VALU_DEP_1)
	v_add_nc_u32_e32 v28, 32, v24
	global_load_b64 v[26:27], v28, s[10:11] scale_offset scope:SCOPE_DEV
	s_wait_loadcnt 0x0
	v_and_b32_e32 v23, 0xff, v27
	s_wait_xcnt 0x0
	v_cmpx_eq_u16_e32 0, v23
	s_cbranch_execz .LBB1419_180
; %bb.177:
	v_lshl_add_u64 v[28:29], v[28:29], 3, s[10:11]
.LBB1419_178:                           ; =>This Inner Loop Header: Depth=1
	global_load_b64 v[26:27], v[28:29], off scope:SCOPE_DEV
	s_wait_loadcnt 0x0
	v_and_b32_e32 v23, 0xff, v27
	s_delay_alu instid0(VALU_DEP_1)
	v_cmp_ne_u16_e32 vcc_lo, 0, v23
	s_or_b32 s19, vcc_lo, s19
	s_wait_xcnt 0x0
	s_and_not1_b32 exec_lo, exec_lo, s19
	s_cbranch_execnz .LBB1419_178
; %bb.179:
	s_or_b32 exec_lo, exec_lo, s19
.LBB1419_180:
	s_delay_alu instid0(SALU_CYCLE_1)
	s_or_b32 exec_lo, exec_lo, s18
	v_cmp_ne_u32_e32 vcc_lo, 31, v38
	v_lshlrev_b32_e64 v44, v38, -1
	v_dual_add_nc_u32 v46, 2, v38 :: v_dual_add_nc_u32 v48, 4, v38
	v_dual_add_nc_u32 v50, 8, v38 :: v_dual_add_nc_u32 v52, 16, v38
	v_add_co_ci_u32_e64 v23, null, 0, v38, vcc_lo
	v_lshl_or_b32 v51, v38, 2, 64
	s_delay_alu instid0(VALU_DEP_2)
	v_lshlrev_b32_e32 v43, 2, v23
	v_and_b32_e32 v23, 0xff, v27
	ds_bpermute_b32 v25, v43, v26
	v_cmp_eq_u16_e32 vcc_lo, 2, v23
	v_and_or_b32 v23, vcc_lo, v44, 0x80000000
	v_cmp_gt_u32_e32 vcc_lo, 30, v38
	s_delay_alu instid0(VALU_DEP_2) | instskip(SKIP_1) | instid1(VALU_DEP_2)
	v_ctz_i32_b32_e32 v23, v23
	v_cndmask_b32_e64 v28, 0, 2, vcc_lo
	v_cmp_lt_u32_e32 vcc_lo, v38, v23
	s_delay_alu instid0(VALU_DEP_2)
	v_add_lshl_u32 v45, v28, v38, 2
	s_wait_dscnt 0x0
	v_cndmask_b32_e32 v25, 0, v25, vcc_lo
	v_cmp_gt_u32_e32 vcc_lo, 28, v38
	v_cndmask_b32_e64 v28, 0, 4, vcc_lo
	v_cmp_le_u32_e32 vcc_lo, v46, v23
	s_delay_alu instid0(VALU_DEP_4) | instskip(NEXT) | instid1(VALU_DEP_3)
	v_add_nc_u32_e32 v25, v25, v26
	v_add_lshl_u32 v47, v28, v38, 2
	ds_bpermute_b32 v26, v45, v25
	s_wait_dscnt 0x0
	v_cndmask_b32_e32 v26, 0, v26, vcc_lo
	v_cmp_gt_u32_e32 vcc_lo, 24, v38
	v_cndmask_b32_e64 v28, 0, 8, vcc_lo
	v_cmp_le_u32_e32 vcc_lo, v48, v23
	s_delay_alu instid0(VALU_DEP_4) | instskip(NEXT) | instid1(VALU_DEP_3)
	v_add_nc_u32_e32 v25, v25, v26
	v_add_lshl_u32 v49, v28, v38, 2
	ds_bpermute_b32 v26, v47, v25
	s_wait_dscnt 0x0
	v_cndmask_b32_e32 v26, 0, v26, vcc_lo
	v_cmp_le_u32_e32 vcc_lo, v50, v23
	s_delay_alu instid0(VALU_DEP_2) | instskip(SKIP_4) | instid1(VALU_DEP_2)
	v_add_nc_u32_e32 v25, v25, v26
	ds_bpermute_b32 v26, v49, v25
	s_wait_dscnt 0x0
	v_cndmask_b32_e32 v26, 0, v26, vcc_lo
	v_cmp_le_u32_e32 vcc_lo, v52, v23
	v_add_nc_u32_e32 v25, v25, v26
	ds_bpermute_b32 v26, v51, v25
	s_wait_dscnt 0x0
	v_cndmask_b32_e32 v23, 0, v26, vcc_lo
	s_delay_alu instid0(VALU_DEP_1)
	v_dual_mov_b32 v25, 0 :: v_dual_add_nc_u32 v26, v25, v23
	s_branch .LBB1419_183
.LBB1419_181:                           ;   in Loop: Header=BB1419_183 Depth=1
	s_or_b32 exec_lo, exec_lo, s18
	v_and_b32_e32 v28, 0xff, v27
	ds_bpermute_b32 v29, v43, v26
	v_subrev_nc_u32_e32 v24, 32, v24
	s_mov_b32 s18, 0
	v_cmp_eq_u16_e32 vcc_lo, 2, v28
	v_and_or_b32 v28, vcc_lo, v44, 0x80000000
	s_delay_alu instid0(VALU_DEP_1) | instskip(NEXT) | instid1(VALU_DEP_1)
	v_ctz_i32_b32_e32 v28, v28
	v_cmp_lt_u32_e32 vcc_lo, v38, v28
	s_wait_dscnt 0x0
	v_cndmask_b32_e32 v29, 0, v29, vcc_lo
	v_cmp_le_u32_e32 vcc_lo, v46, v28
	s_delay_alu instid0(VALU_DEP_2) | instskip(SKIP_4) | instid1(VALU_DEP_2)
	v_add_nc_u32_e32 v26, v29, v26
	ds_bpermute_b32 v29, v45, v26
	s_wait_dscnt 0x0
	v_cndmask_b32_e32 v29, 0, v29, vcc_lo
	v_cmp_le_u32_e32 vcc_lo, v48, v28
	v_add_nc_u32_e32 v26, v26, v29
	ds_bpermute_b32 v29, v47, v26
	s_wait_dscnt 0x0
	v_cndmask_b32_e32 v29, 0, v29, vcc_lo
	v_cmp_le_u32_e32 vcc_lo, v50, v28
	s_delay_alu instid0(VALU_DEP_2) | instskip(SKIP_4) | instid1(VALU_DEP_2)
	v_add_nc_u32_e32 v26, v26, v29
	ds_bpermute_b32 v29, v49, v26
	s_wait_dscnt 0x0
	v_cndmask_b32_e32 v29, 0, v29, vcc_lo
	v_cmp_le_u32_e32 vcc_lo, v52, v28
	v_add_nc_u32_e32 v26, v26, v29
	ds_bpermute_b32 v29, v51, v26
	s_wait_dscnt 0x0
	v_cndmask_b32_e32 v28, 0, v29, vcc_lo
	s_delay_alu instid0(VALU_DEP_1)
	v_add3_u32 v26, v28, v23, v26
.LBB1419_182:                           ;   in Loop: Header=BB1419_183 Depth=1
	s_and_b32 vcc_lo, exec_lo, s18
	s_cbranch_vccnz .LBB1419_188
.LBB1419_183:                           ; =>This Loop Header: Depth=1
                                        ;     Child Loop BB1419_186 Depth 2
	v_and_b32_e32 v23, 0xff, v27
	s_mov_b32 s18, -1
                                        ; implicit-def: $vgpr27
	s_delay_alu instid0(VALU_DEP_1)
	v_cmp_ne_u16_e32 vcc_lo, 2, v23
	v_mov_b32_e32 v23, v26
                                        ; implicit-def: $vgpr26
	s_cmp_lg_u32 vcc_lo, exec_lo
	s_cbranch_scc1 .LBB1419_182
; %bb.184:                              ;   in Loop: Header=BB1419_183 Depth=1
	global_load_b64 v[26:27], v24, s[10:11] scale_offset scope:SCOPE_DEV
	s_mov_b32 s18, exec_lo
	s_wait_loadcnt 0x0
	v_and_b32_e32 v28, 0xff, v27
	s_wait_xcnt 0x0
	s_delay_alu instid0(VALU_DEP_1)
	v_cmpx_eq_u16_e32 0, v28
	s_cbranch_execz .LBB1419_181
; %bb.185:                              ;   in Loop: Header=BB1419_183 Depth=1
	v_lshl_add_u64 v[28:29], v[24:25], 3, s[10:11]
	s_mov_b32 s19, 0
.LBB1419_186:                           ;   Parent Loop BB1419_183 Depth=1
                                        ; =>  This Inner Loop Header: Depth=2
	global_load_b64 v[26:27], v[28:29], off scope:SCOPE_DEV
	s_wait_loadcnt 0x0
	v_and_b32_e32 v53, 0xff, v27
	s_delay_alu instid0(VALU_DEP_1)
	v_cmp_ne_u16_e32 vcc_lo, 0, v53
	s_or_b32 s19, vcc_lo, s19
	s_wait_xcnt 0x0
	s_and_not1_b32 exec_lo, exec_lo, s19
	s_cbranch_execnz .LBB1419_186
; %bb.187:                              ;   in Loop: Header=BB1419_183 Depth=1
	s_or_b32 exec_lo, exec_lo, s19
	s_branch .LBB1419_181
.LBB1419_188:
	s_and_saveexec_b32 s18, s8
	s_cbranch_execz .LBB1419_190
; %bb.189:
	s_add_co_i32 s19, s20, 32
	v_dual_mov_b32 v25, 2 :: v_dual_add_nc_u32 v24, v23, v22
	v_dual_mov_b32 v26, s19 :: v_dual_mov_b32 v27, 0
	global_store_b64 v26, v[24:25], s[10:11] scale_offset scope:SCOPE_DEV
	ds_store_b64 v27, v[22:23] offset:28672
.LBB1419_190:
	s_wait_xcnt 0x0
	s_or_b32 exec_lo, exec_lo, s18
	v_cmp_eq_u32_e32 vcc_lo, 0, v0
	s_and_b32 exec_lo, exec_lo, vcc_lo
; %bb.191:
	v_mov_b32_e32 v22, 0
	ds_store_b32 v22, v23 offset:60
.LBB1419_192:
	s_or_b32 exec_lo, exec_lo, s9
	s_wait_dscnt 0x0
	v_dual_mov_b32 v22, 0 :: v_dual_cndmask_b32 v24, v42, v41, s8
	s_wait_storecnt 0x0
	s_barrier_signal -1
	s_barrier_wait -1
	ds_load_b32 v23, v22 offset:60
	v_cmp_ne_u32_e32 vcc_lo, 0, v0
	s_wait_dscnt 0x0
	s_barrier_signal -1
	s_barrier_wait -1
	v_cndmask_b32_e32 v24, 0, v24, vcc_lo
	s_mov_b32 s8, 0
	s_delay_alu instid0(VALU_DEP_1) | instskip(SKIP_2) | instid1(VALU_DEP_1)
	v_add_nc_u32_e32 v42, v23, v24
	ds_load_b64 v[22:23], v22 offset:28672
	v_add_nc_u32_e32 v41, v42, v19
	v_add_nc_u32_e32 v29, v41, v21
	s_delay_alu instid0(VALU_DEP_1) | instskip(SKIP_1) | instid1(VALU_DEP_1)
	v_add_nc_u32_e32 v28, v29, v34
	s_wait_dscnt 0x0
	v_dual_mov_b32 v24, v23 :: v_dual_add_nc_u32 v27, v28, v35
	s_delay_alu instid0(VALU_DEP_1) | instskip(NEXT) | instid1(VALU_DEP_1)
	v_add_nc_u32_e32 v26, v27, v36
	v_add_nc_u32_e32 v25, v26, v37
.LBB1419_193:
	s_and_b32 vcc_lo, exec_lo, s8
	s_cbranch_vccz .LBB1419_203
; %bb.194:
	v_mov_b32_dpp v22, v40 row_shr:1 row_mask:0xf bank_mask:0xf
	s_delay_alu instid0(VALU_DEP_1) | instskip(NEXT) | instid1(VALU_DEP_1)
	v_cndmask_b32_e64 v22, v22, 0, s2
	v_add_nc_u32_e32 v22, v22, v40
	s_delay_alu instid0(VALU_DEP_1) | instskip(NEXT) | instid1(VALU_DEP_1)
	v_mov_b32_dpp v23, v22 row_shr:2 row_mask:0xf bank_mask:0xf
	v_cndmask_b32_e64 v23, 0, v23, s4
	s_delay_alu instid0(VALU_DEP_1) | instskip(NEXT) | instid1(VALU_DEP_1)
	v_add_nc_u32_e32 v22, v22, v23
	v_mov_b32_dpp v23, v22 row_shr:4 row_mask:0xf bank_mask:0xf
	s_delay_alu instid0(VALU_DEP_1) | instskip(NEXT) | instid1(VALU_DEP_1)
	v_cndmask_b32_e64 v23, 0, v23, s5
	v_add_nc_u32_e32 v22, v22, v23
	s_delay_alu instid0(VALU_DEP_1) | instskip(NEXT) | instid1(VALU_DEP_1)
	v_mov_b32_dpp v23, v22 row_shr:8 row_mask:0xf bank_mask:0xf
	v_cndmask_b32_e64 v23, 0, v23, s3
	s_delay_alu instid0(VALU_DEP_1) | instskip(SKIP_3) | instid1(VALU_DEP_1)
	v_add_nc_u32_e32 v22, v22, v23
	ds_swizzle_b32 v23, v22 offset:swizzle(BROADCAST,32,15)
	s_wait_dscnt 0x0
	v_cndmask_b32_e64 v23, v23, 0, s7
	v_add_nc_u32_e32 v22, v22, v23
	s_and_saveexec_b32 s7, s6
; %bb.195:
	v_lshlrev_b32_e32 v23, 2, v39
	ds_store_b32 v23, v22
; %bb.196:
	s_or_b32 exec_lo, exec_lo, s7
	s_delay_alu instid0(SALU_CYCLE_1)
	s_mov_b32 s6, exec_lo
	s_wait_dscnt 0x0
	s_barrier_signal -1
	s_barrier_wait -1
	v_cmpx_gt_u32_e32 16, v0
	s_cbranch_execz .LBB1419_198
; %bb.197:
	v_lshlrev_b32_e32 v23, 2, v0
	ds_load_b32 v24, v23
	s_wait_dscnt 0x0
	v_mov_b32_dpp v25, v24 row_shr:1 row_mask:0xf bank_mask:0xf
	s_delay_alu instid0(VALU_DEP_1) | instskip(NEXT) | instid1(VALU_DEP_1)
	v_cndmask_b32_e64 v25, v25, 0, s2
	v_add_nc_u32_e32 v24, v25, v24
	s_delay_alu instid0(VALU_DEP_1) | instskip(NEXT) | instid1(VALU_DEP_1)
	v_mov_b32_dpp v25, v24 row_shr:2 row_mask:0xf bank_mask:0xf
	v_cndmask_b32_e64 v25, 0, v25, s4
	s_delay_alu instid0(VALU_DEP_1) | instskip(NEXT) | instid1(VALU_DEP_1)
	v_add_nc_u32_e32 v24, v24, v25
	v_mov_b32_dpp v25, v24 row_shr:4 row_mask:0xf bank_mask:0xf
	s_delay_alu instid0(VALU_DEP_1) | instskip(NEXT) | instid1(VALU_DEP_1)
	v_cndmask_b32_e64 v25, 0, v25, s5
	v_add_nc_u32_e32 v24, v24, v25
	s_delay_alu instid0(VALU_DEP_1) | instskip(NEXT) | instid1(VALU_DEP_1)
	v_mov_b32_dpp v25, v24 row_shr:8 row_mask:0xf bank_mask:0xf
	v_cndmask_b32_e64 v25, 0, v25, s3
	s_delay_alu instid0(VALU_DEP_1)
	v_add_nc_u32_e32 v24, v24, v25
	ds_store_b32 v23, v24
.LBB1419_198:
	s_or_b32 exec_lo, exec_lo, s6
	v_dual_mov_b32 v23, 0 :: v_dual_mov_b32 v24, 0
	s_mov_b32 s2, exec_lo
	s_wait_dscnt 0x0
	s_barrier_signal -1
	s_barrier_wait -1
	v_cmpx_lt_u32_e32 31, v0
; %bb.199:
	v_lshl_add_u32 v24, v39, 2, -4
	ds_load_b32 v24, v24
; %bb.200:
	s_or_b32 exec_lo, exec_lo, s2
	v_sub_co_u32 v25, vcc_lo, v38, 1
	s_delay_alu instid0(VALU_DEP_1) | instskip(NEXT) | instid1(VALU_DEP_1)
	v_cmp_gt_i32_e64 s2, 0, v25
	v_cndmask_b32_e64 v25, v25, v38, s2
	s_wait_dscnt 0x0
	v_add_nc_u32_e32 v22, v24, v22
	v_cmp_eq_u32_e64 s2, 0, v0
	s_delay_alu instid0(VALU_DEP_3)
	v_lshlrev_b32_e32 v25, 2, v25
	ds_bpermute_b32 v25, v25, v22
	ds_load_b32 v22, v23 offset:60
	s_and_saveexec_b32 s3, s2
	s_cbranch_execz .LBB1419_202
; %bb.201:
	v_dual_mov_b32 v26, 0 :: v_dual_mov_b32 v23, 2
	s_wait_dscnt 0x0
	global_store_b64 v26, v[22:23], s[10:11] offset:256 scope:SCOPE_DEV
.LBB1419_202:
	s_wait_xcnt 0x0
	s_or_b32 exec_lo, exec_lo, s3
	s_wait_dscnt 0x1
	v_cndmask_b32_e32 v23, v25, v24, vcc_lo
	s_wait_storecnt_dscnt 0x0
	s_barrier_signal -1
	s_barrier_wait -1
	s_delay_alu instid0(VALU_DEP_1) | instskip(NEXT) | instid1(VALU_DEP_1)
	v_cndmask_b32_e64 v42, v23, 0, s2
	v_dual_mov_b32 v24, 0 :: v_dual_add_nc_u32 v41, v42, v19
	s_delay_alu instid0(VALU_DEP_1) | instskip(NEXT) | instid1(VALU_DEP_1)
	v_add_nc_u32_e32 v29, v41, v21
	v_add_nc_u32_e32 v28, v29, v34
	s_delay_alu instid0(VALU_DEP_1) | instskip(NEXT) | instid1(VALU_DEP_1)
	v_add_nc_u32_e32 v27, v28, v35
	v_add_nc_u32_e32 v26, v27, v36
	s_delay_alu instid0(VALU_DEP_1)
	v_add_nc_u32_e32 v25, v26, v37
.LBB1419_203:
	s_load_b64 s[2:3], s[0:1], 0x28
	v_and_b32_e32 v16, 1, v16
	v_cmp_gt_u32_e32 vcc_lo, 0x201, v22
	s_wait_xcnt 0x0
	s_mov_b32 s1, -1
	s_delay_alu instid0(VALU_DEP_2)
	v_cmp_eq_u32_e64 s0, 1, v16
	s_cbranch_vccnz .LBB1419_207
; %bb.204:
	s_and_b32 vcc_lo, exec_lo, s1
	s_cbranch_vccnz .LBB1419_222
.LBB1419_205:
	v_cmp_eq_u32_e32 vcc_lo, 0, v0
	s_and_b32 s0, vcc_lo, s16
	s_delay_alu instid0(SALU_CYCLE_1)
	s_and_saveexec_b32 s1, s0
	s_cbranch_execnz .LBB1419_239
.LBB1419_206:
	s_endpgm
.LBB1419_207:
	v_add_nc_u32_e32 v19, v24, v22
	s_delay_alu instid0(VALU_DEP_1) | instskip(SKIP_1) | instid1(SALU_CYCLE_1)
	v_cmp_lt_u32_e32 vcc_lo, v42, v19
	s_or_b32 s1, s17, vcc_lo
	s_and_b32 s1, s1, s0
	s_delay_alu instid0(SALU_CYCLE_1)
	s_and_saveexec_b32 s0, s1
	s_cbranch_execz .LBB1419_209
; %bb.208:
	s_lshl_b64 s[4:5], s[14:15], 3
	s_wait_kmcnt 0x0
	s_add_nc_u64 s[4:5], s[2:3], s[4:5]
	global_store_b64 v42, v[10:11], s[4:5] scale_offset
.LBB1419_209:
	s_wait_xcnt 0x0
	s_or_b32 exec_lo, exec_lo, s0
	v_and_b32_e32 v21, 1, v33
	v_cmp_lt_u32_e32 vcc_lo, v41, v19
	s_delay_alu instid0(VALU_DEP_2) | instskip(SKIP_1) | instid1(SALU_CYCLE_1)
	v_cmp_eq_u32_e64 s0, 1, v21
	s_or_b32 s1, s17, vcc_lo
	s_and_b32 s1, s1, s0
	s_delay_alu instid0(SALU_CYCLE_1)
	s_and_saveexec_b32 s0, s1
	s_cbranch_execz .LBB1419_211
; %bb.210:
	s_lshl_b64 s[4:5], s[14:15], 3
	s_wait_kmcnt 0x0
	s_add_nc_u64 s[4:5], s[2:3], s[4:5]
	global_store_b64 v41, v[12:13], s[4:5] scale_offset
.LBB1419_211:
	s_wait_xcnt 0x0
	s_or_b32 exec_lo, exec_lo, s0
	v_and_b32_e32 v21, 1, v32
	v_cmp_lt_u32_e32 vcc_lo, v29, v19
	s_delay_alu instid0(VALU_DEP_2) | instskip(SKIP_1) | instid1(SALU_CYCLE_1)
	v_cmp_eq_u32_e64 s0, 1, v21
	;; [unrolled: 17-line block ×6, first 2 shown]
	s_or_b32 s1, s17, vcc_lo
	s_and_b32 s1, s1, s0
	s_delay_alu instid0(SALU_CYCLE_1)
	s_and_saveexec_b32 s0, s1
	s_cbranch_execz .LBB1419_221
; %bb.220:
	s_lshl_b64 s[4:5], s[14:15], 3
	s_wait_kmcnt 0x0
	s_add_nc_u64 s[4:5], s[2:3], s[4:5]
	global_store_b64 v25, v[14:15], s[4:5] scale_offset
.LBB1419_221:
	s_wait_xcnt 0x0
	s_or_b32 exec_lo, exec_lo, s0
	s_branch .LBB1419_205
.LBB1419_222:
	s_mov_b32 s0, exec_lo
	v_cmpx_eq_u32_e32 1, v16
; %bb.223:
	v_sub_nc_u32_e32 v16, v42, v24
	s_delay_alu instid0(VALU_DEP_1)
	v_lshlrev_b32_e32 v16, 3, v16
	ds_store_b64 v16, v[10:11]
; %bb.224:
	s_or_b32 exec_lo, exec_lo, s0
	v_and_b32_e32 v10, 1, v33
	s_mov_b32 s0, exec_lo
	s_delay_alu instid0(VALU_DEP_1)
	v_cmpx_eq_u32_e32 1, v10
; %bb.225:
	v_sub_nc_u32_e32 v10, v41, v24
	s_delay_alu instid0(VALU_DEP_1)
	v_lshlrev_b32_e32 v10, 3, v10
	ds_store_b64 v10, v[12:13]
; %bb.226:
	s_or_b32 exec_lo, exec_lo, s0
	v_and_b32_e32 v10, 1, v32
	s_mov_b32 s0, exec_lo
	s_delay_alu instid0(VALU_DEP_1)
	;; [unrolled: 11-line block ×6, first 2 shown]
	v_cmpx_eq_u32_e32 1, v2
; %bb.235:
	v_sub_nc_u32_e32 v2, v25, v24
	s_delay_alu instid0(VALU_DEP_1)
	v_lshlrev_b32_e32 v2, 3, v2
	ds_store_b64 v2, v[14:15]
; %bb.236:
	s_or_b32 exec_lo, exec_lo, s0
	v_mov_b32_e32 v25, 0
	s_lshl_b64 s[0:1], s[14:15], 3
	s_wait_storecnt_dscnt 0x0
	s_barrier_signal -1
	s_barrier_wait -1
	v_lshlrev_b64_e32 v[2:3], 3, v[24:25]
	v_mov_b32_e32 v19, v25
	s_delay_alu instid0(VALU_DEP_2) | instskip(SKIP_2) | instid1(VALU_DEP_1)
	v_add_nc_u64_e32 v[2:3], s[0:1], v[2:3]
	s_mov_b32 s0, 0
	s_wait_kmcnt 0x0
	v_add_nc_u64_e32 v[2:3], s[2:3], v[2:3]
	s_delay_alu instid0(VALU_DEP_1)
	v_add_nc_u64_e32 v[2:3], v[2:3], v[18:19]
.LBB1419_237:                           ; =>This Inner Loop Header: Depth=1
	ds_load_b64 v[4:5], v18
	v_add_nc_u32_e32 v1, 0x200, v1
	v_add_nc_u32_e32 v18, 0x1000, v18
	s_delay_alu instid0(VALU_DEP_2)
	v_cmp_ge_u32_e32 vcc_lo, v1, v22
	s_or_b32 s0, vcc_lo, s0
	s_wait_dscnt 0x0
	global_store_b64 v[2:3], v[4:5], off
	s_wait_xcnt 0x0
	v_add_nc_u64_e32 v[2:3], 0x1000, v[2:3]
	s_and_not1_b32 exec_lo, exec_lo, s0
	s_cbranch_execnz .LBB1419_237
; %bb.238:
	s_or_b32 exec_lo, exec_lo, s0
	v_cmp_eq_u32_e32 vcc_lo, 0, v0
	s_and_b32 s0, vcc_lo, s16
	s_delay_alu instid0(SALU_CYCLE_1)
	s_and_saveexec_b32 s1, s0
	s_cbranch_execz .LBB1419_206
.LBB1419_239:
	v_mov_b32_e32 v23, 0
	s_delay_alu instid0(VALU_DEP_1) | instskip(SKIP_1) | instid1(VALU_DEP_1)
	v_add_nc_u64_e32 v[0:1], s[14:15], v[22:23]
	v_mov_b32_e32 v25, v23
	v_add_nc_u64_e32 v[0:1], v[0:1], v[24:25]
	global_store_b64 v23, v[0:1], s[12:13]
	s_endpgm
	.section	.rodata,"a",@progbits
	.p2align	6, 0x0
	.amdhsa_kernel _ZN7rocprim17ROCPRIM_400000_NS6detail17trampoline_kernelINS0_14default_configENS1_25partition_config_selectorILNS1_17partition_subalgoE8ElNS0_10empty_typeEbEEZZNS1_14partition_implILS5_8ELb0ES3_jPlPS6_PKS6_NS0_5tupleIJS9_S6_EEENSD_IJSA_SA_EEENS0_18inequality_wrapperIZN2at6native12_GLOBAL__N_124unique_dim_cuda_templateItEESt5tupleIJNSH_6TensorESM_SM_EERKSM_lbbbEUlllE0_EEPmJS6_EEE10hipError_tPvRmT3_T4_T5_T6_T7_T9_mT8_P12ihipStream_tbDpT10_ENKUlT_T0_E_clISt17integral_constantIbLb0EES1C_EEDaS17_S18_EUlS17_E_NS1_11comp_targetILNS1_3genE0ELNS1_11target_archE4294967295ELNS1_3gpuE0ELNS1_3repE0EEENS1_30default_config_static_selectorELNS0_4arch9wavefront6targetE0EEEvT1_
		.amdhsa_group_segment_fixed_size 28680
		.amdhsa_private_segment_fixed_size 0
		.amdhsa_kernarg_size 120
		.amdhsa_user_sgpr_count 2
		.amdhsa_user_sgpr_dispatch_ptr 0
		.amdhsa_user_sgpr_queue_ptr 0
		.amdhsa_user_sgpr_kernarg_segment_ptr 1
		.amdhsa_user_sgpr_dispatch_id 0
		.amdhsa_user_sgpr_kernarg_preload_length 0
		.amdhsa_user_sgpr_kernarg_preload_offset 0
		.amdhsa_user_sgpr_private_segment_size 0
		.amdhsa_wavefront_size32 1
		.amdhsa_uses_dynamic_stack 0
		.amdhsa_enable_private_segment 0
		.amdhsa_system_sgpr_workgroup_id_x 1
		.amdhsa_system_sgpr_workgroup_id_y 0
		.amdhsa_system_sgpr_workgroup_id_z 0
		.amdhsa_system_sgpr_workgroup_info 0
		.amdhsa_system_vgpr_workitem_id 0
		.amdhsa_next_free_vgpr 54
		.amdhsa_next_free_sgpr 36
		.amdhsa_named_barrier_count 0
		.amdhsa_reserve_vcc 1
		.amdhsa_float_round_mode_32 0
		.amdhsa_float_round_mode_16_64 0
		.amdhsa_float_denorm_mode_32 3
		.amdhsa_float_denorm_mode_16_64 3
		.amdhsa_fp16_overflow 0
		.amdhsa_memory_ordered 1
		.amdhsa_forward_progress 1
		.amdhsa_inst_pref_size 82
		.amdhsa_round_robin_scheduling 0
		.amdhsa_exception_fp_ieee_invalid_op 0
		.amdhsa_exception_fp_denorm_src 0
		.amdhsa_exception_fp_ieee_div_zero 0
		.amdhsa_exception_fp_ieee_overflow 0
		.amdhsa_exception_fp_ieee_underflow 0
		.amdhsa_exception_fp_ieee_inexact 0
		.amdhsa_exception_int_div_zero 0
	.end_amdhsa_kernel
	.section	.text._ZN7rocprim17ROCPRIM_400000_NS6detail17trampoline_kernelINS0_14default_configENS1_25partition_config_selectorILNS1_17partition_subalgoE8ElNS0_10empty_typeEbEEZZNS1_14partition_implILS5_8ELb0ES3_jPlPS6_PKS6_NS0_5tupleIJS9_S6_EEENSD_IJSA_SA_EEENS0_18inequality_wrapperIZN2at6native12_GLOBAL__N_124unique_dim_cuda_templateItEESt5tupleIJNSH_6TensorESM_SM_EERKSM_lbbbEUlllE0_EEPmJS6_EEE10hipError_tPvRmT3_T4_T5_T6_T7_T9_mT8_P12ihipStream_tbDpT10_ENKUlT_T0_E_clISt17integral_constantIbLb0EES1C_EEDaS17_S18_EUlS17_E_NS1_11comp_targetILNS1_3genE0ELNS1_11target_archE4294967295ELNS1_3gpuE0ELNS1_3repE0EEENS1_30default_config_static_selectorELNS0_4arch9wavefront6targetE0EEEvT1_,"axG",@progbits,_ZN7rocprim17ROCPRIM_400000_NS6detail17trampoline_kernelINS0_14default_configENS1_25partition_config_selectorILNS1_17partition_subalgoE8ElNS0_10empty_typeEbEEZZNS1_14partition_implILS5_8ELb0ES3_jPlPS6_PKS6_NS0_5tupleIJS9_S6_EEENSD_IJSA_SA_EEENS0_18inequality_wrapperIZN2at6native12_GLOBAL__N_124unique_dim_cuda_templateItEESt5tupleIJNSH_6TensorESM_SM_EERKSM_lbbbEUlllE0_EEPmJS6_EEE10hipError_tPvRmT3_T4_T5_T6_T7_T9_mT8_P12ihipStream_tbDpT10_ENKUlT_T0_E_clISt17integral_constantIbLb0EES1C_EEDaS17_S18_EUlS17_E_NS1_11comp_targetILNS1_3genE0ELNS1_11target_archE4294967295ELNS1_3gpuE0ELNS1_3repE0EEENS1_30default_config_static_selectorELNS0_4arch9wavefront6targetE0EEEvT1_,comdat
.Lfunc_end1419:
	.size	_ZN7rocprim17ROCPRIM_400000_NS6detail17trampoline_kernelINS0_14default_configENS1_25partition_config_selectorILNS1_17partition_subalgoE8ElNS0_10empty_typeEbEEZZNS1_14partition_implILS5_8ELb0ES3_jPlPS6_PKS6_NS0_5tupleIJS9_S6_EEENSD_IJSA_SA_EEENS0_18inequality_wrapperIZN2at6native12_GLOBAL__N_124unique_dim_cuda_templateItEESt5tupleIJNSH_6TensorESM_SM_EERKSM_lbbbEUlllE0_EEPmJS6_EEE10hipError_tPvRmT3_T4_T5_T6_T7_T9_mT8_P12ihipStream_tbDpT10_ENKUlT_T0_E_clISt17integral_constantIbLb0EES1C_EEDaS17_S18_EUlS17_E_NS1_11comp_targetILNS1_3genE0ELNS1_11target_archE4294967295ELNS1_3gpuE0ELNS1_3repE0EEENS1_30default_config_static_selectorELNS0_4arch9wavefront6targetE0EEEvT1_, .Lfunc_end1419-_ZN7rocprim17ROCPRIM_400000_NS6detail17trampoline_kernelINS0_14default_configENS1_25partition_config_selectorILNS1_17partition_subalgoE8ElNS0_10empty_typeEbEEZZNS1_14partition_implILS5_8ELb0ES3_jPlPS6_PKS6_NS0_5tupleIJS9_S6_EEENSD_IJSA_SA_EEENS0_18inequality_wrapperIZN2at6native12_GLOBAL__N_124unique_dim_cuda_templateItEESt5tupleIJNSH_6TensorESM_SM_EERKSM_lbbbEUlllE0_EEPmJS6_EEE10hipError_tPvRmT3_T4_T5_T6_T7_T9_mT8_P12ihipStream_tbDpT10_ENKUlT_T0_E_clISt17integral_constantIbLb0EES1C_EEDaS17_S18_EUlS17_E_NS1_11comp_targetILNS1_3genE0ELNS1_11target_archE4294967295ELNS1_3gpuE0ELNS1_3repE0EEENS1_30default_config_static_selectorELNS0_4arch9wavefront6targetE0EEEvT1_
                                        ; -- End function
	.set _ZN7rocprim17ROCPRIM_400000_NS6detail17trampoline_kernelINS0_14default_configENS1_25partition_config_selectorILNS1_17partition_subalgoE8ElNS0_10empty_typeEbEEZZNS1_14partition_implILS5_8ELb0ES3_jPlPS6_PKS6_NS0_5tupleIJS9_S6_EEENSD_IJSA_SA_EEENS0_18inequality_wrapperIZN2at6native12_GLOBAL__N_124unique_dim_cuda_templateItEESt5tupleIJNSH_6TensorESM_SM_EERKSM_lbbbEUlllE0_EEPmJS6_EEE10hipError_tPvRmT3_T4_T5_T6_T7_T9_mT8_P12ihipStream_tbDpT10_ENKUlT_T0_E_clISt17integral_constantIbLb0EES1C_EEDaS17_S18_EUlS17_E_NS1_11comp_targetILNS1_3genE0ELNS1_11target_archE4294967295ELNS1_3gpuE0ELNS1_3repE0EEENS1_30default_config_static_selectorELNS0_4arch9wavefront6targetE0EEEvT1_.num_vgpr, 54
	.set _ZN7rocprim17ROCPRIM_400000_NS6detail17trampoline_kernelINS0_14default_configENS1_25partition_config_selectorILNS1_17partition_subalgoE8ElNS0_10empty_typeEbEEZZNS1_14partition_implILS5_8ELb0ES3_jPlPS6_PKS6_NS0_5tupleIJS9_S6_EEENSD_IJSA_SA_EEENS0_18inequality_wrapperIZN2at6native12_GLOBAL__N_124unique_dim_cuda_templateItEESt5tupleIJNSH_6TensorESM_SM_EERKSM_lbbbEUlllE0_EEPmJS6_EEE10hipError_tPvRmT3_T4_T5_T6_T7_T9_mT8_P12ihipStream_tbDpT10_ENKUlT_T0_E_clISt17integral_constantIbLb0EES1C_EEDaS17_S18_EUlS17_E_NS1_11comp_targetILNS1_3genE0ELNS1_11target_archE4294967295ELNS1_3gpuE0ELNS1_3repE0EEENS1_30default_config_static_selectorELNS0_4arch9wavefront6targetE0EEEvT1_.num_agpr, 0
	.set _ZN7rocprim17ROCPRIM_400000_NS6detail17trampoline_kernelINS0_14default_configENS1_25partition_config_selectorILNS1_17partition_subalgoE8ElNS0_10empty_typeEbEEZZNS1_14partition_implILS5_8ELb0ES3_jPlPS6_PKS6_NS0_5tupleIJS9_S6_EEENSD_IJSA_SA_EEENS0_18inequality_wrapperIZN2at6native12_GLOBAL__N_124unique_dim_cuda_templateItEESt5tupleIJNSH_6TensorESM_SM_EERKSM_lbbbEUlllE0_EEPmJS6_EEE10hipError_tPvRmT3_T4_T5_T6_T7_T9_mT8_P12ihipStream_tbDpT10_ENKUlT_T0_E_clISt17integral_constantIbLb0EES1C_EEDaS17_S18_EUlS17_E_NS1_11comp_targetILNS1_3genE0ELNS1_11target_archE4294967295ELNS1_3gpuE0ELNS1_3repE0EEENS1_30default_config_static_selectorELNS0_4arch9wavefront6targetE0EEEvT1_.numbered_sgpr, 36
	.set _ZN7rocprim17ROCPRIM_400000_NS6detail17trampoline_kernelINS0_14default_configENS1_25partition_config_selectorILNS1_17partition_subalgoE8ElNS0_10empty_typeEbEEZZNS1_14partition_implILS5_8ELb0ES3_jPlPS6_PKS6_NS0_5tupleIJS9_S6_EEENSD_IJSA_SA_EEENS0_18inequality_wrapperIZN2at6native12_GLOBAL__N_124unique_dim_cuda_templateItEESt5tupleIJNSH_6TensorESM_SM_EERKSM_lbbbEUlllE0_EEPmJS6_EEE10hipError_tPvRmT3_T4_T5_T6_T7_T9_mT8_P12ihipStream_tbDpT10_ENKUlT_T0_E_clISt17integral_constantIbLb0EES1C_EEDaS17_S18_EUlS17_E_NS1_11comp_targetILNS1_3genE0ELNS1_11target_archE4294967295ELNS1_3gpuE0ELNS1_3repE0EEENS1_30default_config_static_selectorELNS0_4arch9wavefront6targetE0EEEvT1_.num_named_barrier, 0
	.set _ZN7rocprim17ROCPRIM_400000_NS6detail17trampoline_kernelINS0_14default_configENS1_25partition_config_selectorILNS1_17partition_subalgoE8ElNS0_10empty_typeEbEEZZNS1_14partition_implILS5_8ELb0ES3_jPlPS6_PKS6_NS0_5tupleIJS9_S6_EEENSD_IJSA_SA_EEENS0_18inequality_wrapperIZN2at6native12_GLOBAL__N_124unique_dim_cuda_templateItEESt5tupleIJNSH_6TensorESM_SM_EERKSM_lbbbEUlllE0_EEPmJS6_EEE10hipError_tPvRmT3_T4_T5_T6_T7_T9_mT8_P12ihipStream_tbDpT10_ENKUlT_T0_E_clISt17integral_constantIbLb0EES1C_EEDaS17_S18_EUlS17_E_NS1_11comp_targetILNS1_3genE0ELNS1_11target_archE4294967295ELNS1_3gpuE0ELNS1_3repE0EEENS1_30default_config_static_selectorELNS0_4arch9wavefront6targetE0EEEvT1_.private_seg_size, 0
	.set _ZN7rocprim17ROCPRIM_400000_NS6detail17trampoline_kernelINS0_14default_configENS1_25partition_config_selectorILNS1_17partition_subalgoE8ElNS0_10empty_typeEbEEZZNS1_14partition_implILS5_8ELb0ES3_jPlPS6_PKS6_NS0_5tupleIJS9_S6_EEENSD_IJSA_SA_EEENS0_18inequality_wrapperIZN2at6native12_GLOBAL__N_124unique_dim_cuda_templateItEESt5tupleIJNSH_6TensorESM_SM_EERKSM_lbbbEUlllE0_EEPmJS6_EEE10hipError_tPvRmT3_T4_T5_T6_T7_T9_mT8_P12ihipStream_tbDpT10_ENKUlT_T0_E_clISt17integral_constantIbLb0EES1C_EEDaS17_S18_EUlS17_E_NS1_11comp_targetILNS1_3genE0ELNS1_11target_archE4294967295ELNS1_3gpuE0ELNS1_3repE0EEENS1_30default_config_static_selectorELNS0_4arch9wavefront6targetE0EEEvT1_.uses_vcc, 1
	.set _ZN7rocprim17ROCPRIM_400000_NS6detail17trampoline_kernelINS0_14default_configENS1_25partition_config_selectorILNS1_17partition_subalgoE8ElNS0_10empty_typeEbEEZZNS1_14partition_implILS5_8ELb0ES3_jPlPS6_PKS6_NS0_5tupleIJS9_S6_EEENSD_IJSA_SA_EEENS0_18inequality_wrapperIZN2at6native12_GLOBAL__N_124unique_dim_cuda_templateItEESt5tupleIJNSH_6TensorESM_SM_EERKSM_lbbbEUlllE0_EEPmJS6_EEE10hipError_tPvRmT3_T4_T5_T6_T7_T9_mT8_P12ihipStream_tbDpT10_ENKUlT_T0_E_clISt17integral_constantIbLb0EES1C_EEDaS17_S18_EUlS17_E_NS1_11comp_targetILNS1_3genE0ELNS1_11target_archE4294967295ELNS1_3gpuE0ELNS1_3repE0EEENS1_30default_config_static_selectorELNS0_4arch9wavefront6targetE0EEEvT1_.uses_flat_scratch, 0
	.set _ZN7rocprim17ROCPRIM_400000_NS6detail17trampoline_kernelINS0_14default_configENS1_25partition_config_selectorILNS1_17partition_subalgoE8ElNS0_10empty_typeEbEEZZNS1_14partition_implILS5_8ELb0ES3_jPlPS6_PKS6_NS0_5tupleIJS9_S6_EEENSD_IJSA_SA_EEENS0_18inequality_wrapperIZN2at6native12_GLOBAL__N_124unique_dim_cuda_templateItEESt5tupleIJNSH_6TensorESM_SM_EERKSM_lbbbEUlllE0_EEPmJS6_EEE10hipError_tPvRmT3_T4_T5_T6_T7_T9_mT8_P12ihipStream_tbDpT10_ENKUlT_T0_E_clISt17integral_constantIbLb0EES1C_EEDaS17_S18_EUlS17_E_NS1_11comp_targetILNS1_3genE0ELNS1_11target_archE4294967295ELNS1_3gpuE0ELNS1_3repE0EEENS1_30default_config_static_selectorELNS0_4arch9wavefront6targetE0EEEvT1_.has_dyn_sized_stack, 0
	.set _ZN7rocprim17ROCPRIM_400000_NS6detail17trampoline_kernelINS0_14default_configENS1_25partition_config_selectorILNS1_17partition_subalgoE8ElNS0_10empty_typeEbEEZZNS1_14partition_implILS5_8ELb0ES3_jPlPS6_PKS6_NS0_5tupleIJS9_S6_EEENSD_IJSA_SA_EEENS0_18inequality_wrapperIZN2at6native12_GLOBAL__N_124unique_dim_cuda_templateItEESt5tupleIJNSH_6TensorESM_SM_EERKSM_lbbbEUlllE0_EEPmJS6_EEE10hipError_tPvRmT3_T4_T5_T6_T7_T9_mT8_P12ihipStream_tbDpT10_ENKUlT_T0_E_clISt17integral_constantIbLb0EES1C_EEDaS17_S18_EUlS17_E_NS1_11comp_targetILNS1_3genE0ELNS1_11target_archE4294967295ELNS1_3gpuE0ELNS1_3repE0EEENS1_30default_config_static_selectorELNS0_4arch9wavefront6targetE0EEEvT1_.has_recursion, 0
	.set _ZN7rocprim17ROCPRIM_400000_NS6detail17trampoline_kernelINS0_14default_configENS1_25partition_config_selectorILNS1_17partition_subalgoE8ElNS0_10empty_typeEbEEZZNS1_14partition_implILS5_8ELb0ES3_jPlPS6_PKS6_NS0_5tupleIJS9_S6_EEENSD_IJSA_SA_EEENS0_18inequality_wrapperIZN2at6native12_GLOBAL__N_124unique_dim_cuda_templateItEESt5tupleIJNSH_6TensorESM_SM_EERKSM_lbbbEUlllE0_EEPmJS6_EEE10hipError_tPvRmT3_T4_T5_T6_T7_T9_mT8_P12ihipStream_tbDpT10_ENKUlT_T0_E_clISt17integral_constantIbLb0EES1C_EEDaS17_S18_EUlS17_E_NS1_11comp_targetILNS1_3genE0ELNS1_11target_archE4294967295ELNS1_3gpuE0ELNS1_3repE0EEENS1_30default_config_static_selectorELNS0_4arch9wavefront6targetE0EEEvT1_.has_indirect_call, 0
	.section	.AMDGPU.csdata,"",@progbits
; Kernel info:
; codeLenInByte = 10408
; TotalNumSgprs: 38
; NumVgprs: 54
; ScratchSize: 0
; MemoryBound: 0
; FloatMode: 240
; IeeeMode: 1
; LDSByteSize: 28680 bytes/workgroup (compile time only)
; SGPRBlocks: 0
; VGPRBlocks: 3
; NumSGPRsForWavesPerEU: 38
; NumVGPRsForWavesPerEU: 54
; NamedBarCnt: 0
; Occupancy: 16
; WaveLimiterHint : 1
; COMPUTE_PGM_RSRC2:SCRATCH_EN: 0
; COMPUTE_PGM_RSRC2:USER_SGPR: 2
; COMPUTE_PGM_RSRC2:TRAP_HANDLER: 0
; COMPUTE_PGM_RSRC2:TGID_X_EN: 1
; COMPUTE_PGM_RSRC2:TGID_Y_EN: 0
; COMPUTE_PGM_RSRC2:TGID_Z_EN: 0
; COMPUTE_PGM_RSRC2:TIDIG_COMP_CNT: 0
	.section	.text._ZN7rocprim17ROCPRIM_400000_NS6detail17trampoline_kernelINS0_14default_configENS1_25partition_config_selectorILNS1_17partition_subalgoE8ElNS0_10empty_typeEbEEZZNS1_14partition_implILS5_8ELb0ES3_jPlPS6_PKS6_NS0_5tupleIJS9_S6_EEENSD_IJSA_SA_EEENS0_18inequality_wrapperIZN2at6native12_GLOBAL__N_124unique_dim_cuda_templateItEESt5tupleIJNSH_6TensorESM_SM_EERKSM_lbbbEUlllE0_EEPmJS6_EEE10hipError_tPvRmT3_T4_T5_T6_T7_T9_mT8_P12ihipStream_tbDpT10_ENKUlT_T0_E_clISt17integral_constantIbLb0EES1C_EEDaS17_S18_EUlS17_E_NS1_11comp_targetILNS1_3genE5ELNS1_11target_archE942ELNS1_3gpuE9ELNS1_3repE0EEENS1_30default_config_static_selectorELNS0_4arch9wavefront6targetE0EEEvT1_,"axG",@progbits,_ZN7rocprim17ROCPRIM_400000_NS6detail17trampoline_kernelINS0_14default_configENS1_25partition_config_selectorILNS1_17partition_subalgoE8ElNS0_10empty_typeEbEEZZNS1_14partition_implILS5_8ELb0ES3_jPlPS6_PKS6_NS0_5tupleIJS9_S6_EEENSD_IJSA_SA_EEENS0_18inequality_wrapperIZN2at6native12_GLOBAL__N_124unique_dim_cuda_templateItEESt5tupleIJNSH_6TensorESM_SM_EERKSM_lbbbEUlllE0_EEPmJS6_EEE10hipError_tPvRmT3_T4_T5_T6_T7_T9_mT8_P12ihipStream_tbDpT10_ENKUlT_T0_E_clISt17integral_constantIbLb0EES1C_EEDaS17_S18_EUlS17_E_NS1_11comp_targetILNS1_3genE5ELNS1_11target_archE942ELNS1_3gpuE9ELNS1_3repE0EEENS1_30default_config_static_selectorELNS0_4arch9wavefront6targetE0EEEvT1_,comdat
	.globl	_ZN7rocprim17ROCPRIM_400000_NS6detail17trampoline_kernelINS0_14default_configENS1_25partition_config_selectorILNS1_17partition_subalgoE8ElNS0_10empty_typeEbEEZZNS1_14partition_implILS5_8ELb0ES3_jPlPS6_PKS6_NS0_5tupleIJS9_S6_EEENSD_IJSA_SA_EEENS0_18inequality_wrapperIZN2at6native12_GLOBAL__N_124unique_dim_cuda_templateItEESt5tupleIJNSH_6TensorESM_SM_EERKSM_lbbbEUlllE0_EEPmJS6_EEE10hipError_tPvRmT3_T4_T5_T6_T7_T9_mT8_P12ihipStream_tbDpT10_ENKUlT_T0_E_clISt17integral_constantIbLb0EES1C_EEDaS17_S18_EUlS17_E_NS1_11comp_targetILNS1_3genE5ELNS1_11target_archE942ELNS1_3gpuE9ELNS1_3repE0EEENS1_30default_config_static_selectorELNS0_4arch9wavefront6targetE0EEEvT1_ ; -- Begin function _ZN7rocprim17ROCPRIM_400000_NS6detail17trampoline_kernelINS0_14default_configENS1_25partition_config_selectorILNS1_17partition_subalgoE8ElNS0_10empty_typeEbEEZZNS1_14partition_implILS5_8ELb0ES3_jPlPS6_PKS6_NS0_5tupleIJS9_S6_EEENSD_IJSA_SA_EEENS0_18inequality_wrapperIZN2at6native12_GLOBAL__N_124unique_dim_cuda_templateItEESt5tupleIJNSH_6TensorESM_SM_EERKSM_lbbbEUlllE0_EEPmJS6_EEE10hipError_tPvRmT3_T4_T5_T6_T7_T9_mT8_P12ihipStream_tbDpT10_ENKUlT_T0_E_clISt17integral_constantIbLb0EES1C_EEDaS17_S18_EUlS17_E_NS1_11comp_targetILNS1_3genE5ELNS1_11target_archE942ELNS1_3gpuE9ELNS1_3repE0EEENS1_30default_config_static_selectorELNS0_4arch9wavefront6targetE0EEEvT1_
	.p2align	8
	.type	_ZN7rocprim17ROCPRIM_400000_NS6detail17trampoline_kernelINS0_14default_configENS1_25partition_config_selectorILNS1_17partition_subalgoE8ElNS0_10empty_typeEbEEZZNS1_14partition_implILS5_8ELb0ES3_jPlPS6_PKS6_NS0_5tupleIJS9_S6_EEENSD_IJSA_SA_EEENS0_18inequality_wrapperIZN2at6native12_GLOBAL__N_124unique_dim_cuda_templateItEESt5tupleIJNSH_6TensorESM_SM_EERKSM_lbbbEUlllE0_EEPmJS6_EEE10hipError_tPvRmT3_T4_T5_T6_T7_T9_mT8_P12ihipStream_tbDpT10_ENKUlT_T0_E_clISt17integral_constantIbLb0EES1C_EEDaS17_S18_EUlS17_E_NS1_11comp_targetILNS1_3genE5ELNS1_11target_archE942ELNS1_3gpuE9ELNS1_3repE0EEENS1_30default_config_static_selectorELNS0_4arch9wavefront6targetE0EEEvT1_,@function
_ZN7rocprim17ROCPRIM_400000_NS6detail17trampoline_kernelINS0_14default_configENS1_25partition_config_selectorILNS1_17partition_subalgoE8ElNS0_10empty_typeEbEEZZNS1_14partition_implILS5_8ELb0ES3_jPlPS6_PKS6_NS0_5tupleIJS9_S6_EEENSD_IJSA_SA_EEENS0_18inequality_wrapperIZN2at6native12_GLOBAL__N_124unique_dim_cuda_templateItEESt5tupleIJNSH_6TensorESM_SM_EERKSM_lbbbEUlllE0_EEPmJS6_EEE10hipError_tPvRmT3_T4_T5_T6_T7_T9_mT8_P12ihipStream_tbDpT10_ENKUlT_T0_E_clISt17integral_constantIbLb0EES1C_EEDaS17_S18_EUlS17_E_NS1_11comp_targetILNS1_3genE5ELNS1_11target_archE942ELNS1_3gpuE9ELNS1_3repE0EEENS1_30default_config_static_selectorELNS0_4arch9wavefront6targetE0EEEvT1_: ; @_ZN7rocprim17ROCPRIM_400000_NS6detail17trampoline_kernelINS0_14default_configENS1_25partition_config_selectorILNS1_17partition_subalgoE8ElNS0_10empty_typeEbEEZZNS1_14partition_implILS5_8ELb0ES3_jPlPS6_PKS6_NS0_5tupleIJS9_S6_EEENSD_IJSA_SA_EEENS0_18inequality_wrapperIZN2at6native12_GLOBAL__N_124unique_dim_cuda_templateItEESt5tupleIJNSH_6TensorESM_SM_EERKSM_lbbbEUlllE0_EEPmJS6_EEE10hipError_tPvRmT3_T4_T5_T6_T7_T9_mT8_P12ihipStream_tbDpT10_ENKUlT_T0_E_clISt17integral_constantIbLb0EES1C_EEDaS17_S18_EUlS17_E_NS1_11comp_targetILNS1_3genE5ELNS1_11target_archE942ELNS1_3gpuE9ELNS1_3repE0EEENS1_30default_config_static_selectorELNS0_4arch9wavefront6targetE0EEEvT1_
; %bb.0:
	.section	.rodata,"a",@progbits
	.p2align	6, 0x0
	.amdhsa_kernel _ZN7rocprim17ROCPRIM_400000_NS6detail17trampoline_kernelINS0_14default_configENS1_25partition_config_selectorILNS1_17partition_subalgoE8ElNS0_10empty_typeEbEEZZNS1_14partition_implILS5_8ELb0ES3_jPlPS6_PKS6_NS0_5tupleIJS9_S6_EEENSD_IJSA_SA_EEENS0_18inequality_wrapperIZN2at6native12_GLOBAL__N_124unique_dim_cuda_templateItEESt5tupleIJNSH_6TensorESM_SM_EERKSM_lbbbEUlllE0_EEPmJS6_EEE10hipError_tPvRmT3_T4_T5_T6_T7_T9_mT8_P12ihipStream_tbDpT10_ENKUlT_T0_E_clISt17integral_constantIbLb0EES1C_EEDaS17_S18_EUlS17_E_NS1_11comp_targetILNS1_3genE5ELNS1_11target_archE942ELNS1_3gpuE9ELNS1_3repE0EEENS1_30default_config_static_selectorELNS0_4arch9wavefront6targetE0EEEvT1_
		.amdhsa_group_segment_fixed_size 0
		.amdhsa_private_segment_fixed_size 0
		.amdhsa_kernarg_size 120
		.amdhsa_user_sgpr_count 2
		.amdhsa_user_sgpr_dispatch_ptr 0
		.amdhsa_user_sgpr_queue_ptr 0
		.amdhsa_user_sgpr_kernarg_segment_ptr 1
		.amdhsa_user_sgpr_dispatch_id 0
		.amdhsa_user_sgpr_kernarg_preload_length 0
		.amdhsa_user_sgpr_kernarg_preload_offset 0
		.amdhsa_user_sgpr_private_segment_size 0
		.amdhsa_wavefront_size32 1
		.amdhsa_uses_dynamic_stack 0
		.amdhsa_enable_private_segment 0
		.amdhsa_system_sgpr_workgroup_id_x 1
		.amdhsa_system_sgpr_workgroup_id_y 0
		.amdhsa_system_sgpr_workgroup_id_z 0
		.amdhsa_system_sgpr_workgroup_info 0
		.amdhsa_system_vgpr_workitem_id 0
		.amdhsa_next_free_vgpr 1
		.amdhsa_next_free_sgpr 1
		.amdhsa_named_barrier_count 0
		.amdhsa_reserve_vcc 0
		.amdhsa_float_round_mode_32 0
		.amdhsa_float_round_mode_16_64 0
		.amdhsa_float_denorm_mode_32 3
		.amdhsa_float_denorm_mode_16_64 3
		.amdhsa_fp16_overflow 0
		.amdhsa_memory_ordered 1
		.amdhsa_forward_progress 1
		.amdhsa_inst_pref_size 0
		.amdhsa_round_robin_scheduling 0
		.amdhsa_exception_fp_ieee_invalid_op 0
		.amdhsa_exception_fp_denorm_src 0
		.amdhsa_exception_fp_ieee_div_zero 0
		.amdhsa_exception_fp_ieee_overflow 0
		.amdhsa_exception_fp_ieee_underflow 0
		.amdhsa_exception_fp_ieee_inexact 0
		.amdhsa_exception_int_div_zero 0
	.end_amdhsa_kernel
	.section	.text._ZN7rocprim17ROCPRIM_400000_NS6detail17trampoline_kernelINS0_14default_configENS1_25partition_config_selectorILNS1_17partition_subalgoE8ElNS0_10empty_typeEbEEZZNS1_14partition_implILS5_8ELb0ES3_jPlPS6_PKS6_NS0_5tupleIJS9_S6_EEENSD_IJSA_SA_EEENS0_18inequality_wrapperIZN2at6native12_GLOBAL__N_124unique_dim_cuda_templateItEESt5tupleIJNSH_6TensorESM_SM_EERKSM_lbbbEUlllE0_EEPmJS6_EEE10hipError_tPvRmT3_T4_T5_T6_T7_T9_mT8_P12ihipStream_tbDpT10_ENKUlT_T0_E_clISt17integral_constantIbLb0EES1C_EEDaS17_S18_EUlS17_E_NS1_11comp_targetILNS1_3genE5ELNS1_11target_archE942ELNS1_3gpuE9ELNS1_3repE0EEENS1_30default_config_static_selectorELNS0_4arch9wavefront6targetE0EEEvT1_,"axG",@progbits,_ZN7rocprim17ROCPRIM_400000_NS6detail17trampoline_kernelINS0_14default_configENS1_25partition_config_selectorILNS1_17partition_subalgoE8ElNS0_10empty_typeEbEEZZNS1_14partition_implILS5_8ELb0ES3_jPlPS6_PKS6_NS0_5tupleIJS9_S6_EEENSD_IJSA_SA_EEENS0_18inequality_wrapperIZN2at6native12_GLOBAL__N_124unique_dim_cuda_templateItEESt5tupleIJNSH_6TensorESM_SM_EERKSM_lbbbEUlllE0_EEPmJS6_EEE10hipError_tPvRmT3_T4_T5_T6_T7_T9_mT8_P12ihipStream_tbDpT10_ENKUlT_T0_E_clISt17integral_constantIbLb0EES1C_EEDaS17_S18_EUlS17_E_NS1_11comp_targetILNS1_3genE5ELNS1_11target_archE942ELNS1_3gpuE9ELNS1_3repE0EEENS1_30default_config_static_selectorELNS0_4arch9wavefront6targetE0EEEvT1_,comdat
.Lfunc_end1420:
	.size	_ZN7rocprim17ROCPRIM_400000_NS6detail17trampoline_kernelINS0_14default_configENS1_25partition_config_selectorILNS1_17partition_subalgoE8ElNS0_10empty_typeEbEEZZNS1_14partition_implILS5_8ELb0ES3_jPlPS6_PKS6_NS0_5tupleIJS9_S6_EEENSD_IJSA_SA_EEENS0_18inequality_wrapperIZN2at6native12_GLOBAL__N_124unique_dim_cuda_templateItEESt5tupleIJNSH_6TensorESM_SM_EERKSM_lbbbEUlllE0_EEPmJS6_EEE10hipError_tPvRmT3_T4_T5_T6_T7_T9_mT8_P12ihipStream_tbDpT10_ENKUlT_T0_E_clISt17integral_constantIbLb0EES1C_EEDaS17_S18_EUlS17_E_NS1_11comp_targetILNS1_3genE5ELNS1_11target_archE942ELNS1_3gpuE9ELNS1_3repE0EEENS1_30default_config_static_selectorELNS0_4arch9wavefront6targetE0EEEvT1_, .Lfunc_end1420-_ZN7rocprim17ROCPRIM_400000_NS6detail17trampoline_kernelINS0_14default_configENS1_25partition_config_selectorILNS1_17partition_subalgoE8ElNS0_10empty_typeEbEEZZNS1_14partition_implILS5_8ELb0ES3_jPlPS6_PKS6_NS0_5tupleIJS9_S6_EEENSD_IJSA_SA_EEENS0_18inequality_wrapperIZN2at6native12_GLOBAL__N_124unique_dim_cuda_templateItEESt5tupleIJNSH_6TensorESM_SM_EERKSM_lbbbEUlllE0_EEPmJS6_EEE10hipError_tPvRmT3_T4_T5_T6_T7_T9_mT8_P12ihipStream_tbDpT10_ENKUlT_T0_E_clISt17integral_constantIbLb0EES1C_EEDaS17_S18_EUlS17_E_NS1_11comp_targetILNS1_3genE5ELNS1_11target_archE942ELNS1_3gpuE9ELNS1_3repE0EEENS1_30default_config_static_selectorELNS0_4arch9wavefront6targetE0EEEvT1_
                                        ; -- End function
	.set _ZN7rocprim17ROCPRIM_400000_NS6detail17trampoline_kernelINS0_14default_configENS1_25partition_config_selectorILNS1_17partition_subalgoE8ElNS0_10empty_typeEbEEZZNS1_14partition_implILS5_8ELb0ES3_jPlPS6_PKS6_NS0_5tupleIJS9_S6_EEENSD_IJSA_SA_EEENS0_18inequality_wrapperIZN2at6native12_GLOBAL__N_124unique_dim_cuda_templateItEESt5tupleIJNSH_6TensorESM_SM_EERKSM_lbbbEUlllE0_EEPmJS6_EEE10hipError_tPvRmT3_T4_T5_T6_T7_T9_mT8_P12ihipStream_tbDpT10_ENKUlT_T0_E_clISt17integral_constantIbLb0EES1C_EEDaS17_S18_EUlS17_E_NS1_11comp_targetILNS1_3genE5ELNS1_11target_archE942ELNS1_3gpuE9ELNS1_3repE0EEENS1_30default_config_static_selectorELNS0_4arch9wavefront6targetE0EEEvT1_.num_vgpr, 0
	.set _ZN7rocprim17ROCPRIM_400000_NS6detail17trampoline_kernelINS0_14default_configENS1_25partition_config_selectorILNS1_17partition_subalgoE8ElNS0_10empty_typeEbEEZZNS1_14partition_implILS5_8ELb0ES3_jPlPS6_PKS6_NS0_5tupleIJS9_S6_EEENSD_IJSA_SA_EEENS0_18inequality_wrapperIZN2at6native12_GLOBAL__N_124unique_dim_cuda_templateItEESt5tupleIJNSH_6TensorESM_SM_EERKSM_lbbbEUlllE0_EEPmJS6_EEE10hipError_tPvRmT3_T4_T5_T6_T7_T9_mT8_P12ihipStream_tbDpT10_ENKUlT_T0_E_clISt17integral_constantIbLb0EES1C_EEDaS17_S18_EUlS17_E_NS1_11comp_targetILNS1_3genE5ELNS1_11target_archE942ELNS1_3gpuE9ELNS1_3repE0EEENS1_30default_config_static_selectorELNS0_4arch9wavefront6targetE0EEEvT1_.num_agpr, 0
	.set _ZN7rocprim17ROCPRIM_400000_NS6detail17trampoline_kernelINS0_14default_configENS1_25partition_config_selectorILNS1_17partition_subalgoE8ElNS0_10empty_typeEbEEZZNS1_14partition_implILS5_8ELb0ES3_jPlPS6_PKS6_NS0_5tupleIJS9_S6_EEENSD_IJSA_SA_EEENS0_18inequality_wrapperIZN2at6native12_GLOBAL__N_124unique_dim_cuda_templateItEESt5tupleIJNSH_6TensorESM_SM_EERKSM_lbbbEUlllE0_EEPmJS6_EEE10hipError_tPvRmT3_T4_T5_T6_T7_T9_mT8_P12ihipStream_tbDpT10_ENKUlT_T0_E_clISt17integral_constantIbLb0EES1C_EEDaS17_S18_EUlS17_E_NS1_11comp_targetILNS1_3genE5ELNS1_11target_archE942ELNS1_3gpuE9ELNS1_3repE0EEENS1_30default_config_static_selectorELNS0_4arch9wavefront6targetE0EEEvT1_.numbered_sgpr, 0
	.set _ZN7rocprim17ROCPRIM_400000_NS6detail17trampoline_kernelINS0_14default_configENS1_25partition_config_selectorILNS1_17partition_subalgoE8ElNS0_10empty_typeEbEEZZNS1_14partition_implILS5_8ELb0ES3_jPlPS6_PKS6_NS0_5tupleIJS9_S6_EEENSD_IJSA_SA_EEENS0_18inequality_wrapperIZN2at6native12_GLOBAL__N_124unique_dim_cuda_templateItEESt5tupleIJNSH_6TensorESM_SM_EERKSM_lbbbEUlllE0_EEPmJS6_EEE10hipError_tPvRmT3_T4_T5_T6_T7_T9_mT8_P12ihipStream_tbDpT10_ENKUlT_T0_E_clISt17integral_constantIbLb0EES1C_EEDaS17_S18_EUlS17_E_NS1_11comp_targetILNS1_3genE5ELNS1_11target_archE942ELNS1_3gpuE9ELNS1_3repE0EEENS1_30default_config_static_selectorELNS0_4arch9wavefront6targetE0EEEvT1_.num_named_barrier, 0
	.set _ZN7rocprim17ROCPRIM_400000_NS6detail17trampoline_kernelINS0_14default_configENS1_25partition_config_selectorILNS1_17partition_subalgoE8ElNS0_10empty_typeEbEEZZNS1_14partition_implILS5_8ELb0ES3_jPlPS6_PKS6_NS0_5tupleIJS9_S6_EEENSD_IJSA_SA_EEENS0_18inequality_wrapperIZN2at6native12_GLOBAL__N_124unique_dim_cuda_templateItEESt5tupleIJNSH_6TensorESM_SM_EERKSM_lbbbEUlllE0_EEPmJS6_EEE10hipError_tPvRmT3_T4_T5_T6_T7_T9_mT8_P12ihipStream_tbDpT10_ENKUlT_T0_E_clISt17integral_constantIbLb0EES1C_EEDaS17_S18_EUlS17_E_NS1_11comp_targetILNS1_3genE5ELNS1_11target_archE942ELNS1_3gpuE9ELNS1_3repE0EEENS1_30default_config_static_selectorELNS0_4arch9wavefront6targetE0EEEvT1_.private_seg_size, 0
	.set _ZN7rocprim17ROCPRIM_400000_NS6detail17trampoline_kernelINS0_14default_configENS1_25partition_config_selectorILNS1_17partition_subalgoE8ElNS0_10empty_typeEbEEZZNS1_14partition_implILS5_8ELb0ES3_jPlPS6_PKS6_NS0_5tupleIJS9_S6_EEENSD_IJSA_SA_EEENS0_18inequality_wrapperIZN2at6native12_GLOBAL__N_124unique_dim_cuda_templateItEESt5tupleIJNSH_6TensorESM_SM_EERKSM_lbbbEUlllE0_EEPmJS6_EEE10hipError_tPvRmT3_T4_T5_T6_T7_T9_mT8_P12ihipStream_tbDpT10_ENKUlT_T0_E_clISt17integral_constantIbLb0EES1C_EEDaS17_S18_EUlS17_E_NS1_11comp_targetILNS1_3genE5ELNS1_11target_archE942ELNS1_3gpuE9ELNS1_3repE0EEENS1_30default_config_static_selectorELNS0_4arch9wavefront6targetE0EEEvT1_.uses_vcc, 0
	.set _ZN7rocprim17ROCPRIM_400000_NS6detail17trampoline_kernelINS0_14default_configENS1_25partition_config_selectorILNS1_17partition_subalgoE8ElNS0_10empty_typeEbEEZZNS1_14partition_implILS5_8ELb0ES3_jPlPS6_PKS6_NS0_5tupleIJS9_S6_EEENSD_IJSA_SA_EEENS0_18inequality_wrapperIZN2at6native12_GLOBAL__N_124unique_dim_cuda_templateItEESt5tupleIJNSH_6TensorESM_SM_EERKSM_lbbbEUlllE0_EEPmJS6_EEE10hipError_tPvRmT3_T4_T5_T6_T7_T9_mT8_P12ihipStream_tbDpT10_ENKUlT_T0_E_clISt17integral_constantIbLb0EES1C_EEDaS17_S18_EUlS17_E_NS1_11comp_targetILNS1_3genE5ELNS1_11target_archE942ELNS1_3gpuE9ELNS1_3repE0EEENS1_30default_config_static_selectorELNS0_4arch9wavefront6targetE0EEEvT1_.uses_flat_scratch, 0
	.set _ZN7rocprim17ROCPRIM_400000_NS6detail17trampoline_kernelINS0_14default_configENS1_25partition_config_selectorILNS1_17partition_subalgoE8ElNS0_10empty_typeEbEEZZNS1_14partition_implILS5_8ELb0ES3_jPlPS6_PKS6_NS0_5tupleIJS9_S6_EEENSD_IJSA_SA_EEENS0_18inequality_wrapperIZN2at6native12_GLOBAL__N_124unique_dim_cuda_templateItEESt5tupleIJNSH_6TensorESM_SM_EERKSM_lbbbEUlllE0_EEPmJS6_EEE10hipError_tPvRmT3_T4_T5_T6_T7_T9_mT8_P12ihipStream_tbDpT10_ENKUlT_T0_E_clISt17integral_constantIbLb0EES1C_EEDaS17_S18_EUlS17_E_NS1_11comp_targetILNS1_3genE5ELNS1_11target_archE942ELNS1_3gpuE9ELNS1_3repE0EEENS1_30default_config_static_selectorELNS0_4arch9wavefront6targetE0EEEvT1_.has_dyn_sized_stack, 0
	.set _ZN7rocprim17ROCPRIM_400000_NS6detail17trampoline_kernelINS0_14default_configENS1_25partition_config_selectorILNS1_17partition_subalgoE8ElNS0_10empty_typeEbEEZZNS1_14partition_implILS5_8ELb0ES3_jPlPS6_PKS6_NS0_5tupleIJS9_S6_EEENSD_IJSA_SA_EEENS0_18inequality_wrapperIZN2at6native12_GLOBAL__N_124unique_dim_cuda_templateItEESt5tupleIJNSH_6TensorESM_SM_EERKSM_lbbbEUlllE0_EEPmJS6_EEE10hipError_tPvRmT3_T4_T5_T6_T7_T9_mT8_P12ihipStream_tbDpT10_ENKUlT_T0_E_clISt17integral_constantIbLb0EES1C_EEDaS17_S18_EUlS17_E_NS1_11comp_targetILNS1_3genE5ELNS1_11target_archE942ELNS1_3gpuE9ELNS1_3repE0EEENS1_30default_config_static_selectorELNS0_4arch9wavefront6targetE0EEEvT1_.has_recursion, 0
	.set _ZN7rocprim17ROCPRIM_400000_NS6detail17trampoline_kernelINS0_14default_configENS1_25partition_config_selectorILNS1_17partition_subalgoE8ElNS0_10empty_typeEbEEZZNS1_14partition_implILS5_8ELb0ES3_jPlPS6_PKS6_NS0_5tupleIJS9_S6_EEENSD_IJSA_SA_EEENS0_18inequality_wrapperIZN2at6native12_GLOBAL__N_124unique_dim_cuda_templateItEESt5tupleIJNSH_6TensorESM_SM_EERKSM_lbbbEUlllE0_EEPmJS6_EEE10hipError_tPvRmT3_T4_T5_T6_T7_T9_mT8_P12ihipStream_tbDpT10_ENKUlT_T0_E_clISt17integral_constantIbLb0EES1C_EEDaS17_S18_EUlS17_E_NS1_11comp_targetILNS1_3genE5ELNS1_11target_archE942ELNS1_3gpuE9ELNS1_3repE0EEENS1_30default_config_static_selectorELNS0_4arch9wavefront6targetE0EEEvT1_.has_indirect_call, 0
	.section	.AMDGPU.csdata,"",@progbits
; Kernel info:
; codeLenInByte = 0
; TotalNumSgprs: 0
; NumVgprs: 0
; ScratchSize: 0
; MemoryBound: 0
; FloatMode: 240
; IeeeMode: 1
; LDSByteSize: 0 bytes/workgroup (compile time only)
; SGPRBlocks: 0
; VGPRBlocks: 0
; NumSGPRsForWavesPerEU: 1
; NumVGPRsForWavesPerEU: 1
; NamedBarCnt: 0
; Occupancy: 16
; WaveLimiterHint : 0
; COMPUTE_PGM_RSRC2:SCRATCH_EN: 0
; COMPUTE_PGM_RSRC2:USER_SGPR: 2
; COMPUTE_PGM_RSRC2:TRAP_HANDLER: 0
; COMPUTE_PGM_RSRC2:TGID_X_EN: 1
; COMPUTE_PGM_RSRC2:TGID_Y_EN: 0
; COMPUTE_PGM_RSRC2:TGID_Z_EN: 0
; COMPUTE_PGM_RSRC2:TIDIG_COMP_CNT: 0
	.section	.text._ZN7rocprim17ROCPRIM_400000_NS6detail17trampoline_kernelINS0_14default_configENS1_25partition_config_selectorILNS1_17partition_subalgoE8ElNS0_10empty_typeEbEEZZNS1_14partition_implILS5_8ELb0ES3_jPlPS6_PKS6_NS0_5tupleIJS9_S6_EEENSD_IJSA_SA_EEENS0_18inequality_wrapperIZN2at6native12_GLOBAL__N_124unique_dim_cuda_templateItEESt5tupleIJNSH_6TensorESM_SM_EERKSM_lbbbEUlllE0_EEPmJS6_EEE10hipError_tPvRmT3_T4_T5_T6_T7_T9_mT8_P12ihipStream_tbDpT10_ENKUlT_T0_E_clISt17integral_constantIbLb0EES1C_EEDaS17_S18_EUlS17_E_NS1_11comp_targetILNS1_3genE4ELNS1_11target_archE910ELNS1_3gpuE8ELNS1_3repE0EEENS1_30default_config_static_selectorELNS0_4arch9wavefront6targetE0EEEvT1_,"axG",@progbits,_ZN7rocprim17ROCPRIM_400000_NS6detail17trampoline_kernelINS0_14default_configENS1_25partition_config_selectorILNS1_17partition_subalgoE8ElNS0_10empty_typeEbEEZZNS1_14partition_implILS5_8ELb0ES3_jPlPS6_PKS6_NS0_5tupleIJS9_S6_EEENSD_IJSA_SA_EEENS0_18inequality_wrapperIZN2at6native12_GLOBAL__N_124unique_dim_cuda_templateItEESt5tupleIJNSH_6TensorESM_SM_EERKSM_lbbbEUlllE0_EEPmJS6_EEE10hipError_tPvRmT3_T4_T5_T6_T7_T9_mT8_P12ihipStream_tbDpT10_ENKUlT_T0_E_clISt17integral_constantIbLb0EES1C_EEDaS17_S18_EUlS17_E_NS1_11comp_targetILNS1_3genE4ELNS1_11target_archE910ELNS1_3gpuE8ELNS1_3repE0EEENS1_30default_config_static_selectorELNS0_4arch9wavefront6targetE0EEEvT1_,comdat
	.globl	_ZN7rocprim17ROCPRIM_400000_NS6detail17trampoline_kernelINS0_14default_configENS1_25partition_config_selectorILNS1_17partition_subalgoE8ElNS0_10empty_typeEbEEZZNS1_14partition_implILS5_8ELb0ES3_jPlPS6_PKS6_NS0_5tupleIJS9_S6_EEENSD_IJSA_SA_EEENS0_18inequality_wrapperIZN2at6native12_GLOBAL__N_124unique_dim_cuda_templateItEESt5tupleIJNSH_6TensorESM_SM_EERKSM_lbbbEUlllE0_EEPmJS6_EEE10hipError_tPvRmT3_T4_T5_T6_T7_T9_mT8_P12ihipStream_tbDpT10_ENKUlT_T0_E_clISt17integral_constantIbLb0EES1C_EEDaS17_S18_EUlS17_E_NS1_11comp_targetILNS1_3genE4ELNS1_11target_archE910ELNS1_3gpuE8ELNS1_3repE0EEENS1_30default_config_static_selectorELNS0_4arch9wavefront6targetE0EEEvT1_ ; -- Begin function _ZN7rocprim17ROCPRIM_400000_NS6detail17trampoline_kernelINS0_14default_configENS1_25partition_config_selectorILNS1_17partition_subalgoE8ElNS0_10empty_typeEbEEZZNS1_14partition_implILS5_8ELb0ES3_jPlPS6_PKS6_NS0_5tupleIJS9_S6_EEENSD_IJSA_SA_EEENS0_18inequality_wrapperIZN2at6native12_GLOBAL__N_124unique_dim_cuda_templateItEESt5tupleIJNSH_6TensorESM_SM_EERKSM_lbbbEUlllE0_EEPmJS6_EEE10hipError_tPvRmT3_T4_T5_T6_T7_T9_mT8_P12ihipStream_tbDpT10_ENKUlT_T0_E_clISt17integral_constantIbLb0EES1C_EEDaS17_S18_EUlS17_E_NS1_11comp_targetILNS1_3genE4ELNS1_11target_archE910ELNS1_3gpuE8ELNS1_3repE0EEENS1_30default_config_static_selectorELNS0_4arch9wavefront6targetE0EEEvT1_
	.p2align	8
	.type	_ZN7rocprim17ROCPRIM_400000_NS6detail17trampoline_kernelINS0_14default_configENS1_25partition_config_selectorILNS1_17partition_subalgoE8ElNS0_10empty_typeEbEEZZNS1_14partition_implILS5_8ELb0ES3_jPlPS6_PKS6_NS0_5tupleIJS9_S6_EEENSD_IJSA_SA_EEENS0_18inequality_wrapperIZN2at6native12_GLOBAL__N_124unique_dim_cuda_templateItEESt5tupleIJNSH_6TensorESM_SM_EERKSM_lbbbEUlllE0_EEPmJS6_EEE10hipError_tPvRmT3_T4_T5_T6_T7_T9_mT8_P12ihipStream_tbDpT10_ENKUlT_T0_E_clISt17integral_constantIbLb0EES1C_EEDaS17_S18_EUlS17_E_NS1_11comp_targetILNS1_3genE4ELNS1_11target_archE910ELNS1_3gpuE8ELNS1_3repE0EEENS1_30default_config_static_selectorELNS0_4arch9wavefront6targetE0EEEvT1_,@function
_ZN7rocprim17ROCPRIM_400000_NS6detail17trampoline_kernelINS0_14default_configENS1_25partition_config_selectorILNS1_17partition_subalgoE8ElNS0_10empty_typeEbEEZZNS1_14partition_implILS5_8ELb0ES3_jPlPS6_PKS6_NS0_5tupleIJS9_S6_EEENSD_IJSA_SA_EEENS0_18inequality_wrapperIZN2at6native12_GLOBAL__N_124unique_dim_cuda_templateItEESt5tupleIJNSH_6TensorESM_SM_EERKSM_lbbbEUlllE0_EEPmJS6_EEE10hipError_tPvRmT3_T4_T5_T6_T7_T9_mT8_P12ihipStream_tbDpT10_ENKUlT_T0_E_clISt17integral_constantIbLb0EES1C_EEDaS17_S18_EUlS17_E_NS1_11comp_targetILNS1_3genE4ELNS1_11target_archE910ELNS1_3gpuE8ELNS1_3repE0EEENS1_30default_config_static_selectorELNS0_4arch9wavefront6targetE0EEEvT1_: ; @_ZN7rocprim17ROCPRIM_400000_NS6detail17trampoline_kernelINS0_14default_configENS1_25partition_config_selectorILNS1_17partition_subalgoE8ElNS0_10empty_typeEbEEZZNS1_14partition_implILS5_8ELb0ES3_jPlPS6_PKS6_NS0_5tupleIJS9_S6_EEENSD_IJSA_SA_EEENS0_18inequality_wrapperIZN2at6native12_GLOBAL__N_124unique_dim_cuda_templateItEESt5tupleIJNSH_6TensorESM_SM_EERKSM_lbbbEUlllE0_EEPmJS6_EEE10hipError_tPvRmT3_T4_T5_T6_T7_T9_mT8_P12ihipStream_tbDpT10_ENKUlT_T0_E_clISt17integral_constantIbLb0EES1C_EEDaS17_S18_EUlS17_E_NS1_11comp_targetILNS1_3genE4ELNS1_11target_archE910ELNS1_3gpuE8ELNS1_3repE0EEENS1_30default_config_static_selectorELNS0_4arch9wavefront6targetE0EEEvT1_
; %bb.0:
	.section	.rodata,"a",@progbits
	.p2align	6, 0x0
	.amdhsa_kernel _ZN7rocprim17ROCPRIM_400000_NS6detail17trampoline_kernelINS0_14default_configENS1_25partition_config_selectorILNS1_17partition_subalgoE8ElNS0_10empty_typeEbEEZZNS1_14partition_implILS5_8ELb0ES3_jPlPS6_PKS6_NS0_5tupleIJS9_S6_EEENSD_IJSA_SA_EEENS0_18inequality_wrapperIZN2at6native12_GLOBAL__N_124unique_dim_cuda_templateItEESt5tupleIJNSH_6TensorESM_SM_EERKSM_lbbbEUlllE0_EEPmJS6_EEE10hipError_tPvRmT3_T4_T5_T6_T7_T9_mT8_P12ihipStream_tbDpT10_ENKUlT_T0_E_clISt17integral_constantIbLb0EES1C_EEDaS17_S18_EUlS17_E_NS1_11comp_targetILNS1_3genE4ELNS1_11target_archE910ELNS1_3gpuE8ELNS1_3repE0EEENS1_30default_config_static_selectorELNS0_4arch9wavefront6targetE0EEEvT1_
		.amdhsa_group_segment_fixed_size 0
		.amdhsa_private_segment_fixed_size 0
		.amdhsa_kernarg_size 120
		.amdhsa_user_sgpr_count 2
		.amdhsa_user_sgpr_dispatch_ptr 0
		.amdhsa_user_sgpr_queue_ptr 0
		.amdhsa_user_sgpr_kernarg_segment_ptr 1
		.amdhsa_user_sgpr_dispatch_id 0
		.amdhsa_user_sgpr_kernarg_preload_length 0
		.amdhsa_user_sgpr_kernarg_preload_offset 0
		.amdhsa_user_sgpr_private_segment_size 0
		.amdhsa_wavefront_size32 1
		.amdhsa_uses_dynamic_stack 0
		.amdhsa_enable_private_segment 0
		.amdhsa_system_sgpr_workgroup_id_x 1
		.amdhsa_system_sgpr_workgroup_id_y 0
		.amdhsa_system_sgpr_workgroup_id_z 0
		.amdhsa_system_sgpr_workgroup_info 0
		.amdhsa_system_vgpr_workitem_id 0
		.amdhsa_next_free_vgpr 1
		.amdhsa_next_free_sgpr 1
		.amdhsa_named_barrier_count 0
		.amdhsa_reserve_vcc 0
		.amdhsa_float_round_mode_32 0
		.amdhsa_float_round_mode_16_64 0
		.amdhsa_float_denorm_mode_32 3
		.amdhsa_float_denorm_mode_16_64 3
		.amdhsa_fp16_overflow 0
		.amdhsa_memory_ordered 1
		.amdhsa_forward_progress 1
		.amdhsa_inst_pref_size 0
		.amdhsa_round_robin_scheduling 0
		.amdhsa_exception_fp_ieee_invalid_op 0
		.amdhsa_exception_fp_denorm_src 0
		.amdhsa_exception_fp_ieee_div_zero 0
		.amdhsa_exception_fp_ieee_overflow 0
		.amdhsa_exception_fp_ieee_underflow 0
		.amdhsa_exception_fp_ieee_inexact 0
		.amdhsa_exception_int_div_zero 0
	.end_amdhsa_kernel
	.section	.text._ZN7rocprim17ROCPRIM_400000_NS6detail17trampoline_kernelINS0_14default_configENS1_25partition_config_selectorILNS1_17partition_subalgoE8ElNS0_10empty_typeEbEEZZNS1_14partition_implILS5_8ELb0ES3_jPlPS6_PKS6_NS0_5tupleIJS9_S6_EEENSD_IJSA_SA_EEENS0_18inequality_wrapperIZN2at6native12_GLOBAL__N_124unique_dim_cuda_templateItEESt5tupleIJNSH_6TensorESM_SM_EERKSM_lbbbEUlllE0_EEPmJS6_EEE10hipError_tPvRmT3_T4_T5_T6_T7_T9_mT8_P12ihipStream_tbDpT10_ENKUlT_T0_E_clISt17integral_constantIbLb0EES1C_EEDaS17_S18_EUlS17_E_NS1_11comp_targetILNS1_3genE4ELNS1_11target_archE910ELNS1_3gpuE8ELNS1_3repE0EEENS1_30default_config_static_selectorELNS0_4arch9wavefront6targetE0EEEvT1_,"axG",@progbits,_ZN7rocprim17ROCPRIM_400000_NS6detail17trampoline_kernelINS0_14default_configENS1_25partition_config_selectorILNS1_17partition_subalgoE8ElNS0_10empty_typeEbEEZZNS1_14partition_implILS5_8ELb0ES3_jPlPS6_PKS6_NS0_5tupleIJS9_S6_EEENSD_IJSA_SA_EEENS0_18inequality_wrapperIZN2at6native12_GLOBAL__N_124unique_dim_cuda_templateItEESt5tupleIJNSH_6TensorESM_SM_EERKSM_lbbbEUlllE0_EEPmJS6_EEE10hipError_tPvRmT3_T4_T5_T6_T7_T9_mT8_P12ihipStream_tbDpT10_ENKUlT_T0_E_clISt17integral_constantIbLb0EES1C_EEDaS17_S18_EUlS17_E_NS1_11comp_targetILNS1_3genE4ELNS1_11target_archE910ELNS1_3gpuE8ELNS1_3repE0EEENS1_30default_config_static_selectorELNS0_4arch9wavefront6targetE0EEEvT1_,comdat
.Lfunc_end1421:
	.size	_ZN7rocprim17ROCPRIM_400000_NS6detail17trampoline_kernelINS0_14default_configENS1_25partition_config_selectorILNS1_17partition_subalgoE8ElNS0_10empty_typeEbEEZZNS1_14partition_implILS5_8ELb0ES3_jPlPS6_PKS6_NS0_5tupleIJS9_S6_EEENSD_IJSA_SA_EEENS0_18inequality_wrapperIZN2at6native12_GLOBAL__N_124unique_dim_cuda_templateItEESt5tupleIJNSH_6TensorESM_SM_EERKSM_lbbbEUlllE0_EEPmJS6_EEE10hipError_tPvRmT3_T4_T5_T6_T7_T9_mT8_P12ihipStream_tbDpT10_ENKUlT_T0_E_clISt17integral_constantIbLb0EES1C_EEDaS17_S18_EUlS17_E_NS1_11comp_targetILNS1_3genE4ELNS1_11target_archE910ELNS1_3gpuE8ELNS1_3repE0EEENS1_30default_config_static_selectorELNS0_4arch9wavefront6targetE0EEEvT1_, .Lfunc_end1421-_ZN7rocprim17ROCPRIM_400000_NS6detail17trampoline_kernelINS0_14default_configENS1_25partition_config_selectorILNS1_17partition_subalgoE8ElNS0_10empty_typeEbEEZZNS1_14partition_implILS5_8ELb0ES3_jPlPS6_PKS6_NS0_5tupleIJS9_S6_EEENSD_IJSA_SA_EEENS0_18inequality_wrapperIZN2at6native12_GLOBAL__N_124unique_dim_cuda_templateItEESt5tupleIJNSH_6TensorESM_SM_EERKSM_lbbbEUlllE0_EEPmJS6_EEE10hipError_tPvRmT3_T4_T5_T6_T7_T9_mT8_P12ihipStream_tbDpT10_ENKUlT_T0_E_clISt17integral_constantIbLb0EES1C_EEDaS17_S18_EUlS17_E_NS1_11comp_targetILNS1_3genE4ELNS1_11target_archE910ELNS1_3gpuE8ELNS1_3repE0EEENS1_30default_config_static_selectorELNS0_4arch9wavefront6targetE0EEEvT1_
                                        ; -- End function
	.set _ZN7rocprim17ROCPRIM_400000_NS6detail17trampoline_kernelINS0_14default_configENS1_25partition_config_selectorILNS1_17partition_subalgoE8ElNS0_10empty_typeEbEEZZNS1_14partition_implILS5_8ELb0ES3_jPlPS6_PKS6_NS0_5tupleIJS9_S6_EEENSD_IJSA_SA_EEENS0_18inequality_wrapperIZN2at6native12_GLOBAL__N_124unique_dim_cuda_templateItEESt5tupleIJNSH_6TensorESM_SM_EERKSM_lbbbEUlllE0_EEPmJS6_EEE10hipError_tPvRmT3_T4_T5_T6_T7_T9_mT8_P12ihipStream_tbDpT10_ENKUlT_T0_E_clISt17integral_constantIbLb0EES1C_EEDaS17_S18_EUlS17_E_NS1_11comp_targetILNS1_3genE4ELNS1_11target_archE910ELNS1_3gpuE8ELNS1_3repE0EEENS1_30default_config_static_selectorELNS0_4arch9wavefront6targetE0EEEvT1_.num_vgpr, 0
	.set _ZN7rocprim17ROCPRIM_400000_NS6detail17trampoline_kernelINS0_14default_configENS1_25partition_config_selectorILNS1_17partition_subalgoE8ElNS0_10empty_typeEbEEZZNS1_14partition_implILS5_8ELb0ES3_jPlPS6_PKS6_NS0_5tupleIJS9_S6_EEENSD_IJSA_SA_EEENS0_18inequality_wrapperIZN2at6native12_GLOBAL__N_124unique_dim_cuda_templateItEESt5tupleIJNSH_6TensorESM_SM_EERKSM_lbbbEUlllE0_EEPmJS6_EEE10hipError_tPvRmT3_T4_T5_T6_T7_T9_mT8_P12ihipStream_tbDpT10_ENKUlT_T0_E_clISt17integral_constantIbLb0EES1C_EEDaS17_S18_EUlS17_E_NS1_11comp_targetILNS1_3genE4ELNS1_11target_archE910ELNS1_3gpuE8ELNS1_3repE0EEENS1_30default_config_static_selectorELNS0_4arch9wavefront6targetE0EEEvT1_.num_agpr, 0
	.set _ZN7rocprim17ROCPRIM_400000_NS6detail17trampoline_kernelINS0_14default_configENS1_25partition_config_selectorILNS1_17partition_subalgoE8ElNS0_10empty_typeEbEEZZNS1_14partition_implILS5_8ELb0ES3_jPlPS6_PKS6_NS0_5tupleIJS9_S6_EEENSD_IJSA_SA_EEENS0_18inequality_wrapperIZN2at6native12_GLOBAL__N_124unique_dim_cuda_templateItEESt5tupleIJNSH_6TensorESM_SM_EERKSM_lbbbEUlllE0_EEPmJS6_EEE10hipError_tPvRmT3_T4_T5_T6_T7_T9_mT8_P12ihipStream_tbDpT10_ENKUlT_T0_E_clISt17integral_constantIbLb0EES1C_EEDaS17_S18_EUlS17_E_NS1_11comp_targetILNS1_3genE4ELNS1_11target_archE910ELNS1_3gpuE8ELNS1_3repE0EEENS1_30default_config_static_selectorELNS0_4arch9wavefront6targetE0EEEvT1_.numbered_sgpr, 0
	.set _ZN7rocprim17ROCPRIM_400000_NS6detail17trampoline_kernelINS0_14default_configENS1_25partition_config_selectorILNS1_17partition_subalgoE8ElNS0_10empty_typeEbEEZZNS1_14partition_implILS5_8ELb0ES3_jPlPS6_PKS6_NS0_5tupleIJS9_S6_EEENSD_IJSA_SA_EEENS0_18inequality_wrapperIZN2at6native12_GLOBAL__N_124unique_dim_cuda_templateItEESt5tupleIJNSH_6TensorESM_SM_EERKSM_lbbbEUlllE0_EEPmJS6_EEE10hipError_tPvRmT3_T4_T5_T6_T7_T9_mT8_P12ihipStream_tbDpT10_ENKUlT_T0_E_clISt17integral_constantIbLb0EES1C_EEDaS17_S18_EUlS17_E_NS1_11comp_targetILNS1_3genE4ELNS1_11target_archE910ELNS1_3gpuE8ELNS1_3repE0EEENS1_30default_config_static_selectorELNS0_4arch9wavefront6targetE0EEEvT1_.num_named_barrier, 0
	.set _ZN7rocprim17ROCPRIM_400000_NS6detail17trampoline_kernelINS0_14default_configENS1_25partition_config_selectorILNS1_17partition_subalgoE8ElNS0_10empty_typeEbEEZZNS1_14partition_implILS5_8ELb0ES3_jPlPS6_PKS6_NS0_5tupleIJS9_S6_EEENSD_IJSA_SA_EEENS0_18inequality_wrapperIZN2at6native12_GLOBAL__N_124unique_dim_cuda_templateItEESt5tupleIJNSH_6TensorESM_SM_EERKSM_lbbbEUlllE0_EEPmJS6_EEE10hipError_tPvRmT3_T4_T5_T6_T7_T9_mT8_P12ihipStream_tbDpT10_ENKUlT_T0_E_clISt17integral_constantIbLb0EES1C_EEDaS17_S18_EUlS17_E_NS1_11comp_targetILNS1_3genE4ELNS1_11target_archE910ELNS1_3gpuE8ELNS1_3repE0EEENS1_30default_config_static_selectorELNS0_4arch9wavefront6targetE0EEEvT1_.private_seg_size, 0
	.set _ZN7rocprim17ROCPRIM_400000_NS6detail17trampoline_kernelINS0_14default_configENS1_25partition_config_selectorILNS1_17partition_subalgoE8ElNS0_10empty_typeEbEEZZNS1_14partition_implILS5_8ELb0ES3_jPlPS6_PKS6_NS0_5tupleIJS9_S6_EEENSD_IJSA_SA_EEENS0_18inequality_wrapperIZN2at6native12_GLOBAL__N_124unique_dim_cuda_templateItEESt5tupleIJNSH_6TensorESM_SM_EERKSM_lbbbEUlllE0_EEPmJS6_EEE10hipError_tPvRmT3_T4_T5_T6_T7_T9_mT8_P12ihipStream_tbDpT10_ENKUlT_T0_E_clISt17integral_constantIbLb0EES1C_EEDaS17_S18_EUlS17_E_NS1_11comp_targetILNS1_3genE4ELNS1_11target_archE910ELNS1_3gpuE8ELNS1_3repE0EEENS1_30default_config_static_selectorELNS0_4arch9wavefront6targetE0EEEvT1_.uses_vcc, 0
	.set _ZN7rocprim17ROCPRIM_400000_NS6detail17trampoline_kernelINS0_14default_configENS1_25partition_config_selectorILNS1_17partition_subalgoE8ElNS0_10empty_typeEbEEZZNS1_14partition_implILS5_8ELb0ES3_jPlPS6_PKS6_NS0_5tupleIJS9_S6_EEENSD_IJSA_SA_EEENS0_18inequality_wrapperIZN2at6native12_GLOBAL__N_124unique_dim_cuda_templateItEESt5tupleIJNSH_6TensorESM_SM_EERKSM_lbbbEUlllE0_EEPmJS6_EEE10hipError_tPvRmT3_T4_T5_T6_T7_T9_mT8_P12ihipStream_tbDpT10_ENKUlT_T0_E_clISt17integral_constantIbLb0EES1C_EEDaS17_S18_EUlS17_E_NS1_11comp_targetILNS1_3genE4ELNS1_11target_archE910ELNS1_3gpuE8ELNS1_3repE0EEENS1_30default_config_static_selectorELNS0_4arch9wavefront6targetE0EEEvT1_.uses_flat_scratch, 0
	.set _ZN7rocprim17ROCPRIM_400000_NS6detail17trampoline_kernelINS0_14default_configENS1_25partition_config_selectorILNS1_17partition_subalgoE8ElNS0_10empty_typeEbEEZZNS1_14partition_implILS5_8ELb0ES3_jPlPS6_PKS6_NS0_5tupleIJS9_S6_EEENSD_IJSA_SA_EEENS0_18inequality_wrapperIZN2at6native12_GLOBAL__N_124unique_dim_cuda_templateItEESt5tupleIJNSH_6TensorESM_SM_EERKSM_lbbbEUlllE0_EEPmJS6_EEE10hipError_tPvRmT3_T4_T5_T6_T7_T9_mT8_P12ihipStream_tbDpT10_ENKUlT_T0_E_clISt17integral_constantIbLb0EES1C_EEDaS17_S18_EUlS17_E_NS1_11comp_targetILNS1_3genE4ELNS1_11target_archE910ELNS1_3gpuE8ELNS1_3repE0EEENS1_30default_config_static_selectorELNS0_4arch9wavefront6targetE0EEEvT1_.has_dyn_sized_stack, 0
	.set _ZN7rocprim17ROCPRIM_400000_NS6detail17trampoline_kernelINS0_14default_configENS1_25partition_config_selectorILNS1_17partition_subalgoE8ElNS0_10empty_typeEbEEZZNS1_14partition_implILS5_8ELb0ES3_jPlPS6_PKS6_NS0_5tupleIJS9_S6_EEENSD_IJSA_SA_EEENS0_18inequality_wrapperIZN2at6native12_GLOBAL__N_124unique_dim_cuda_templateItEESt5tupleIJNSH_6TensorESM_SM_EERKSM_lbbbEUlllE0_EEPmJS6_EEE10hipError_tPvRmT3_T4_T5_T6_T7_T9_mT8_P12ihipStream_tbDpT10_ENKUlT_T0_E_clISt17integral_constantIbLb0EES1C_EEDaS17_S18_EUlS17_E_NS1_11comp_targetILNS1_3genE4ELNS1_11target_archE910ELNS1_3gpuE8ELNS1_3repE0EEENS1_30default_config_static_selectorELNS0_4arch9wavefront6targetE0EEEvT1_.has_recursion, 0
	.set _ZN7rocprim17ROCPRIM_400000_NS6detail17trampoline_kernelINS0_14default_configENS1_25partition_config_selectorILNS1_17partition_subalgoE8ElNS0_10empty_typeEbEEZZNS1_14partition_implILS5_8ELb0ES3_jPlPS6_PKS6_NS0_5tupleIJS9_S6_EEENSD_IJSA_SA_EEENS0_18inequality_wrapperIZN2at6native12_GLOBAL__N_124unique_dim_cuda_templateItEESt5tupleIJNSH_6TensorESM_SM_EERKSM_lbbbEUlllE0_EEPmJS6_EEE10hipError_tPvRmT3_T4_T5_T6_T7_T9_mT8_P12ihipStream_tbDpT10_ENKUlT_T0_E_clISt17integral_constantIbLb0EES1C_EEDaS17_S18_EUlS17_E_NS1_11comp_targetILNS1_3genE4ELNS1_11target_archE910ELNS1_3gpuE8ELNS1_3repE0EEENS1_30default_config_static_selectorELNS0_4arch9wavefront6targetE0EEEvT1_.has_indirect_call, 0
	.section	.AMDGPU.csdata,"",@progbits
; Kernel info:
; codeLenInByte = 0
; TotalNumSgprs: 0
; NumVgprs: 0
; ScratchSize: 0
; MemoryBound: 0
; FloatMode: 240
; IeeeMode: 1
; LDSByteSize: 0 bytes/workgroup (compile time only)
; SGPRBlocks: 0
; VGPRBlocks: 0
; NumSGPRsForWavesPerEU: 1
; NumVGPRsForWavesPerEU: 1
; NamedBarCnt: 0
; Occupancy: 16
; WaveLimiterHint : 0
; COMPUTE_PGM_RSRC2:SCRATCH_EN: 0
; COMPUTE_PGM_RSRC2:USER_SGPR: 2
; COMPUTE_PGM_RSRC2:TRAP_HANDLER: 0
; COMPUTE_PGM_RSRC2:TGID_X_EN: 1
; COMPUTE_PGM_RSRC2:TGID_Y_EN: 0
; COMPUTE_PGM_RSRC2:TGID_Z_EN: 0
; COMPUTE_PGM_RSRC2:TIDIG_COMP_CNT: 0
	.section	.text._ZN7rocprim17ROCPRIM_400000_NS6detail17trampoline_kernelINS0_14default_configENS1_25partition_config_selectorILNS1_17partition_subalgoE8ElNS0_10empty_typeEbEEZZNS1_14partition_implILS5_8ELb0ES3_jPlPS6_PKS6_NS0_5tupleIJS9_S6_EEENSD_IJSA_SA_EEENS0_18inequality_wrapperIZN2at6native12_GLOBAL__N_124unique_dim_cuda_templateItEESt5tupleIJNSH_6TensorESM_SM_EERKSM_lbbbEUlllE0_EEPmJS6_EEE10hipError_tPvRmT3_T4_T5_T6_T7_T9_mT8_P12ihipStream_tbDpT10_ENKUlT_T0_E_clISt17integral_constantIbLb0EES1C_EEDaS17_S18_EUlS17_E_NS1_11comp_targetILNS1_3genE3ELNS1_11target_archE908ELNS1_3gpuE7ELNS1_3repE0EEENS1_30default_config_static_selectorELNS0_4arch9wavefront6targetE0EEEvT1_,"axG",@progbits,_ZN7rocprim17ROCPRIM_400000_NS6detail17trampoline_kernelINS0_14default_configENS1_25partition_config_selectorILNS1_17partition_subalgoE8ElNS0_10empty_typeEbEEZZNS1_14partition_implILS5_8ELb0ES3_jPlPS6_PKS6_NS0_5tupleIJS9_S6_EEENSD_IJSA_SA_EEENS0_18inequality_wrapperIZN2at6native12_GLOBAL__N_124unique_dim_cuda_templateItEESt5tupleIJNSH_6TensorESM_SM_EERKSM_lbbbEUlllE0_EEPmJS6_EEE10hipError_tPvRmT3_T4_T5_T6_T7_T9_mT8_P12ihipStream_tbDpT10_ENKUlT_T0_E_clISt17integral_constantIbLb0EES1C_EEDaS17_S18_EUlS17_E_NS1_11comp_targetILNS1_3genE3ELNS1_11target_archE908ELNS1_3gpuE7ELNS1_3repE0EEENS1_30default_config_static_selectorELNS0_4arch9wavefront6targetE0EEEvT1_,comdat
	.globl	_ZN7rocprim17ROCPRIM_400000_NS6detail17trampoline_kernelINS0_14default_configENS1_25partition_config_selectorILNS1_17partition_subalgoE8ElNS0_10empty_typeEbEEZZNS1_14partition_implILS5_8ELb0ES3_jPlPS6_PKS6_NS0_5tupleIJS9_S6_EEENSD_IJSA_SA_EEENS0_18inequality_wrapperIZN2at6native12_GLOBAL__N_124unique_dim_cuda_templateItEESt5tupleIJNSH_6TensorESM_SM_EERKSM_lbbbEUlllE0_EEPmJS6_EEE10hipError_tPvRmT3_T4_T5_T6_T7_T9_mT8_P12ihipStream_tbDpT10_ENKUlT_T0_E_clISt17integral_constantIbLb0EES1C_EEDaS17_S18_EUlS17_E_NS1_11comp_targetILNS1_3genE3ELNS1_11target_archE908ELNS1_3gpuE7ELNS1_3repE0EEENS1_30default_config_static_selectorELNS0_4arch9wavefront6targetE0EEEvT1_ ; -- Begin function _ZN7rocprim17ROCPRIM_400000_NS6detail17trampoline_kernelINS0_14default_configENS1_25partition_config_selectorILNS1_17partition_subalgoE8ElNS0_10empty_typeEbEEZZNS1_14partition_implILS5_8ELb0ES3_jPlPS6_PKS6_NS0_5tupleIJS9_S6_EEENSD_IJSA_SA_EEENS0_18inequality_wrapperIZN2at6native12_GLOBAL__N_124unique_dim_cuda_templateItEESt5tupleIJNSH_6TensorESM_SM_EERKSM_lbbbEUlllE0_EEPmJS6_EEE10hipError_tPvRmT3_T4_T5_T6_T7_T9_mT8_P12ihipStream_tbDpT10_ENKUlT_T0_E_clISt17integral_constantIbLb0EES1C_EEDaS17_S18_EUlS17_E_NS1_11comp_targetILNS1_3genE3ELNS1_11target_archE908ELNS1_3gpuE7ELNS1_3repE0EEENS1_30default_config_static_selectorELNS0_4arch9wavefront6targetE0EEEvT1_
	.p2align	8
	.type	_ZN7rocprim17ROCPRIM_400000_NS6detail17trampoline_kernelINS0_14default_configENS1_25partition_config_selectorILNS1_17partition_subalgoE8ElNS0_10empty_typeEbEEZZNS1_14partition_implILS5_8ELb0ES3_jPlPS6_PKS6_NS0_5tupleIJS9_S6_EEENSD_IJSA_SA_EEENS0_18inequality_wrapperIZN2at6native12_GLOBAL__N_124unique_dim_cuda_templateItEESt5tupleIJNSH_6TensorESM_SM_EERKSM_lbbbEUlllE0_EEPmJS6_EEE10hipError_tPvRmT3_T4_T5_T6_T7_T9_mT8_P12ihipStream_tbDpT10_ENKUlT_T0_E_clISt17integral_constantIbLb0EES1C_EEDaS17_S18_EUlS17_E_NS1_11comp_targetILNS1_3genE3ELNS1_11target_archE908ELNS1_3gpuE7ELNS1_3repE0EEENS1_30default_config_static_selectorELNS0_4arch9wavefront6targetE0EEEvT1_,@function
_ZN7rocprim17ROCPRIM_400000_NS6detail17trampoline_kernelINS0_14default_configENS1_25partition_config_selectorILNS1_17partition_subalgoE8ElNS0_10empty_typeEbEEZZNS1_14partition_implILS5_8ELb0ES3_jPlPS6_PKS6_NS0_5tupleIJS9_S6_EEENSD_IJSA_SA_EEENS0_18inequality_wrapperIZN2at6native12_GLOBAL__N_124unique_dim_cuda_templateItEESt5tupleIJNSH_6TensorESM_SM_EERKSM_lbbbEUlllE0_EEPmJS6_EEE10hipError_tPvRmT3_T4_T5_T6_T7_T9_mT8_P12ihipStream_tbDpT10_ENKUlT_T0_E_clISt17integral_constantIbLb0EES1C_EEDaS17_S18_EUlS17_E_NS1_11comp_targetILNS1_3genE3ELNS1_11target_archE908ELNS1_3gpuE7ELNS1_3repE0EEENS1_30default_config_static_selectorELNS0_4arch9wavefront6targetE0EEEvT1_: ; @_ZN7rocprim17ROCPRIM_400000_NS6detail17trampoline_kernelINS0_14default_configENS1_25partition_config_selectorILNS1_17partition_subalgoE8ElNS0_10empty_typeEbEEZZNS1_14partition_implILS5_8ELb0ES3_jPlPS6_PKS6_NS0_5tupleIJS9_S6_EEENSD_IJSA_SA_EEENS0_18inequality_wrapperIZN2at6native12_GLOBAL__N_124unique_dim_cuda_templateItEESt5tupleIJNSH_6TensorESM_SM_EERKSM_lbbbEUlllE0_EEPmJS6_EEE10hipError_tPvRmT3_T4_T5_T6_T7_T9_mT8_P12ihipStream_tbDpT10_ENKUlT_T0_E_clISt17integral_constantIbLb0EES1C_EEDaS17_S18_EUlS17_E_NS1_11comp_targetILNS1_3genE3ELNS1_11target_archE908ELNS1_3gpuE7ELNS1_3repE0EEENS1_30default_config_static_selectorELNS0_4arch9wavefront6targetE0EEEvT1_
; %bb.0:
	.section	.rodata,"a",@progbits
	.p2align	6, 0x0
	.amdhsa_kernel _ZN7rocprim17ROCPRIM_400000_NS6detail17trampoline_kernelINS0_14default_configENS1_25partition_config_selectorILNS1_17partition_subalgoE8ElNS0_10empty_typeEbEEZZNS1_14partition_implILS5_8ELb0ES3_jPlPS6_PKS6_NS0_5tupleIJS9_S6_EEENSD_IJSA_SA_EEENS0_18inequality_wrapperIZN2at6native12_GLOBAL__N_124unique_dim_cuda_templateItEESt5tupleIJNSH_6TensorESM_SM_EERKSM_lbbbEUlllE0_EEPmJS6_EEE10hipError_tPvRmT3_T4_T5_T6_T7_T9_mT8_P12ihipStream_tbDpT10_ENKUlT_T0_E_clISt17integral_constantIbLb0EES1C_EEDaS17_S18_EUlS17_E_NS1_11comp_targetILNS1_3genE3ELNS1_11target_archE908ELNS1_3gpuE7ELNS1_3repE0EEENS1_30default_config_static_selectorELNS0_4arch9wavefront6targetE0EEEvT1_
		.amdhsa_group_segment_fixed_size 0
		.amdhsa_private_segment_fixed_size 0
		.amdhsa_kernarg_size 120
		.amdhsa_user_sgpr_count 2
		.amdhsa_user_sgpr_dispatch_ptr 0
		.amdhsa_user_sgpr_queue_ptr 0
		.amdhsa_user_sgpr_kernarg_segment_ptr 1
		.amdhsa_user_sgpr_dispatch_id 0
		.amdhsa_user_sgpr_kernarg_preload_length 0
		.amdhsa_user_sgpr_kernarg_preload_offset 0
		.amdhsa_user_sgpr_private_segment_size 0
		.amdhsa_wavefront_size32 1
		.amdhsa_uses_dynamic_stack 0
		.amdhsa_enable_private_segment 0
		.amdhsa_system_sgpr_workgroup_id_x 1
		.amdhsa_system_sgpr_workgroup_id_y 0
		.amdhsa_system_sgpr_workgroup_id_z 0
		.amdhsa_system_sgpr_workgroup_info 0
		.amdhsa_system_vgpr_workitem_id 0
		.amdhsa_next_free_vgpr 1
		.amdhsa_next_free_sgpr 1
		.amdhsa_named_barrier_count 0
		.amdhsa_reserve_vcc 0
		.amdhsa_float_round_mode_32 0
		.amdhsa_float_round_mode_16_64 0
		.amdhsa_float_denorm_mode_32 3
		.amdhsa_float_denorm_mode_16_64 3
		.amdhsa_fp16_overflow 0
		.amdhsa_memory_ordered 1
		.amdhsa_forward_progress 1
		.amdhsa_inst_pref_size 0
		.amdhsa_round_robin_scheduling 0
		.amdhsa_exception_fp_ieee_invalid_op 0
		.amdhsa_exception_fp_denorm_src 0
		.amdhsa_exception_fp_ieee_div_zero 0
		.amdhsa_exception_fp_ieee_overflow 0
		.amdhsa_exception_fp_ieee_underflow 0
		.amdhsa_exception_fp_ieee_inexact 0
		.amdhsa_exception_int_div_zero 0
	.end_amdhsa_kernel
	.section	.text._ZN7rocprim17ROCPRIM_400000_NS6detail17trampoline_kernelINS0_14default_configENS1_25partition_config_selectorILNS1_17partition_subalgoE8ElNS0_10empty_typeEbEEZZNS1_14partition_implILS5_8ELb0ES3_jPlPS6_PKS6_NS0_5tupleIJS9_S6_EEENSD_IJSA_SA_EEENS0_18inequality_wrapperIZN2at6native12_GLOBAL__N_124unique_dim_cuda_templateItEESt5tupleIJNSH_6TensorESM_SM_EERKSM_lbbbEUlllE0_EEPmJS6_EEE10hipError_tPvRmT3_T4_T5_T6_T7_T9_mT8_P12ihipStream_tbDpT10_ENKUlT_T0_E_clISt17integral_constantIbLb0EES1C_EEDaS17_S18_EUlS17_E_NS1_11comp_targetILNS1_3genE3ELNS1_11target_archE908ELNS1_3gpuE7ELNS1_3repE0EEENS1_30default_config_static_selectorELNS0_4arch9wavefront6targetE0EEEvT1_,"axG",@progbits,_ZN7rocprim17ROCPRIM_400000_NS6detail17trampoline_kernelINS0_14default_configENS1_25partition_config_selectorILNS1_17partition_subalgoE8ElNS0_10empty_typeEbEEZZNS1_14partition_implILS5_8ELb0ES3_jPlPS6_PKS6_NS0_5tupleIJS9_S6_EEENSD_IJSA_SA_EEENS0_18inequality_wrapperIZN2at6native12_GLOBAL__N_124unique_dim_cuda_templateItEESt5tupleIJNSH_6TensorESM_SM_EERKSM_lbbbEUlllE0_EEPmJS6_EEE10hipError_tPvRmT3_T4_T5_T6_T7_T9_mT8_P12ihipStream_tbDpT10_ENKUlT_T0_E_clISt17integral_constantIbLb0EES1C_EEDaS17_S18_EUlS17_E_NS1_11comp_targetILNS1_3genE3ELNS1_11target_archE908ELNS1_3gpuE7ELNS1_3repE0EEENS1_30default_config_static_selectorELNS0_4arch9wavefront6targetE0EEEvT1_,comdat
.Lfunc_end1422:
	.size	_ZN7rocprim17ROCPRIM_400000_NS6detail17trampoline_kernelINS0_14default_configENS1_25partition_config_selectorILNS1_17partition_subalgoE8ElNS0_10empty_typeEbEEZZNS1_14partition_implILS5_8ELb0ES3_jPlPS6_PKS6_NS0_5tupleIJS9_S6_EEENSD_IJSA_SA_EEENS0_18inequality_wrapperIZN2at6native12_GLOBAL__N_124unique_dim_cuda_templateItEESt5tupleIJNSH_6TensorESM_SM_EERKSM_lbbbEUlllE0_EEPmJS6_EEE10hipError_tPvRmT3_T4_T5_T6_T7_T9_mT8_P12ihipStream_tbDpT10_ENKUlT_T0_E_clISt17integral_constantIbLb0EES1C_EEDaS17_S18_EUlS17_E_NS1_11comp_targetILNS1_3genE3ELNS1_11target_archE908ELNS1_3gpuE7ELNS1_3repE0EEENS1_30default_config_static_selectorELNS0_4arch9wavefront6targetE0EEEvT1_, .Lfunc_end1422-_ZN7rocprim17ROCPRIM_400000_NS6detail17trampoline_kernelINS0_14default_configENS1_25partition_config_selectorILNS1_17partition_subalgoE8ElNS0_10empty_typeEbEEZZNS1_14partition_implILS5_8ELb0ES3_jPlPS6_PKS6_NS0_5tupleIJS9_S6_EEENSD_IJSA_SA_EEENS0_18inequality_wrapperIZN2at6native12_GLOBAL__N_124unique_dim_cuda_templateItEESt5tupleIJNSH_6TensorESM_SM_EERKSM_lbbbEUlllE0_EEPmJS6_EEE10hipError_tPvRmT3_T4_T5_T6_T7_T9_mT8_P12ihipStream_tbDpT10_ENKUlT_T0_E_clISt17integral_constantIbLb0EES1C_EEDaS17_S18_EUlS17_E_NS1_11comp_targetILNS1_3genE3ELNS1_11target_archE908ELNS1_3gpuE7ELNS1_3repE0EEENS1_30default_config_static_selectorELNS0_4arch9wavefront6targetE0EEEvT1_
                                        ; -- End function
	.set _ZN7rocprim17ROCPRIM_400000_NS6detail17trampoline_kernelINS0_14default_configENS1_25partition_config_selectorILNS1_17partition_subalgoE8ElNS0_10empty_typeEbEEZZNS1_14partition_implILS5_8ELb0ES3_jPlPS6_PKS6_NS0_5tupleIJS9_S6_EEENSD_IJSA_SA_EEENS0_18inequality_wrapperIZN2at6native12_GLOBAL__N_124unique_dim_cuda_templateItEESt5tupleIJNSH_6TensorESM_SM_EERKSM_lbbbEUlllE0_EEPmJS6_EEE10hipError_tPvRmT3_T4_T5_T6_T7_T9_mT8_P12ihipStream_tbDpT10_ENKUlT_T0_E_clISt17integral_constantIbLb0EES1C_EEDaS17_S18_EUlS17_E_NS1_11comp_targetILNS1_3genE3ELNS1_11target_archE908ELNS1_3gpuE7ELNS1_3repE0EEENS1_30default_config_static_selectorELNS0_4arch9wavefront6targetE0EEEvT1_.num_vgpr, 0
	.set _ZN7rocprim17ROCPRIM_400000_NS6detail17trampoline_kernelINS0_14default_configENS1_25partition_config_selectorILNS1_17partition_subalgoE8ElNS0_10empty_typeEbEEZZNS1_14partition_implILS5_8ELb0ES3_jPlPS6_PKS6_NS0_5tupleIJS9_S6_EEENSD_IJSA_SA_EEENS0_18inequality_wrapperIZN2at6native12_GLOBAL__N_124unique_dim_cuda_templateItEESt5tupleIJNSH_6TensorESM_SM_EERKSM_lbbbEUlllE0_EEPmJS6_EEE10hipError_tPvRmT3_T4_T5_T6_T7_T9_mT8_P12ihipStream_tbDpT10_ENKUlT_T0_E_clISt17integral_constantIbLb0EES1C_EEDaS17_S18_EUlS17_E_NS1_11comp_targetILNS1_3genE3ELNS1_11target_archE908ELNS1_3gpuE7ELNS1_3repE0EEENS1_30default_config_static_selectorELNS0_4arch9wavefront6targetE0EEEvT1_.num_agpr, 0
	.set _ZN7rocprim17ROCPRIM_400000_NS6detail17trampoline_kernelINS0_14default_configENS1_25partition_config_selectorILNS1_17partition_subalgoE8ElNS0_10empty_typeEbEEZZNS1_14partition_implILS5_8ELb0ES3_jPlPS6_PKS6_NS0_5tupleIJS9_S6_EEENSD_IJSA_SA_EEENS0_18inequality_wrapperIZN2at6native12_GLOBAL__N_124unique_dim_cuda_templateItEESt5tupleIJNSH_6TensorESM_SM_EERKSM_lbbbEUlllE0_EEPmJS6_EEE10hipError_tPvRmT3_T4_T5_T6_T7_T9_mT8_P12ihipStream_tbDpT10_ENKUlT_T0_E_clISt17integral_constantIbLb0EES1C_EEDaS17_S18_EUlS17_E_NS1_11comp_targetILNS1_3genE3ELNS1_11target_archE908ELNS1_3gpuE7ELNS1_3repE0EEENS1_30default_config_static_selectorELNS0_4arch9wavefront6targetE0EEEvT1_.numbered_sgpr, 0
	.set _ZN7rocprim17ROCPRIM_400000_NS6detail17trampoline_kernelINS0_14default_configENS1_25partition_config_selectorILNS1_17partition_subalgoE8ElNS0_10empty_typeEbEEZZNS1_14partition_implILS5_8ELb0ES3_jPlPS6_PKS6_NS0_5tupleIJS9_S6_EEENSD_IJSA_SA_EEENS0_18inequality_wrapperIZN2at6native12_GLOBAL__N_124unique_dim_cuda_templateItEESt5tupleIJNSH_6TensorESM_SM_EERKSM_lbbbEUlllE0_EEPmJS6_EEE10hipError_tPvRmT3_T4_T5_T6_T7_T9_mT8_P12ihipStream_tbDpT10_ENKUlT_T0_E_clISt17integral_constantIbLb0EES1C_EEDaS17_S18_EUlS17_E_NS1_11comp_targetILNS1_3genE3ELNS1_11target_archE908ELNS1_3gpuE7ELNS1_3repE0EEENS1_30default_config_static_selectorELNS0_4arch9wavefront6targetE0EEEvT1_.num_named_barrier, 0
	.set _ZN7rocprim17ROCPRIM_400000_NS6detail17trampoline_kernelINS0_14default_configENS1_25partition_config_selectorILNS1_17partition_subalgoE8ElNS0_10empty_typeEbEEZZNS1_14partition_implILS5_8ELb0ES3_jPlPS6_PKS6_NS0_5tupleIJS9_S6_EEENSD_IJSA_SA_EEENS0_18inequality_wrapperIZN2at6native12_GLOBAL__N_124unique_dim_cuda_templateItEESt5tupleIJNSH_6TensorESM_SM_EERKSM_lbbbEUlllE0_EEPmJS6_EEE10hipError_tPvRmT3_T4_T5_T6_T7_T9_mT8_P12ihipStream_tbDpT10_ENKUlT_T0_E_clISt17integral_constantIbLb0EES1C_EEDaS17_S18_EUlS17_E_NS1_11comp_targetILNS1_3genE3ELNS1_11target_archE908ELNS1_3gpuE7ELNS1_3repE0EEENS1_30default_config_static_selectorELNS0_4arch9wavefront6targetE0EEEvT1_.private_seg_size, 0
	.set _ZN7rocprim17ROCPRIM_400000_NS6detail17trampoline_kernelINS0_14default_configENS1_25partition_config_selectorILNS1_17partition_subalgoE8ElNS0_10empty_typeEbEEZZNS1_14partition_implILS5_8ELb0ES3_jPlPS6_PKS6_NS0_5tupleIJS9_S6_EEENSD_IJSA_SA_EEENS0_18inequality_wrapperIZN2at6native12_GLOBAL__N_124unique_dim_cuda_templateItEESt5tupleIJNSH_6TensorESM_SM_EERKSM_lbbbEUlllE0_EEPmJS6_EEE10hipError_tPvRmT3_T4_T5_T6_T7_T9_mT8_P12ihipStream_tbDpT10_ENKUlT_T0_E_clISt17integral_constantIbLb0EES1C_EEDaS17_S18_EUlS17_E_NS1_11comp_targetILNS1_3genE3ELNS1_11target_archE908ELNS1_3gpuE7ELNS1_3repE0EEENS1_30default_config_static_selectorELNS0_4arch9wavefront6targetE0EEEvT1_.uses_vcc, 0
	.set _ZN7rocprim17ROCPRIM_400000_NS6detail17trampoline_kernelINS0_14default_configENS1_25partition_config_selectorILNS1_17partition_subalgoE8ElNS0_10empty_typeEbEEZZNS1_14partition_implILS5_8ELb0ES3_jPlPS6_PKS6_NS0_5tupleIJS9_S6_EEENSD_IJSA_SA_EEENS0_18inequality_wrapperIZN2at6native12_GLOBAL__N_124unique_dim_cuda_templateItEESt5tupleIJNSH_6TensorESM_SM_EERKSM_lbbbEUlllE0_EEPmJS6_EEE10hipError_tPvRmT3_T4_T5_T6_T7_T9_mT8_P12ihipStream_tbDpT10_ENKUlT_T0_E_clISt17integral_constantIbLb0EES1C_EEDaS17_S18_EUlS17_E_NS1_11comp_targetILNS1_3genE3ELNS1_11target_archE908ELNS1_3gpuE7ELNS1_3repE0EEENS1_30default_config_static_selectorELNS0_4arch9wavefront6targetE0EEEvT1_.uses_flat_scratch, 0
	.set _ZN7rocprim17ROCPRIM_400000_NS6detail17trampoline_kernelINS0_14default_configENS1_25partition_config_selectorILNS1_17partition_subalgoE8ElNS0_10empty_typeEbEEZZNS1_14partition_implILS5_8ELb0ES3_jPlPS6_PKS6_NS0_5tupleIJS9_S6_EEENSD_IJSA_SA_EEENS0_18inequality_wrapperIZN2at6native12_GLOBAL__N_124unique_dim_cuda_templateItEESt5tupleIJNSH_6TensorESM_SM_EERKSM_lbbbEUlllE0_EEPmJS6_EEE10hipError_tPvRmT3_T4_T5_T6_T7_T9_mT8_P12ihipStream_tbDpT10_ENKUlT_T0_E_clISt17integral_constantIbLb0EES1C_EEDaS17_S18_EUlS17_E_NS1_11comp_targetILNS1_3genE3ELNS1_11target_archE908ELNS1_3gpuE7ELNS1_3repE0EEENS1_30default_config_static_selectorELNS0_4arch9wavefront6targetE0EEEvT1_.has_dyn_sized_stack, 0
	.set _ZN7rocprim17ROCPRIM_400000_NS6detail17trampoline_kernelINS0_14default_configENS1_25partition_config_selectorILNS1_17partition_subalgoE8ElNS0_10empty_typeEbEEZZNS1_14partition_implILS5_8ELb0ES3_jPlPS6_PKS6_NS0_5tupleIJS9_S6_EEENSD_IJSA_SA_EEENS0_18inequality_wrapperIZN2at6native12_GLOBAL__N_124unique_dim_cuda_templateItEESt5tupleIJNSH_6TensorESM_SM_EERKSM_lbbbEUlllE0_EEPmJS6_EEE10hipError_tPvRmT3_T4_T5_T6_T7_T9_mT8_P12ihipStream_tbDpT10_ENKUlT_T0_E_clISt17integral_constantIbLb0EES1C_EEDaS17_S18_EUlS17_E_NS1_11comp_targetILNS1_3genE3ELNS1_11target_archE908ELNS1_3gpuE7ELNS1_3repE0EEENS1_30default_config_static_selectorELNS0_4arch9wavefront6targetE0EEEvT1_.has_recursion, 0
	.set _ZN7rocprim17ROCPRIM_400000_NS6detail17trampoline_kernelINS0_14default_configENS1_25partition_config_selectorILNS1_17partition_subalgoE8ElNS0_10empty_typeEbEEZZNS1_14partition_implILS5_8ELb0ES3_jPlPS6_PKS6_NS0_5tupleIJS9_S6_EEENSD_IJSA_SA_EEENS0_18inequality_wrapperIZN2at6native12_GLOBAL__N_124unique_dim_cuda_templateItEESt5tupleIJNSH_6TensorESM_SM_EERKSM_lbbbEUlllE0_EEPmJS6_EEE10hipError_tPvRmT3_T4_T5_T6_T7_T9_mT8_P12ihipStream_tbDpT10_ENKUlT_T0_E_clISt17integral_constantIbLb0EES1C_EEDaS17_S18_EUlS17_E_NS1_11comp_targetILNS1_3genE3ELNS1_11target_archE908ELNS1_3gpuE7ELNS1_3repE0EEENS1_30default_config_static_selectorELNS0_4arch9wavefront6targetE0EEEvT1_.has_indirect_call, 0
	.section	.AMDGPU.csdata,"",@progbits
; Kernel info:
; codeLenInByte = 0
; TotalNumSgprs: 0
; NumVgprs: 0
; ScratchSize: 0
; MemoryBound: 0
; FloatMode: 240
; IeeeMode: 1
; LDSByteSize: 0 bytes/workgroup (compile time only)
; SGPRBlocks: 0
; VGPRBlocks: 0
; NumSGPRsForWavesPerEU: 1
; NumVGPRsForWavesPerEU: 1
; NamedBarCnt: 0
; Occupancy: 16
; WaveLimiterHint : 0
; COMPUTE_PGM_RSRC2:SCRATCH_EN: 0
; COMPUTE_PGM_RSRC2:USER_SGPR: 2
; COMPUTE_PGM_RSRC2:TRAP_HANDLER: 0
; COMPUTE_PGM_RSRC2:TGID_X_EN: 1
; COMPUTE_PGM_RSRC2:TGID_Y_EN: 0
; COMPUTE_PGM_RSRC2:TGID_Z_EN: 0
; COMPUTE_PGM_RSRC2:TIDIG_COMP_CNT: 0
	.section	.text._ZN7rocprim17ROCPRIM_400000_NS6detail17trampoline_kernelINS0_14default_configENS1_25partition_config_selectorILNS1_17partition_subalgoE8ElNS0_10empty_typeEbEEZZNS1_14partition_implILS5_8ELb0ES3_jPlPS6_PKS6_NS0_5tupleIJS9_S6_EEENSD_IJSA_SA_EEENS0_18inequality_wrapperIZN2at6native12_GLOBAL__N_124unique_dim_cuda_templateItEESt5tupleIJNSH_6TensorESM_SM_EERKSM_lbbbEUlllE0_EEPmJS6_EEE10hipError_tPvRmT3_T4_T5_T6_T7_T9_mT8_P12ihipStream_tbDpT10_ENKUlT_T0_E_clISt17integral_constantIbLb0EES1C_EEDaS17_S18_EUlS17_E_NS1_11comp_targetILNS1_3genE2ELNS1_11target_archE906ELNS1_3gpuE6ELNS1_3repE0EEENS1_30default_config_static_selectorELNS0_4arch9wavefront6targetE0EEEvT1_,"axG",@progbits,_ZN7rocprim17ROCPRIM_400000_NS6detail17trampoline_kernelINS0_14default_configENS1_25partition_config_selectorILNS1_17partition_subalgoE8ElNS0_10empty_typeEbEEZZNS1_14partition_implILS5_8ELb0ES3_jPlPS6_PKS6_NS0_5tupleIJS9_S6_EEENSD_IJSA_SA_EEENS0_18inequality_wrapperIZN2at6native12_GLOBAL__N_124unique_dim_cuda_templateItEESt5tupleIJNSH_6TensorESM_SM_EERKSM_lbbbEUlllE0_EEPmJS6_EEE10hipError_tPvRmT3_T4_T5_T6_T7_T9_mT8_P12ihipStream_tbDpT10_ENKUlT_T0_E_clISt17integral_constantIbLb0EES1C_EEDaS17_S18_EUlS17_E_NS1_11comp_targetILNS1_3genE2ELNS1_11target_archE906ELNS1_3gpuE6ELNS1_3repE0EEENS1_30default_config_static_selectorELNS0_4arch9wavefront6targetE0EEEvT1_,comdat
	.globl	_ZN7rocprim17ROCPRIM_400000_NS6detail17trampoline_kernelINS0_14default_configENS1_25partition_config_selectorILNS1_17partition_subalgoE8ElNS0_10empty_typeEbEEZZNS1_14partition_implILS5_8ELb0ES3_jPlPS6_PKS6_NS0_5tupleIJS9_S6_EEENSD_IJSA_SA_EEENS0_18inequality_wrapperIZN2at6native12_GLOBAL__N_124unique_dim_cuda_templateItEESt5tupleIJNSH_6TensorESM_SM_EERKSM_lbbbEUlllE0_EEPmJS6_EEE10hipError_tPvRmT3_T4_T5_T6_T7_T9_mT8_P12ihipStream_tbDpT10_ENKUlT_T0_E_clISt17integral_constantIbLb0EES1C_EEDaS17_S18_EUlS17_E_NS1_11comp_targetILNS1_3genE2ELNS1_11target_archE906ELNS1_3gpuE6ELNS1_3repE0EEENS1_30default_config_static_selectorELNS0_4arch9wavefront6targetE0EEEvT1_ ; -- Begin function _ZN7rocprim17ROCPRIM_400000_NS6detail17trampoline_kernelINS0_14default_configENS1_25partition_config_selectorILNS1_17partition_subalgoE8ElNS0_10empty_typeEbEEZZNS1_14partition_implILS5_8ELb0ES3_jPlPS6_PKS6_NS0_5tupleIJS9_S6_EEENSD_IJSA_SA_EEENS0_18inequality_wrapperIZN2at6native12_GLOBAL__N_124unique_dim_cuda_templateItEESt5tupleIJNSH_6TensorESM_SM_EERKSM_lbbbEUlllE0_EEPmJS6_EEE10hipError_tPvRmT3_T4_T5_T6_T7_T9_mT8_P12ihipStream_tbDpT10_ENKUlT_T0_E_clISt17integral_constantIbLb0EES1C_EEDaS17_S18_EUlS17_E_NS1_11comp_targetILNS1_3genE2ELNS1_11target_archE906ELNS1_3gpuE6ELNS1_3repE0EEENS1_30default_config_static_selectorELNS0_4arch9wavefront6targetE0EEEvT1_
	.p2align	8
	.type	_ZN7rocprim17ROCPRIM_400000_NS6detail17trampoline_kernelINS0_14default_configENS1_25partition_config_selectorILNS1_17partition_subalgoE8ElNS0_10empty_typeEbEEZZNS1_14partition_implILS5_8ELb0ES3_jPlPS6_PKS6_NS0_5tupleIJS9_S6_EEENSD_IJSA_SA_EEENS0_18inequality_wrapperIZN2at6native12_GLOBAL__N_124unique_dim_cuda_templateItEESt5tupleIJNSH_6TensorESM_SM_EERKSM_lbbbEUlllE0_EEPmJS6_EEE10hipError_tPvRmT3_T4_T5_T6_T7_T9_mT8_P12ihipStream_tbDpT10_ENKUlT_T0_E_clISt17integral_constantIbLb0EES1C_EEDaS17_S18_EUlS17_E_NS1_11comp_targetILNS1_3genE2ELNS1_11target_archE906ELNS1_3gpuE6ELNS1_3repE0EEENS1_30default_config_static_selectorELNS0_4arch9wavefront6targetE0EEEvT1_,@function
_ZN7rocprim17ROCPRIM_400000_NS6detail17trampoline_kernelINS0_14default_configENS1_25partition_config_selectorILNS1_17partition_subalgoE8ElNS0_10empty_typeEbEEZZNS1_14partition_implILS5_8ELb0ES3_jPlPS6_PKS6_NS0_5tupleIJS9_S6_EEENSD_IJSA_SA_EEENS0_18inequality_wrapperIZN2at6native12_GLOBAL__N_124unique_dim_cuda_templateItEESt5tupleIJNSH_6TensorESM_SM_EERKSM_lbbbEUlllE0_EEPmJS6_EEE10hipError_tPvRmT3_T4_T5_T6_T7_T9_mT8_P12ihipStream_tbDpT10_ENKUlT_T0_E_clISt17integral_constantIbLb0EES1C_EEDaS17_S18_EUlS17_E_NS1_11comp_targetILNS1_3genE2ELNS1_11target_archE906ELNS1_3gpuE6ELNS1_3repE0EEENS1_30default_config_static_selectorELNS0_4arch9wavefront6targetE0EEEvT1_: ; @_ZN7rocprim17ROCPRIM_400000_NS6detail17trampoline_kernelINS0_14default_configENS1_25partition_config_selectorILNS1_17partition_subalgoE8ElNS0_10empty_typeEbEEZZNS1_14partition_implILS5_8ELb0ES3_jPlPS6_PKS6_NS0_5tupleIJS9_S6_EEENSD_IJSA_SA_EEENS0_18inequality_wrapperIZN2at6native12_GLOBAL__N_124unique_dim_cuda_templateItEESt5tupleIJNSH_6TensorESM_SM_EERKSM_lbbbEUlllE0_EEPmJS6_EEE10hipError_tPvRmT3_T4_T5_T6_T7_T9_mT8_P12ihipStream_tbDpT10_ENKUlT_T0_E_clISt17integral_constantIbLb0EES1C_EEDaS17_S18_EUlS17_E_NS1_11comp_targetILNS1_3genE2ELNS1_11target_archE906ELNS1_3gpuE6ELNS1_3repE0EEENS1_30default_config_static_selectorELNS0_4arch9wavefront6targetE0EEEvT1_
; %bb.0:
	.section	.rodata,"a",@progbits
	.p2align	6, 0x0
	.amdhsa_kernel _ZN7rocprim17ROCPRIM_400000_NS6detail17trampoline_kernelINS0_14default_configENS1_25partition_config_selectorILNS1_17partition_subalgoE8ElNS0_10empty_typeEbEEZZNS1_14partition_implILS5_8ELb0ES3_jPlPS6_PKS6_NS0_5tupleIJS9_S6_EEENSD_IJSA_SA_EEENS0_18inequality_wrapperIZN2at6native12_GLOBAL__N_124unique_dim_cuda_templateItEESt5tupleIJNSH_6TensorESM_SM_EERKSM_lbbbEUlllE0_EEPmJS6_EEE10hipError_tPvRmT3_T4_T5_T6_T7_T9_mT8_P12ihipStream_tbDpT10_ENKUlT_T0_E_clISt17integral_constantIbLb0EES1C_EEDaS17_S18_EUlS17_E_NS1_11comp_targetILNS1_3genE2ELNS1_11target_archE906ELNS1_3gpuE6ELNS1_3repE0EEENS1_30default_config_static_selectorELNS0_4arch9wavefront6targetE0EEEvT1_
		.amdhsa_group_segment_fixed_size 0
		.amdhsa_private_segment_fixed_size 0
		.amdhsa_kernarg_size 120
		.amdhsa_user_sgpr_count 2
		.amdhsa_user_sgpr_dispatch_ptr 0
		.amdhsa_user_sgpr_queue_ptr 0
		.amdhsa_user_sgpr_kernarg_segment_ptr 1
		.amdhsa_user_sgpr_dispatch_id 0
		.amdhsa_user_sgpr_kernarg_preload_length 0
		.amdhsa_user_sgpr_kernarg_preload_offset 0
		.amdhsa_user_sgpr_private_segment_size 0
		.amdhsa_wavefront_size32 1
		.amdhsa_uses_dynamic_stack 0
		.amdhsa_enable_private_segment 0
		.amdhsa_system_sgpr_workgroup_id_x 1
		.amdhsa_system_sgpr_workgroup_id_y 0
		.amdhsa_system_sgpr_workgroup_id_z 0
		.amdhsa_system_sgpr_workgroup_info 0
		.amdhsa_system_vgpr_workitem_id 0
		.amdhsa_next_free_vgpr 1
		.amdhsa_next_free_sgpr 1
		.amdhsa_named_barrier_count 0
		.amdhsa_reserve_vcc 0
		.amdhsa_float_round_mode_32 0
		.amdhsa_float_round_mode_16_64 0
		.amdhsa_float_denorm_mode_32 3
		.amdhsa_float_denorm_mode_16_64 3
		.amdhsa_fp16_overflow 0
		.amdhsa_memory_ordered 1
		.amdhsa_forward_progress 1
		.amdhsa_inst_pref_size 0
		.amdhsa_round_robin_scheduling 0
		.amdhsa_exception_fp_ieee_invalid_op 0
		.amdhsa_exception_fp_denorm_src 0
		.amdhsa_exception_fp_ieee_div_zero 0
		.amdhsa_exception_fp_ieee_overflow 0
		.amdhsa_exception_fp_ieee_underflow 0
		.amdhsa_exception_fp_ieee_inexact 0
		.amdhsa_exception_int_div_zero 0
	.end_amdhsa_kernel
	.section	.text._ZN7rocprim17ROCPRIM_400000_NS6detail17trampoline_kernelINS0_14default_configENS1_25partition_config_selectorILNS1_17partition_subalgoE8ElNS0_10empty_typeEbEEZZNS1_14partition_implILS5_8ELb0ES3_jPlPS6_PKS6_NS0_5tupleIJS9_S6_EEENSD_IJSA_SA_EEENS0_18inequality_wrapperIZN2at6native12_GLOBAL__N_124unique_dim_cuda_templateItEESt5tupleIJNSH_6TensorESM_SM_EERKSM_lbbbEUlllE0_EEPmJS6_EEE10hipError_tPvRmT3_T4_T5_T6_T7_T9_mT8_P12ihipStream_tbDpT10_ENKUlT_T0_E_clISt17integral_constantIbLb0EES1C_EEDaS17_S18_EUlS17_E_NS1_11comp_targetILNS1_3genE2ELNS1_11target_archE906ELNS1_3gpuE6ELNS1_3repE0EEENS1_30default_config_static_selectorELNS0_4arch9wavefront6targetE0EEEvT1_,"axG",@progbits,_ZN7rocprim17ROCPRIM_400000_NS6detail17trampoline_kernelINS0_14default_configENS1_25partition_config_selectorILNS1_17partition_subalgoE8ElNS0_10empty_typeEbEEZZNS1_14partition_implILS5_8ELb0ES3_jPlPS6_PKS6_NS0_5tupleIJS9_S6_EEENSD_IJSA_SA_EEENS0_18inequality_wrapperIZN2at6native12_GLOBAL__N_124unique_dim_cuda_templateItEESt5tupleIJNSH_6TensorESM_SM_EERKSM_lbbbEUlllE0_EEPmJS6_EEE10hipError_tPvRmT3_T4_T5_T6_T7_T9_mT8_P12ihipStream_tbDpT10_ENKUlT_T0_E_clISt17integral_constantIbLb0EES1C_EEDaS17_S18_EUlS17_E_NS1_11comp_targetILNS1_3genE2ELNS1_11target_archE906ELNS1_3gpuE6ELNS1_3repE0EEENS1_30default_config_static_selectorELNS0_4arch9wavefront6targetE0EEEvT1_,comdat
.Lfunc_end1423:
	.size	_ZN7rocprim17ROCPRIM_400000_NS6detail17trampoline_kernelINS0_14default_configENS1_25partition_config_selectorILNS1_17partition_subalgoE8ElNS0_10empty_typeEbEEZZNS1_14partition_implILS5_8ELb0ES3_jPlPS6_PKS6_NS0_5tupleIJS9_S6_EEENSD_IJSA_SA_EEENS0_18inequality_wrapperIZN2at6native12_GLOBAL__N_124unique_dim_cuda_templateItEESt5tupleIJNSH_6TensorESM_SM_EERKSM_lbbbEUlllE0_EEPmJS6_EEE10hipError_tPvRmT3_T4_T5_T6_T7_T9_mT8_P12ihipStream_tbDpT10_ENKUlT_T0_E_clISt17integral_constantIbLb0EES1C_EEDaS17_S18_EUlS17_E_NS1_11comp_targetILNS1_3genE2ELNS1_11target_archE906ELNS1_3gpuE6ELNS1_3repE0EEENS1_30default_config_static_selectorELNS0_4arch9wavefront6targetE0EEEvT1_, .Lfunc_end1423-_ZN7rocprim17ROCPRIM_400000_NS6detail17trampoline_kernelINS0_14default_configENS1_25partition_config_selectorILNS1_17partition_subalgoE8ElNS0_10empty_typeEbEEZZNS1_14partition_implILS5_8ELb0ES3_jPlPS6_PKS6_NS0_5tupleIJS9_S6_EEENSD_IJSA_SA_EEENS0_18inequality_wrapperIZN2at6native12_GLOBAL__N_124unique_dim_cuda_templateItEESt5tupleIJNSH_6TensorESM_SM_EERKSM_lbbbEUlllE0_EEPmJS6_EEE10hipError_tPvRmT3_T4_T5_T6_T7_T9_mT8_P12ihipStream_tbDpT10_ENKUlT_T0_E_clISt17integral_constantIbLb0EES1C_EEDaS17_S18_EUlS17_E_NS1_11comp_targetILNS1_3genE2ELNS1_11target_archE906ELNS1_3gpuE6ELNS1_3repE0EEENS1_30default_config_static_selectorELNS0_4arch9wavefront6targetE0EEEvT1_
                                        ; -- End function
	.set _ZN7rocprim17ROCPRIM_400000_NS6detail17trampoline_kernelINS0_14default_configENS1_25partition_config_selectorILNS1_17partition_subalgoE8ElNS0_10empty_typeEbEEZZNS1_14partition_implILS5_8ELb0ES3_jPlPS6_PKS6_NS0_5tupleIJS9_S6_EEENSD_IJSA_SA_EEENS0_18inequality_wrapperIZN2at6native12_GLOBAL__N_124unique_dim_cuda_templateItEESt5tupleIJNSH_6TensorESM_SM_EERKSM_lbbbEUlllE0_EEPmJS6_EEE10hipError_tPvRmT3_T4_T5_T6_T7_T9_mT8_P12ihipStream_tbDpT10_ENKUlT_T0_E_clISt17integral_constantIbLb0EES1C_EEDaS17_S18_EUlS17_E_NS1_11comp_targetILNS1_3genE2ELNS1_11target_archE906ELNS1_3gpuE6ELNS1_3repE0EEENS1_30default_config_static_selectorELNS0_4arch9wavefront6targetE0EEEvT1_.num_vgpr, 0
	.set _ZN7rocprim17ROCPRIM_400000_NS6detail17trampoline_kernelINS0_14default_configENS1_25partition_config_selectorILNS1_17partition_subalgoE8ElNS0_10empty_typeEbEEZZNS1_14partition_implILS5_8ELb0ES3_jPlPS6_PKS6_NS0_5tupleIJS9_S6_EEENSD_IJSA_SA_EEENS0_18inequality_wrapperIZN2at6native12_GLOBAL__N_124unique_dim_cuda_templateItEESt5tupleIJNSH_6TensorESM_SM_EERKSM_lbbbEUlllE0_EEPmJS6_EEE10hipError_tPvRmT3_T4_T5_T6_T7_T9_mT8_P12ihipStream_tbDpT10_ENKUlT_T0_E_clISt17integral_constantIbLb0EES1C_EEDaS17_S18_EUlS17_E_NS1_11comp_targetILNS1_3genE2ELNS1_11target_archE906ELNS1_3gpuE6ELNS1_3repE0EEENS1_30default_config_static_selectorELNS0_4arch9wavefront6targetE0EEEvT1_.num_agpr, 0
	.set _ZN7rocprim17ROCPRIM_400000_NS6detail17trampoline_kernelINS0_14default_configENS1_25partition_config_selectorILNS1_17partition_subalgoE8ElNS0_10empty_typeEbEEZZNS1_14partition_implILS5_8ELb0ES3_jPlPS6_PKS6_NS0_5tupleIJS9_S6_EEENSD_IJSA_SA_EEENS0_18inequality_wrapperIZN2at6native12_GLOBAL__N_124unique_dim_cuda_templateItEESt5tupleIJNSH_6TensorESM_SM_EERKSM_lbbbEUlllE0_EEPmJS6_EEE10hipError_tPvRmT3_T4_T5_T6_T7_T9_mT8_P12ihipStream_tbDpT10_ENKUlT_T0_E_clISt17integral_constantIbLb0EES1C_EEDaS17_S18_EUlS17_E_NS1_11comp_targetILNS1_3genE2ELNS1_11target_archE906ELNS1_3gpuE6ELNS1_3repE0EEENS1_30default_config_static_selectorELNS0_4arch9wavefront6targetE0EEEvT1_.numbered_sgpr, 0
	.set _ZN7rocprim17ROCPRIM_400000_NS6detail17trampoline_kernelINS0_14default_configENS1_25partition_config_selectorILNS1_17partition_subalgoE8ElNS0_10empty_typeEbEEZZNS1_14partition_implILS5_8ELb0ES3_jPlPS6_PKS6_NS0_5tupleIJS9_S6_EEENSD_IJSA_SA_EEENS0_18inequality_wrapperIZN2at6native12_GLOBAL__N_124unique_dim_cuda_templateItEESt5tupleIJNSH_6TensorESM_SM_EERKSM_lbbbEUlllE0_EEPmJS6_EEE10hipError_tPvRmT3_T4_T5_T6_T7_T9_mT8_P12ihipStream_tbDpT10_ENKUlT_T0_E_clISt17integral_constantIbLb0EES1C_EEDaS17_S18_EUlS17_E_NS1_11comp_targetILNS1_3genE2ELNS1_11target_archE906ELNS1_3gpuE6ELNS1_3repE0EEENS1_30default_config_static_selectorELNS0_4arch9wavefront6targetE0EEEvT1_.num_named_barrier, 0
	.set _ZN7rocprim17ROCPRIM_400000_NS6detail17trampoline_kernelINS0_14default_configENS1_25partition_config_selectorILNS1_17partition_subalgoE8ElNS0_10empty_typeEbEEZZNS1_14partition_implILS5_8ELb0ES3_jPlPS6_PKS6_NS0_5tupleIJS9_S6_EEENSD_IJSA_SA_EEENS0_18inequality_wrapperIZN2at6native12_GLOBAL__N_124unique_dim_cuda_templateItEESt5tupleIJNSH_6TensorESM_SM_EERKSM_lbbbEUlllE0_EEPmJS6_EEE10hipError_tPvRmT3_T4_T5_T6_T7_T9_mT8_P12ihipStream_tbDpT10_ENKUlT_T0_E_clISt17integral_constantIbLb0EES1C_EEDaS17_S18_EUlS17_E_NS1_11comp_targetILNS1_3genE2ELNS1_11target_archE906ELNS1_3gpuE6ELNS1_3repE0EEENS1_30default_config_static_selectorELNS0_4arch9wavefront6targetE0EEEvT1_.private_seg_size, 0
	.set _ZN7rocprim17ROCPRIM_400000_NS6detail17trampoline_kernelINS0_14default_configENS1_25partition_config_selectorILNS1_17partition_subalgoE8ElNS0_10empty_typeEbEEZZNS1_14partition_implILS5_8ELb0ES3_jPlPS6_PKS6_NS0_5tupleIJS9_S6_EEENSD_IJSA_SA_EEENS0_18inequality_wrapperIZN2at6native12_GLOBAL__N_124unique_dim_cuda_templateItEESt5tupleIJNSH_6TensorESM_SM_EERKSM_lbbbEUlllE0_EEPmJS6_EEE10hipError_tPvRmT3_T4_T5_T6_T7_T9_mT8_P12ihipStream_tbDpT10_ENKUlT_T0_E_clISt17integral_constantIbLb0EES1C_EEDaS17_S18_EUlS17_E_NS1_11comp_targetILNS1_3genE2ELNS1_11target_archE906ELNS1_3gpuE6ELNS1_3repE0EEENS1_30default_config_static_selectorELNS0_4arch9wavefront6targetE0EEEvT1_.uses_vcc, 0
	.set _ZN7rocprim17ROCPRIM_400000_NS6detail17trampoline_kernelINS0_14default_configENS1_25partition_config_selectorILNS1_17partition_subalgoE8ElNS0_10empty_typeEbEEZZNS1_14partition_implILS5_8ELb0ES3_jPlPS6_PKS6_NS0_5tupleIJS9_S6_EEENSD_IJSA_SA_EEENS0_18inequality_wrapperIZN2at6native12_GLOBAL__N_124unique_dim_cuda_templateItEESt5tupleIJNSH_6TensorESM_SM_EERKSM_lbbbEUlllE0_EEPmJS6_EEE10hipError_tPvRmT3_T4_T5_T6_T7_T9_mT8_P12ihipStream_tbDpT10_ENKUlT_T0_E_clISt17integral_constantIbLb0EES1C_EEDaS17_S18_EUlS17_E_NS1_11comp_targetILNS1_3genE2ELNS1_11target_archE906ELNS1_3gpuE6ELNS1_3repE0EEENS1_30default_config_static_selectorELNS0_4arch9wavefront6targetE0EEEvT1_.uses_flat_scratch, 0
	.set _ZN7rocprim17ROCPRIM_400000_NS6detail17trampoline_kernelINS0_14default_configENS1_25partition_config_selectorILNS1_17partition_subalgoE8ElNS0_10empty_typeEbEEZZNS1_14partition_implILS5_8ELb0ES3_jPlPS6_PKS6_NS0_5tupleIJS9_S6_EEENSD_IJSA_SA_EEENS0_18inequality_wrapperIZN2at6native12_GLOBAL__N_124unique_dim_cuda_templateItEESt5tupleIJNSH_6TensorESM_SM_EERKSM_lbbbEUlllE0_EEPmJS6_EEE10hipError_tPvRmT3_T4_T5_T6_T7_T9_mT8_P12ihipStream_tbDpT10_ENKUlT_T0_E_clISt17integral_constantIbLb0EES1C_EEDaS17_S18_EUlS17_E_NS1_11comp_targetILNS1_3genE2ELNS1_11target_archE906ELNS1_3gpuE6ELNS1_3repE0EEENS1_30default_config_static_selectorELNS0_4arch9wavefront6targetE0EEEvT1_.has_dyn_sized_stack, 0
	.set _ZN7rocprim17ROCPRIM_400000_NS6detail17trampoline_kernelINS0_14default_configENS1_25partition_config_selectorILNS1_17partition_subalgoE8ElNS0_10empty_typeEbEEZZNS1_14partition_implILS5_8ELb0ES3_jPlPS6_PKS6_NS0_5tupleIJS9_S6_EEENSD_IJSA_SA_EEENS0_18inequality_wrapperIZN2at6native12_GLOBAL__N_124unique_dim_cuda_templateItEESt5tupleIJNSH_6TensorESM_SM_EERKSM_lbbbEUlllE0_EEPmJS6_EEE10hipError_tPvRmT3_T4_T5_T6_T7_T9_mT8_P12ihipStream_tbDpT10_ENKUlT_T0_E_clISt17integral_constantIbLb0EES1C_EEDaS17_S18_EUlS17_E_NS1_11comp_targetILNS1_3genE2ELNS1_11target_archE906ELNS1_3gpuE6ELNS1_3repE0EEENS1_30default_config_static_selectorELNS0_4arch9wavefront6targetE0EEEvT1_.has_recursion, 0
	.set _ZN7rocprim17ROCPRIM_400000_NS6detail17trampoline_kernelINS0_14default_configENS1_25partition_config_selectorILNS1_17partition_subalgoE8ElNS0_10empty_typeEbEEZZNS1_14partition_implILS5_8ELb0ES3_jPlPS6_PKS6_NS0_5tupleIJS9_S6_EEENSD_IJSA_SA_EEENS0_18inequality_wrapperIZN2at6native12_GLOBAL__N_124unique_dim_cuda_templateItEESt5tupleIJNSH_6TensorESM_SM_EERKSM_lbbbEUlllE0_EEPmJS6_EEE10hipError_tPvRmT3_T4_T5_T6_T7_T9_mT8_P12ihipStream_tbDpT10_ENKUlT_T0_E_clISt17integral_constantIbLb0EES1C_EEDaS17_S18_EUlS17_E_NS1_11comp_targetILNS1_3genE2ELNS1_11target_archE906ELNS1_3gpuE6ELNS1_3repE0EEENS1_30default_config_static_selectorELNS0_4arch9wavefront6targetE0EEEvT1_.has_indirect_call, 0
	.section	.AMDGPU.csdata,"",@progbits
; Kernel info:
; codeLenInByte = 0
; TotalNumSgprs: 0
; NumVgprs: 0
; ScratchSize: 0
; MemoryBound: 0
; FloatMode: 240
; IeeeMode: 1
; LDSByteSize: 0 bytes/workgroup (compile time only)
; SGPRBlocks: 0
; VGPRBlocks: 0
; NumSGPRsForWavesPerEU: 1
; NumVGPRsForWavesPerEU: 1
; NamedBarCnt: 0
; Occupancy: 16
; WaveLimiterHint : 0
; COMPUTE_PGM_RSRC2:SCRATCH_EN: 0
; COMPUTE_PGM_RSRC2:USER_SGPR: 2
; COMPUTE_PGM_RSRC2:TRAP_HANDLER: 0
; COMPUTE_PGM_RSRC2:TGID_X_EN: 1
; COMPUTE_PGM_RSRC2:TGID_Y_EN: 0
; COMPUTE_PGM_RSRC2:TGID_Z_EN: 0
; COMPUTE_PGM_RSRC2:TIDIG_COMP_CNT: 0
	.section	.text._ZN7rocprim17ROCPRIM_400000_NS6detail17trampoline_kernelINS0_14default_configENS1_25partition_config_selectorILNS1_17partition_subalgoE8ElNS0_10empty_typeEbEEZZNS1_14partition_implILS5_8ELb0ES3_jPlPS6_PKS6_NS0_5tupleIJS9_S6_EEENSD_IJSA_SA_EEENS0_18inequality_wrapperIZN2at6native12_GLOBAL__N_124unique_dim_cuda_templateItEESt5tupleIJNSH_6TensorESM_SM_EERKSM_lbbbEUlllE0_EEPmJS6_EEE10hipError_tPvRmT3_T4_T5_T6_T7_T9_mT8_P12ihipStream_tbDpT10_ENKUlT_T0_E_clISt17integral_constantIbLb0EES1C_EEDaS17_S18_EUlS17_E_NS1_11comp_targetILNS1_3genE10ELNS1_11target_archE1200ELNS1_3gpuE4ELNS1_3repE0EEENS1_30default_config_static_selectorELNS0_4arch9wavefront6targetE0EEEvT1_,"axG",@progbits,_ZN7rocprim17ROCPRIM_400000_NS6detail17trampoline_kernelINS0_14default_configENS1_25partition_config_selectorILNS1_17partition_subalgoE8ElNS0_10empty_typeEbEEZZNS1_14partition_implILS5_8ELb0ES3_jPlPS6_PKS6_NS0_5tupleIJS9_S6_EEENSD_IJSA_SA_EEENS0_18inequality_wrapperIZN2at6native12_GLOBAL__N_124unique_dim_cuda_templateItEESt5tupleIJNSH_6TensorESM_SM_EERKSM_lbbbEUlllE0_EEPmJS6_EEE10hipError_tPvRmT3_T4_T5_T6_T7_T9_mT8_P12ihipStream_tbDpT10_ENKUlT_T0_E_clISt17integral_constantIbLb0EES1C_EEDaS17_S18_EUlS17_E_NS1_11comp_targetILNS1_3genE10ELNS1_11target_archE1200ELNS1_3gpuE4ELNS1_3repE0EEENS1_30default_config_static_selectorELNS0_4arch9wavefront6targetE0EEEvT1_,comdat
	.globl	_ZN7rocprim17ROCPRIM_400000_NS6detail17trampoline_kernelINS0_14default_configENS1_25partition_config_selectorILNS1_17partition_subalgoE8ElNS0_10empty_typeEbEEZZNS1_14partition_implILS5_8ELb0ES3_jPlPS6_PKS6_NS0_5tupleIJS9_S6_EEENSD_IJSA_SA_EEENS0_18inequality_wrapperIZN2at6native12_GLOBAL__N_124unique_dim_cuda_templateItEESt5tupleIJNSH_6TensorESM_SM_EERKSM_lbbbEUlllE0_EEPmJS6_EEE10hipError_tPvRmT3_T4_T5_T6_T7_T9_mT8_P12ihipStream_tbDpT10_ENKUlT_T0_E_clISt17integral_constantIbLb0EES1C_EEDaS17_S18_EUlS17_E_NS1_11comp_targetILNS1_3genE10ELNS1_11target_archE1200ELNS1_3gpuE4ELNS1_3repE0EEENS1_30default_config_static_selectorELNS0_4arch9wavefront6targetE0EEEvT1_ ; -- Begin function _ZN7rocprim17ROCPRIM_400000_NS6detail17trampoline_kernelINS0_14default_configENS1_25partition_config_selectorILNS1_17partition_subalgoE8ElNS0_10empty_typeEbEEZZNS1_14partition_implILS5_8ELb0ES3_jPlPS6_PKS6_NS0_5tupleIJS9_S6_EEENSD_IJSA_SA_EEENS0_18inequality_wrapperIZN2at6native12_GLOBAL__N_124unique_dim_cuda_templateItEESt5tupleIJNSH_6TensorESM_SM_EERKSM_lbbbEUlllE0_EEPmJS6_EEE10hipError_tPvRmT3_T4_T5_T6_T7_T9_mT8_P12ihipStream_tbDpT10_ENKUlT_T0_E_clISt17integral_constantIbLb0EES1C_EEDaS17_S18_EUlS17_E_NS1_11comp_targetILNS1_3genE10ELNS1_11target_archE1200ELNS1_3gpuE4ELNS1_3repE0EEENS1_30default_config_static_selectorELNS0_4arch9wavefront6targetE0EEEvT1_
	.p2align	8
	.type	_ZN7rocprim17ROCPRIM_400000_NS6detail17trampoline_kernelINS0_14default_configENS1_25partition_config_selectorILNS1_17partition_subalgoE8ElNS0_10empty_typeEbEEZZNS1_14partition_implILS5_8ELb0ES3_jPlPS6_PKS6_NS0_5tupleIJS9_S6_EEENSD_IJSA_SA_EEENS0_18inequality_wrapperIZN2at6native12_GLOBAL__N_124unique_dim_cuda_templateItEESt5tupleIJNSH_6TensorESM_SM_EERKSM_lbbbEUlllE0_EEPmJS6_EEE10hipError_tPvRmT3_T4_T5_T6_T7_T9_mT8_P12ihipStream_tbDpT10_ENKUlT_T0_E_clISt17integral_constantIbLb0EES1C_EEDaS17_S18_EUlS17_E_NS1_11comp_targetILNS1_3genE10ELNS1_11target_archE1200ELNS1_3gpuE4ELNS1_3repE0EEENS1_30default_config_static_selectorELNS0_4arch9wavefront6targetE0EEEvT1_,@function
_ZN7rocprim17ROCPRIM_400000_NS6detail17trampoline_kernelINS0_14default_configENS1_25partition_config_selectorILNS1_17partition_subalgoE8ElNS0_10empty_typeEbEEZZNS1_14partition_implILS5_8ELb0ES3_jPlPS6_PKS6_NS0_5tupleIJS9_S6_EEENSD_IJSA_SA_EEENS0_18inequality_wrapperIZN2at6native12_GLOBAL__N_124unique_dim_cuda_templateItEESt5tupleIJNSH_6TensorESM_SM_EERKSM_lbbbEUlllE0_EEPmJS6_EEE10hipError_tPvRmT3_T4_T5_T6_T7_T9_mT8_P12ihipStream_tbDpT10_ENKUlT_T0_E_clISt17integral_constantIbLb0EES1C_EEDaS17_S18_EUlS17_E_NS1_11comp_targetILNS1_3genE10ELNS1_11target_archE1200ELNS1_3gpuE4ELNS1_3repE0EEENS1_30default_config_static_selectorELNS0_4arch9wavefront6targetE0EEEvT1_: ; @_ZN7rocprim17ROCPRIM_400000_NS6detail17trampoline_kernelINS0_14default_configENS1_25partition_config_selectorILNS1_17partition_subalgoE8ElNS0_10empty_typeEbEEZZNS1_14partition_implILS5_8ELb0ES3_jPlPS6_PKS6_NS0_5tupleIJS9_S6_EEENSD_IJSA_SA_EEENS0_18inequality_wrapperIZN2at6native12_GLOBAL__N_124unique_dim_cuda_templateItEESt5tupleIJNSH_6TensorESM_SM_EERKSM_lbbbEUlllE0_EEPmJS6_EEE10hipError_tPvRmT3_T4_T5_T6_T7_T9_mT8_P12ihipStream_tbDpT10_ENKUlT_T0_E_clISt17integral_constantIbLb0EES1C_EEDaS17_S18_EUlS17_E_NS1_11comp_targetILNS1_3genE10ELNS1_11target_archE1200ELNS1_3gpuE4ELNS1_3repE0EEENS1_30default_config_static_selectorELNS0_4arch9wavefront6targetE0EEEvT1_
; %bb.0:
	.section	.rodata,"a",@progbits
	.p2align	6, 0x0
	.amdhsa_kernel _ZN7rocprim17ROCPRIM_400000_NS6detail17trampoline_kernelINS0_14default_configENS1_25partition_config_selectorILNS1_17partition_subalgoE8ElNS0_10empty_typeEbEEZZNS1_14partition_implILS5_8ELb0ES3_jPlPS6_PKS6_NS0_5tupleIJS9_S6_EEENSD_IJSA_SA_EEENS0_18inequality_wrapperIZN2at6native12_GLOBAL__N_124unique_dim_cuda_templateItEESt5tupleIJNSH_6TensorESM_SM_EERKSM_lbbbEUlllE0_EEPmJS6_EEE10hipError_tPvRmT3_T4_T5_T6_T7_T9_mT8_P12ihipStream_tbDpT10_ENKUlT_T0_E_clISt17integral_constantIbLb0EES1C_EEDaS17_S18_EUlS17_E_NS1_11comp_targetILNS1_3genE10ELNS1_11target_archE1200ELNS1_3gpuE4ELNS1_3repE0EEENS1_30default_config_static_selectorELNS0_4arch9wavefront6targetE0EEEvT1_
		.amdhsa_group_segment_fixed_size 0
		.amdhsa_private_segment_fixed_size 0
		.amdhsa_kernarg_size 120
		.amdhsa_user_sgpr_count 2
		.amdhsa_user_sgpr_dispatch_ptr 0
		.amdhsa_user_sgpr_queue_ptr 0
		.amdhsa_user_sgpr_kernarg_segment_ptr 1
		.amdhsa_user_sgpr_dispatch_id 0
		.amdhsa_user_sgpr_kernarg_preload_length 0
		.amdhsa_user_sgpr_kernarg_preload_offset 0
		.amdhsa_user_sgpr_private_segment_size 0
		.amdhsa_wavefront_size32 1
		.amdhsa_uses_dynamic_stack 0
		.amdhsa_enable_private_segment 0
		.amdhsa_system_sgpr_workgroup_id_x 1
		.amdhsa_system_sgpr_workgroup_id_y 0
		.amdhsa_system_sgpr_workgroup_id_z 0
		.amdhsa_system_sgpr_workgroup_info 0
		.amdhsa_system_vgpr_workitem_id 0
		.amdhsa_next_free_vgpr 1
		.amdhsa_next_free_sgpr 1
		.amdhsa_named_barrier_count 0
		.amdhsa_reserve_vcc 0
		.amdhsa_float_round_mode_32 0
		.amdhsa_float_round_mode_16_64 0
		.amdhsa_float_denorm_mode_32 3
		.amdhsa_float_denorm_mode_16_64 3
		.amdhsa_fp16_overflow 0
		.amdhsa_memory_ordered 1
		.amdhsa_forward_progress 1
		.amdhsa_inst_pref_size 0
		.amdhsa_round_robin_scheduling 0
		.amdhsa_exception_fp_ieee_invalid_op 0
		.amdhsa_exception_fp_denorm_src 0
		.amdhsa_exception_fp_ieee_div_zero 0
		.amdhsa_exception_fp_ieee_overflow 0
		.amdhsa_exception_fp_ieee_underflow 0
		.amdhsa_exception_fp_ieee_inexact 0
		.amdhsa_exception_int_div_zero 0
	.end_amdhsa_kernel
	.section	.text._ZN7rocprim17ROCPRIM_400000_NS6detail17trampoline_kernelINS0_14default_configENS1_25partition_config_selectorILNS1_17partition_subalgoE8ElNS0_10empty_typeEbEEZZNS1_14partition_implILS5_8ELb0ES3_jPlPS6_PKS6_NS0_5tupleIJS9_S6_EEENSD_IJSA_SA_EEENS0_18inequality_wrapperIZN2at6native12_GLOBAL__N_124unique_dim_cuda_templateItEESt5tupleIJNSH_6TensorESM_SM_EERKSM_lbbbEUlllE0_EEPmJS6_EEE10hipError_tPvRmT3_T4_T5_T6_T7_T9_mT8_P12ihipStream_tbDpT10_ENKUlT_T0_E_clISt17integral_constantIbLb0EES1C_EEDaS17_S18_EUlS17_E_NS1_11comp_targetILNS1_3genE10ELNS1_11target_archE1200ELNS1_3gpuE4ELNS1_3repE0EEENS1_30default_config_static_selectorELNS0_4arch9wavefront6targetE0EEEvT1_,"axG",@progbits,_ZN7rocprim17ROCPRIM_400000_NS6detail17trampoline_kernelINS0_14default_configENS1_25partition_config_selectorILNS1_17partition_subalgoE8ElNS0_10empty_typeEbEEZZNS1_14partition_implILS5_8ELb0ES3_jPlPS6_PKS6_NS0_5tupleIJS9_S6_EEENSD_IJSA_SA_EEENS0_18inequality_wrapperIZN2at6native12_GLOBAL__N_124unique_dim_cuda_templateItEESt5tupleIJNSH_6TensorESM_SM_EERKSM_lbbbEUlllE0_EEPmJS6_EEE10hipError_tPvRmT3_T4_T5_T6_T7_T9_mT8_P12ihipStream_tbDpT10_ENKUlT_T0_E_clISt17integral_constantIbLb0EES1C_EEDaS17_S18_EUlS17_E_NS1_11comp_targetILNS1_3genE10ELNS1_11target_archE1200ELNS1_3gpuE4ELNS1_3repE0EEENS1_30default_config_static_selectorELNS0_4arch9wavefront6targetE0EEEvT1_,comdat
.Lfunc_end1424:
	.size	_ZN7rocprim17ROCPRIM_400000_NS6detail17trampoline_kernelINS0_14default_configENS1_25partition_config_selectorILNS1_17partition_subalgoE8ElNS0_10empty_typeEbEEZZNS1_14partition_implILS5_8ELb0ES3_jPlPS6_PKS6_NS0_5tupleIJS9_S6_EEENSD_IJSA_SA_EEENS0_18inequality_wrapperIZN2at6native12_GLOBAL__N_124unique_dim_cuda_templateItEESt5tupleIJNSH_6TensorESM_SM_EERKSM_lbbbEUlllE0_EEPmJS6_EEE10hipError_tPvRmT3_T4_T5_T6_T7_T9_mT8_P12ihipStream_tbDpT10_ENKUlT_T0_E_clISt17integral_constantIbLb0EES1C_EEDaS17_S18_EUlS17_E_NS1_11comp_targetILNS1_3genE10ELNS1_11target_archE1200ELNS1_3gpuE4ELNS1_3repE0EEENS1_30default_config_static_selectorELNS0_4arch9wavefront6targetE0EEEvT1_, .Lfunc_end1424-_ZN7rocprim17ROCPRIM_400000_NS6detail17trampoline_kernelINS0_14default_configENS1_25partition_config_selectorILNS1_17partition_subalgoE8ElNS0_10empty_typeEbEEZZNS1_14partition_implILS5_8ELb0ES3_jPlPS6_PKS6_NS0_5tupleIJS9_S6_EEENSD_IJSA_SA_EEENS0_18inequality_wrapperIZN2at6native12_GLOBAL__N_124unique_dim_cuda_templateItEESt5tupleIJNSH_6TensorESM_SM_EERKSM_lbbbEUlllE0_EEPmJS6_EEE10hipError_tPvRmT3_T4_T5_T6_T7_T9_mT8_P12ihipStream_tbDpT10_ENKUlT_T0_E_clISt17integral_constantIbLb0EES1C_EEDaS17_S18_EUlS17_E_NS1_11comp_targetILNS1_3genE10ELNS1_11target_archE1200ELNS1_3gpuE4ELNS1_3repE0EEENS1_30default_config_static_selectorELNS0_4arch9wavefront6targetE0EEEvT1_
                                        ; -- End function
	.set _ZN7rocprim17ROCPRIM_400000_NS6detail17trampoline_kernelINS0_14default_configENS1_25partition_config_selectorILNS1_17partition_subalgoE8ElNS0_10empty_typeEbEEZZNS1_14partition_implILS5_8ELb0ES3_jPlPS6_PKS6_NS0_5tupleIJS9_S6_EEENSD_IJSA_SA_EEENS0_18inequality_wrapperIZN2at6native12_GLOBAL__N_124unique_dim_cuda_templateItEESt5tupleIJNSH_6TensorESM_SM_EERKSM_lbbbEUlllE0_EEPmJS6_EEE10hipError_tPvRmT3_T4_T5_T6_T7_T9_mT8_P12ihipStream_tbDpT10_ENKUlT_T0_E_clISt17integral_constantIbLb0EES1C_EEDaS17_S18_EUlS17_E_NS1_11comp_targetILNS1_3genE10ELNS1_11target_archE1200ELNS1_3gpuE4ELNS1_3repE0EEENS1_30default_config_static_selectorELNS0_4arch9wavefront6targetE0EEEvT1_.num_vgpr, 0
	.set _ZN7rocprim17ROCPRIM_400000_NS6detail17trampoline_kernelINS0_14default_configENS1_25partition_config_selectorILNS1_17partition_subalgoE8ElNS0_10empty_typeEbEEZZNS1_14partition_implILS5_8ELb0ES3_jPlPS6_PKS6_NS0_5tupleIJS9_S6_EEENSD_IJSA_SA_EEENS0_18inequality_wrapperIZN2at6native12_GLOBAL__N_124unique_dim_cuda_templateItEESt5tupleIJNSH_6TensorESM_SM_EERKSM_lbbbEUlllE0_EEPmJS6_EEE10hipError_tPvRmT3_T4_T5_T6_T7_T9_mT8_P12ihipStream_tbDpT10_ENKUlT_T0_E_clISt17integral_constantIbLb0EES1C_EEDaS17_S18_EUlS17_E_NS1_11comp_targetILNS1_3genE10ELNS1_11target_archE1200ELNS1_3gpuE4ELNS1_3repE0EEENS1_30default_config_static_selectorELNS0_4arch9wavefront6targetE0EEEvT1_.num_agpr, 0
	.set _ZN7rocprim17ROCPRIM_400000_NS6detail17trampoline_kernelINS0_14default_configENS1_25partition_config_selectorILNS1_17partition_subalgoE8ElNS0_10empty_typeEbEEZZNS1_14partition_implILS5_8ELb0ES3_jPlPS6_PKS6_NS0_5tupleIJS9_S6_EEENSD_IJSA_SA_EEENS0_18inequality_wrapperIZN2at6native12_GLOBAL__N_124unique_dim_cuda_templateItEESt5tupleIJNSH_6TensorESM_SM_EERKSM_lbbbEUlllE0_EEPmJS6_EEE10hipError_tPvRmT3_T4_T5_T6_T7_T9_mT8_P12ihipStream_tbDpT10_ENKUlT_T0_E_clISt17integral_constantIbLb0EES1C_EEDaS17_S18_EUlS17_E_NS1_11comp_targetILNS1_3genE10ELNS1_11target_archE1200ELNS1_3gpuE4ELNS1_3repE0EEENS1_30default_config_static_selectorELNS0_4arch9wavefront6targetE0EEEvT1_.numbered_sgpr, 0
	.set _ZN7rocprim17ROCPRIM_400000_NS6detail17trampoline_kernelINS0_14default_configENS1_25partition_config_selectorILNS1_17partition_subalgoE8ElNS0_10empty_typeEbEEZZNS1_14partition_implILS5_8ELb0ES3_jPlPS6_PKS6_NS0_5tupleIJS9_S6_EEENSD_IJSA_SA_EEENS0_18inequality_wrapperIZN2at6native12_GLOBAL__N_124unique_dim_cuda_templateItEESt5tupleIJNSH_6TensorESM_SM_EERKSM_lbbbEUlllE0_EEPmJS6_EEE10hipError_tPvRmT3_T4_T5_T6_T7_T9_mT8_P12ihipStream_tbDpT10_ENKUlT_T0_E_clISt17integral_constantIbLb0EES1C_EEDaS17_S18_EUlS17_E_NS1_11comp_targetILNS1_3genE10ELNS1_11target_archE1200ELNS1_3gpuE4ELNS1_3repE0EEENS1_30default_config_static_selectorELNS0_4arch9wavefront6targetE0EEEvT1_.num_named_barrier, 0
	.set _ZN7rocprim17ROCPRIM_400000_NS6detail17trampoline_kernelINS0_14default_configENS1_25partition_config_selectorILNS1_17partition_subalgoE8ElNS0_10empty_typeEbEEZZNS1_14partition_implILS5_8ELb0ES3_jPlPS6_PKS6_NS0_5tupleIJS9_S6_EEENSD_IJSA_SA_EEENS0_18inequality_wrapperIZN2at6native12_GLOBAL__N_124unique_dim_cuda_templateItEESt5tupleIJNSH_6TensorESM_SM_EERKSM_lbbbEUlllE0_EEPmJS6_EEE10hipError_tPvRmT3_T4_T5_T6_T7_T9_mT8_P12ihipStream_tbDpT10_ENKUlT_T0_E_clISt17integral_constantIbLb0EES1C_EEDaS17_S18_EUlS17_E_NS1_11comp_targetILNS1_3genE10ELNS1_11target_archE1200ELNS1_3gpuE4ELNS1_3repE0EEENS1_30default_config_static_selectorELNS0_4arch9wavefront6targetE0EEEvT1_.private_seg_size, 0
	.set _ZN7rocprim17ROCPRIM_400000_NS6detail17trampoline_kernelINS0_14default_configENS1_25partition_config_selectorILNS1_17partition_subalgoE8ElNS0_10empty_typeEbEEZZNS1_14partition_implILS5_8ELb0ES3_jPlPS6_PKS6_NS0_5tupleIJS9_S6_EEENSD_IJSA_SA_EEENS0_18inequality_wrapperIZN2at6native12_GLOBAL__N_124unique_dim_cuda_templateItEESt5tupleIJNSH_6TensorESM_SM_EERKSM_lbbbEUlllE0_EEPmJS6_EEE10hipError_tPvRmT3_T4_T5_T6_T7_T9_mT8_P12ihipStream_tbDpT10_ENKUlT_T0_E_clISt17integral_constantIbLb0EES1C_EEDaS17_S18_EUlS17_E_NS1_11comp_targetILNS1_3genE10ELNS1_11target_archE1200ELNS1_3gpuE4ELNS1_3repE0EEENS1_30default_config_static_selectorELNS0_4arch9wavefront6targetE0EEEvT1_.uses_vcc, 0
	.set _ZN7rocprim17ROCPRIM_400000_NS6detail17trampoline_kernelINS0_14default_configENS1_25partition_config_selectorILNS1_17partition_subalgoE8ElNS0_10empty_typeEbEEZZNS1_14partition_implILS5_8ELb0ES3_jPlPS6_PKS6_NS0_5tupleIJS9_S6_EEENSD_IJSA_SA_EEENS0_18inequality_wrapperIZN2at6native12_GLOBAL__N_124unique_dim_cuda_templateItEESt5tupleIJNSH_6TensorESM_SM_EERKSM_lbbbEUlllE0_EEPmJS6_EEE10hipError_tPvRmT3_T4_T5_T6_T7_T9_mT8_P12ihipStream_tbDpT10_ENKUlT_T0_E_clISt17integral_constantIbLb0EES1C_EEDaS17_S18_EUlS17_E_NS1_11comp_targetILNS1_3genE10ELNS1_11target_archE1200ELNS1_3gpuE4ELNS1_3repE0EEENS1_30default_config_static_selectorELNS0_4arch9wavefront6targetE0EEEvT1_.uses_flat_scratch, 0
	.set _ZN7rocprim17ROCPRIM_400000_NS6detail17trampoline_kernelINS0_14default_configENS1_25partition_config_selectorILNS1_17partition_subalgoE8ElNS0_10empty_typeEbEEZZNS1_14partition_implILS5_8ELb0ES3_jPlPS6_PKS6_NS0_5tupleIJS9_S6_EEENSD_IJSA_SA_EEENS0_18inequality_wrapperIZN2at6native12_GLOBAL__N_124unique_dim_cuda_templateItEESt5tupleIJNSH_6TensorESM_SM_EERKSM_lbbbEUlllE0_EEPmJS6_EEE10hipError_tPvRmT3_T4_T5_T6_T7_T9_mT8_P12ihipStream_tbDpT10_ENKUlT_T0_E_clISt17integral_constantIbLb0EES1C_EEDaS17_S18_EUlS17_E_NS1_11comp_targetILNS1_3genE10ELNS1_11target_archE1200ELNS1_3gpuE4ELNS1_3repE0EEENS1_30default_config_static_selectorELNS0_4arch9wavefront6targetE0EEEvT1_.has_dyn_sized_stack, 0
	.set _ZN7rocprim17ROCPRIM_400000_NS6detail17trampoline_kernelINS0_14default_configENS1_25partition_config_selectorILNS1_17partition_subalgoE8ElNS0_10empty_typeEbEEZZNS1_14partition_implILS5_8ELb0ES3_jPlPS6_PKS6_NS0_5tupleIJS9_S6_EEENSD_IJSA_SA_EEENS0_18inequality_wrapperIZN2at6native12_GLOBAL__N_124unique_dim_cuda_templateItEESt5tupleIJNSH_6TensorESM_SM_EERKSM_lbbbEUlllE0_EEPmJS6_EEE10hipError_tPvRmT3_T4_T5_T6_T7_T9_mT8_P12ihipStream_tbDpT10_ENKUlT_T0_E_clISt17integral_constantIbLb0EES1C_EEDaS17_S18_EUlS17_E_NS1_11comp_targetILNS1_3genE10ELNS1_11target_archE1200ELNS1_3gpuE4ELNS1_3repE0EEENS1_30default_config_static_selectorELNS0_4arch9wavefront6targetE0EEEvT1_.has_recursion, 0
	.set _ZN7rocprim17ROCPRIM_400000_NS6detail17trampoline_kernelINS0_14default_configENS1_25partition_config_selectorILNS1_17partition_subalgoE8ElNS0_10empty_typeEbEEZZNS1_14partition_implILS5_8ELb0ES3_jPlPS6_PKS6_NS0_5tupleIJS9_S6_EEENSD_IJSA_SA_EEENS0_18inequality_wrapperIZN2at6native12_GLOBAL__N_124unique_dim_cuda_templateItEESt5tupleIJNSH_6TensorESM_SM_EERKSM_lbbbEUlllE0_EEPmJS6_EEE10hipError_tPvRmT3_T4_T5_T6_T7_T9_mT8_P12ihipStream_tbDpT10_ENKUlT_T0_E_clISt17integral_constantIbLb0EES1C_EEDaS17_S18_EUlS17_E_NS1_11comp_targetILNS1_3genE10ELNS1_11target_archE1200ELNS1_3gpuE4ELNS1_3repE0EEENS1_30default_config_static_selectorELNS0_4arch9wavefront6targetE0EEEvT1_.has_indirect_call, 0
	.section	.AMDGPU.csdata,"",@progbits
; Kernel info:
; codeLenInByte = 0
; TotalNumSgprs: 0
; NumVgprs: 0
; ScratchSize: 0
; MemoryBound: 0
; FloatMode: 240
; IeeeMode: 1
; LDSByteSize: 0 bytes/workgroup (compile time only)
; SGPRBlocks: 0
; VGPRBlocks: 0
; NumSGPRsForWavesPerEU: 1
; NumVGPRsForWavesPerEU: 1
; NamedBarCnt: 0
; Occupancy: 16
; WaveLimiterHint : 0
; COMPUTE_PGM_RSRC2:SCRATCH_EN: 0
; COMPUTE_PGM_RSRC2:USER_SGPR: 2
; COMPUTE_PGM_RSRC2:TRAP_HANDLER: 0
; COMPUTE_PGM_RSRC2:TGID_X_EN: 1
; COMPUTE_PGM_RSRC2:TGID_Y_EN: 0
; COMPUTE_PGM_RSRC2:TGID_Z_EN: 0
; COMPUTE_PGM_RSRC2:TIDIG_COMP_CNT: 0
	.section	.text._ZN7rocprim17ROCPRIM_400000_NS6detail17trampoline_kernelINS0_14default_configENS1_25partition_config_selectorILNS1_17partition_subalgoE8ElNS0_10empty_typeEbEEZZNS1_14partition_implILS5_8ELb0ES3_jPlPS6_PKS6_NS0_5tupleIJS9_S6_EEENSD_IJSA_SA_EEENS0_18inequality_wrapperIZN2at6native12_GLOBAL__N_124unique_dim_cuda_templateItEESt5tupleIJNSH_6TensorESM_SM_EERKSM_lbbbEUlllE0_EEPmJS6_EEE10hipError_tPvRmT3_T4_T5_T6_T7_T9_mT8_P12ihipStream_tbDpT10_ENKUlT_T0_E_clISt17integral_constantIbLb0EES1C_EEDaS17_S18_EUlS17_E_NS1_11comp_targetILNS1_3genE9ELNS1_11target_archE1100ELNS1_3gpuE3ELNS1_3repE0EEENS1_30default_config_static_selectorELNS0_4arch9wavefront6targetE0EEEvT1_,"axG",@progbits,_ZN7rocprim17ROCPRIM_400000_NS6detail17trampoline_kernelINS0_14default_configENS1_25partition_config_selectorILNS1_17partition_subalgoE8ElNS0_10empty_typeEbEEZZNS1_14partition_implILS5_8ELb0ES3_jPlPS6_PKS6_NS0_5tupleIJS9_S6_EEENSD_IJSA_SA_EEENS0_18inequality_wrapperIZN2at6native12_GLOBAL__N_124unique_dim_cuda_templateItEESt5tupleIJNSH_6TensorESM_SM_EERKSM_lbbbEUlllE0_EEPmJS6_EEE10hipError_tPvRmT3_T4_T5_T6_T7_T9_mT8_P12ihipStream_tbDpT10_ENKUlT_T0_E_clISt17integral_constantIbLb0EES1C_EEDaS17_S18_EUlS17_E_NS1_11comp_targetILNS1_3genE9ELNS1_11target_archE1100ELNS1_3gpuE3ELNS1_3repE0EEENS1_30default_config_static_selectorELNS0_4arch9wavefront6targetE0EEEvT1_,comdat
	.globl	_ZN7rocprim17ROCPRIM_400000_NS6detail17trampoline_kernelINS0_14default_configENS1_25partition_config_selectorILNS1_17partition_subalgoE8ElNS0_10empty_typeEbEEZZNS1_14partition_implILS5_8ELb0ES3_jPlPS6_PKS6_NS0_5tupleIJS9_S6_EEENSD_IJSA_SA_EEENS0_18inequality_wrapperIZN2at6native12_GLOBAL__N_124unique_dim_cuda_templateItEESt5tupleIJNSH_6TensorESM_SM_EERKSM_lbbbEUlllE0_EEPmJS6_EEE10hipError_tPvRmT3_T4_T5_T6_T7_T9_mT8_P12ihipStream_tbDpT10_ENKUlT_T0_E_clISt17integral_constantIbLb0EES1C_EEDaS17_S18_EUlS17_E_NS1_11comp_targetILNS1_3genE9ELNS1_11target_archE1100ELNS1_3gpuE3ELNS1_3repE0EEENS1_30default_config_static_selectorELNS0_4arch9wavefront6targetE0EEEvT1_ ; -- Begin function _ZN7rocprim17ROCPRIM_400000_NS6detail17trampoline_kernelINS0_14default_configENS1_25partition_config_selectorILNS1_17partition_subalgoE8ElNS0_10empty_typeEbEEZZNS1_14partition_implILS5_8ELb0ES3_jPlPS6_PKS6_NS0_5tupleIJS9_S6_EEENSD_IJSA_SA_EEENS0_18inequality_wrapperIZN2at6native12_GLOBAL__N_124unique_dim_cuda_templateItEESt5tupleIJNSH_6TensorESM_SM_EERKSM_lbbbEUlllE0_EEPmJS6_EEE10hipError_tPvRmT3_T4_T5_T6_T7_T9_mT8_P12ihipStream_tbDpT10_ENKUlT_T0_E_clISt17integral_constantIbLb0EES1C_EEDaS17_S18_EUlS17_E_NS1_11comp_targetILNS1_3genE9ELNS1_11target_archE1100ELNS1_3gpuE3ELNS1_3repE0EEENS1_30default_config_static_selectorELNS0_4arch9wavefront6targetE0EEEvT1_
	.p2align	8
	.type	_ZN7rocprim17ROCPRIM_400000_NS6detail17trampoline_kernelINS0_14default_configENS1_25partition_config_selectorILNS1_17partition_subalgoE8ElNS0_10empty_typeEbEEZZNS1_14partition_implILS5_8ELb0ES3_jPlPS6_PKS6_NS0_5tupleIJS9_S6_EEENSD_IJSA_SA_EEENS0_18inequality_wrapperIZN2at6native12_GLOBAL__N_124unique_dim_cuda_templateItEESt5tupleIJNSH_6TensorESM_SM_EERKSM_lbbbEUlllE0_EEPmJS6_EEE10hipError_tPvRmT3_T4_T5_T6_T7_T9_mT8_P12ihipStream_tbDpT10_ENKUlT_T0_E_clISt17integral_constantIbLb0EES1C_EEDaS17_S18_EUlS17_E_NS1_11comp_targetILNS1_3genE9ELNS1_11target_archE1100ELNS1_3gpuE3ELNS1_3repE0EEENS1_30default_config_static_selectorELNS0_4arch9wavefront6targetE0EEEvT1_,@function
_ZN7rocprim17ROCPRIM_400000_NS6detail17trampoline_kernelINS0_14default_configENS1_25partition_config_selectorILNS1_17partition_subalgoE8ElNS0_10empty_typeEbEEZZNS1_14partition_implILS5_8ELb0ES3_jPlPS6_PKS6_NS0_5tupleIJS9_S6_EEENSD_IJSA_SA_EEENS0_18inequality_wrapperIZN2at6native12_GLOBAL__N_124unique_dim_cuda_templateItEESt5tupleIJNSH_6TensorESM_SM_EERKSM_lbbbEUlllE0_EEPmJS6_EEE10hipError_tPvRmT3_T4_T5_T6_T7_T9_mT8_P12ihipStream_tbDpT10_ENKUlT_T0_E_clISt17integral_constantIbLb0EES1C_EEDaS17_S18_EUlS17_E_NS1_11comp_targetILNS1_3genE9ELNS1_11target_archE1100ELNS1_3gpuE3ELNS1_3repE0EEENS1_30default_config_static_selectorELNS0_4arch9wavefront6targetE0EEEvT1_: ; @_ZN7rocprim17ROCPRIM_400000_NS6detail17trampoline_kernelINS0_14default_configENS1_25partition_config_selectorILNS1_17partition_subalgoE8ElNS0_10empty_typeEbEEZZNS1_14partition_implILS5_8ELb0ES3_jPlPS6_PKS6_NS0_5tupleIJS9_S6_EEENSD_IJSA_SA_EEENS0_18inequality_wrapperIZN2at6native12_GLOBAL__N_124unique_dim_cuda_templateItEESt5tupleIJNSH_6TensorESM_SM_EERKSM_lbbbEUlllE0_EEPmJS6_EEE10hipError_tPvRmT3_T4_T5_T6_T7_T9_mT8_P12ihipStream_tbDpT10_ENKUlT_T0_E_clISt17integral_constantIbLb0EES1C_EEDaS17_S18_EUlS17_E_NS1_11comp_targetILNS1_3genE9ELNS1_11target_archE1100ELNS1_3gpuE3ELNS1_3repE0EEENS1_30default_config_static_selectorELNS0_4arch9wavefront6targetE0EEEvT1_
; %bb.0:
	.section	.rodata,"a",@progbits
	.p2align	6, 0x0
	.amdhsa_kernel _ZN7rocprim17ROCPRIM_400000_NS6detail17trampoline_kernelINS0_14default_configENS1_25partition_config_selectorILNS1_17partition_subalgoE8ElNS0_10empty_typeEbEEZZNS1_14partition_implILS5_8ELb0ES3_jPlPS6_PKS6_NS0_5tupleIJS9_S6_EEENSD_IJSA_SA_EEENS0_18inequality_wrapperIZN2at6native12_GLOBAL__N_124unique_dim_cuda_templateItEESt5tupleIJNSH_6TensorESM_SM_EERKSM_lbbbEUlllE0_EEPmJS6_EEE10hipError_tPvRmT3_T4_T5_T6_T7_T9_mT8_P12ihipStream_tbDpT10_ENKUlT_T0_E_clISt17integral_constantIbLb0EES1C_EEDaS17_S18_EUlS17_E_NS1_11comp_targetILNS1_3genE9ELNS1_11target_archE1100ELNS1_3gpuE3ELNS1_3repE0EEENS1_30default_config_static_selectorELNS0_4arch9wavefront6targetE0EEEvT1_
		.amdhsa_group_segment_fixed_size 0
		.amdhsa_private_segment_fixed_size 0
		.amdhsa_kernarg_size 120
		.amdhsa_user_sgpr_count 2
		.amdhsa_user_sgpr_dispatch_ptr 0
		.amdhsa_user_sgpr_queue_ptr 0
		.amdhsa_user_sgpr_kernarg_segment_ptr 1
		.amdhsa_user_sgpr_dispatch_id 0
		.amdhsa_user_sgpr_kernarg_preload_length 0
		.amdhsa_user_sgpr_kernarg_preload_offset 0
		.amdhsa_user_sgpr_private_segment_size 0
		.amdhsa_wavefront_size32 1
		.amdhsa_uses_dynamic_stack 0
		.amdhsa_enable_private_segment 0
		.amdhsa_system_sgpr_workgroup_id_x 1
		.amdhsa_system_sgpr_workgroup_id_y 0
		.amdhsa_system_sgpr_workgroup_id_z 0
		.amdhsa_system_sgpr_workgroup_info 0
		.amdhsa_system_vgpr_workitem_id 0
		.amdhsa_next_free_vgpr 1
		.amdhsa_next_free_sgpr 1
		.amdhsa_named_barrier_count 0
		.amdhsa_reserve_vcc 0
		.amdhsa_float_round_mode_32 0
		.amdhsa_float_round_mode_16_64 0
		.amdhsa_float_denorm_mode_32 3
		.amdhsa_float_denorm_mode_16_64 3
		.amdhsa_fp16_overflow 0
		.amdhsa_memory_ordered 1
		.amdhsa_forward_progress 1
		.amdhsa_inst_pref_size 0
		.amdhsa_round_robin_scheduling 0
		.amdhsa_exception_fp_ieee_invalid_op 0
		.amdhsa_exception_fp_denorm_src 0
		.amdhsa_exception_fp_ieee_div_zero 0
		.amdhsa_exception_fp_ieee_overflow 0
		.amdhsa_exception_fp_ieee_underflow 0
		.amdhsa_exception_fp_ieee_inexact 0
		.amdhsa_exception_int_div_zero 0
	.end_amdhsa_kernel
	.section	.text._ZN7rocprim17ROCPRIM_400000_NS6detail17trampoline_kernelINS0_14default_configENS1_25partition_config_selectorILNS1_17partition_subalgoE8ElNS0_10empty_typeEbEEZZNS1_14partition_implILS5_8ELb0ES3_jPlPS6_PKS6_NS0_5tupleIJS9_S6_EEENSD_IJSA_SA_EEENS0_18inequality_wrapperIZN2at6native12_GLOBAL__N_124unique_dim_cuda_templateItEESt5tupleIJNSH_6TensorESM_SM_EERKSM_lbbbEUlllE0_EEPmJS6_EEE10hipError_tPvRmT3_T4_T5_T6_T7_T9_mT8_P12ihipStream_tbDpT10_ENKUlT_T0_E_clISt17integral_constantIbLb0EES1C_EEDaS17_S18_EUlS17_E_NS1_11comp_targetILNS1_3genE9ELNS1_11target_archE1100ELNS1_3gpuE3ELNS1_3repE0EEENS1_30default_config_static_selectorELNS0_4arch9wavefront6targetE0EEEvT1_,"axG",@progbits,_ZN7rocprim17ROCPRIM_400000_NS6detail17trampoline_kernelINS0_14default_configENS1_25partition_config_selectorILNS1_17partition_subalgoE8ElNS0_10empty_typeEbEEZZNS1_14partition_implILS5_8ELb0ES3_jPlPS6_PKS6_NS0_5tupleIJS9_S6_EEENSD_IJSA_SA_EEENS0_18inequality_wrapperIZN2at6native12_GLOBAL__N_124unique_dim_cuda_templateItEESt5tupleIJNSH_6TensorESM_SM_EERKSM_lbbbEUlllE0_EEPmJS6_EEE10hipError_tPvRmT3_T4_T5_T6_T7_T9_mT8_P12ihipStream_tbDpT10_ENKUlT_T0_E_clISt17integral_constantIbLb0EES1C_EEDaS17_S18_EUlS17_E_NS1_11comp_targetILNS1_3genE9ELNS1_11target_archE1100ELNS1_3gpuE3ELNS1_3repE0EEENS1_30default_config_static_selectorELNS0_4arch9wavefront6targetE0EEEvT1_,comdat
.Lfunc_end1425:
	.size	_ZN7rocprim17ROCPRIM_400000_NS6detail17trampoline_kernelINS0_14default_configENS1_25partition_config_selectorILNS1_17partition_subalgoE8ElNS0_10empty_typeEbEEZZNS1_14partition_implILS5_8ELb0ES3_jPlPS6_PKS6_NS0_5tupleIJS9_S6_EEENSD_IJSA_SA_EEENS0_18inequality_wrapperIZN2at6native12_GLOBAL__N_124unique_dim_cuda_templateItEESt5tupleIJNSH_6TensorESM_SM_EERKSM_lbbbEUlllE0_EEPmJS6_EEE10hipError_tPvRmT3_T4_T5_T6_T7_T9_mT8_P12ihipStream_tbDpT10_ENKUlT_T0_E_clISt17integral_constantIbLb0EES1C_EEDaS17_S18_EUlS17_E_NS1_11comp_targetILNS1_3genE9ELNS1_11target_archE1100ELNS1_3gpuE3ELNS1_3repE0EEENS1_30default_config_static_selectorELNS0_4arch9wavefront6targetE0EEEvT1_, .Lfunc_end1425-_ZN7rocprim17ROCPRIM_400000_NS6detail17trampoline_kernelINS0_14default_configENS1_25partition_config_selectorILNS1_17partition_subalgoE8ElNS0_10empty_typeEbEEZZNS1_14partition_implILS5_8ELb0ES3_jPlPS6_PKS6_NS0_5tupleIJS9_S6_EEENSD_IJSA_SA_EEENS0_18inequality_wrapperIZN2at6native12_GLOBAL__N_124unique_dim_cuda_templateItEESt5tupleIJNSH_6TensorESM_SM_EERKSM_lbbbEUlllE0_EEPmJS6_EEE10hipError_tPvRmT3_T4_T5_T6_T7_T9_mT8_P12ihipStream_tbDpT10_ENKUlT_T0_E_clISt17integral_constantIbLb0EES1C_EEDaS17_S18_EUlS17_E_NS1_11comp_targetILNS1_3genE9ELNS1_11target_archE1100ELNS1_3gpuE3ELNS1_3repE0EEENS1_30default_config_static_selectorELNS0_4arch9wavefront6targetE0EEEvT1_
                                        ; -- End function
	.set _ZN7rocprim17ROCPRIM_400000_NS6detail17trampoline_kernelINS0_14default_configENS1_25partition_config_selectorILNS1_17partition_subalgoE8ElNS0_10empty_typeEbEEZZNS1_14partition_implILS5_8ELb0ES3_jPlPS6_PKS6_NS0_5tupleIJS9_S6_EEENSD_IJSA_SA_EEENS0_18inequality_wrapperIZN2at6native12_GLOBAL__N_124unique_dim_cuda_templateItEESt5tupleIJNSH_6TensorESM_SM_EERKSM_lbbbEUlllE0_EEPmJS6_EEE10hipError_tPvRmT3_T4_T5_T6_T7_T9_mT8_P12ihipStream_tbDpT10_ENKUlT_T0_E_clISt17integral_constantIbLb0EES1C_EEDaS17_S18_EUlS17_E_NS1_11comp_targetILNS1_3genE9ELNS1_11target_archE1100ELNS1_3gpuE3ELNS1_3repE0EEENS1_30default_config_static_selectorELNS0_4arch9wavefront6targetE0EEEvT1_.num_vgpr, 0
	.set _ZN7rocprim17ROCPRIM_400000_NS6detail17trampoline_kernelINS0_14default_configENS1_25partition_config_selectorILNS1_17partition_subalgoE8ElNS0_10empty_typeEbEEZZNS1_14partition_implILS5_8ELb0ES3_jPlPS6_PKS6_NS0_5tupleIJS9_S6_EEENSD_IJSA_SA_EEENS0_18inequality_wrapperIZN2at6native12_GLOBAL__N_124unique_dim_cuda_templateItEESt5tupleIJNSH_6TensorESM_SM_EERKSM_lbbbEUlllE0_EEPmJS6_EEE10hipError_tPvRmT3_T4_T5_T6_T7_T9_mT8_P12ihipStream_tbDpT10_ENKUlT_T0_E_clISt17integral_constantIbLb0EES1C_EEDaS17_S18_EUlS17_E_NS1_11comp_targetILNS1_3genE9ELNS1_11target_archE1100ELNS1_3gpuE3ELNS1_3repE0EEENS1_30default_config_static_selectorELNS0_4arch9wavefront6targetE0EEEvT1_.num_agpr, 0
	.set _ZN7rocprim17ROCPRIM_400000_NS6detail17trampoline_kernelINS0_14default_configENS1_25partition_config_selectorILNS1_17partition_subalgoE8ElNS0_10empty_typeEbEEZZNS1_14partition_implILS5_8ELb0ES3_jPlPS6_PKS6_NS0_5tupleIJS9_S6_EEENSD_IJSA_SA_EEENS0_18inequality_wrapperIZN2at6native12_GLOBAL__N_124unique_dim_cuda_templateItEESt5tupleIJNSH_6TensorESM_SM_EERKSM_lbbbEUlllE0_EEPmJS6_EEE10hipError_tPvRmT3_T4_T5_T6_T7_T9_mT8_P12ihipStream_tbDpT10_ENKUlT_T0_E_clISt17integral_constantIbLb0EES1C_EEDaS17_S18_EUlS17_E_NS1_11comp_targetILNS1_3genE9ELNS1_11target_archE1100ELNS1_3gpuE3ELNS1_3repE0EEENS1_30default_config_static_selectorELNS0_4arch9wavefront6targetE0EEEvT1_.numbered_sgpr, 0
	.set _ZN7rocprim17ROCPRIM_400000_NS6detail17trampoline_kernelINS0_14default_configENS1_25partition_config_selectorILNS1_17partition_subalgoE8ElNS0_10empty_typeEbEEZZNS1_14partition_implILS5_8ELb0ES3_jPlPS6_PKS6_NS0_5tupleIJS9_S6_EEENSD_IJSA_SA_EEENS0_18inequality_wrapperIZN2at6native12_GLOBAL__N_124unique_dim_cuda_templateItEESt5tupleIJNSH_6TensorESM_SM_EERKSM_lbbbEUlllE0_EEPmJS6_EEE10hipError_tPvRmT3_T4_T5_T6_T7_T9_mT8_P12ihipStream_tbDpT10_ENKUlT_T0_E_clISt17integral_constantIbLb0EES1C_EEDaS17_S18_EUlS17_E_NS1_11comp_targetILNS1_3genE9ELNS1_11target_archE1100ELNS1_3gpuE3ELNS1_3repE0EEENS1_30default_config_static_selectorELNS0_4arch9wavefront6targetE0EEEvT1_.num_named_barrier, 0
	.set _ZN7rocprim17ROCPRIM_400000_NS6detail17trampoline_kernelINS0_14default_configENS1_25partition_config_selectorILNS1_17partition_subalgoE8ElNS0_10empty_typeEbEEZZNS1_14partition_implILS5_8ELb0ES3_jPlPS6_PKS6_NS0_5tupleIJS9_S6_EEENSD_IJSA_SA_EEENS0_18inequality_wrapperIZN2at6native12_GLOBAL__N_124unique_dim_cuda_templateItEESt5tupleIJNSH_6TensorESM_SM_EERKSM_lbbbEUlllE0_EEPmJS6_EEE10hipError_tPvRmT3_T4_T5_T6_T7_T9_mT8_P12ihipStream_tbDpT10_ENKUlT_T0_E_clISt17integral_constantIbLb0EES1C_EEDaS17_S18_EUlS17_E_NS1_11comp_targetILNS1_3genE9ELNS1_11target_archE1100ELNS1_3gpuE3ELNS1_3repE0EEENS1_30default_config_static_selectorELNS0_4arch9wavefront6targetE0EEEvT1_.private_seg_size, 0
	.set _ZN7rocprim17ROCPRIM_400000_NS6detail17trampoline_kernelINS0_14default_configENS1_25partition_config_selectorILNS1_17partition_subalgoE8ElNS0_10empty_typeEbEEZZNS1_14partition_implILS5_8ELb0ES3_jPlPS6_PKS6_NS0_5tupleIJS9_S6_EEENSD_IJSA_SA_EEENS0_18inequality_wrapperIZN2at6native12_GLOBAL__N_124unique_dim_cuda_templateItEESt5tupleIJNSH_6TensorESM_SM_EERKSM_lbbbEUlllE0_EEPmJS6_EEE10hipError_tPvRmT3_T4_T5_T6_T7_T9_mT8_P12ihipStream_tbDpT10_ENKUlT_T0_E_clISt17integral_constantIbLb0EES1C_EEDaS17_S18_EUlS17_E_NS1_11comp_targetILNS1_3genE9ELNS1_11target_archE1100ELNS1_3gpuE3ELNS1_3repE0EEENS1_30default_config_static_selectorELNS0_4arch9wavefront6targetE0EEEvT1_.uses_vcc, 0
	.set _ZN7rocprim17ROCPRIM_400000_NS6detail17trampoline_kernelINS0_14default_configENS1_25partition_config_selectorILNS1_17partition_subalgoE8ElNS0_10empty_typeEbEEZZNS1_14partition_implILS5_8ELb0ES3_jPlPS6_PKS6_NS0_5tupleIJS9_S6_EEENSD_IJSA_SA_EEENS0_18inequality_wrapperIZN2at6native12_GLOBAL__N_124unique_dim_cuda_templateItEESt5tupleIJNSH_6TensorESM_SM_EERKSM_lbbbEUlllE0_EEPmJS6_EEE10hipError_tPvRmT3_T4_T5_T6_T7_T9_mT8_P12ihipStream_tbDpT10_ENKUlT_T0_E_clISt17integral_constantIbLb0EES1C_EEDaS17_S18_EUlS17_E_NS1_11comp_targetILNS1_3genE9ELNS1_11target_archE1100ELNS1_3gpuE3ELNS1_3repE0EEENS1_30default_config_static_selectorELNS0_4arch9wavefront6targetE0EEEvT1_.uses_flat_scratch, 0
	.set _ZN7rocprim17ROCPRIM_400000_NS6detail17trampoline_kernelINS0_14default_configENS1_25partition_config_selectorILNS1_17partition_subalgoE8ElNS0_10empty_typeEbEEZZNS1_14partition_implILS5_8ELb0ES3_jPlPS6_PKS6_NS0_5tupleIJS9_S6_EEENSD_IJSA_SA_EEENS0_18inequality_wrapperIZN2at6native12_GLOBAL__N_124unique_dim_cuda_templateItEESt5tupleIJNSH_6TensorESM_SM_EERKSM_lbbbEUlllE0_EEPmJS6_EEE10hipError_tPvRmT3_T4_T5_T6_T7_T9_mT8_P12ihipStream_tbDpT10_ENKUlT_T0_E_clISt17integral_constantIbLb0EES1C_EEDaS17_S18_EUlS17_E_NS1_11comp_targetILNS1_3genE9ELNS1_11target_archE1100ELNS1_3gpuE3ELNS1_3repE0EEENS1_30default_config_static_selectorELNS0_4arch9wavefront6targetE0EEEvT1_.has_dyn_sized_stack, 0
	.set _ZN7rocprim17ROCPRIM_400000_NS6detail17trampoline_kernelINS0_14default_configENS1_25partition_config_selectorILNS1_17partition_subalgoE8ElNS0_10empty_typeEbEEZZNS1_14partition_implILS5_8ELb0ES3_jPlPS6_PKS6_NS0_5tupleIJS9_S6_EEENSD_IJSA_SA_EEENS0_18inequality_wrapperIZN2at6native12_GLOBAL__N_124unique_dim_cuda_templateItEESt5tupleIJNSH_6TensorESM_SM_EERKSM_lbbbEUlllE0_EEPmJS6_EEE10hipError_tPvRmT3_T4_T5_T6_T7_T9_mT8_P12ihipStream_tbDpT10_ENKUlT_T0_E_clISt17integral_constantIbLb0EES1C_EEDaS17_S18_EUlS17_E_NS1_11comp_targetILNS1_3genE9ELNS1_11target_archE1100ELNS1_3gpuE3ELNS1_3repE0EEENS1_30default_config_static_selectorELNS0_4arch9wavefront6targetE0EEEvT1_.has_recursion, 0
	.set _ZN7rocprim17ROCPRIM_400000_NS6detail17trampoline_kernelINS0_14default_configENS1_25partition_config_selectorILNS1_17partition_subalgoE8ElNS0_10empty_typeEbEEZZNS1_14partition_implILS5_8ELb0ES3_jPlPS6_PKS6_NS0_5tupleIJS9_S6_EEENSD_IJSA_SA_EEENS0_18inequality_wrapperIZN2at6native12_GLOBAL__N_124unique_dim_cuda_templateItEESt5tupleIJNSH_6TensorESM_SM_EERKSM_lbbbEUlllE0_EEPmJS6_EEE10hipError_tPvRmT3_T4_T5_T6_T7_T9_mT8_P12ihipStream_tbDpT10_ENKUlT_T0_E_clISt17integral_constantIbLb0EES1C_EEDaS17_S18_EUlS17_E_NS1_11comp_targetILNS1_3genE9ELNS1_11target_archE1100ELNS1_3gpuE3ELNS1_3repE0EEENS1_30default_config_static_selectorELNS0_4arch9wavefront6targetE0EEEvT1_.has_indirect_call, 0
	.section	.AMDGPU.csdata,"",@progbits
; Kernel info:
; codeLenInByte = 0
; TotalNumSgprs: 0
; NumVgprs: 0
; ScratchSize: 0
; MemoryBound: 0
; FloatMode: 240
; IeeeMode: 1
; LDSByteSize: 0 bytes/workgroup (compile time only)
; SGPRBlocks: 0
; VGPRBlocks: 0
; NumSGPRsForWavesPerEU: 1
; NumVGPRsForWavesPerEU: 1
; NamedBarCnt: 0
; Occupancy: 16
; WaveLimiterHint : 0
; COMPUTE_PGM_RSRC2:SCRATCH_EN: 0
; COMPUTE_PGM_RSRC2:USER_SGPR: 2
; COMPUTE_PGM_RSRC2:TRAP_HANDLER: 0
; COMPUTE_PGM_RSRC2:TGID_X_EN: 1
; COMPUTE_PGM_RSRC2:TGID_Y_EN: 0
; COMPUTE_PGM_RSRC2:TGID_Z_EN: 0
; COMPUTE_PGM_RSRC2:TIDIG_COMP_CNT: 0
	.section	.text._ZN7rocprim17ROCPRIM_400000_NS6detail17trampoline_kernelINS0_14default_configENS1_25partition_config_selectorILNS1_17partition_subalgoE8ElNS0_10empty_typeEbEEZZNS1_14partition_implILS5_8ELb0ES3_jPlPS6_PKS6_NS0_5tupleIJS9_S6_EEENSD_IJSA_SA_EEENS0_18inequality_wrapperIZN2at6native12_GLOBAL__N_124unique_dim_cuda_templateItEESt5tupleIJNSH_6TensorESM_SM_EERKSM_lbbbEUlllE0_EEPmJS6_EEE10hipError_tPvRmT3_T4_T5_T6_T7_T9_mT8_P12ihipStream_tbDpT10_ENKUlT_T0_E_clISt17integral_constantIbLb0EES1C_EEDaS17_S18_EUlS17_E_NS1_11comp_targetILNS1_3genE8ELNS1_11target_archE1030ELNS1_3gpuE2ELNS1_3repE0EEENS1_30default_config_static_selectorELNS0_4arch9wavefront6targetE0EEEvT1_,"axG",@progbits,_ZN7rocprim17ROCPRIM_400000_NS6detail17trampoline_kernelINS0_14default_configENS1_25partition_config_selectorILNS1_17partition_subalgoE8ElNS0_10empty_typeEbEEZZNS1_14partition_implILS5_8ELb0ES3_jPlPS6_PKS6_NS0_5tupleIJS9_S6_EEENSD_IJSA_SA_EEENS0_18inequality_wrapperIZN2at6native12_GLOBAL__N_124unique_dim_cuda_templateItEESt5tupleIJNSH_6TensorESM_SM_EERKSM_lbbbEUlllE0_EEPmJS6_EEE10hipError_tPvRmT3_T4_T5_T6_T7_T9_mT8_P12ihipStream_tbDpT10_ENKUlT_T0_E_clISt17integral_constantIbLb0EES1C_EEDaS17_S18_EUlS17_E_NS1_11comp_targetILNS1_3genE8ELNS1_11target_archE1030ELNS1_3gpuE2ELNS1_3repE0EEENS1_30default_config_static_selectorELNS0_4arch9wavefront6targetE0EEEvT1_,comdat
	.globl	_ZN7rocprim17ROCPRIM_400000_NS6detail17trampoline_kernelINS0_14default_configENS1_25partition_config_selectorILNS1_17partition_subalgoE8ElNS0_10empty_typeEbEEZZNS1_14partition_implILS5_8ELb0ES3_jPlPS6_PKS6_NS0_5tupleIJS9_S6_EEENSD_IJSA_SA_EEENS0_18inequality_wrapperIZN2at6native12_GLOBAL__N_124unique_dim_cuda_templateItEESt5tupleIJNSH_6TensorESM_SM_EERKSM_lbbbEUlllE0_EEPmJS6_EEE10hipError_tPvRmT3_T4_T5_T6_T7_T9_mT8_P12ihipStream_tbDpT10_ENKUlT_T0_E_clISt17integral_constantIbLb0EES1C_EEDaS17_S18_EUlS17_E_NS1_11comp_targetILNS1_3genE8ELNS1_11target_archE1030ELNS1_3gpuE2ELNS1_3repE0EEENS1_30default_config_static_selectorELNS0_4arch9wavefront6targetE0EEEvT1_ ; -- Begin function _ZN7rocprim17ROCPRIM_400000_NS6detail17trampoline_kernelINS0_14default_configENS1_25partition_config_selectorILNS1_17partition_subalgoE8ElNS0_10empty_typeEbEEZZNS1_14partition_implILS5_8ELb0ES3_jPlPS6_PKS6_NS0_5tupleIJS9_S6_EEENSD_IJSA_SA_EEENS0_18inequality_wrapperIZN2at6native12_GLOBAL__N_124unique_dim_cuda_templateItEESt5tupleIJNSH_6TensorESM_SM_EERKSM_lbbbEUlllE0_EEPmJS6_EEE10hipError_tPvRmT3_T4_T5_T6_T7_T9_mT8_P12ihipStream_tbDpT10_ENKUlT_T0_E_clISt17integral_constantIbLb0EES1C_EEDaS17_S18_EUlS17_E_NS1_11comp_targetILNS1_3genE8ELNS1_11target_archE1030ELNS1_3gpuE2ELNS1_3repE0EEENS1_30default_config_static_selectorELNS0_4arch9wavefront6targetE0EEEvT1_
	.p2align	8
	.type	_ZN7rocprim17ROCPRIM_400000_NS6detail17trampoline_kernelINS0_14default_configENS1_25partition_config_selectorILNS1_17partition_subalgoE8ElNS0_10empty_typeEbEEZZNS1_14partition_implILS5_8ELb0ES3_jPlPS6_PKS6_NS0_5tupleIJS9_S6_EEENSD_IJSA_SA_EEENS0_18inequality_wrapperIZN2at6native12_GLOBAL__N_124unique_dim_cuda_templateItEESt5tupleIJNSH_6TensorESM_SM_EERKSM_lbbbEUlllE0_EEPmJS6_EEE10hipError_tPvRmT3_T4_T5_T6_T7_T9_mT8_P12ihipStream_tbDpT10_ENKUlT_T0_E_clISt17integral_constantIbLb0EES1C_EEDaS17_S18_EUlS17_E_NS1_11comp_targetILNS1_3genE8ELNS1_11target_archE1030ELNS1_3gpuE2ELNS1_3repE0EEENS1_30default_config_static_selectorELNS0_4arch9wavefront6targetE0EEEvT1_,@function
_ZN7rocprim17ROCPRIM_400000_NS6detail17trampoline_kernelINS0_14default_configENS1_25partition_config_selectorILNS1_17partition_subalgoE8ElNS0_10empty_typeEbEEZZNS1_14partition_implILS5_8ELb0ES3_jPlPS6_PKS6_NS0_5tupleIJS9_S6_EEENSD_IJSA_SA_EEENS0_18inequality_wrapperIZN2at6native12_GLOBAL__N_124unique_dim_cuda_templateItEESt5tupleIJNSH_6TensorESM_SM_EERKSM_lbbbEUlllE0_EEPmJS6_EEE10hipError_tPvRmT3_T4_T5_T6_T7_T9_mT8_P12ihipStream_tbDpT10_ENKUlT_T0_E_clISt17integral_constantIbLb0EES1C_EEDaS17_S18_EUlS17_E_NS1_11comp_targetILNS1_3genE8ELNS1_11target_archE1030ELNS1_3gpuE2ELNS1_3repE0EEENS1_30default_config_static_selectorELNS0_4arch9wavefront6targetE0EEEvT1_: ; @_ZN7rocprim17ROCPRIM_400000_NS6detail17trampoline_kernelINS0_14default_configENS1_25partition_config_selectorILNS1_17partition_subalgoE8ElNS0_10empty_typeEbEEZZNS1_14partition_implILS5_8ELb0ES3_jPlPS6_PKS6_NS0_5tupleIJS9_S6_EEENSD_IJSA_SA_EEENS0_18inequality_wrapperIZN2at6native12_GLOBAL__N_124unique_dim_cuda_templateItEESt5tupleIJNSH_6TensorESM_SM_EERKSM_lbbbEUlllE0_EEPmJS6_EEE10hipError_tPvRmT3_T4_T5_T6_T7_T9_mT8_P12ihipStream_tbDpT10_ENKUlT_T0_E_clISt17integral_constantIbLb0EES1C_EEDaS17_S18_EUlS17_E_NS1_11comp_targetILNS1_3genE8ELNS1_11target_archE1030ELNS1_3gpuE2ELNS1_3repE0EEENS1_30default_config_static_selectorELNS0_4arch9wavefront6targetE0EEEvT1_
; %bb.0:
	.section	.rodata,"a",@progbits
	.p2align	6, 0x0
	.amdhsa_kernel _ZN7rocprim17ROCPRIM_400000_NS6detail17trampoline_kernelINS0_14default_configENS1_25partition_config_selectorILNS1_17partition_subalgoE8ElNS0_10empty_typeEbEEZZNS1_14partition_implILS5_8ELb0ES3_jPlPS6_PKS6_NS0_5tupleIJS9_S6_EEENSD_IJSA_SA_EEENS0_18inequality_wrapperIZN2at6native12_GLOBAL__N_124unique_dim_cuda_templateItEESt5tupleIJNSH_6TensorESM_SM_EERKSM_lbbbEUlllE0_EEPmJS6_EEE10hipError_tPvRmT3_T4_T5_T6_T7_T9_mT8_P12ihipStream_tbDpT10_ENKUlT_T0_E_clISt17integral_constantIbLb0EES1C_EEDaS17_S18_EUlS17_E_NS1_11comp_targetILNS1_3genE8ELNS1_11target_archE1030ELNS1_3gpuE2ELNS1_3repE0EEENS1_30default_config_static_selectorELNS0_4arch9wavefront6targetE0EEEvT1_
		.amdhsa_group_segment_fixed_size 0
		.amdhsa_private_segment_fixed_size 0
		.amdhsa_kernarg_size 120
		.amdhsa_user_sgpr_count 2
		.amdhsa_user_sgpr_dispatch_ptr 0
		.amdhsa_user_sgpr_queue_ptr 0
		.amdhsa_user_sgpr_kernarg_segment_ptr 1
		.amdhsa_user_sgpr_dispatch_id 0
		.amdhsa_user_sgpr_kernarg_preload_length 0
		.amdhsa_user_sgpr_kernarg_preload_offset 0
		.amdhsa_user_sgpr_private_segment_size 0
		.amdhsa_wavefront_size32 1
		.amdhsa_uses_dynamic_stack 0
		.amdhsa_enable_private_segment 0
		.amdhsa_system_sgpr_workgroup_id_x 1
		.amdhsa_system_sgpr_workgroup_id_y 0
		.amdhsa_system_sgpr_workgroup_id_z 0
		.amdhsa_system_sgpr_workgroup_info 0
		.amdhsa_system_vgpr_workitem_id 0
		.amdhsa_next_free_vgpr 1
		.amdhsa_next_free_sgpr 1
		.amdhsa_named_barrier_count 0
		.amdhsa_reserve_vcc 0
		.amdhsa_float_round_mode_32 0
		.amdhsa_float_round_mode_16_64 0
		.amdhsa_float_denorm_mode_32 3
		.amdhsa_float_denorm_mode_16_64 3
		.amdhsa_fp16_overflow 0
		.amdhsa_memory_ordered 1
		.amdhsa_forward_progress 1
		.amdhsa_inst_pref_size 0
		.amdhsa_round_robin_scheduling 0
		.amdhsa_exception_fp_ieee_invalid_op 0
		.amdhsa_exception_fp_denorm_src 0
		.amdhsa_exception_fp_ieee_div_zero 0
		.amdhsa_exception_fp_ieee_overflow 0
		.amdhsa_exception_fp_ieee_underflow 0
		.amdhsa_exception_fp_ieee_inexact 0
		.amdhsa_exception_int_div_zero 0
	.end_amdhsa_kernel
	.section	.text._ZN7rocprim17ROCPRIM_400000_NS6detail17trampoline_kernelINS0_14default_configENS1_25partition_config_selectorILNS1_17partition_subalgoE8ElNS0_10empty_typeEbEEZZNS1_14partition_implILS5_8ELb0ES3_jPlPS6_PKS6_NS0_5tupleIJS9_S6_EEENSD_IJSA_SA_EEENS0_18inequality_wrapperIZN2at6native12_GLOBAL__N_124unique_dim_cuda_templateItEESt5tupleIJNSH_6TensorESM_SM_EERKSM_lbbbEUlllE0_EEPmJS6_EEE10hipError_tPvRmT3_T4_T5_T6_T7_T9_mT8_P12ihipStream_tbDpT10_ENKUlT_T0_E_clISt17integral_constantIbLb0EES1C_EEDaS17_S18_EUlS17_E_NS1_11comp_targetILNS1_3genE8ELNS1_11target_archE1030ELNS1_3gpuE2ELNS1_3repE0EEENS1_30default_config_static_selectorELNS0_4arch9wavefront6targetE0EEEvT1_,"axG",@progbits,_ZN7rocprim17ROCPRIM_400000_NS6detail17trampoline_kernelINS0_14default_configENS1_25partition_config_selectorILNS1_17partition_subalgoE8ElNS0_10empty_typeEbEEZZNS1_14partition_implILS5_8ELb0ES3_jPlPS6_PKS6_NS0_5tupleIJS9_S6_EEENSD_IJSA_SA_EEENS0_18inequality_wrapperIZN2at6native12_GLOBAL__N_124unique_dim_cuda_templateItEESt5tupleIJNSH_6TensorESM_SM_EERKSM_lbbbEUlllE0_EEPmJS6_EEE10hipError_tPvRmT3_T4_T5_T6_T7_T9_mT8_P12ihipStream_tbDpT10_ENKUlT_T0_E_clISt17integral_constantIbLb0EES1C_EEDaS17_S18_EUlS17_E_NS1_11comp_targetILNS1_3genE8ELNS1_11target_archE1030ELNS1_3gpuE2ELNS1_3repE0EEENS1_30default_config_static_selectorELNS0_4arch9wavefront6targetE0EEEvT1_,comdat
.Lfunc_end1426:
	.size	_ZN7rocprim17ROCPRIM_400000_NS6detail17trampoline_kernelINS0_14default_configENS1_25partition_config_selectorILNS1_17partition_subalgoE8ElNS0_10empty_typeEbEEZZNS1_14partition_implILS5_8ELb0ES3_jPlPS6_PKS6_NS0_5tupleIJS9_S6_EEENSD_IJSA_SA_EEENS0_18inequality_wrapperIZN2at6native12_GLOBAL__N_124unique_dim_cuda_templateItEESt5tupleIJNSH_6TensorESM_SM_EERKSM_lbbbEUlllE0_EEPmJS6_EEE10hipError_tPvRmT3_T4_T5_T6_T7_T9_mT8_P12ihipStream_tbDpT10_ENKUlT_T0_E_clISt17integral_constantIbLb0EES1C_EEDaS17_S18_EUlS17_E_NS1_11comp_targetILNS1_3genE8ELNS1_11target_archE1030ELNS1_3gpuE2ELNS1_3repE0EEENS1_30default_config_static_selectorELNS0_4arch9wavefront6targetE0EEEvT1_, .Lfunc_end1426-_ZN7rocprim17ROCPRIM_400000_NS6detail17trampoline_kernelINS0_14default_configENS1_25partition_config_selectorILNS1_17partition_subalgoE8ElNS0_10empty_typeEbEEZZNS1_14partition_implILS5_8ELb0ES3_jPlPS6_PKS6_NS0_5tupleIJS9_S6_EEENSD_IJSA_SA_EEENS0_18inequality_wrapperIZN2at6native12_GLOBAL__N_124unique_dim_cuda_templateItEESt5tupleIJNSH_6TensorESM_SM_EERKSM_lbbbEUlllE0_EEPmJS6_EEE10hipError_tPvRmT3_T4_T5_T6_T7_T9_mT8_P12ihipStream_tbDpT10_ENKUlT_T0_E_clISt17integral_constantIbLb0EES1C_EEDaS17_S18_EUlS17_E_NS1_11comp_targetILNS1_3genE8ELNS1_11target_archE1030ELNS1_3gpuE2ELNS1_3repE0EEENS1_30default_config_static_selectorELNS0_4arch9wavefront6targetE0EEEvT1_
                                        ; -- End function
	.set _ZN7rocprim17ROCPRIM_400000_NS6detail17trampoline_kernelINS0_14default_configENS1_25partition_config_selectorILNS1_17partition_subalgoE8ElNS0_10empty_typeEbEEZZNS1_14partition_implILS5_8ELb0ES3_jPlPS6_PKS6_NS0_5tupleIJS9_S6_EEENSD_IJSA_SA_EEENS0_18inequality_wrapperIZN2at6native12_GLOBAL__N_124unique_dim_cuda_templateItEESt5tupleIJNSH_6TensorESM_SM_EERKSM_lbbbEUlllE0_EEPmJS6_EEE10hipError_tPvRmT3_T4_T5_T6_T7_T9_mT8_P12ihipStream_tbDpT10_ENKUlT_T0_E_clISt17integral_constantIbLb0EES1C_EEDaS17_S18_EUlS17_E_NS1_11comp_targetILNS1_3genE8ELNS1_11target_archE1030ELNS1_3gpuE2ELNS1_3repE0EEENS1_30default_config_static_selectorELNS0_4arch9wavefront6targetE0EEEvT1_.num_vgpr, 0
	.set _ZN7rocprim17ROCPRIM_400000_NS6detail17trampoline_kernelINS0_14default_configENS1_25partition_config_selectorILNS1_17partition_subalgoE8ElNS0_10empty_typeEbEEZZNS1_14partition_implILS5_8ELb0ES3_jPlPS6_PKS6_NS0_5tupleIJS9_S6_EEENSD_IJSA_SA_EEENS0_18inequality_wrapperIZN2at6native12_GLOBAL__N_124unique_dim_cuda_templateItEESt5tupleIJNSH_6TensorESM_SM_EERKSM_lbbbEUlllE0_EEPmJS6_EEE10hipError_tPvRmT3_T4_T5_T6_T7_T9_mT8_P12ihipStream_tbDpT10_ENKUlT_T0_E_clISt17integral_constantIbLb0EES1C_EEDaS17_S18_EUlS17_E_NS1_11comp_targetILNS1_3genE8ELNS1_11target_archE1030ELNS1_3gpuE2ELNS1_3repE0EEENS1_30default_config_static_selectorELNS0_4arch9wavefront6targetE0EEEvT1_.num_agpr, 0
	.set _ZN7rocprim17ROCPRIM_400000_NS6detail17trampoline_kernelINS0_14default_configENS1_25partition_config_selectorILNS1_17partition_subalgoE8ElNS0_10empty_typeEbEEZZNS1_14partition_implILS5_8ELb0ES3_jPlPS6_PKS6_NS0_5tupleIJS9_S6_EEENSD_IJSA_SA_EEENS0_18inequality_wrapperIZN2at6native12_GLOBAL__N_124unique_dim_cuda_templateItEESt5tupleIJNSH_6TensorESM_SM_EERKSM_lbbbEUlllE0_EEPmJS6_EEE10hipError_tPvRmT3_T4_T5_T6_T7_T9_mT8_P12ihipStream_tbDpT10_ENKUlT_T0_E_clISt17integral_constantIbLb0EES1C_EEDaS17_S18_EUlS17_E_NS1_11comp_targetILNS1_3genE8ELNS1_11target_archE1030ELNS1_3gpuE2ELNS1_3repE0EEENS1_30default_config_static_selectorELNS0_4arch9wavefront6targetE0EEEvT1_.numbered_sgpr, 0
	.set _ZN7rocprim17ROCPRIM_400000_NS6detail17trampoline_kernelINS0_14default_configENS1_25partition_config_selectorILNS1_17partition_subalgoE8ElNS0_10empty_typeEbEEZZNS1_14partition_implILS5_8ELb0ES3_jPlPS6_PKS6_NS0_5tupleIJS9_S6_EEENSD_IJSA_SA_EEENS0_18inequality_wrapperIZN2at6native12_GLOBAL__N_124unique_dim_cuda_templateItEESt5tupleIJNSH_6TensorESM_SM_EERKSM_lbbbEUlllE0_EEPmJS6_EEE10hipError_tPvRmT3_T4_T5_T6_T7_T9_mT8_P12ihipStream_tbDpT10_ENKUlT_T0_E_clISt17integral_constantIbLb0EES1C_EEDaS17_S18_EUlS17_E_NS1_11comp_targetILNS1_3genE8ELNS1_11target_archE1030ELNS1_3gpuE2ELNS1_3repE0EEENS1_30default_config_static_selectorELNS0_4arch9wavefront6targetE0EEEvT1_.num_named_barrier, 0
	.set _ZN7rocprim17ROCPRIM_400000_NS6detail17trampoline_kernelINS0_14default_configENS1_25partition_config_selectorILNS1_17partition_subalgoE8ElNS0_10empty_typeEbEEZZNS1_14partition_implILS5_8ELb0ES3_jPlPS6_PKS6_NS0_5tupleIJS9_S6_EEENSD_IJSA_SA_EEENS0_18inequality_wrapperIZN2at6native12_GLOBAL__N_124unique_dim_cuda_templateItEESt5tupleIJNSH_6TensorESM_SM_EERKSM_lbbbEUlllE0_EEPmJS6_EEE10hipError_tPvRmT3_T4_T5_T6_T7_T9_mT8_P12ihipStream_tbDpT10_ENKUlT_T0_E_clISt17integral_constantIbLb0EES1C_EEDaS17_S18_EUlS17_E_NS1_11comp_targetILNS1_3genE8ELNS1_11target_archE1030ELNS1_3gpuE2ELNS1_3repE0EEENS1_30default_config_static_selectorELNS0_4arch9wavefront6targetE0EEEvT1_.private_seg_size, 0
	.set _ZN7rocprim17ROCPRIM_400000_NS6detail17trampoline_kernelINS0_14default_configENS1_25partition_config_selectorILNS1_17partition_subalgoE8ElNS0_10empty_typeEbEEZZNS1_14partition_implILS5_8ELb0ES3_jPlPS6_PKS6_NS0_5tupleIJS9_S6_EEENSD_IJSA_SA_EEENS0_18inequality_wrapperIZN2at6native12_GLOBAL__N_124unique_dim_cuda_templateItEESt5tupleIJNSH_6TensorESM_SM_EERKSM_lbbbEUlllE0_EEPmJS6_EEE10hipError_tPvRmT3_T4_T5_T6_T7_T9_mT8_P12ihipStream_tbDpT10_ENKUlT_T0_E_clISt17integral_constantIbLb0EES1C_EEDaS17_S18_EUlS17_E_NS1_11comp_targetILNS1_3genE8ELNS1_11target_archE1030ELNS1_3gpuE2ELNS1_3repE0EEENS1_30default_config_static_selectorELNS0_4arch9wavefront6targetE0EEEvT1_.uses_vcc, 0
	.set _ZN7rocprim17ROCPRIM_400000_NS6detail17trampoline_kernelINS0_14default_configENS1_25partition_config_selectorILNS1_17partition_subalgoE8ElNS0_10empty_typeEbEEZZNS1_14partition_implILS5_8ELb0ES3_jPlPS6_PKS6_NS0_5tupleIJS9_S6_EEENSD_IJSA_SA_EEENS0_18inequality_wrapperIZN2at6native12_GLOBAL__N_124unique_dim_cuda_templateItEESt5tupleIJNSH_6TensorESM_SM_EERKSM_lbbbEUlllE0_EEPmJS6_EEE10hipError_tPvRmT3_T4_T5_T6_T7_T9_mT8_P12ihipStream_tbDpT10_ENKUlT_T0_E_clISt17integral_constantIbLb0EES1C_EEDaS17_S18_EUlS17_E_NS1_11comp_targetILNS1_3genE8ELNS1_11target_archE1030ELNS1_3gpuE2ELNS1_3repE0EEENS1_30default_config_static_selectorELNS0_4arch9wavefront6targetE0EEEvT1_.uses_flat_scratch, 0
	.set _ZN7rocprim17ROCPRIM_400000_NS6detail17trampoline_kernelINS0_14default_configENS1_25partition_config_selectorILNS1_17partition_subalgoE8ElNS0_10empty_typeEbEEZZNS1_14partition_implILS5_8ELb0ES3_jPlPS6_PKS6_NS0_5tupleIJS9_S6_EEENSD_IJSA_SA_EEENS0_18inequality_wrapperIZN2at6native12_GLOBAL__N_124unique_dim_cuda_templateItEESt5tupleIJNSH_6TensorESM_SM_EERKSM_lbbbEUlllE0_EEPmJS6_EEE10hipError_tPvRmT3_T4_T5_T6_T7_T9_mT8_P12ihipStream_tbDpT10_ENKUlT_T0_E_clISt17integral_constantIbLb0EES1C_EEDaS17_S18_EUlS17_E_NS1_11comp_targetILNS1_3genE8ELNS1_11target_archE1030ELNS1_3gpuE2ELNS1_3repE0EEENS1_30default_config_static_selectorELNS0_4arch9wavefront6targetE0EEEvT1_.has_dyn_sized_stack, 0
	.set _ZN7rocprim17ROCPRIM_400000_NS6detail17trampoline_kernelINS0_14default_configENS1_25partition_config_selectorILNS1_17partition_subalgoE8ElNS0_10empty_typeEbEEZZNS1_14partition_implILS5_8ELb0ES3_jPlPS6_PKS6_NS0_5tupleIJS9_S6_EEENSD_IJSA_SA_EEENS0_18inequality_wrapperIZN2at6native12_GLOBAL__N_124unique_dim_cuda_templateItEESt5tupleIJNSH_6TensorESM_SM_EERKSM_lbbbEUlllE0_EEPmJS6_EEE10hipError_tPvRmT3_T4_T5_T6_T7_T9_mT8_P12ihipStream_tbDpT10_ENKUlT_T0_E_clISt17integral_constantIbLb0EES1C_EEDaS17_S18_EUlS17_E_NS1_11comp_targetILNS1_3genE8ELNS1_11target_archE1030ELNS1_3gpuE2ELNS1_3repE0EEENS1_30default_config_static_selectorELNS0_4arch9wavefront6targetE0EEEvT1_.has_recursion, 0
	.set _ZN7rocprim17ROCPRIM_400000_NS6detail17trampoline_kernelINS0_14default_configENS1_25partition_config_selectorILNS1_17partition_subalgoE8ElNS0_10empty_typeEbEEZZNS1_14partition_implILS5_8ELb0ES3_jPlPS6_PKS6_NS0_5tupleIJS9_S6_EEENSD_IJSA_SA_EEENS0_18inequality_wrapperIZN2at6native12_GLOBAL__N_124unique_dim_cuda_templateItEESt5tupleIJNSH_6TensorESM_SM_EERKSM_lbbbEUlllE0_EEPmJS6_EEE10hipError_tPvRmT3_T4_T5_T6_T7_T9_mT8_P12ihipStream_tbDpT10_ENKUlT_T0_E_clISt17integral_constantIbLb0EES1C_EEDaS17_S18_EUlS17_E_NS1_11comp_targetILNS1_3genE8ELNS1_11target_archE1030ELNS1_3gpuE2ELNS1_3repE0EEENS1_30default_config_static_selectorELNS0_4arch9wavefront6targetE0EEEvT1_.has_indirect_call, 0
	.section	.AMDGPU.csdata,"",@progbits
; Kernel info:
; codeLenInByte = 0
; TotalNumSgprs: 0
; NumVgprs: 0
; ScratchSize: 0
; MemoryBound: 0
; FloatMode: 240
; IeeeMode: 1
; LDSByteSize: 0 bytes/workgroup (compile time only)
; SGPRBlocks: 0
; VGPRBlocks: 0
; NumSGPRsForWavesPerEU: 1
; NumVGPRsForWavesPerEU: 1
; NamedBarCnt: 0
; Occupancy: 16
; WaveLimiterHint : 0
; COMPUTE_PGM_RSRC2:SCRATCH_EN: 0
; COMPUTE_PGM_RSRC2:USER_SGPR: 2
; COMPUTE_PGM_RSRC2:TRAP_HANDLER: 0
; COMPUTE_PGM_RSRC2:TGID_X_EN: 1
; COMPUTE_PGM_RSRC2:TGID_Y_EN: 0
; COMPUTE_PGM_RSRC2:TGID_Z_EN: 0
; COMPUTE_PGM_RSRC2:TIDIG_COMP_CNT: 0
	.section	.text._ZN7rocprim17ROCPRIM_400000_NS6detail17trampoline_kernelINS0_14default_configENS1_25partition_config_selectorILNS1_17partition_subalgoE8ElNS0_10empty_typeEbEEZZNS1_14partition_implILS5_8ELb0ES3_jPlPS6_PKS6_NS0_5tupleIJS9_S6_EEENSD_IJSA_SA_EEENS0_18inequality_wrapperIZN2at6native12_GLOBAL__N_124unique_dim_cuda_templateItEESt5tupleIJNSH_6TensorESM_SM_EERKSM_lbbbEUlllE0_EEPmJS6_EEE10hipError_tPvRmT3_T4_T5_T6_T7_T9_mT8_P12ihipStream_tbDpT10_ENKUlT_T0_E_clISt17integral_constantIbLb1EES1C_EEDaS17_S18_EUlS17_E_NS1_11comp_targetILNS1_3genE0ELNS1_11target_archE4294967295ELNS1_3gpuE0ELNS1_3repE0EEENS1_30default_config_static_selectorELNS0_4arch9wavefront6targetE0EEEvT1_,"axG",@progbits,_ZN7rocprim17ROCPRIM_400000_NS6detail17trampoline_kernelINS0_14default_configENS1_25partition_config_selectorILNS1_17partition_subalgoE8ElNS0_10empty_typeEbEEZZNS1_14partition_implILS5_8ELb0ES3_jPlPS6_PKS6_NS0_5tupleIJS9_S6_EEENSD_IJSA_SA_EEENS0_18inequality_wrapperIZN2at6native12_GLOBAL__N_124unique_dim_cuda_templateItEESt5tupleIJNSH_6TensorESM_SM_EERKSM_lbbbEUlllE0_EEPmJS6_EEE10hipError_tPvRmT3_T4_T5_T6_T7_T9_mT8_P12ihipStream_tbDpT10_ENKUlT_T0_E_clISt17integral_constantIbLb1EES1C_EEDaS17_S18_EUlS17_E_NS1_11comp_targetILNS1_3genE0ELNS1_11target_archE4294967295ELNS1_3gpuE0ELNS1_3repE0EEENS1_30default_config_static_selectorELNS0_4arch9wavefront6targetE0EEEvT1_,comdat
	.globl	_ZN7rocprim17ROCPRIM_400000_NS6detail17trampoline_kernelINS0_14default_configENS1_25partition_config_selectorILNS1_17partition_subalgoE8ElNS0_10empty_typeEbEEZZNS1_14partition_implILS5_8ELb0ES3_jPlPS6_PKS6_NS0_5tupleIJS9_S6_EEENSD_IJSA_SA_EEENS0_18inequality_wrapperIZN2at6native12_GLOBAL__N_124unique_dim_cuda_templateItEESt5tupleIJNSH_6TensorESM_SM_EERKSM_lbbbEUlllE0_EEPmJS6_EEE10hipError_tPvRmT3_T4_T5_T6_T7_T9_mT8_P12ihipStream_tbDpT10_ENKUlT_T0_E_clISt17integral_constantIbLb1EES1C_EEDaS17_S18_EUlS17_E_NS1_11comp_targetILNS1_3genE0ELNS1_11target_archE4294967295ELNS1_3gpuE0ELNS1_3repE0EEENS1_30default_config_static_selectorELNS0_4arch9wavefront6targetE0EEEvT1_ ; -- Begin function _ZN7rocprim17ROCPRIM_400000_NS6detail17trampoline_kernelINS0_14default_configENS1_25partition_config_selectorILNS1_17partition_subalgoE8ElNS0_10empty_typeEbEEZZNS1_14partition_implILS5_8ELb0ES3_jPlPS6_PKS6_NS0_5tupleIJS9_S6_EEENSD_IJSA_SA_EEENS0_18inequality_wrapperIZN2at6native12_GLOBAL__N_124unique_dim_cuda_templateItEESt5tupleIJNSH_6TensorESM_SM_EERKSM_lbbbEUlllE0_EEPmJS6_EEE10hipError_tPvRmT3_T4_T5_T6_T7_T9_mT8_P12ihipStream_tbDpT10_ENKUlT_T0_E_clISt17integral_constantIbLb1EES1C_EEDaS17_S18_EUlS17_E_NS1_11comp_targetILNS1_3genE0ELNS1_11target_archE4294967295ELNS1_3gpuE0ELNS1_3repE0EEENS1_30default_config_static_selectorELNS0_4arch9wavefront6targetE0EEEvT1_
	.p2align	8
	.type	_ZN7rocprim17ROCPRIM_400000_NS6detail17trampoline_kernelINS0_14default_configENS1_25partition_config_selectorILNS1_17partition_subalgoE8ElNS0_10empty_typeEbEEZZNS1_14partition_implILS5_8ELb0ES3_jPlPS6_PKS6_NS0_5tupleIJS9_S6_EEENSD_IJSA_SA_EEENS0_18inequality_wrapperIZN2at6native12_GLOBAL__N_124unique_dim_cuda_templateItEESt5tupleIJNSH_6TensorESM_SM_EERKSM_lbbbEUlllE0_EEPmJS6_EEE10hipError_tPvRmT3_T4_T5_T6_T7_T9_mT8_P12ihipStream_tbDpT10_ENKUlT_T0_E_clISt17integral_constantIbLb1EES1C_EEDaS17_S18_EUlS17_E_NS1_11comp_targetILNS1_3genE0ELNS1_11target_archE4294967295ELNS1_3gpuE0ELNS1_3repE0EEENS1_30default_config_static_selectorELNS0_4arch9wavefront6targetE0EEEvT1_,@function
_ZN7rocprim17ROCPRIM_400000_NS6detail17trampoline_kernelINS0_14default_configENS1_25partition_config_selectorILNS1_17partition_subalgoE8ElNS0_10empty_typeEbEEZZNS1_14partition_implILS5_8ELb0ES3_jPlPS6_PKS6_NS0_5tupleIJS9_S6_EEENSD_IJSA_SA_EEENS0_18inequality_wrapperIZN2at6native12_GLOBAL__N_124unique_dim_cuda_templateItEESt5tupleIJNSH_6TensorESM_SM_EERKSM_lbbbEUlllE0_EEPmJS6_EEE10hipError_tPvRmT3_T4_T5_T6_T7_T9_mT8_P12ihipStream_tbDpT10_ENKUlT_T0_E_clISt17integral_constantIbLb1EES1C_EEDaS17_S18_EUlS17_E_NS1_11comp_targetILNS1_3genE0ELNS1_11target_archE4294967295ELNS1_3gpuE0ELNS1_3repE0EEENS1_30default_config_static_selectorELNS0_4arch9wavefront6targetE0EEEvT1_: ; @_ZN7rocprim17ROCPRIM_400000_NS6detail17trampoline_kernelINS0_14default_configENS1_25partition_config_selectorILNS1_17partition_subalgoE8ElNS0_10empty_typeEbEEZZNS1_14partition_implILS5_8ELb0ES3_jPlPS6_PKS6_NS0_5tupleIJS9_S6_EEENSD_IJSA_SA_EEENS0_18inequality_wrapperIZN2at6native12_GLOBAL__N_124unique_dim_cuda_templateItEESt5tupleIJNSH_6TensorESM_SM_EERKSM_lbbbEUlllE0_EEPmJS6_EEE10hipError_tPvRmT3_T4_T5_T6_T7_T9_mT8_P12ihipStream_tbDpT10_ENKUlT_T0_E_clISt17integral_constantIbLb1EES1C_EEDaS17_S18_EUlS17_E_NS1_11comp_targetILNS1_3genE0ELNS1_11target_archE4294967295ELNS1_3gpuE0ELNS1_3repE0EEENS1_30default_config_static_selectorELNS0_4arch9wavefront6targetE0EEEvT1_
; %bb.0:
	s_endpgm
	.section	.rodata,"a",@progbits
	.p2align	6, 0x0
	.amdhsa_kernel _ZN7rocprim17ROCPRIM_400000_NS6detail17trampoline_kernelINS0_14default_configENS1_25partition_config_selectorILNS1_17partition_subalgoE8ElNS0_10empty_typeEbEEZZNS1_14partition_implILS5_8ELb0ES3_jPlPS6_PKS6_NS0_5tupleIJS9_S6_EEENSD_IJSA_SA_EEENS0_18inequality_wrapperIZN2at6native12_GLOBAL__N_124unique_dim_cuda_templateItEESt5tupleIJNSH_6TensorESM_SM_EERKSM_lbbbEUlllE0_EEPmJS6_EEE10hipError_tPvRmT3_T4_T5_T6_T7_T9_mT8_P12ihipStream_tbDpT10_ENKUlT_T0_E_clISt17integral_constantIbLb1EES1C_EEDaS17_S18_EUlS17_E_NS1_11comp_targetILNS1_3genE0ELNS1_11target_archE4294967295ELNS1_3gpuE0ELNS1_3repE0EEENS1_30default_config_static_selectorELNS0_4arch9wavefront6targetE0EEEvT1_
		.amdhsa_group_segment_fixed_size 0
		.amdhsa_private_segment_fixed_size 0
		.amdhsa_kernarg_size 136
		.amdhsa_user_sgpr_count 2
		.amdhsa_user_sgpr_dispatch_ptr 0
		.amdhsa_user_sgpr_queue_ptr 0
		.amdhsa_user_sgpr_kernarg_segment_ptr 1
		.amdhsa_user_sgpr_dispatch_id 0
		.amdhsa_user_sgpr_kernarg_preload_length 0
		.amdhsa_user_sgpr_kernarg_preload_offset 0
		.amdhsa_user_sgpr_private_segment_size 0
		.amdhsa_wavefront_size32 1
		.amdhsa_uses_dynamic_stack 0
		.amdhsa_enable_private_segment 0
		.amdhsa_system_sgpr_workgroup_id_x 1
		.amdhsa_system_sgpr_workgroup_id_y 0
		.amdhsa_system_sgpr_workgroup_id_z 0
		.amdhsa_system_sgpr_workgroup_info 0
		.amdhsa_system_vgpr_workitem_id 0
		.amdhsa_next_free_vgpr 1
		.amdhsa_next_free_sgpr 1
		.amdhsa_named_barrier_count 0
		.amdhsa_reserve_vcc 0
		.amdhsa_float_round_mode_32 0
		.amdhsa_float_round_mode_16_64 0
		.amdhsa_float_denorm_mode_32 3
		.amdhsa_float_denorm_mode_16_64 3
		.amdhsa_fp16_overflow 0
		.amdhsa_memory_ordered 1
		.amdhsa_forward_progress 1
		.amdhsa_inst_pref_size 1
		.amdhsa_round_robin_scheduling 0
		.amdhsa_exception_fp_ieee_invalid_op 0
		.amdhsa_exception_fp_denorm_src 0
		.amdhsa_exception_fp_ieee_div_zero 0
		.amdhsa_exception_fp_ieee_overflow 0
		.amdhsa_exception_fp_ieee_underflow 0
		.amdhsa_exception_fp_ieee_inexact 0
		.amdhsa_exception_int_div_zero 0
	.end_amdhsa_kernel
	.section	.text._ZN7rocprim17ROCPRIM_400000_NS6detail17trampoline_kernelINS0_14default_configENS1_25partition_config_selectorILNS1_17partition_subalgoE8ElNS0_10empty_typeEbEEZZNS1_14partition_implILS5_8ELb0ES3_jPlPS6_PKS6_NS0_5tupleIJS9_S6_EEENSD_IJSA_SA_EEENS0_18inequality_wrapperIZN2at6native12_GLOBAL__N_124unique_dim_cuda_templateItEESt5tupleIJNSH_6TensorESM_SM_EERKSM_lbbbEUlllE0_EEPmJS6_EEE10hipError_tPvRmT3_T4_T5_T6_T7_T9_mT8_P12ihipStream_tbDpT10_ENKUlT_T0_E_clISt17integral_constantIbLb1EES1C_EEDaS17_S18_EUlS17_E_NS1_11comp_targetILNS1_3genE0ELNS1_11target_archE4294967295ELNS1_3gpuE0ELNS1_3repE0EEENS1_30default_config_static_selectorELNS0_4arch9wavefront6targetE0EEEvT1_,"axG",@progbits,_ZN7rocprim17ROCPRIM_400000_NS6detail17trampoline_kernelINS0_14default_configENS1_25partition_config_selectorILNS1_17partition_subalgoE8ElNS0_10empty_typeEbEEZZNS1_14partition_implILS5_8ELb0ES3_jPlPS6_PKS6_NS0_5tupleIJS9_S6_EEENSD_IJSA_SA_EEENS0_18inequality_wrapperIZN2at6native12_GLOBAL__N_124unique_dim_cuda_templateItEESt5tupleIJNSH_6TensorESM_SM_EERKSM_lbbbEUlllE0_EEPmJS6_EEE10hipError_tPvRmT3_T4_T5_T6_T7_T9_mT8_P12ihipStream_tbDpT10_ENKUlT_T0_E_clISt17integral_constantIbLb1EES1C_EEDaS17_S18_EUlS17_E_NS1_11comp_targetILNS1_3genE0ELNS1_11target_archE4294967295ELNS1_3gpuE0ELNS1_3repE0EEENS1_30default_config_static_selectorELNS0_4arch9wavefront6targetE0EEEvT1_,comdat
.Lfunc_end1427:
	.size	_ZN7rocprim17ROCPRIM_400000_NS6detail17trampoline_kernelINS0_14default_configENS1_25partition_config_selectorILNS1_17partition_subalgoE8ElNS0_10empty_typeEbEEZZNS1_14partition_implILS5_8ELb0ES3_jPlPS6_PKS6_NS0_5tupleIJS9_S6_EEENSD_IJSA_SA_EEENS0_18inequality_wrapperIZN2at6native12_GLOBAL__N_124unique_dim_cuda_templateItEESt5tupleIJNSH_6TensorESM_SM_EERKSM_lbbbEUlllE0_EEPmJS6_EEE10hipError_tPvRmT3_T4_T5_T6_T7_T9_mT8_P12ihipStream_tbDpT10_ENKUlT_T0_E_clISt17integral_constantIbLb1EES1C_EEDaS17_S18_EUlS17_E_NS1_11comp_targetILNS1_3genE0ELNS1_11target_archE4294967295ELNS1_3gpuE0ELNS1_3repE0EEENS1_30default_config_static_selectorELNS0_4arch9wavefront6targetE0EEEvT1_, .Lfunc_end1427-_ZN7rocprim17ROCPRIM_400000_NS6detail17trampoline_kernelINS0_14default_configENS1_25partition_config_selectorILNS1_17partition_subalgoE8ElNS0_10empty_typeEbEEZZNS1_14partition_implILS5_8ELb0ES3_jPlPS6_PKS6_NS0_5tupleIJS9_S6_EEENSD_IJSA_SA_EEENS0_18inequality_wrapperIZN2at6native12_GLOBAL__N_124unique_dim_cuda_templateItEESt5tupleIJNSH_6TensorESM_SM_EERKSM_lbbbEUlllE0_EEPmJS6_EEE10hipError_tPvRmT3_T4_T5_T6_T7_T9_mT8_P12ihipStream_tbDpT10_ENKUlT_T0_E_clISt17integral_constantIbLb1EES1C_EEDaS17_S18_EUlS17_E_NS1_11comp_targetILNS1_3genE0ELNS1_11target_archE4294967295ELNS1_3gpuE0ELNS1_3repE0EEENS1_30default_config_static_selectorELNS0_4arch9wavefront6targetE0EEEvT1_
                                        ; -- End function
	.set _ZN7rocprim17ROCPRIM_400000_NS6detail17trampoline_kernelINS0_14default_configENS1_25partition_config_selectorILNS1_17partition_subalgoE8ElNS0_10empty_typeEbEEZZNS1_14partition_implILS5_8ELb0ES3_jPlPS6_PKS6_NS0_5tupleIJS9_S6_EEENSD_IJSA_SA_EEENS0_18inequality_wrapperIZN2at6native12_GLOBAL__N_124unique_dim_cuda_templateItEESt5tupleIJNSH_6TensorESM_SM_EERKSM_lbbbEUlllE0_EEPmJS6_EEE10hipError_tPvRmT3_T4_T5_T6_T7_T9_mT8_P12ihipStream_tbDpT10_ENKUlT_T0_E_clISt17integral_constantIbLb1EES1C_EEDaS17_S18_EUlS17_E_NS1_11comp_targetILNS1_3genE0ELNS1_11target_archE4294967295ELNS1_3gpuE0ELNS1_3repE0EEENS1_30default_config_static_selectorELNS0_4arch9wavefront6targetE0EEEvT1_.num_vgpr, 0
	.set _ZN7rocprim17ROCPRIM_400000_NS6detail17trampoline_kernelINS0_14default_configENS1_25partition_config_selectorILNS1_17partition_subalgoE8ElNS0_10empty_typeEbEEZZNS1_14partition_implILS5_8ELb0ES3_jPlPS6_PKS6_NS0_5tupleIJS9_S6_EEENSD_IJSA_SA_EEENS0_18inequality_wrapperIZN2at6native12_GLOBAL__N_124unique_dim_cuda_templateItEESt5tupleIJNSH_6TensorESM_SM_EERKSM_lbbbEUlllE0_EEPmJS6_EEE10hipError_tPvRmT3_T4_T5_T6_T7_T9_mT8_P12ihipStream_tbDpT10_ENKUlT_T0_E_clISt17integral_constantIbLb1EES1C_EEDaS17_S18_EUlS17_E_NS1_11comp_targetILNS1_3genE0ELNS1_11target_archE4294967295ELNS1_3gpuE0ELNS1_3repE0EEENS1_30default_config_static_selectorELNS0_4arch9wavefront6targetE0EEEvT1_.num_agpr, 0
	.set _ZN7rocprim17ROCPRIM_400000_NS6detail17trampoline_kernelINS0_14default_configENS1_25partition_config_selectorILNS1_17partition_subalgoE8ElNS0_10empty_typeEbEEZZNS1_14partition_implILS5_8ELb0ES3_jPlPS6_PKS6_NS0_5tupleIJS9_S6_EEENSD_IJSA_SA_EEENS0_18inequality_wrapperIZN2at6native12_GLOBAL__N_124unique_dim_cuda_templateItEESt5tupleIJNSH_6TensorESM_SM_EERKSM_lbbbEUlllE0_EEPmJS6_EEE10hipError_tPvRmT3_T4_T5_T6_T7_T9_mT8_P12ihipStream_tbDpT10_ENKUlT_T0_E_clISt17integral_constantIbLb1EES1C_EEDaS17_S18_EUlS17_E_NS1_11comp_targetILNS1_3genE0ELNS1_11target_archE4294967295ELNS1_3gpuE0ELNS1_3repE0EEENS1_30default_config_static_selectorELNS0_4arch9wavefront6targetE0EEEvT1_.numbered_sgpr, 0
	.set _ZN7rocprim17ROCPRIM_400000_NS6detail17trampoline_kernelINS0_14default_configENS1_25partition_config_selectorILNS1_17partition_subalgoE8ElNS0_10empty_typeEbEEZZNS1_14partition_implILS5_8ELb0ES3_jPlPS6_PKS6_NS0_5tupleIJS9_S6_EEENSD_IJSA_SA_EEENS0_18inequality_wrapperIZN2at6native12_GLOBAL__N_124unique_dim_cuda_templateItEESt5tupleIJNSH_6TensorESM_SM_EERKSM_lbbbEUlllE0_EEPmJS6_EEE10hipError_tPvRmT3_T4_T5_T6_T7_T9_mT8_P12ihipStream_tbDpT10_ENKUlT_T0_E_clISt17integral_constantIbLb1EES1C_EEDaS17_S18_EUlS17_E_NS1_11comp_targetILNS1_3genE0ELNS1_11target_archE4294967295ELNS1_3gpuE0ELNS1_3repE0EEENS1_30default_config_static_selectorELNS0_4arch9wavefront6targetE0EEEvT1_.num_named_barrier, 0
	.set _ZN7rocprim17ROCPRIM_400000_NS6detail17trampoline_kernelINS0_14default_configENS1_25partition_config_selectorILNS1_17partition_subalgoE8ElNS0_10empty_typeEbEEZZNS1_14partition_implILS5_8ELb0ES3_jPlPS6_PKS6_NS0_5tupleIJS9_S6_EEENSD_IJSA_SA_EEENS0_18inequality_wrapperIZN2at6native12_GLOBAL__N_124unique_dim_cuda_templateItEESt5tupleIJNSH_6TensorESM_SM_EERKSM_lbbbEUlllE0_EEPmJS6_EEE10hipError_tPvRmT3_T4_T5_T6_T7_T9_mT8_P12ihipStream_tbDpT10_ENKUlT_T0_E_clISt17integral_constantIbLb1EES1C_EEDaS17_S18_EUlS17_E_NS1_11comp_targetILNS1_3genE0ELNS1_11target_archE4294967295ELNS1_3gpuE0ELNS1_3repE0EEENS1_30default_config_static_selectorELNS0_4arch9wavefront6targetE0EEEvT1_.private_seg_size, 0
	.set _ZN7rocprim17ROCPRIM_400000_NS6detail17trampoline_kernelINS0_14default_configENS1_25partition_config_selectorILNS1_17partition_subalgoE8ElNS0_10empty_typeEbEEZZNS1_14partition_implILS5_8ELb0ES3_jPlPS6_PKS6_NS0_5tupleIJS9_S6_EEENSD_IJSA_SA_EEENS0_18inequality_wrapperIZN2at6native12_GLOBAL__N_124unique_dim_cuda_templateItEESt5tupleIJNSH_6TensorESM_SM_EERKSM_lbbbEUlllE0_EEPmJS6_EEE10hipError_tPvRmT3_T4_T5_T6_T7_T9_mT8_P12ihipStream_tbDpT10_ENKUlT_T0_E_clISt17integral_constantIbLb1EES1C_EEDaS17_S18_EUlS17_E_NS1_11comp_targetILNS1_3genE0ELNS1_11target_archE4294967295ELNS1_3gpuE0ELNS1_3repE0EEENS1_30default_config_static_selectorELNS0_4arch9wavefront6targetE0EEEvT1_.uses_vcc, 0
	.set _ZN7rocprim17ROCPRIM_400000_NS6detail17trampoline_kernelINS0_14default_configENS1_25partition_config_selectorILNS1_17partition_subalgoE8ElNS0_10empty_typeEbEEZZNS1_14partition_implILS5_8ELb0ES3_jPlPS6_PKS6_NS0_5tupleIJS9_S6_EEENSD_IJSA_SA_EEENS0_18inequality_wrapperIZN2at6native12_GLOBAL__N_124unique_dim_cuda_templateItEESt5tupleIJNSH_6TensorESM_SM_EERKSM_lbbbEUlllE0_EEPmJS6_EEE10hipError_tPvRmT3_T4_T5_T6_T7_T9_mT8_P12ihipStream_tbDpT10_ENKUlT_T0_E_clISt17integral_constantIbLb1EES1C_EEDaS17_S18_EUlS17_E_NS1_11comp_targetILNS1_3genE0ELNS1_11target_archE4294967295ELNS1_3gpuE0ELNS1_3repE0EEENS1_30default_config_static_selectorELNS0_4arch9wavefront6targetE0EEEvT1_.uses_flat_scratch, 0
	.set _ZN7rocprim17ROCPRIM_400000_NS6detail17trampoline_kernelINS0_14default_configENS1_25partition_config_selectorILNS1_17partition_subalgoE8ElNS0_10empty_typeEbEEZZNS1_14partition_implILS5_8ELb0ES3_jPlPS6_PKS6_NS0_5tupleIJS9_S6_EEENSD_IJSA_SA_EEENS0_18inequality_wrapperIZN2at6native12_GLOBAL__N_124unique_dim_cuda_templateItEESt5tupleIJNSH_6TensorESM_SM_EERKSM_lbbbEUlllE0_EEPmJS6_EEE10hipError_tPvRmT3_T4_T5_T6_T7_T9_mT8_P12ihipStream_tbDpT10_ENKUlT_T0_E_clISt17integral_constantIbLb1EES1C_EEDaS17_S18_EUlS17_E_NS1_11comp_targetILNS1_3genE0ELNS1_11target_archE4294967295ELNS1_3gpuE0ELNS1_3repE0EEENS1_30default_config_static_selectorELNS0_4arch9wavefront6targetE0EEEvT1_.has_dyn_sized_stack, 0
	.set _ZN7rocprim17ROCPRIM_400000_NS6detail17trampoline_kernelINS0_14default_configENS1_25partition_config_selectorILNS1_17partition_subalgoE8ElNS0_10empty_typeEbEEZZNS1_14partition_implILS5_8ELb0ES3_jPlPS6_PKS6_NS0_5tupleIJS9_S6_EEENSD_IJSA_SA_EEENS0_18inequality_wrapperIZN2at6native12_GLOBAL__N_124unique_dim_cuda_templateItEESt5tupleIJNSH_6TensorESM_SM_EERKSM_lbbbEUlllE0_EEPmJS6_EEE10hipError_tPvRmT3_T4_T5_T6_T7_T9_mT8_P12ihipStream_tbDpT10_ENKUlT_T0_E_clISt17integral_constantIbLb1EES1C_EEDaS17_S18_EUlS17_E_NS1_11comp_targetILNS1_3genE0ELNS1_11target_archE4294967295ELNS1_3gpuE0ELNS1_3repE0EEENS1_30default_config_static_selectorELNS0_4arch9wavefront6targetE0EEEvT1_.has_recursion, 0
	.set _ZN7rocprim17ROCPRIM_400000_NS6detail17trampoline_kernelINS0_14default_configENS1_25partition_config_selectorILNS1_17partition_subalgoE8ElNS0_10empty_typeEbEEZZNS1_14partition_implILS5_8ELb0ES3_jPlPS6_PKS6_NS0_5tupleIJS9_S6_EEENSD_IJSA_SA_EEENS0_18inequality_wrapperIZN2at6native12_GLOBAL__N_124unique_dim_cuda_templateItEESt5tupleIJNSH_6TensorESM_SM_EERKSM_lbbbEUlllE0_EEPmJS6_EEE10hipError_tPvRmT3_T4_T5_T6_T7_T9_mT8_P12ihipStream_tbDpT10_ENKUlT_T0_E_clISt17integral_constantIbLb1EES1C_EEDaS17_S18_EUlS17_E_NS1_11comp_targetILNS1_3genE0ELNS1_11target_archE4294967295ELNS1_3gpuE0ELNS1_3repE0EEENS1_30default_config_static_selectorELNS0_4arch9wavefront6targetE0EEEvT1_.has_indirect_call, 0
	.section	.AMDGPU.csdata,"",@progbits
; Kernel info:
; codeLenInByte = 4
; TotalNumSgprs: 0
; NumVgprs: 0
; ScratchSize: 0
; MemoryBound: 0
; FloatMode: 240
; IeeeMode: 1
; LDSByteSize: 0 bytes/workgroup (compile time only)
; SGPRBlocks: 0
; VGPRBlocks: 0
; NumSGPRsForWavesPerEU: 1
; NumVGPRsForWavesPerEU: 1
; NamedBarCnt: 0
; Occupancy: 16
; WaveLimiterHint : 0
; COMPUTE_PGM_RSRC2:SCRATCH_EN: 0
; COMPUTE_PGM_RSRC2:USER_SGPR: 2
; COMPUTE_PGM_RSRC2:TRAP_HANDLER: 0
; COMPUTE_PGM_RSRC2:TGID_X_EN: 1
; COMPUTE_PGM_RSRC2:TGID_Y_EN: 0
; COMPUTE_PGM_RSRC2:TGID_Z_EN: 0
; COMPUTE_PGM_RSRC2:TIDIG_COMP_CNT: 0
	.section	.text._ZN7rocprim17ROCPRIM_400000_NS6detail17trampoline_kernelINS0_14default_configENS1_25partition_config_selectorILNS1_17partition_subalgoE8ElNS0_10empty_typeEbEEZZNS1_14partition_implILS5_8ELb0ES3_jPlPS6_PKS6_NS0_5tupleIJS9_S6_EEENSD_IJSA_SA_EEENS0_18inequality_wrapperIZN2at6native12_GLOBAL__N_124unique_dim_cuda_templateItEESt5tupleIJNSH_6TensorESM_SM_EERKSM_lbbbEUlllE0_EEPmJS6_EEE10hipError_tPvRmT3_T4_T5_T6_T7_T9_mT8_P12ihipStream_tbDpT10_ENKUlT_T0_E_clISt17integral_constantIbLb1EES1C_EEDaS17_S18_EUlS17_E_NS1_11comp_targetILNS1_3genE5ELNS1_11target_archE942ELNS1_3gpuE9ELNS1_3repE0EEENS1_30default_config_static_selectorELNS0_4arch9wavefront6targetE0EEEvT1_,"axG",@progbits,_ZN7rocprim17ROCPRIM_400000_NS6detail17trampoline_kernelINS0_14default_configENS1_25partition_config_selectorILNS1_17partition_subalgoE8ElNS0_10empty_typeEbEEZZNS1_14partition_implILS5_8ELb0ES3_jPlPS6_PKS6_NS0_5tupleIJS9_S6_EEENSD_IJSA_SA_EEENS0_18inequality_wrapperIZN2at6native12_GLOBAL__N_124unique_dim_cuda_templateItEESt5tupleIJNSH_6TensorESM_SM_EERKSM_lbbbEUlllE0_EEPmJS6_EEE10hipError_tPvRmT3_T4_T5_T6_T7_T9_mT8_P12ihipStream_tbDpT10_ENKUlT_T0_E_clISt17integral_constantIbLb1EES1C_EEDaS17_S18_EUlS17_E_NS1_11comp_targetILNS1_3genE5ELNS1_11target_archE942ELNS1_3gpuE9ELNS1_3repE0EEENS1_30default_config_static_selectorELNS0_4arch9wavefront6targetE0EEEvT1_,comdat
	.globl	_ZN7rocprim17ROCPRIM_400000_NS6detail17trampoline_kernelINS0_14default_configENS1_25partition_config_selectorILNS1_17partition_subalgoE8ElNS0_10empty_typeEbEEZZNS1_14partition_implILS5_8ELb0ES3_jPlPS6_PKS6_NS0_5tupleIJS9_S6_EEENSD_IJSA_SA_EEENS0_18inequality_wrapperIZN2at6native12_GLOBAL__N_124unique_dim_cuda_templateItEESt5tupleIJNSH_6TensorESM_SM_EERKSM_lbbbEUlllE0_EEPmJS6_EEE10hipError_tPvRmT3_T4_T5_T6_T7_T9_mT8_P12ihipStream_tbDpT10_ENKUlT_T0_E_clISt17integral_constantIbLb1EES1C_EEDaS17_S18_EUlS17_E_NS1_11comp_targetILNS1_3genE5ELNS1_11target_archE942ELNS1_3gpuE9ELNS1_3repE0EEENS1_30default_config_static_selectorELNS0_4arch9wavefront6targetE0EEEvT1_ ; -- Begin function _ZN7rocprim17ROCPRIM_400000_NS6detail17trampoline_kernelINS0_14default_configENS1_25partition_config_selectorILNS1_17partition_subalgoE8ElNS0_10empty_typeEbEEZZNS1_14partition_implILS5_8ELb0ES3_jPlPS6_PKS6_NS0_5tupleIJS9_S6_EEENSD_IJSA_SA_EEENS0_18inequality_wrapperIZN2at6native12_GLOBAL__N_124unique_dim_cuda_templateItEESt5tupleIJNSH_6TensorESM_SM_EERKSM_lbbbEUlllE0_EEPmJS6_EEE10hipError_tPvRmT3_T4_T5_T6_T7_T9_mT8_P12ihipStream_tbDpT10_ENKUlT_T0_E_clISt17integral_constantIbLb1EES1C_EEDaS17_S18_EUlS17_E_NS1_11comp_targetILNS1_3genE5ELNS1_11target_archE942ELNS1_3gpuE9ELNS1_3repE0EEENS1_30default_config_static_selectorELNS0_4arch9wavefront6targetE0EEEvT1_
	.p2align	8
	.type	_ZN7rocprim17ROCPRIM_400000_NS6detail17trampoline_kernelINS0_14default_configENS1_25partition_config_selectorILNS1_17partition_subalgoE8ElNS0_10empty_typeEbEEZZNS1_14partition_implILS5_8ELb0ES3_jPlPS6_PKS6_NS0_5tupleIJS9_S6_EEENSD_IJSA_SA_EEENS0_18inequality_wrapperIZN2at6native12_GLOBAL__N_124unique_dim_cuda_templateItEESt5tupleIJNSH_6TensorESM_SM_EERKSM_lbbbEUlllE0_EEPmJS6_EEE10hipError_tPvRmT3_T4_T5_T6_T7_T9_mT8_P12ihipStream_tbDpT10_ENKUlT_T0_E_clISt17integral_constantIbLb1EES1C_EEDaS17_S18_EUlS17_E_NS1_11comp_targetILNS1_3genE5ELNS1_11target_archE942ELNS1_3gpuE9ELNS1_3repE0EEENS1_30default_config_static_selectorELNS0_4arch9wavefront6targetE0EEEvT1_,@function
_ZN7rocprim17ROCPRIM_400000_NS6detail17trampoline_kernelINS0_14default_configENS1_25partition_config_selectorILNS1_17partition_subalgoE8ElNS0_10empty_typeEbEEZZNS1_14partition_implILS5_8ELb0ES3_jPlPS6_PKS6_NS0_5tupleIJS9_S6_EEENSD_IJSA_SA_EEENS0_18inequality_wrapperIZN2at6native12_GLOBAL__N_124unique_dim_cuda_templateItEESt5tupleIJNSH_6TensorESM_SM_EERKSM_lbbbEUlllE0_EEPmJS6_EEE10hipError_tPvRmT3_T4_T5_T6_T7_T9_mT8_P12ihipStream_tbDpT10_ENKUlT_T0_E_clISt17integral_constantIbLb1EES1C_EEDaS17_S18_EUlS17_E_NS1_11comp_targetILNS1_3genE5ELNS1_11target_archE942ELNS1_3gpuE9ELNS1_3repE0EEENS1_30default_config_static_selectorELNS0_4arch9wavefront6targetE0EEEvT1_: ; @_ZN7rocprim17ROCPRIM_400000_NS6detail17trampoline_kernelINS0_14default_configENS1_25partition_config_selectorILNS1_17partition_subalgoE8ElNS0_10empty_typeEbEEZZNS1_14partition_implILS5_8ELb0ES3_jPlPS6_PKS6_NS0_5tupleIJS9_S6_EEENSD_IJSA_SA_EEENS0_18inequality_wrapperIZN2at6native12_GLOBAL__N_124unique_dim_cuda_templateItEESt5tupleIJNSH_6TensorESM_SM_EERKSM_lbbbEUlllE0_EEPmJS6_EEE10hipError_tPvRmT3_T4_T5_T6_T7_T9_mT8_P12ihipStream_tbDpT10_ENKUlT_T0_E_clISt17integral_constantIbLb1EES1C_EEDaS17_S18_EUlS17_E_NS1_11comp_targetILNS1_3genE5ELNS1_11target_archE942ELNS1_3gpuE9ELNS1_3repE0EEENS1_30default_config_static_selectorELNS0_4arch9wavefront6targetE0EEEvT1_
; %bb.0:
	.section	.rodata,"a",@progbits
	.p2align	6, 0x0
	.amdhsa_kernel _ZN7rocprim17ROCPRIM_400000_NS6detail17trampoline_kernelINS0_14default_configENS1_25partition_config_selectorILNS1_17partition_subalgoE8ElNS0_10empty_typeEbEEZZNS1_14partition_implILS5_8ELb0ES3_jPlPS6_PKS6_NS0_5tupleIJS9_S6_EEENSD_IJSA_SA_EEENS0_18inequality_wrapperIZN2at6native12_GLOBAL__N_124unique_dim_cuda_templateItEESt5tupleIJNSH_6TensorESM_SM_EERKSM_lbbbEUlllE0_EEPmJS6_EEE10hipError_tPvRmT3_T4_T5_T6_T7_T9_mT8_P12ihipStream_tbDpT10_ENKUlT_T0_E_clISt17integral_constantIbLb1EES1C_EEDaS17_S18_EUlS17_E_NS1_11comp_targetILNS1_3genE5ELNS1_11target_archE942ELNS1_3gpuE9ELNS1_3repE0EEENS1_30default_config_static_selectorELNS0_4arch9wavefront6targetE0EEEvT1_
		.amdhsa_group_segment_fixed_size 0
		.amdhsa_private_segment_fixed_size 0
		.amdhsa_kernarg_size 136
		.amdhsa_user_sgpr_count 2
		.amdhsa_user_sgpr_dispatch_ptr 0
		.amdhsa_user_sgpr_queue_ptr 0
		.amdhsa_user_sgpr_kernarg_segment_ptr 1
		.amdhsa_user_sgpr_dispatch_id 0
		.amdhsa_user_sgpr_kernarg_preload_length 0
		.amdhsa_user_sgpr_kernarg_preload_offset 0
		.amdhsa_user_sgpr_private_segment_size 0
		.amdhsa_wavefront_size32 1
		.amdhsa_uses_dynamic_stack 0
		.amdhsa_enable_private_segment 0
		.amdhsa_system_sgpr_workgroup_id_x 1
		.amdhsa_system_sgpr_workgroup_id_y 0
		.amdhsa_system_sgpr_workgroup_id_z 0
		.amdhsa_system_sgpr_workgroup_info 0
		.amdhsa_system_vgpr_workitem_id 0
		.amdhsa_next_free_vgpr 1
		.amdhsa_next_free_sgpr 1
		.amdhsa_named_barrier_count 0
		.amdhsa_reserve_vcc 0
		.amdhsa_float_round_mode_32 0
		.amdhsa_float_round_mode_16_64 0
		.amdhsa_float_denorm_mode_32 3
		.amdhsa_float_denorm_mode_16_64 3
		.amdhsa_fp16_overflow 0
		.amdhsa_memory_ordered 1
		.amdhsa_forward_progress 1
		.amdhsa_inst_pref_size 0
		.amdhsa_round_robin_scheduling 0
		.amdhsa_exception_fp_ieee_invalid_op 0
		.amdhsa_exception_fp_denorm_src 0
		.amdhsa_exception_fp_ieee_div_zero 0
		.amdhsa_exception_fp_ieee_overflow 0
		.amdhsa_exception_fp_ieee_underflow 0
		.amdhsa_exception_fp_ieee_inexact 0
		.amdhsa_exception_int_div_zero 0
	.end_amdhsa_kernel
	.section	.text._ZN7rocprim17ROCPRIM_400000_NS6detail17trampoline_kernelINS0_14default_configENS1_25partition_config_selectorILNS1_17partition_subalgoE8ElNS0_10empty_typeEbEEZZNS1_14partition_implILS5_8ELb0ES3_jPlPS6_PKS6_NS0_5tupleIJS9_S6_EEENSD_IJSA_SA_EEENS0_18inequality_wrapperIZN2at6native12_GLOBAL__N_124unique_dim_cuda_templateItEESt5tupleIJNSH_6TensorESM_SM_EERKSM_lbbbEUlllE0_EEPmJS6_EEE10hipError_tPvRmT3_T4_T5_T6_T7_T9_mT8_P12ihipStream_tbDpT10_ENKUlT_T0_E_clISt17integral_constantIbLb1EES1C_EEDaS17_S18_EUlS17_E_NS1_11comp_targetILNS1_3genE5ELNS1_11target_archE942ELNS1_3gpuE9ELNS1_3repE0EEENS1_30default_config_static_selectorELNS0_4arch9wavefront6targetE0EEEvT1_,"axG",@progbits,_ZN7rocprim17ROCPRIM_400000_NS6detail17trampoline_kernelINS0_14default_configENS1_25partition_config_selectorILNS1_17partition_subalgoE8ElNS0_10empty_typeEbEEZZNS1_14partition_implILS5_8ELb0ES3_jPlPS6_PKS6_NS0_5tupleIJS9_S6_EEENSD_IJSA_SA_EEENS0_18inequality_wrapperIZN2at6native12_GLOBAL__N_124unique_dim_cuda_templateItEESt5tupleIJNSH_6TensorESM_SM_EERKSM_lbbbEUlllE0_EEPmJS6_EEE10hipError_tPvRmT3_T4_T5_T6_T7_T9_mT8_P12ihipStream_tbDpT10_ENKUlT_T0_E_clISt17integral_constantIbLb1EES1C_EEDaS17_S18_EUlS17_E_NS1_11comp_targetILNS1_3genE5ELNS1_11target_archE942ELNS1_3gpuE9ELNS1_3repE0EEENS1_30default_config_static_selectorELNS0_4arch9wavefront6targetE0EEEvT1_,comdat
.Lfunc_end1428:
	.size	_ZN7rocprim17ROCPRIM_400000_NS6detail17trampoline_kernelINS0_14default_configENS1_25partition_config_selectorILNS1_17partition_subalgoE8ElNS0_10empty_typeEbEEZZNS1_14partition_implILS5_8ELb0ES3_jPlPS6_PKS6_NS0_5tupleIJS9_S6_EEENSD_IJSA_SA_EEENS0_18inequality_wrapperIZN2at6native12_GLOBAL__N_124unique_dim_cuda_templateItEESt5tupleIJNSH_6TensorESM_SM_EERKSM_lbbbEUlllE0_EEPmJS6_EEE10hipError_tPvRmT3_T4_T5_T6_T7_T9_mT8_P12ihipStream_tbDpT10_ENKUlT_T0_E_clISt17integral_constantIbLb1EES1C_EEDaS17_S18_EUlS17_E_NS1_11comp_targetILNS1_3genE5ELNS1_11target_archE942ELNS1_3gpuE9ELNS1_3repE0EEENS1_30default_config_static_selectorELNS0_4arch9wavefront6targetE0EEEvT1_, .Lfunc_end1428-_ZN7rocprim17ROCPRIM_400000_NS6detail17trampoline_kernelINS0_14default_configENS1_25partition_config_selectorILNS1_17partition_subalgoE8ElNS0_10empty_typeEbEEZZNS1_14partition_implILS5_8ELb0ES3_jPlPS6_PKS6_NS0_5tupleIJS9_S6_EEENSD_IJSA_SA_EEENS0_18inequality_wrapperIZN2at6native12_GLOBAL__N_124unique_dim_cuda_templateItEESt5tupleIJNSH_6TensorESM_SM_EERKSM_lbbbEUlllE0_EEPmJS6_EEE10hipError_tPvRmT3_T4_T5_T6_T7_T9_mT8_P12ihipStream_tbDpT10_ENKUlT_T0_E_clISt17integral_constantIbLb1EES1C_EEDaS17_S18_EUlS17_E_NS1_11comp_targetILNS1_3genE5ELNS1_11target_archE942ELNS1_3gpuE9ELNS1_3repE0EEENS1_30default_config_static_selectorELNS0_4arch9wavefront6targetE0EEEvT1_
                                        ; -- End function
	.set _ZN7rocprim17ROCPRIM_400000_NS6detail17trampoline_kernelINS0_14default_configENS1_25partition_config_selectorILNS1_17partition_subalgoE8ElNS0_10empty_typeEbEEZZNS1_14partition_implILS5_8ELb0ES3_jPlPS6_PKS6_NS0_5tupleIJS9_S6_EEENSD_IJSA_SA_EEENS0_18inequality_wrapperIZN2at6native12_GLOBAL__N_124unique_dim_cuda_templateItEESt5tupleIJNSH_6TensorESM_SM_EERKSM_lbbbEUlllE0_EEPmJS6_EEE10hipError_tPvRmT3_T4_T5_T6_T7_T9_mT8_P12ihipStream_tbDpT10_ENKUlT_T0_E_clISt17integral_constantIbLb1EES1C_EEDaS17_S18_EUlS17_E_NS1_11comp_targetILNS1_3genE5ELNS1_11target_archE942ELNS1_3gpuE9ELNS1_3repE0EEENS1_30default_config_static_selectorELNS0_4arch9wavefront6targetE0EEEvT1_.num_vgpr, 0
	.set _ZN7rocprim17ROCPRIM_400000_NS6detail17trampoline_kernelINS0_14default_configENS1_25partition_config_selectorILNS1_17partition_subalgoE8ElNS0_10empty_typeEbEEZZNS1_14partition_implILS5_8ELb0ES3_jPlPS6_PKS6_NS0_5tupleIJS9_S6_EEENSD_IJSA_SA_EEENS0_18inequality_wrapperIZN2at6native12_GLOBAL__N_124unique_dim_cuda_templateItEESt5tupleIJNSH_6TensorESM_SM_EERKSM_lbbbEUlllE0_EEPmJS6_EEE10hipError_tPvRmT3_T4_T5_T6_T7_T9_mT8_P12ihipStream_tbDpT10_ENKUlT_T0_E_clISt17integral_constantIbLb1EES1C_EEDaS17_S18_EUlS17_E_NS1_11comp_targetILNS1_3genE5ELNS1_11target_archE942ELNS1_3gpuE9ELNS1_3repE0EEENS1_30default_config_static_selectorELNS0_4arch9wavefront6targetE0EEEvT1_.num_agpr, 0
	.set _ZN7rocprim17ROCPRIM_400000_NS6detail17trampoline_kernelINS0_14default_configENS1_25partition_config_selectorILNS1_17partition_subalgoE8ElNS0_10empty_typeEbEEZZNS1_14partition_implILS5_8ELb0ES3_jPlPS6_PKS6_NS0_5tupleIJS9_S6_EEENSD_IJSA_SA_EEENS0_18inequality_wrapperIZN2at6native12_GLOBAL__N_124unique_dim_cuda_templateItEESt5tupleIJNSH_6TensorESM_SM_EERKSM_lbbbEUlllE0_EEPmJS6_EEE10hipError_tPvRmT3_T4_T5_T6_T7_T9_mT8_P12ihipStream_tbDpT10_ENKUlT_T0_E_clISt17integral_constantIbLb1EES1C_EEDaS17_S18_EUlS17_E_NS1_11comp_targetILNS1_3genE5ELNS1_11target_archE942ELNS1_3gpuE9ELNS1_3repE0EEENS1_30default_config_static_selectorELNS0_4arch9wavefront6targetE0EEEvT1_.numbered_sgpr, 0
	.set _ZN7rocprim17ROCPRIM_400000_NS6detail17trampoline_kernelINS0_14default_configENS1_25partition_config_selectorILNS1_17partition_subalgoE8ElNS0_10empty_typeEbEEZZNS1_14partition_implILS5_8ELb0ES3_jPlPS6_PKS6_NS0_5tupleIJS9_S6_EEENSD_IJSA_SA_EEENS0_18inequality_wrapperIZN2at6native12_GLOBAL__N_124unique_dim_cuda_templateItEESt5tupleIJNSH_6TensorESM_SM_EERKSM_lbbbEUlllE0_EEPmJS6_EEE10hipError_tPvRmT3_T4_T5_T6_T7_T9_mT8_P12ihipStream_tbDpT10_ENKUlT_T0_E_clISt17integral_constantIbLb1EES1C_EEDaS17_S18_EUlS17_E_NS1_11comp_targetILNS1_3genE5ELNS1_11target_archE942ELNS1_3gpuE9ELNS1_3repE0EEENS1_30default_config_static_selectorELNS0_4arch9wavefront6targetE0EEEvT1_.num_named_barrier, 0
	.set _ZN7rocprim17ROCPRIM_400000_NS6detail17trampoline_kernelINS0_14default_configENS1_25partition_config_selectorILNS1_17partition_subalgoE8ElNS0_10empty_typeEbEEZZNS1_14partition_implILS5_8ELb0ES3_jPlPS6_PKS6_NS0_5tupleIJS9_S6_EEENSD_IJSA_SA_EEENS0_18inequality_wrapperIZN2at6native12_GLOBAL__N_124unique_dim_cuda_templateItEESt5tupleIJNSH_6TensorESM_SM_EERKSM_lbbbEUlllE0_EEPmJS6_EEE10hipError_tPvRmT3_T4_T5_T6_T7_T9_mT8_P12ihipStream_tbDpT10_ENKUlT_T0_E_clISt17integral_constantIbLb1EES1C_EEDaS17_S18_EUlS17_E_NS1_11comp_targetILNS1_3genE5ELNS1_11target_archE942ELNS1_3gpuE9ELNS1_3repE0EEENS1_30default_config_static_selectorELNS0_4arch9wavefront6targetE0EEEvT1_.private_seg_size, 0
	.set _ZN7rocprim17ROCPRIM_400000_NS6detail17trampoline_kernelINS0_14default_configENS1_25partition_config_selectorILNS1_17partition_subalgoE8ElNS0_10empty_typeEbEEZZNS1_14partition_implILS5_8ELb0ES3_jPlPS6_PKS6_NS0_5tupleIJS9_S6_EEENSD_IJSA_SA_EEENS0_18inequality_wrapperIZN2at6native12_GLOBAL__N_124unique_dim_cuda_templateItEESt5tupleIJNSH_6TensorESM_SM_EERKSM_lbbbEUlllE0_EEPmJS6_EEE10hipError_tPvRmT3_T4_T5_T6_T7_T9_mT8_P12ihipStream_tbDpT10_ENKUlT_T0_E_clISt17integral_constantIbLb1EES1C_EEDaS17_S18_EUlS17_E_NS1_11comp_targetILNS1_3genE5ELNS1_11target_archE942ELNS1_3gpuE9ELNS1_3repE0EEENS1_30default_config_static_selectorELNS0_4arch9wavefront6targetE0EEEvT1_.uses_vcc, 0
	.set _ZN7rocprim17ROCPRIM_400000_NS6detail17trampoline_kernelINS0_14default_configENS1_25partition_config_selectorILNS1_17partition_subalgoE8ElNS0_10empty_typeEbEEZZNS1_14partition_implILS5_8ELb0ES3_jPlPS6_PKS6_NS0_5tupleIJS9_S6_EEENSD_IJSA_SA_EEENS0_18inequality_wrapperIZN2at6native12_GLOBAL__N_124unique_dim_cuda_templateItEESt5tupleIJNSH_6TensorESM_SM_EERKSM_lbbbEUlllE0_EEPmJS6_EEE10hipError_tPvRmT3_T4_T5_T6_T7_T9_mT8_P12ihipStream_tbDpT10_ENKUlT_T0_E_clISt17integral_constantIbLb1EES1C_EEDaS17_S18_EUlS17_E_NS1_11comp_targetILNS1_3genE5ELNS1_11target_archE942ELNS1_3gpuE9ELNS1_3repE0EEENS1_30default_config_static_selectorELNS0_4arch9wavefront6targetE0EEEvT1_.uses_flat_scratch, 0
	.set _ZN7rocprim17ROCPRIM_400000_NS6detail17trampoline_kernelINS0_14default_configENS1_25partition_config_selectorILNS1_17partition_subalgoE8ElNS0_10empty_typeEbEEZZNS1_14partition_implILS5_8ELb0ES3_jPlPS6_PKS6_NS0_5tupleIJS9_S6_EEENSD_IJSA_SA_EEENS0_18inequality_wrapperIZN2at6native12_GLOBAL__N_124unique_dim_cuda_templateItEESt5tupleIJNSH_6TensorESM_SM_EERKSM_lbbbEUlllE0_EEPmJS6_EEE10hipError_tPvRmT3_T4_T5_T6_T7_T9_mT8_P12ihipStream_tbDpT10_ENKUlT_T0_E_clISt17integral_constantIbLb1EES1C_EEDaS17_S18_EUlS17_E_NS1_11comp_targetILNS1_3genE5ELNS1_11target_archE942ELNS1_3gpuE9ELNS1_3repE0EEENS1_30default_config_static_selectorELNS0_4arch9wavefront6targetE0EEEvT1_.has_dyn_sized_stack, 0
	.set _ZN7rocprim17ROCPRIM_400000_NS6detail17trampoline_kernelINS0_14default_configENS1_25partition_config_selectorILNS1_17partition_subalgoE8ElNS0_10empty_typeEbEEZZNS1_14partition_implILS5_8ELb0ES3_jPlPS6_PKS6_NS0_5tupleIJS9_S6_EEENSD_IJSA_SA_EEENS0_18inequality_wrapperIZN2at6native12_GLOBAL__N_124unique_dim_cuda_templateItEESt5tupleIJNSH_6TensorESM_SM_EERKSM_lbbbEUlllE0_EEPmJS6_EEE10hipError_tPvRmT3_T4_T5_T6_T7_T9_mT8_P12ihipStream_tbDpT10_ENKUlT_T0_E_clISt17integral_constantIbLb1EES1C_EEDaS17_S18_EUlS17_E_NS1_11comp_targetILNS1_3genE5ELNS1_11target_archE942ELNS1_3gpuE9ELNS1_3repE0EEENS1_30default_config_static_selectorELNS0_4arch9wavefront6targetE0EEEvT1_.has_recursion, 0
	.set _ZN7rocprim17ROCPRIM_400000_NS6detail17trampoline_kernelINS0_14default_configENS1_25partition_config_selectorILNS1_17partition_subalgoE8ElNS0_10empty_typeEbEEZZNS1_14partition_implILS5_8ELb0ES3_jPlPS6_PKS6_NS0_5tupleIJS9_S6_EEENSD_IJSA_SA_EEENS0_18inequality_wrapperIZN2at6native12_GLOBAL__N_124unique_dim_cuda_templateItEESt5tupleIJNSH_6TensorESM_SM_EERKSM_lbbbEUlllE0_EEPmJS6_EEE10hipError_tPvRmT3_T4_T5_T6_T7_T9_mT8_P12ihipStream_tbDpT10_ENKUlT_T0_E_clISt17integral_constantIbLb1EES1C_EEDaS17_S18_EUlS17_E_NS1_11comp_targetILNS1_3genE5ELNS1_11target_archE942ELNS1_3gpuE9ELNS1_3repE0EEENS1_30default_config_static_selectorELNS0_4arch9wavefront6targetE0EEEvT1_.has_indirect_call, 0
	.section	.AMDGPU.csdata,"",@progbits
; Kernel info:
; codeLenInByte = 0
; TotalNumSgprs: 0
; NumVgprs: 0
; ScratchSize: 0
; MemoryBound: 0
; FloatMode: 240
; IeeeMode: 1
; LDSByteSize: 0 bytes/workgroup (compile time only)
; SGPRBlocks: 0
; VGPRBlocks: 0
; NumSGPRsForWavesPerEU: 1
; NumVGPRsForWavesPerEU: 1
; NamedBarCnt: 0
; Occupancy: 16
; WaveLimiterHint : 0
; COMPUTE_PGM_RSRC2:SCRATCH_EN: 0
; COMPUTE_PGM_RSRC2:USER_SGPR: 2
; COMPUTE_PGM_RSRC2:TRAP_HANDLER: 0
; COMPUTE_PGM_RSRC2:TGID_X_EN: 1
; COMPUTE_PGM_RSRC2:TGID_Y_EN: 0
; COMPUTE_PGM_RSRC2:TGID_Z_EN: 0
; COMPUTE_PGM_RSRC2:TIDIG_COMP_CNT: 0
	.section	.text._ZN7rocprim17ROCPRIM_400000_NS6detail17trampoline_kernelINS0_14default_configENS1_25partition_config_selectorILNS1_17partition_subalgoE8ElNS0_10empty_typeEbEEZZNS1_14partition_implILS5_8ELb0ES3_jPlPS6_PKS6_NS0_5tupleIJS9_S6_EEENSD_IJSA_SA_EEENS0_18inequality_wrapperIZN2at6native12_GLOBAL__N_124unique_dim_cuda_templateItEESt5tupleIJNSH_6TensorESM_SM_EERKSM_lbbbEUlllE0_EEPmJS6_EEE10hipError_tPvRmT3_T4_T5_T6_T7_T9_mT8_P12ihipStream_tbDpT10_ENKUlT_T0_E_clISt17integral_constantIbLb1EES1C_EEDaS17_S18_EUlS17_E_NS1_11comp_targetILNS1_3genE4ELNS1_11target_archE910ELNS1_3gpuE8ELNS1_3repE0EEENS1_30default_config_static_selectorELNS0_4arch9wavefront6targetE0EEEvT1_,"axG",@progbits,_ZN7rocprim17ROCPRIM_400000_NS6detail17trampoline_kernelINS0_14default_configENS1_25partition_config_selectorILNS1_17partition_subalgoE8ElNS0_10empty_typeEbEEZZNS1_14partition_implILS5_8ELb0ES3_jPlPS6_PKS6_NS0_5tupleIJS9_S6_EEENSD_IJSA_SA_EEENS0_18inequality_wrapperIZN2at6native12_GLOBAL__N_124unique_dim_cuda_templateItEESt5tupleIJNSH_6TensorESM_SM_EERKSM_lbbbEUlllE0_EEPmJS6_EEE10hipError_tPvRmT3_T4_T5_T6_T7_T9_mT8_P12ihipStream_tbDpT10_ENKUlT_T0_E_clISt17integral_constantIbLb1EES1C_EEDaS17_S18_EUlS17_E_NS1_11comp_targetILNS1_3genE4ELNS1_11target_archE910ELNS1_3gpuE8ELNS1_3repE0EEENS1_30default_config_static_selectorELNS0_4arch9wavefront6targetE0EEEvT1_,comdat
	.globl	_ZN7rocprim17ROCPRIM_400000_NS6detail17trampoline_kernelINS0_14default_configENS1_25partition_config_selectorILNS1_17partition_subalgoE8ElNS0_10empty_typeEbEEZZNS1_14partition_implILS5_8ELb0ES3_jPlPS6_PKS6_NS0_5tupleIJS9_S6_EEENSD_IJSA_SA_EEENS0_18inequality_wrapperIZN2at6native12_GLOBAL__N_124unique_dim_cuda_templateItEESt5tupleIJNSH_6TensorESM_SM_EERKSM_lbbbEUlllE0_EEPmJS6_EEE10hipError_tPvRmT3_T4_T5_T6_T7_T9_mT8_P12ihipStream_tbDpT10_ENKUlT_T0_E_clISt17integral_constantIbLb1EES1C_EEDaS17_S18_EUlS17_E_NS1_11comp_targetILNS1_3genE4ELNS1_11target_archE910ELNS1_3gpuE8ELNS1_3repE0EEENS1_30default_config_static_selectorELNS0_4arch9wavefront6targetE0EEEvT1_ ; -- Begin function _ZN7rocprim17ROCPRIM_400000_NS6detail17trampoline_kernelINS0_14default_configENS1_25partition_config_selectorILNS1_17partition_subalgoE8ElNS0_10empty_typeEbEEZZNS1_14partition_implILS5_8ELb0ES3_jPlPS6_PKS6_NS0_5tupleIJS9_S6_EEENSD_IJSA_SA_EEENS0_18inequality_wrapperIZN2at6native12_GLOBAL__N_124unique_dim_cuda_templateItEESt5tupleIJNSH_6TensorESM_SM_EERKSM_lbbbEUlllE0_EEPmJS6_EEE10hipError_tPvRmT3_T4_T5_T6_T7_T9_mT8_P12ihipStream_tbDpT10_ENKUlT_T0_E_clISt17integral_constantIbLb1EES1C_EEDaS17_S18_EUlS17_E_NS1_11comp_targetILNS1_3genE4ELNS1_11target_archE910ELNS1_3gpuE8ELNS1_3repE0EEENS1_30default_config_static_selectorELNS0_4arch9wavefront6targetE0EEEvT1_
	.p2align	8
	.type	_ZN7rocprim17ROCPRIM_400000_NS6detail17trampoline_kernelINS0_14default_configENS1_25partition_config_selectorILNS1_17partition_subalgoE8ElNS0_10empty_typeEbEEZZNS1_14partition_implILS5_8ELb0ES3_jPlPS6_PKS6_NS0_5tupleIJS9_S6_EEENSD_IJSA_SA_EEENS0_18inequality_wrapperIZN2at6native12_GLOBAL__N_124unique_dim_cuda_templateItEESt5tupleIJNSH_6TensorESM_SM_EERKSM_lbbbEUlllE0_EEPmJS6_EEE10hipError_tPvRmT3_T4_T5_T6_T7_T9_mT8_P12ihipStream_tbDpT10_ENKUlT_T0_E_clISt17integral_constantIbLb1EES1C_EEDaS17_S18_EUlS17_E_NS1_11comp_targetILNS1_3genE4ELNS1_11target_archE910ELNS1_3gpuE8ELNS1_3repE0EEENS1_30default_config_static_selectorELNS0_4arch9wavefront6targetE0EEEvT1_,@function
_ZN7rocprim17ROCPRIM_400000_NS6detail17trampoline_kernelINS0_14default_configENS1_25partition_config_selectorILNS1_17partition_subalgoE8ElNS0_10empty_typeEbEEZZNS1_14partition_implILS5_8ELb0ES3_jPlPS6_PKS6_NS0_5tupleIJS9_S6_EEENSD_IJSA_SA_EEENS0_18inequality_wrapperIZN2at6native12_GLOBAL__N_124unique_dim_cuda_templateItEESt5tupleIJNSH_6TensorESM_SM_EERKSM_lbbbEUlllE0_EEPmJS6_EEE10hipError_tPvRmT3_T4_T5_T6_T7_T9_mT8_P12ihipStream_tbDpT10_ENKUlT_T0_E_clISt17integral_constantIbLb1EES1C_EEDaS17_S18_EUlS17_E_NS1_11comp_targetILNS1_3genE4ELNS1_11target_archE910ELNS1_3gpuE8ELNS1_3repE0EEENS1_30default_config_static_selectorELNS0_4arch9wavefront6targetE0EEEvT1_: ; @_ZN7rocprim17ROCPRIM_400000_NS6detail17trampoline_kernelINS0_14default_configENS1_25partition_config_selectorILNS1_17partition_subalgoE8ElNS0_10empty_typeEbEEZZNS1_14partition_implILS5_8ELb0ES3_jPlPS6_PKS6_NS0_5tupleIJS9_S6_EEENSD_IJSA_SA_EEENS0_18inequality_wrapperIZN2at6native12_GLOBAL__N_124unique_dim_cuda_templateItEESt5tupleIJNSH_6TensorESM_SM_EERKSM_lbbbEUlllE0_EEPmJS6_EEE10hipError_tPvRmT3_T4_T5_T6_T7_T9_mT8_P12ihipStream_tbDpT10_ENKUlT_T0_E_clISt17integral_constantIbLb1EES1C_EEDaS17_S18_EUlS17_E_NS1_11comp_targetILNS1_3genE4ELNS1_11target_archE910ELNS1_3gpuE8ELNS1_3repE0EEENS1_30default_config_static_selectorELNS0_4arch9wavefront6targetE0EEEvT1_
; %bb.0:
	.section	.rodata,"a",@progbits
	.p2align	6, 0x0
	.amdhsa_kernel _ZN7rocprim17ROCPRIM_400000_NS6detail17trampoline_kernelINS0_14default_configENS1_25partition_config_selectorILNS1_17partition_subalgoE8ElNS0_10empty_typeEbEEZZNS1_14partition_implILS5_8ELb0ES3_jPlPS6_PKS6_NS0_5tupleIJS9_S6_EEENSD_IJSA_SA_EEENS0_18inequality_wrapperIZN2at6native12_GLOBAL__N_124unique_dim_cuda_templateItEESt5tupleIJNSH_6TensorESM_SM_EERKSM_lbbbEUlllE0_EEPmJS6_EEE10hipError_tPvRmT3_T4_T5_T6_T7_T9_mT8_P12ihipStream_tbDpT10_ENKUlT_T0_E_clISt17integral_constantIbLb1EES1C_EEDaS17_S18_EUlS17_E_NS1_11comp_targetILNS1_3genE4ELNS1_11target_archE910ELNS1_3gpuE8ELNS1_3repE0EEENS1_30default_config_static_selectorELNS0_4arch9wavefront6targetE0EEEvT1_
		.amdhsa_group_segment_fixed_size 0
		.amdhsa_private_segment_fixed_size 0
		.amdhsa_kernarg_size 136
		.amdhsa_user_sgpr_count 2
		.amdhsa_user_sgpr_dispatch_ptr 0
		.amdhsa_user_sgpr_queue_ptr 0
		.amdhsa_user_sgpr_kernarg_segment_ptr 1
		.amdhsa_user_sgpr_dispatch_id 0
		.amdhsa_user_sgpr_kernarg_preload_length 0
		.amdhsa_user_sgpr_kernarg_preload_offset 0
		.amdhsa_user_sgpr_private_segment_size 0
		.amdhsa_wavefront_size32 1
		.amdhsa_uses_dynamic_stack 0
		.amdhsa_enable_private_segment 0
		.amdhsa_system_sgpr_workgroup_id_x 1
		.amdhsa_system_sgpr_workgroup_id_y 0
		.amdhsa_system_sgpr_workgroup_id_z 0
		.amdhsa_system_sgpr_workgroup_info 0
		.amdhsa_system_vgpr_workitem_id 0
		.amdhsa_next_free_vgpr 1
		.amdhsa_next_free_sgpr 1
		.amdhsa_named_barrier_count 0
		.amdhsa_reserve_vcc 0
		.amdhsa_float_round_mode_32 0
		.amdhsa_float_round_mode_16_64 0
		.amdhsa_float_denorm_mode_32 3
		.amdhsa_float_denorm_mode_16_64 3
		.amdhsa_fp16_overflow 0
		.amdhsa_memory_ordered 1
		.amdhsa_forward_progress 1
		.amdhsa_inst_pref_size 0
		.amdhsa_round_robin_scheduling 0
		.amdhsa_exception_fp_ieee_invalid_op 0
		.amdhsa_exception_fp_denorm_src 0
		.amdhsa_exception_fp_ieee_div_zero 0
		.amdhsa_exception_fp_ieee_overflow 0
		.amdhsa_exception_fp_ieee_underflow 0
		.amdhsa_exception_fp_ieee_inexact 0
		.amdhsa_exception_int_div_zero 0
	.end_amdhsa_kernel
	.section	.text._ZN7rocprim17ROCPRIM_400000_NS6detail17trampoline_kernelINS0_14default_configENS1_25partition_config_selectorILNS1_17partition_subalgoE8ElNS0_10empty_typeEbEEZZNS1_14partition_implILS5_8ELb0ES3_jPlPS6_PKS6_NS0_5tupleIJS9_S6_EEENSD_IJSA_SA_EEENS0_18inequality_wrapperIZN2at6native12_GLOBAL__N_124unique_dim_cuda_templateItEESt5tupleIJNSH_6TensorESM_SM_EERKSM_lbbbEUlllE0_EEPmJS6_EEE10hipError_tPvRmT3_T4_T5_T6_T7_T9_mT8_P12ihipStream_tbDpT10_ENKUlT_T0_E_clISt17integral_constantIbLb1EES1C_EEDaS17_S18_EUlS17_E_NS1_11comp_targetILNS1_3genE4ELNS1_11target_archE910ELNS1_3gpuE8ELNS1_3repE0EEENS1_30default_config_static_selectorELNS0_4arch9wavefront6targetE0EEEvT1_,"axG",@progbits,_ZN7rocprim17ROCPRIM_400000_NS6detail17trampoline_kernelINS0_14default_configENS1_25partition_config_selectorILNS1_17partition_subalgoE8ElNS0_10empty_typeEbEEZZNS1_14partition_implILS5_8ELb0ES3_jPlPS6_PKS6_NS0_5tupleIJS9_S6_EEENSD_IJSA_SA_EEENS0_18inequality_wrapperIZN2at6native12_GLOBAL__N_124unique_dim_cuda_templateItEESt5tupleIJNSH_6TensorESM_SM_EERKSM_lbbbEUlllE0_EEPmJS6_EEE10hipError_tPvRmT3_T4_T5_T6_T7_T9_mT8_P12ihipStream_tbDpT10_ENKUlT_T0_E_clISt17integral_constantIbLb1EES1C_EEDaS17_S18_EUlS17_E_NS1_11comp_targetILNS1_3genE4ELNS1_11target_archE910ELNS1_3gpuE8ELNS1_3repE0EEENS1_30default_config_static_selectorELNS0_4arch9wavefront6targetE0EEEvT1_,comdat
.Lfunc_end1429:
	.size	_ZN7rocprim17ROCPRIM_400000_NS6detail17trampoline_kernelINS0_14default_configENS1_25partition_config_selectorILNS1_17partition_subalgoE8ElNS0_10empty_typeEbEEZZNS1_14partition_implILS5_8ELb0ES3_jPlPS6_PKS6_NS0_5tupleIJS9_S6_EEENSD_IJSA_SA_EEENS0_18inequality_wrapperIZN2at6native12_GLOBAL__N_124unique_dim_cuda_templateItEESt5tupleIJNSH_6TensorESM_SM_EERKSM_lbbbEUlllE0_EEPmJS6_EEE10hipError_tPvRmT3_T4_T5_T6_T7_T9_mT8_P12ihipStream_tbDpT10_ENKUlT_T0_E_clISt17integral_constantIbLb1EES1C_EEDaS17_S18_EUlS17_E_NS1_11comp_targetILNS1_3genE4ELNS1_11target_archE910ELNS1_3gpuE8ELNS1_3repE0EEENS1_30default_config_static_selectorELNS0_4arch9wavefront6targetE0EEEvT1_, .Lfunc_end1429-_ZN7rocprim17ROCPRIM_400000_NS6detail17trampoline_kernelINS0_14default_configENS1_25partition_config_selectorILNS1_17partition_subalgoE8ElNS0_10empty_typeEbEEZZNS1_14partition_implILS5_8ELb0ES3_jPlPS6_PKS6_NS0_5tupleIJS9_S6_EEENSD_IJSA_SA_EEENS0_18inequality_wrapperIZN2at6native12_GLOBAL__N_124unique_dim_cuda_templateItEESt5tupleIJNSH_6TensorESM_SM_EERKSM_lbbbEUlllE0_EEPmJS6_EEE10hipError_tPvRmT3_T4_T5_T6_T7_T9_mT8_P12ihipStream_tbDpT10_ENKUlT_T0_E_clISt17integral_constantIbLb1EES1C_EEDaS17_S18_EUlS17_E_NS1_11comp_targetILNS1_3genE4ELNS1_11target_archE910ELNS1_3gpuE8ELNS1_3repE0EEENS1_30default_config_static_selectorELNS0_4arch9wavefront6targetE0EEEvT1_
                                        ; -- End function
	.set _ZN7rocprim17ROCPRIM_400000_NS6detail17trampoline_kernelINS0_14default_configENS1_25partition_config_selectorILNS1_17partition_subalgoE8ElNS0_10empty_typeEbEEZZNS1_14partition_implILS5_8ELb0ES3_jPlPS6_PKS6_NS0_5tupleIJS9_S6_EEENSD_IJSA_SA_EEENS0_18inequality_wrapperIZN2at6native12_GLOBAL__N_124unique_dim_cuda_templateItEESt5tupleIJNSH_6TensorESM_SM_EERKSM_lbbbEUlllE0_EEPmJS6_EEE10hipError_tPvRmT3_T4_T5_T6_T7_T9_mT8_P12ihipStream_tbDpT10_ENKUlT_T0_E_clISt17integral_constantIbLb1EES1C_EEDaS17_S18_EUlS17_E_NS1_11comp_targetILNS1_3genE4ELNS1_11target_archE910ELNS1_3gpuE8ELNS1_3repE0EEENS1_30default_config_static_selectorELNS0_4arch9wavefront6targetE0EEEvT1_.num_vgpr, 0
	.set _ZN7rocprim17ROCPRIM_400000_NS6detail17trampoline_kernelINS0_14default_configENS1_25partition_config_selectorILNS1_17partition_subalgoE8ElNS0_10empty_typeEbEEZZNS1_14partition_implILS5_8ELb0ES3_jPlPS6_PKS6_NS0_5tupleIJS9_S6_EEENSD_IJSA_SA_EEENS0_18inequality_wrapperIZN2at6native12_GLOBAL__N_124unique_dim_cuda_templateItEESt5tupleIJNSH_6TensorESM_SM_EERKSM_lbbbEUlllE0_EEPmJS6_EEE10hipError_tPvRmT3_T4_T5_T6_T7_T9_mT8_P12ihipStream_tbDpT10_ENKUlT_T0_E_clISt17integral_constantIbLb1EES1C_EEDaS17_S18_EUlS17_E_NS1_11comp_targetILNS1_3genE4ELNS1_11target_archE910ELNS1_3gpuE8ELNS1_3repE0EEENS1_30default_config_static_selectorELNS0_4arch9wavefront6targetE0EEEvT1_.num_agpr, 0
	.set _ZN7rocprim17ROCPRIM_400000_NS6detail17trampoline_kernelINS0_14default_configENS1_25partition_config_selectorILNS1_17partition_subalgoE8ElNS0_10empty_typeEbEEZZNS1_14partition_implILS5_8ELb0ES3_jPlPS6_PKS6_NS0_5tupleIJS9_S6_EEENSD_IJSA_SA_EEENS0_18inequality_wrapperIZN2at6native12_GLOBAL__N_124unique_dim_cuda_templateItEESt5tupleIJNSH_6TensorESM_SM_EERKSM_lbbbEUlllE0_EEPmJS6_EEE10hipError_tPvRmT3_T4_T5_T6_T7_T9_mT8_P12ihipStream_tbDpT10_ENKUlT_T0_E_clISt17integral_constantIbLb1EES1C_EEDaS17_S18_EUlS17_E_NS1_11comp_targetILNS1_3genE4ELNS1_11target_archE910ELNS1_3gpuE8ELNS1_3repE0EEENS1_30default_config_static_selectorELNS0_4arch9wavefront6targetE0EEEvT1_.numbered_sgpr, 0
	.set _ZN7rocprim17ROCPRIM_400000_NS6detail17trampoline_kernelINS0_14default_configENS1_25partition_config_selectorILNS1_17partition_subalgoE8ElNS0_10empty_typeEbEEZZNS1_14partition_implILS5_8ELb0ES3_jPlPS6_PKS6_NS0_5tupleIJS9_S6_EEENSD_IJSA_SA_EEENS0_18inequality_wrapperIZN2at6native12_GLOBAL__N_124unique_dim_cuda_templateItEESt5tupleIJNSH_6TensorESM_SM_EERKSM_lbbbEUlllE0_EEPmJS6_EEE10hipError_tPvRmT3_T4_T5_T6_T7_T9_mT8_P12ihipStream_tbDpT10_ENKUlT_T0_E_clISt17integral_constantIbLb1EES1C_EEDaS17_S18_EUlS17_E_NS1_11comp_targetILNS1_3genE4ELNS1_11target_archE910ELNS1_3gpuE8ELNS1_3repE0EEENS1_30default_config_static_selectorELNS0_4arch9wavefront6targetE0EEEvT1_.num_named_barrier, 0
	.set _ZN7rocprim17ROCPRIM_400000_NS6detail17trampoline_kernelINS0_14default_configENS1_25partition_config_selectorILNS1_17partition_subalgoE8ElNS0_10empty_typeEbEEZZNS1_14partition_implILS5_8ELb0ES3_jPlPS6_PKS6_NS0_5tupleIJS9_S6_EEENSD_IJSA_SA_EEENS0_18inequality_wrapperIZN2at6native12_GLOBAL__N_124unique_dim_cuda_templateItEESt5tupleIJNSH_6TensorESM_SM_EERKSM_lbbbEUlllE0_EEPmJS6_EEE10hipError_tPvRmT3_T4_T5_T6_T7_T9_mT8_P12ihipStream_tbDpT10_ENKUlT_T0_E_clISt17integral_constantIbLb1EES1C_EEDaS17_S18_EUlS17_E_NS1_11comp_targetILNS1_3genE4ELNS1_11target_archE910ELNS1_3gpuE8ELNS1_3repE0EEENS1_30default_config_static_selectorELNS0_4arch9wavefront6targetE0EEEvT1_.private_seg_size, 0
	.set _ZN7rocprim17ROCPRIM_400000_NS6detail17trampoline_kernelINS0_14default_configENS1_25partition_config_selectorILNS1_17partition_subalgoE8ElNS0_10empty_typeEbEEZZNS1_14partition_implILS5_8ELb0ES3_jPlPS6_PKS6_NS0_5tupleIJS9_S6_EEENSD_IJSA_SA_EEENS0_18inequality_wrapperIZN2at6native12_GLOBAL__N_124unique_dim_cuda_templateItEESt5tupleIJNSH_6TensorESM_SM_EERKSM_lbbbEUlllE0_EEPmJS6_EEE10hipError_tPvRmT3_T4_T5_T6_T7_T9_mT8_P12ihipStream_tbDpT10_ENKUlT_T0_E_clISt17integral_constantIbLb1EES1C_EEDaS17_S18_EUlS17_E_NS1_11comp_targetILNS1_3genE4ELNS1_11target_archE910ELNS1_3gpuE8ELNS1_3repE0EEENS1_30default_config_static_selectorELNS0_4arch9wavefront6targetE0EEEvT1_.uses_vcc, 0
	.set _ZN7rocprim17ROCPRIM_400000_NS6detail17trampoline_kernelINS0_14default_configENS1_25partition_config_selectorILNS1_17partition_subalgoE8ElNS0_10empty_typeEbEEZZNS1_14partition_implILS5_8ELb0ES3_jPlPS6_PKS6_NS0_5tupleIJS9_S6_EEENSD_IJSA_SA_EEENS0_18inequality_wrapperIZN2at6native12_GLOBAL__N_124unique_dim_cuda_templateItEESt5tupleIJNSH_6TensorESM_SM_EERKSM_lbbbEUlllE0_EEPmJS6_EEE10hipError_tPvRmT3_T4_T5_T6_T7_T9_mT8_P12ihipStream_tbDpT10_ENKUlT_T0_E_clISt17integral_constantIbLb1EES1C_EEDaS17_S18_EUlS17_E_NS1_11comp_targetILNS1_3genE4ELNS1_11target_archE910ELNS1_3gpuE8ELNS1_3repE0EEENS1_30default_config_static_selectorELNS0_4arch9wavefront6targetE0EEEvT1_.uses_flat_scratch, 0
	.set _ZN7rocprim17ROCPRIM_400000_NS6detail17trampoline_kernelINS0_14default_configENS1_25partition_config_selectorILNS1_17partition_subalgoE8ElNS0_10empty_typeEbEEZZNS1_14partition_implILS5_8ELb0ES3_jPlPS6_PKS6_NS0_5tupleIJS9_S6_EEENSD_IJSA_SA_EEENS0_18inequality_wrapperIZN2at6native12_GLOBAL__N_124unique_dim_cuda_templateItEESt5tupleIJNSH_6TensorESM_SM_EERKSM_lbbbEUlllE0_EEPmJS6_EEE10hipError_tPvRmT3_T4_T5_T6_T7_T9_mT8_P12ihipStream_tbDpT10_ENKUlT_T0_E_clISt17integral_constantIbLb1EES1C_EEDaS17_S18_EUlS17_E_NS1_11comp_targetILNS1_3genE4ELNS1_11target_archE910ELNS1_3gpuE8ELNS1_3repE0EEENS1_30default_config_static_selectorELNS0_4arch9wavefront6targetE0EEEvT1_.has_dyn_sized_stack, 0
	.set _ZN7rocprim17ROCPRIM_400000_NS6detail17trampoline_kernelINS0_14default_configENS1_25partition_config_selectorILNS1_17partition_subalgoE8ElNS0_10empty_typeEbEEZZNS1_14partition_implILS5_8ELb0ES3_jPlPS6_PKS6_NS0_5tupleIJS9_S6_EEENSD_IJSA_SA_EEENS0_18inequality_wrapperIZN2at6native12_GLOBAL__N_124unique_dim_cuda_templateItEESt5tupleIJNSH_6TensorESM_SM_EERKSM_lbbbEUlllE0_EEPmJS6_EEE10hipError_tPvRmT3_T4_T5_T6_T7_T9_mT8_P12ihipStream_tbDpT10_ENKUlT_T0_E_clISt17integral_constantIbLb1EES1C_EEDaS17_S18_EUlS17_E_NS1_11comp_targetILNS1_3genE4ELNS1_11target_archE910ELNS1_3gpuE8ELNS1_3repE0EEENS1_30default_config_static_selectorELNS0_4arch9wavefront6targetE0EEEvT1_.has_recursion, 0
	.set _ZN7rocprim17ROCPRIM_400000_NS6detail17trampoline_kernelINS0_14default_configENS1_25partition_config_selectorILNS1_17partition_subalgoE8ElNS0_10empty_typeEbEEZZNS1_14partition_implILS5_8ELb0ES3_jPlPS6_PKS6_NS0_5tupleIJS9_S6_EEENSD_IJSA_SA_EEENS0_18inequality_wrapperIZN2at6native12_GLOBAL__N_124unique_dim_cuda_templateItEESt5tupleIJNSH_6TensorESM_SM_EERKSM_lbbbEUlllE0_EEPmJS6_EEE10hipError_tPvRmT3_T4_T5_T6_T7_T9_mT8_P12ihipStream_tbDpT10_ENKUlT_T0_E_clISt17integral_constantIbLb1EES1C_EEDaS17_S18_EUlS17_E_NS1_11comp_targetILNS1_3genE4ELNS1_11target_archE910ELNS1_3gpuE8ELNS1_3repE0EEENS1_30default_config_static_selectorELNS0_4arch9wavefront6targetE0EEEvT1_.has_indirect_call, 0
	.section	.AMDGPU.csdata,"",@progbits
; Kernel info:
; codeLenInByte = 0
; TotalNumSgprs: 0
; NumVgprs: 0
; ScratchSize: 0
; MemoryBound: 0
; FloatMode: 240
; IeeeMode: 1
; LDSByteSize: 0 bytes/workgroup (compile time only)
; SGPRBlocks: 0
; VGPRBlocks: 0
; NumSGPRsForWavesPerEU: 1
; NumVGPRsForWavesPerEU: 1
; NamedBarCnt: 0
; Occupancy: 16
; WaveLimiterHint : 0
; COMPUTE_PGM_RSRC2:SCRATCH_EN: 0
; COMPUTE_PGM_RSRC2:USER_SGPR: 2
; COMPUTE_PGM_RSRC2:TRAP_HANDLER: 0
; COMPUTE_PGM_RSRC2:TGID_X_EN: 1
; COMPUTE_PGM_RSRC2:TGID_Y_EN: 0
; COMPUTE_PGM_RSRC2:TGID_Z_EN: 0
; COMPUTE_PGM_RSRC2:TIDIG_COMP_CNT: 0
	.section	.text._ZN7rocprim17ROCPRIM_400000_NS6detail17trampoline_kernelINS0_14default_configENS1_25partition_config_selectorILNS1_17partition_subalgoE8ElNS0_10empty_typeEbEEZZNS1_14partition_implILS5_8ELb0ES3_jPlPS6_PKS6_NS0_5tupleIJS9_S6_EEENSD_IJSA_SA_EEENS0_18inequality_wrapperIZN2at6native12_GLOBAL__N_124unique_dim_cuda_templateItEESt5tupleIJNSH_6TensorESM_SM_EERKSM_lbbbEUlllE0_EEPmJS6_EEE10hipError_tPvRmT3_T4_T5_T6_T7_T9_mT8_P12ihipStream_tbDpT10_ENKUlT_T0_E_clISt17integral_constantIbLb1EES1C_EEDaS17_S18_EUlS17_E_NS1_11comp_targetILNS1_3genE3ELNS1_11target_archE908ELNS1_3gpuE7ELNS1_3repE0EEENS1_30default_config_static_selectorELNS0_4arch9wavefront6targetE0EEEvT1_,"axG",@progbits,_ZN7rocprim17ROCPRIM_400000_NS6detail17trampoline_kernelINS0_14default_configENS1_25partition_config_selectorILNS1_17partition_subalgoE8ElNS0_10empty_typeEbEEZZNS1_14partition_implILS5_8ELb0ES3_jPlPS6_PKS6_NS0_5tupleIJS9_S6_EEENSD_IJSA_SA_EEENS0_18inequality_wrapperIZN2at6native12_GLOBAL__N_124unique_dim_cuda_templateItEESt5tupleIJNSH_6TensorESM_SM_EERKSM_lbbbEUlllE0_EEPmJS6_EEE10hipError_tPvRmT3_T4_T5_T6_T7_T9_mT8_P12ihipStream_tbDpT10_ENKUlT_T0_E_clISt17integral_constantIbLb1EES1C_EEDaS17_S18_EUlS17_E_NS1_11comp_targetILNS1_3genE3ELNS1_11target_archE908ELNS1_3gpuE7ELNS1_3repE0EEENS1_30default_config_static_selectorELNS0_4arch9wavefront6targetE0EEEvT1_,comdat
	.globl	_ZN7rocprim17ROCPRIM_400000_NS6detail17trampoline_kernelINS0_14default_configENS1_25partition_config_selectorILNS1_17partition_subalgoE8ElNS0_10empty_typeEbEEZZNS1_14partition_implILS5_8ELb0ES3_jPlPS6_PKS6_NS0_5tupleIJS9_S6_EEENSD_IJSA_SA_EEENS0_18inequality_wrapperIZN2at6native12_GLOBAL__N_124unique_dim_cuda_templateItEESt5tupleIJNSH_6TensorESM_SM_EERKSM_lbbbEUlllE0_EEPmJS6_EEE10hipError_tPvRmT3_T4_T5_T6_T7_T9_mT8_P12ihipStream_tbDpT10_ENKUlT_T0_E_clISt17integral_constantIbLb1EES1C_EEDaS17_S18_EUlS17_E_NS1_11comp_targetILNS1_3genE3ELNS1_11target_archE908ELNS1_3gpuE7ELNS1_3repE0EEENS1_30default_config_static_selectorELNS0_4arch9wavefront6targetE0EEEvT1_ ; -- Begin function _ZN7rocprim17ROCPRIM_400000_NS6detail17trampoline_kernelINS0_14default_configENS1_25partition_config_selectorILNS1_17partition_subalgoE8ElNS0_10empty_typeEbEEZZNS1_14partition_implILS5_8ELb0ES3_jPlPS6_PKS6_NS0_5tupleIJS9_S6_EEENSD_IJSA_SA_EEENS0_18inequality_wrapperIZN2at6native12_GLOBAL__N_124unique_dim_cuda_templateItEESt5tupleIJNSH_6TensorESM_SM_EERKSM_lbbbEUlllE0_EEPmJS6_EEE10hipError_tPvRmT3_T4_T5_T6_T7_T9_mT8_P12ihipStream_tbDpT10_ENKUlT_T0_E_clISt17integral_constantIbLb1EES1C_EEDaS17_S18_EUlS17_E_NS1_11comp_targetILNS1_3genE3ELNS1_11target_archE908ELNS1_3gpuE7ELNS1_3repE0EEENS1_30default_config_static_selectorELNS0_4arch9wavefront6targetE0EEEvT1_
	.p2align	8
	.type	_ZN7rocprim17ROCPRIM_400000_NS6detail17trampoline_kernelINS0_14default_configENS1_25partition_config_selectorILNS1_17partition_subalgoE8ElNS0_10empty_typeEbEEZZNS1_14partition_implILS5_8ELb0ES3_jPlPS6_PKS6_NS0_5tupleIJS9_S6_EEENSD_IJSA_SA_EEENS0_18inequality_wrapperIZN2at6native12_GLOBAL__N_124unique_dim_cuda_templateItEESt5tupleIJNSH_6TensorESM_SM_EERKSM_lbbbEUlllE0_EEPmJS6_EEE10hipError_tPvRmT3_T4_T5_T6_T7_T9_mT8_P12ihipStream_tbDpT10_ENKUlT_T0_E_clISt17integral_constantIbLb1EES1C_EEDaS17_S18_EUlS17_E_NS1_11comp_targetILNS1_3genE3ELNS1_11target_archE908ELNS1_3gpuE7ELNS1_3repE0EEENS1_30default_config_static_selectorELNS0_4arch9wavefront6targetE0EEEvT1_,@function
_ZN7rocprim17ROCPRIM_400000_NS6detail17trampoline_kernelINS0_14default_configENS1_25partition_config_selectorILNS1_17partition_subalgoE8ElNS0_10empty_typeEbEEZZNS1_14partition_implILS5_8ELb0ES3_jPlPS6_PKS6_NS0_5tupleIJS9_S6_EEENSD_IJSA_SA_EEENS0_18inequality_wrapperIZN2at6native12_GLOBAL__N_124unique_dim_cuda_templateItEESt5tupleIJNSH_6TensorESM_SM_EERKSM_lbbbEUlllE0_EEPmJS6_EEE10hipError_tPvRmT3_T4_T5_T6_T7_T9_mT8_P12ihipStream_tbDpT10_ENKUlT_T0_E_clISt17integral_constantIbLb1EES1C_EEDaS17_S18_EUlS17_E_NS1_11comp_targetILNS1_3genE3ELNS1_11target_archE908ELNS1_3gpuE7ELNS1_3repE0EEENS1_30default_config_static_selectorELNS0_4arch9wavefront6targetE0EEEvT1_: ; @_ZN7rocprim17ROCPRIM_400000_NS6detail17trampoline_kernelINS0_14default_configENS1_25partition_config_selectorILNS1_17partition_subalgoE8ElNS0_10empty_typeEbEEZZNS1_14partition_implILS5_8ELb0ES3_jPlPS6_PKS6_NS0_5tupleIJS9_S6_EEENSD_IJSA_SA_EEENS0_18inequality_wrapperIZN2at6native12_GLOBAL__N_124unique_dim_cuda_templateItEESt5tupleIJNSH_6TensorESM_SM_EERKSM_lbbbEUlllE0_EEPmJS6_EEE10hipError_tPvRmT3_T4_T5_T6_T7_T9_mT8_P12ihipStream_tbDpT10_ENKUlT_T0_E_clISt17integral_constantIbLb1EES1C_EEDaS17_S18_EUlS17_E_NS1_11comp_targetILNS1_3genE3ELNS1_11target_archE908ELNS1_3gpuE7ELNS1_3repE0EEENS1_30default_config_static_selectorELNS0_4arch9wavefront6targetE0EEEvT1_
; %bb.0:
	.section	.rodata,"a",@progbits
	.p2align	6, 0x0
	.amdhsa_kernel _ZN7rocprim17ROCPRIM_400000_NS6detail17trampoline_kernelINS0_14default_configENS1_25partition_config_selectorILNS1_17partition_subalgoE8ElNS0_10empty_typeEbEEZZNS1_14partition_implILS5_8ELb0ES3_jPlPS6_PKS6_NS0_5tupleIJS9_S6_EEENSD_IJSA_SA_EEENS0_18inequality_wrapperIZN2at6native12_GLOBAL__N_124unique_dim_cuda_templateItEESt5tupleIJNSH_6TensorESM_SM_EERKSM_lbbbEUlllE0_EEPmJS6_EEE10hipError_tPvRmT3_T4_T5_T6_T7_T9_mT8_P12ihipStream_tbDpT10_ENKUlT_T0_E_clISt17integral_constantIbLb1EES1C_EEDaS17_S18_EUlS17_E_NS1_11comp_targetILNS1_3genE3ELNS1_11target_archE908ELNS1_3gpuE7ELNS1_3repE0EEENS1_30default_config_static_selectorELNS0_4arch9wavefront6targetE0EEEvT1_
		.amdhsa_group_segment_fixed_size 0
		.amdhsa_private_segment_fixed_size 0
		.amdhsa_kernarg_size 136
		.amdhsa_user_sgpr_count 2
		.amdhsa_user_sgpr_dispatch_ptr 0
		.amdhsa_user_sgpr_queue_ptr 0
		.amdhsa_user_sgpr_kernarg_segment_ptr 1
		.amdhsa_user_sgpr_dispatch_id 0
		.amdhsa_user_sgpr_kernarg_preload_length 0
		.amdhsa_user_sgpr_kernarg_preload_offset 0
		.amdhsa_user_sgpr_private_segment_size 0
		.amdhsa_wavefront_size32 1
		.amdhsa_uses_dynamic_stack 0
		.amdhsa_enable_private_segment 0
		.amdhsa_system_sgpr_workgroup_id_x 1
		.amdhsa_system_sgpr_workgroup_id_y 0
		.amdhsa_system_sgpr_workgroup_id_z 0
		.amdhsa_system_sgpr_workgroup_info 0
		.amdhsa_system_vgpr_workitem_id 0
		.amdhsa_next_free_vgpr 1
		.amdhsa_next_free_sgpr 1
		.amdhsa_named_barrier_count 0
		.amdhsa_reserve_vcc 0
		.amdhsa_float_round_mode_32 0
		.amdhsa_float_round_mode_16_64 0
		.amdhsa_float_denorm_mode_32 3
		.amdhsa_float_denorm_mode_16_64 3
		.amdhsa_fp16_overflow 0
		.amdhsa_memory_ordered 1
		.amdhsa_forward_progress 1
		.amdhsa_inst_pref_size 0
		.amdhsa_round_robin_scheduling 0
		.amdhsa_exception_fp_ieee_invalid_op 0
		.amdhsa_exception_fp_denorm_src 0
		.amdhsa_exception_fp_ieee_div_zero 0
		.amdhsa_exception_fp_ieee_overflow 0
		.amdhsa_exception_fp_ieee_underflow 0
		.amdhsa_exception_fp_ieee_inexact 0
		.amdhsa_exception_int_div_zero 0
	.end_amdhsa_kernel
	.section	.text._ZN7rocprim17ROCPRIM_400000_NS6detail17trampoline_kernelINS0_14default_configENS1_25partition_config_selectorILNS1_17partition_subalgoE8ElNS0_10empty_typeEbEEZZNS1_14partition_implILS5_8ELb0ES3_jPlPS6_PKS6_NS0_5tupleIJS9_S6_EEENSD_IJSA_SA_EEENS0_18inequality_wrapperIZN2at6native12_GLOBAL__N_124unique_dim_cuda_templateItEESt5tupleIJNSH_6TensorESM_SM_EERKSM_lbbbEUlllE0_EEPmJS6_EEE10hipError_tPvRmT3_T4_T5_T6_T7_T9_mT8_P12ihipStream_tbDpT10_ENKUlT_T0_E_clISt17integral_constantIbLb1EES1C_EEDaS17_S18_EUlS17_E_NS1_11comp_targetILNS1_3genE3ELNS1_11target_archE908ELNS1_3gpuE7ELNS1_3repE0EEENS1_30default_config_static_selectorELNS0_4arch9wavefront6targetE0EEEvT1_,"axG",@progbits,_ZN7rocprim17ROCPRIM_400000_NS6detail17trampoline_kernelINS0_14default_configENS1_25partition_config_selectorILNS1_17partition_subalgoE8ElNS0_10empty_typeEbEEZZNS1_14partition_implILS5_8ELb0ES3_jPlPS6_PKS6_NS0_5tupleIJS9_S6_EEENSD_IJSA_SA_EEENS0_18inequality_wrapperIZN2at6native12_GLOBAL__N_124unique_dim_cuda_templateItEESt5tupleIJNSH_6TensorESM_SM_EERKSM_lbbbEUlllE0_EEPmJS6_EEE10hipError_tPvRmT3_T4_T5_T6_T7_T9_mT8_P12ihipStream_tbDpT10_ENKUlT_T0_E_clISt17integral_constantIbLb1EES1C_EEDaS17_S18_EUlS17_E_NS1_11comp_targetILNS1_3genE3ELNS1_11target_archE908ELNS1_3gpuE7ELNS1_3repE0EEENS1_30default_config_static_selectorELNS0_4arch9wavefront6targetE0EEEvT1_,comdat
.Lfunc_end1430:
	.size	_ZN7rocprim17ROCPRIM_400000_NS6detail17trampoline_kernelINS0_14default_configENS1_25partition_config_selectorILNS1_17partition_subalgoE8ElNS0_10empty_typeEbEEZZNS1_14partition_implILS5_8ELb0ES3_jPlPS6_PKS6_NS0_5tupleIJS9_S6_EEENSD_IJSA_SA_EEENS0_18inequality_wrapperIZN2at6native12_GLOBAL__N_124unique_dim_cuda_templateItEESt5tupleIJNSH_6TensorESM_SM_EERKSM_lbbbEUlllE0_EEPmJS6_EEE10hipError_tPvRmT3_T4_T5_T6_T7_T9_mT8_P12ihipStream_tbDpT10_ENKUlT_T0_E_clISt17integral_constantIbLb1EES1C_EEDaS17_S18_EUlS17_E_NS1_11comp_targetILNS1_3genE3ELNS1_11target_archE908ELNS1_3gpuE7ELNS1_3repE0EEENS1_30default_config_static_selectorELNS0_4arch9wavefront6targetE0EEEvT1_, .Lfunc_end1430-_ZN7rocprim17ROCPRIM_400000_NS6detail17trampoline_kernelINS0_14default_configENS1_25partition_config_selectorILNS1_17partition_subalgoE8ElNS0_10empty_typeEbEEZZNS1_14partition_implILS5_8ELb0ES3_jPlPS6_PKS6_NS0_5tupleIJS9_S6_EEENSD_IJSA_SA_EEENS0_18inequality_wrapperIZN2at6native12_GLOBAL__N_124unique_dim_cuda_templateItEESt5tupleIJNSH_6TensorESM_SM_EERKSM_lbbbEUlllE0_EEPmJS6_EEE10hipError_tPvRmT3_T4_T5_T6_T7_T9_mT8_P12ihipStream_tbDpT10_ENKUlT_T0_E_clISt17integral_constantIbLb1EES1C_EEDaS17_S18_EUlS17_E_NS1_11comp_targetILNS1_3genE3ELNS1_11target_archE908ELNS1_3gpuE7ELNS1_3repE0EEENS1_30default_config_static_selectorELNS0_4arch9wavefront6targetE0EEEvT1_
                                        ; -- End function
	.set _ZN7rocprim17ROCPRIM_400000_NS6detail17trampoline_kernelINS0_14default_configENS1_25partition_config_selectorILNS1_17partition_subalgoE8ElNS0_10empty_typeEbEEZZNS1_14partition_implILS5_8ELb0ES3_jPlPS6_PKS6_NS0_5tupleIJS9_S6_EEENSD_IJSA_SA_EEENS0_18inequality_wrapperIZN2at6native12_GLOBAL__N_124unique_dim_cuda_templateItEESt5tupleIJNSH_6TensorESM_SM_EERKSM_lbbbEUlllE0_EEPmJS6_EEE10hipError_tPvRmT3_T4_T5_T6_T7_T9_mT8_P12ihipStream_tbDpT10_ENKUlT_T0_E_clISt17integral_constantIbLb1EES1C_EEDaS17_S18_EUlS17_E_NS1_11comp_targetILNS1_3genE3ELNS1_11target_archE908ELNS1_3gpuE7ELNS1_3repE0EEENS1_30default_config_static_selectorELNS0_4arch9wavefront6targetE0EEEvT1_.num_vgpr, 0
	.set _ZN7rocprim17ROCPRIM_400000_NS6detail17trampoline_kernelINS0_14default_configENS1_25partition_config_selectorILNS1_17partition_subalgoE8ElNS0_10empty_typeEbEEZZNS1_14partition_implILS5_8ELb0ES3_jPlPS6_PKS6_NS0_5tupleIJS9_S6_EEENSD_IJSA_SA_EEENS0_18inequality_wrapperIZN2at6native12_GLOBAL__N_124unique_dim_cuda_templateItEESt5tupleIJNSH_6TensorESM_SM_EERKSM_lbbbEUlllE0_EEPmJS6_EEE10hipError_tPvRmT3_T4_T5_T6_T7_T9_mT8_P12ihipStream_tbDpT10_ENKUlT_T0_E_clISt17integral_constantIbLb1EES1C_EEDaS17_S18_EUlS17_E_NS1_11comp_targetILNS1_3genE3ELNS1_11target_archE908ELNS1_3gpuE7ELNS1_3repE0EEENS1_30default_config_static_selectorELNS0_4arch9wavefront6targetE0EEEvT1_.num_agpr, 0
	.set _ZN7rocprim17ROCPRIM_400000_NS6detail17trampoline_kernelINS0_14default_configENS1_25partition_config_selectorILNS1_17partition_subalgoE8ElNS0_10empty_typeEbEEZZNS1_14partition_implILS5_8ELb0ES3_jPlPS6_PKS6_NS0_5tupleIJS9_S6_EEENSD_IJSA_SA_EEENS0_18inequality_wrapperIZN2at6native12_GLOBAL__N_124unique_dim_cuda_templateItEESt5tupleIJNSH_6TensorESM_SM_EERKSM_lbbbEUlllE0_EEPmJS6_EEE10hipError_tPvRmT3_T4_T5_T6_T7_T9_mT8_P12ihipStream_tbDpT10_ENKUlT_T0_E_clISt17integral_constantIbLb1EES1C_EEDaS17_S18_EUlS17_E_NS1_11comp_targetILNS1_3genE3ELNS1_11target_archE908ELNS1_3gpuE7ELNS1_3repE0EEENS1_30default_config_static_selectorELNS0_4arch9wavefront6targetE0EEEvT1_.numbered_sgpr, 0
	.set _ZN7rocprim17ROCPRIM_400000_NS6detail17trampoline_kernelINS0_14default_configENS1_25partition_config_selectorILNS1_17partition_subalgoE8ElNS0_10empty_typeEbEEZZNS1_14partition_implILS5_8ELb0ES3_jPlPS6_PKS6_NS0_5tupleIJS9_S6_EEENSD_IJSA_SA_EEENS0_18inequality_wrapperIZN2at6native12_GLOBAL__N_124unique_dim_cuda_templateItEESt5tupleIJNSH_6TensorESM_SM_EERKSM_lbbbEUlllE0_EEPmJS6_EEE10hipError_tPvRmT3_T4_T5_T6_T7_T9_mT8_P12ihipStream_tbDpT10_ENKUlT_T0_E_clISt17integral_constantIbLb1EES1C_EEDaS17_S18_EUlS17_E_NS1_11comp_targetILNS1_3genE3ELNS1_11target_archE908ELNS1_3gpuE7ELNS1_3repE0EEENS1_30default_config_static_selectorELNS0_4arch9wavefront6targetE0EEEvT1_.num_named_barrier, 0
	.set _ZN7rocprim17ROCPRIM_400000_NS6detail17trampoline_kernelINS0_14default_configENS1_25partition_config_selectorILNS1_17partition_subalgoE8ElNS0_10empty_typeEbEEZZNS1_14partition_implILS5_8ELb0ES3_jPlPS6_PKS6_NS0_5tupleIJS9_S6_EEENSD_IJSA_SA_EEENS0_18inequality_wrapperIZN2at6native12_GLOBAL__N_124unique_dim_cuda_templateItEESt5tupleIJNSH_6TensorESM_SM_EERKSM_lbbbEUlllE0_EEPmJS6_EEE10hipError_tPvRmT3_T4_T5_T6_T7_T9_mT8_P12ihipStream_tbDpT10_ENKUlT_T0_E_clISt17integral_constantIbLb1EES1C_EEDaS17_S18_EUlS17_E_NS1_11comp_targetILNS1_3genE3ELNS1_11target_archE908ELNS1_3gpuE7ELNS1_3repE0EEENS1_30default_config_static_selectorELNS0_4arch9wavefront6targetE0EEEvT1_.private_seg_size, 0
	.set _ZN7rocprim17ROCPRIM_400000_NS6detail17trampoline_kernelINS0_14default_configENS1_25partition_config_selectorILNS1_17partition_subalgoE8ElNS0_10empty_typeEbEEZZNS1_14partition_implILS5_8ELb0ES3_jPlPS6_PKS6_NS0_5tupleIJS9_S6_EEENSD_IJSA_SA_EEENS0_18inequality_wrapperIZN2at6native12_GLOBAL__N_124unique_dim_cuda_templateItEESt5tupleIJNSH_6TensorESM_SM_EERKSM_lbbbEUlllE0_EEPmJS6_EEE10hipError_tPvRmT3_T4_T5_T6_T7_T9_mT8_P12ihipStream_tbDpT10_ENKUlT_T0_E_clISt17integral_constantIbLb1EES1C_EEDaS17_S18_EUlS17_E_NS1_11comp_targetILNS1_3genE3ELNS1_11target_archE908ELNS1_3gpuE7ELNS1_3repE0EEENS1_30default_config_static_selectorELNS0_4arch9wavefront6targetE0EEEvT1_.uses_vcc, 0
	.set _ZN7rocprim17ROCPRIM_400000_NS6detail17trampoline_kernelINS0_14default_configENS1_25partition_config_selectorILNS1_17partition_subalgoE8ElNS0_10empty_typeEbEEZZNS1_14partition_implILS5_8ELb0ES3_jPlPS6_PKS6_NS0_5tupleIJS9_S6_EEENSD_IJSA_SA_EEENS0_18inequality_wrapperIZN2at6native12_GLOBAL__N_124unique_dim_cuda_templateItEESt5tupleIJNSH_6TensorESM_SM_EERKSM_lbbbEUlllE0_EEPmJS6_EEE10hipError_tPvRmT3_T4_T5_T6_T7_T9_mT8_P12ihipStream_tbDpT10_ENKUlT_T0_E_clISt17integral_constantIbLb1EES1C_EEDaS17_S18_EUlS17_E_NS1_11comp_targetILNS1_3genE3ELNS1_11target_archE908ELNS1_3gpuE7ELNS1_3repE0EEENS1_30default_config_static_selectorELNS0_4arch9wavefront6targetE0EEEvT1_.uses_flat_scratch, 0
	.set _ZN7rocprim17ROCPRIM_400000_NS6detail17trampoline_kernelINS0_14default_configENS1_25partition_config_selectorILNS1_17partition_subalgoE8ElNS0_10empty_typeEbEEZZNS1_14partition_implILS5_8ELb0ES3_jPlPS6_PKS6_NS0_5tupleIJS9_S6_EEENSD_IJSA_SA_EEENS0_18inequality_wrapperIZN2at6native12_GLOBAL__N_124unique_dim_cuda_templateItEESt5tupleIJNSH_6TensorESM_SM_EERKSM_lbbbEUlllE0_EEPmJS6_EEE10hipError_tPvRmT3_T4_T5_T6_T7_T9_mT8_P12ihipStream_tbDpT10_ENKUlT_T0_E_clISt17integral_constantIbLb1EES1C_EEDaS17_S18_EUlS17_E_NS1_11comp_targetILNS1_3genE3ELNS1_11target_archE908ELNS1_3gpuE7ELNS1_3repE0EEENS1_30default_config_static_selectorELNS0_4arch9wavefront6targetE0EEEvT1_.has_dyn_sized_stack, 0
	.set _ZN7rocprim17ROCPRIM_400000_NS6detail17trampoline_kernelINS0_14default_configENS1_25partition_config_selectorILNS1_17partition_subalgoE8ElNS0_10empty_typeEbEEZZNS1_14partition_implILS5_8ELb0ES3_jPlPS6_PKS6_NS0_5tupleIJS9_S6_EEENSD_IJSA_SA_EEENS0_18inequality_wrapperIZN2at6native12_GLOBAL__N_124unique_dim_cuda_templateItEESt5tupleIJNSH_6TensorESM_SM_EERKSM_lbbbEUlllE0_EEPmJS6_EEE10hipError_tPvRmT3_T4_T5_T6_T7_T9_mT8_P12ihipStream_tbDpT10_ENKUlT_T0_E_clISt17integral_constantIbLb1EES1C_EEDaS17_S18_EUlS17_E_NS1_11comp_targetILNS1_3genE3ELNS1_11target_archE908ELNS1_3gpuE7ELNS1_3repE0EEENS1_30default_config_static_selectorELNS0_4arch9wavefront6targetE0EEEvT1_.has_recursion, 0
	.set _ZN7rocprim17ROCPRIM_400000_NS6detail17trampoline_kernelINS0_14default_configENS1_25partition_config_selectorILNS1_17partition_subalgoE8ElNS0_10empty_typeEbEEZZNS1_14partition_implILS5_8ELb0ES3_jPlPS6_PKS6_NS0_5tupleIJS9_S6_EEENSD_IJSA_SA_EEENS0_18inequality_wrapperIZN2at6native12_GLOBAL__N_124unique_dim_cuda_templateItEESt5tupleIJNSH_6TensorESM_SM_EERKSM_lbbbEUlllE0_EEPmJS6_EEE10hipError_tPvRmT3_T4_T5_T6_T7_T9_mT8_P12ihipStream_tbDpT10_ENKUlT_T0_E_clISt17integral_constantIbLb1EES1C_EEDaS17_S18_EUlS17_E_NS1_11comp_targetILNS1_3genE3ELNS1_11target_archE908ELNS1_3gpuE7ELNS1_3repE0EEENS1_30default_config_static_selectorELNS0_4arch9wavefront6targetE0EEEvT1_.has_indirect_call, 0
	.section	.AMDGPU.csdata,"",@progbits
; Kernel info:
; codeLenInByte = 0
; TotalNumSgprs: 0
; NumVgprs: 0
; ScratchSize: 0
; MemoryBound: 0
; FloatMode: 240
; IeeeMode: 1
; LDSByteSize: 0 bytes/workgroup (compile time only)
; SGPRBlocks: 0
; VGPRBlocks: 0
; NumSGPRsForWavesPerEU: 1
; NumVGPRsForWavesPerEU: 1
; NamedBarCnt: 0
; Occupancy: 16
; WaveLimiterHint : 0
; COMPUTE_PGM_RSRC2:SCRATCH_EN: 0
; COMPUTE_PGM_RSRC2:USER_SGPR: 2
; COMPUTE_PGM_RSRC2:TRAP_HANDLER: 0
; COMPUTE_PGM_RSRC2:TGID_X_EN: 1
; COMPUTE_PGM_RSRC2:TGID_Y_EN: 0
; COMPUTE_PGM_RSRC2:TGID_Z_EN: 0
; COMPUTE_PGM_RSRC2:TIDIG_COMP_CNT: 0
	.section	.text._ZN7rocprim17ROCPRIM_400000_NS6detail17trampoline_kernelINS0_14default_configENS1_25partition_config_selectorILNS1_17partition_subalgoE8ElNS0_10empty_typeEbEEZZNS1_14partition_implILS5_8ELb0ES3_jPlPS6_PKS6_NS0_5tupleIJS9_S6_EEENSD_IJSA_SA_EEENS0_18inequality_wrapperIZN2at6native12_GLOBAL__N_124unique_dim_cuda_templateItEESt5tupleIJNSH_6TensorESM_SM_EERKSM_lbbbEUlllE0_EEPmJS6_EEE10hipError_tPvRmT3_T4_T5_T6_T7_T9_mT8_P12ihipStream_tbDpT10_ENKUlT_T0_E_clISt17integral_constantIbLb1EES1C_EEDaS17_S18_EUlS17_E_NS1_11comp_targetILNS1_3genE2ELNS1_11target_archE906ELNS1_3gpuE6ELNS1_3repE0EEENS1_30default_config_static_selectorELNS0_4arch9wavefront6targetE0EEEvT1_,"axG",@progbits,_ZN7rocprim17ROCPRIM_400000_NS6detail17trampoline_kernelINS0_14default_configENS1_25partition_config_selectorILNS1_17partition_subalgoE8ElNS0_10empty_typeEbEEZZNS1_14partition_implILS5_8ELb0ES3_jPlPS6_PKS6_NS0_5tupleIJS9_S6_EEENSD_IJSA_SA_EEENS0_18inequality_wrapperIZN2at6native12_GLOBAL__N_124unique_dim_cuda_templateItEESt5tupleIJNSH_6TensorESM_SM_EERKSM_lbbbEUlllE0_EEPmJS6_EEE10hipError_tPvRmT3_T4_T5_T6_T7_T9_mT8_P12ihipStream_tbDpT10_ENKUlT_T0_E_clISt17integral_constantIbLb1EES1C_EEDaS17_S18_EUlS17_E_NS1_11comp_targetILNS1_3genE2ELNS1_11target_archE906ELNS1_3gpuE6ELNS1_3repE0EEENS1_30default_config_static_selectorELNS0_4arch9wavefront6targetE0EEEvT1_,comdat
	.globl	_ZN7rocprim17ROCPRIM_400000_NS6detail17trampoline_kernelINS0_14default_configENS1_25partition_config_selectorILNS1_17partition_subalgoE8ElNS0_10empty_typeEbEEZZNS1_14partition_implILS5_8ELb0ES3_jPlPS6_PKS6_NS0_5tupleIJS9_S6_EEENSD_IJSA_SA_EEENS0_18inequality_wrapperIZN2at6native12_GLOBAL__N_124unique_dim_cuda_templateItEESt5tupleIJNSH_6TensorESM_SM_EERKSM_lbbbEUlllE0_EEPmJS6_EEE10hipError_tPvRmT3_T4_T5_T6_T7_T9_mT8_P12ihipStream_tbDpT10_ENKUlT_T0_E_clISt17integral_constantIbLb1EES1C_EEDaS17_S18_EUlS17_E_NS1_11comp_targetILNS1_3genE2ELNS1_11target_archE906ELNS1_3gpuE6ELNS1_3repE0EEENS1_30default_config_static_selectorELNS0_4arch9wavefront6targetE0EEEvT1_ ; -- Begin function _ZN7rocprim17ROCPRIM_400000_NS6detail17trampoline_kernelINS0_14default_configENS1_25partition_config_selectorILNS1_17partition_subalgoE8ElNS0_10empty_typeEbEEZZNS1_14partition_implILS5_8ELb0ES3_jPlPS6_PKS6_NS0_5tupleIJS9_S6_EEENSD_IJSA_SA_EEENS0_18inequality_wrapperIZN2at6native12_GLOBAL__N_124unique_dim_cuda_templateItEESt5tupleIJNSH_6TensorESM_SM_EERKSM_lbbbEUlllE0_EEPmJS6_EEE10hipError_tPvRmT3_T4_T5_T6_T7_T9_mT8_P12ihipStream_tbDpT10_ENKUlT_T0_E_clISt17integral_constantIbLb1EES1C_EEDaS17_S18_EUlS17_E_NS1_11comp_targetILNS1_3genE2ELNS1_11target_archE906ELNS1_3gpuE6ELNS1_3repE0EEENS1_30default_config_static_selectorELNS0_4arch9wavefront6targetE0EEEvT1_
	.p2align	8
	.type	_ZN7rocprim17ROCPRIM_400000_NS6detail17trampoline_kernelINS0_14default_configENS1_25partition_config_selectorILNS1_17partition_subalgoE8ElNS0_10empty_typeEbEEZZNS1_14partition_implILS5_8ELb0ES3_jPlPS6_PKS6_NS0_5tupleIJS9_S6_EEENSD_IJSA_SA_EEENS0_18inequality_wrapperIZN2at6native12_GLOBAL__N_124unique_dim_cuda_templateItEESt5tupleIJNSH_6TensorESM_SM_EERKSM_lbbbEUlllE0_EEPmJS6_EEE10hipError_tPvRmT3_T4_T5_T6_T7_T9_mT8_P12ihipStream_tbDpT10_ENKUlT_T0_E_clISt17integral_constantIbLb1EES1C_EEDaS17_S18_EUlS17_E_NS1_11comp_targetILNS1_3genE2ELNS1_11target_archE906ELNS1_3gpuE6ELNS1_3repE0EEENS1_30default_config_static_selectorELNS0_4arch9wavefront6targetE0EEEvT1_,@function
_ZN7rocprim17ROCPRIM_400000_NS6detail17trampoline_kernelINS0_14default_configENS1_25partition_config_selectorILNS1_17partition_subalgoE8ElNS0_10empty_typeEbEEZZNS1_14partition_implILS5_8ELb0ES3_jPlPS6_PKS6_NS0_5tupleIJS9_S6_EEENSD_IJSA_SA_EEENS0_18inequality_wrapperIZN2at6native12_GLOBAL__N_124unique_dim_cuda_templateItEESt5tupleIJNSH_6TensorESM_SM_EERKSM_lbbbEUlllE0_EEPmJS6_EEE10hipError_tPvRmT3_T4_T5_T6_T7_T9_mT8_P12ihipStream_tbDpT10_ENKUlT_T0_E_clISt17integral_constantIbLb1EES1C_EEDaS17_S18_EUlS17_E_NS1_11comp_targetILNS1_3genE2ELNS1_11target_archE906ELNS1_3gpuE6ELNS1_3repE0EEENS1_30default_config_static_selectorELNS0_4arch9wavefront6targetE0EEEvT1_: ; @_ZN7rocprim17ROCPRIM_400000_NS6detail17trampoline_kernelINS0_14default_configENS1_25partition_config_selectorILNS1_17partition_subalgoE8ElNS0_10empty_typeEbEEZZNS1_14partition_implILS5_8ELb0ES3_jPlPS6_PKS6_NS0_5tupleIJS9_S6_EEENSD_IJSA_SA_EEENS0_18inequality_wrapperIZN2at6native12_GLOBAL__N_124unique_dim_cuda_templateItEESt5tupleIJNSH_6TensorESM_SM_EERKSM_lbbbEUlllE0_EEPmJS6_EEE10hipError_tPvRmT3_T4_T5_T6_T7_T9_mT8_P12ihipStream_tbDpT10_ENKUlT_T0_E_clISt17integral_constantIbLb1EES1C_EEDaS17_S18_EUlS17_E_NS1_11comp_targetILNS1_3genE2ELNS1_11target_archE906ELNS1_3gpuE6ELNS1_3repE0EEENS1_30default_config_static_selectorELNS0_4arch9wavefront6targetE0EEEvT1_
; %bb.0:
	.section	.rodata,"a",@progbits
	.p2align	6, 0x0
	.amdhsa_kernel _ZN7rocprim17ROCPRIM_400000_NS6detail17trampoline_kernelINS0_14default_configENS1_25partition_config_selectorILNS1_17partition_subalgoE8ElNS0_10empty_typeEbEEZZNS1_14partition_implILS5_8ELb0ES3_jPlPS6_PKS6_NS0_5tupleIJS9_S6_EEENSD_IJSA_SA_EEENS0_18inequality_wrapperIZN2at6native12_GLOBAL__N_124unique_dim_cuda_templateItEESt5tupleIJNSH_6TensorESM_SM_EERKSM_lbbbEUlllE0_EEPmJS6_EEE10hipError_tPvRmT3_T4_T5_T6_T7_T9_mT8_P12ihipStream_tbDpT10_ENKUlT_T0_E_clISt17integral_constantIbLb1EES1C_EEDaS17_S18_EUlS17_E_NS1_11comp_targetILNS1_3genE2ELNS1_11target_archE906ELNS1_3gpuE6ELNS1_3repE0EEENS1_30default_config_static_selectorELNS0_4arch9wavefront6targetE0EEEvT1_
		.amdhsa_group_segment_fixed_size 0
		.amdhsa_private_segment_fixed_size 0
		.amdhsa_kernarg_size 136
		.amdhsa_user_sgpr_count 2
		.amdhsa_user_sgpr_dispatch_ptr 0
		.amdhsa_user_sgpr_queue_ptr 0
		.amdhsa_user_sgpr_kernarg_segment_ptr 1
		.amdhsa_user_sgpr_dispatch_id 0
		.amdhsa_user_sgpr_kernarg_preload_length 0
		.amdhsa_user_sgpr_kernarg_preload_offset 0
		.amdhsa_user_sgpr_private_segment_size 0
		.amdhsa_wavefront_size32 1
		.amdhsa_uses_dynamic_stack 0
		.amdhsa_enable_private_segment 0
		.amdhsa_system_sgpr_workgroup_id_x 1
		.amdhsa_system_sgpr_workgroup_id_y 0
		.amdhsa_system_sgpr_workgroup_id_z 0
		.amdhsa_system_sgpr_workgroup_info 0
		.amdhsa_system_vgpr_workitem_id 0
		.amdhsa_next_free_vgpr 1
		.amdhsa_next_free_sgpr 1
		.amdhsa_named_barrier_count 0
		.amdhsa_reserve_vcc 0
		.amdhsa_float_round_mode_32 0
		.amdhsa_float_round_mode_16_64 0
		.amdhsa_float_denorm_mode_32 3
		.amdhsa_float_denorm_mode_16_64 3
		.amdhsa_fp16_overflow 0
		.amdhsa_memory_ordered 1
		.amdhsa_forward_progress 1
		.amdhsa_inst_pref_size 0
		.amdhsa_round_robin_scheduling 0
		.amdhsa_exception_fp_ieee_invalid_op 0
		.amdhsa_exception_fp_denorm_src 0
		.amdhsa_exception_fp_ieee_div_zero 0
		.amdhsa_exception_fp_ieee_overflow 0
		.amdhsa_exception_fp_ieee_underflow 0
		.amdhsa_exception_fp_ieee_inexact 0
		.amdhsa_exception_int_div_zero 0
	.end_amdhsa_kernel
	.section	.text._ZN7rocprim17ROCPRIM_400000_NS6detail17trampoline_kernelINS0_14default_configENS1_25partition_config_selectorILNS1_17partition_subalgoE8ElNS0_10empty_typeEbEEZZNS1_14partition_implILS5_8ELb0ES3_jPlPS6_PKS6_NS0_5tupleIJS9_S6_EEENSD_IJSA_SA_EEENS0_18inequality_wrapperIZN2at6native12_GLOBAL__N_124unique_dim_cuda_templateItEESt5tupleIJNSH_6TensorESM_SM_EERKSM_lbbbEUlllE0_EEPmJS6_EEE10hipError_tPvRmT3_T4_T5_T6_T7_T9_mT8_P12ihipStream_tbDpT10_ENKUlT_T0_E_clISt17integral_constantIbLb1EES1C_EEDaS17_S18_EUlS17_E_NS1_11comp_targetILNS1_3genE2ELNS1_11target_archE906ELNS1_3gpuE6ELNS1_3repE0EEENS1_30default_config_static_selectorELNS0_4arch9wavefront6targetE0EEEvT1_,"axG",@progbits,_ZN7rocprim17ROCPRIM_400000_NS6detail17trampoline_kernelINS0_14default_configENS1_25partition_config_selectorILNS1_17partition_subalgoE8ElNS0_10empty_typeEbEEZZNS1_14partition_implILS5_8ELb0ES3_jPlPS6_PKS6_NS0_5tupleIJS9_S6_EEENSD_IJSA_SA_EEENS0_18inequality_wrapperIZN2at6native12_GLOBAL__N_124unique_dim_cuda_templateItEESt5tupleIJNSH_6TensorESM_SM_EERKSM_lbbbEUlllE0_EEPmJS6_EEE10hipError_tPvRmT3_T4_T5_T6_T7_T9_mT8_P12ihipStream_tbDpT10_ENKUlT_T0_E_clISt17integral_constantIbLb1EES1C_EEDaS17_S18_EUlS17_E_NS1_11comp_targetILNS1_3genE2ELNS1_11target_archE906ELNS1_3gpuE6ELNS1_3repE0EEENS1_30default_config_static_selectorELNS0_4arch9wavefront6targetE0EEEvT1_,comdat
.Lfunc_end1431:
	.size	_ZN7rocprim17ROCPRIM_400000_NS6detail17trampoline_kernelINS0_14default_configENS1_25partition_config_selectorILNS1_17partition_subalgoE8ElNS0_10empty_typeEbEEZZNS1_14partition_implILS5_8ELb0ES3_jPlPS6_PKS6_NS0_5tupleIJS9_S6_EEENSD_IJSA_SA_EEENS0_18inequality_wrapperIZN2at6native12_GLOBAL__N_124unique_dim_cuda_templateItEESt5tupleIJNSH_6TensorESM_SM_EERKSM_lbbbEUlllE0_EEPmJS6_EEE10hipError_tPvRmT3_T4_T5_T6_T7_T9_mT8_P12ihipStream_tbDpT10_ENKUlT_T0_E_clISt17integral_constantIbLb1EES1C_EEDaS17_S18_EUlS17_E_NS1_11comp_targetILNS1_3genE2ELNS1_11target_archE906ELNS1_3gpuE6ELNS1_3repE0EEENS1_30default_config_static_selectorELNS0_4arch9wavefront6targetE0EEEvT1_, .Lfunc_end1431-_ZN7rocprim17ROCPRIM_400000_NS6detail17trampoline_kernelINS0_14default_configENS1_25partition_config_selectorILNS1_17partition_subalgoE8ElNS0_10empty_typeEbEEZZNS1_14partition_implILS5_8ELb0ES3_jPlPS6_PKS6_NS0_5tupleIJS9_S6_EEENSD_IJSA_SA_EEENS0_18inequality_wrapperIZN2at6native12_GLOBAL__N_124unique_dim_cuda_templateItEESt5tupleIJNSH_6TensorESM_SM_EERKSM_lbbbEUlllE0_EEPmJS6_EEE10hipError_tPvRmT3_T4_T5_T6_T7_T9_mT8_P12ihipStream_tbDpT10_ENKUlT_T0_E_clISt17integral_constantIbLb1EES1C_EEDaS17_S18_EUlS17_E_NS1_11comp_targetILNS1_3genE2ELNS1_11target_archE906ELNS1_3gpuE6ELNS1_3repE0EEENS1_30default_config_static_selectorELNS0_4arch9wavefront6targetE0EEEvT1_
                                        ; -- End function
	.set _ZN7rocprim17ROCPRIM_400000_NS6detail17trampoline_kernelINS0_14default_configENS1_25partition_config_selectorILNS1_17partition_subalgoE8ElNS0_10empty_typeEbEEZZNS1_14partition_implILS5_8ELb0ES3_jPlPS6_PKS6_NS0_5tupleIJS9_S6_EEENSD_IJSA_SA_EEENS0_18inequality_wrapperIZN2at6native12_GLOBAL__N_124unique_dim_cuda_templateItEESt5tupleIJNSH_6TensorESM_SM_EERKSM_lbbbEUlllE0_EEPmJS6_EEE10hipError_tPvRmT3_T4_T5_T6_T7_T9_mT8_P12ihipStream_tbDpT10_ENKUlT_T0_E_clISt17integral_constantIbLb1EES1C_EEDaS17_S18_EUlS17_E_NS1_11comp_targetILNS1_3genE2ELNS1_11target_archE906ELNS1_3gpuE6ELNS1_3repE0EEENS1_30default_config_static_selectorELNS0_4arch9wavefront6targetE0EEEvT1_.num_vgpr, 0
	.set _ZN7rocprim17ROCPRIM_400000_NS6detail17trampoline_kernelINS0_14default_configENS1_25partition_config_selectorILNS1_17partition_subalgoE8ElNS0_10empty_typeEbEEZZNS1_14partition_implILS5_8ELb0ES3_jPlPS6_PKS6_NS0_5tupleIJS9_S6_EEENSD_IJSA_SA_EEENS0_18inequality_wrapperIZN2at6native12_GLOBAL__N_124unique_dim_cuda_templateItEESt5tupleIJNSH_6TensorESM_SM_EERKSM_lbbbEUlllE0_EEPmJS6_EEE10hipError_tPvRmT3_T4_T5_T6_T7_T9_mT8_P12ihipStream_tbDpT10_ENKUlT_T0_E_clISt17integral_constantIbLb1EES1C_EEDaS17_S18_EUlS17_E_NS1_11comp_targetILNS1_3genE2ELNS1_11target_archE906ELNS1_3gpuE6ELNS1_3repE0EEENS1_30default_config_static_selectorELNS0_4arch9wavefront6targetE0EEEvT1_.num_agpr, 0
	.set _ZN7rocprim17ROCPRIM_400000_NS6detail17trampoline_kernelINS0_14default_configENS1_25partition_config_selectorILNS1_17partition_subalgoE8ElNS0_10empty_typeEbEEZZNS1_14partition_implILS5_8ELb0ES3_jPlPS6_PKS6_NS0_5tupleIJS9_S6_EEENSD_IJSA_SA_EEENS0_18inequality_wrapperIZN2at6native12_GLOBAL__N_124unique_dim_cuda_templateItEESt5tupleIJNSH_6TensorESM_SM_EERKSM_lbbbEUlllE0_EEPmJS6_EEE10hipError_tPvRmT3_T4_T5_T6_T7_T9_mT8_P12ihipStream_tbDpT10_ENKUlT_T0_E_clISt17integral_constantIbLb1EES1C_EEDaS17_S18_EUlS17_E_NS1_11comp_targetILNS1_3genE2ELNS1_11target_archE906ELNS1_3gpuE6ELNS1_3repE0EEENS1_30default_config_static_selectorELNS0_4arch9wavefront6targetE0EEEvT1_.numbered_sgpr, 0
	.set _ZN7rocprim17ROCPRIM_400000_NS6detail17trampoline_kernelINS0_14default_configENS1_25partition_config_selectorILNS1_17partition_subalgoE8ElNS0_10empty_typeEbEEZZNS1_14partition_implILS5_8ELb0ES3_jPlPS6_PKS6_NS0_5tupleIJS9_S6_EEENSD_IJSA_SA_EEENS0_18inequality_wrapperIZN2at6native12_GLOBAL__N_124unique_dim_cuda_templateItEESt5tupleIJNSH_6TensorESM_SM_EERKSM_lbbbEUlllE0_EEPmJS6_EEE10hipError_tPvRmT3_T4_T5_T6_T7_T9_mT8_P12ihipStream_tbDpT10_ENKUlT_T0_E_clISt17integral_constantIbLb1EES1C_EEDaS17_S18_EUlS17_E_NS1_11comp_targetILNS1_3genE2ELNS1_11target_archE906ELNS1_3gpuE6ELNS1_3repE0EEENS1_30default_config_static_selectorELNS0_4arch9wavefront6targetE0EEEvT1_.num_named_barrier, 0
	.set _ZN7rocprim17ROCPRIM_400000_NS6detail17trampoline_kernelINS0_14default_configENS1_25partition_config_selectorILNS1_17partition_subalgoE8ElNS0_10empty_typeEbEEZZNS1_14partition_implILS5_8ELb0ES3_jPlPS6_PKS6_NS0_5tupleIJS9_S6_EEENSD_IJSA_SA_EEENS0_18inequality_wrapperIZN2at6native12_GLOBAL__N_124unique_dim_cuda_templateItEESt5tupleIJNSH_6TensorESM_SM_EERKSM_lbbbEUlllE0_EEPmJS6_EEE10hipError_tPvRmT3_T4_T5_T6_T7_T9_mT8_P12ihipStream_tbDpT10_ENKUlT_T0_E_clISt17integral_constantIbLb1EES1C_EEDaS17_S18_EUlS17_E_NS1_11comp_targetILNS1_3genE2ELNS1_11target_archE906ELNS1_3gpuE6ELNS1_3repE0EEENS1_30default_config_static_selectorELNS0_4arch9wavefront6targetE0EEEvT1_.private_seg_size, 0
	.set _ZN7rocprim17ROCPRIM_400000_NS6detail17trampoline_kernelINS0_14default_configENS1_25partition_config_selectorILNS1_17partition_subalgoE8ElNS0_10empty_typeEbEEZZNS1_14partition_implILS5_8ELb0ES3_jPlPS6_PKS6_NS0_5tupleIJS9_S6_EEENSD_IJSA_SA_EEENS0_18inequality_wrapperIZN2at6native12_GLOBAL__N_124unique_dim_cuda_templateItEESt5tupleIJNSH_6TensorESM_SM_EERKSM_lbbbEUlllE0_EEPmJS6_EEE10hipError_tPvRmT3_T4_T5_T6_T7_T9_mT8_P12ihipStream_tbDpT10_ENKUlT_T0_E_clISt17integral_constantIbLb1EES1C_EEDaS17_S18_EUlS17_E_NS1_11comp_targetILNS1_3genE2ELNS1_11target_archE906ELNS1_3gpuE6ELNS1_3repE0EEENS1_30default_config_static_selectorELNS0_4arch9wavefront6targetE0EEEvT1_.uses_vcc, 0
	.set _ZN7rocprim17ROCPRIM_400000_NS6detail17trampoline_kernelINS0_14default_configENS1_25partition_config_selectorILNS1_17partition_subalgoE8ElNS0_10empty_typeEbEEZZNS1_14partition_implILS5_8ELb0ES3_jPlPS6_PKS6_NS0_5tupleIJS9_S6_EEENSD_IJSA_SA_EEENS0_18inequality_wrapperIZN2at6native12_GLOBAL__N_124unique_dim_cuda_templateItEESt5tupleIJNSH_6TensorESM_SM_EERKSM_lbbbEUlllE0_EEPmJS6_EEE10hipError_tPvRmT3_T4_T5_T6_T7_T9_mT8_P12ihipStream_tbDpT10_ENKUlT_T0_E_clISt17integral_constantIbLb1EES1C_EEDaS17_S18_EUlS17_E_NS1_11comp_targetILNS1_3genE2ELNS1_11target_archE906ELNS1_3gpuE6ELNS1_3repE0EEENS1_30default_config_static_selectorELNS0_4arch9wavefront6targetE0EEEvT1_.uses_flat_scratch, 0
	.set _ZN7rocprim17ROCPRIM_400000_NS6detail17trampoline_kernelINS0_14default_configENS1_25partition_config_selectorILNS1_17partition_subalgoE8ElNS0_10empty_typeEbEEZZNS1_14partition_implILS5_8ELb0ES3_jPlPS6_PKS6_NS0_5tupleIJS9_S6_EEENSD_IJSA_SA_EEENS0_18inequality_wrapperIZN2at6native12_GLOBAL__N_124unique_dim_cuda_templateItEESt5tupleIJNSH_6TensorESM_SM_EERKSM_lbbbEUlllE0_EEPmJS6_EEE10hipError_tPvRmT3_T4_T5_T6_T7_T9_mT8_P12ihipStream_tbDpT10_ENKUlT_T0_E_clISt17integral_constantIbLb1EES1C_EEDaS17_S18_EUlS17_E_NS1_11comp_targetILNS1_3genE2ELNS1_11target_archE906ELNS1_3gpuE6ELNS1_3repE0EEENS1_30default_config_static_selectorELNS0_4arch9wavefront6targetE0EEEvT1_.has_dyn_sized_stack, 0
	.set _ZN7rocprim17ROCPRIM_400000_NS6detail17trampoline_kernelINS0_14default_configENS1_25partition_config_selectorILNS1_17partition_subalgoE8ElNS0_10empty_typeEbEEZZNS1_14partition_implILS5_8ELb0ES3_jPlPS6_PKS6_NS0_5tupleIJS9_S6_EEENSD_IJSA_SA_EEENS0_18inequality_wrapperIZN2at6native12_GLOBAL__N_124unique_dim_cuda_templateItEESt5tupleIJNSH_6TensorESM_SM_EERKSM_lbbbEUlllE0_EEPmJS6_EEE10hipError_tPvRmT3_T4_T5_T6_T7_T9_mT8_P12ihipStream_tbDpT10_ENKUlT_T0_E_clISt17integral_constantIbLb1EES1C_EEDaS17_S18_EUlS17_E_NS1_11comp_targetILNS1_3genE2ELNS1_11target_archE906ELNS1_3gpuE6ELNS1_3repE0EEENS1_30default_config_static_selectorELNS0_4arch9wavefront6targetE0EEEvT1_.has_recursion, 0
	.set _ZN7rocprim17ROCPRIM_400000_NS6detail17trampoline_kernelINS0_14default_configENS1_25partition_config_selectorILNS1_17partition_subalgoE8ElNS0_10empty_typeEbEEZZNS1_14partition_implILS5_8ELb0ES3_jPlPS6_PKS6_NS0_5tupleIJS9_S6_EEENSD_IJSA_SA_EEENS0_18inequality_wrapperIZN2at6native12_GLOBAL__N_124unique_dim_cuda_templateItEESt5tupleIJNSH_6TensorESM_SM_EERKSM_lbbbEUlllE0_EEPmJS6_EEE10hipError_tPvRmT3_T4_T5_T6_T7_T9_mT8_P12ihipStream_tbDpT10_ENKUlT_T0_E_clISt17integral_constantIbLb1EES1C_EEDaS17_S18_EUlS17_E_NS1_11comp_targetILNS1_3genE2ELNS1_11target_archE906ELNS1_3gpuE6ELNS1_3repE0EEENS1_30default_config_static_selectorELNS0_4arch9wavefront6targetE0EEEvT1_.has_indirect_call, 0
	.section	.AMDGPU.csdata,"",@progbits
; Kernel info:
; codeLenInByte = 0
; TotalNumSgprs: 0
; NumVgprs: 0
; ScratchSize: 0
; MemoryBound: 0
; FloatMode: 240
; IeeeMode: 1
; LDSByteSize: 0 bytes/workgroup (compile time only)
; SGPRBlocks: 0
; VGPRBlocks: 0
; NumSGPRsForWavesPerEU: 1
; NumVGPRsForWavesPerEU: 1
; NamedBarCnt: 0
; Occupancy: 16
; WaveLimiterHint : 0
; COMPUTE_PGM_RSRC2:SCRATCH_EN: 0
; COMPUTE_PGM_RSRC2:USER_SGPR: 2
; COMPUTE_PGM_RSRC2:TRAP_HANDLER: 0
; COMPUTE_PGM_RSRC2:TGID_X_EN: 1
; COMPUTE_PGM_RSRC2:TGID_Y_EN: 0
; COMPUTE_PGM_RSRC2:TGID_Z_EN: 0
; COMPUTE_PGM_RSRC2:TIDIG_COMP_CNT: 0
	.section	.text._ZN7rocprim17ROCPRIM_400000_NS6detail17trampoline_kernelINS0_14default_configENS1_25partition_config_selectorILNS1_17partition_subalgoE8ElNS0_10empty_typeEbEEZZNS1_14partition_implILS5_8ELb0ES3_jPlPS6_PKS6_NS0_5tupleIJS9_S6_EEENSD_IJSA_SA_EEENS0_18inequality_wrapperIZN2at6native12_GLOBAL__N_124unique_dim_cuda_templateItEESt5tupleIJNSH_6TensorESM_SM_EERKSM_lbbbEUlllE0_EEPmJS6_EEE10hipError_tPvRmT3_T4_T5_T6_T7_T9_mT8_P12ihipStream_tbDpT10_ENKUlT_T0_E_clISt17integral_constantIbLb1EES1C_EEDaS17_S18_EUlS17_E_NS1_11comp_targetILNS1_3genE10ELNS1_11target_archE1200ELNS1_3gpuE4ELNS1_3repE0EEENS1_30default_config_static_selectorELNS0_4arch9wavefront6targetE0EEEvT1_,"axG",@progbits,_ZN7rocprim17ROCPRIM_400000_NS6detail17trampoline_kernelINS0_14default_configENS1_25partition_config_selectorILNS1_17partition_subalgoE8ElNS0_10empty_typeEbEEZZNS1_14partition_implILS5_8ELb0ES3_jPlPS6_PKS6_NS0_5tupleIJS9_S6_EEENSD_IJSA_SA_EEENS0_18inequality_wrapperIZN2at6native12_GLOBAL__N_124unique_dim_cuda_templateItEESt5tupleIJNSH_6TensorESM_SM_EERKSM_lbbbEUlllE0_EEPmJS6_EEE10hipError_tPvRmT3_T4_T5_T6_T7_T9_mT8_P12ihipStream_tbDpT10_ENKUlT_T0_E_clISt17integral_constantIbLb1EES1C_EEDaS17_S18_EUlS17_E_NS1_11comp_targetILNS1_3genE10ELNS1_11target_archE1200ELNS1_3gpuE4ELNS1_3repE0EEENS1_30default_config_static_selectorELNS0_4arch9wavefront6targetE0EEEvT1_,comdat
	.globl	_ZN7rocprim17ROCPRIM_400000_NS6detail17trampoline_kernelINS0_14default_configENS1_25partition_config_selectorILNS1_17partition_subalgoE8ElNS0_10empty_typeEbEEZZNS1_14partition_implILS5_8ELb0ES3_jPlPS6_PKS6_NS0_5tupleIJS9_S6_EEENSD_IJSA_SA_EEENS0_18inequality_wrapperIZN2at6native12_GLOBAL__N_124unique_dim_cuda_templateItEESt5tupleIJNSH_6TensorESM_SM_EERKSM_lbbbEUlllE0_EEPmJS6_EEE10hipError_tPvRmT3_T4_T5_T6_T7_T9_mT8_P12ihipStream_tbDpT10_ENKUlT_T0_E_clISt17integral_constantIbLb1EES1C_EEDaS17_S18_EUlS17_E_NS1_11comp_targetILNS1_3genE10ELNS1_11target_archE1200ELNS1_3gpuE4ELNS1_3repE0EEENS1_30default_config_static_selectorELNS0_4arch9wavefront6targetE0EEEvT1_ ; -- Begin function _ZN7rocprim17ROCPRIM_400000_NS6detail17trampoline_kernelINS0_14default_configENS1_25partition_config_selectorILNS1_17partition_subalgoE8ElNS0_10empty_typeEbEEZZNS1_14partition_implILS5_8ELb0ES3_jPlPS6_PKS6_NS0_5tupleIJS9_S6_EEENSD_IJSA_SA_EEENS0_18inequality_wrapperIZN2at6native12_GLOBAL__N_124unique_dim_cuda_templateItEESt5tupleIJNSH_6TensorESM_SM_EERKSM_lbbbEUlllE0_EEPmJS6_EEE10hipError_tPvRmT3_T4_T5_T6_T7_T9_mT8_P12ihipStream_tbDpT10_ENKUlT_T0_E_clISt17integral_constantIbLb1EES1C_EEDaS17_S18_EUlS17_E_NS1_11comp_targetILNS1_3genE10ELNS1_11target_archE1200ELNS1_3gpuE4ELNS1_3repE0EEENS1_30default_config_static_selectorELNS0_4arch9wavefront6targetE0EEEvT1_
	.p2align	8
	.type	_ZN7rocprim17ROCPRIM_400000_NS6detail17trampoline_kernelINS0_14default_configENS1_25partition_config_selectorILNS1_17partition_subalgoE8ElNS0_10empty_typeEbEEZZNS1_14partition_implILS5_8ELb0ES3_jPlPS6_PKS6_NS0_5tupleIJS9_S6_EEENSD_IJSA_SA_EEENS0_18inequality_wrapperIZN2at6native12_GLOBAL__N_124unique_dim_cuda_templateItEESt5tupleIJNSH_6TensorESM_SM_EERKSM_lbbbEUlllE0_EEPmJS6_EEE10hipError_tPvRmT3_T4_T5_T6_T7_T9_mT8_P12ihipStream_tbDpT10_ENKUlT_T0_E_clISt17integral_constantIbLb1EES1C_EEDaS17_S18_EUlS17_E_NS1_11comp_targetILNS1_3genE10ELNS1_11target_archE1200ELNS1_3gpuE4ELNS1_3repE0EEENS1_30default_config_static_selectorELNS0_4arch9wavefront6targetE0EEEvT1_,@function
_ZN7rocprim17ROCPRIM_400000_NS6detail17trampoline_kernelINS0_14default_configENS1_25partition_config_selectorILNS1_17partition_subalgoE8ElNS0_10empty_typeEbEEZZNS1_14partition_implILS5_8ELb0ES3_jPlPS6_PKS6_NS0_5tupleIJS9_S6_EEENSD_IJSA_SA_EEENS0_18inequality_wrapperIZN2at6native12_GLOBAL__N_124unique_dim_cuda_templateItEESt5tupleIJNSH_6TensorESM_SM_EERKSM_lbbbEUlllE0_EEPmJS6_EEE10hipError_tPvRmT3_T4_T5_T6_T7_T9_mT8_P12ihipStream_tbDpT10_ENKUlT_T0_E_clISt17integral_constantIbLb1EES1C_EEDaS17_S18_EUlS17_E_NS1_11comp_targetILNS1_3genE10ELNS1_11target_archE1200ELNS1_3gpuE4ELNS1_3repE0EEENS1_30default_config_static_selectorELNS0_4arch9wavefront6targetE0EEEvT1_: ; @_ZN7rocprim17ROCPRIM_400000_NS6detail17trampoline_kernelINS0_14default_configENS1_25partition_config_selectorILNS1_17partition_subalgoE8ElNS0_10empty_typeEbEEZZNS1_14partition_implILS5_8ELb0ES3_jPlPS6_PKS6_NS0_5tupleIJS9_S6_EEENSD_IJSA_SA_EEENS0_18inequality_wrapperIZN2at6native12_GLOBAL__N_124unique_dim_cuda_templateItEESt5tupleIJNSH_6TensorESM_SM_EERKSM_lbbbEUlllE0_EEPmJS6_EEE10hipError_tPvRmT3_T4_T5_T6_T7_T9_mT8_P12ihipStream_tbDpT10_ENKUlT_T0_E_clISt17integral_constantIbLb1EES1C_EEDaS17_S18_EUlS17_E_NS1_11comp_targetILNS1_3genE10ELNS1_11target_archE1200ELNS1_3gpuE4ELNS1_3repE0EEENS1_30default_config_static_selectorELNS0_4arch9wavefront6targetE0EEEvT1_
; %bb.0:
	.section	.rodata,"a",@progbits
	.p2align	6, 0x0
	.amdhsa_kernel _ZN7rocprim17ROCPRIM_400000_NS6detail17trampoline_kernelINS0_14default_configENS1_25partition_config_selectorILNS1_17partition_subalgoE8ElNS0_10empty_typeEbEEZZNS1_14partition_implILS5_8ELb0ES3_jPlPS6_PKS6_NS0_5tupleIJS9_S6_EEENSD_IJSA_SA_EEENS0_18inequality_wrapperIZN2at6native12_GLOBAL__N_124unique_dim_cuda_templateItEESt5tupleIJNSH_6TensorESM_SM_EERKSM_lbbbEUlllE0_EEPmJS6_EEE10hipError_tPvRmT3_T4_T5_T6_T7_T9_mT8_P12ihipStream_tbDpT10_ENKUlT_T0_E_clISt17integral_constantIbLb1EES1C_EEDaS17_S18_EUlS17_E_NS1_11comp_targetILNS1_3genE10ELNS1_11target_archE1200ELNS1_3gpuE4ELNS1_3repE0EEENS1_30default_config_static_selectorELNS0_4arch9wavefront6targetE0EEEvT1_
		.amdhsa_group_segment_fixed_size 0
		.amdhsa_private_segment_fixed_size 0
		.amdhsa_kernarg_size 136
		.amdhsa_user_sgpr_count 2
		.amdhsa_user_sgpr_dispatch_ptr 0
		.amdhsa_user_sgpr_queue_ptr 0
		.amdhsa_user_sgpr_kernarg_segment_ptr 1
		.amdhsa_user_sgpr_dispatch_id 0
		.amdhsa_user_sgpr_kernarg_preload_length 0
		.amdhsa_user_sgpr_kernarg_preload_offset 0
		.amdhsa_user_sgpr_private_segment_size 0
		.amdhsa_wavefront_size32 1
		.amdhsa_uses_dynamic_stack 0
		.amdhsa_enable_private_segment 0
		.amdhsa_system_sgpr_workgroup_id_x 1
		.amdhsa_system_sgpr_workgroup_id_y 0
		.amdhsa_system_sgpr_workgroup_id_z 0
		.amdhsa_system_sgpr_workgroup_info 0
		.amdhsa_system_vgpr_workitem_id 0
		.amdhsa_next_free_vgpr 1
		.amdhsa_next_free_sgpr 1
		.amdhsa_named_barrier_count 0
		.amdhsa_reserve_vcc 0
		.amdhsa_float_round_mode_32 0
		.amdhsa_float_round_mode_16_64 0
		.amdhsa_float_denorm_mode_32 3
		.amdhsa_float_denorm_mode_16_64 3
		.amdhsa_fp16_overflow 0
		.amdhsa_memory_ordered 1
		.amdhsa_forward_progress 1
		.amdhsa_inst_pref_size 0
		.amdhsa_round_robin_scheduling 0
		.amdhsa_exception_fp_ieee_invalid_op 0
		.amdhsa_exception_fp_denorm_src 0
		.amdhsa_exception_fp_ieee_div_zero 0
		.amdhsa_exception_fp_ieee_overflow 0
		.amdhsa_exception_fp_ieee_underflow 0
		.amdhsa_exception_fp_ieee_inexact 0
		.amdhsa_exception_int_div_zero 0
	.end_amdhsa_kernel
	.section	.text._ZN7rocprim17ROCPRIM_400000_NS6detail17trampoline_kernelINS0_14default_configENS1_25partition_config_selectorILNS1_17partition_subalgoE8ElNS0_10empty_typeEbEEZZNS1_14partition_implILS5_8ELb0ES3_jPlPS6_PKS6_NS0_5tupleIJS9_S6_EEENSD_IJSA_SA_EEENS0_18inequality_wrapperIZN2at6native12_GLOBAL__N_124unique_dim_cuda_templateItEESt5tupleIJNSH_6TensorESM_SM_EERKSM_lbbbEUlllE0_EEPmJS6_EEE10hipError_tPvRmT3_T4_T5_T6_T7_T9_mT8_P12ihipStream_tbDpT10_ENKUlT_T0_E_clISt17integral_constantIbLb1EES1C_EEDaS17_S18_EUlS17_E_NS1_11comp_targetILNS1_3genE10ELNS1_11target_archE1200ELNS1_3gpuE4ELNS1_3repE0EEENS1_30default_config_static_selectorELNS0_4arch9wavefront6targetE0EEEvT1_,"axG",@progbits,_ZN7rocprim17ROCPRIM_400000_NS6detail17trampoline_kernelINS0_14default_configENS1_25partition_config_selectorILNS1_17partition_subalgoE8ElNS0_10empty_typeEbEEZZNS1_14partition_implILS5_8ELb0ES3_jPlPS6_PKS6_NS0_5tupleIJS9_S6_EEENSD_IJSA_SA_EEENS0_18inequality_wrapperIZN2at6native12_GLOBAL__N_124unique_dim_cuda_templateItEESt5tupleIJNSH_6TensorESM_SM_EERKSM_lbbbEUlllE0_EEPmJS6_EEE10hipError_tPvRmT3_T4_T5_T6_T7_T9_mT8_P12ihipStream_tbDpT10_ENKUlT_T0_E_clISt17integral_constantIbLb1EES1C_EEDaS17_S18_EUlS17_E_NS1_11comp_targetILNS1_3genE10ELNS1_11target_archE1200ELNS1_3gpuE4ELNS1_3repE0EEENS1_30default_config_static_selectorELNS0_4arch9wavefront6targetE0EEEvT1_,comdat
.Lfunc_end1432:
	.size	_ZN7rocprim17ROCPRIM_400000_NS6detail17trampoline_kernelINS0_14default_configENS1_25partition_config_selectorILNS1_17partition_subalgoE8ElNS0_10empty_typeEbEEZZNS1_14partition_implILS5_8ELb0ES3_jPlPS6_PKS6_NS0_5tupleIJS9_S6_EEENSD_IJSA_SA_EEENS0_18inequality_wrapperIZN2at6native12_GLOBAL__N_124unique_dim_cuda_templateItEESt5tupleIJNSH_6TensorESM_SM_EERKSM_lbbbEUlllE0_EEPmJS6_EEE10hipError_tPvRmT3_T4_T5_T6_T7_T9_mT8_P12ihipStream_tbDpT10_ENKUlT_T0_E_clISt17integral_constantIbLb1EES1C_EEDaS17_S18_EUlS17_E_NS1_11comp_targetILNS1_3genE10ELNS1_11target_archE1200ELNS1_3gpuE4ELNS1_3repE0EEENS1_30default_config_static_selectorELNS0_4arch9wavefront6targetE0EEEvT1_, .Lfunc_end1432-_ZN7rocprim17ROCPRIM_400000_NS6detail17trampoline_kernelINS0_14default_configENS1_25partition_config_selectorILNS1_17partition_subalgoE8ElNS0_10empty_typeEbEEZZNS1_14partition_implILS5_8ELb0ES3_jPlPS6_PKS6_NS0_5tupleIJS9_S6_EEENSD_IJSA_SA_EEENS0_18inequality_wrapperIZN2at6native12_GLOBAL__N_124unique_dim_cuda_templateItEESt5tupleIJNSH_6TensorESM_SM_EERKSM_lbbbEUlllE0_EEPmJS6_EEE10hipError_tPvRmT3_T4_T5_T6_T7_T9_mT8_P12ihipStream_tbDpT10_ENKUlT_T0_E_clISt17integral_constantIbLb1EES1C_EEDaS17_S18_EUlS17_E_NS1_11comp_targetILNS1_3genE10ELNS1_11target_archE1200ELNS1_3gpuE4ELNS1_3repE0EEENS1_30default_config_static_selectorELNS0_4arch9wavefront6targetE0EEEvT1_
                                        ; -- End function
	.set _ZN7rocprim17ROCPRIM_400000_NS6detail17trampoline_kernelINS0_14default_configENS1_25partition_config_selectorILNS1_17partition_subalgoE8ElNS0_10empty_typeEbEEZZNS1_14partition_implILS5_8ELb0ES3_jPlPS6_PKS6_NS0_5tupleIJS9_S6_EEENSD_IJSA_SA_EEENS0_18inequality_wrapperIZN2at6native12_GLOBAL__N_124unique_dim_cuda_templateItEESt5tupleIJNSH_6TensorESM_SM_EERKSM_lbbbEUlllE0_EEPmJS6_EEE10hipError_tPvRmT3_T4_T5_T6_T7_T9_mT8_P12ihipStream_tbDpT10_ENKUlT_T0_E_clISt17integral_constantIbLb1EES1C_EEDaS17_S18_EUlS17_E_NS1_11comp_targetILNS1_3genE10ELNS1_11target_archE1200ELNS1_3gpuE4ELNS1_3repE0EEENS1_30default_config_static_selectorELNS0_4arch9wavefront6targetE0EEEvT1_.num_vgpr, 0
	.set _ZN7rocprim17ROCPRIM_400000_NS6detail17trampoline_kernelINS0_14default_configENS1_25partition_config_selectorILNS1_17partition_subalgoE8ElNS0_10empty_typeEbEEZZNS1_14partition_implILS5_8ELb0ES3_jPlPS6_PKS6_NS0_5tupleIJS9_S6_EEENSD_IJSA_SA_EEENS0_18inequality_wrapperIZN2at6native12_GLOBAL__N_124unique_dim_cuda_templateItEESt5tupleIJNSH_6TensorESM_SM_EERKSM_lbbbEUlllE0_EEPmJS6_EEE10hipError_tPvRmT3_T4_T5_T6_T7_T9_mT8_P12ihipStream_tbDpT10_ENKUlT_T0_E_clISt17integral_constantIbLb1EES1C_EEDaS17_S18_EUlS17_E_NS1_11comp_targetILNS1_3genE10ELNS1_11target_archE1200ELNS1_3gpuE4ELNS1_3repE0EEENS1_30default_config_static_selectorELNS0_4arch9wavefront6targetE0EEEvT1_.num_agpr, 0
	.set _ZN7rocprim17ROCPRIM_400000_NS6detail17trampoline_kernelINS0_14default_configENS1_25partition_config_selectorILNS1_17partition_subalgoE8ElNS0_10empty_typeEbEEZZNS1_14partition_implILS5_8ELb0ES3_jPlPS6_PKS6_NS0_5tupleIJS9_S6_EEENSD_IJSA_SA_EEENS0_18inequality_wrapperIZN2at6native12_GLOBAL__N_124unique_dim_cuda_templateItEESt5tupleIJNSH_6TensorESM_SM_EERKSM_lbbbEUlllE0_EEPmJS6_EEE10hipError_tPvRmT3_T4_T5_T6_T7_T9_mT8_P12ihipStream_tbDpT10_ENKUlT_T0_E_clISt17integral_constantIbLb1EES1C_EEDaS17_S18_EUlS17_E_NS1_11comp_targetILNS1_3genE10ELNS1_11target_archE1200ELNS1_3gpuE4ELNS1_3repE0EEENS1_30default_config_static_selectorELNS0_4arch9wavefront6targetE0EEEvT1_.numbered_sgpr, 0
	.set _ZN7rocprim17ROCPRIM_400000_NS6detail17trampoline_kernelINS0_14default_configENS1_25partition_config_selectorILNS1_17partition_subalgoE8ElNS0_10empty_typeEbEEZZNS1_14partition_implILS5_8ELb0ES3_jPlPS6_PKS6_NS0_5tupleIJS9_S6_EEENSD_IJSA_SA_EEENS0_18inequality_wrapperIZN2at6native12_GLOBAL__N_124unique_dim_cuda_templateItEESt5tupleIJNSH_6TensorESM_SM_EERKSM_lbbbEUlllE0_EEPmJS6_EEE10hipError_tPvRmT3_T4_T5_T6_T7_T9_mT8_P12ihipStream_tbDpT10_ENKUlT_T0_E_clISt17integral_constantIbLb1EES1C_EEDaS17_S18_EUlS17_E_NS1_11comp_targetILNS1_3genE10ELNS1_11target_archE1200ELNS1_3gpuE4ELNS1_3repE0EEENS1_30default_config_static_selectorELNS0_4arch9wavefront6targetE0EEEvT1_.num_named_barrier, 0
	.set _ZN7rocprim17ROCPRIM_400000_NS6detail17trampoline_kernelINS0_14default_configENS1_25partition_config_selectorILNS1_17partition_subalgoE8ElNS0_10empty_typeEbEEZZNS1_14partition_implILS5_8ELb0ES3_jPlPS6_PKS6_NS0_5tupleIJS9_S6_EEENSD_IJSA_SA_EEENS0_18inequality_wrapperIZN2at6native12_GLOBAL__N_124unique_dim_cuda_templateItEESt5tupleIJNSH_6TensorESM_SM_EERKSM_lbbbEUlllE0_EEPmJS6_EEE10hipError_tPvRmT3_T4_T5_T6_T7_T9_mT8_P12ihipStream_tbDpT10_ENKUlT_T0_E_clISt17integral_constantIbLb1EES1C_EEDaS17_S18_EUlS17_E_NS1_11comp_targetILNS1_3genE10ELNS1_11target_archE1200ELNS1_3gpuE4ELNS1_3repE0EEENS1_30default_config_static_selectorELNS0_4arch9wavefront6targetE0EEEvT1_.private_seg_size, 0
	.set _ZN7rocprim17ROCPRIM_400000_NS6detail17trampoline_kernelINS0_14default_configENS1_25partition_config_selectorILNS1_17partition_subalgoE8ElNS0_10empty_typeEbEEZZNS1_14partition_implILS5_8ELb0ES3_jPlPS6_PKS6_NS0_5tupleIJS9_S6_EEENSD_IJSA_SA_EEENS0_18inequality_wrapperIZN2at6native12_GLOBAL__N_124unique_dim_cuda_templateItEESt5tupleIJNSH_6TensorESM_SM_EERKSM_lbbbEUlllE0_EEPmJS6_EEE10hipError_tPvRmT3_T4_T5_T6_T7_T9_mT8_P12ihipStream_tbDpT10_ENKUlT_T0_E_clISt17integral_constantIbLb1EES1C_EEDaS17_S18_EUlS17_E_NS1_11comp_targetILNS1_3genE10ELNS1_11target_archE1200ELNS1_3gpuE4ELNS1_3repE0EEENS1_30default_config_static_selectorELNS0_4arch9wavefront6targetE0EEEvT1_.uses_vcc, 0
	.set _ZN7rocprim17ROCPRIM_400000_NS6detail17trampoline_kernelINS0_14default_configENS1_25partition_config_selectorILNS1_17partition_subalgoE8ElNS0_10empty_typeEbEEZZNS1_14partition_implILS5_8ELb0ES3_jPlPS6_PKS6_NS0_5tupleIJS9_S6_EEENSD_IJSA_SA_EEENS0_18inequality_wrapperIZN2at6native12_GLOBAL__N_124unique_dim_cuda_templateItEESt5tupleIJNSH_6TensorESM_SM_EERKSM_lbbbEUlllE0_EEPmJS6_EEE10hipError_tPvRmT3_T4_T5_T6_T7_T9_mT8_P12ihipStream_tbDpT10_ENKUlT_T0_E_clISt17integral_constantIbLb1EES1C_EEDaS17_S18_EUlS17_E_NS1_11comp_targetILNS1_3genE10ELNS1_11target_archE1200ELNS1_3gpuE4ELNS1_3repE0EEENS1_30default_config_static_selectorELNS0_4arch9wavefront6targetE0EEEvT1_.uses_flat_scratch, 0
	.set _ZN7rocprim17ROCPRIM_400000_NS6detail17trampoline_kernelINS0_14default_configENS1_25partition_config_selectorILNS1_17partition_subalgoE8ElNS0_10empty_typeEbEEZZNS1_14partition_implILS5_8ELb0ES3_jPlPS6_PKS6_NS0_5tupleIJS9_S6_EEENSD_IJSA_SA_EEENS0_18inequality_wrapperIZN2at6native12_GLOBAL__N_124unique_dim_cuda_templateItEESt5tupleIJNSH_6TensorESM_SM_EERKSM_lbbbEUlllE0_EEPmJS6_EEE10hipError_tPvRmT3_T4_T5_T6_T7_T9_mT8_P12ihipStream_tbDpT10_ENKUlT_T0_E_clISt17integral_constantIbLb1EES1C_EEDaS17_S18_EUlS17_E_NS1_11comp_targetILNS1_3genE10ELNS1_11target_archE1200ELNS1_3gpuE4ELNS1_3repE0EEENS1_30default_config_static_selectorELNS0_4arch9wavefront6targetE0EEEvT1_.has_dyn_sized_stack, 0
	.set _ZN7rocprim17ROCPRIM_400000_NS6detail17trampoline_kernelINS0_14default_configENS1_25partition_config_selectorILNS1_17partition_subalgoE8ElNS0_10empty_typeEbEEZZNS1_14partition_implILS5_8ELb0ES3_jPlPS6_PKS6_NS0_5tupleIJS9_S6_EEENSD_IJSA_SA_EEENS0_18inequality_wrapperIZN2at6native12_GLOBAL__N_124unique_dim_cuda_templateItEESt5tupleIJNSH_6TensorESM_SM_EERKSM_lbbbEUlllE0_EEPmJS6_EEE10hipError_tPvRmT3_T4_T5_T6_T7_T9_mT8_P12ihipStream_tbDpT10_ENKUlT_T0_E_clISt17integral_constantIbLb1EES1C_EEDaS17_S18_EUlS17_E_NS1_11comp_targetILNS1_3genE10ELNS1_11target_archE1200ELNS1_3gpuE4ELNS1_3repE0EEENS1_30default_config_static_selectorELNS0_4arch9wavefront6targetE0EEEvT1_.has_recursion, 0
	.set _ZN7rocprim17ROCPRIM_400000_NS6detail17trampoline_kernelINS0_14default_configENS1_25partition_config_selectorILNS1_17partition_subalgoE8ElNS0_10empty_typeEbEEZZNS1_14partition_implILS5_8ELb0ES3_jPlPS6_PKS6_NS0_5tupleIJS9_S6_EEENSD_IJSA_SA_EEENS0_18inequality_wrapperIZN2at6native12_GLOBAL__N_124unique_dim_cuda_templateItEESt5tupleIJNSH_6TensorESM_SM_EERKSM_lbbbEUlllE0_EEPmJS6_EEE10hipError_tPvRmT3_T4_T5_T6_T7_T9_mT8_P12ihipStream_tbDpT10_ENKUlT_T0_E_clISt17integral_constantIbLb1EES1C_EEDaS17_S18_EUlS17_E_NS1_11comp_targetILNS1_3genE10ELNS1_11target_archE1200ELNS1_3gpuE4ELNS1_3repE0EEENS1_30default_config_static_selectorELNS0_4arch9wavefront6targetE0EEEvT1_.has_indirect_call, 0
	.section	.AMDGPU.csdata,"",@progbits
; Kernel info:
; codeLenInByte = 0
; TotalNumSgprs: 0
; NumVgprs: 0
; ScratchSize: 0
; MemoryBound: 0
; FloatMode: 240
; IeeeMode: 1
; LDSByteSize: 0 bytes/workgroup (compile time only)
; SGPRBlocks: 0
; VGPRBlocks: 0
; NumSGPRsForWavesPerEU: 1
; NumVGPRsForWavesPerEU: 1
; NamedBarCnt: 0
; Occupancy: 16
; WaveLimiterHint : 0
; COMPUTE_PGM_RSRC2:SCRATCH_EN: 0
; COMPUTE_PGM_RSRC2:USER_SGPR: 2
; COMPUTE_PGM_RSRC2:TRAP_HANDLER: 0
; COMPUTE_PGM_RSRC2:TGID_X_EN: 1
; COMPUTE_PGM_RSRC2:TGID_Y_EN: 0
; COMPUTE_PGM_RSRC2:TGID_Z_EN: 0
; COMPUTE_PGM_RSRC2:TIDIG_COMP_CNT: 0
	.section	.text._ZN7rocprim17ROCPRIM_400000_NS6detail17trampoline_kernelINS0_14default_configENS1_25partition_config_selectorILNS1_17partition_subalgoE8ElNS0_10empty_typeEbEEZZNS1_14partition_implILS5_8ELb0ES3_jPlPS6_PKS6_NS0_5tupleIJS9_S6_EEENSD_IJSA_SA_EEENS0_18inequality_wrapperIZN2at6native12_GLOBAL__N_124unique_dim_cuda_templateItEESt5tupleIJNSH_6TensorESM_SM_EERKSM_lbbbEUlllE0_EEPmJS6_EEE10hipError_tPvRmT3_T4_T5_T6_T7_T9_mT8_P12ihipStream_tbDpT10_ENKUlT_T0_E_clISt17integral_constantIbLb1EES1C_EEDaS17_S18_EUlS17_E_NS1_11comp_targetILNS1_3genE9ELNS1_11target_archE1100ELNS1_3gpuE3ELNS1_3repE0EEENS1_30default_config_static_selectorELNS0_4arch9wavefront6targetE0EEEvT1_,"axG",@progbits,_ZN7rocprim17ROCPRIM_400000_NS6detail17trampoline_kernelINS0_14default_configENS1_25partition_config_selectorILNS1_17partition_subalgoE8ElNS0_10empty_typeEbEEZZNS1_14partition_implILS5_8ELb0ES3_jPlPS6_PKS6_NS0_5tupleIJS9_S6_EEENSD_IJSA_SA_EEENS0_18inequality_wrapperIZN2at6native12_GLOBAL__N_124unique_dim_cuda_templateItEESt5tupleIJNSH_6TensorESM_SM_EERKSM_lbbbEUlllE0_EEPmJS6_EEE10hipError_tPvRmT3_T4_T5_T6_T7_T9_mT8_P12ihipStream_tbDpT10_ENKUlT_T0_E_clISt17integral_constantIbLb1EES1C_EEDaS17_S18_EUlS17_E_NS1_11comp_targetILNS1_3genE9ELNS1_11target_archE1100ELNS1_3gpuE3ELNS1_3repE0EEENS1_30default_config_static_selectorELNS0_4arch9wavefront6targetE0EEEvT1_,comdat
	.globl	_ZN7rocprim17ROCPRIM_400000_NS6detail17trampoline_kernelINS0_14default_configENS1_25partition_config_selectorILNS1_17partition_subalgoE8ElNS0_10empty_typeEbEEZZNS1_14partition_implILS5_8ELb0ES3_jPlPS6_PKS6_NS0_5tupleIJS9_S6_EEENSD_IJSA_SA_EEENS0_18inequality_wrapperIZN2at6native12_GLOBAL__N_124unique_dim_cuda_templateItEESt5tupleIJNSH_6TensorESM_SM_EERKSM_lbbbEUlllE0_EEPmJS6_EEE10hipError_tPvRmT3_T4_T5_T6_T7_T9_mT8_P12ihipStream_tbDpT10_ENKUlT_T0_E_clISt17integral_constantIbLb1EES1C_EEDaS17_S18_EUlS17_E_NS1_11comp_targetILNS1_3genE9ELNS1_11target_archE1100ELNS1_3gpuE3ELNS1_3repE0EEENS1_30default_config_static_selectorELNS0_4arch9wavefront6targetE0EEEvT1_ ; -- Begin function _ZN7rocprim17ROCPRIM_400000_NS6detail17trampoline_kernelINS0_14default_configENS1_25partition_config_selectorILNS1_17partition_subalgoE8ElNS0_10empty_typeEbEEZZNS1_14partition_implILS5_8ELb0ES3_jPlPS6_PKS6_NS0_5tupleIJS9_S6_EEENSD_IJSA_SA_EEENS0_18inequality_wrapperIZN2at6native12_GLOBAL__N_124unique_dim_cuda_templateItEESt5tupleIJNSH_6TensorESM_SM_EERKSM_lbbbEUlllE0_EEPmJS6_EEE10hipError_tPvRmT3_T4_T5_T6_T7_T9_mT8_P12ihipStream_tbDpT10_ENKUlT_T0_E_clISt17integral_constantIbLb1EES1C_EEDaS17_S18_EUlS17_E_NS1_11comp_targetILNS1_3genE9ELNS1_11target_archE1100ELNS1_3gpuE3ELNS1_3repE0EEENS1_30default_config_static_selectorELNS0_4arch9wavefront6targetE0EEEvT1_
	.p2align	8
	.type	_ZN7rocprim17ROCPRIM_400000_NS6detail17trampoline_kernelINS0_14default_configENS1_25partition_config_selectorILNS1_17partition_subalgoE8ElNS0_10empty_typeEbEEZZNS1_14partition_implILS5_8ELb0ES3_jPlPS6_PKS6_NS0_5tupleIJS9_S6_EEENSD_IJSA_SA_EEENS0_18inequality_wrapperIZN2at6native12_GLOBAL__N_124unique_dim_cuda_templateItEESt5tupleIJNSH_6TensorESM_SM_EERKSM_lbbbEUlllE0_EEPmJS6_EEE10hipError_tPvRmT3_T4_T5_T6_T7_T9_mT8_P12ihipStream_tbDpT10_ENKUlT_T0_E_clISt17integral_constantIbLb1EES1C_EEDaS17_S18_EUlS17_E_NS1_11comp_targetILNS1_3genE9ELNS1_11target_archE1100ELNS1_3gpuE3ELNS1_3repE0EEENS1_30default_config_static_selectorELNS0_4arch9wavefront6targetE0EEEvT1_,@function
_ZN7rocprim17ROCPRIM_400000_NS6detail17trampoline_kernelINS0_14default_configENS1_25partition_config_selectorILNS1_17partition_subalgoE8ElNS0_10empty_typeEbEEZZNS1_14partition_implILS5_8ELb0ES3_jPlPS6_PKS6_NS0_5tupleIJS9_S6_EEENSD_IJSA_SA_EEENS0_18inequality_wrapperIZN2at6native12_GLOBAL__N_124unique_dim_cuda_templateItEESt5tupleIJNSH_6TensorESM_SM_EERKSM_lbbbEUlllE0_EEPmJS6_EEE10hipError_tPvRmT3_T4_T5_T6_T7_T9_mT8_P12ihipStream_tbDpT10_ENKUlT_T0_E_clISt17integral_constantIbLb1EES1C_EEDaS17_S18_EUlS17_E_NS1_11comp_targetILNS1_3genE9ELNS1_11target_archE1100ELNS1_3gpuE3ELNS1_3repE0EEENS1_30default_config_static_selectorELNS0_4arch9wavefront6targetE0EEEvT1_: ; @_ZN7rocprim17ROCPRIM_400000_NS6detail17trampoline_kernelINS0_14default_configENS1_25partition_config_selectorILNS1_17partition_subalgoE8ElNS0_10empty_typeEbEEZZNS1_14partition_implILS5_8ELb0ES3_jPlPS6_PKS6_NS0_5tupleIJS9_S6_EEENSD_IJSA_SA_EEENS0_18inequality_wrapperIZN2at6native12_GLOBAL__N_124unique_dim_cuda_templateItEESt5tupleIJNSH_6TensorESM_SM_EERKSM_lbbbEUlllE0_EEPmJS6_EEE10hipError_tPvRmT3_T4_T5_T6_T7_T9_mT8_P12ihipStream_tbDpT10_ENKUlT_T0_E_clISt17integral_constantIbLb1EES1C_EEDaS17_S18_EUlS17_E_NS1_11comp_targetILNS1_3genE9ELNS1_11target_archE1100ELNS1_3gpuE3ELNS1_3repE0EEENS1_30default_config_static_selectorELNS0_4arch9wavefront6targetE0EEEvT1_
; %bb.0:
	.section	.rodata,"a",@progbits
	.p2align	6, 0x0
	.amdhsa_kernel _ZN7rocprim17ROCPRIM_400000_NS6detail17trampoline_kernelINS0_14default_configENS1_25partition_config_selectorILNS1_17partition_subalgoE8ElNS0_10empty_typeEbEEZZNS1_14partition_implILS5_8ELb0ES3_jPlPS6_PKS6_NS0_5tupleIJS9_S6_EEENSD_IJSA_SA_EEENS0_18inequality_wrapperIZN2at6native12_GLOBAL__N_124unique_dim_cuda_templateItEESt5tupleIJNSH_6TensorESM_SM_EERKSM_lbbbEUlllE0_EEPmJS6_EEE10hipError_tPvRmT3_T4_T5_T6_T7_T9_mT8_P12ihipStream_tbDpT10_ENKUlT_T0_E_clISt17integral_constantIbLb1EES1C_EEDaS17_S18_EUlS17_E_NS1_11comp_targetILNS1_3genE9ELNS1_11target_archE1100ELNS1_3gpuE3ELNS1_3repE0EEENS1_30default_config_static_selectorELNS0_4arch9wavefront6targetE0EEEvT1_
		.amdhsa_group_segment_fixed_size 0
		.amdhsa_private_segment_fixed_size 0
		.amdhsa_kernarg_size 136
		.amdhsa_user_sgpr_count 2
		.amdhsa_user_sgpr_dispatch_ptr 0
		.amdhsa_user_sgpr_queue_ptr 0
		.amdhsa_user_sgpr_kernarg_segment_ptr 1
		.amdhsa_user_sgpr_dispatch_id 0
		.amdhsa_user_sgpr_kernarg_preload_length 0
		.amdhsa_user_sgpr_kernarg_preload_offset 0
		.amdhsa_user_sgpr_private_segment_size 0
		.amdhsa_wavefront_size32 1
		.amdhsa_uses_dynamic_stack 0
		.amdhsa_enable_private_segment 0
		.amdhsa_system_sgpr_workgroup_id_x 1
		.amdhsa_system_sgpr_workgroup_id_y 0
		.amdhsa_system_sgpr_workgroup_id_z 0
		.amdhsa_system_sgpr_workgroup_info 0
		.amdhsa_system_vgpr_workitem_id 0
		.amdhsa_next_free_vgpr 1
		.amdhsa_next_free_sgpr 1
		.amdhsa_named_barrier_count 0
		.amdhsa_reserve_vcc 0
		.amdhsa_float_round_mode_32 0
		.amdhsa_float_round_mode_16_64 0
		.amdhsa_float_denorm_mode_32 3
		.amdhsa_float_denorm_mode_16_64 3
		.amdhsa_fp16_overflow 0
		.amdhsa_memory_ordered 1
		.amdhsa_forward_progress 1
		.amdhsa_inst_pref_size 0
		.amdhsa_round_robin_scheduling 0
		.amdhsa_exception_fp_ieee_invalid_op 0
		.amdhsa_exception_fp_denorm_src 0
		.amdhsa_exception_fp_ieee_div_zero 0
		.amdhsa_exception_fp_ieee_overflow 0
		.amdhsa_exception_fp_ieee_underflow 0
		.amdhsa_exception_fp_ieee_inexact 0
		.amdhsa_exception_int_div_zero 0
	.end_amdhsa_kernel
	.section	.text._ZN7rocprim17ROCPRIM_400000_NS6detail17trampoline_kernelINS0_14default_configENS1_25partition_config_selectorILNS1_17partition_subalgoE8ElNS0_10empty_typeEbEEZZNS1_14partition_implILS5_8ELb0ES3_jPlPS6_PKS6_NS0_5tupleIJS9_S6_EEENSD_IJSA_SA_EEENS0_18inequality_wrapperIZN2at6native12_GLOBAL__N_124unique_dim_cuda_templateItEESt5tupleIJNSH_6TensorESM_SM_EERKSM_lbbbEUlllE0_EEPmJS6_EEE10hipError_tPvRmT3_T4_T5_T6_T7_T9_mT8_P12ihipStream_tbDpT10_ENKUlT_T0_E_clISt17integral_constantIbLb1EES1C_EEDaS17_S18_EUlS17_E_NS1_11comp_targetILNS1_3genE9ELNS1_11target_archE1100ELNS1_3gpuE3ELNS1_3repE0EEENS1_30default_config_static_selectorELNS0_4arch9wavefront6targetE0EEEvT1_,"axG",@progbits,_ZN7rocprim17ROCPRIM_400000_NS6detail17trampoline_kernelINS0_14default_configENS1_25partition_config_selectorILNS1_17partition_subalgoE8ElNS0_10empty_typeEbEEZZNS1_14partition_implILS5_8ELb0ES3_jPlPS6_PKS6_NS0_5tupleIJS9_S6_EEENSD_IJSA_SA_EEENS0_18inequality_wrapperIZN2at6native12_GLOBAL__N_124unique_dim_cuda_templateItEESt5tupleIJNSH_6TensorESM_SM_EERKSM_lbbbEUlllE0_EEPmJS6_EEE10hipError_tPvRmT3_T4_T5_T6_T7_T9_mT8_P12ihipStream_tbDpT10_ENKUlT_T0_E_clISt17integral_constantIbLb1EES1C_EEDaS17_S18_EUlS17_E_NS1_11comp_targetILNS1_3genE9ELNS1_11target_archE1100ELNS1_3gpuE3ELNS1_3repE0EEENS1_30default_config_static_selectorELNS0_4arch9wavefront6targetE0EEEvT1_,comdat
.Lfunc_end1433:
	.size	_ZN7rocprim17ROCPRIM_400000_NS6detail17trampoline_kernelINS0_14default_configENS1_25partition_config_selectorILNS1_17partition_subalgoE8ElNS0_10empty_typeEbEEZZNS1_14partition_implILS5_8ELb0ES3_jPlPS6_PKS6_NS0_5tupleIJS9_S6_EEENSD_IJSA_SA_EEENS0_18inequality_wrapperIZN2at6native12_GLOBAL__N_124unique_dim_cuda_templateItEESt5tupleIJNSH_6TensorESM_SM_EERKSM_lbbbEUlllE0_EEPmJS6_EEE10hipError_tPvRmT3_T4_T5_T6_T7_T9_mT8_P12ihipStream_tbDpT10_ENKUlT_T0_E_clISt17integral_constantIbLb1EES1C_EEDaS17_S18_EUlS17_E_NS1_11comp_targetILNS1_3genE9ELNS1_11target_archE1100ELNS1_3gpuE3ELNS1_3repE0EEENS1_30default_config_static_selectorELNS0_4arch9wavefront6targetE0EEEvT1_, .Lfunc_end1433-_ZN7rocprim17ROCPRIM_400000_NS6detail17trampoline_kernelINS0_14default_configENS1_25partition_config_selectorILNS1_17partition_subalgoE8ElNS0_10empty_typeEbEEZZNS1_14partition_implILS5_8ELb0ES3_jPlPS6_PKS6_NS0_5tupleIJS9_S6_EEENSD_IJSA_SA_EEENS0_18inequality_wrapperIZN2at6native12_GLOBAL__N_124unique_dim_cuda_templateItEESt5tupleIJNSH_6TensorESM_SM_EERKSM_lbbbEUlllE0_EEPmJS6_EEE10hipError_tPvRmT3_T4_T5_T6_T7_T9_mT8_P12ihipStream_tbDpT10_ENKUlT_T0_E_clISt17integral_constantIbLb1EES1C_EEDaS17_S18_EUlS17_E_NS1_11comp_targetILNS1_3genE9ELNS1_11target_archE1100ELNS1_3gpuE3ELNS1_3repE0EEENS1_30default_config_static_selectorELNS0_4arch9wavefront6targetE0EEEvT1_
                                        ; -- End function
	.set _ZN7rocprim17ROCPRIM_400000_NS6detail17trampoline_kernelINS0_14default_configENS1_25partition_config_selectorILNS1_17partition_subalgoE8ElNS0_10empty_typeEbEEZZNS1_14partition_implILS5_8ELb0ES3_jPlPS6_PKS6_NS0_5tupleIJS9_S6_EEENSD_IJSA_SA_EEENS0_18inequality_wrapperIZN2at6native12_GLOBAL__N_124unique_dim_cuda_templateItEESt5tupleIJNSH_6TensorESM_SM_EERKSM_lbbbEUlllE0_EEPmJS6_EEE10hipError_tPvRmT3_T4_T5_T6_T7_T9_mT8_P12ihipStream_tbDpT10_ENKUlT_T0_E_clISt17integral_constantIbLb1EES1C_EEDaS17_S18_EUlS17_E_NS1_11comp_targetILNS1_3genE9ELNS1_11target_archE1100ELNS1_3gpuE3ELNS1_3repE0EEENS1_30default_config_static_selectorELNS0_4arch9wavefront6targetE0EEEvT1_.num_vgpr, 0
	.set _ZN7rocprim17ROCPRIM_400000_NS6detail17trampoline_kernelINS0_14default_configENS1_25partition_config_selectorILNS1_17partition_subalgoE8ElNS0_10empty_typeEbEEZZNS1_14partition_implILS5_8ELb0ES3_jPlPS6_PKS6_NS0_5tupleIJS9_S6_EEENSD_IJSA_SA_EEENS0_18inequality_wrapperIZN2at6native12_GLOBAL__N_124unique_dim_cuda_templateItEESt5tupleIJNSH_6TensorESM_SM_EERKSM_lbbbEUlllE0_EEPmJS6_EEE10hipError_tPvRmT3_T4_T5_T6_T7_T9_mT8_P12ihipStream_tbDpT10_ENKUlT_T0_E_clISt17integral_constantIbLb1EES1C_EEDaS17_S18_EUlS17_E_NS1_11comp_targetILNS1_3genE9ELNS1_11target_archE1100ELNS1_3gpuE3ELNS1_3repE0EEENS1_30default_config_static_selectorELNS0_4arch9wavefront6targetE0EEEvT1_.num_agpr, 0
	.set _ZN7rocprim17ROCPRIM_400000_NS6detail17trampoline_kernelINS0_14default_configENS1_25partition_config_selectorILNS1_17partition_subalgoE8ElNS0_10empty_typeEbEEZZNS1_14partition_implILS5_8ELb0ES3_jPlPS6_PKS6_NS0_5tupleIJS9_S6_EEENSD_IJSA_SA_EEENS0_18inequality_wrapperIZN2at6native12_GLOBAL__N_124unique_dim_cuda_templateItEESt5tupleIJNSH_6TensorESM_SM_EERKSM_lbbbEUlllE0_EEPmJS6_EEE10hipError_tPvRmT3_T4_T5_T6_T7_T9_mT8_P12ihipStream_tbDpT10_ENKUlT_T0_E_clISt17integral_constantIbLb1EES1C_EEDaS17_S18_EUlS17_E_NS1_11comp_targetILNS1_3genE9ELNS1_11target_archE1100ELNS1_3gpuE3ELNS1_3repE0EEENS1_30default_config_static_selectorELNS0_4arch9wavefront6targetE0EEEvT1_.numbered_sgpr, 0
	.set _ZN7rocprim17ROCPRIM_400000_NS6detail17trampoline_kernelINS0_14default_configENS1_25partition_config_selectorILNS1_17partition_subalgoE8ElNS0_10empty_typeEbEEZZNS1_14partition_implILS5_8ELb0ES3_jPlPS6_PKS6_NS0_5tupleIJS9_S6_EEENSD_IJSA_SA_EEENS0_18inequality_wrapperIZN2at6native12_GLOBAL__N_124unique_dim_cuda_templateItEESt5tupleIJNSH_6TensorESM_SM_EERKSM_lbbbEUlllE0_EEPmJS6_EEE10hipError_tPvRmT3_T4_T5_T6_T7_T9_mT8_P12ihipStream_tbDpT10_ENKUlT_T0_E_clISt17integral_constantIbLb1EES1C_EEDaS17_S18_EUlS17_E_NS1_11comp_targetILNS1_3genE9ELNS1_11target_archE1100ELNS1_3gpuE3ELNS1_3repE0EEENS1_30default_config_static_selectorELNS0_4arch9wavefront6targetE0EEEvT1_.num_named_barrier, 0
	.set _ZN7rocprim17ROCPRIM_400000_NS6detail17trampoline_kernelINS0_14default_configENS1_25partition_config_selectorILNS1_17partition_subalgoE8ElNS0_10empty_typeEbEEZZNS1_14partition_implILS5_8ELb0ES3_jPlPS6_PKS6_NS0_5tupleIJS9_S6_EEENSD_IJSA_SA_EEENS0_18inequality_wrapperIZN2at6native12_GLOBAL__N_124unique_dim_cuda_templateItEESt5tupleIJNSH_6TensorESM_SM_EERKSM_lbbbEUlllE0_EEPmJS6_EEE10hipError_tPvRmT3_T4_T5_T6_T7_T9_mT8_P12ihipStream_tbDpT10_ENKUlT_T0_E_clISt17integral_constantIbLb1EES1C_EEDaS17_S18_EUlS17_E_NS1_11comp_targetILNS1_3genE9ELNS1_11target_archE1100ELNS1_3gpuE3ELNS1_3repE0EEENS1_30default_config_static_selectorELNS0_4arch9wavefront6targetE0EEEvT1_.private_seg_size, 0
	.set _ZN7rocprim17ROCPRIM_400000_NS6detail17trampoline_kernelINS0_14default_configENS1_25partition_config_selectorILNS1_17partition_subalgoE8ElNS0_10empty_typeEbEEZZNS1_14partition_implILS5_8ELb0ES3_jPlPS6_PKS6_NS0_5tupleIJS9_S6_EEENSD_IJSA_SA_EEENS0_18inequality_wrapperIZN2at6native12_GLOBAL__N_124unique_dim_cuda_templateItEESt5tupleIJNSH_6TensorESM_SM_EERKSM_lbbbEUlllE0_EEPmJS6_EEE10hipError_tPvRmT3_T4_T5_T6_T7_T9_mT8_P12ihipStream_tbDpT10_ENKUlT_T0_E_clISt17integral_constantIbLb1EES1C_EEDaS17_S18_EUlS17_E_NS1_11comp_targetILNS1_3genE9ELNS1_11target_archE1100ELNS1_3gpuE3ELNS1_3repE0EEENS1_30default_config_static_selectorELNS0_4arch9wavefront6targetE0EEEvT1_.uses_vcc, 0
	.set _ZN7rocprim17ROCPRIM_400000_NS6detail17trampoline_kernelINS0_14default_configENS1_25partition_config_selectorILNS1_17partition_subalgoE8ElNS0_10empty_typeEbEEZZNS1_14partition_implILS5_8ELb0ES3_jPlPS6_PKS6_NS0_5tupleIJS9_S6_EEENSD_IJSA_SA_EEENS0_18inequality_wrapperIZN2at6native12_GLOBAL__N_124unique_dim_cuda_templateItEESt5tupleIJNSH_6TensorESM_SM_EERKSM_lbbbEUlllE0_EEPmJS6_EEE10hipError_tPvRmT3_T4_T5_T6_T7_T9_mT8_P12ihipStream_tbDpT10_ENKUlT_T0_E_clISt17integral_constantIbLb1EES1C_EEDaS17_S18_EUlS17_E_NS1_11comp_targetILNS1_3genE9ELNS1_11target_archE1100ELNS1_3gpuE3ELNS1_3repE0EEENS1_30default_config_static_selectorELNS0_4arch9wavefront6targetE0EEEvT1_.uses_flat_scratch, 0
	.set _ZN7rocprim17ROCPRIM_400000_NS6detail17trampoline_kernelINS0_14default_configENS1_25partition_config_selectorILNS1_17partition_subalgoE8ElNS0_10empty_typeEbEEZZNS1_14partition_implILS5_8ELb0ES3_jPlPS6_PKS6_NS0_5tupleIJS9_S6_EEENSD_IJSA_SA_EEENS0_18inequality_wrapperIZN2at6native12_GLOBAL__N_124unique_dim_cuda_templateItEESt5tupleIJNSH_6TensorESM_SM_EERKSM_lbbbEUlllE0_EEPmJS6_EEE10hipError_tPvRmT3_T4_T5_T6_T7_T9_mT8_P12ihipStream_tbDpT10_ENKUlT_T0_E_clISt17integral_constantIbLb1EES1C_EEDaS17_S18_EUlS17_E_NS1_11comp_targetILNS1_3genE9ELNS1_11target_archE1100ELNS1_3gpuE3ELNS1_3repE0EEENS1_30default_config_static_selectorELNS0_4arch9wavefront6targetE0EEEvT1_.has_dyn_sized_stack, 0
	.set _ZN7rocprim17ROCPRIM_400000_NS6detail17trampoline_kernelINS0_14default_configENS1_25partition_config_selectorILNS1_17partition_subalgoE8ElNS0_10empty_typeEbEEZZNS1_14partition_implILS5_8ELb0ES3_jPlPS6_PKS6_NS0_5tupleIJS9_S6_EEENSD_IJSA_SA_EEENS0_18inequality_wrapperIZN2at6native12_GLOBAL__N_124unique_dim_cuda_templateItEESt5tupleIJNSH_6TensorESM_SM_EERKSM_lbbbEUlllE0_EEPmJS6_EEE10hipError_tPvRmT3_T4_T5_T6_T7_T9_mT8_P12ihipStream_tbDpT10_ENKUlT_T0_E_clISt17integral_constantIbLb1EES1C_EEDaS17_S18_EUlS17_E_NS1_11comp_targetILNS1_3genE9ELNS1_11target_archE1100ELNS1_3gpuE3ELNS1_3repE0EEENS1_30default_config_static_selectorELNS0_4arch9wavefront6targetE0EEEvT1_.has_recursion, 0
	.set _ZN7rocprim17ROCPRIM_400000_NS6detail17trampoline_kernelINS0_14default_configENS1_25partition_config_selectorILNS1_17partition_subalgoE8ElNS0_10empty_typeEbEEZZNS1_14partition_implILS5_8ELb0ES3_jPlPS6_PKS6_NS0_5tupleIJS9_S6_EEENSD_IJSA_SA_EEENS0_18inequality_wrapperIZN2at6native12_GLOBAL__N_124unique_dim_cuda_templateItEESt5tupleIJNSH_6TensorESM_SM_EERKSM_lbbbEUlllE0_EEPmJS6_EEE10hipError_tPvRmT3_T4_T5_T6_T7_T9_mT8_P12ihipStream_tbDpT10_ENKUlT_T0_E_clISt17integral_constantIbLb1EES1C_EEDaS17_S18_EUlS17_E_NS1_11comp_targetILNS1_3genE9ELNS1_11target_archE1100ELNS1_3gpuE3ELNS1_3repE0EEENS1_30default_config_static_selectorELNS0_4arch9wavefront6targetE0EEEvT1_.has_indirect_call, 0
	.section	.AMDGPU.csdata,"",@progbits
; Kernel info:
; codeLenInByte = 0
; TotalNumSgprs: 0
; NumVgprs: 0
; ScratchSize: 0
; MemoryBound: 0
; FloatMode: 240
; IeeeMode: 1
; LDSByteSize: 0 bytes/workgroup (compile time only)
; SGPRBlocks: 0
; VGPRBlocks: 0
; NumSGPRsForWavesPerEU: 1
; NumVGPRsForWavesPerEU: 1
; NamedBarCnt: 0
; Occupancy: 16
; WaveLimiterHint : 0
; COMPUTE_PGM_RSRC2:SCRATCH_EN: 0
; COMPUTE_PGM_RSRC2:USER_SGPR: 2
; COMPUTE_PGM_RSRC2:TRAP_HANDLER: 0
; COMPUTE_PGM_RSRC2:TGID_X_EN: 1
; COMPUTE_PGM_RSRC2:TGID_Y_EN: 0
; COMPUTE_PGM_RSRC2:TGID_Z_EN: 0
; COMPUTE_PGM_RSRC2:TIDIG_COMP_CNT: 0
	.section	.text._ZN7rocprim17ROCPRIM_400000_NS6detail17trampoline_kernelINS0_14default_configENS1_25partition_config_selectorILNS1_17partition_subalgoE8ElNS0_10empty_typeEbEEZZNS1_14partition_implILS5_8ELb0ES3_jPlPS6_PKS6_NS0_5tupleIJS9_S6_EEENSD_IJSA_SA_EEENS0_18inequality_wrapperIZN2at6native12_GLOBAL__N_124unique_dim_cuda_templateItEESt5tupleIJNSH_6TensorESM_SM_EERKSM_lbbbEUlllE0_EEPmJS6_EEE10hipError_tPvRmT3_T4_T5_T6_T7_T9_mT8_P12ihipStream_tbDpT10_ENKUlT_T0_E_clISt17integral_constantIbLb1EES1C_EEDaS17_S18_EUlS17_E_NS1_11comp_targetILNS1_3genE8ELNS1_11target_archE1030ELNS1_3gpuE2ELNS1_3repE0EEENS1_30default_config_static_selectorELNS0_4arch9wavefront6targetE0EEEvT1_,"axG",@progbits,_ZN7rocprim17ROCPRIM_400000_NS6detail17trampoline_kernelINS0_14default_configENS1_25partition_config_selectorILNS1_17partition_subalgoE8ElNS0_10empty_typeEbEEZZNS1_14partition_implILS5_8ELb0ES3_jPlPS6_PKS6_NS0_5tupleIJS9_S6_EEENSD_IJSA_SA_EEENS0_18inequality_wrapperIZN2at6native12_GLOBAL__N_124unique_dim_cuda_templateItEESt5tupleIJNSH_6TensorESM_SM_EERKSM_lbbbEUlllE0_EEPmJS6_EEE10hipError_tPvRmT3_T4_T5_T6_T7_T9_mT8_P12ihipStream_tbDpT10_ENKUlT_T0_E_clISt17integral_constantIbLb1EES1C_EEDaS17_S18_EUlS17_E_NS1_11comp_targetILNS1_3genE8ELNS1_11target_archE1030ELNS1_3gpuE2ELNS1_3repE0EEENS1_30default_config_static_selectorELNS0_4arch9wavefront6targetE0EEEvT1_,comdat
	.globl	_ZN7rocprim17ROCPRIM_400000_NS6detail17trampoline_kernelINS0_14default_configENS1_25partition_config_selectorILNS1_17partition_subalgoE8ElNS0_10empty_typeEbEEZZNS1_14partition_implILS5_8ELb0ES3_jPlPS6_PKS6_NS0_5tupleIJS9_S6_EEENSD_IJSA_SA_EEENS0_18inequality_wrapperIZN2at6native12_GLOBAL__N_124unique_dim_cuda_templateItEESt5tupleIJNSH_6TensorESM_SM_EERKSM_lbbbEUlllE0_EEPmJS6_EEE10hipError_tPvRmT3_T4_T5_T6_T7_T9_mT8_P12ihipStream_tbDpT10_ENKUlT_T0_E_clISt17integral_constantIbLb1EES1C_EEDaS17_S18_EUlS17_E_NS1_11comp_targetILNS1_3genE8ELNS1_11target_archE1030ELNS1_3gpuE2ELNS1_3repE0EEENS1_30default_config_static_selectorELNS0_4arch9wavefront6targetE0EEEvT1_ ; -- Begin function _ZN7rocprim17ROCPRIM_400000_NS6detail17trampoline_kernelINS0_14default_configENS1_25partition_config_selectorILNS1_17partition_subalgoE8ElNS0_10empty_typeEbEEZZNS1_14partition_implILS5_8ELb0ES3_jPlPS6_PKS6_NS0_5tupleIJS9_S6_EEENSD_IJSA_SA_EEENS0_18inequality_wrapperIZN2at6native12_GLOBAL__N_124unique_dim_cuda_templateItEESt5tupleIJNSH_6TensorESM_SM_EERKSM_lbbbEUlllE0_EEPmJS6_EEE10hipError_tPvRmT3_T4_T5_T6_T7_T9_mT8_P12ihipStream_tbDpT10_ENKUlT_T0_E_clISt17integral_constantIbLb1EES1C_EEDaS17_S18_EUlS17_E_NS1_11comp_targetILNS1_3genE8ELNS1_11target_archE1030ELNS1_3gpuE2ELNS1_3repE0EEENS1_30default_config_static_selectorELNS0_4arch9wavefront6targetE0EEEvT1_
	.p2align	8
	.type	_ZN7rocprim17ROCPRIM_400000_NS6detail17trampoline_kernelINS0_14default_configENS1_25partition_config_selectorILNS1_17partition_subalgoE8ElNS0_10empty_typeEbEEZZNS1_14partition_implILS5_8ELb0ES3_jPlPS6_PKS6_NS0_5tupleIJS9_S6_EEENSD_IJSA_SA_EEENS0_18inequality_wrapperIZN2at6native12_GLOBAL__N_124unique_dim_cuda_templateItEESt5tupleIJNSH_6TensorESM_SM_EERKSM_lbbbEUlllE0_EEPmJS6_EEE10hipError_tPvRmT3_T4_T5_T6_T7_T9_mT8_P12ihipStream_tbDpT10_ENKUlT_T0_E_clISt17integral_constantIbLb1EES1C_EEDaS17_S18_EUlS17_E_NS1_11comp_targetILNS1_3genE8ELNS1_11target_archE1030ELNS1_3gpuE2ELNS1_3repE0EEENS1_30default_config_static_selectorELNS0_4arch9wavefront6targetE0EEEvT1_,@function
_ZN7rocprim17ROCPRIM_400000_NS6detail17trampoline_kernelINS0_14default_configENS1_25partition_config_selectorILNS1_17partition_subalgoE8ElNS0_10empty_typeEbEEZZNS1_14partition_implILS5_8ELb0ES3_jPlPS6_PKS6_NS0_5tupleIJS9_S6_EEENSD_IJSA_SA_EEENS0_18inequality_wrapperIZN2at6native12_GLOBAL__N_124unique_dim_cuda_templateItEESt5tupleIJNSH_6TensorESM_SM_EERKSM_lbbbEUlllE0_EEPmJS6_EEE10hipError_tPvRmT3_T4_T5_T6_T7_T9_mT8_P12ihipStream_tbDpT10_ENKUlT_T0_E_clISt17integral_constantIbLb1EES1C_EEDaS17_S18_EUlS17_E_NS1_11comp_targetILNS1_3genE8ELNS1_11target_archE1030ELNS1_3gpuE2ELNS1_3repE0EEENS1_30default_config_static_selectorELNS0_4arch9wavefront6targetE0EEEvT1_: ; @_ZN7rocprim17ROCPRIM_400000_NS6detail17trampoline_kernelINS0_14default_configENS1_25partition_config_selectorILNS1_17partition_subalgoE8ElNS0_10empty_typeEbEEZZNS1_14partition_implILS5_8ELb0ES3_jPlPS6_PKS6_NS0_5tupleIJS9_S6_EEENSD_IJSA_SA_EEENS0_18inequality_wrapperIZN2at6native12_GLOBAL__N_124unique_dim_cuda_templateItEESt5tupleIJNSH_6TensorESM_SM_EERKSM_lbbbEUlllE0_EEPmJS6_EEE10hipError_tPvRmT3_T4_T5_T6_T7_T9_mT8_P12ihipStream_tbDpT10_ENKUlT_T0_E_clISt17integral_constantIbLb1EES1C_EEDaS17_S18_EUlS17_E_NS1_11comp_targetILNS1_3genE8ELNS1_11target_archE1030ELNS1_3gpuE2ELNS1_3repE0EEENS1_30default_config_static_selectorELNS0_4arch9wavefront6targetE0EEEvT1_
; %bb.0:
	.section	.rodata,"a",@progbits
	.p2align	6, 0x0
	.amdhsa_kernel _ZN7rocprim17ROCPRIM_400000_NS6detail17trampoline_kernelINS0_14default_configENS1_25partition_config_selectorILNS1_17partition_subalgoE8ElNS0_10empty_typeEbEEZZNS1_14partition_implILS5_8ELb0ES3_jPlPS6_PKS6_NS0_5tupleIJS9_S6_EEENSD_IJSA_SA_EEENS0_18inequality_wrapperIZN2at6native12_GLOBAL__N_124unique_dim_cuda_templateItEESt5tupleIJNSH_6TensorESM_SM_EERKSM_lbbbEUlllE0_EEPmJS6_EEE10hipError_tPvRmT3_T4_T5_T6_T7_T9_mT8_P12ihipStream_tbDpT10_ENKUlT_T0_E_clISt17integral_constantIbLb1EES1C_EEDaS17_S18_EUlS17_E_NS1_11comp_targetILNS1_3genE8ELNS1_11target_archE1030ELNS1_3gpuE2ELNS1_3repE0EEENS1_30default_config_static_selectorELNS0_4arch9wavefront6targetE0EEEvT1_
		.amdhsa_group_segment_fixed_size 0
		.amdhsa_private_segment_fixed_size 0
		.amdhsa_kernarg_size 136
		.amdhsa_user_sgpr_count 2
		.amdhsa_user_sgpr_dispatch_ptr 0
		.amdhsa_user_sgpr_queue_ptr 0
		.amdhsa_user_sgpr_kernarg_segment_ptr 1
		.amdhsa_user_sgpr_dispatch_id 0
		.amdhsa_user_sgpr_kernarg_preload_length 0
		.amdhsa_user_sgpr_kernarg_preload_offset 0
		.amdhsa_user_sgpr_private_segment_size 0
		.amdhsa_wavefront_size32 1
		.amdhsa_uses_dynamic_stack 0
		.amdhsa_enable_private_segment 0
		.amdhsa_system_sgpr_workgroup_id_x 1
		.amdhsa_system_sgpr_workgroup_id_y 0
		.amdhsa_system_sgpr_workgroup_id_z 0
		.amdhsa_system_sgpr_workgroup_info 0
		.amdhsa_system_vgpr_workitem_id 0
		.amdhsa_next_free_vgpr 1
		.amdhsa_next_free_sgpr 1
		.amdhsa_named_barrier_count 0
		.amdhsa_reserve_vcc 0
		.amdhsa_float_round_mode_32 0
		.amdhsa_float_round_mode_16_64 0
		.amdhsa_float_denorm_mode_32 3
		.amdhsa_float_denorm_mode_16_64 3
		.amdhsa_fp16_overflow 0
		.amdhsa_memory_ordered 1
		.amdhsa_forward_progress 1
		.amdhsa_inst_pref_size 0
		.amdhsa_round_robin_scheduling 0
		.amdhsa_exception_fp_ieee_invalid_op 0
		.amdhsa_exception_fp_denorm_src 0
		.amdhsa_exception_fp_ieee_div_zero 0
		.amdhsa_exception_fp_ieee_overflow 0
		.amdhsa_exception_fp_ieee_underflow 0
		.amdhsa_exception_fp_ieee_inexact 0
		.amdhsa_exception_int_div_zero 0
	.end_amdhsa_kernel
	.section	.text._ZN7rocprim17ROCPRIM_400000_NS6detail17trampoline_kernelINS0_14default_configENS1_25partition_config_selectorILNS1_17partition_subalgoE8ElNS0_10empty_typeEbEEZZNS1_14partition_implILS5_8ELb0ES3_jPlPS6_PKS6_NS0_5tupleIJS9_S6_EEENSD_IJSA_SA_EEENS0_18inequality_wrapperIZN2at6native12_GLOBAL__N_124unique_dim_cuda_templateItEESt5tupleIJNSH_6TensorESM_SM_EERKSM_lbbbEUlllE0_EEPmJS6_EEE10hipError_tPvRmT3_T4_T5_T6_T7_T9_mT8_P12ihipStream_tbDpT10_ENKUlT_T0_E_clISt17integral_constantIbLb1EES1C_EEDaS17_S18_EUlS17_E_NS1_11comp_targetILNS1_3genE8ELNS1_11target_archE1030ELNS1_3gpuE2ELNS1_3repE0EEENS1_30default_config_static_selectorELNS0_4arch9wavefront6targetE0EEEvT1_,"axG",@progbits,_ZN7rocprim17ROCPRIM_400000_NS6detail17trampoline_kernelINS0_14default_configENS1_25partition_config_selectorILNS1_17partition_subalgoE8ElNS0_10empty_typeEbEEZZNS1_14partition_implILS5_8ELb0ES3_jPlPS6_PKS6_NS0_5tupleIJS9_S6_EEENSD_IJSA_SA_EEENS0_18inequality_wrapperIZN2at6native12_GLOBAL__N_124unique_dim_cuda_templateItEESt5tupleIJNSH_6TensorESM_SM_EERKSM_lbbbEUlllE0_EEPmJS6_EEE10hipError_tPvRmT3_T4_T5_T6_T7_T9_mT8_P12ihipStream_tbDpT10_ENKUlT_T0_E_clISt17integral_constantIbLb1EES1C_EEDaS17_S18_EUlS17_E_NS1_11comp_targetILNS1_3genE8ELNS1_11target_archE1030ELNS1_3gpuE2ELNS1_3repE0EEENS1_30default_config_static_selectorELNS0_4arch9wavefront6targetE0EEEvT1_,comdat
.Lfunc_end1434:
	.size	_ZN7rocprim17ROCPRIM_400000_NS6detail17trampoline_kernelINS0_14default_configENS1_25partition_config_selectorILNS1_17partition_subalgoE8ElNS0_10empty_typeEbEEZZNS1_14partition_implILS5_8ELb0ES3_jPlPS6_PKS6_NS0_5tupleIJS9_S6_EEENSD_IJSA_SA_EEENS0_18inequality_wrapperIZN2at6native12_GLOBAL__N_124unique_dim_cuda_templateItEESt5tupleIJNSH_6TensorESM_SM_EERKSM_lbbbEUlllE0_EEPmJS6_EEE10hipError_tPvRmT3_T4_T5_T6_T7_T9_mT8_P12ihipStream_tbDpT10_ENKUlT_T0_E_clISt17integral_constantIbLb1EES1C_EEDaS17_S18_EUlS17_E_NS1_11comp_targetILNS1_3genE8ELNS1_11target_archE1030ELNS1_3gpuE2ELNS1_3repE0EEENS1_30default_config_static_selectorELNS0_4arch9wavefront6targetE0EEEvT1_, .Lfunc_end1434-_ZN7rocprim17ROCPRIM_400000_NS6detail17trampoline_kernelINS0_14default_configENS1_25partition_config_selectorILNS1_17partition_subalgoE8ElNS0_10empty_typeEbEEZZNS1_14partition_implILS5_8ELb0ES3_jPlPS6_PKS6_NS0_5tupleIJS9_S6_EEENSD_IJSA_SA_EEENS0_18inequality_wrapperIZN2at6native12_GLOBAL__N_124unique_dim_cuda_templateItEESt5tupleIJNSH_6TensorESM_SM_EERKSM_lbbbEUlllE0_EEPmJS6_EEE10hipError_tPvRmT3_T4_T5_T6_T7_T9_mT8_P12ihipStream_tbDpT10_ENKUlT_T0_E_clISt17integral_constantIbLb1EES1C_EEDaS17_S18_EUlS17_E_NS1_11comp_targetILNS1_3genE8ELNS1_11target_archE1030ELNS1_3gpuE2ELNS1_3repE0EEENS1_30default_config_static_selectorELNS0_4arch9wavefront6targetE0EEEvT1_
                                        ; -- End function
	.set _ZN7rocprim17ROCPRIM_400000_NS6detail17trampoline_kernelINS0_14default_configENS1_25partition_config_selectorILNS1_17partition_subalgoE8ElNS0_10empty_typeEbEEZZNS1_14partition_implILS5_8ELb0ES3_jPlPS6_PKS6_NS0_5tupleIJS9_S6_EEENSD_IJSA_SA_EEENS0_18inequality_wrapperIZN2at6native12_GLOBAL__N_124unique_dim_cuda_templateItEESt5tupleIJNSH_6TensorESM_SM_EERKSM_lbbbEUlllE0_EEPmJS6_EEE10hipError_tPvRmT3_T4_T5_T6_T7_T9_mT8_P12ihipStream_tbDpT10_ENKUlT_T0_E_clISt17integral_constantIbLb1EES1C_EEDaS17_S18_EUlS17_E_NS1_11comp_targetILNS1_3genE8ELNS1_11target_archE1030ELNS1_3gpuE2ELNS1_3repE0EEENS1_30default_config_static_selectorELNS0_4arch9wavefront6targetE0EEEvT1_.num_vgpr, 0
	.set _ZN7rocprim17ROCPRIM_400000_NS6detail17trampoline_kernelINS0_14default_configENS1_25partition_config_selectorILNS1_17partition_subalgoE8ElNS0_10empty_typeEbEEZZNS1_14partition_implILS5_8ELb0ES3_jPlPS6_PKS6_NS0_5tupleIJS9_S6_EEENSD_IJSA_SA_EEENS0_18inequality_wrapperIZN2at6native12_GLOBAL__N_124unique_dim_cuda_templateItEESt5tupleIJNSH_6TensorESM_SM_EERKSM_lbbbEUlllE0_EEPmJS6_EEE10hipError_tPvRmT3_T4_T5_T6_T7_T9_mT8_P12ihipStream_tbDpT10_ENKUlT_T0_E_clISt17integral_constantIbLb1EES1C_EEDaS17_S18_EUlS17_E_NS1_11comp_targetILNS1_3genE8ELNS1_11target_archE1030ELNS1_3gpuE2ELNS1_3repE0EEENS1_30default_config_static_selectorELNS0_4arch9wavefront6targetE0EEEvT1_.num_agpr, 0
	.set _ZN7rocprim17ROCPRIM_400000_NS6detail17trampoline_kernelINS0_14default_configENS1_25partition_config_selectorILNS1_17partition_subalgoE8ElNS0_10empty_typeEbEEZZNS1_14partition_implILS5_8ELb0ES3_jPlPS6_PKS6_NS0_5tupleIJS9_S6_EEENSD_IJSA_SA_EEENS0_18inequality_wrapperIZN2at6native12_GLOBAL__N_124unique_dim_cuda_templateItEESt5tupleIJNSH_6TensorESM_SM_EERKSM_lbbbEUlllE0_EEPmJS6_EEE10hipError_tPvRmT3_T4_T5_T6_T7_T9_mT8_P12ihipStream_tbDpT10_ENKUlT_T0_E_clISt17integral_constantIbLb1EES1C_EEDaS17_S18_EUlS17_E_NS1_11comp_targetILNS1_3genE8ELNS1_11target_archE1030ELNS1_3gpuE2ELNS1_3repE0EEENS1_30default_config_static_selectorELNS0_4arch9wavefront6targetE0EEEvT1_.numbered_sgpr, 0
	.set _ZN7rocprim17ROCPRIM_400000_NS6detail17trampoline_kernelINS0_14default_configENS1_25partition_config_selectorILNS1_17partition_subalgoE8ElNS0_10empty_typeEbEEZZNS1_14partition_implILS5_8ELb0ES3_jPlPS6_PKS6_NS0_5tupleIJS9_S6_EEENSD_IJSA_SA_EEENS0_18inequality_wrapperIZN2at6native12_GLOBAL__N_124unique_dim_cuda_templateItEESt5tupleIJNSH_6TensorESM_SM_EERKSM_lbbbEUlllE0_EEPmJS6_EEE10hipError_tPvRmT3_T4_T5_T6_T7_T9_mT8_P12ihipStream_tbDpT10_ENKUlT_T0_E_clISt17integral_constantIbLb1EES1C_EEDaS17_S18_EUlS17_E_NS1_11comp_targetILNS1_3genE8ELNS1_11target_archE1030ELNS1_3gpuE2ELNS1_3repE0EEENS1_30default_config_static_selectorELNS0_4arch9wavefront6targetE0EEEvT1_.num_named_barrier, 0
	.set _ZN7rocprim17ROCPRIM_400000_NS6detail17trampoline_kernelINS0_14default_configENS1_25partition_config_selectorILNS1_17partition_subalgoE8ElNS0_10empty_typeEbEEZZNS1_14partition_implILS5_8ELb0ES3_jPlPS6_PKS6_NS0_5tupleIJS9_S6_EEENSD_IJSA_SA_EEENS0_18inequality_wrapperIZN2at6native12_GLOBAL__N_124unique_dim_cuda_templateItEESt5tupleIJNSH_6TensorESM_SM_EERKSM_lbbbEUlllE0_EEPmJS6_EEE10hipError_tPvRmT3_T4_T5_T6_T7_T9_mT8_P12ihipStream_tbDpT10_ENKUlT_T0_E_clISt17integral_constantIbLb1EES1C_EEDaS17_S18_EUlS17_E_NS1_11comp_targetILNS1_3genE8ELNS1_11target_archE1030ELNS1_3gpuE2ELNS1_3repE0EEENS1_30default_config_static_selectorELNS0_4arch9wavefront6targetE0EEEvT1_.private_seg_size, 0
	.set _ZN7rocprim17ROCPRIM_400000_NS6detail17trampoline_kernelINS0_14default_configENS1_25partition_config_selectorILNS1_17partition_subalgoE8ElNS0_10empty_typeEbEEZZNS1_14partition_implILS5_8ELb0ES3_jPlPS6_PKS6_NS0_5tupleIJS9_S6_EEENSD_IJSA_SA_EEENS0_18inequality_wrapperIZN2at6native12_GLOBAL__N_124unique_dim_cuda_templateItEESt5tupleIJNSH_6TensorESM_SM_EERKSM_lbbbEUlllE0_EEPmJS6_EEE10hipError_tPvRmT3_T4_T5_T6_T7_T9_mT8_P12ihipStream_tbDpT10_ENKUlT_T0_E_clISt17integral_constantIbLb1EES1C_EEDaS17_S18_EUlS17_E_NS1_11comp_targetILNS1_3genE8ELNS1_11target_archE1030ELNS1_3gpuE2ELNS1_3repE0EEENS1_30default_config_static_selectorELNS0_4arch9wavefront6targetE0EEEvT1_.uses_vcc, 0
	.set _ZN7rocprim17ROCPRIM_400000_NS6detail17trampoline_kernelINS0_14default_configENS1_25partition_config_selectorILNS1_17partition_subalgoE8ElNS0_10empty_typeEbEEZZNS1_14partition_implILS5_8ELb0ES3_jPlPS6_PKS6_NS0_5tupleIJS9_S6_EEENSD_IJSA_SA_EEENS0_18inequality_wrapperIZN2at6native12_GLOBAL__N_124unique_dim_cuda_templateItEESt5tupleIJNSH_6TensorESM_SM_EERKSM_lbbbEUlllE0_EEPmJS6_EEE10hipError_tPvRmT3_T4_T5_T6_T7_T9_mT8_P12ihipStream_tbDpT10_ENKUlT_T0_E_clISt17integral_constantIbLb1EES1C_EEDaS17_S18_EUlS17_E_NS1_11comp_targetILNS1_3genE8ELNS1_11target_archE1030ELNS1_3gpuE2ELNS1_3repE0EEENS1_30default_config_static_selectorELNS0_4arch9wavefront6targetE0EEEvT1_.uses_flat_scratch, 0
	.set _ZN7rocprim17ROCPRIM_400000_NS6detail17trampoline_kernelINS0_14default_configENS1_25partition_config_selectorILNS1_17partition_subalgoE8ElNS0_10empty_typeEbEEZZNS1_14partition_implILS5_8ELb0ES3_jPlPS6_PKS6_NS0_5tupleIJS9_S6_EEENSD_IJSA_SA_EEENS0_18inequality_wrapperIZN2at6native12_GLOBAL__N_124unique_dim_cuda_templateItEESt5tupleIJNSH_6TensorESM_SM_EERKSM_lbbbEUlllE0_EEPmJS6_EEE10hipError_tPvRmT3_T4_T5_T6_T7_T9_mT8_P12ihipStream_tbDpT10_ENKUlT_T0_E_clISt17integral_constantIbLb1EES1C_EEDaS17_S18_EUlS17_E_NS1_11comp_targetILNS1_3genE8ELNS1_11target_archE1030ELNS1_3gpuE2ELNS1_3repE0EEENS1_30default_config_static_selectorELNS0_4arch9wavefront6targetE0EEEvT1_.has_dyn_sized_stack, 0
	.set _ZN7rocprim17ROCPRIM_400000_NS6detail17trampoline_kernelINS0_14default_configENS1_25partition_config_selectorILNS1_17partition_subalgoE8ElNS0_10empty_typeEbEEZZNS1_14partition_implILS5_8ELb0ES3_jPlPS6_PKS6_NS0_5tupleIJS9_S6_EEENSD_IJSA_SA_EEENS0_18inequality_wrapperIZN2at6native12_GLOBAL__N_124unique_dim_cuda_templateItEESt5tupleIJNSH_6TensorESM_SM_EERKSM_lbbbEUlllE0_EEPmJS6_EEE10hipError_tPvRmT3_T4_T5_T6_T7_T9_mT8_P12ihipStream_tbDpT10_ENKUlT_T0_E_clISt17integral_constantIbLb1EES1C_EEDaS17_S18_EUlS17_E_NS1_11comp_targetILNS1_3genE8ELNS1_11target_archE1030ELNS1_3gpuE2ELNS1_3repE0EEENS1_30default_config_static_selectorELNS0_4arch9wavefront6targetE0EEEvT1_.has_recursion, 0
	.set _ZN7rocprim17ROCPRIM_400000_NS6detail17trampoline_kernelINS0_14default_configENS1_25partition_config_selectorILNS1_17partition_subalgoE8ElNS0_10empty_typeEbEEZZNS1_14partition_implILS5_8ELb0ES3_jPlPS6_PKS6_NS0_5tupleIJS9_S6_EEENSD_IJSA_SA_EEENS0_18inequality_wrapperIZN2at6native12_GLOBAL__N_124unique_dim_cuda_templateItEESt5tupleIJNSH_6TensorESM_SM_EERKSM_lbbbEUlllE0_EEPmJS6_EEE10hipError_tPvRmT3_T4_T5_T6_T7_T9_mT8_P12ihipStream_tbDpT10_ENKUlT_T0_E_clISt17integral_constantIbLb1EES1C_EEDaS17_S18_EUlS17_E_NS1_11comp_targetILNS1_3genE8ELNS1_11target_archE1030ELNS1_3gpuE2ELNS1_3repE0EEENS1_30default_config_static_selectorELNS0_4arch9wavefront6targetE0EEEvT1_.has_indirect_call, 0
	.section	.AMDGPU.csdata,"",@progbits
; Kernel info:
; codeLenInByte = 0
; TotalNumSgprs: 0
; NumVgprs: 0
; ScratchSize: 0
; MemoryBound: 0
; FloatMode: 240
; IeeeMode: 1
; LDSByteSize: 0 bytes/workgroup (compile time only)
; SGPRBlocks: 0
; VGPRBlocks: 0
; NumSGPRsForWavesPerEU: 1
; NumVGPRsForWavesPerEU: 1
; NamedBarCnt: 0
; Occupancy: 16
; WaveLimiterHint : 0
; COMPUTE_PGM_RSRC2:SCRATCH_EN: 0
; COMPUTE_PGM_RSRC2:USER_SGPR: 2
; COMPUTE_PGM_RSRC2:TRAP_HANDLER: 0
; COMPUTE_PGM_RSRC2:TGID_X_EN: 1
; COMPUTE_PGM_RSRC2:TGID_Y_EN: 0
; COMPUTE_PGM_RSRC2:TGID_Z_EN: 0
; COMPUTE_PGM_RSRC2:TIDIG_COMP_CNT: 0
	.section	.text._ZN7rocprim17ROCPRIM_400000_NS6detail17trampoline_kernelINS0_14default_configENS1_25partition_config_selectorILNS1_17partition_subalgoE8ElNS0_10empty_typeEbEEZZNS1_14partition_implILS5_8ELb0ES3_jPlPS6_PKS6_NS0_5tupleIJS9_S6_EEENSD_IJSA_SA_EEENS0_18inequality_wrapperIZN2at6native12_GLOBAL__N_124unique_dim_cuda_templateItEESt5tupleIJNSH_6TensorESM_SM_EERKSM_lbbbEUlllE0_EEPmJS6_EEE10hipError_tPvRmT3_T4_T5_T6_T7_T9_mT8_P12ihipStream_tbDpT10_ENKUlT_T0_E_clISt17integral_constantIbLb1EES1B_IbLb0EEEEDaS17_S18_EUlS17_E_NS1_11comp_targetILNS1_3genE0ELNS1_11target_archE4294967295ELNS1_3gpuE0ELNS1_3repE0EEENS1_30default_config_static_selectorELNS0_4arch9wavefront6targetE0EEEvT1_,"axG",@progbits,_ZN7rocprim17ROCPRIM_400000_NS6detail17trampoline_kernelINS0_14default_configENS1_25partition_config_selectorILNS1_17partition_subalgoE8ElNS0_10empty_typeEbEEZZNS1_14partition_implILS5_8ELb0ES3_jPlPS6_PKS6_NS0_5tupleIJS9_S6_EEENSD_IJSA_SA_EEENS0_18inequality_wrapperIZN2at6native12_GLOBAL__N_124unique_dim_cuda_templateItEESt5tupleIJNSH_6TensorESM_SM_EERKSM_lbbbEUlllE0_EEPmJS6_EEE10hipError_tPvRmT3_T4_T5_T6_T7_T9_mT8_P12ihipStream_tbDpT10_ENKUlT_T0_E_clISt17integral_constantIbLb1EES1B_IbLb0EEEEDaS17_S18_EUlS17_E_NS1_11comp_targetILNS1_3genE0ELNS1_11target_archE4294967295ELNS1_3gpuE0ELNS1_3repE0EEENS1_30default_config_static_selectorELNS0_4arch9wavefront6targetE0EEEvT1_,comdat
	.globl	_ZN7rocprim17ROCPRIM_400000_NS6detail17trampoline_kernelINS0_14default_configENS1_25partition_config_selectorILNS1_17partition_subalgoE8ElNS0_10empty_typeEbEEZZNS1_14partition_implILS5_8ELb0ES3_jPlPS6_PKS6_NS0_5tupleIJS9_S6_EEENSD_IJSA_SA_EEENS0_18inequality_wrapperIZN2at6native12_GLOBAL__N_124unique_dim_cuda_templateItEESt5tupleIJNSH_6TensorESM_SM_EERKSM_lbbbEUlllE0_EEPmJS6_EEE10hipError_tPvRmT3_T4_T5_T6_T7_T9_mT8_P12ihipStream_tbDpT10_ENKUlT_T0_E_clISt17integral_constantIbLb1EES1B_IbLb0EEEEDaS17_S18_EUlS17_E_NS1_11comp_targetILNS1_3genE0ELNS1_11target_archE4294967295ELNS1_3gpuE0ELNS1_3repE0EEENS1_30default_config_static_selectorELNS0_4arch9wavefront6targetE0EEEvT1_ ; -- Begin function _ZN7rocprim17ROCPRIM_400000_NS6detail17trampoline_kernelINS0_14default_configENS1_25partition_config_selectorILNS1_17partition_subalgoE8ElNS0_10empty_typeEbEEZZNS1_14partition_implILS5_8ELb0ES3_jPlPS6_PKS6_NS0_5tupleIJS9_S6_EEENSD_IJSA_SA_EEENS0_18inequality_wrapperIZN2at6native12_GLOBAL__N_124unique_dim_cuda_templateItEESt5tupleIJNSH_6TensorESM_SM_EERKSM_lbbbEUlllE0_EEPmJS6_EEE10hipError_tPvRmT3_T4_T5_T6_T7_T9_mT8_P12ihipStream_tbDpT10_ENKUlT_T0_E_clISt17integral_constantIbLb1EES1B_IbLb0EEEEDaS17_S18_EUlS17_E_NS1_11comp_targetILNS1_3genE0ELNS1_11target_archE4294967295ELNS1_3gpuE0ELNS1_3repE0EEENS1_30default_config_static_selectorELNS0_4arch9wavefront6targetE0EEEvT1_
	.p2align	8
	.type	_ZN7rocprim17ROCPRIM_400000_NS6detail17trampoline_kernelINS0_14default_configENS1_25partition_config_selectorILNS1_17partition_subalgoE8ElNS0_10empty_typeEbEEZZNS1_14partition_implILS5_8ELb0ES3_jPlPS6_PKS6_NS0_5tupleIJS9_S6_EEENSD_IJSA_SA_EEENS0_18inequality_wrapperIZN2at6native12_GLOBAL__N_124unique_dim_cuda_templateItEESt5tupleIJNSH_6TensorESM_SM_EERKSM_lbbbEUlllE0_EEPmJS6_EEE10hipError_tPvRmT3_T4_T5_T6_T7_T9_mT8_P12ihipStream_tbDpT10_ENKUlT_T0_E_clISt17integral_constantIbLb1EES1B_IbLb0EEEEDaS17_S18_EUlS17_E_NS1_11comp_targetILNS1_3genE0ELNS1_11target_archE4294967295ELNS1_3gpuE0ELNS1_3repE0EEENS1_30default_config_static_selectorELNS0_4arch9wavefront6targetE0EEEvT1_,@function
_ZN7rocprim17ROCPRIM_400000_NS6detail17trampoline_kernelINS0_14default_configENS1_25partition_config_selectorILNS1_17partition_subalgoE8ElNS0_10empty_typeEbEEZZNS1_14partition_implILS5_8ELb0ES3_jPlPS6_PKS6_NS0_5tupleIJS9_S6_EEENSD_IJSA_SA_EEENS0_18inequality_wrapperIZN2at6native12_GLOBAL__N_124unique_dim_cuda_templateItEESt5tupleIJNSH_6TensorESM_SM_EERKSM_lbbbEUlllE0_EEPmJS6_EEE10hipError_tPvRmT3_T4_T5_T6_T7_T9_mT8_P12ihipStream_tbDpT10_ENKUlT_T0_E_clISt17integral_constantIbLb1EES1B_IbLb0EEEEDaS17_S18_EUlS17_E_NS1_11comp_targetILNS1_3genE0ELNS1_11target_archE4294967295ELNS1_3gpuE0ELNS1_3repE0EEENS1_30default_config_static_selectorELNS0_4arch9wavefront6targetE0EEEvT1_: ; @_ZN7rocprim17ROCPRIM_400000_NS6detail17trampoline_kernelINS0_14default_configENS1_25partition_config_selectorILNS1_17partition_subalgoE8ElNS0_10empty_typeEbEEZZNS1_14partition_implILS5_8ELb0ES3_jPlPS6_PKS6_NS0_5tupleIJS9_S6_EEENSD_IJSA_SA_EEENS0_18inequality_wrapperIZN2at6native12_GLOBAL__N_124unique_dim_cuda_templateItEESt5tupleIJNSH_6TensorESM_SM_EERKSM_lbbbEUlllE0_EEPmJS6_EEE10hipError_tPvRmT3_T4_T5_T6_T7_T9_mT8_P12ihipStream_tbDpT10_ENKUlT_T0_E_clISt17integral_constantIbLb1EES1B_IbLb0EEEEDaS17_S18_EUlS17_E_NS1_11comp_targetILNS1_3genE0ELNS1_11target_archE4294967295ELNS1_3gpuE0ELNS1_3repE0EEENS1_30default_config_static_selectorELNS0_4arch9wavefront6targetE0EEEvT1_
; %bb.0:
	s_endpgm
	.section	.rodata,"a",@progbits
	.p2align	6, 0x0
	.amdhsa_kernel _ZN7rocprim17ROCPRIM_400000_NS6detail17trampoline_kernelINS0_14default_configENS1_25partition_config_selectorILNS1_17partition_subalgoE8ElNS0_10empty_typeEbEEZZNS1_14partition_implILS5_8ELb0ES3_jPlPS6_PKS6_NS0_5tupleIJS9_S6_EEENSD_IJSA_SA_EEENS0_18inequality_wrapperIZN2at6native12_GLOBAL__N_124unique_dim_cuda_templateItEESt5tupleIJNSH_6TensorESM_SM_EERKSM_lbbbEUlllE0_EEPmJS6_EEE10hipError_tPvRmT3_T4_T5_T6_T7_T9_mT8_P12ihipStream_tbDpT10_ENKUlT_T0_E_clISt17integral_constantIbLb1EES1B_IbLb0EEEEDaS17_S18_EUlS17_E_NS1_11comp_targetILNS1_3genE0ELNS1_11target_archE4294967295ELNS1_3gpuE0ELNS1_3repE0EEENS1_30default_config_static_selectorELNS0_4arch9wavefront6targetE0EEEvT1_
		.amdhsa_group_segment_fixed_size 0
		.amdhsa_private_segment_fixed_size 0
		.amdhsa_kernarg_size 120
		.amdhsa_user_sgpr_count 2
		.amdhsa_user_sgpr_dispatch_ptr 0
		.amdhsa_user_sgpr_queue_ptr 0
		.amdhsa_user_sgpr_kernarg_segment_ptr 1
		.amdhsa_user_sgpr_dispatch_id 0
		.amdhsa_user_sgpr_kernarg_preload_length 0
		.amdhsa_user_sgpr_kernarg_preload_offset 0
		.amdhsa_user_sgpr_private_segment_size 0
		.amdhsa_wavefront_size32 1
		.amdhsa_uses_dynamic_stack 0
		.amdhsa_enable_private_segment 0
		.amdhsa_system_sgpr_workgroup_id_x 1
		.amdhsa_system_sgpr_workgroup_id_y 0
		.amdhsa_system_sgpr_workgroup_id_z 0
		.amdhsa_system_sgpr_workgroup_info 0
		.amdhsa_system_vgpr_workitem_id 0
		.amdhsa_next_free_vgpr 1
		.amdhsa_next_free_sgpr 1
		.amdhsa_named_barrier_count 0
		.amdhsa_reserve_vcc 0
		.amdhsa_float_round_mode_32 0
		.amdhsa_float_round_mode_16_64 0
		.amdhsa_float_denorm_mode_32 3
		.amdhsa_float_denorm_mode_16_64 3
		.amdhsa_fp16_overflow 0
		.amdhsa_memory_ordered 1
		.amdhsa_forward_progress 1
		.amdhsa_inst_pref_size 1
		.amdhsa_round_robin_scheduling 0
		.amdhsa_exception_fp_ieee_invalid_op 0
		.amdhsa_exception_fp_denorm_src 0
		.amdhsa_exception_fp_ieee_div_zero 0
		.amdhsa_exception_fp_ieee_overflow 0
		.amdhsa_exception_fp_ieee_underflow 0
		.amdhsa_exception_fp_ieee_inexact 0
		.amdhsa_exception_int_div_zero 0
	.end_amdhsa_kernel
	.section	.text._ZN7rocprim17ROCPRIM_400000_NS6detail17trampoline_kernelINS0_14default_configENS1_25partition_config_selectorILNS1_17partition_subalgoE8ElNS0_10empty_typeEbEEZZNS1_14partition_implILS5_8ELb0ES3_jPlPS6_PKS6_NS0_5tupleIJS9_S6_EEENSD_IJSA_SA_EEENS0_18inequality_wrapperIZN2at6native12_GLOBAL__N_124unique_dim_cuda_templateItEESt5tupleIJNSH_6TensorESM_SM_EERKSM_lbbbEUlllE0_EEPmJS6_EEE10hipError_tPvRmT3_T4_T5_T6_T7_T9_mT8_P12ihipStream_tbDpT10_ENKUlT_T0_E_clISt17integral_constantIbLb1EES1B_IbLb0EEEEDaS17_S18_EUlS17_E_NS1_11comp_targetILNS1_3genE0ELNS1_11target_archE4294967295ELNS1_3gpuE0ELNS1_3repE0EEENS1_30default_config_static_selectorELNS0_4arch9wavefront6targetE0EEEvT1_,"axG",@progbits,_ZN7rocprim17ROCPRIM_400000_NS6detail17trampoline_kernelINS0_14default_configENS1_25partition_config_selectorILNS1_17partition_subalgoE8ElNS0_10empty_typeEbEEZZNS1_14partition_implILS5_8ELb0ES3_jPlPS6_PKS6_NS0_5tupleIJS9_S6_EEENSD_IJSA_SA_EEENS0_18inequality_wrapperIZN2at6native12_GLOBAL__N_124unique_dim_cuda_templateItEESt5tupleIJNSH_6TensorESM_SM_EERKSM_lbbbEUlllE0_EEPmJS6_EEE10hipError_tPvRmT3_T4_T5_T6_T7_T9_mT8_P12ihipStream_tbDpT10_ENKUlT_T0_E_clISt17integral_constantIbLb1EES1B_IbLb0EEEEDaS17_S18_EUlS17_E_NS1_11comp_targetILNS1_3genE0ELNS1_11target_archE4294967295ELNS1_3gpuE0ELNS1_3repE0EEENS1_30default_config_static_selectorELNS0_4arch9wavefront6targetE0EEEvT1_,comdat
.Lfunc_end1435:
	.size	_ZN7rocprim17ROCPRIM_400000_NS6detail17trampoline_kernelINS0_14default_configENS1_25partition_config_selectorILNS1_17partition_subalgoE8ElNS0_10empty_typeEbEEZZNS1_14partition_implILS5_8ELb0ES3_jPlPS6_PKS6_NS0_5tupleIJS9_S6_EEENSD_IJSA_SA_EEENS0_18inequality_wrapperIZN2at6native12_GLOBAL__N_124unique_dim_cuda_templateItEESt5tupleIJNSH_6TensorESM_SM_EERKSM_lbbbEUlllE0_EEPmJS6_EEE10hipError_tPvRmT3_T4_T5_T6_T7_T9_mT8_P12ihipStream_tbDpT10_ENKUlT_T0_E_clISt17integral_constantIbLb1EES1B_IbLb0EEEEDaS17_S18_EUlS17_E_NS1_11comp_targetILNS1_3genE0ELNS1_11target_archE4294967295ELNS1_3gpuE0ELNS1_3repE0EEENS1_30default_config_static_selectorELNS0_4arch9wavefront6targetE0EEEvT1_, .Lfunc_end1435-_ZN7rocprim17ROCPRIM_400000_NS6detail17trampoline_kernelINS0_14default_configENS1_25partition_config_selectorILNS1_17partition_subalgoE8ElNS0_10empty_typeEbEEZZNS1_14partition_implILS5_8ELb0ES3_jPlPS6_PKS6_NS0_5tupleIJS9_S6_EEENSD_IJSA_SA_EEENS0_18inequality_wrapperIZN2at6native12_GLOBAL__N_124unique_dim_cuda_templateItEESt5tupleIJNSH_6TensorESM_SM_EERKSM_lbbbEUlllE0_EEPmJS6_EEE10hipError_tPvRmT3_T4_T5_T6_T7_T9_mT8_P12ihipStream_tbDpT10_ENKUlT_T0_E_clISt17integral_constantIbLb1EES1B_IbLb0EEEEDaS17_S18_EUlS17_E_NS1_11comp_targetILNS1_3genE0ELNS1_11target_archE4294967295ELNS1_3gpuE0ELNS1_3repE0EEENS1_30default_config_static_selectorELNS0_4arch9wavefront6targetE0EEEvT1_
                                        ; -- End function
	.set _ZN7rocprim17ROCPRIM_400000_NS6detail17trampoline_kernelINS0_14default_configENS1_25partition_config_selectorILNS1_17partition_subalgoE8ElNS0_10empty_typeEbEEZZNS1_14partition_implILS5_8ELb0ES3_jPlPS6_PKS6_NS0_5tupleIJS9_S6_EEENSD_IJSA_SA_EEENS0_18inequality_wrapperIZN2at6native12_GLOBAL__N_124unique_dim_cuda_templateItEESt5tupleIJNSH_6TensorESM_SM_EERKSM_lbbbEUlllE0_EEPmJS6_EEE10hipError_tPvRmT3_T4_T5_T6_T7_T9_mT8_P12ihipStream_tbDpT10_ENKUlT_T0_E_clISt17integral_constantIbLb1EES1B_IbLb0EEEEDaS17_S18_EUlS17_E_NS1_11comp_targetILNS1_3genE0ELNS1_11target_archE4294967295ELNS1_3gpuE0ELNS1_3repE0EEENS1_30default_config_static_selectorELNS0_4arch9wavefront6targetE0EEEvT1_.num_vgpr, 0
	.set _ZN7rocprim17ROCPRIM_400000_NS6detail17trampoline_kernelINS0_14default_configENS1_25partition_config_selectorILNS1_17partition_subalgoE8ElNS0_10empty_typeEbEEZZNS1_14partition_implILS5_8ELb0ES3_jPlPS6_PKS6_NS0_5tupleIJS9_S6_EEENSD_IJSA_SA_EEENS0_18inequality_wrapperIZN2at6native12_GLOBAL__N_124unique_dim_cuda_templateItEESt5tupleIJNSH_6TensorESM_SM_EERKSM_lbbbEUlllE0_EEPmJS6_EEE10hipError_tPvRmT3_T4_T5_T6_T7_T9_mT8_P12ihipStream_tbDpT10_ENKUlT_T0_E_clISt17integral_constantIbLb1EES1B_IbLb0EEEEDaS17_S18_EUlS17_E_NS1_11comp_targetILNS1_3genE0ELNS1_11target_archE4294967295ELNS1_3gpuE0ELNS1_3repE0EEENS1_30default_config_static_selectorELNS0_4arch9wavefront6targetE0EEEvT1_.num_agpr, 0
	.set _ZN7rocprim17ROCPRIM_400000_NS6detail17trampoline_kernelINS0_14default_configENS1_25partition_config_selectorILNS1_17partition_subalgoE8ElNS0_10empty_typeEbEEZZNS1_14partition_implILS5_8ELb0ES3_jPlPS6_PKS6_NS0_5tupleIJS9_S6_EEENSD_IJSA_SA_EEENS0_18inequality_wrapperIZN2at6native12_GLOBAL__N_124unique_dim_cuda_templateItEESt5tupleIJNSH_6TensorESM_SM_EERKSM_lbbbEUlllE0_EEPmJS6_EEE10hipError_tPvRmT3_T4_T5_T6_T7_T9_mT8_P12ihipStream_tbDpT10_ENKUlT_T0_E_clISt17integral_constantIbLb1EES1B_IbLb0EEEEDaS17_S18_EUlS17_E_NS1_11comp_targetILNS1_3genE0ELNS1_11target_archE4294967295ELNS1_3gpuE0ELNS1_3repE0EEENS1_30default_config_static_selectorELNS0_4arch9wavefront6targetE0EEEvT1_.numbered_sgpr, 0
	.set _ZN7rocprim17ROCPRIM_400000_NS6detail17trampoline_kernelINS0_14default_configENS1_25partition_config_selectorILNS1_17partition_subalgoE8ElNS0_10empty_typeEbEEZZNS1_14partition_implILS5_8ELb0ES3_jPlPS6_PKS6_NS0_5tupleIJS9_S6_EEENSD_IJSA_SA_EEENS0_18inequality_wrapperIZN2at6native12_GLOBAL__N_124unique_dim_cuda_templateItEESt5tupleIJNSH_6TensorESM_SM_EERKSM_lbbbEUlllE0_EEPmJS6_EEE10hipError_tPvRmT3_T4_T5_T6_T7_T9_mT8_P12ihipStream_tbDpT10_ENKUlT_T0_E_clISt17integral_constantIbLb1EES1B_IbLb0EEEEDaS17_S18_EUlS17_E_NS1_11comp_targetILNS1_3genE0ELNS1_11target_archE4294967295ELNS1_3gpuE0ELNS1_3repE0EEENS1_30default_config_static_selectorELNS0_4arch9wavefront6targetE0EEEvT1_.num_named_barrier, 0
	.set _ZN7rocprim17ROCPRIM_400000_NS6detail17trampoline_kernelINS0_14default_configENS1_25partition_config_selectorILNS1_17partition_subalgoE8ElNS0_10empty_typeEbEEZZNS1_14partition_implILS5_8ELb0ES3_jPlPS6_PKS6_NS0_5tupleIJS9_S6_EEENSD_IJSA_SA_EEENS0_18inequality_wrapperIZN2at6native12_GLOBAL__N_124unique_dim_cuda_templateItEESt5tupleIJNSH_6TensorESM_SM_EERKSM_lbbbEUlllE0_EEPmJS6_EEE10hipError_tPvRmT3_T4_T5_T6_T7_T9_mT8_P12ihipStream_tbDpT10_ENKUlT_T0_E_clISt17integral_constantIbLb1EES1B_IbLb0EEEEDaS17_S18_EUlS17_E_NS1_11comp_targetILNS1_3genE0ELNS1_11target_archE4294967295ELNS1_3gpuE0ELNS1_3repE0EEENS1_30default_config_static_selectorELNS0_4arch9wavefront6targetE0EEEvT1_.private_seg_size, 0
	.set _ZN7rocprim17ROCPRIM_400000_NS6detail17trampoline_kernelINS0_14default_configENS1_25partition_config_selectorILNS1_17partition_subalgoE8ElNS0_10empty_typeEbEEZZNS1_14partition_implILS5_8ELb0ES3_jPlPS6_PKS6_NS0_5tupleIJS9_S6_EEENSD_IJSA_SA_EEENS0_18inequality_wrapperIZN2at6native12_GLOBAL__N_124unique_dim_cuda_templateItEESt5tupleIJNSH_6TensorESM_SM_EERKSM_lbbbEUlllE0_EEPmJS6_EEE10hipError_tPvRmT3_T4_T5_T6_T7_T9_mT8_P12ihipStream_tbDpT10_ENKUlT_T0_E_clISt17integral_constantIbLb1EES1B_IbLb0EEEEDaS17_S18_EUlS17_E_NS1_11comp_targetILNS1_3genE0ELNS1_11target_archE4294967295ELNS1_3gpuE0ELNS1_3repE0EEENS1_30default_config_static_selectorELNS0_4arch9wavefront6targetE0EEEvT1_.uses_vcc, 0
	.set _ZN7rocprim17ROCPRIM_400000_NS6detail17trampoline_kernelINS0_14default_configENS1_25partition_config_selectorILNS1_17partition_subalgoE8ElNS0_10empty_typeEbEEZZNS1_14partition_implILS5_8ELb0ES3_jPlPS6_PKS6_NS0_5tupleIJS9_S6_EEENSD_IJSA_SA_EEENS0_18inequality_wrapperIZN2at6native12_GLOBAL__N_124unique_dim_cuda_templateItEESt5tupleIJNSH_6TensorESM_SM_EERKSM_lbbbEUlllE0_EEPmJS6_EEE10hipError_tPvRmT3_T4_T5_T6_T7_T9_mT8_P12ihipStream_tbDpT10_ENKUlT_T0_E_clISt17integral_constantIbLb1EES1B_IbLb0EEEEDaS17_S18_EUlS17_E_NS1_11comp_targetILNS1_3genE0ELNS1_11target_archE4294967295ELNS1_3gpuE0ELNS1_3repE0EEENS1_30default_config_static_selectorELNS0_4arch9wavefront6targetE0EEEvT1_.uses_flat_scratch, 0
	.set _ZN7rocprim17ROCPRIM_400000_NS6detail17trampoline_kernelINS0_14default_configENS1_25partition_config_selectorILNS1_17partition_subalgoE8ElNS0_10empty_typeEbEEZZNS1_14partition_implILS5_8ELb0ES3_jPlPS6_PKS6_NS0_5tupleIJS9_S6_EEENSD_IJSA_SA_EEENS0_18inequality_wrapperIZN2at6native12_GLOBAL__N_124unique_dim_cuda_templateItEESt5tupleIJNSH_6TensorESM_SM_EERKSM_lbbbEUlllE0_EEPmJS6_EEE10hipError_tPvRmT3_T4_T5_T6_T7_T9_mT8_P12ihipStream_tbDpT10_ENKUlT_T0_E_clISt17integral_constantIbLb1EES1B_IbLb0EEEEDaS17_S18_EUlS17_E_NS1_11comp_targetILNS1_3genE0ELNS1_11target_archE4294967295ELNS1_3gpuE0ELNS1_3repE0EEENS1_30default_config_static_selectorELNS0_4arch9wavefront6targetE0EEEvT1_.has_dyn_sized_stack, 0
	.set _ZN7rocprim17ROCPRIM_400000_NS6detail17trampoline_kernelINS0_14default_configENS1_25partition_config_selectorILNS1_17partition_subalgoE8ElNS0_10empty_typeEbEEZZNS1_14partition_implILS5_8ELb0ES3_jPlPS6_PKS6_NS0_5tupleIJS9_S6_EEENSD_IJSA_SA_EEENS0_18inequality_wrapperIZN2at6native12_GLOBAL__N_124unique_dim_cuda_templateItEESt5tupleIJNSH_6TensorESM_SM_EERKSM_lbbbEUlllE0_EEPmJS6_EEE10hipError_tPvRmT3_T4_T5_T6_T7_T9_mT8_P12ihipStream_tbDpT10_ENKUlT_T0_E_clISt17integral_constantIbLb1EES1B_IbLb0EEEEDaS17_S18_EUlS17_E_NS1_11comp_targetILNS1_3genE0ELNS1_11target_archE4294967295ELNS1_3gpuE0ELNS1_3repE0EEENS1_30default_config_static_selectorELNS0_4arch9wavefront6targetE0EEEvT1_.has_recursion, 0
	.set _ZN7rocprim17ROCPRIM_400000_NS6detail17trampoline_kernelINS0_14default_configENS1_25partition_config_selectorILNS1_17partition_subalgoE8ElNS0_10empty_typeEbEEZZNS1_14partition_implILS5_8ELb0ES3_jPlPS6_PKS6_NS0_5tupleIJS9_S6_EEENSD_IJSA_SA_EEENS0_18inequality_wrapperIZN2at6native12_GLOBAL__N_124unique_dim_cuda_templateItEESt5tupleIJNSH_6TensorESM_SM_EERKSM_lbbbEUlllE0_EEPmJS6_EEE10hipError_tPvRmT3_T4_T5_T6_T7_T9_mT8_P12ihipStream_tbDpT10_ENKUlT_T0_E_clISt17integral_constantIbLb1EES1B_IbLb0EEEEDaS17_S18_EUlS17_E_NS1_11comp_targetILNS1_3genE0ELNS1_11target_archE4294967295ELNS1_3gpuE0ELNS1_3repE0EEENS1_30default_config_static_selectorELNS0_4arch9wavefront6targetE0EEEvT1_.has_indirect_call, 0
	.section	.AMDGPU.csdata,"",@progbits
; Kernel info:
; codeLenInByte = 4
; TotalNumSgprs: 0
; NumVgprs: 0
; ScratchSize: 0
; MemoryBound: 0
; FloatMode: 240
; IeeeMode: 1
; LDSByteSize: 0 bytes/workgroup (compile time only)
; SGPRBlocks: 0
; VGPRBlocks: 0
; NumSGPRsForWavesPerEU: 1
; NumVGPRsForWavesPerEU: 1
; NamedBarCnt: 0
; Occupancy: 16
; WaveLimiterHint : 0
; COMPUTE_PGM_RSRC2:SCRATCH_EN: 0
; COMPUTE_PGM_RSRC2:USER_SGPR: 2
; COMPUTE_PGM_RSRC2:TRAP_HANDLER: 0
; COMPUTE_PGM_RSRC2:TGID_X_EN: 1
; COMPUTE_PGM_RSRC2:TGID_Y_EN: 0
; COMPUTE_PGM_RSRC2:TGID_Z_EN: 0
; COMPUTE_PGM_RSRC2:TIDIG_COMP_CNT: 0
	.section	.text._ZN7rocprim17ROCPRIM_400000_NS6detail17trampoline_kernelINS0_14default_configENS1_25partition_config_selectorILNS1_17partition_subalgoE8ElNS0_10empty_typeEbEEZZNS1_14partition_implILS5_8ELb0ES3_jPlPS6_PKS6_NS0_5tupleIJS9_S6_EEENSD_IJSA_SA_EEENS0_18inequality_wrapperIZN2at6native12_GLOBAL__N_124unique_dim_cuda_templateItEESt5tupleIJNSH_6TensorESM_SM_EERKSM_lbbbEUlllE0_EEPmJS6_EEE10hipError_tPvRmT3_T4_T5_T6_T7_T9_mT8_P12ihipStream_tbDpT10_ENKUlT_T0_E_clISt17integral_constantIbLb1EES1B_IbLb0EEEEDaS17_S18_EUlS17_E_NS1_11comp_targetILNS1_3genE5ELNS1_11target_archE942ELNS1_3gpuE9ELNS1_3repE0EEENS1_30default_config_static_selectorELNS0_4arch9wavefront6targetE0EEEvT1_,"axG",@progbits,_ZN7rocprim17ROCPRIM_400000_NS6detail17trampoline_kernelINS0_14default_configENS1_25partition_config_selectorILNS1_17partition_subalgoE8ElNS0_10empty_typeEbEEZZNS1_14partition_implILS5_8ELb0ES3_jPlPS6_PKS6_NS0_5tupleIJS9_S6_EEENSD_IJSA_SA_EEENS0_18inequality_wrapperIZN2at6native12_GLOBAL__N_124unique_dim_cuda_templateItEESt5tupleIJNSH_6TensorESM_SM_EERKSM_lbbbEUlllE0_EEPmJS6_EEE10hipError_tPvRmT3_T4_T5_T6_T7_T9_mT8_P12ihipStream_tbDpT10_ENKUlT_T0_E_clISt17integral_constantIbLb1EES1B_IbLb0EEEEDaS17_S18_EUlS17_E_NS1_11comp_targetILNS1_3genE5ELNS1_11target_archE942ELNS1_3gpuE9ELNS1_3repE0EEENS1_30default_config_static_selectorELNS0_4arch9wavefront6targetE0EEEvT1_,comdat
	.globl	_ZN7rocprim17ROCPRIM_400000_NS6detail17trampoline_kernelINS0_14default_configENS1_25partition_config_selectorILNS1_17partition_subalgoE8ElNS0_10empty_typeEbEEZZNS1_14partition_implILS5_8ELb0ES3_jPlPS6_PKS6_NS0_5tupleIJS9_S6_EEENSD_IJSA_SA_EEENS0_18inequality_wrapperIZN2at6native12_GLOBAL__N_124unique_dim_cuda_templateItEESt5tupleIJNSH_6TensorESM_SM_EERKSM_lbbbEUlllE0_EEPmJS6_EEE10hipError_tPvRmT3_T4_T5_T6_T7_T9_mT8_P12ihipStream_tbDpT10_ENKUlT_T0_E_clISt17integral_constantIbLb1EES1B_IbLb0EEEEDaS17_S18_EUlS17_E_NS1_11comp_targetILNS1_3genE5ELNS1_11target_archE942ELNS1_3gpuE9ELNS1_3repE0EEENS1_30default_config_static_selectorELNS0_4arch9wavefront6targetE0EEEvT1_ ; -- Begin function _ZN7rocprim17ROCPRIM_400000_NS6detail17trampoline_kernelINS0_14default_configENS1_25partition_config_selectorILNS1_17partition_subalgoE8ElNS0_10empty_typeEbEEZZNS1_14partition_implILS5_8ELb0ES3_jPlPS6_PKS6_NS0_5tupleIJS9_S6_EEENSD_IJSA_SA_EEENS0_18inequality_wrapperIZN2at6native12_GLOBAL__N_124unique_dim_cuda_templateItEESt5tupleIJNSH_6TensorESM_SM_EERKSM_lbbbEUlllE0_EEPmJS6_EEE10hipError_tPvRmT3_T4_T5_T6_T7_T9_mT8_P12ihipStream_tbDpT10_ENKUlT_T0_E_clISt17integral_constantIbLb1EES1B_IbLb0EEEEDaS17_S18_EUlS17_E_NS1_11comp_targetILNS1_3genE5ELNS1_11target_archE942ELNS1_3gpuE9ELNS1_3repE0EEENS1_30default_config_static_selectorELNS0_4arch9wavefront6targetE0EEEvT1_
	.p2align	8
	.type	_ZN7rocprim17ROCPRIM_400000_NS6detail17trampoline_kernelINS0_14default_configENS1_25partition_config_selectorILNS1_17partition_subalgoE8ElNS0_10empty_typeEbEEZZNS1_14partition_implILS5_8ELb0ES3_jPlPS6_PKS6_NS0_5tupleIJS9_S6_EEENSD_IJSA_SA_EEENS0_18inequality_wrapperIZN2at6native12_GLOBAL__N_124unique_dim_cuda_templateItEESt5tupleIJNSH_6TensorESM_SM_EERKSM_lbbbEUlllE0_EEPmJS6_EEE10hipError_tPvRmT3_T4_T5_T6_T7_T9_mT8_P12ihipStream_tbDpT10_ENKUlT_T0_E_clISt17integral_constantIbLb1EES1B_IbLb0EEEEDaS17_S18_EUlS17_E_NS1_11comp_targetILNS1_3genE5ELNS1_11target_archE942ELNS1_3gpuE9ELNS1_3repE0EEENS1_30default_config_static_selectorELNS0_4arch9wavefront6targetE0EEEvT1_,@function
_ZN7rocprim17ROCPRIM_400000_NS6detail17trampoline_kernelINS0_14default_configENS1_25partition_config_selectorILNS1_17partition_subalgoE8ElNS0_10empty_typeEbEEZZNS1_14partition_implILS5_8ELb0ES3_jPlPS6_PKS6_NS0_5tupleIJS9_S6_EEENSD_IJSA_SA_EEENS0_18inequality_wrapperIZN2at6native12_GLOBAL__N_124unique_dim_cuda_templateItEESt5tupleIJNSH_6TensorESM_SM_EERKSM_lbbbEUlllE0_EEPmJS6_EEE10hipError_tPvRmT3_T4_T5_T6_T7_T9_mT8_P12ihipStream_tbDpT10_ENKUlT_T0_E_clISt17integral_constantIbLb1EES1B_IbLb0EEEEDaS17_S18_EUlS17_E_NS1_11comp_targetILNS1_3genE5ELNS1_11target_archE942ELNS1_3gpuE9ELNS1_3repE0EEENS1_30default_config_static_selectorELNS0_4arch9wavefront6targetE0EEEvT1_: ; @_ZN7rocprim17ROCPRIM_400000_NS6detail17trampoline_kernelINS0_14default_configENS1_25partition_config_selectorILNS1_17partition_subalgoE8ElNS0_10empty_typeEbEEZZNS1_14partition_implILS5_8ELb0ES3_jPlPS6_PKS6_NS0_5tupleIJS9_S6_EEENSD_IJSA_SA_EEENS0_18inequality_wrapperIZN2at6native12_GLOBAL__N_124unique_dim_cuda_templateItEESt5tupleIJNSH_6TensorESM_SM_EERKSM_lbbbEUlllE0_EEPmJS6_EEE10hipError_tPvRmT3_T4_T5_T6_T7_T9_mT8_P12ihipStream_tbDpT10_ENKUlT_T0_E_clISt17integral_constantIbLb1EES1B_IbLb0EEEEDaS17_S18_EUlS17_E_NS1_11comp_targetILNS1_3genE5ELNS1_11target_archE942ELNS1_3gpuE9ELNS1_3repE0EEENS1_30default_config_static_selectorELNS0_4arch9wavefront6targetE0EEEvT1_
; %bb.0:
	.section	.rodata,"a",@progbits
	.p2align	6, 0x0
	.amdhsa_kernel _ZN7rocprim17ROCPRIM_400000_NS6detail17trampoline_kernelINS0_14default_configENS1_25partition_config_selectorILNS1_17partition_subalgoE8ElNS0_10empty_typeEbEEZZNS1_14partition_implILS5_8ELb0ES3_jPlPS6_PKS6_NS0_5tupleIJS9_S6_EEENSD_IJSA_SA_EEENS0_18inequality_wrapperIZN2at6native12_GLOBAL__N_124unique_dim_cuda_templateItEESt5tupleIJNSH_6TensorESM_SM_EERKSM_lbbbEUlllE0_EEPmJS6_EEE10hipError_tPvRmT3_T4_T5_T6_T7_T9_mT8_P12ihipStream_tbDpT10_ENKUlT_T0_E_clISt17integral_constantIbLb1EES1B_IbLb0EEEEDaS17_S18_EUlS17_E_NS1_11comp_targetILNS1_3genE5ELNS1_11target_archE942ELNS1_3gpuE9ELNS1_3repE0EEENS1_30default_config_static_selectorELNS0_4arch9wavefront6targetE0EEEvT1_
		.amdhsa_group_segment_fixed_size 0
		.amdhsa_private_segment_fixed_size 0
		.amdhsa_kernarg_size 120
		.amdhsa_user_sgpr_count 2
		.amdhsa_user_sgpr_dispatch_ptr 0
		.amdhsa_user_sgpr_queue_ptr 0
		.amdhsa_user_sgpr_kernarg_segment_ptr 1
		.amdhsa_user_sgpr_dispatch_id 0
		.amdhsa_user_sgpr_kernarg_preload_length 0
		.amdhsa_user_sgpr_kernarg_preload_offset 0
		.amdhsa_user_sgpr_private_segment_size 0
		.amdhsa_wavefront_size32 1
		.amdhsa_uses_dynamic_stack 0
		.amdhsa_enable_private_segment 0
		.amdhsa_system_sgpr_workgroup_id_x 1
		.amdhsa_system_sgpr_workgroup_id_y 0
		.amdhsa_system_sgpr_workgroup_id_z 0
		.amdhsa_system_sgpr_workgroup_info 0
		.amdhsa_system_vgpr_workitem_id 0
		.amdhsa_next_free_vgpr 1
		.amdhsa_next_free_sgpr 1
		.amdhsa_named_barrier_count 0
		.amdhsa_reserve_vcc 0
		.amdhsa_float_round_mode_32 0
		.amdhsa_float_round_mode_16_64 0
		.amdhsa_float_denorm_mode_32 3
		.amdhsa_float_denorm_mode_16_64 3
		.amdhsa_fp16_overflow 0
		.amdhsa_memory_ordered 1
		.amdhsa_forward_progress 1
		.amdhsa_inst_pref_size 0
		.amdhsa_round_robin_scheduling 0
		.amdhsa_exception_fp_ieee_invalid_op 0
		.amdhsa_exception_fp_denorm_src 0
		.amdhsa_exception_fp_ieee_div_zero 0
		.amdhsa_exception_fp_ieee_overflow 0
		.amdhsa_exception_fp_ieee_underflow 0
		.amdhsa_exception_fp_ieee_inexact 0
		.amdhsa_exception_int_div_zero 0
	.end_amdhsa_kernel
	.section	.text._ZN7rocprim17ROCPRIM_400000_NS6detail17trampoline_kernelINS0_14default_configENS1_25partition_config_selectorILNS1_17partition_subalgoE8ElNS0_10empty_typeEbEEZZNS1_14partition_implILS5_8ELb0ES3_jPlPS6_PKS6_NS0_5tupleIJS9_S6_EEENSD_IJSA_SA_EEENS0_18inequality_wrapperIZN2at6native12_GLOBAL__N_124unique_dim_cuda_templateItEESt5tupleIJNSH_6TensorESM_SM_EERKSM_lbbbEUlllE0_EEPmJS6_EEE10hipError_tPvRmT3_T4_T5_T6_T7_T9_mT8_P12ihipStream_tbDpT10_ENKUlT_T0_E_clISt17integral_constantIbLb1EES1B_IbLb0EEEEDaS17_S18_EUlS17_E_NS1_11comp_targetILNS1_3genE5ELNS1_11target_archE942ELNS1_3gpuE9ELNS1_3repE0EEENS1_30default_config_static_selectorELNS0_4arch9wavefront6targetE0EEEvT1_,"axG",@progbits,_ZN7rocprim17ROCPRIM_400000_NS6detail17trampoline_kernelINS0_14default_configENS1_25partition_config_selectorILNS1_17partition_subalgoE8ElNS0_10empty_typeEbEEZZNS1_14partition_implILS5_8ELb0ES3_jPlPS6_PKS6_NS0_5tupleIJS9_S6_EEENSD_IJSA_SA_EEENS0_18inequality_wrapperIZN2at6native12_GLOBAL__N_124unique_dim_cuda_templateItEESt5tupleIJNSH_6TensorESM_SM_EERKSM_lbbbEUlllE0_EEPmJS6_EEE10hipError_tPvRmT3_T4_T5_T6_T7_T9_mT8_P12ihipStream_tbDpT10_ENKUlT_T0_E_clISt17integral_constantIbLb1EES1B_IbLb0EEEEDaS17_S18_EUlS17_E_NS1_11comp_targetILNS1_3genE5ELNS1_11target_archE942ELNS1_3gpuE9ELNS1_3repE0EEENS1_30default_config_static_selectorELNS0_4arch9wavefront6targetE0EEEvT1_,comdat
.Lfunc_end1436:
	.size	_ZN7rocprim17ROCPRIM_400000_NS6detail17trampoline_kernelINS0_14default_configENS1_25partition_config_selectorILNS1_17partition_subalgoE8ElNS0_10empty_typeEbEEZZNS1_14partition_implILS5_8ELb0ES3_jPlPS6_PKS6_NS0_5tupleIJS9_S6_EEENSD_IJSA_SA_EEENS0_18inequality_wrapperIZN2at6native12_GLOBAL__N_124unique_dim_cuda_templateItEESt5tupleIJNSH_6TensorESM_SM_EERKSM_lbbbEUlllE0_EEPmJS6_EEE10hipError_tPvRmT3_T4_T5_T6_T7_T9_mT8_P12ihipStream_tbDpT10_ENKUlT_T0_E_clISt17integral_constantIbLb1EES1B_IbLb0EEEEDaS17_S18_EUlS17_E_NS1_11comp_targetILNS1_3genE5ELNS1_11target_archE942ELNS1_3gpuE9ELNS1_3repE0EEENS1_30default_config_static_selectorELNS0_4arch9wavefront6targetE0EEEvT1_, .Lfunc_end1436-_ZN7rocprim17ROCPRIM_400000_NS6detail17trampoline_kernelINS0_14default_configENS1_25partition_config_selectorILNS1_17partition_subalgoE8ElNS0_10empty_typeEbEEZZNS1_14partition_implILS5_8ELb0ES3_jPlPS6_PKS6_NS0_5tupleIJS9_S6_EEENSD_IJSA_SA_EEENS0_18inequality_wrapperIZN2at6native12_GLOBAL__N_124unique_dim_cuda_templateItEESt5tupleIJNSH_6TensorESM_SM_EERKSM_lbbbEUlllE0_EEPmJS6_EEE10hipError_tPvRmT3_T4_T5_T6_T7_T9_mT8_P12ihipStream_tbDpT10_ENKUlT_T0_E_clISt17integral_constantIbLb1EES1B_IbLb0EEEEDaS17_S18_EUlS17_E_NS1_11comp_targetILNS1_3genE5ELNS1_11target_archE942ELNS1_3gpuE9ELNS1_3repE0EEENS1_30default_config_static_selectorELNS0_4arch9wavefront6targetE0EEEvT1_
                                        ; -- End function
	.set _ZN7rocprim17ROCPRIM_400000_NS6detail17trampoline_kernelINS0_14default_configENS1_25partition_config_selectorILNS1_17partition_subalgoE8ElNS0_10empty_typeEbEEZZNS1_14partition_implILS5_8ELb0ES3_jPlPS6_PKS6_NS0_5tupleIJS9_S6_EEENSD_IJSA_SA_EEENS0_18inequality_wrapperIZN2at6native12_GLOBAL__N_124unique_dim_cuda_templateItEESt5tupleIJNSH_6TensorESM_SM_EERKSM_lbbbEUlllE0_EEPmJS6_EEE10hipError_tPvRmT3_T4_T5_T6_T7_T9_mT8_P12ihipStream_tbDpT10_ENKUlT_T0_E_clISt17integral_constantIbLb1EES1B_IbLb0EEEEDaS17_S18_EUlS17_E_NS1_11comp_targetILNS1_3genE5ELNS1_11target_archE942ELNS1_3gpuE9ELNS1_3repE0EEENS1_30default_config_static_selectorELNS0_4arch9wavefront6targetE0EEEvT1_.num_vgpr, 0
	.set _ZN7rocprim17ROCPRIM_400000_NS6detail17trampoline_kernelINS0_14default_configENS1_25partition_config_selectorILNS1_17partition_subalgoE8ElNS0_10empty_typeEbEEZZNS1_14partition_implILS5_8ELb0ES3_jPlPS6_PKS6_NS0_5tupleIJS9_S6_EEENSD_IJSA_SA_EEENS0_18inequality_wrapperIZN2at6native12_GLOBAL__N_124unique_dim_cuda_templateItEESt5tupleIJNSH_6TensorESM_SM_EERKSM_lbbbEUlllE0_EEPmJS6_EEE10hipError_tPvRmT3_T4_T5_T6_T7_T9_mT8_P12ihipStream_tbDpT10_ENKUlT_T0_E_clISt17integral_constantIbLb1EES1B_IbLb0EEEEDaS17_S18_EUlS17_E_NS1_11comp_targetILNS1_3genE5ELNS1_11target_archE942ELNS1_3gpuE9ELNS1_3repE0EEENS1_30default_config_static_selectorELNS0_4arch9wavefront6targetE0EEEvT1_.num_agpr, 0
	.set _ZN7rocprim17ROCPRIM_400000_NS6detail17trampoline_kernelINS0_14default_configENS1_25partition_config_selectorILNS1_17partition_subalgoE8ElNS0_10empty_typeEbEEZZNS1_14partition_implILS5_8ELb0ES3_jPlPS6_PKS6_NS0_5tupleIJS9_S6_EEENSD_IJSA_SA_EEENS0_18inequality_wrapperIZN2at6native12_GLOBAL__N_124unique_dim_cuda_templateItEESt5tupleIJNSH_6TensorESM_SM_EERKSM_lbbbEUlllE0_EEPmJS6_EEE10hipError_tPvRmT3_T4_T5_T6_T7_T9_mT8_P12ihipStream_tbDpT10_ENKUlT_T0_E_clISt17integral_constantIbLb1EES1B_IbLb0EEEEDaS17_S18_EUlS17_E_NS1_11comp_targetILNS1_3genE5ELNS1_11target_archE942ELNS1_3gpuE9ELNS1_3repE0EEENS1_30default_config_static_selectorELNS0_4arch9wavefront6targetE0EEEvT1_.numbered_sgpr, 0
	.set _ZN7rocprim17ROCPRIM_400000_NS6detail17trampoline_kernelINS0_14default_configENS1_25partition_config_selectorILNS1_17partition_subalgoE8ElNS0_10empty_typeEbEEZZNS1_14partition_implILS5_8ELb0ES3_jPlPS6_PKS6_NS0_5tupleIJS9_S6_EEENSD_IJSA_SA_EEENS0_18inequality_wrapperIZN2at6native12_GLOBAL__N_124unique_dim_cuda_templateItEESt5tupleIJNSH_6TensorESM_SM_EERKSM_lbbbEUlllE0_EEPmJS6_EEE10hipError_tPvRmT3_T4_T5_T6_T7_T9_mT8_P12ihipStream_tbDpT10_ENKUlT_T0_E_clISt17integral_constantIbLb1EES1B_IbLb0EEEEDaS17_S18_EUlS17_E_NS1_11comp_targetILNS1_3genE5ELNS1_11target_archE942ELNS1_3gpuE9ELNS1_3repE0EEENS1_30default_config_static_selectorELNS0_4arch9wavefront6targetE0EEEvT1_.num_named_barrier, 0
	.set _ZN7rocprim17ROCPRIM_400000_NS6detail17trampoline_kernelINS0_14default_configENS1_25partition_config_selectorILNS1_17partition_subalgoE8ElNS0_10empty_typeEbEEZZNS1_14partition_implILS5_8ELb0ES3_jPlPS6_PKS6_NS0_5tupleIJS9_S6_EEENSD_IJSA_SA_EEENS0_18inequality_wrapperIZN2at6native12_GLOBAL__N_124unique_dim_cuda_templateItEESt5tupleIJNSH_6TensorESM_SM_EERKSM_lbbbEUlllE0_EEPmJS6_EEE10hipError_tPvRmT3_T4_T5_T6_T7_T9_mT8_P12ihipStream_tbDpT10_ENKUlT_T0_E_clISt17integral_constantIbLb1EES1B_IbLb0EEEEDaS17_S18_EUlS17_E_NS1_11comp_targetILNS1_3genE5ELNS1_11target_archE942ELNS1_3gpuE9ELNS1_3repE0EEENS1_30default_config_static_selectorELNS0_4arch9wavefront6targetE0EEEvT1_.private_seg_size, 0
	.set _ZN7rocprim17ROCPRIM_400000_NS6detail17trampoline_kernelINS0_14default_configENS1_25partition_config_selectorILNS1_17partition_subalgoE8ElNS0_10empty_typeEbEEZZNS1_14partition_implILS5_8ELb0ES3_jPlPS6_PKS6_NS0_5tupleIJS9_S6_EEENSD_IJSA_SA_EEENS0_18inequality_wrapperIZN2at6native12_GLOBAL__N_124unique_dim_cuda_templateItEESt5tupleIJNSH_6TensorESM_SM_EERKSM_lbbbEUlllE0_EEPmJS6_EEE10hipError_tPvRmT3_T4_T5_T6_T7_T9_mT8_P12ihipStream_tbDpT10_ENKUlT_T0_E_clISt17integral_constantIbLb1EES1B_IbLb0EEEEDaS17_S18_EUlS17_E_NS1_11comp_targetILNS1_3genE5ELNS1_11target_archE942ELNS1_3gpuE9ELNS1_3repE0EEENS1_30default_config_static_selectorELNS0_4arch9wavefront6targetE0EEEvT1_.uses_vcc, 0
	.set _ZN7rocprim17ROCPRIM_400000_NS6detail17trampoline_kernelINS0_14default_configENS1_25partition_config_selectorILNS1_17partition_subalgoE8ElNS0_10empty_typeEbEEZZNS1_14partition_implILS5_8ELb0ES3_jPlPS6_PKS6_NS0_5tupleIJS9_S6_EEENSD_IJSA_SA_EEENS0_18inequality_wrapperIZN2at6native12_GLOBAL__N_124unique_dim_cuda_templateItEESt5tupleIJNSH_6TensorESM_SM_EERKSM_lbbbEUlllE0_EEPmJS6_EEE10hipError_tPvRmT3_T4_T5_T6_T7_T9_mT8_P12ihipStream_tbDpT10_ENKUlT_T0_E_clISt17integral_constantIbLb1EES1B_IbLb0EEEEDaS17_S18_EUlS17_E_NS1_11comp_targetILNS1_3genE5ELNS1_11target_archE942ELNS1_3gpuE9ELNS1_3repE0EEENS1_30default_config_static_selectorELNS0_4arch9wavefront6targetE0EEEvT1_.uses_flat_scratch, 0
	.set _ZN7rocprim17ROCPRIM_400000_NS6detail17trampoline_kernelINS0_14default_configENS1_25partition_config_selectorILNS1_17partition_subalgoE8ElNS0_10empty_typeEbEEZZNS1_14partition_implILS5_8ELb0ES3_jPlPS6_PKS6_NS0_5tupleIJS9_S6_EEENSD_IJSA_SA_EEENS0_18inequality_wrapperIZN2at6native12_GLOBAL__N_124unique_dim_cuda_templateItEESt5tupleIJNSH_6TensorESM_SM_EERKSM_lbbbEUlllE0_EEPmJS6_EEE10hipError_tPvRmT3_T4_T5_T6_T7_T9_mT8_P12ihipStream_tbDpT10_ENKUlT_T0_E_clISt17integral_constantIbLb1EES1B_IbLb0EEEEDaS17_S18_EUlS17_E_NS1_11comp_targetILNS1_3genE5ELNS1_11target_archE942ELNS1_3gpuE9ELNS1_3repE0EEENS1_30default_config_static_selectorELNS0_4arch9wavefront6targetE0EEEvT1_.has_dyn_sized_stack, 0
	.set _ZN7rocprim17ROCPRIM_400000_NS6detail17trampoline_kernelINS0_14default_configENS1_25partition_config_selectorILNS1_17partition_subalgoE8ElNS0_10empty_typeEbEEZZNS1_14partition_implILS5_8ELb0ES3_jPlPS6_PKS6_NS0_5tupleIJS9_S6_EEENSD_IJSA_SA_EEENS0_18inequality_wrapperIZN2at6native12_GLOBAL__N_124unique_dim_cuda_templateItEESt5tupleIJNSH_6TensorESM_SM_EERKSM_lbbbEUlllE0_EEPmJS6_EEE10hipError_tPvRmT3_T4_T5_T6_T7_T9_mT8_P12ihipStream_tbDpT10_ENKUlT_T0_E_clISt17integral_constantIbLb1EES1B_IbLb0EEEEDaS17_S18_EUlS17_E_NS1_11comp_targetILNS1_3genE5ELNS1_11target_archE942ELNS1_3gpuE9ELNS1_3repE0EEENS1_30default_config_static_selectorELNS0_4arch9wavefront6targetE0EEEvT1_.has_recursion, 0
	.set _ZN7rocprim17ROCPRIM_400000_NS6detail17trampoline_kernelINS0_14default_configENS1_25partition_config_selectorILNS1_17partition_subalgoE8ElNS0_10empty_typeEbEEZZNS1_14partition_implILS5_8ELb0ES3_jPlPS6_PKS6_NS0_5tupleIJS9_S6_EEENSD_IJSA_SA_EEENS0_18inequality_wrapperIZN2at6native12_GLOBAL__N_124unique_dim_cuda_templateItEESt5tupleIJNSH_6TensorESM_SM_EERKSM_lbbbEUlllE0_EEPmJS6_EEE10hipError_tPvRmT3_T4_T5_T6_T7_T9_mT8_P12ihipStream_tbDpT10_ENKUlT_T0_E_clISt17integral_constantIbLb1EES1B_IbLb0EEEEDaS17_S18_EUlS17_E_NS1_11comp_targetILNS1_3genE5ELNS1_11target_archE942ELNS1_3gpuE9ELNS1_3repE0EEENS1_30default_config_static_selectorELNS0_4arch9wavefront6targetE0EEEvT1_.has_indirect_call, 0
	.section	.AMDGPU.csdata,"",@progbits
; Kernel info:
; codeLenInByte = 0
; TotalNumSgprs: 0
; NumVgprs: 0
; ScratchSize: 0
; MemoryBound: 0
; FloatMode: 240
; IeeeMode: 1
; LDSByteSize: 0 bytes/workgroup (compile time only)
; SGPRBlocks: 0
; VGPRBlocks: 0
; NumSGPRsForWavesPerEU: 1
; NumVGPRsForWavesPerEU: 1
; NamedBarCnt: 0
; Occupancy: 16
; WaveLimiterHint : 0
; COMPUTE_PGM_RSRC2:SCRATCH_EN: 0
; COMPUTE_PGM_RSRC2:USER_SGPR: 2
; COMPUTE_PGM_RSRC2:TRAP_HANDLER: 0
; COMPUTE_PGM_RSRC2:TGID_X_EN: 1
; COMPUTE_PGM_RSRC2:TGID_Y_EN: 0
; COMPUTE_PGM_RSRC2:TGID_Z_EN: 0
; COMPUTE_PGM_RSRC2:TIDIG_COMP_CNT: 0
	.section	.text._ZN7rocprim17ROCPRIM_400000_NS6detail17trampoline_kernelINS0_14default_configENS1_25partition_config_selectorILNS1_17partition_subalgoE8ElNS0_10empty_typeEbEEZZNS1_14partition_implILS5_8ELb0ES3_jPlPS6_PKS6_NS0_5tupleIJS9_S6_EEENSD_IJSA_SA_EEENS0_18inequality_wrapperIZN2at6native12_GLOBAL__N_124unique_dim_cuda_templateItEESt5tupleIJNSH_6TensorESM_SM_EERKSM_lbbbEUlllE0_EEPmJS6_EEE10hipError_tPvRmT3_T4_T5_T6_T7_T9_mT8_P12ihipStream_tbDpT10_ENKUlT_T0_E_clISt17integral_constantIbLb1EES1B_IbLb0EEEEDaS17_S18_EUlS17_E_NS1_11comp_targetILNS1_3genE4ELNS1_11target_archE910ELNS1_3gpuE8ELNS1_3repE0EEENS1_30default_config_static_selectorELNS0_4arch9wavefront6targetE0EEEvT1_,"axG",@progbits,_ZN7rocprim17ROCPRIM_400000_NS6detail17trampoline_kernelINS0_14default_configENS1_25partition_config_selectorILNS1_17partition_subalgoE8ElNS0_10empty_typeEbEEZZNS1_14partition_implILS5_8ELb0ES3_jPlPS6_PKS6_NS0_5tupleIJS9_S6_EEENSD_IJSA_SA_EEENS0_18inequality_wrapperIZN2at6native12_GLOBAL__N_124unique_dim_cuda_templateItEESt5tupleIJNSH_6TensorESM_SM_EERKSM_lbbbEUlllE0_EEPmJS6_EEE10hipError_tPvRmT3_T4_T5_T6_T7_T9_mT8_P12ihipStream_tbDpT10_ENKUlT_T0_E_clISt17integral_constantIbLb1EES1B_IbLb0EEEEDaS17_S18_EUlS17_E_NS1_11comp_targetILNS1_3genE4ELNS1_11target_archE910ELNS1_3gpuE8ELNS1_3repE0EEENS1_30default_config_static_selectorELNS0_4arch9wavefront6targetE0EEEvT1_,comdat
	.globl	_ZN7rocprim17ROCPRIM_400000_NS6detail17trampoline_kernelINS0_14default_configENS1_25partition_config_selectorILNS1_17partition_subalgoE8ElNS0_10empty_typeEbEEZZNS1_14partition_implILS5_8ELb0ES3_jPlPS6_PKS6_NS0_5tupleIJS9_S6_EEENSD_IJSA_SA_EEENS0_18inequality_wrapperIZN2at6native12_GLOBAL__N_124unique_dim_cuda_templateItEESt5tupleIJNSH_6TensorESM_SM_EERKSM_lbbbEUlllE0_EEPmJS6_EEE10hipError_tPvRmT3_T4_T5_T6_T7_T9_mT8_P12ihipStream_tbDpT10_ENKUlT_T0_E_clISt17integral_constantIbLb1EES1B_IbLb0EEEEDaS17_S18_EUlS17_E_NS1_11comp_targetILNS1_3genE4ELNS1_11target_archE910ELNS1_3gpuE8ELNS1_3repE0EEENS1_30default_config_static_selectorELNS0_4arch9wavefront6targetE0EEEvT1_ ; -- Begin function _ZN7rocprim17ROCPRIM_400000_NS6detail17trampoline_kernelINS0_14default_configENS1_25partition_config_selectorILNS1_17partition_subalgoE8ElNS0_10empty_typeEbEEZZNS1_14partition_implILS5_8ELb0ES3_jPlPS6_PKS6_NS0_5tupleIJS9_S6_EEENSD_IJSA_SA_EEENS0_18inequality_wrapperIZN2at6native12_GLOBAL__N_124unique_dim_cuda_templateItEESt5tupleIJNSH_6TensorESM_SM_EERKSM_lbbbEUlllE0_EEPmJS6_EEE10hipError_tPvRmT3_T4_T5_T6_T7_T9_mT8_P12ihipStream_tbDpT10_ENKUlT_T0_E_clISt17integral_constantIbLb1EES1B_IbLb0EEEEDaS17_S18_EUlS17_E_NS1_11comp_targetILNS1_3genE4ELNS1_11target_archE910ELNS1_3gpuE8ELNS1_3repE0EEENS1_30default_config_static_selectorELNS0_4arch9wavefront6targetE0EEEvT1_
	.p2align	8
	.type	_ZN7rocprim17ROCPRIM_400000_NS6detail17trampoline_kernelINS0_14default_configENS1_25partition_config_selectorILNS1_17partition_subalgoE8ElNS0_10empty_typeEbEEZZNS1_14partition_implILS5_8ELb0ES3_jPlPS6_PKS6_NS0_5tupleIJS9_S6_EEENSD_IJSA_SA_EEENS0_18inequality_wrapperIZN2at6native12_GLOBAL__N_124unique_dim_cuda_templateItEESt5tupleIJNSH_6TensorESM_SM_EERKSM_lbbbEUlllE0_EEPmJS6_EEE10hipError_tPvRmT3_T4_T5_T6_T7_T9_mT8_P12ihipStream_tbDpT10_ENKUlT_T0_E_clISt17integral_constantIbLb1EES1B_IbLb0EEEEDaS17_S18_EUlS17_E_NS1_11comp_targetILNS1_3genE4ELNS1_11target_archE910ELNS1_3gpuE8ELNS1_3repE0EEENS1_30default_config_static_selectorELNS0_4arch9wavefront6targetE0EEEvT1_,@function
_ZN7rocprim17ROCPRIM_400000_NS6detail17trampoline_kernelINS0_14default_configENS1_25partition_config_selectorILNS1_17partition_subalgoE8ElNS0_10empty_typeEbEEZZNS1_14partition_implILS5_8ELb0ES3_jPlPS6_PKS6_NS0_5tupleIJS9_S6_EEENSD_IJSA_SA_EEENS0_18inequality_wrapperIZN2at6native12_GLOBAL__N_124unique_dim_cuda_templateItEESt5tupleIJNSH_6TensorESM_SM_EERKSM_lbbbEUlllE0_EEPmJS6_EEE10hipError_tPvRmT3_T4_T5_T6_T7_T9_mT8_P12ihipStream_tbDpT10_ENKUlT_T0_E_clISt17integral_constantIbLb1EES1B_IbLb0EEEEDaS17_S18_EUlS17_E_NS1_11comp_targetILNS1_3genE4ELNS1_11target_archE910ELNS1_3gpuE8ELNS1_3repE0EEENS1_30default_config_static_selectorELNS0_4arch9wavefront6targetE0EEEvT1_: ; @_ZN7rocprim17ROCPRIM_400000_NS6detail17trampoline_kernelINS0_14default_configENS1_25partition_config_selectorILNS1_17partition_subalgoE8ElNS0_10empty_typeEbEEZZNS1_14partition_implILS5_8ELb0ES3_jPlPS6_PKS6_NS0_5tupleIJS9_S6_EEENSD_IJSA_SA_EEENS0_18inequality_wrapperIZN2at6native12_GLOBAL__N_124unique_dim_cuda_templateItEESt5tupleIJNSH_6TensorESM_SM_EERKSM_lbbbEUlllE0_EEPmJS6_EEE10hipError_tPvRmT3_T4_T5_T6_T7_T9_mT8_P12ihipStream_tbDpT10_ENKUlT_T0_E_clISt17integral_constantIbLb1EES1B_IbLb0EEEEDaS17_S18_EUlS17_E_NS1_11comp_targetILNS1_3genE4ELNS1_11target_archE910ELNS1_3gpuE8ELNS1_3repE0EEENS1_30default_config_static_selectorELNS0_4arch9wavefront6targetE0EEEvT1_
; %bb.0:
	.section	.rodata,"a",@progbits
	.p2align	6, 0x0
	.amdhsa_kernel _ZN7rocprim17ROCPRIM_400000_NS6detail17trampoline_kernelINS0_14default_configENS1_25partition_config_selectorILNS1_17partition_subalgoE8ElNS0_10empty_typeEbEEZZNS1_14partition_implILS5_8ELb0ES3_jPlPS6_PKS6_NS0_5tupleIJS9_S6_EEENSD_IJSA_SA_EEENS0_18inequality_wrapperIZN2at6native12_GLOBAL__N_124unique_dim_cuda_templateItEESt5tupleIJNSH_6TensorESM_SM_EERKSM_lbbbEUlllE0_EEPmJS6_EEE10hipError_tPvRmT3_T4_T5_T6_T7_T9_mT8_P12ihipStream_tbDpT10_ENKUlT_T0_E_clISt17integral_constantIbLb1EES1B_IbLb0EEEEDaS17_S18_EUlS17_E_NS1_11comp_targetILNS1_3genE4ELNS1_11target_archE910ELNS1_3gpuE8ELNS1_3repE0EEENS1_30default_config_static_selectorELNS0_4arch9wavefront6targetE0EEEvT1_
		.amdhsa_group_segment_fixed_size 0
		.amdhsa_private_segment_fixed_size 0
		.amdhsa_kernarg_size 120
		.amdhsa_user_sgpr_count 2
		.amdhsa_user_sgpr_dispatch_ptr 0
		.amdhsa_user_sgpr_queue_ptr 0
		.amdhsa_user_sgpr_kernarg_segment_ptr 1
		.amdhsa_user_sgpr_dispatch_id 0
		.amdhsa_user_sgpr_kernarg_preload_length 0
		.amdhsa_user_sgpr_kernarg_preload_offset 0
		.amdhsa_user_sgpr_private_segment_size 0
		.amdhsa_wavefront_size32 1
		.amdhsa_uses_dynamic_stack 0
		.amdhsa_enable_private_segment 0
		.amdhsa_system_sgpr_workgroup_id_x 1
		.amdhsa_system_sgpr_workgroup_id_y 0
		.amdhsa_system_sgpr_workgroup_id_z 0
		.amdhsa_system_sgpr_workgroup_info 0
		.amdhsa_system_vgpr_workitem_id 0
		.amdhsa_next_free_vgpr 1
		.amdhsa_next_free_sgpr 1
		.amdhsa_named_barrier_count 0
		.amdhsa_reserve_vcc 0
		.amdhsa_float_round_mode_32 0
		.amdhsa_float_round_mode_16_64 0
		.amdhsa_float_denorm_mode_32 3
		.amdhsa_float_denorm_mode_16_64 3
		.amdhsa_fp16_overflow 0
		.amdhsa_memory_ordered 1
		.amdhsa_forward_progress 1
		.amdhsa_inst_pref_size 0
		.amdhsa_round_robin_scheduling 0
		.amdhsa_exception_fp_ieee_invalid_op 0
		.amdhsa_exception_fp_denorm_src 0
		.amdhsa_exception_fp_ieee_div_zero 0
		.amdhsa_exception_fp_ieee_overflow 0
		.amdhsa_exception_fp_ieee_underflow 0
		.amdhsa_exception_fp_ieee_inexact 0
		.amdhsa_exception_int_div_zero 0
	.end_amdhsa_kernel
	.section	.text._ZN7rocprim17ROCPRIM_400000_NS6detail17trampoline_kernelINS0_14default_configENS1_25partition_config_selectorILNS1_17partition_subalgoE8ElNS0_10empty_typeEbEEZZNS1_14partition_implILS5_8ELb0ES3_jPlPS6_PKS6_NS0_5tupleIJS9_S6_EEENSD_IJSA_SA_EEENS0_18inequality_wrapperIZN2at6native12_GLOBAL__N_124unique_dim_cuda_templateItEESt5tupleIJNSH_6TensorESM_SM_EERKSM_lbbbEUlllE0_EEPmJS6_EEE10hipError_tPvRmT3_T4_T5_T6_T7_T9_mT8_P12ihipStream_tbDpT10_ENKUlT_T0_E_clISt17integral_constantIbLb1EES1B_IbLb0EEEEDaS17_S18_EUlS17_E_NS1_11comp_targetILNS1_3genE4ELNS1_11target_archE910ELNS1_3gpuE8ELNS1_3repE0EEENS1_30default_config_static_selectorELNS0_4arch9wavefront6targetE0EEEvT1_,"axG",@progbits,_ZN7rocprim17ROCPRIM_400000_NS6detail17trampoline_kernelINS0_14default_configENS1_25partition_config_selectorILNS1_17partition_subalgoE8ElNS0_10empty_typeEbEEZZNS1_14partition_implILS5_8ELb0ES3_jPlPS6_PKS6_NS0_5tupleIJS9_S6_EEENSD_IJSA_SA_EEENS0_18inequality_wrapperIZN2at6native12_GLOBAL__N_124unique_dim_cuda_templateItEESt5tupleIJNSH_6TensorESM_SM_EERKSM_lbbbEUlllE0_EEPmJS6_EEE10hipError_tPvRmT3_T4_T5_T6_T7_T9_mT8_P12ihipStream_tbDpT10_ENKUlT_T0_E_clISt17integral_constantIbLb1EES1B_IbLb0EEEEDaS17_S18_EUlS17_E_NS1_11comp_targetILNS1_3genE4ELNS1_11target_archE910ELNS1_3gpuE8ELNS1_3repE0EEENS1_30default_config_static_selectorELNS0_4arch9wavefront6targetE0EEEvT1_,comdat
.Lfunc_end1437:
	.size	_ZN7rocprim17ROCPRIM_400000_NS6detail17trampoline_kernelINS0_14default_configENS1_25partition_config_selectorILNS1_17partition_subalgoE8ElNS0_10empty_typeEbEEZZNS1_14partition_implILS5_8ELb0ES3_jPlPS6_PKS6_NS0_5tupleIJS9_S6_EEENSD_IJSA_SA_EEENS0_18inequality_wrapperIZN2at6native12_GLOBAL__N_124unique_dim_cuda_templateItEESt5tupleIJNSH_6TensorESM_SM_EERKSM_lbbbEUlllE0_EEPmJS6_EEE10hipError_tPvRmT3_T4_T5_T6_T7_T9_mT8_P12ihipStream_tbDpT10_ENKUlT_T0_E_clISt17integral_constantIbLb1EES1B_IbLb0EEEEDaS17_S18_EUlS17_E_NS1_11comp_targetILNS1_3genE4ELNS1_11target_archE910ELNS1_3gpuE8ELNS1_3repE0EEENS1_30default_config_static_selectorELNS0_4arch9wavefront6targetE0EEEvT1_, .Lfunc_end1437-_ZN7rocprim17ROCPRIM_400000_NS6detail17trampoline_kernelINS0_14default_configENS1_25partition_config_selectorILNS1_17partition_subalgoE8ElNS0_10empty_typeEbEEZZNS1_14partition_implILS5_8ELb0ES3_jPlPS6_PKS6_NS0_5tupleIJS9_S6_EEENSD_IJSA_SA_EEENS0_18inequality_wrapperIZN2at6native12_GLOBAL__N_124unique_dim_cuda_templateItEESt5tupleIJNSH_6TensorESM_SM_EERKSM_lbbbEUlllE0_EEPmJS6_EEE10hipError_tPvRmT3_T4_T5_T6_T7_T9_mT8_P12ihipStream_tbDpT10_ENKUlT_T0_E_clISt17integral_constantIbLb1EES1B_IbLb0EEEEDaS17_S18_EUlS17_E_NS1_11comp_targetILNS1_3genE4ELNS1_11target_archE910ELNS1_3gpuE8ELNS1_3repE0EEENS1_30default_config_static_selectorELNS0_4arch9wavefront6targetE0EEEvT1_
                                        ; -- End function
	.set _ZN7rocprim17ROCPRIM_400000_NS6detail17trampoline_kernelINS0_14default_configENS1_25partition_config_selectorILNS1_17partition_subalgoE8ElNS0_10empty_typeEbEEZZNS1_14partition_implILS5_8ELb0ES3_jPlPS6_PKS6_NS0_5tupleIJS9_S6_EEENSD_IJSA_SA_EEENS0_18inequality_wrapperIZN2at6native12_GLOBAL__N_124unique_dim_cuda_templateItEESt5tupleIJNSH_6TensorESM_SM_EERKSM_lbbbEUlllE0_EEPmJS6_EEE10hipError_tPvRmT3_T4_T5_T6_T7_T9_mT8_P12ihipStream_tbDpT10_ENKUlT_T0_E_clISt17integral_constantIbLb1EES1B_IbLb0EEEEDaS17_S18_EUlS17_E_NS1_11comp_targetILNS1_3genE4ELNS1_11target_archE910ELNS1_3gpuE8ELNS1_3repE0EEENS1_30default_config_static_selectorELNS0_4arch9wavefront6targetE0EEEvT1_.num_vgpr, 0
	.set _ZN7rocprim17ROCPRIM_400000_NS6detail17trampoline_kernelINS0_14default_configENS1_25partition_config_selectorILNS1_17partition_subalgoE8ElNS0_10empty_typeEbEEZZNS1_14partition_implILS5_8ELb0ES3_jPlPS6_PKS6_NS0_5tupleIJS9_S6_EEENSD_IJSA_SA_EEENS0_18inequality_wrapperIZN2at6native12_GLOBAL__N_124unique_dim_cuda_templateItEESt5tupleIJNSH_6TensorESM_SM_EERKSM_lbbbEUlllE0_EEPmJS6_EEE10hipError_tPvRmT3_T4_T5_T6_T7_T9_mT8_P12ihipStream_tbDpT10_ENKUlT_T0_E_clISt17integral_constantIbLb1EES1B_IbLb0EEEEDaS17_S18_EUlS17_E_NS1_11comp_targetILNS1_3genE4ELNS1_11target_archE910ELNS1_3gpuE8ELNS1_3repE0EEENS1_30default_config_static_selectorELNS0_4arch9wavefront6targetE0EEEvT1_.num_agpr, 0
	.set _ZN7rocprim17ROCPRIM_400000_NS6detail17trampoline_kernelINS0_14default_configENS1_25partition_config_selectorILNS1_17partition_subalgoE8ElNS0_10empty_typeEbEEZZNS1_14partition_implILS5_8ELb0ES3_jPlPS6_PKS6_NS0_5tupleIJS9_S6_EEENSD_IJSA_SA_EEENS0_18inequality_wrapperIZN2at6native12_GLOBAL__N_124unique_dim_cuda_templateItEESt5tupleIJNSH_6TensorESM_SM_EERKSM_lbbbEUlllE0_EEPmJS6_EEE10hipError_tPvRmT3_T4_T5_T6_T7_T9_mT8_P12ihipStream_tbDpT10_ENKUlT_T0_E_clISt17integral_constantIbLb1EES1B_IbLb0EEEEDaS17_S18_EUlS17_E_NS1_11comp_targetILNS1_3genE4ELNS1_11target_archE910ELNS1_3gpuE8ELNS1_3repE0EEENS1_30default_config_static_selectorELNS0_4arch9wavefront6targetE0EEEvT1_.numbered_sgpr, 0
	.set _ZN7rocprim17ROCPRIM_400000_NS6detail17trampoline_kernelINS0_14default_configENS1_25partition_config_selectorILNS1_17partition_subalgoE8ElNS0_10empty_typeEbEEZZNS1_14partition_implILS5_8ELb0ES3_jPlPS6_PKS6_NS0_5tupleIJS9_S6_EEENSD_IJSA_SA_EEENS0_18inequality_wrapperIZN2at6native12_GLOBAL__N_124unique_dim_cuda_templateItEESt5tupleIJNSH_6TensorESM_SM_EERKSM_lbbbEUlllE0_EEPmJS6_EEE10hipError_tPvRmT3_T4_T5_T6_T7_T9_mT8_P12ihipStream_tbDpT10_ENKUlT_T0_E_clISt17integral_constantIbLb1EES1B_IbLb0EEEEDaS17_S18_EUlS17_E_NS1_11comp_targetILNS1_3genE4ELNS1_11target_archE910ELNS1_3gpuE8ELNS1_3repE0EEENS1_30default_config_static_selectorELNS0_4arch9wavefront6targetE0EEEvT1_.num_named_barrier, 0
	.set _ZN7rocprim17ROCPRIM_400000_NS6detail17trampoline_kernelINS0_14default_configENS1_25partition_config_selectorILNS1_17partition_subalgoE8ElNS0_10empty_typeEbEEZZNS1_14partition_implILS5_8ELb0ES3_jPlPS6_PKS6_NS0_5tupleIJS9_S6_EEENSD_IJSA_SA_EEENS0_18inequality_wrapperIZN2at6native12_GLOBAL__N_124unique_dim_cuda_templateItEESt5tupleIJNSH_6TensorESM_SM_EERKSM_lbbbEUlllE0_EEPmJS6_EEE10hipError_tPvRmT3_T4_T5_T6_T7_T9_mT8_P12ihipStream_tbDpT10_ENKUlT_T0_E_clISt17integral_constantIbLb1EES1B_IbLb0EEEEDaS17_S18_EUlS17_E_NS1_11comp_targetILNS1_3genE4ELNS1_11target_archE910ELNS1_3gpuE8ELNS1_3repE0EEENS1_30default_config_static_selectorELNS0_4arch9wavefront6targetE0EEEvT1_.private_seg_size, 0
	.set _ZN7rocprim17ROCPRIM_400000_NS6detail17trampoline_kernelINS0_14default_configENS1_25partition_config_selectorILNS1_17partition_subalgoE8ElNS0_10empty_typeEbEEZZNS1_14partition_implILS5_8ELb0ES3_jPlPS6_PKS6_NS0_5tupleIJS9_S6_EEENSD_IJSA_SA_EEENS0_18inequality_wrapperIZN2at6native12_GLOBAL__N_124unique_dim_cuda_templateItEESt5tupleIJNSH_6TensorESM_SM_EERKSM_lbbbEUlllE0_EEPmJS6_EEE10hipError_tPvRmT3_T4_T5_T6_T7_T9_mT8_P12ihipStream_tbDpT10_ENKUlT_T0_E_clISt17integral_constantIbLb1EES1B_IbLb0EEEEDaS17_S18_EUlS17_E_NS1_11comp_targetILNS1_3genE4ELNS1_11target_archE910ELNS1_3gpuE8ELNS1_3repE0EEENS1_30default_config_static_selectorELNS0_4arch9wavefront6targetE0EEEvT1_.uses_vcc, 0
	.set _ZN7rocprim17ROCPRIM_400000_NS6detail17trampoline_kernelINS0_14default_configENS1_25partition_config_selectorILNS1_17partition_subalgoE8ElNS0_10empty_typeEbEEZZNS1_14partition_implILS5_8ELb0ES3_jPlPS6_PKS6_NS0_5tupleIJS9_S6_EEENSD_IJSA_SA_EEENS0_18inequality_wrapperIZN2at6native12_GLOBAL__N_124unique_dim_cuda_templateItEESt5tupleIJNSH_6TensorESM_SM_EERKSM_lbbbEUlllE0_EEPmJS6_EEE10hipError_tPvRmT3_T4_T5_T6_T7_T9_mT8_P12ihipStream_tbDpT10_ENKUlT_T0_E_clISt17integral_constantIbLb1EES1B_IbLb0EEEEDaS17_S18_EUlS17_E_NS1_11comp_targetILNS1_3genE4ELNS1_11target_archE910ELNS1_3gpuE8ELNS1_3repE0EEENS1_30default_config_static_selectorELNS0_4arch9wavefront6targetE0EEEvT1_.uses_flat_scratch, 0
	.set _ZN7rocprim17ROCPRIM_400000_NS6detail17trampoline_kernelINS0_14default_configENS1_25partition_config_selectorILNS1_17partition_subalgoE8ElNS0_10empty_typeEbEEZZNS1_14partition_implILS5_8ELb0ES3_jPlPS6_PKS6_NS0_5tupleIJS9_S6_EEENSD_IJSA_SA_EEENS0_18inequality_wrapperIZN2at6native12_GLOBAL__N_124unique_dim_cuda_templateItEESt5tupleIJNSH_6TensorESM_SM_EERKSM_lbbbEUlllE0_EEPmJS6_EEE10hipError_tPvRmT3_T4_T5_T6_T7_T9_mT8_P12ihipStream_tbDpT10_ENKUlT_T0_E_clISt17integral_constantIbLb1EES1B_IbLb0EEEEDaS17_S18_EUlS17_E_NS1_11comp_targetILNS1_3genE4ELNS1_11target_archE910ELNS1_3gpuE8ELNS1_3repE0EEENS1_30default_config_static_selectorELNS0_4arch9wavefront6targetE0EEEvT1_.has_dyn_sized_stack, 0
	.set _ZN7rocprim17ROCPRIM_400000_NS6detail17trampoline_kernelINS0_14default_configENS1_25partition_config_selectorILNS1_17partition_subalgoE8ElNS0_10empty_typeEbEEZZNS1_14partition_implILS5_8ELb0ES3_jPlPS6_PKS6_NS0_5tupleIJS9_S6_EEENSD_IJSA_SA_EEENS0_18inequality_wrapperIZN2at6native12_GLOBAL__N_124unique_dim_cuda_templateItEESt5tupleIJNSH_6TensorESM_SM_EERKSM_lbbbEUlllE0_EEPmJS6_EEE10hipError_tPvRmT3_T4_T5_T6_T7_T9_mT8_P12ihipStream_tbDpT10_ENKUlT_T0_E_clISt17integral_constantIbLb1EES1B_IbLb0EEEEDaS17_S18_EUlS17_E_NS1_11comp_targetILNS1_3genE4ELNS1_11target_archE910ELNS1_3gpuE8ELNS1_3repE0EEENS1_30default_config_static_selectorELNS0_4arch9wavefront6targetE0EEEvT1_.has_recursion, 0
	.set _ZN7rocprim17ROCPRIM_400000_NS6detail17trampoline_kernelINS0_14default_configENS1_25partition_config_selectorILNS1_17partition_subalgoE8ElNS0_10empty_typeEbEEZZNS1_14partition_implILS5_8ELb0ES3_jPlPS6_PKS6_NS0_5tupleIJS9_S6_EEENSD_IJSA_SA_EEENS0_18inequality_wrapperIZN2at6native12_GLOBAL__N_124unique_dim_cuda_templateItEESt5tupleIJNSH_6TensorESM_SM_EERKSM_lbbbEUlllE0_EEPmJS6_EEE10hipError_tPvRmT3_T4_T5_T6_T7_T9_mT8_P12ihipStream_tbDpT10_ENKUlT_T0_E_clISt17integral_constantIbLb1EES1B_IbLb0EEEEDaS17_S18_EUlS17_E_NS1_11comp_targetILNS1_3genE4ELNS1_11target_archE910ELNS1_3gpuE8ELNS1_3repE0EEENS1_30default_config_static_selectorELNS0_4arch9wavefront6targetE0EEEvT1_.has_indirect_call, 0
	.section	.AMDGPU.csdata,"",@progbits
; Kernel info:
; codeLenInByte = 0
; TotalNumSgprs: 0
; NumVgprs: 0
; ScratchSize: 0
; MemoryBound: 0
; FloatMode: 240
; IeeeMode: 1
; LDSByteSize: 0 bytes/workgroup (compile time only)
; SGPRBlocks: 0
; VGPRBlocks: 0
; NumSGPRsForWavesPerEU: 1
; NumVGPRsForWavesPerEU: 1
; NamedBarCnt: 0
; Occupancy: 16
; WaveLimiterHint : 0
; COMPUTE_PGM_RSRC2:SCRATCH_EN: 0
; COMPUTE_PGM_RSRC2:USER_SGPR: 2
; COMPUTE_PGM_RSRC2:TRAP_HANDLER: 0
; COMPUTE_PGM_RSRC2:TGID_X_EN: 1
; COMPUTE_PGM_RSRC2:TGID_Y_EN: 0
; COMPUTE_PGM_RSRC2:TGID_Z_EN: 0
; COMPUTE_PGM_RSRC2:TIDIG_COMP_CNT: 0
	.section	.text._ZN7rocprim17ROCPRIM_400000_NS6detail17trampoline_kernelINS0_14default_configENS1_25partition_config_selectorILNS1_17partition_subalgoE8ElNS0_10empty_typeEbEEZZNS1_14partition_implILS5_8ELb0ES3_jPlPS6_PKS6_NS0_5tupleIJS9_S6_EEENSD_IJSA_SA_EEENS0_18inequality_wrapperIZN2at6native12_GLOBAL__N_124unique_dim_cuda_templateItEESt5tupleIJNSH_6TensorESM_SM_EERKSM_lbbbEUlllE0_EEPmJS6_EEE10hipError_tPvRmT3_T4_T5_T6_T7_T9_mT8_P12ihipStream_tbDpT10_ENKUlT_T0_E_clISt17integral_constantIbLb1EES1B_IbLb0EEEEDaS17_S18_EUlS17_E_NS1_11comp_targetILNS1_3genE3ELNS1_11target_archE908ELNS1_3gpuE7ELNS1_3repE0EEENS1_30default_config_static_selectorELNS0_4arch9wavefront6targetE0EEEvT1_,"axG",@progbits,_ZN7rocprim17ROCPRIM_400000_NS6detail17trampoline_kernelINS0_14default_configENS1_25partition_config_selectorILNS1_17partition_subalgoE8ElNS0_10empty_typeEbEEZZNS1_14partition_implILS5_8ELb0ES3_jPlPS6_PKS6_NS0_5tupleIJS9_S6_EEENSD_IJSA_SA_EEENS0_18inequality_wrapperIZN2at6native12_GLOBAL__N_124unique_dim_cuda_templateItEESt5tupleIJNSH_6TensorESM_SM_EERKSM_lbbbEUlllE0_EEPmJS6_EEE10hipError_tPvRmT3_T4_T5_T6_T7_T9_mT8_P12ihipStream_tbDpT10_ENKUlT_T0_E_clISt17integral_constantIbLb1EES1B_IbLb0EEEEDaS17_S18_EUlS17_E_NS1_11comp_targetILNS1_3genE3ELNS1_11target_archE908ELNS1_3gpuE7ELNS1_3repE0EEENS1_30default_config_static_selectorELNS0_4arch9wavefront6targetE0EEEvT1_,comdat
	.globl	_ZN7rocprim17ROCPRIM_400000_NS6detail17trampoline_kernelINS0_14default_configENS1_25partition_config_selectorILNS1_17partition_subalgoE8ElNS0_10empty_typeEbEEZZNS1_14partition_implILS5_8ELb0ES3_jPlPS6_PKS6_NS0_5tupleIJS9_S6_EEENSD_IJSA_SA_EEENS0_18inequality_wrapperIZN2at6native12_GLOBAL__N_124unique_dim_cuda_templateItEESt5tupleIJNSH_6TensorESM_SM_EERKSM_lbbbEUlllE0_EEPmJS6_EEE10hipError_tPvRmT3_T4_T5_T6_T7_T9_mT8_P12ihipStream_tbDpT10_ENKUlT_T0_E_clISt17integral_constantIbLb1EES1B_IbLb0EEEEDaS17_S18_EUlS17_E_NS1_11comp_targetILNS1_3genE3ELNS1_11target_archE908ELNS1_3gpuE7ELNS1_3repE0EEENS1_30default_config_static_selectorELNS0_4arch9wavefront6targetE0EEEvT1_ ; -- Begin function _ZN7rocprim17ROCPRIM_400000_NS6detail17trampoline_kernelINS0_14default_configENS1_25partition_config_selectorILNS1_17partition_subalgoE8ElNS0_10empty_typeEbEEZZNS1_14partition_implILS5_8ELb0ES3_jPlPS6_PKS6_NS0_5tupleIJS9_S6_EEENSD_IJSA_SA_EEENS0_18inequality_wrapperIZN2at6native12_GLOBAL__N_124unique_dim_cuda_templateItEESt5tupleIJNSH_6TensorESM_SM_EERKSM_lbbbEUlllE0_EEPmJS6_EEE10hipError_tPvRmT3_T4_T5_T6_T7_T9_mT8_P12ihipStream_tbDpT10_ENKUlT_T0_E_clISt17integral_constantIbLb1EES1B_IbLb0EEEEDaS17_S18_EUlS17_E_NS1_11comp_targetILNS1_3genE3ELNS1_11target_archE908ELNS1_3gpuE7ELNS1_3repE0EEENS1_30default_config_static_selectorELNS0_4arch9wavefront6targetE0EEEvT1_
	.p2align	8
	.type	_ZN7rocprim17ROCPRIM_400000_NS6detail17trampoline_kernelINS0_14default_configENS1_25partition_config_selectorILNS1_17partition_subalgoE8ElNS0_10empty_typeEbEEZZNS1_14partition_implILS5_8ELb0ES3_jPlPS6_PKS6_NS0_5tupleIJS9_S6_EEENSD_IJSA_SA_EEENS0_18inequality_wrapperIZN2at6native12_GLOBAL__N_124unique_dim_cuda_templateItEESt5tupleIJNSH_6TensorESM_SM_EERKSM_lbbbEUlllE0_EEPmJS6_EEE10hipError_tPvRmT3_T4_T5_T6_T7_T9_mT8_P12ihipStream_tbDpT10_ENKUlT_T0_E_clISt17integral_constantIbLb1EES1B_IbLb0EEEEDaS17_S18_EUlS17_E_NS1_11comp_targetILNS1_3genE3ELNS1_11target_archE908ELNS1_3gpuE7ELNS1_3repE0EEENS1_30default_config_static_selectorELNS0_4arch9wavefront6targetE0EEEvT1_,@function
_ZN7rocprim17ROCPRIM_400000_NS6detail17trampoline_kernelINS0_14default_configENS1_25partition_config_selectorILNS1_17partition_subalgoE8ElNS0_10empty_typeEbEEZZNS1_14partition_implILS5_8ELb0ES3_jPlPS6_PKS6_NS0_5tupleIJS9_S6_EEENSD_IJSA_SA_EEENS0_18inequality_wrapperIZN2at6native12_GLOBAL__N_124unique_dim_cuda_templateItEESt5tupleIJNSH_6TensorESM_SM_EERKSM_lbbbEUlllE0_EEPmJS6_EEE10hipError_tPvRmT3_T4_T5_T6_T7_T9_mT8_P12ihipStream_tbDpT10_ENKUlT_T0_E_clISt17integral_constantIbLb1EES1B_IbLb0EEEEDaS17_S18_EUlS17_E_NS1_11comp_targetILNS1_3genE3ELNS1_11target_archE908ELNS1_3gpuE7ELNS1_3repE0EEENS1_30default_config_static_selectorELNS0_4arch9wavefront6targetE0EEEvT1_: ; @_ZN7rocprim17ROCPRIM_400000_NS6detail17trampoline_kernelINS0_14default_configENS1_25partition_config_selectorILNS1_17partition_subalgoE8ElNS0_10empty_typeEbEEZZNS1_14partition_implILS5_8ELb0ES3_jPlPS6_PKS6_NS0_5tupleIJS9_S6_EEENSD_IJSA_SA_EEENS0_18inequality_wrapperIZN2at6native12_GLOBAL__N_124unique_dim_cuda_templateItEESt5tupleIJNSH_6TensorESM_SM_EERKSM_lbbbEUlllE0_EEPmJS6_EEE10hipError_tPvRmT3_T4_T5_T6_T7_T9_mT8_P12ihipStream_tbDpT10_ENKUlT_T0_E_clISt17integral_constantIbLb1EES1B_IbLb0EEEEDaS17_S18_EUlS17_E_NS1_11comp_targetILNS1_3genE3ELNS1_11target_archE908ELNS1_3gpuE7ELNS1_3repE0EEENS1_30default_config_static_selectorELNS0_4arch9wavefront6targetE0EEEvT1_
; %bb.0:
	.section	.rodata,"a",@progbits
	.p2align	6, 0x0
	.amdhsa_kernel _ZN7rocprim17ROCPRIM_400000_NS6detail17trampoline_kernelINS0_14default_configENS1_25partition_config_selectorILNS1_17partition_subalgoE8ElNS0_10empty_typeEbEEZZNS1_14partition_implILS5_8ELb0ES3_jPlPS6_PKS6_NS0_5tupleIJS9_S6_EEENSD_IJSA_SA_EEENS0_18inequality_wrapperIZN2at6native12_GLOBAL__N_124unique_dim_cuda_templateItEESt5tupleIJNSH_6TensorESM_SM_EERKSM_lbbbEUlllE0_EEPmJS6_EEE10hipError_tPvRmT3_T4_T5_T6_T7_T9_mT8_P12ihipStream_tbDpT10_ENKUlT_T0_E_clISt17integral_constantIbLb1EES1B_IbLb0EEEEDaS17_S18_EUlS17_E_NS1_11comp_targetILNS1_3genE3ELNS1_11target_archE908ELNS1_3gpuE7ELNS1_3repE0EEENS1_30default_config_static_selectorELNS0_4arch9wavefront6targetE0EEEvT1_
		.amdhsa_group_segment_fixed_size 0
		.amdhsa_private_segment_fixed_size 0
		.amdhsa_kernarg_size 120
		.amdhsa_user_sgpr_count 2
		.amdhsa_user_sgpr_dispatch_ptr 0
		.amdhsa_user_sgpr_queue_ptr 0
		.amdhsa_user_sgpr_kernarg_segment_ptr 1
		.amdhsa_user_sgpr_dispatch_id 0
		.amdhsa_user_sgpr_kernarg_preload_length 0
		.amdhsa_user_sgpr_kernarg_preload_offset 0
		.amdhsa_user_sgpr_private_segment_size 0
		.amdhsa_wavefront_size32 1
		.amdhsa_uses_dynamic_stack 0
		.amdhsa_enable_private_segment 0
		.amdhsa_system_sgpr_workgroup_id_x 1
		.amdhsa_system_sgpr_workgroup_id_y 0
		.amdhsa_system_sgpr_workgroup_id_z 0
		.amdhsa_system_sgpr_workgroup_info 0
		.amdhsa_system_vgpr_workitem_id 0
		.amdhsa_next_free_vgpr 1
		.amdhsa_next_free_sgpr 1
		.amdhsa_named_barrier_count 0
		.amdhsa_reserve_vcc 0
		.amdhsa_float_round_mode_32 0
		.amdhsa_float_round_mode_16_64 0
		.amdhsa_float_denorm_mode_32 3
		.amdhsa_float_denorm_mode_16_64 3
		.amdhsa_fp16_overflow 0
		.amdhsa_memory_ordered 1
		.amdhsa_forward_progress 1
		.amdhsa_inst_pref_size 0
		.amdhsa_round_robin_scheduling 0
		.amdhsa_exception_fp_ieee_invalid_op 0
		.amdhsa_exception_fp_denorm_src 0
		.amdhsa_exception_fp_ieee_div_zero 0
		.amdhsa_exception_fp_ieee_overflow 0
		.amdhsa_exception_fp_ieee_underflow 0
		.amdhsa_exception_fp_ieee_inexact 0
		.amdhsa_exception_int_div_zero 0
	.end_amdhsa_kernel
	.section	.text._ZN7rocprim17ROCPRIM_400000_NS6detail17trampoline_kernelINS0_14default_configENS1_25partition_config_selectorILNS1_17partition_subalgoE8ElNS0_10empty_typeEbEEZZNS1_14partition_implILS5_8ELb0ES3_jPlPS6_PKS6_NS0_5tupleIJS9_S6_EEENSD_IJSA_SA_EEENS0_18inequality_wrapperIZN2at6native12_GLOBAL__N_124unique_dim_cuda_templateItEESt5tupleIJNSH_6TensorESM_SM_EERKSM_lbbbEUlllE0_EEPmJS6_EEE10hipError_tPvRmT3_T4_T5_T6_T7_T9_mT8_P12ihipStream_tbDpT10_ENKUlT_T0_E_clISt17integral_constantIbLb1EES1B_IbLb0EEEEDaS17_S18_EUlS17_E_NS1_11comp_targetILNS1_3genE3ELNS1_11target_archE908ELNS1_3gpuE7ELNS1_3repE0EEENS1_30default_config_static_selectorELNS0_4arch9wavefront6targetE0EEEvT1_,"axG",@progbits,_ZN7rocprim17ROCPRIM_400000_NS6detail17trampoline_kernelINS0_14default_configENS1_25partition_config_selectorILNS1_17partition_subalgoE8ElNS0_10empty_typeEbEEZZNS1_14partition_implILS5_8ELb0ES3_jPlPS6_PKS6_NS0_5tupleIJS9_S6_EEENSD_IJSA_SA_EEENS0_18inequality_wrapperIZN2at6native12_GLOBAL__N_124unique_dim_cuda_templateItEESt5tupleIJNSH_6TensorESM_SM_EERKSM_lbbbEUlllE0_EEPmJS6_EEE10hipError_tPvRmT3_T4_T5_T6_T7_T9_mT8_P12ihipStream_tbDpT10_ENKUlT_T0_E_clISt17integral_constantIbLb1EES1B_IbLb0EEEEDaS17_S18_EUlS17_E_NS1_11comp_targetILNS1_3genE3ELNS1_11target_archE908ELNS1_3gpuE7ELNS1_3repE0EEENS1_30default_config_static_selectorELNS0_4arch9wavefront6targetE0EEEvT1_,comdat
.Lfunc_end1438:
	.size	_ZN7rocprim17ROCPRIM_400000_NS6detail17trampoline_kernelINS0_14default_configENS1_25partition_config_selectorILNS1_17partition_subalgoE8ElNS0_10empty_typeEbEEZZNS1_14partition_implILS5_8ELb0ES3_jPlPS6_PKS6_NS0_5tupleIJS9_S6_EEENSD_IJSA_SA_EEENS0_18inequality_wrapperIZN2at6native12_GLOBAL__N_124unique_dim_cuda_templateItEESt5tupleIJNSH_6TensorESM_SM_EERKSM_lbbbEUlllE0_EEPmJS6_EEE10hipError_tPvRmT3_T4_T5_T6_T7_T9_mT8_P12ihipStream_tbDpT10_ENKUlT_T0_E_clISt17integral_constantIbLb1EES1B_IbLb0EEEEDaS17_S18_EUlS17_E_NS1_11comp_targetILNS1_3genE3ELNS1_11target_archE908ELNS1_3gpuE7ELNS1_3repE0EEENS1_30default_config_static_selectorELNS0_4arch9wavefront6targetE0EEEvT1_, .Lfunc_end1438-_ZN7rocprim17ROCPRIM_400000_NS6detail17trampoline_kernelINS0_14default_configENS1_25partition_config_selectorILNS1_17partition_subalgoE8ElNS0_10empty_typeEbEEZZNS1_14partition_implILS5_8ELb0ES3_jPlPS6_PKS6_NS0_5tupleIJS9_S6_EEENSD_IJSA_SA_EEENS0_18inequality_wrapperIZN2at6native12_GLOBAL__N_124unique_dim_cuda_templateItEESt5tupleIJNSH_6TensorESM_SM_EERKSM_lbbbEUlllE0_EEPmJS6_EEE10hipError_tPvRmT3_T4_T5_T6_T7_T9_mT8_P12ihipStream_tbDpT10_ENKUlT_T0_E_clISt17integral_constantIbLb1EES1B_IbLb0EEEEDaS17_S18_EUlS17_E_NS1_11comp_targetILNS1_3genE3ELNS1_11target_archE908ELNS1_3gpuE7ELNS1_3repE0EEENS1_30default_config_static_selectorELNS0_4arch9wavefront6targetE0EEEvT1_
                                        ; -- End function
	.set _ZN7rocprim17ROCPRIM_400000_NS6detail17trampoline_kernelINS0_14default_configENS1_25partition_config_selectorILNS1_17partition_subalgoE8ElNS0_10empty_typeEbEEZZNS1_14partition_implILS5_8ELb0ES3_jPlPS6_PKS6_NS0_5tupleIJS9_S6_EEENSD_IJSA_SA_EEENS0_18inequality_wrapperIZN2at6native12_GLOBAL__N_124unique_dim_cuda_templateItEESt5tupleIJNSH_6TensorESM_SM_EERKSM_lbbbEUlllE0_EEPmJS6_EEE10hipError_tPvRmT3_T4_T5_T6_T7_T9_mT8_P12ihipStream_tbDpT10_ENKUlT_T0_E_clISt17integral_constantIbLb1EES1B_IbLb0EEEEDaS17_S18_EUlS17_E_NS1_11comp_targetILNS1_3genE3ELNS1_11target_archE908ELNS1_3gpuE7ELNS1_3repE0EEENS1_30default_config_static_selectorELNS0_4arch9wavefront6targetE0EEEvT1_.num_vgpr, 0
	.set _ZN7rocprim17ROCPRIM_400000_NS6detail17trampoline_kernelINS0_14default_configENS1_25partition_config_selectorILNS1_17partition_subalgoE8ElNS0_10empty_typeEbEEZZNS1_14partition_implILS5_8ELb0ES3_jPlPS6_PKS6_NS0_5tupleIJS9_S6_EEENSD_IJSA_SA_EEENS0_18inequality_wrapperIZN2at6native12_GLOBAL__N_124unique_dim_cuda_templateItEESt5tupleIJNSH_6TensorESM_SM_EERKSM_lbbbEUlllE0_EEPmJS6_EEE10hipError_tPvRmT3_T4_T5_T6_T7_T9_mT8_P12ihipStream_tbDpT10_ENKUlT_T0_E_clISt17integral_constantIbLb1EES1B_IbLb0EEEEDaS17_S18_EUlS17_E_NS1_11comp_targetILNS1_3genE3ELNS1_11target_archE908ELNS1_3gpuE7ELNS1_3repE0EEENS1_30default_config_static_selectorELNS0_4arch9wavefront6targetE0EEEvT1_.num_agpr, 0
	.set _ZN7rocprim17ROCPRIM_400000_NS6detail17trampoline_kernelINS0_14default_configENS1_25partition_config_selectorILNS1_17partition_subalgoE8ElNS0_10empty_typeEbEEZZNS1_14partition_implILS5_8ELb0ES3_jPlPS6_PKS6_NS0_5tupleIJS9_S6_EEENSD_IJSA_SA_EEENS0_18inequality_wrapperIZN2at6native12_GLOBAL__N_124unique_dim_cuda_templateItEESt5tupleIJNSH_6TensorESM_SM_EERKSM_lbbbEUlllE0_EEPmJS6_EEE10hipError_tPvRmT3_T4_T5_T6_T7_T9_mT8_P12ihipStream_tbDpT10_ENKUlT_T0_E_clISt17integral_constantIbLb1EES1B_IbLb0EEEEDaS17_S18_EUlS17_E_NS1_11comp_targetILNS1_3genE3ELNS1_11target_archE908ELNS1_3gpuE7ELNS1_3repE0EEENS1_30default_config_static_selectorELNS0_4arch9wavefront6targetE0EEEvT1_.numbered_sgpr, 0
	.set _ZN7rocprim17ROCPRIM_400000_NS6detail17trampoline_kernelINS0_14default_configENS1_25partition_config_selectorILNS1_17partition_subalgoE8ElNS0_10empty_typeEbEEZZNS1_14partition_implILS5_8ELb0ES3_jPlPS6_PKS6_NS0_5tupleIJS9_S6_EEENSD_IJSA_SA_EEENS0_18inequality_wrapperIZN2at6native12_GLOBAL__N_124unique_dim_cuda_templateItEESt5tupleIJNSH_6TensorESM_SM_EERKSM_lbbbEUlllE0_EEPmJS6_EEE10hipError_tPvRmT3_T4_T5_T6_T7_T9_mT8_P12ihipStream_tbDpT10_ENKUlT_T0_E_clISt17integral_constantIbLb1EES1B_IbLb0EEEEDaS17_S18_EUlS17_E_NS1_11comp_targetILNS1_3genE3ELNS1_11target_archE908ELNS1_3gpuE7ELNS1_3repE0EEENS1_30default_config_static_selectorELNS0_4arch9wavefront6targetE0EEEvT1_.num_named_barrier, 0
	.set _ZN7rocprim17ROCPRIM_400000_NS6detail17trampoline_kernelINS0_14default_configENS1_25partition_config_selectorILNS1_17partition_subalgoE8ElNS0_10empty_typeEbEEZZNS1_14partition_implILS5_8ELb0ES3_jPlPS6_PKS6_NS0_5tupleIJS9_S6_EEENSD_IJSA_SA_EEENS0_18inequality_wrapperIZN2at6native12_GLOBAL__N_124unique_dim_cuda_templateItEESt5tupleIJNSH_6TensorESM_SM_EERKSM_lbbbEUlllE0_EEPmJS6_EEE10hipError_tPvRmT3_T4_T5_T6_T7_T9_mT8_P12ihipStream_tbDpT10_ENKUlT_T0_E_clISt17integral_constantIbLb1EES1B_IbLb0EEEEDaS17_S18_EUlS17_E_NS1_11comp_targetILNS1_3genE3ELNS1_11target_archE908ELNS1_3gpuE7ELNS1_3repE0EEENS1_30default_config_static_selectorELNS0_4arch9wavefront6targetE0EEEvT1_.private_seg_size, 0
	.set _ZN7rocprim17ROCPRIM_400000_NS6detail17trampoline_kernelINS0_14default_configENS1_25partition_config_selectorILNS1_17partition_subalgoE8ElNS0_10empty_typeEbEEZZNS1_14partition_implILS5_8ELb0ES3_jPlPS6_PKS6_NS0_5tupleIJS9_S6_EEENSD_IJSA_SA_EEENS0_18inequality_wrapperIZN2at6native12_GLOBAL__N_124unique_dim_cuda_templateItEESt5tupleIJNSH_6TensorESM_SM_EERKSM_lbbbEUlllE0_EEPmJS6_EEE10hipError_tPvRmT3_T4_T5_T6_T7_T9_mT8_P12ihipStream_tbDpT10_ENKUlT_T0_E_clISt17integral_constantIbLb1EES1B_IbLb0EEEEDaS17_S18_EUlS17_E_NS1_11comp_targetILNS1_3genE3ELNS1_11target_archE908ELNS1_3gpuE7ELNS1_3repE0EEENS1_30default_config_static_selectorELNS0_4arch9wavefront6targetE0EEEvT1_.uses_vcc, 0
	.set _ZN7rocprim17ROCPRIM_400000_NS6detail17trampoline_kernelINS0_14default_configENS1_25partition_config_selectorILNS1_17partition_subalgoE8ElNS0_10empty_typeEbEEZZNS1_14partition_implILS5_8ELb0ES3_jPlPS6_PKS6_NS0_5tupleIJS9_S6_EEENSD_IJSA_SA_EEENS0_18inequality_wrapperIZN2at6native12_GLOBAL__N_124unique_dim_cuda_templateItEESt5tupleIJNSH_6TensorESM_SM_EERKSM_lbbbEUlllE0_EEPmJS6_EEE10hipError_tPvRmT3_T4_T5_T6_T7_T9_mT8_P12ihipStream_tbDpT10_ENKUlT_T0_E_clISt17integral_constantIbLb1EES1B_IbLb0EEEEDaS17_S18_EUlS17_E_NS1_11comp_targetILNS1_3genE3ELNS1_11target_archE908ELNS1_3gpuE7ELNS1_3repE0EEENS1_30default_config_static_selectorELNS0_4arch9wavefront6targetE0EEEvT1_.uses_flat_scratch, 0
	.set _ZN7rocprim17ROCPRIM_400000_NS6detail17trampoline_kernelINS0_14default_configENS1_25partition_config_selectorILNS1_17partition_subalgoE8ElNS0_10empty_typeEbEEZZNS1_14partition_implILS5_8ELb0ES3_jPlPS6_PKS6_NS0_5tupleIJS9_S6_EEENSD_IJSA_SA_EEENS0_18inequality_wrapperIZN2at6native12_GLOBAL__N_124unique_dim_cuda_templateItEESt5tupleIJNSH_6TensorESM_SM_EERKSM_lbbbEUlllE0_EEPmJS6_EEE10hipError_tPvRmT3_T4_T5_T6_T7_T9_mT8_P12ihipStream_tbDpT10_ENKUlT_T0_E_clISt17integral_constantIbLb1EES1B_IbLb0EEEEDaS17_S18_EUlS17_E_NS1_11comp_targetILNS1_3genE3ELNS1_11target_archE908ELNS1_3gpuE7ELNS1_3repE0EEENS1_30default_config_static_selectorELNS0_4arch9wavefront6targetE0EEEvT1_.has_dyn_sized_stack, 0
	.set _ZN7rocprim17ROCPRIM_400000_NS6detail17trampoline_kernelINS0_14default_configENS1_25partition_config_selectorILNS1_17partition_subalgoE8ElNS0_10empty_typeEbEEZZNS1_14partition_implILS5_8ELb0ES3_jPlPS6_PKS6_NS0_5tupleIJS9_S6_EEENSD_IJSA_SA_EEENS0_18inequality_wrapperIZN2at6native12_GLOBAL__N_124unique_dim_cuda_templateItEESt5tupleIJNSH_6TensorESM_SM_EERKSM_lbbbEUlllE0_EEPmJS6_EEE10hipError_tPvRmT3_T4_T5_T6_T7_T9_mT8_P12ihipStream_tbDpT10_ENKUlT_T0_E_clISt17integral_constantIbLb1EES1B_IbLb0EEEEDaS17_S18_EUlS17_E_NS1_11comp_targetILNS1_3genE3ELNS1_11target_archE908ELNS1_3gpuE7ELNS1_3repE0EEENS1_30default_config_static_selectorELNS0_4arch9wavefront6targetE0EEEvT1_.has_recursion, 0
	.set _ZN7rocprim17ROCPRIM_400000_NS6detail17trampoline_kernelINS0_14default_configENS1_25partition_config_selectorILNS1_17partition_subalgoE8ElNS0_10empty_typeEbEEZZNS1_14partition_implILS5_8ELb0ES3_jPlPS6_PKS6_NS0_5tupleIJS9_S6_EEENSD_IJSA_SA_EEENS0_18inequality_wrapperIZN2at6native12_GLOBAL__N_124unique_dim_cuda_templateItEESt5tupleIJNSH_6TensorESM_SM_EERKSM_lbbbEUlllE0_EEPmJS6_EEE10hipError_tPvRmT3_T4_T5_T6_T7_T9_mT8_P12ihipStream_tbDpT10_ENKUlT_T0_E_clISt17integral_constantIbLb1EES1B_IbLb0EEEEDaS17_S18_EUlS17_E_NS1_11comp_targetILNS1_3genE3ELNS1_11target_archE908ELNS1_3gpuE7ELNS1_3repE0EEENS1_30default_config_static_selectorELNS0_4arch9wavefront6targetE0EEEvT1_.has_indirect_call, 0
	.section	.AMDGPU.csdata,"",@progbits
; Kernel info:
; codeLenInByte = 0
; TotalNumSgprs: 0
; NumVgprs: 0
; ScratchSize: 0
; MemoryBound: 0
; FloatMode: 240
; IeeeMode: 1
; LDSByteSize: 0 bytes/workgroup (compile time only)
; SGPRBlocks: 0
; VGPRBlocks: 0
; NumSGPRsForWavesPerEU: 1
; NumVGPRsForWavesPerEU: 1
; NamedBarCnt: 0
; Occupancy: 16
; WaveLimiterHint : 0
; COMPUTE_PGM_RSRC2:SCRATCH_EN: 0
; COMPUTE_PGM_RSRC2:USER_SGPR: 2
; COMPUTE_PGM_RSRC2:TRAP_HANDLER: 0
; COMPUTE_PGM_RSRC2:TGID_X_EN: 1
; COMPUTE_PGM_RSRC2:TGID_Y_EN: 0
; COMPUTE_PGM_RSRC2:TGID_Z_EN: 0
; COMPUTE_PGM_RSRC2:TIDIG_COMP_CNT: 0
	.section	.text._ZN7rocprim17ROCPRIM_400000_NS6detail17trampoline_kernelINS0_14default_configENS1_25partition_config_selectorILNS1_17partition_subalgoE8ElNS0_10empty_typeEbEEZZNS1_14partition_implILS5_8ELb0ES3_jPlPS6_PKS6_NS0_5tupleIJS9_S6_EEENSD_IJSA_SA_EEENS0_18inequality_wrapperIZN2at6native12_GLOBAL__N_124unique_dim_cuda_templateItEESt5tupleIJNSH_6TensorESM_SM_EERKSM_lbbbEUlllE0_EEPmJS6_EEE10hipError_tPvRmT3_T4_T5_T6_T7_T9_mT8_P12ihipStream_tbDpT10_ENKUlT_T0_E_clISt17integral_constantIbLb1EES1B_IbLb0EEEEDaS17_S18_EUlS17_E_NS1_11comp_targetILNS1_3genE2ELNS1_11target_archE906ELNS1_3gpuE6ELNS1_3repE0EEENS1_30default_config_static_selectorELNS0_4arch9wavefront6targetE0EEEvT1_,"axG",@progbits,_ZN7rocprim17ROCPRIM_400000_NS6detail17trampoline_kernelINS0_14default_configENS1_25partition_config_selectorILNS1_17partition_subalgoE8ElNS0_10empty_typeEbEEZZNS1_14partition_implILS5_8ELb0ES3_jPlPS6_PKS6_NS0_5tupleIJS9_S6_EEENSD_IJSA_SA_EEENS0_18inequality_wrapperIZN2at6native12_GLOBAL__N_124unique_dim_cuda_templateItEESt5tupleIJNSH_6TensorESM_SM_EERKSM_lbbbEUlllE0_EEPmJS6_EEE10hipError_tPvRmT3_T4_T5_T6_T7_T9_mT8_P12ihipStream_tbDpT10_ENKUlT_T0_E_clISt17integral_constantIbLb1EES1B_IbLb0EEEEDaS17_S18_EUlS17_E_NS1_11comp_targetILNS1_3genE2ELNS1_11target_archE906ELNS1_3gpuE6ELNS1_3repE0EEENS1_30default_config_static_selectorELNS0_4arch9wavefront6targetE0EEEvT1_,comdat
	.globl	_ZN7rocprim17ROCPRIM_400000_NS6detail17trampoline_kernelINS0_14default_configENS1_25partition_config_selectorILNS1_17partition_subalgoE8ElNS0_10empty_typeEbEEZZNS1_14partition_implILS5_8ELb0ES3_jPlPS6_PKS6_NS0_5tupleIJS9_S6_EEENSD_IJSA_SA_EEENS0_18inequality_wrapperIZN2at6native12_GLOBAL__N_124unique_dim_cuda_templateItEESt5tupleIJNSH_6TensorESM_SM_EERKSM_lbbbEUlllE0_EEPmJS6_EEE10hipError_tPvRmT3_T4_T5_T6_T7_T9_mT8_P12ihipStream_tbDpT10_ENKUlT_T0_E_clISt17integral_constantIbLb1EES1B_IbLb0EEEEDaS17_S18_EUlS17_E_NS1_11comp_targetILNS1_3genE2ELNS1_11target_archE906ELNS1_3gpuE6ELNS1_3repE0EEENS1_30default_config_static_selectorELNS0_4arch9wavefront6targetE0EEEvT1_ ; -- Begin function _ZN7rocprim17ROCPRIM_400000_NS6detail17trampoline_kernelINS0_14default_configENS1_25partition_config_selectorILNS1_17partition_subalgoE8ElNS0_10empty_typeEbEEZZNS1_14partition_implILS5_8ELb0ES3_jPlPS6_PKS6_NS0_5tupleIJS9_S6_EEENSD_IJSA_SA_EEENS0_18inequality_wrapperIZN2at6native12_GLOBAL__N_124unique_dim_cuda_templateItEESt5tupleIJNSH_6TensorESM_SM_EERKSM_lbbbEUlllE0_EEPmJS6_EEE10hipError_tPvRmT3_T4_T5_T6_T7_T9_mT8_P12ihipStream_tbDpT10_ENKUlT_T0_E_clISt17integral_constantIbLb1EES1B_IbLb0EEEEDaS17_S18_EUlS17_E_NS1_11comp_targetILNS1_3genE2ELNS1_11target_archE906ELNS1_3gpuE6ELNS1_3repE0EEENS1_30default_config_static_selectorELNS0_4arch9wavefront6targetE0EEEvT1_
	.p2align	8
	.type	_ZN7rocprim17ROCPRIM_400000_NS6detail17trampoline_kernelINS0_14default_configENS1_25partition_config_selectorILNS1_17partition_subalgoE8ElNS0_10empty_typeEbEEZZNS1_14partition_implILS5_8ELb0ES3_jPlPS6_PKS6_NS0_5tupleIJS9_S6_EEENSD_IJSA_SA_EEENS0_18inequality_wrapperIZN2at6native12_GLOBAL__N_124unique_dim_cuda_templateItEESt5tupleIJNSH_6TensorESM_SM_EERKSM_lbbbEUlllE0_EEPmJS6_EEE10hipError_tPvRmT3_T4_T5_T6_T7_T9_mT8_P12ihipStream_tbDpT10_ENKUlT_T0_E_clISt17integral_constantIbLb1EES1B_IbLb0EEEEDaS17_S18_EUlS17_E_NS1_11comp_targetILNS1_3genE2ELNS1_11target_archE906ELNS1_3gpuE6ELNS1_3repE0EEENS1_30default_config_static_selectorELNS0_4arch9wavefront6targetE0EEEvT1_,@function
_ZN7rocprim17ROCPRIM_400000_NS6detail17trampoline_kernelINS0_14default_configENS1_25partition_config_selectorILNS1_17partition_subalgoE8ElNS0_10empty_typeEbEEZZNS1_14partition_implILS5_8ELb0ES3_jPlPS6_PKS6_NS0_5tupleIJS9_S6_EEENSD_IJSA_SA_EEENS0_18inequality_wrapperIZN2at6native12_GLOBAL__N_124unique_dim_cuda_templateItEESt5tupleIJNSH_6TensorESM_SM_EERKSM_lbbbEUlllE0_EEPmJS6_EEE10hipError_tPvRmT3_T4_T5_T6_T7_T9_mT8_P12ihipStream_tbDpT10_ENKUlT_T0_E_clISt17integral_constantIbLb1EES1B_IbLb0EEEEDaS17_S18_EUlS17_E_NS1_11comp_targetILNS1_3genE2ELNS1_11target_archE906ELNS1_3gpuE6ELNS1_3repE0EEENS1_30default_config_static_selectorELNS0_4arch9wavefront6targetE0EEEvT1_: ; @_ZN7rocprim17ROCPRIM_400000_NS6detail17trampoline_kernelINS0_14default_configENS1_25partition_config_selectorILNS1_17partition_subalgoE8ElNS0_10empty_typeEbEEZZNS1_14partition_implILS5_8ELb0ES3_jPlPS6_PKS6_NS0_5tupleIJS9_S6_EEENSD_IJSA_SA_EEENS0_18inequality_wrapperIZN2at6native12_GLOBAL__N_124unique_dim_cuda_templateItEESt5tupleIJNSH_6TensorESM_SM_EERKSM_lbbbEUlllE0_EEPmJS6_EEE10hipError_tPvRmT3_T4_T5_T6_T7_T9_mT8_P12ihipStream_tbDpT10_ENKUlT_T0_E_clISt17integral_constantIbLb1EES1B_IbLb0EEEEDaS17_S18_EUlS17_E_NS1_11comp_targetILNS1_3genE2ELNS1_11target_archE906ELNS1_3gpuE6ELNS1_3repE0EEENS1_30default_config_static_selectorELNS0_4arch9wavefront6targetE0EEEvT1_
; %bb.0:
	.section	.rodata,"a",@progbits
	.p2align	6, 0x0
	.amdhsa_kernel _ZN7rocprim17ROCPRIM_400000_NS6detail17trampoline_kernelINS0_14default_configENS1_25partition_config_selectorILNS1_17partition_subalgoE8ElNS0_10empty_typeEbEEZZNS1_14partition_implILS5_8ELb0ES3_jPlPS6_PKS6_NS0_5tupleIJS9_S6_EEENSD_IJSA_SA_EEENS0_18inequality_wrapperIZN2at6native12_GLOBAL__N_124unique_dim_cuda_templateItEESt5tupleIJNSH_6TensorESM_SM_EERKSM_lbbbEUlllE0_EEPmJS6_EEE10hipError_tPvRmT3_T4_T5_T6_T7_T9_mT8_P12ihipStream_tbDpT10_ENKUlT_T0_E_clISt17integral_constantIbLb1EES1B_IbLb0EEEEDaS17_S18_EUlS17_E_NS1_11comp_targetILNS1_3genE2ELNS1_11target_archE906ELNS1_3gpuE6ELNS1_3repE0EEENS1_30default_config_static_selectorELNS0_4arch9wavefront6targetE0EEEvT1_
		.amdhsa_group_segment_fixed_size 0
		.amdhsa_private_segment_fixed_size 0
		.amdhsa_kernarg_size 120
		.amdhsa_user_sgpr_count 2
		.amdhsa_user_sgpr_dispatch_ptr 0
		.amdhsa_user_sgpr_queue_ptr 0
		.amdhsa_user_sgpr_kernarg_segment_ptr 1
		.amdhsa_user_sgpr_dispatch_id 0
		.amdhsa_user_sgpr_kernarg_preload_length 0
		.amdhsa_user_sgpr_kernarg_preload_offset 0
		.amdhsa_user_sgpr_private_segment_size 0
		.amdhsa_wavefront_size32 1
		.amdhsa_uses_dynamic_stack 0
		.amdhsa_enable_private_segment 0
		.amdhsa_system_sgpr_workgroup_id_x 1
		.amdhsa_system_sgpr_workgroup_id_y 0
		.amdhsa_system_sgpr_workgroup_id_z 0
		.amdhsa_system_sgpr_workgroup_info 0
		.amdhsa_system_vgpr_workitem_id 0
		.amdhsa_next_free_vgpr 1
		.amdhsa_next_free_sgpr 1
		.amdhsa_named_barrier_count 0
		.amdhsa_reserve_vcc 0
		.amdhsa_float_round_mode_32 0
		.amdhsa_float_round_mode_16_64 0
		.amdhsa_float_denorm_mode_32 3
		.amdhsa_float_denorm_mode_16_64 3
		.amdhsa_fp16_overflow 0
		.amdhsa_memory_ordered 1
		.amdhsa_forward_progress 1
		.amdhsa_inst_pref_size 0
		.amdhsa_round_robin_scheduling 0
		.amdhsa_exception_fp_ieee_invalid_op 0
		.amdhsa_exception_fp_denorm_src 0
		.amdhsa_exception_fp_ieee_div_zero 0
		.amdhsa_exception_fp_ieee_overflow 0
		.amdhsa_exception_fp_ieee_underflow 0
		.amdhsa_exception_fp_ieee_inexact 0
		.amdhsa_exception_int_div_zero 0
	.end_amdhsa_kernel
	.section	.text._ZN7rocprim17ROCPRIM_400000_NS6detail17trampoline_kernelINS0_14default_configENS1_25partition_config_selectorILNS1_17partition_subalgoE8ElNS0_10empty_typeEbEEZZNS1_14partition_implILS5_8ELb0ES3_jPlPS6_PKS6_NS0_5tupleIJS9_S6_EEENSD_IJSA_SA_EEENS0_18inequality_wrapperIZN2at6native12_GLOBAL__N_124unique_dim_cuda_templateItEESt5tupleIJNSH_6TensorESM_SM_EERKSM_lbbbEUlllE0_EEPmJS6_EEE10hipError_tPvRmT3_T4_T5_T6_T7_T9_mT8_P12ihipStream_tbDpT10_ENKUlT_T0_E_clISt17integral_constantIbLb1EES1B_IbLb0EEEEDaS17_S18_EUlS17_E_NS1_11comp_targetILNS1_3genE2ELNS1_11target_archE906ELNS1_3gpuE6ELNS1_3repE0EEENS1_30default_config_static_selectorELNS0_4arch9wavefront6targetE0EEEvT1_,"axG",@progbits,_ZN7rocprim17ROCPRIM_400000_NS6detail17trampoline_kernelINS0_14default_configENS1_25partition_config_selectorILNS1_17partition_subalgoE8ElNS0_10empty_typeEbEEZZNS1_14partition_implILS5_8ELb0ES3_jPlPS6_PKS6_NS0_5tupleIJS9_S6_EEENSD_IJSA_SA_EEENS0_18inequality_wrapperIZN2at6native12_GLOBAL__N_124unique_dim_cuda_templateItEESt5tupleIJNSH_6TensorESM_SM_EERKSM_lbbbEUlllE0_EEPmJS6_EEE10hipError_tPvRmT3_T4_T5_T6_T7_T9_mT8_P12ihipStream_tbDpT10_ENKUlT_T0_E_clISt17integral_constantIbLb1EES1B_IbLb0EEEEDaS17_S18_EUlS17_E_NS1_11comp_targetILNS1_3genE2ELNS1_11target_archE906ELNS1_3gpuE6ELNS1_3repE0EEENS1_30default_config_static_selectorELNS0_4arch9wavefront6targetE0EEEvT1_,comdat
.Lfunc_end1439:
	.size	_ZN7rocprim17ROCPRIM_400000_NS6detail17trampoline_kernelINS0_14default_configENS1_25partition_config_selectorILNS1_17partition_subalgoE8ElNS0_10empty_typeEbEEZZNS1_14partition_implILS5_8ELb0ES3_jPlPS6_PKS6_NS0_5tupleIJS9_S6_EEENSD_IJSA_SA_EEENS0_18inequality_wrapperIZN2at6native12_GLOBAL__N_124unique_dim_cuda_templateItEESt5tupleIJNSH_6TensorESM_SM_EERKSM_lbbbEUlllE0_EEPmJS6_EEE10hipError_tPvRmT3_T4_T5_T6_T7_T9_mT8_P12ihipStream_tbDpT10_ENKUlT_T0_E_clISt17integral_constantIbLb1EES1B_IbLb0EEEEDaS17_S18_EUlS17_E_NS1_11comp_targetILNS1_3genE2ELNS1_11target_archE906ELNS1_3gpuE6ELNS1_3repE0EEENS1_30default_config_static_selectorELNS0_4arch9wavefront6targetE0EEEvT1_, .Lfunc_end1439-_ZN7rocprim17ROCPRIM_400000_NS6detail17trampoline_kernelINS0_14default_configENS1_25partition_config_selectorILNS1_17partition_subalgoE8ElNS0_10empty_typeEbEEZZNS1_14partition_implILS5_8ELb0ES3_jPlPS6_PKS6_NS0_5tupleIJS9_S6_EEENSD_IJSA_SA_EEENS0_18inequality_wrapperIZN2at6native12_GLOBAL__N_124unique_dim_cuda_templateItEESt5tupleIJNSH_6TensorESM_SM_EERKSM_lbbbEUlllE0_EEPmJS6_EEE10hipError_tPvRmT3_T4_T5_T6_T7_T9_mT8_P12ihipStream_tbDpT10_ENKUlT_T0_E_clISt17integral_constantIbLb1EES1B_IbLb0EEEEDaS17_S18_EUlS17_E_NS1_11comp_targetILNS1_3genE2ELNS1_11target_archE906ELNS1_3gpuE6ELNS1_3repE0EEENS1_30default_config_static_selectorELNS0_4arch9wavefront6targetE0EEEvT1_
                                        ; -- End function
	.set _ZN7rocprim17ROCPRIM_400000_NS6detail17trampoline_kernelINS0_14default_configENS1_25partition_config_selectorILNS1_17partition_subalgoE8ElNS0_10empty_typeEbEEZZNS1_14partition_implILS5_8ELb0ES3_jPlPS6_PKS6_NS0_5tupleIJS9_S6_EEENSD_IJSA_SA_EEENS0_18inequality_wrapperIZN2at6native12_GLOBAL__N_124unique_dim_cuda_templateItEESt5tupleIJNSH_6TensorESM_SM_EERKSM_lbbbEUlllE0_EEPmJS6_EEE10hipError_tPvRmT3_T4_T5_T6_T7_T9_mT8_P12ihipStream_tbDpT10_ENKUlT_T0_E_clISt17integral_constantIbLb1EES1B_IbLb0EEEEDaS17_S18_EUlS17_E_NS1_11comp_targetILNS1_3genE2ELNS1_11target_archE906ELNS1_3gpuE6ELNS1_3repE0EEENS1_30default_config_static_selectorELNS0_4arch9wavefront6targetE0EEEvT1_.num_vgpr, 0
	.set _ZN7rocprim17ROCPRIM_400000_NS6detail17trampoline_kernelINS0_14default_configENS1_25partition_config_selectorILNS1_17partition_subalgoE8ElNS0_10empty_typeEbEEZZNS1_14partition_implILS5_8ELb0ES3_jPlPS6_PKS6_NS0_5tupleIJS9_S6_EEENSD_IJSA_SA_EEENS0_18inequality_wrapperIZN2at6native12_GLOBAL__N_124unique_dim_cuda_templateItEESt5tupleIJNSH_6TensorESM_SM_EERKSM_lbbbEUlllE0_EEPmJS6_EEE10hipError_tPvRmT3_T4_T5_T6_T7_T9_mT8_P12ihipStream_tbDpT10_ENKUlT_T0_E_clISt17integral_constantIbLb1EES1B_IbLb0EEEEDaS17_S18_EUlS17_E_NS1_11comp_targetILNS1_3genE2ELNS1_11target_archE906ELNS1_3gpuE6ELNS1_3repE0EEENS1_30default_config_static_selectorELNS0_4arch9wavefront6targetE0EEEvT1_.num_agpr, 0
	.set _ZN7rocprim17ROCPRIM_400000_NS6detail17trampoline_kernelINS0_14default_configENS1_25partition_config_selectorILNS1_17partition_subalgoE8ElNS0_10empty_typeEbEEZZNS1_14partition_implILS5_8ELb0ES3_jPlPS6_PKS6_NS0_5tupleIJS9_S6_EEENSD_IJSA_SA_EEENS0_18inequality_wrapperIZN2at6native12_GLOBAL__N_124unique_dim_cuda_templateItEESt5tupleIJNSH_6TensorESM_SM_EERKSM_lbbbEUlllE0_EEPmJS6_EEE10hipError_tPvRmT3_T4_T5_T6_T7_T9_mT8_P12ihipStream_tbDpT10_ENKUlT_T0_E_clISt17integral_constantIbLb1EES1B_IbLb0EEEEDaS17_S18_EUlS17_E_NS1_11comp_targetILNS1_3genE2ELNS1_11target_archE906ELNS1_3gpuE6ELNS1_3repE0EEENS1_30default_config_static_selectorELNS0_4arch9wavefront6targetE0EEEvT1_.numbered_sgpr, 0
	.set _ZN7rocprim17ROCPRIM_400000_NS6detail17trampoline_kernelINS0_14default_configENS1_25partition_config_selectorILNS1_17partition_subalgoE8ElNS0_10empty_typeEbEEZZNS1_14partition_implILS5_8ELb0ES3_jPlPS6_PKS6_NS0_5tupleIJS9_S6_EEENSD_IJSA_SA_EEENS0_18inequality_wrapperIZN2at6native12_GLOBAL__N_124unique_dim_cuda_templateItEESt5tupleIJNSH_6TensorESM_SM_EERKSM_lbbbEUlllE0_EEPmJS6_EEE10hipError_tPvRmT3_T4_T5_T6_T7_T9_mT8_P12ihipStream_tbDpT10_ENKUlT_T0_E_clISt17integral_constantIbLb1EES1B_IbLb0EEEEDaS17_S18_EUlS17_E_NS1_11comp_targetILNS1_3genE2ELNS1_11target_archE906ELNS1_3gpuE6ELNS1_3repE0EEENS1_30default_config_static_selectorELNS0_4arch9wavefront6targetE0EEEvT1_.num_named_barrier, 0
	.set _ZN7rocprim17ROCPRIM_400000_NS6detail17trampoline_kernelINS0_14default_configENS1_25partition_config_selectorILNS1_17partition_subalgoE8ElNS0_10empty_typeEbEEZZNS1_14partition_implILS5_8ELb0ES3_jPlPS6_PKS6_NS0_5tupleIJS9_S6_EEENSD_IJSA_SA_EEENS0_18inequality_wrapperIZN2at6native12_GLOBAL__N_124unique_dim_cuda_templateItEESt5tupleIJNSH_6TensorESM_SM_EERKSM_lbbbEUlllE0_EEPmJS6_EEE10hipError_tPvRmT3_T4_T5_T6_T7_T9_mT8_P12ihipStream_tbDpT10_ENKUlT_T0_E_clISt17integral_constantIbLb1EES1B_IbLb0EEEEDaS17_S18_EUlS17_E_NS1_11comp_targetILNS1_3genE2ELNS1_11target_archE906ELNS1_3gpuE6ELNS1_3repE0EEENS1_30default_config_static_selectorELNS0_4arch9wavefront6targetE0EEEvT1_.private_seg_size, 0
	.set _ZN7rocprim17ROCPRIM_400000_NS6detail17trampoline_kernelINS0_14default_configENS1_25partition_config_selectorILNS1_17partition_subalgoE8ElNS0_10empty_typeEbEEZZNS1_14partition_implILS5_8ELb0ES3_jPlPS6_PKS6_NS0_5tupleIJS9_S6_EEENSD_IJSA_SA_EEENS0_18inequality_wrapperIZN2at6native12_GLOBAL__N_124unique_dim_cuda_templateItEESt5tupleIJNSH_6TensorESM_SM_EERKSM_lbbbEUlllE0_EEPmJS6_EEE10hipError_tPvRmT3_T4_T5_T6_T7_T9_mT8_P12ihipStream_tbDpT10_ENKUlT_T0_E_clISt17integral_constantIbLb1EES1B_IbLb0EEEEDaS17_S18_EUlS17_E_NS1_11comp_targetILNS1_3genE2ELNS1_11target_archE906ELNS1_3gpuE6ELNS1_3repE0EEENS1_30default_config_static_selectorELNS0_4arch9wavefront6targetE0EEEvT1_.uses_vcc, 0
	.set _ZN7rocprim17ROCPRIM_400000_NS6detail17trampoline_kernelINS0_14default_configENS1_25partition_config_selectorILNS1_17partition_subalgoE8ElNS0_10empty_typeEbEEZZNS1_14partition_implILS5_8ELb0ES3_jPlPS6_PKS6_NS0_5tupleIJS9_S6_EEENSD_IJSA_SA_EEENS0_18inequality_wrapperIZN2at6native12_GLOBAL__N_124unique_dim_cuda_templateItEESt5tupleIJNSH_6TensorESM_SM_EERKSM_lbbbEUlllE0_EEPmJS6_EEE10hipError_tPvRmT3_T4_T5_T6_T7_T9_mT8_P12ihipStream_tbDpT10_ENKUlT_T0_E_clISt17integral_constantIbLb1EES1B_IbLb0EEEEDaS17_S18_EUlS17_E_NS1_11comp_targetILNS1_3genE2ELNS1_11target_archE906ELNS1_3gpuE6ELNS1_3repE0EEENS1_30default_config_static_selectorELNS0_4arch9wavefront6targetE0EEEvT1_.uses_flat_scratch, 0
	.set _ZN7rocprim17ROCPRIM_400000_NS6detail17trampoline_kernelINS0_14default_configENS1_25partition_config_selectorILNS1_17partition_subalgoE8ElNS0_10empty_typeEbEEZZNS1_14partition_implILS5_8ELb0ES3_jPlPS6_PKS6_NS0_5tupleIJS9_S6_EEENSD_IJSA_SA_EEENS0_18inequality_wrapperIZN2at6native12_GLOBAL__N_124unique_dim_cuda_templateItEESt5tupleIJNSH_6TensorESM_SM_EERKSM_lbbbEUlllE0_EEPmJS6_EEE10hipError_tPvRmT3_T4_T5_T6_T7_T9_mT8_P12ihipStream_tbDpT10_ENKUlT_T0_E_clISt17integral_constantIbLb1EES1B_IbLb0EEEEDaS17_S18_EUlS17_E_NS1_11comp_targetILNS1_3genE2ELNS1_11target_archE906ELNS1_3gpuE6ELNS1_3repE0EEENS1_30default_config_static_selectorELNS0_4arch9wavefront6targetE0EEEvT1_.has_dyn_sized_stack, 0
	.set _ZN7rocprim17ROCPRIM_400000_NS6detail17trampoline_kernelINS0_14default_configENS1_25partition_config_selectorILNS1_17partition_subalgoE8ElNS0_10empty_typeEbEEZZNS1_14partition_implILS5_8ELb0ES3_jPlPS6_PKS6_NS0_5tupleIJS9_S6_EEENSD_IJSA_SA_EEENS0_18inequality_wrapperIZN2at6native12_GLOBAL__N_124unique_dim_cuda_templateItEESt5tupleIJNSH_6TensorESM_SM_EERKSM_lbbbEUlllE0_EEPmJS6_EEE10hipError_tPvRmT3_T4_T5_T6_T7_T9_mT8_P12ihipStream_tbDpT10_ENKUlT_T0_E_clISt17integral_constantIbLb1EES1B_IbLb0EEEEDaS17_S18_EUlS17_E_NS1_11comp_targetILNS1_3genE2ELNS1_11target_archE906ELNS1_3gpuE6ELNS1_3repE0EEENS1_30default_config_static_selectorELNS0_4arch9wavefront6targetE0EEEvT1_.has_recursion, 0
	.set _ZN7rocprim17ROCPRIM_400000_NS6detail17trampoline_kernelINS0_14default_configENS1_25partition_config_selectorILNS1_17partition_subalgoE8ElNS0_10empty_typeEbEEZZNS1_14partition_implILS5_8ELb0ES3_jPlPS6_PKS6_NS0_5tupleIJS9_S6_EEENSD_IJSA_SA_EEENS0_18inequality_wrapperIZN2at6native12_GLOBAL__N_124unique_dim_cuda_templateItEESt5tupleIJNSH_6TensorESM_SM_EERKSM_lbbbEUlllE0_EEPmJS6_EEE10hipError_tPvRmT3_T4_T5_T6_T7_T9_mT8_P12ihipStream_tbDpT10_ENKUlT_T0_E_clISt17integral_constantIbLb1EES1B_IbLb0EEEEDaS17_S18_EUlS17_E_NS1_11comp_targetILNS1_3genE2ELNS1_11target_archE906ELNS1_3gpuE6ELNS1_3repE0EEENS1_30default_config_static_selectorELNS0_4arch9wavefront6targetE0EEEvT1_.has_indirect_call, 0
	.section	.AMDGPU.csdata,"",@progbits
; Kernel info:
; codeLenInByte = 0
; TotalNumSgprs: 0
; NumVgprs: 0
; ScratchSize: 0
; MemoryBound: 0
; FloatMode: 240
; IeeeMode: 1
; LDSByteSize: 0 bytes/workgroup (compile time only)
; SGPRBlocks: 0
; VGPRBlocks: 0
; NumSGPRsForWavesPerEU: 1
; NumVGPRsForWavesPerEU: 1
; NamedBarCnt: 0
; Occupancy: 16
; WaveLimiterHint : 0
; COMPUTE_PGM_RSRC2:SCRATCH_EN: 0
; COMPUTE_PGM_RSRC2:USER_SGPR: 2
; COMPUTE_PGM_RSRC2:TRAP_HANDLER: 0
; COMPUTE_PGM_RSRC2:TGID_X_EN: 1
; COMPUTE_PGM_RSRC2:TGID_Y_EN: 0
; COMPUTE_PGM_RSRC2:TGID_Z_EN: 0
; COMPUTE_PGM_RSRC2:TIDIG_COMP_CNT: 0
	.section	.text._ZN7rocprim17ROCPRIM_400000_NS6detail17trampoline_kernelINS0_14default_configENS1_25partition_config_selectorILNS1_17partition_subalgoE8ElNS0_10empty_typeEbEEZZNS1_14partition_implILS5_8ELb0ES3_jPlPS6_PKS6_NS0_5tupleIJS9_S6_EEENSD_IJSA_SA_EEENS0_18inequality_wrapperIZN2at6native12_GLOBAL__N_124unique_dim_cuda_templateItEESt5tupleIJNSH_6TensorESM_SM_EERKSM_lbbbEUlllE0_EEPmJS6_EEE10hipError_tPvRmT3_T4_T5_T6_T7_T9_mT8_P12ihipStream_tbDpT10_ENKUlT_T0_E_clISt17integral_constantIbLb1EES1B_IbLb0EEEEDaS17_S18_EUlS17_E_NS1_11comp_targetILNS1_3genE10ELNS1_11target_archE1200ELNS1_3gpuE4ELNS1_3repE0EEENS1_30default_config_static_selectorELNS0_4arch9wavefront6targetE0EEEvT1_,"axG",@progbits,_ZN7rocprim17ROCPRIM_400000_NS6detail17trampoline_kernelINS0_14default_configENS1_25partition_config_selectorILNS1_17partition_subalgoE8ElNS0_10empty_typeEbEEZZNS1_14partition_implILS5_8ELb0ES3_jPlPS6_PKS6_NS0_5tupleIJS9_S6_EEENSD_IJSA_SA_EEENS0_18inequality_wrapperIZN2at6native12_GLOBAL__N_124unique_dim_cuda_templateItEESt5tupleIJNSH_6TensorESM_SM_EERKSM_lbbbEUlllE0_EEPmJS6_EEE10hipError_tPvRmT3_T4_T5_T6_T7_T9_mT8_P12ihipStream_tbDpT10_ENKUlT_T0_E_clISt17integral_constantIbLb1EES1B_IbLb0EEEEDaS17_S18_EUlS17_E_NS1_11comp_targetILNS1_3genE10ELNS1_11target_archE1200ELNS1_3gpuE4ELNS1_3repE0EEENS1_30default_config_static_selectorELNS0_4arch9wavefront6targetE0EEEvT1_,comdat
	.globl	_ZN7rocprim17ROCPRIM_400000_NS6detail17trampoline_kernelINS0_14default_configENS1_25partition_config_selectorILNS1_17partition_subalgoE8ElNS0_10empty_typeEbEEZZNS1_14partition_implILS5_8ELb0ES3_jPlPS6_PKS6_NS0_5tupleIJS9_S6_EEENSD_IJSA_SA_EEENS0_18inequality_wrapperIZN2at6native12_GLOBAL__N_124unique_dim_cuda_templateItEESt5tupleIJNSH_6TensorESM_SM_EERKSM_lbbbEUlllE0_EEPmJS6_EEE10hipError_tPvRmT3_T4_T5_T6_T7_T9_mT8_P12ihipStream_tbDpT10_ENKUlT_T0_E_clISt17integral_constantIbLb1EES1B_IbLb0EEEEDaS17_S18_EUlS17_E_NS1_11comp_targetILNS1_3genE10ELNS1_11target_archE1200ELNS1_3gpuE4ELNS1_3repE0EEENS1_30default_config_static_selectorELNS0_4arch9wavefront6targetE0EEEvT1_ ; -- Begin function _ZN7rocprim17ROCPRIM_400000_NS6detail17trampoline_kernelINS0_14default_configENS1_25partition_config_selectorILNS1_17partition_subalgoE8ElNS0_10empty_typeEbEEZZNS1_14partition_implILS5_8ELb0ES3_jPlPS6_PKS6_NS0_5tupleIJS9_S6_EEENSD_IJSA_SA_EEENS0_18inequality_wrapperIZN2at6native12_GLOBAL__N_124unique_dim_cuda_templateItEESt5tupleIJNSH_6TensorESM_SM_EERKSM_lbbbEUlllE0_EEPmJS6_EEE10hipError_tPvRmT3_T4_T5_T6_T7_T9_mT8_P12ihipStream_tbDpT10_ENKUlT_T0_E_clISt17integral_constantIbLb1EES1B_IbLb0EEEEDaS17_S18_EUlS17_E_NS1_11comp_targetILNS1_3genE10ELNS1_11target_archE1200ELNS1_3gpuE4ELNS1_3repE0EEENS1_30default_config_static_selectorELNS0_4arch9wavefront6targetE0EEEvT1_
	.p2align	8
	.type	_ZN7rocprim17ROCPRIM_400000_NS6detail17trampoline_kernelINS0_14default_configENS1_25partition_config_selectorILNS1_17partition_subalgoE8ElNS0_10empty_typeEbEEZZNS1_14partition_implILS5_8ELb0ES3_jPlPS6_PKS6_NS0_5tupleIJS9_S6_EEENSD_IJSA_SA_EEENS0_18inequality_wrapperIZN2at6native12_GLOBAL__N_124unique_dim_cuda_templateItEESt5tupleIJNSH_6TensorESM_SM_EERKSM_lbbbEUlllE0_EEPmJS6_EEE10hipError_tPvRmT3_T4_T5_T6_T7_T9_mT8_P12ihipStream_tbDpT10_ENKUlT_T0_E_clISt17integral_constantIbLb1EES1B_IbLb0EEEEDaS17_S18_EUlS17_E_NS1_11comp_targetILNS1_3genE10ELNS1_11target_archE1200ELNS1_3gpuE4ELNS1_3repE0EEENS1_30default_config_static_selectorELNS0_4arch9wavefront6targetE0EEEvT1_,@function
_ZN7rocprim17ROCPRIM_400000_NS6detail17trampoline_kernelINS0_14default_configENS1_25partition_config_selectorILNS1_17partition_subalgoE8ElNS0_10empty_typeEbEEZZNS1_14partition_implILS5_8ELb0ES3_jPlPS6_PKS6_NS0_5tupleIJS9_S6_EEENSD_IJSA_SA_EEENS0_18inequality_wrapperIZN2at6native12_GLOBAL__N_124unique_dim_cuda_templateItEESt5tupleIJNSH_6TensorESM_SM_EERKSM_lbbbEUlllE0_EEPmJS6_EEE10hipError_tPvRmT3_T4_T5_T6_T7_T9_mT8_P12ihipStream_tbDpT10_ENKUlT_T0_E_clISt17integral_constantIbLb1EES1B_IbLb0EEEEDaS17_S18_EUlS17_E_NS1_11comp_targetILNS1_3genE10ELNS1_11target_archE1200ELNS1_3gpuE4ELNS1_3repE0EEENS1_30default_config_static_selectorELNS0_4arch9wavefront6targetE0EEEvT1_: ; @_ZN7rocprim17ROCPRIM_400000_NS6detail17trampoline_kernelINS0_14default_configENS1_25partition_config_selectorILNS1_17partition_subalgoE8ElNS0_10empty_typeEbEEZZNS1_14partition_implILS5_8ELb0ES3_jPlPS6_PKS6_NS0_5tupleIJS9_S6_EEENSD_IJSA_SA_EEENS0_18inequality_wrapperIZN2at6native12_GLOBAL__N_124unique_dim_cuda_templateItEESt5tupleIJNSH_6TensorESM_SM_EERKSM_lbbbEUlllE0_EEPmJS6_EEE10hipError_tPvRmT3_T4_T5_T6_T7_T9_mT8_P12ihipStream_tbDpT10_ENKUlT_T0_E_clISt17integral_constantIbLb1EES1B_IbLb0EEEEDaS17_S18_EUlS17_E_NS1_11comp_targetILNS1_3genE10ELNS1_11target_archE1200ELNS1_3gpuE4ELNS1_3repE0EEENS1_30default_config_static_selectorELNS0_4arch9wavefront6targetE0EEEvT1_
; %bb.0:
	.section	.rodata,"a",@progbits
	.p2align	6, 0x0
	.amdhsa_kernel _ZN7rocprim17ROCPRIM_400000_NS6detail17trampoline_kernelINS0_14default_configENS1_25partition_config_selectorILNS1_17partition_subalgoE8ElNS0_10empty_typeEbEEZZNS1_14partition_implILS5_8ELb0ES3_jPlPS6_PKS6_NS0_5tupleIJS9_S6_EEENSD_IJSA_SA_EEENS0_18inequality_wrapperIZN2at6native12_GLOBAL__N_124unique_dim_cuda_templateItEESt5tupleIJNSH_6TensorESM_SM_EERKSM_lbbbEUlllE0_EEPmJS6_EEE10hipError_tPvRmT3_T4_T5_T6_T7_T9_mT8_P12ihipStream_tbDpT10_ENKUlT_T0_E_clISt17integral_constantIbLb1EES1B_IbLb0EEEEDaS17_S18_EUlS17_E_NS1_11comp_targetILNS1_3genE10ELNS1_11target_archE1200ELNS1_3gpuE4ELNS1_3repE0EEENS1_30default_config_static_selectorELNS0_4arch9wavefront6targetE0EEEvT1_
		.amdhsa_group_segment_fixed_size 0
		.amdhsa_private_segment_fixed_size 0
		.amdhsa_kernarg_size 120
		.amdhsa_user_sgpr_count 2
		.amdhsa_user_sgpr_dispatch_ptr 0
		.amdhsa_user_sgpr_queue_ptr 0
		.amdhsa_user_sgpr_kernarg_segment_ptr 1
		.amdhsa_user_sgpr_dispatch_id 0
		.amdhsa_user_sgpr_kernarg_preload_length 0
		.amdhsa_user_sgpr_kernarg_preload_offset 0
		.amdhsa_user_sgpr_private_segment_size 0
		.amdhsa_wavefront_size32 1
		.amdhsa_uses_dynamic_stack 0
		.amdhsa_enable_private_segment 0
		.amdhsa_system_sgpr_workgroup_id_x 1
		.amdhsa_system_sgpr_workgroup_id_y 0
		.amdhsa_system_sgpr_workgroup_id_z 0
		.amdhsa_system_sgpr_workgroup_info 0
		.amdhsa_system_vgpr_workitem_id 0
		.amdhsa_next_free_vgpr 1
		.amdhsa_next_free_sgpr 1
		.amdhsa_named_barrier_count 0
		.amdhsa_reserve_vcc 0
		.amdhsa_float_round_mode_32 0
		.amdhsa_float_round_mode_16_64 0
		.amdhsa_float_denorm_mode_32 3
		.amdhsa_float_denorm_mode_16_64 3
		.amdhsa_fp16_overflow 0
		.amdhsa_memory_ordered 1
		.amdhsa_forward_progress 1
		.amdhsa_inst_pref_size 0
		.amdhsa_round_robin_scheduling 0
		.amdhsa_exception_fp_ieee_invalid_op 0
		.amdhsa_exception_fp_denorm_src 0
		.amdhsa_exception_fp_ieee_div_zero 0
		.amdhsa_exception_fp_ieee_overflow 0
		.amdhsa_exception_fp_ieee_underflow 0
		.amdhsa_exception_fp_ieee_inexact 0
		.amdhsa_exception_int_div_zero 0
	.end_amdhsa_kernel
	.section	.text._ZN7rocprim17ROCPRIM_400000_NS6detail17trampoline_kernelINS0_14default_configENS1_25partition_config_selectorILNS1_17partition_subalgoE8ElNS0_10empty_typeEbEEZZNS1_14partition_implILS5_8ELb0ES3_jPlPS6_PKS6_NS0_5tupleIJS9_S6_EEENSD_IJSA_SA_EEENS0_18inequality_wrapperIZN2at6native12_GLOBAL__N_124unique_dim_cuda_templateItEESt5tupleIJNSH_6TensorESM_SM_EERKSM_lbbbEUlllE0_EEPmJS6_EEE10hipError_tPvRmT3_T4_T5_T6_T7_T9_mT8_P12ihipStream_tbDpT10_ENKUlT_T0_E_clISt17integral_constantIbLb1EES1B_IbLb0EEEEDaS17_S18_EUlS17_E_NS1_11comp_targetILNS1_3genE10ELNS1_11target_archE1200ELNS1_3gpuE4ELNS1_3repE0EEENS1_30default_config_static_selectorELNS0_4arch9wavefront6targetE0EEEvT1_,"axG",@progbits,_ZN7rocprim17ROCPRIM_400000_NS6detail17trampoline_kernelINS0_14default_configENS1_25partition_config_selectorILNS1_17partition_subalgoE8ElNS0_10empty_typeEbEEZZNS1_14partition_implILS5_8ELb0ES3_jPlPS6_PKS6_NS0_5tupleIJS9_S6_EEENSD_IJSA_SA_EEENS0_18inequality_wrapperIZN2at6native12_GLOBAL__N_124unique_dim_cuda_templateItEESt5tupleIJNSH_6TensorESM_SM_EERKSM_lbbbEUlllE0_EEPmJS6_EEE10hipError_tPvRmT3_T4_T5_T6_T7_T9_mT8_P12ihipStream_tbDpT10_ENKUlT_T0_E_clISt17integral_constantIbLb1EES1B_IbLb0EEEEDaS17_S18_EUlS17_E_NS1_11comp_targetILNS1_3genE10ELNS1_11target_archE1200ELNS1_3gpuE4ELNS1_3repE0EEENS1_30default_config_static_selectorELNS0_4arch9wavefront6targetE0EEEvT1_,comdat
.Lfunc_end1440:
	.size	_ZN7rocprim17ROCPRIM_400000_NS6detail17trampoline_kernelINS0_14default_configENS1_25partition_config_selectorILNS1_17partition_subalgoE8ElNS0_10empty_typeEbEEZZNS1_14partition_implILS5_8ELb0ES3_jPlPS6_PKS6_NS0_5tupleIJS9_S6_EEENSD_IJSA_SA_EEENS0_18inequality_wrapperIZN2at6native12_GLOBAL__N_124unique_dim_cuda_templateItEESt5tupleIJNSH_6TensorESM_SM_EERKSM_lbbbEUlllE0_EEPmJS6_EEE10hipError_tPvRmT3_T4_T5_T6_T7_T9_mT8_P12ihipStream_tbDpT10_ENKUlT_T0_E_clISt17integral_constantIbLb1EES1B_IbLb0EEEEDaS17_S18_EUlS17_E_NS1_11comp_targetILNS1_3genE10ELNS1_11target_archE1200ELNS1_3gpuE4ELNS1_3repE0EEENS1_30default_config_static_selectorELNS0_4arch9wavefront6targetE0EEEvT1_, .Lfunc_end1440-_ZN7rocprim17ROCPRIM_400000_NS6detail17trampoline_kernelINS0_14default_configENS1_25partition_config_selectorILNS1_17partition_subalgoE8ElNS0_10empty_typeEbEEZZNS1_14partition_implILS5_8ELb0ES3_jPlPS6_PKS6_NS0_5tupleIJS9_S6_EEENSD_IJSA_SA_EEENS0_18inequality_wrapperIZN2at6native12_GLOBAL__N_124unique_dim_cuda_templateItEESt5tupleIJNSH_6TensorESM_SM_EERKSM_lbbbEUlllE0_EEPmJS6_EEE10hipError_tPvRmT3_T4_T5_T6_T7_T9_mT8_P12ihipStream_tbDpT10_ENKUlT_T0_E_clISt17integral_constantIbLb1EES1B_IbLb0EEEEDaS17_S18_EUlS17_E_NS1_11comp_targetILNS1_3genE10ELNS1_11target_archE1200ELNS1_3gpuE4ELNS1_3repE0EEENS1_30default_config_static_selectorELNS0_4arch9wavefront6targetE0EEEvT1_
                                        ; -- End function
	.set _ZN7rocprim17ROCPRIM_400000_NS6detail17trampoline_kernelINS0_14default_configENS1_25partition_config_selectorILNS1_17partition_subalgoE8ElNS0_10empty_typeEbEEZZNS1_14partition_implILS5_8ELb0ES3_jPlPS6_PKS6_NS0_5tupleIJS9_S6_EEENSD_IJSA_SA_EEENS0_18inequality_wrapperIZN2at6native12_GLOBAL__N_124unique_dim_cuda_templateItEESt5tupleIJNSH_6TensorESM_SM_EERKSM_lbbbEUlllE0_EEPmJS6_EEE10hipError_tPvRmT3_T4_T5_T6_T7_T9_mT8_P12ihipStream_tbDpT10_ENKUlT_T0_E_clISt17integral_constantIbLb1EES1B_IbLb0EEEEDaS17_S18_EUlS17_E_NS1_11comp_targetILNS1_3genE10ELNS1_11target_archE1200ELNS1_3gpuE4ELNS1_3repE0EEENS1_30default_config_static_selectorELNS0_4arch9wavefront6targetE0EEEvT1_.num_vgpr, 0
	.set _ZN7rocprim17ROCPRIM_400000_NS6detail17trampoline_kernelINS0_14default_configENS1_25partition_config_selectorILNS1_17partition_subalgoE8ElNS0_10empty_typeEbEEZZNS1_14partition_implILS5_8ELb0ES3_jPlPS6_PKS6_NS0_5tupleIJS9_S6_EEENSD_IJSA_SA_EEENS0_18inequality_wrapperIZN2at6native12_GLOBAL__N_124unique_dim_cuda_templateItEESt5tupleIJNSH_6TensorESM_SM_EERKSM_lbbbEUlllE0_EEPmJS6_EEE10hipError_tPvRmT3_T4_T5_T6_T7_T9_mT8_P12ihipStream_tbDpT10_ENKUlT_T0_E_clISt17integral_constantIbLb1EES1B_IbLb0EEEEDaS17_S18_EUlS17_E_NS1_11comp_targetILNS1_3genE10ELNS1_11target_archE1200ELNS1_3gpuE4ELNS1_3repE0EEENS1_30default_config_static_selectorELNS0_4arch9wavefront6targetE0EEEvT1_.num_agpr, 0
	.set _ZN7rocprim17ROCPRIM_400000_NS6detail17trampoline_kernelINS0_14default_configENS1_25partition_config_selectorILNS1_17partition_subalgoE8ElNS0_10empty_typeEbEEZZNS1_14partition_implILS5_8ELb0ES3_jPlPS6_PKS6_NS0_5tupleIJS9_S6_EEENSD_IJSA_SA_EEENS0_18inequality_wrapperIZN2at6native12_GLOBAL__N_124unique_dim_cuda_templateItEESt5tupleIJNSH_6TensorESM_SM_EERKSM_lbbbEUlllE0_EEPmJS6_EEE10hipError_tPvRmT3_T4_T5_T6_T7_T9_mT8_P12ihipStream_tbDpT10_ENKUlT_T0_E_clISt17integral_constantIbLb1EES1B_IbLb0EEEEDaS17_S18_EUlS17_E_NS1_11comp_targetILNS1_3genE10ELNS1_11target_archE1200ELNS1_3gpuE4ELNS1_3repE0EEENS1_30default_config_static_selectorELNS0_4arch9wavefront6targetE0EEEvT1_.numbered_sgpr, 0
	.set _ZN7rocprim17ROCPRIM_400000_NS6detail17trampoline_kernelINS0_14default_configENS1_25partition_config_selectorILNS1_17partition_subalgoE8ElNS0_10empty_typeEbEEZZNS1_14partition_implILS5_8ELb0ES3_jPlPS6_PKS6_NS0_5tupleIJS9_S6_EEENSD_IJSA_SA_EEENS0_18inequality_wrapperIZN2at6native12_GLOBAL__N_124unique_dim_cuda_templateItEESt5tupleIJNSH_6TensorESM_SM_EERKSM_lbbbEUlllE0_EEPmJS6_EEE10hipError_tPvRmT3_T4_T5_T6_T7_T9_mT8_P12ihipStream_tbDpT10_ENKUlT_T0_E_clISt17integral_constantIbLb1EES1B_IbLb0EEEEDaS17_S18_EUlS17_E_NS1_11comp_targetILNS1_3genE10ELNS1_11target_archE1200ELNS1_3gpuE4ELNS1_3repE0EEENS1_30default_config_static_selectorELNS0_4arch9wavefront6targetE0EEEvT1_.num_named_barrier, 0
	.set _ZN7rocprim17ROCPRIM_400000_NS6detail17trampoline_kernelINS0_14default_configENS1_25partition_config_selectorILNS1_17partition_subalgoE8ElNS0_10empty_typeEbEEZZNS1_14partition_implILS5_8ELb0ES3_jPlPS6_PKS6_NS0_5tupleIJS9_S6_EEENSD_IJSA_SA_EEENS0_18inequality_wrapperIZN2at6native12_GLOBAL__N_124unique_dim_cuda_templateItEESt5tupleIJNSH_6TensorESM_SM_EERKSM_lbbbEUlllE0_EEPmJS6_EEE10hipError_tPvRmT3_T4_T5_T6_T7_T9_mT8_P12ihipStream_tbDpT10_ENKUlT_T0_E_clISt17integral_constantIbLb1EES1B_IbLb0EEEEDaS17_S18_EUlS17_E_NS1_11comp_targetILNS1_3genE10ELNS1_11target_archE1200ELNS1_3gpuE4ELNS1_3repE0EEENS1_30default_config_static_selectorELNS0_4arch9wavefront6targetE0EEEvT1_.private_seg_size, 0
	.set _ZN7rocprim17ROCPRIM_400000_NS6detail17trampoline_kernelINS0_14default_configENS1_25partition_config_selectorILNS1_17partition_subalgoE8ElNS0_10empty_typeEbEEZZNS1_14partition_implILS5_8ELb0ES3_jPlPS6_PKS6_NS0_5tupleIJS9_S6_EEENSD_IJSA_SA_EEENS0_18inequality_wrapperIZN2at6native12_GLOBAL__N_124unique_dim_cuda_templateItEESt5tupleIJNSH_6TensorESM_SM_EERKSM_lbbbEUlllE0_EEPmJS6_EEE10hipError_tPvRmT3_T4_T5_T6_T7_T9_mT8_P12ihipStream_tbDpT10_ENKUlT_T0_E_clISt17integral_constantIbLb1EES1B_IbLb0EEEEDaS17_S18_EUlS17_E_NS1_11comp_targetILNS1_3genE10ELNS1_11target_archE1200ELNS1_3gpuE4ELNS1_3repE0EEENS1_30default_config_static_selectorELNS0_4arch9wavefront6targetE0EEEvT1_.uses_vcc, 0
	.set _ZN7rocprim17ROCPRIM_400000_NS6detail17trampoline_kernelINS0_14default_configENS1_25partition_config_selectorILNS1_17partition_subalgoE8ElNS0_10empty_typeEbEEZZNS1_14partition_implILS5_8ELb0ES3_jPlPS6_PKS6_NS0_5tupleIJS9_S6_EEENSD_IJSA_SA_EEENS0_18inequality_wrapperIZN2at6native12_GLOBAL__N_124unique_dim_cuda_templateItEESt5tupleIJNSH_6TensorESM_SM_EERKSM_lbbbEUlllE0_EEPmJS6_EEE10hipError_tPvRmT3_T4_T5_T6_T7_T9_mT8_P12ihipStream_tbDpT10_ENKUlT_T0_E_clISt17integral_constantIbLb1EES1B_IbLb0EEEEDaS17_S18_EUlS17_E_NS1_11comp_targetILNS1_3genE10ELNS1_11target_archE1200ELNS1_3gpuE4ELNS1_3repE0EEENS1_30default_config_static_selectorELNS0_4arch9wavefront6targetE0EEEvT1_.uses_flat_scratch, 0
	.set _ZN7rocprim17ROCPRIM_400000_NS6detail17trampoline_kernelINS0_14default_configENS1_25partition_config_selectorILNS1_17partition_subalgoE8ElNS0_10empty_typeEbEEZZNS1_14partition_implILS5_8ELb0ES3_jPlPS6_PKS6_NS0_5tupleIJS9_S6_EEENSD_IJSA_SA_EEENS0_18inequality_wrapperIZN2at6native12_GLOBAL__N_124unique_dim_cuda_templateItEESt5tupleIJNSH_6TensorESM_SM_EERKSM_lbbbEUlllE0_EEPmJS6_EEE10hipError_tPvRmT3_T4_T5_T6_T7_T9_mT8_P12ihipStream_tbDpT10_ENKUlT_T0_E_clISt17integral_constantIbLb1EES1B_IbLb0EEEEDaS17_S18_EUlS17_E_NS1_11comp_targetILNS1_3genE10ELNS1_11target_archE1200ELNS1_3gpuE4ELNS1_3repE0EEENS1_30default_config_static_selectorELNS0_4arch9wavefront6targetE0EEEvT1_.has_dyn_sized_stack, 0
	.set _ZN7rocprim17ROCPRIM_400000_NS6detail17trampoline_kernelINS0_14default_configENS1_25partition_config_selectorILNS1_17partition_subalgoE8ElNS0_10empty_typeEbEEZZNS1_14partition_implILS5_8ELb0ES3_jPlPS6_PKS6_NS0_5tupleIJS9_S6_EEENSD_IJSA_SA_EEENS0_18inequality_wrapperIZN2at6native12_GLOBAL__N_124unique_dim_cuda_templateItEESt5tupleIJNSH_6TensorESM_SM_EERKSM_lbbbEUlllE0_EEPmJS6_EEE10hipError_tPvRmT3_T4_T5_T6_T7_T9_mT8_P12ihipStream_tbDpT10_ENKUlT_T0_E_clISt17integral_constantIbLb1EES1B_IbLb0EEEEDaS17_S18_EUlS17_E_NS1_11comp_targetILNS1_3genE10ELNS1_11target_archE1200ELNS1_3gpuE4ELNS1_3repE0EEENS1_30default_config_static_selectorELNS0_4arch9wavefront6targetE0EEEvT1_.has_recursion, 0
	.set _ZN7rocprim17ROCPRIM_400000_NS6detail17trampoline_kernelINS0_14default_configENS1_25partition_config_selectorILNS1_17partition_subalgoE8ElNS0_10empty_typeEbEEZZNS1_14partition_implILS5_8ELb0ES3_jPlPS6_PKS6_NS0_5tupleIJS9_S6_EEENSD_IJSA_SA_EEENS0_18inequality_wrapperIZN2at6native12_GLOBAL__N_124unique_dim_cuda_templateItEESt5tupleIJNSH_6TensorESM_SM_EERKSM_lbbbEUlllE0_EEPmJS6_EEE10hipError_tPvRmT3_T4_T5_T6_T7_T9_mT8_P12ihipStream_tbDpT10_ENKUlT_T0_E_clISt17integral_constantIbLb1EES1B_IbLb0EEEEDaS17_S18_EUlS17_E_NS1_11comp_targetILNS1_3genE10ELNS1_11target_archE1200ELNS1_3gpuE4ELNS1_3repE0EEENS1_30default_config_static_selectorELNS0_4arch9wavefront6targetE0EEEvT1_.has_indirect_call, 0
	.section	.AMDGPU.csdata,"",@progbits
; Kernel info:
; codeLenInByte = 0
; TotalNumSgprs: 0
; NumVgprs: 0
; ScratchSize: 0
; MemoryBound: 0
; FloatMode: 240
; IeeeMode: 1
; LDSByteSize: 0 bytes/workgroup (compile time only)
; SGPRBlocks: 0
; VGPRBlocks: 0
; NumSGPRsForWavesPerEU: 1
; NumVGPRsForWavesPerEU: 1
; NamedBarCnt: 0
; Occupancy: 16
; WaveLimiterHint : 0
; COMPUTE_PGM_RSRC2:SCRATCH_EN: 0
; COMPUTE_PGM_RSRC2:USER_SGPR: 2
; COMPUTE_PGM_RSRC2:TRAP_HANDLER: 0
; COMPUTE_PGM_RSRC2:TGID_X_EN: 1
; COMPUTE_PGM_RSRC2:TGID_Y_EN: 0
; COMPUTE_PGM_RSRC2:TGID_Z_EN: 0
; COMPUTE_PGM_RSRC2:TIDIG_COMP_CNT: 0
	.section	.text._ZN7rocprim17ROCPRIM_400000_NS6detail17trampoline_kernelINS0_14default_configENS1_25partition_config_selectorILNS1_17partition_subalgoE8ElNS0_10empty_typeEbEEZZNS1_14partition_implILS5_8ELb0ES3_jPlPS6_PKS6_NS0_5tupleIJS9_S6_EEENSD_IJSA_SA_EEENS0_18inequality_wrapperIZN2at6native12_GLOBAL__N_124unique_dim_cuda_templateItEESt5tupleIJNSH_6TensorESM_SM_EERKSM_lbbbEUlllE0_EEPmJS6_EEE10hipError_tPvRmT3_T4_T5_T6_T7_T9_mT8_P12ihipStream_tbDpT10_ENKUlT_T0_E_clISt17integral_constantIbLb1EES1B_IbLb0EEEEDaS17_S18_EUlS17_E_NS1_11comp_targetILNS1_3genE9ELNS1_11target_archE1100ELNS1_3gpuE3ELNS1_3repE0EEENS1_30default_config_static_selectorELNS0_4arch9wavefront6targetE0EEEvT1_,"axG",@progbits,_ZN7rocprim17ROCPRIM_400000_NS6detail17trampoline_kernelINS0_14default_configENS1_25partition_config_selectorILNS1_17partition_subalgoE8ElNS0_10empty_typeEbEEZZNS1_14partition_implILS5_8ELb0ES3_jPlPS6_PKS6_NS0_5tupleIJS9_S6_EEENSD_IJSA_SA_EEENS0_18inequality_wrapperIZN2at6native12_GLOBAL__N_124unique_dim_cuda_templateItEESt5tupleIJNSH_6TensorESM_SM_EERKSM_lbbbEUlllE0_EEPmJS6_EEE10hipError_tPvRmT3_T4_T5_T6_T7_T9_mT8_P12ihipStream_tbDpT10_ENKUlT_T0_E_clISt17integral_constantIbLb1EES1B_IbLb0EEEEDaS17_S18_EUlS17_E_NS1_11comp_targetILNS1_3genE9ELNS1_11target_archE1100ELNS1_3gpuE3ELNS1_3repE0EEENS1_30default_config_static_selectorELNS0_4arch9wavefront6targetE0EEEvT1_,comdat
	.globl	_ZN7rocprim17ROCPRIM_400000_NS6detail17trampoline_kernelINS0_14default_configENS1_25partition_config_selectorILNS1_17partition_subalgoE8ElNS0_10empty_typeEbEEZZNS1_14partition_implILS5_8ELb0ES3_jPlPS6_PKS6_NS0_5tupleIJS9_S6_EEENSD_IJSA_SA_EEENS0_18inequality_wrapperIZN2at6native12_GLOBAL__N_124unique_dim_cuda_templateItEESt5tupleIJNSH_6TensorESM_SM_EERKSM_lbbbEUlllE0_EEPmJS6_EEE10hipError_tPvRmT3_T4_T5_T6_T7_T9_mT8_P12ihipStream_tbDpT10_ENKUlT_T0_E_clISt17integral_constantIbLb1EES1B_IbLb0EEEEDaS17_S18_EUlS17_E_NS1_11comp_targetILNS1_3genE9ELNS1_11target_archE1100ELNS1_3gpuE3ELNS1_3repE0EEENS1_30default_config_static_selectorELNS0_4arch9wavefront6targetE0EEEvT1_ ; -- Begin function _ZN7rocprim17ROCPRIM_400000_NS6detail17trampoline_kernelINS0_14default_configENS1_25partition_config_selectorILNS1_17partition_subalgoE8ElNS0_10empty_typeEbEEZZNS1_14partition_implILS5_8ELb0ES3_jPlPS6_PKS6_NS0_5tupleIJS9_S6_EEENSD_IJSA_SA_EEENS0_18inequality_wrapperIZN2at6native12_GLOBAL__N_124unique_dim_cuda_templateItEESt5tupleIJNSH_6TensorESM_SM_EERKSM_lbbbEUlllE0_EEPmJS6_EEE10hipError_tPvRmT3_T4_T5_T6_T7_T9_mT8_P12ihipStream_tbDpT10_ENKUlT_T0_E_clISt17integral_constantIbLb1EES1B_IbLb0EEEEDaS17_S18_EUlS17_E_NS1_11comp_targetILNS1_3genE9ELNS1_11target_archE1100ELNS1_3gpuE3ELNS1_3repE0EEENS1_30default_config_static_selectorELNS0_4arch9wavefront6targetE0EEEvT1_
	.p2align	8
	.type	_ZN7rocprim17ROCPRIM_400000_NS6detail17trampoline_kernelINS0_14default_configENS1_25partition_config_selectorILNS1_17partition_subalgoE8ElNS0_10empty_typeEbEEZZNS1_14partition_implILS5_8ELb0ES3_jPlPS6_PKS6_NS0_5tupleIJS9_S6_EEENSD_IJSA_SA_EEENS0_18inequality_wrapperIZN2at6native12_GLOBAL__N_124unique_dim_cuda_templateItEESt5tupleIJNSH_6TensorESM_SM_EERKSM_lbbbEUlllE0_EEPmJS6_EEE10hipError_tPvRmT3_T4_T5_T6_T7_T9_mT8_P12ihipStream_tbDpT10_ENKUlT_T0_E_clISt17integral_constantIbLb1EES1B_IbLb0EEEEDaS17_S18_EUlS17_E_NS1_11comp_targetILNS1_3genE9ELNS1_11target_archE1100ELNS1_3gpuE3ELNS1_3repE0EEENS1_30default_config_static_selectorELNS0_4arch9wavefront6targetE0EEEvT1_,@function
_ZN7rocprim17ROCPRIM_400000_NS6detail17trampoline_kernelINS0_14default_configENS1_25partition_config_selectorILNS1_17partition_subalgoE8ElNS0_10empty_typeEbEEZZNS1_14partition_implILS5_8ELb0ES3_jPlPS6_PKS6_NS0_5tupleIJS9_S6_EEENSD_IJSA_SA_EEENS0_18inequality_wrapperIZN2at6native12_GLOBAL__N_124unique_dim_cuda_templateItEESt5tupleIJNSH_6TensorESM_SM_EERKSM_lbbbEUlllE0_EEPmJS6_EEE10hipError_tPvRmT3_T4_T5_T6_T7_T9_mT8_P12ihipStream_tbDpT10_ENKUlT_T0_E_clISt17integral_constantIbLb1EES1B_IbLb0EEEEDaS17_S18_EUlS17_E_NS1_11comp_targetILNS1_3genE9ELNS1_11target_archE1100ELNS1_3gpuE3ELNS1_3repE0EEENS1_30default_config_static_selectorELNS0_4arch9wavefront6targetE0EEEvT1_: ; @_ZN7rocprim17ROCPRIM_400000_NS6detail17trampoline_kernelINS0_14default_configENS1_25partition_config_selectorILNS1_17partition_subalgoE8ElNS0_10empty_typeEbEEZZNS1_14partition_implILS5_8ELb0ES3_jPlPS6_PKS6_NS0_5tupleIJS9_S6_EEENSD_IJSA_SA_EEENS0_18inequality_wrapperIZN2at6native12_GLOBAL__N_124unique_dim_cuda_templateItEESt5tupleIJNSH_6TensorESM_SM_EERKSM_lbbbEUlllE0_EEPmJS6_EEE10hipError_tPvRmT3_T4_T5_T6_T7_T9_mT8_P12ihipStream_tbDpT10_ENKUlT_T0_E_clISt17integral_constantIbLb1EES1B_IbLb0EEEEDaS17_S18_EUlS17_E_NS1_11comp_targetILNS1_3genE9ELNS1_11target_archE1100ELNS1_3gpuE3ELNS1_3repE0EEENS1_30default_config_static_selectorELNS0_4arch9wavefront6targetE0EEEvT1_
; %bb.0:
	.section	.rodata,"a",@progbits
	.p2align	6, 0x0
	.amdhsa_kernel _ZN7rocprim17ROCPRIM_400000_NS6detail17trampoline_kernelINS0_14default_configENS1_25partition_config_selectorILNS1_17partition_subalgoE8ElNS0_10empty_typeEbEEZZNS1_14partition_implILS5_8ELb0ES3_jPlPS6_PKS6_NS0_5tupleIJS9_S6_EEENSD_IJSA_SA_EEENS0_18inequality_wrapperIZN2at6native12_GLOBAL__N_124unique_dim_cuda_templateItEESt5tupleIJNSH_6TensorESM_SM_EERKSM_lbbbEUlllE0_EEPmJS6_EEE10hipError_tPvRmT3_T4_T5_T6_T7_T9_mT8_P12ihipStream_tbDpT10_ENKUlT_T0_E_clISt17integral_constantIbLb1EES1B_IbLb0EEEEDaS17_S18_EUlS17_E_NS1_11comp_targetILNS1_3genE9ELNS1_11target_archE1100ELNS1_3gpuE3ELNS1_3repE0EEENS1_30default_config_static_selectorELNS0_4arch9wavefront6targetE0EEEvT1_
		.amdhsa_group_segment_fixed_size 0
		.amdhsa_private_segment_fixed_size 0
		.amdhsa_kernarg_size 120
		.amdhsa_user_sgpr_count 2
		.amdhsa_user_sgpr_dispatch_ptr 0
		.amdhsa_user_sgpr_queue_ptr 0
		.amdhsa_user_sgpr_kernarg_segment_ptr 1
		.amdhsa_user_sgpr_dispatch_id 0
		.amdhsa_user_sgpr_kernarg_preload_length 0
		.amdhsa_user_sgpr_kernarg_preload_offset 0
		.amdhsa_user_sgpr_private_segment_size 0
		.amdhsa_wavefront_size32 1
		.amdhsa_uses_dynamic_stack 0
		.amdhsa_enable_private_segment 0
		.amdhsa_system_sgpr_workgroup_id_x 1
		.amdhsa_system_sgpr_workgroup_id_y 0
		.amdhsa_system_sgpr_workgroup_id_z 0
		.amdhsa_system_sgpr_workgroup_info 0
		.amdhsa_system_vgpr_workitem_id 0
		.amdhsa_next_free_vgpr 1
		.amdhsa_next_free_sgpr 1
		.amdhsa_named_barrier_count 0
		.amdhsa_reserve_vcc 0
		.amdhsa_float_round_mode_32 0
		.amdhsa_float_round_mode_16_64 0
		.amdhsa_float_denorm_mode_32 3
		.amdhsa_float_denorm_mode_16_64 3
		.amdhsa_fp16_overflow 0
		.amdhsa_memory_ordered 1
		.amdhsa_forward_progress 1
		.amdhsa_inst_pref_size 0
		.amdhsa_round_robin_scheduling 0
		.amdhsa_exception_fp_ieee_invalid_op 0
		.amdhsa_exception_fp_denorm_src 0
		.amdhsa_exception_fp_ieee_div_zero 0
		.amdhsa_exception_fp_ieee_overflow 0
		.amdhsa_exception_fp_ieee_underflow 0
		.amdhsa_exception_fp_ieee_inexact 0
		.amdhsa_exception_int_div_zero 0
	.end_amdhsa_kernel
	.section	.text._ZN7rocprim17ROCPRIM_400000_NS6detail17trampoline_kernelINS0_14default_configENS1_25partition_config_selectorILNS1_17partition_subalgoE8ElNS0_10empty_typeEbEEZZNS1_14partition_implILS5_8ELb0ES3_jPlPS6_PKS6_NS0_5tupleIJS9_S6_EEENSD_IJSA_SA_EEENS0_18inequality_wrapperIZN2at6native12_GLOBAL__N_124unique_dim_cuda_templateItEESt5tupleIJNSH_6TensorESM_SM_EERKSM_lbbbEUlllE0_EEPmJS6_EEE10hipError_tPvRmT3_T4_T5_T6_T7_T9_mT8_P12ihipStream_tbDpT10_ENKUlT_T0_E_clISt17integral_constantIbLb1EES1B_IbLb0EEEEDaS17_S18_EUlS17_E_NS1_11comp_targetILNS1_3genE9ELNS1_11target_archE1100ELNS1_3gpuE3ELNS1_3repE0EEENS1_30default_config_static_selectorELNS0_4arch9wavefront6targetE0EEEvT1_,"axG",@progbits,_ZN7rocprim17ROCPRIM_400000_NS6detail17trampoline_kernelINS0_14default_configENS1_25partition_config_selectorILNS1_17partition_subalgoE8ElNS0_10empty_typeEbEEZZNS1_14partition_implILS5_8ELb0ES3_jPlPS6_PKS6_NS0_5tupleIJS9_S6_EEENSD_IJSA_SA_EEENS0_18inequality_wrapperIZN2at6native12_GLOBAL__N_124unique_dim_cuda_templateItEESt5tupleIJNSH_6TensorESM_SM_EERKSM_lbbbEUlllE0_EEPmJS6_EEE10hipError_tPvRmT3_T4_T5_T6_T7_T9_mT8_P12ihipStream_tbDpT10_ENKUlT_T0_E_clISt17integral_constantIbLb1EES1B_IbLb0EEEEDaS17_S18_EUlS17_E_NS1_11comp_targetILNS1_3genE9ELNS1_11target_archE1100ELNS1_3gpuE3ELNS1_3repE0EEENS1_30default_config_static_selectorELNS0_4arch9wavefront6targetE0EEEvT1_,comdat
.Lfunc_end1441:
	.size	_ZN7rocprim17ROCPRIM_400000_NS6detail17trampoline_kernelINS0_14default_configENS1_25partition_config_selectorILNS1_17partition_subalgoE8ElNS0_10empty_typeEbEEZZNS1_14partition_implILS5_8ELb0ES3_jPlPS6_PKS6_NS0_5tupleIJS9_S6_EEENSD_IJSA_SA_EEENS0_18inequality_wrapperIZN2at6native12_GLOBAL__N_124unique_dim_cuda_templateItEESt5tupleIJNSH_6TensorESM_SM_EERKSM_lbbbEUlllE0_EEPmJS6_EEE10hipError_tPvRmT3_T4_T5_T6_T7_T9_mT8_P12ihipStream_tbDpT10_ENKUlT_T0_E_clISt17integral_constantIbLb1EES1B_IbLb0EEEEDaS17_S18_EUlS17_E_NS1_11comp_targetILNS1_3genE9ELNS1_11target_archE1100ELNS1_3gpuE3ELNS1_3repE0EEENS1_30default_config_static_selectorELNS0_4arch9wavefront6targetE0EEEvT1_, .Lfunc_end1441-_ZN7rocprim17ROCPRIM_400000_NS6detail17trampoline_kernelINS0_14default_configENS1_25partition_config_selectorILNS1_17partition_subalgoE8ElNS0_10empty_typeEbEEZZNS1_14partition_implILS5_8ELb0ES3_jPlPS6_PKS6_NS0_5tupleIJS9_S6_EEENSD_IJSA_SA_EEENS0_18inequality_wrapperIZN2at6native12_GLOBAL__N_124unique_dim_cuda_templateItEESt5tupleIJNSH_6TensorESM_SM_EERKSM_lbbbEUlllE0_EEPmJS6_EEE10hipError_tPvRmT3_T4_T5_T6_T7_T9_mT8_P12ihipStream_tbDpT10_ENKUlT_T0_E_clISt17integral_constantIbLb1EES1B_IbLb0EEEEDaS17_S18_EUlS17_E_NS1_11comp_targetILNS1_3genE9ELNS1_11target_archE1100ELNS1_3gpuE3ELNS1_3repE0EEENS1_30default_config_static_selectorELNS0_4arch9wavefront6targetE0EEEvT1_
                                        ; -- End function
	.set _ZN7rocprim17ROCPRIM_400000_NS6detail17trampoline_kernelINS0_14default_configENS1_25partition_config_selectorILNS1_17partition_subalgoE8ElNS0_10empty_typeEbEEZZNS1_14partition_implILS5_8ELb0ES3_jPlPS6_PKS6_NS0_5tupleIJS9_S6_EEENSD_IJSA_SA_EEENS0_18inequality_wrapperIZN2at6native12_GLOBAL__N_124unique_dim_cuda_templateItEESt5tupleIJNSH_6TensorESM_SM_EERKSM_lbbbEUlllE0_EEPmJS6_EEE10hipError_tPvRmT3_T4_T5_T6_T7_T9_mT8_P12ihipStream_tbDpT10_ENKUlT_T0_E_clISt17integral_constantIbLb1EES1B_IbLb0EEEEDaS17_S18_EUlS17_E_NS1_11comp_targetILNS1_3genE9ELNS1_11target_archE1100ELNS1_3gpuE3ELNS1_3repE0EEENS1_30default_config_static_selectorELNS0_4arch9wavefront6targetE0EEEvT1_.num_vgpr, 0
	.set _ZN7rocprim17ROCPRIM_400000_NS6detail17trampoline_kernelINS0_14default_configENS1_25partition_config_selectorILNS1_17partition_subalgoE8ElNS0_10empty_typeEbEEZZNS1_14partition_implILS5_8ELb0ES3_jPlPS6_PKS6_NS0_5tupleIJS9_S6_EEENSD_IJSA_SA_EEENS0_18inequality_wrapperIZN2at6native12_GLOBAL__N_124unique_dim_cuda_templateItEESt5tupleIJNSH_6TensorESM_SM_EERKSM_lbbbEUlllE0_EEPmJS6_EEE10hipError_tPvRmT3_T4_T5_T6_T7_T9_mT8_P12ihipStream_tbDpT10_ENKUlT_T0_E_clISt17integral_constantIbLb1EES1B_IbLb0EEEEDaS17_S18_EUlS17_E_NS1_11comp_targetILNS1_3genE9ELNS1_11target_archE1100ELNS1_3gpuE3ELNS1_3repE0EEENS1_30default_config_static_selectorELNS0_4arch9wavefront6targetE0EEEvT1_.num_agpr, 0
	.set _ZN7rocprim17ROCPRIM_400000_NS6detail17trampoline_kernelINS0_14default_configENS1_25partition_config_selectorILNS1_17partition_subalgoE8ElNS0_10empty_typeEbEEZZNS1_14partition_implILS5_8ELb0ES3_jPlPS6_PKS6_NS0_5tupleIJS9_S6_EEENSD_IJSA_SA_EEENS0_18inequality_wrapperIZN2at6native12_GLOBAL__N_124unique_dim_cuda_templateItEESt5tupleIJNSH_6TensorESM_SM_EERKSM_lbbbEUlllE0_EEPmJS6_EEE10hipError_tPvRmT3_T4_T5_T6_T7_T9_mT8_P12ihipStream_tbDpT10_ENKUlT_T0_E_clISt17integral_constantIbLb1EES1B_IbLb0EEEEDaS17_S18_EUlS17_E_NS1_11comp_targetILNS1_3genE9ELNS1_11target_archE1100ELNS1_3gpuE3ELNS1_3repE0EEENS1_30default_config_static_selectorELNS0_4arch9wavefront6targetE0EEEvT1_.numbered_sgpr, 0
	.set _ZN7rocprim17ROCPRIM_400000_NS6detail17trampoline_kernelINS0_14default_configENS1_25partition_config_selectorILNS1_17partition_subalgoE8ElNS0_10empty_typeEbEEZZNS1_14partition_implILS5_8ELb0ES3_jPlPS6_PKS6_NS0_5tupleIJS9_S6_EEENSD_IJSA_SA_EEENS0_18inequality_wrapperIZN2at6native12_GLOBAL__N_124unique_dim_cuda_templateItEESt5tupleIJNSH_6TensorESM_SM_EERKSM_lbbbEUlllE0_EEPmJS6_EEE10hipError_tPvRmT3_T4_T5_T6_T7_T9_mT8_P12ihipStream_tbDpT10_ENKUlT_T0_E_clISt17integral_constantIbLb1EES1B_IbLb0EEEEDaS17_S18_EUlS17_E_NS1_11comp_targetILNS1_3genE9ELNS1_11target_archE1100ELNS1_3gpuE3ELNS1_3repE0EEENS1_30default_config_static_selectorELNS0_4arch9wavefront6targetE0EEEvT1_.num_named_barrier, 0
	.set _ZN7rocprim17ROCPRIM_400000_NS6detail17trampoline_kernelINS0_14default_configENS1_25partition_config_selectorILNS1_17partition_subalgoE8ElNS0_10empty_typeEbEEZZNS1_14partition_implILS5_8ELb0ES3_jPlPS6_PKS6_NS0_5tupleIJS9_S6_EEENSD_IJSA_SA_EEENS0_18inequality_wrapperIZN2at6native12_GLOBAL__N_124unique_dim_cuda_templateItEESt5tupleIJNSH_6TensorESM_SM_EERKSM_lbbbEUlllE0_EEPmJS6_EEE10hipError_tPvRmT3_T4_T5_T6_T7_T9_mT8_P12ihipStream_tbDpT10_ENKUlT_T0_E_clISt17integral_constantIbLb1EES1B_IbLb0EEEEDaS17_S18_EUlS17_E_NS1_11comp_targetILNS1_3genE9ELNS1_11target_archE1100ELNS1_3gpuE3ELNS1_3repE0EEENS1_30default_config_static_selectorELNS0_4arch9wavefront6targetE0EEEvT1_.private_seg_size, 0
	.set _ZN7rocprim17ROCPRIM_400000_NS6detail17trampoline_kernelINS0_14default_configENS1_25partition_config_selectorILNS1_17partition_subalgoE8ElNS0_10empty_typeEbEEZZNS1_14partition_implILS5_8ELb0ES3_jPlPS6_PKS6_NS0_5tupleIJS9_S6_EEENSD_IJSA_SA_EEENS0_18inequality_wrapperIZN2at6native12_GLOBAL__N_124unique_dim_cuda_templateItEESt5tupleIJNSH_6TensorESM_SM_EERKSM_lbbbEUlllE0_EEPmJS6_EEE10hipError_tPvRmT3_T4_T5_T6_T7_T9_mT8_P12ihipStream_tbDpT10_ENKUlT_T0_E_clISt17integral_constantIbLb1EES1B_IbLb0EEEEDaS17_S18_EUlS17_E_NS1_11comp_targetILNS1_3genE9ELNS1_11target_archE1100ELNS1_3gpuE3ELNS1_3repE0EEENS1_30default_config_static_selectorELNS0_4arch9wavefront6targetE0EEEvT1_.uses_vcc, 0
	.set _ZN7rocprim17ROCPRIM_400000_NS6detail17trampoline_kernelINS0_14default_configENS1_25partition_config_selectorILNS1_17partition_subalgoE8ElNS0_10empty_typeEbEEZZNS1_14partition_implILS5_8ELb0ES3_jPlPS6_PKS6_NS0_5tupleIJS9_S6_EEENSD_IJSA_SA_EEENS0_18inequality_wrapperIZN2at6native12_GLOBAL__N_124unique_dim_cuda_templateItEESt5tupleIJNSH_6TensorESM_SM_EERKSM_lbbbEUlllE0_EEPmJS6_EEE10hipError_tPvRmT3_T4_T5_T6_T7_T9_mT8_P12ihipStream_tbDpT10_ENKUlT_T0_E_clISt17integral_constantIbLb1EES1B_IbLb0EEEEDaS17_S18_EUlS17_E_NS1_11comp_targetILNS1_3genE9ELNS1_11target_archE1100ELNS1_3gpuE3ELNS1_3repE0EEENS1_30default_config_static_selectorELNS0_4arch9wavefront6targetE0EEEvT1_.uses_flat_scratch, 0
	.set _ZN7rocprim17ROCPRIM_400000_NS6detail17trampoline_kernelINS0_14default_configENS1_25partition_config_selectorILNS1_17partition_subalgoE8ElNS0_10empty_typeEbEEZZNS1_14partition_implILS5_8ELb0ES3_jPlPS6_PKS6_NS0_5tupleIJS9_S6_EEENSD_IJSA_SA_EEENS0_18inequality_wrapperIZN2at6native12_GLOBAL__N_124unique_dim_cuda_templateItEESt5tupleIJNSH_6TensorESM_SM_EERKSM_lbbbEUlllE0_EEPmJS6_EEE10hipError_tPvRmT3_T4_T5_T6_T7_T9_mT8_P12ihipStream_tbDpT10_ENKUlT_T0_E_clISt17integral_constantIbLb1EES1B_IbLb0EEEEDaS17_S18_EUlS17_E_NS1_11comp_targetILNS1_3genE9ELNS1_11target_archE1100ELNS1_3gpuE3ELNS1_3repE0EEENS1_30default_config_static_selectorELNS0_4arch9wavefront6targetE0EEEvT1_.has_dyn_sized_stack, 0
	.set _ZN7rocprim17ROCPRIM_400000_NS6detail17trampoline_kernelINS0_14default_configENS1_25partition_config_selectorILNS1_17partition_subalgoE8ElNS0_10empty_typeEbEEZZNS1_14partition_implILS5_8ELb0ES3_jPlPS6_PKS6_NS0_5tupleIJS9_S6_EEENSD_IJSA_SA_EEENS0_18inequality_wrapperIZN2at6native12_GLOBAL__N_124unique_dim_cuda_templateItEESt5tupleIJNSH_6TensorESM_SM_EERKSM_lbbbEUlllE0_EEPmJS6_EEE10hipError_tPvRmT3_T4_T5_T6_T7_T9_mT8_P12ihipStream_tbDpT10_ENKUlT_T0_E_clISt17integral_constantIbLb1EES1B_IbLb0EEEEDaS17_S18_EUlS17_E_NS1_11comp_targetILNS1_3genE9ELNS1_11target_archE1100ELNS1_3gpuE3ELNS1_3repE0EEENS1_30default_config_static_selectorELNS0_4arch9wavefront6targetE0EEEvT1_.has_recursion, 0
	.set _ZN7rocprim17ROCPRIM_400000_NS6detail17trampoline_kernelINS0_14default_configENS1_25partition_config_selectorILNS1_17partition_subalgoE8ElNS0_10empty_typeEbEEZZNS1_14partition_implILS5_8ELb0ES3_jPlPS6_PKS6_NS0_5tupleIJS9_S6_EEENSD_IJSA_SA_EEENS0_18inequality_wrapperIZN2at6native12_GLOBAL__N_124unique_dim_cuda_templateItEESt5tupleIJNSH_6TensorESM_SM_EERKSM_lbbbEUlllE0_EEPmJS6_EEE10hipError_tPvRmT3_T4_T5_T6_T7_T9_mT8_P12ihipStream_tbDpT10_ENKUlT_T0_E_clISt17integral_constantIbLb1EES1B_IbLb0EEEEDaS17_S18_EUlS17_E_NS1_11comp_targetILNS1_3genE9ELNS1_11target_archE1100ELNS1_3gpuE3ELNS1_3repE0EEENS1_30default_config_static_selectorELNS0_4arch9wavefront6targetE0EEEvT1_.has_indirect_call, 0
	.section	.AMDGPU.csdata,"",@progbits
; Kernel info:
; codeLenInByte = 0
; TotalNumSgprs: 0
; NumVgprs: 0
; ScratchSize: 0
; MemoryBound: 0
; FloatMode: 240
; IeeeMode: 1
; LDSByteSize: 0 bytes/workgroup (compile time only)
; SGPRBlocks: 0
; VGPRBlocks: 0
; NumSGPRsForWavesPerEU: 1
; NumVGPRsForWavesPerEU: 1
; NamedBarCnt: 0
; Occupancy: 16
; WaveLimiterHint : 0
; COMPUTE_PGM_RSRC2:SCRATCH_EN: 0
; COMPUTE_PGM_RSRC2:USER_SGPR: 2
; COMPUTE_PGM_RSRC2:TRAP_HANDLER: 0
; COMPUTE_PGM_RSRC2:TGID_X_EN: 1
; COMPUTE_PGM_RSRC2:TGID_Y_EN: 0
; COMPUTE_PGM_RSRC2:TGID_Z_EN: 0
; COMPUTE_PGM_RSRC2:TIDIG_COMP_CNT: 0
	.section	.text._ZN7rocprim17ROCPRIM_400000_NS6detail17trampoline_kernelINS0_14default_configENS1_25partition_config_selectorILNS1_17partition_subalgoE8ElNS0_10empty_typeEbEEZZNS1_14partition_implILS5_8ELb0ES3_jPlPS6_PKS6_NS0_5tupleIJS9_S6_EEENSD_IJSA_SA_EEENS0_18inequality_wrapperIZN2at6native12_GLOBAL__N_124unique_dim_cuda_templateItEESt5tupleIJNSH_6TensorESM_SM_EERKSM_lbbbEUlllE0_EEPmJS6_EEE10hipError_tPvRmT3_T4_T5_T6_T7_T9_mT8_P12ihipStream_tbDpT10_ENKUlT_T0_E_clISt17integral_constantIbLb1EES1B_IbLb0EEEEDaS17_S18_EUlS17_E_NS1_11comp_targetILNS1_3genE8ELNS1_11target_archE1030ELNS1_3gpuE2ELNS1_3repE0EEENS1_30default_config_static_selectorELNS0_4arch9wavefront6targetE0EEEvT1_,"axG",@progbits,_ZN7rocprim17ROCPRIM_400000_NS6detail17trampoline_kernelINS0_14default_configENS1_25partition_config_selectorILNS1_17partition_subalgoE8ElNS0_10empty_typeEbEEZZNS1_14partition_implILS5_8ELb0ES3_jPlPS6_PKS6_NS0_5tupleIJS9_S6_EEENSD_IJSA_SA_EEENS0_18inequality_wrapperIZN2at6native12_GLOBAL__N_124unique_dim_cuda_templateItEESt5tupleIJNSH_6TensorESM_SM_EERKSM_lbbbEUlllE0_EEPmJS6_EEE10hipError_tPvRmT3_T4_T5_T6_T7_T9_mT8_P12ihipStream_tbDpT10_ENKUlT_T0_E_clISt17integral_constantIbLb1EES1B_IbLb0EEEEDaS17_S18_EUlS17_E_NS1_11comp_targetILNS1_3genE8ELNS1_11target_archE1030ELNS1_3gpuE2ELNS1_3repE0EEENS1_30default_config_static_selectorELNS0_4arch9wavefront6targetE0EEEvT1_,comdat
	.globl	_ZN7rocprim17ROCPRIM_400000_NS6detail17trampoline_kernelINS0_14default_configENS1_25partition_config_selectorILNS1_17partition_subalgoE8ElNS0_10empty_typeEbEEZZNS1_14partition_implILS5_8ELb0ES3_jPlPS6_PKS6_NS0_5tupleIJS9_S6_EEENSD_IJSA_SA_EEENS0_18inequality_wrapperIZN2at6native12_GLOBAL__N_124unique_dim_cuda_templateItEESt5tupleIJNSH_6TensorESM_SM_EERKSM_lbbbEUlllE0_EEPmJS6_EEE10hipError_tPvRmT3_T4_T5_T6_T7_T9_mT8_P12ihipStream_tbDpT10_ENKUlT_T0_E_clISt17integral_constantIbLb1EES1B_IbLb0EEEEDaS17_S18_EUlS17_E_NS1_11comp_targetILNS1_3genE8ELNS1_11target_archE1030ELNS1_3gpuE2ELNS1_3repE0EEENS1_30default_config_static_selectorELNS0_4arch9wavefront6targetE0EEEvT1_ ; -- Begin function _ZN7rocprim17ROCPRIM_400000_NS6detail17trampoline_kernelINS0_14default_configENS1_25partition_config_selectorILNS1_17partition_subalgoE8ElNS0_10empty_typeEbEEZZNS1_14partition_implILS5_8ELb0ES3_jPlPS6_PKS6_NS0_5tupleIJS9_S6_EEENSD_IJSA_SA_EEENS0_18inequality_wrapperIZN2at6native12_GLOBAL__N_124unique_dim_cuda_templateItEESt5tupleIJNSH_6TensorESM_SM_EERKSM_lbbbEUlllE0_EEPmJS6_EEE10hipError_tPvRmT3_T4_T5_T6_T7_T9_mT8_P12ihipStream_tbDpT10_ENKUlT_T0_E_clISt17integral_constantIbLb1EES1B_IbLb0EEEEDaS17_S18_EUlS17_E_NS1_11comp_targetILNS1_3genE8ELNS1_11target_archE1030ELNS1_3gpuE2ELNS1_3repE0EEENS1_30default_config_static_selectorELNS0_4arch9wavefront6targetE0EEEvT1_
	.p2align	8
	.type	_ZN7rocprim17ROCPRIM_400000_NS6detail17trampoline_kernelINS0_14default_configENS1_25partition_config_selectorILNS1_17partition_subalgoE8ElNS0_10empty_typeEbEEZZNS1_14partition_implILS5_8ELb0ES3_jPlPS6_PKS6_NS0_5tupleIJS9_S6_EEENSD_IJSA_SA_EEENS0_18inequality_wrapperIZN2at6native12_GLOBAL__N_124unique_dim_cuda_templateItEESt5tupleIJNSH_6TensorESM_SM_EERKSM_lbbbEUlllE0_EEPmJS6_EEE10hipError_tPvRmT3_T4_T5_T6_T7_T9_mT8_P12ihipStream_tbDpT10_ENKUlT_T0_E_clISt17integral_constantIbLb1EES1B_IbLb0EEEEDaS17_S18_EUlS17_E_NS1_11comp_targetILNS1_3genE8ELNS1_11target_archE1030ELNS1_3gpuE2ELNS1_3repE0EEENS1_30default_config_static_selectorELNS0_4arch9wavefront6targetE0EEEvT1_,@function
_ZN7rocprim17ROCPRIM_400000_NS6detail17trampoline_kernelINS0_14default_configENS1_25partition_config_selectorILNS1_17partition_subalgoE8ElNS0_10empty_typeEbEEZZNS1_14partition_implILS5_8ELb0ES3_jPlPS6_PKS6_NS0_5tupleIJS9_S6_EEENSD_IJSA_SA_EEENS0_18inequality_wrapperIZN2at6native12_GLOBAL__N_124unique_dim_cuda_templateItEESt5tupleIJNSH_6TensorESM_SM_EERKSM_lbbbEUlllE0_EEPmJS6_EEE10hipError_tPvRmT3_T4_T5_T6_T7_T9_mT8_P12ihipStream_tbDpT10_ENKUlT_T0_E_clISt17integral_constantIbLb1EES1B_IbLb0EEEEDaS17_S18_EUlS17_E_NS1_11comp_targetILNS1_3genE8ELNS1_11target_archE1030ELNS1_3gpuE2ELNS1_3repE0EEENS1_30default_config_static_selectorELNS0_4arch9wavefront6targetE0EEEvT1_: ; @_ZN7rocprim17ROCPRIM_400000_NS6detail17trampoline_kernelINS0_14default_configENS1_25partition_config_selectorILNS1_17partition_subalgoE8ElNS0_10empty_typeEbEEZZNS1_14partition_implILS5_8ELb0ES3_jPlPS6_PKS6_NS0_5tupleIJS9_S6_EEENSD_IJSA_SA_EEENS0_18inequality_wrapperIZN2at6native12_GLOBAL__N_124unique_dim_cuda_templateItEESt5tupleIJNSH_6TensorESM_SM_EERKSM_lbbbEUlllE0_EEPmJS6_EEE10hipError_tPvRmT3_T4_T5_T6_T7_T9_mT8_P12ihipStream_tbDpT10_ENKUlT_T0_E_clISt17integral_constantIbLb1EES1B_IbLb0EEEEDaS17_S18_EUlS17_E_NS1_11comp_targetILNS1_3genE8ELNS1_11target_archE1030ELNS1_3gpuE2ELNS1_3repE0EEENS1_30default_config_static_selectorELNS0_4arch9wavefront6targetE0EEEvT1_
; %bb.0:
	.section	.rodata,"a",@progbits
	.p2align	6, 0x0
	.amdhsa_kernel _ZN7rocprim17ROCPRIM_400000_NS6detail17trampoline_kernelINS0_14default_configENS1_25partition_config_selectorILNS1_17partition_subalgoE8ElNS0_10empty_typeEbEEZZNS1_14partition_implILS5_8ELb0ES3_jPlPS6_PKS6_NS0_5tupleIJS9_S6_EEENSD_IJSA_SA_EEENS0_18inequality_wrapperIZN2at6native12_GLOBAL__N_124unique_dim_cuda_templateItEESt5tupleIJNSH_6TensorESM_SM_EERKSM_lbbbEUlllE0_EEPmJS6_EEE10hipError_tPvRmT3_T4_T5_T6_T7_T9_mT8_P12ihipStream_tbDpT10_ENKUlT_T0_E_clISt17integral_constantIbLb1EES1B_IbLb0EEEEDaS17_S18_EUlS17_E_NS1_11comp_targetILNS1_3genE8ELNS1_11target_archE1030ELNS1_3gpuE2ELNS1_3repE0EEENS1_30default_config_static_selectorELNS0_4arch9wavefront6targetE0EEEvT1_
		.amdhsa_group_segment_fixed_size 0
		.amdhsa_private_segment_fixed_size 0
		.amdhsa_kernarg_size 120
		.amdhsa_user_sgpr_count 2
		.amdhsa_user_sgpr_dispatch_ptr 0
		.amdhsa_user_sgpr_queue_ptr 0
		.amdhsa_user_sgpr_kernarg_segment_ptr 1
		.amdhsa_user_sgpr_dispatch_id 0
		.amdhsa_user_sgpr_kernarg_preload_length 0
		.amdhsa_user_sgpr_kernarg_preload_offset 0
		.amdhsa_user_sgpr_private_segment_size 0
		.amdhsa_wavefront_size32 1
		.amdhsa_uses_dynamic_stack 0
		.amdhsa_enable_private_segment 0
		.amdhsa_system_sgpr_workgroup_id_x 1
		.amdhsa_system_sgpr_workgroup_id_y 0
		.amdhsa_system_sgpr_workgroup_id_z 0
		.amdhsa_system_sgpr_workgroup_info 0
		.amdhsa_system_vgpr_workitem_id 0
		.amdhsa_next_free_vgpr 1
		.amdhsa_next_free_sgpr 1
		.amdhsa_named_barrier_count 0
		.amdhsa_reserve_vcc 0
		.amdhsa_float_round_mode_32 0
		.amdhsa_float_round_mode_16_64 0
		.amdhsa_float_denorm_mode_32 3
		.amdhsa_float_denorm_mode_16_64 3
		.amdhsa_fp16_overflow 0
		.amdhsa_memory_ordered 1
		.amdhsa_forward_progress 1
		.amdhsa_inst_pref_size 0
		.amdhsa_round_robin_scheduling 0
		.amdhsa_exception_fp_ieee_invalid_op 0
		.amdhsa_exception_fp_denorm_src 0
		.amdhsa_exception_fp_ieee_div_zero 0
		.amdhsa_exception_fp_ieee_overflow 0
		.amdhsa_exception_fp_ieee_underflow 0
		.amdhsa_exception_fp_ieee_inexact 0
		.amdhsa_exception_int_div_zero 0
	.end_amdhsa_kernel
	.section	.text._ZN7rocprim17ROCPRIM_400000_NS6detail17trampoline_kernelINS0_14default_configENS1_25partition_config_selectorILNS1_17partition_subalgoE8ElNS0_10empty_typeEbEEZZNS1_14partition_implILS5_8ELb0ES3_jPlPS6_PKS6_NS0_5tupleIJS9_S6_EEENSD_IJSA_SA_EEENS0_18inequality_wrapperIZN2at6native12_GLOBAL__N_124unique_dim_cuda_templateItEESt5tupleIJNSH_6TensorESM_SM_EERKSM_lbbbEUlllE0_EEPmJS6_EEE10hipError_tPvRmT3_T4_T5_T6_T7_T9_mT8_P12ihipStream_tbDpT10_ENKUlT_T0_E_clISt17integral_constantIbLb1EES1B_IbLb0EEEEDaS17_S18_EUlS17_E_NS1_11comp_targetILNS1_3genE8ELNS1_11target_archE1030ELNS1_3gpuE2ELNS1_3repE0EEENS1_30default_config_static_selectorELNS0_4arch9wavefront6targetE0EEEvT1_,"axG",@progbits,_ZN7rocprim17ROCPRIM_400000_NS6detail17trampoline_kernelINS0_14default_configENS1_25partition_config_selectorILNS1_17partition_subalgoE8ElNS0_10empty_typeEbEEZZNS1_14partition_implILS5_8ELb0ES3_jPlPS6_PKS6_NS0_5tupleIJS9_S6_EEENSD_IJSA_SA_EEENS0_18inequality_wrapperIZN2at6native12_GLOBAL__N_124unique_dim_cuda_templateItEESt5tupleIJNSH_6TensorESM_SM_EERKSM_lbbbEUlllE0_EEPmJS6_EEE10hipError_tPvRmT3_T4_T5_T6_T7_T9_mT8_P12ihipStream_tbDpT10_ENKUlT_T0_E_clISt17integral_constantIbLb1EES1B_IbLb0EEEEDaS17_S18_EUlS17_E_NS1_11comp_targetILNS1_3genE8ELNS1_11target_archE1030ELNS1_3gpuE2ELNS1_3repE0EEENS1_30default_config_static_selectorELNS0_4arch9wavefront6targetE0EEEvT1_,comdat
.Lfunc_end1442:
	.size	_ZN7rocprim17ROCPRIM_400000_NS6detail17trampoline_kernelINS0_14default_configENS1_25partition_config_selectorILNS1_17partition_subalgoE8ElNS0_10empty_typeEbEEZZNS1_14partition_implILS5_8ELb0ES3_jPlPS6_PKS6_NS0_5tupleIJS9_S6_EEENSD_IJSA_SA_EEENS0_18inequality_wrapperIZN2at6native12_GLOBAL__N_124unique_dim_cuda_templateItEESt5tupleIJNSH_6TensorESM_SM_EERKSM_lbbbEUlllE0_EEPmJS6_EEE10hipError_tPvRmT3_T4_T5_T6_T7_T9_mT8_P12ihipStream_tbDpT10_ENKUlT_T0_E_clISt17integral_constantIbLb1EES1B_IbLb0EEEEDaS17_S18_EUlS17_E_NS1_11comp_targetILNS1_3genE8ELNS1_11target_archE1030ELNS1_3gpuE2ELNS1_3repE0EEENS1_30default_config_static_selectorELNS0_4arch9wavefront6targetE0EEEvT1_, .Lfunc_end1442-_ZN7rocprim17ROCPRIM_400000_NS6detail17trampoline_kernelINS0_14default_configENS1_25partition_config_selectorILNS1_17partition_subalgoE8ElNS0_10empty_typeEbEEZZNS1_14partition_implILS5_8ELb0ES3_jPlPS6_PKS6_NS0_5tupleIJS9_S6_EEENSD_IJSA_SA_EEENS0_18inequality_wrapperIZN2at6native12_GLOBAL__N_124unique_dim_cuda_templateItEESt5tupleIJNSH_6TensorESM_SM_EERKSM_lbbbEUlllE0_EEPmJS6_EEE10hipError_tPvRmT3_T4_T5_T6_T7_T9_mT8_P12ihipStream_tbDpT10_ENKUlT_T0_E_clISt17integral_constantIbLb1EES1B_IbLb0EEEEDaS17_S18_EUlS17_E_NS1_11comp_targetILNS1_3genE8ELNS1_11target_archE1030ELNS1_3gpuE2ELNS1_3repE0EEENS1_30default_config_static_selectorELNS0_4arch9wavefront6targetE0EEEvT1_
                                        ; -- End function
	.set _ZN7rocprim17ROCPRIM_400000_NS6detail17trampoline_kernelINS0_14default_configENS1_25partition_config_selectorILNS1_17partition_subalgoE8ElNS0_10empty_typeEbEEZZNS1_14partition_implILS5_8ELb0ES3_jPlPS6_PKS6_NS0_5tupleIJS9_S6_EEENSD_IJSA_SA_EEENS0_18inequality_wrapperIZN2at6native12_GLOBAL__N_124unique_dim_cuda_templateItEESt5tupleIJNSH_6TensorESM_SM_EERKSM_lbbbEUlllE0_EEPmJS6_EEE10hipError_tPvRmT3_T4_T5_T6_T7_T9_mT8_P12ihipStream_tbDpT10_ENKUlT_T0_E_clISt17integral_constantIbLb1EES1B_IbLb0EEEEDaS17_S18_EUlS17_E_NS1_11comp_targetILNS1_3genE8ELNS1_11target_archE1030ELNS1_3gpuE2ELNS1_3repE0EEENS1_30default_config_static_selectorELNS0_4arch9wavefront6targetE0EEEvT1_.num_vgpr, 0
	.set _ZN7rocprim17ROCPRIM_400000_NS6detail17trampoline_kernelINS0_14default_configENS1_25partition_config_selectorILNS1_17partition_subalgoE8ElNS0_10empty_typeEbEEZZNS1_14partition_implILS5_8ELb0ES3_jPlPS6_PKS6_NS0_5tupleIJS9_S6_EEENSD_IJSA_SA_EEENS0_18inequality_wrapperIZN2at6native12_GLOBAL__N_124unique_dim_cuda_templateItEESt5tupleIJNSH_6TensorESM_SM_EERKSM_lbbbEUlllE0_EEPmJS6_EEE10hipError_tPvRmT3_T4_T5_T6_T7_T9_mT8_P12ihipStream_tbDpT10_ENKUlT_T0_E_clISt17integral_constantIbLb1EES1B_IbLb0EEEEDaS17_S18_EUlS17_E_NS1_11comp_targetILNS1_3genE8ELNS1_11target_archE1030ELNS1_3gpuE2ELNS1_3repE0EEENS1_30default_config_static_selectorELNS0_4arch9wavefront6targetE0EEEvT1_.num_agpr, 0
	.set _ZN7rocprim17ROCPRIM_400000_NS6detail17trampoline_kernelINS0_14default_configENS1_25partition_config_selectorILNS1_17partition_subalgoE8ElNS0_10empty_typeEbEEZZNS1_14partition_implILS5_8ELb0ES3_jPlPS6_PKS6_NS0_5tupleIJS9_S6_EEENSD_IJSA_SA_EEENS0_18inequality_wrapperIZN2at6native12_GLOBAL__N_124unique_dim_cuda_templateItEESt5tupleIJNSH_6TensorESM_SM_EERKSM_lbbbEUlllE0_EEPmJS6_EEE10hipError_tPvRmT3_T4_T5_T6_T7_T9_mT8_P12ihipStream_tbDpT10_ENKUlT_T0_E_clISt17integral_constantIbLb1EES1B_IbLb0EEEEDaS17_S18_EUlS17_E_NS1_11comp_targetILNS1_3genE8ELNS1_11target_archE1030ELNS1_3gpuE2ELNS1_3repE0EEENS1_30default_config_static_selectorELNS0_4arch9wavefront6targetE0EEEvT1_.numbered_sgpr, 0
	.set _ZN7rocprim17ROCPRIM_400000_NS6detail17trampoline_kernelINS0_14default_configENS1_25partition_config_selectorILNS1_17partition_subalgoE8ElNS0_10empty_typeEbEEZZNS1_14partition_implILS5_8ELb0ES3_jPlPS6_PKS6_NS0_5tupleIJS9_S6_EEENSD_IJSA_SA_EEENS0_18inequality_wrapperIZN2at6native12_GLOBAL__N_124unique_dim_cuda_templateItEESt5tupleIJNSH_6TensorESM_SM_EERKSM_lbbbEUlllE0_EEPmJS6_EEE10hipError_tPvRmT3_T4_T5_T6_T7_T9_mT8_P12ihipStream_tbDpT10_ENKUlT_T0_E_clISt17integral_constantIbLb1EES1B_IbLb0EEEEDaS17_S18_EUlS17_E_NS1_11comp_targetILNS1_3genE8ELNS1_11target_archE1030ELNS1_3gpuE2ELNS1_3repE0EEENS1_30default_config_static_selectorELNS0_4arch9wavefront6targetE0EEEvT1_.num_named_barrier, 0
	.set _ZN7rocprim17ROCPRIM_400000_NS6detail17trampoline_kernelINS0_14default_configENS1_25partition_config_selectorILNS1_17partition_subalgoE8ElNS0_10empty_typeEbEEZZNS1_14partition_implILS5_8ELb0ES3_jPlPS6_PKS6_NS0_5tupleIJS9_S6_EEENSD_IJSA_SA_EEENS0_18inequality_wrapperIZN2at6native12_GLOBAL__N_124unique_dim_cuda_templateItEESt5tupleIJNSH_6TensorESM_SM_EERKSM_lbbbEUlllE0_EEPmJS6_EEE10hipError_tPvRmT3_T4_T5_T6_T7_T9_mT8_P12ihipStream_tbDpT10_ENKUlT_T0_E_clISt17integral_constantIbLb1EES1B_IbLb0EEEEDaS17_S18_EUlS17_E_NS1_11comp_targetILNS1_3genE8ELNS1_11target_archE1030ELNS1_3gpuE2ELNS1_3repE0EEENS1_30default_config_static_selectorELNS0_4arch9wavefront6targetE0EEEvT1_.private_seg_size, 0
	.set _ZN7rocprim17ROCPRIM_400000_NS6detail17trampoline_kernelINS0_14default_configENS1_25partition_config_selectorILNS1_17partition_subalgoE8ElNS0_10empty_typeEbEEZZNS1_14partition_implILS5_8ELb0ES3_jPlPS6_PKS6_NS0_5tupleIJS9_S6_EEENSD_IJSA_SA_EEENS0_18inequality_wrapperIZN2at6native12_GLOBAL__N_124unique_dim_cuda_templateItEESt5tupleIJNSH_6TensorESM_SM_EERKSM_lbbbEUlllE0_EEPmJS6_EEE10hipError_tPvRmT3_T4_T5_T6_T7_T9_mT8_P12ihipStream_tbDpT10_ENKUlT_T0_E_clISt17integral_constantIbLb1EES1B_IbLb0EEEEDaS17_S18_EUlS17_E_NS1_11comp_targetILNS1_3genE8ELNS1_11target_archE1030ELNS1_3gpuE2ELNS1_3repE0EEENS1_30default_config_static_selectorELNS0_4arch9wavefront6targetE0EEEvT1_.uses_vcc, 0
	.set _ZN7rocprim17ROCPRIM_400000_NS6detail17trampoline_kernelINS0_14default_configENS1_25partition_config_selectorILNS1_17partition_subalgoE8ElNS0_10empty_typeEbEEZZNS1_14partition_implILS5_8ELb0ES3_jPlPS6_PKS6_NS0_5tupleIJS9_S6_EEENSD_IJSA_SA_EEENS0_18inequality_wrapperIZN2at6native12_GLOBAL__N_124unique_dim_cuda_templateItEESt5tupleIJNSH_6TensorESM_SM_EERKSM_lbbbEUlllE0_EEPmJS6_EEE10hipError_tPvRmT3_T4_T5_T6_T7_T9_mT8_P12ihipStream_tbDpT10_ENKUlT_T0_E_clISt17integral_constantIbLb1EES1B_IbLb0EEEEDaS17_S18_EUlS17_E_NS1_11comp_targetILNS1_3genE8ELNS1_11target_archE1030ELNS1_3gpuE2ELNS1_3repE0EEENS1_30default_config_static_selectorELNS0_4arch9wavefront6targetE0EEEvT1_.uses_flat_scratch, 0
	.set _ZN7rocprim17ROCPRIM_400000_NS6detail17trampoline_kernelINS0_14default_configENS1_25partition_config_selectorILNS1_17partition_subalgoE8ElNS0_10empty_typeEbEEZZNS1_14partition_implILS5_8ELb0ES3_jPlPS6_PKS6_NS0_5tupleIJS9_S6_EEENSD_IJSA_SA_EEENS0_18inequality_wrapperIZN2at6native12_GLOBAL__N_124unique_dim_cuda_templateItEESt5tupleIJNSH_6TensorESM_SM_EERKSM_lbbbEUlllE0_EEPmJS6_EEE10hipError_tPvRmT3_T4_T5_T6_T7_T9_mT8_P12ihipStream_tbDpT10_ENKUlT_T0_E_clISt17integral_constantIbLb1EES1B_IbLb0EEEEDaS17_S18_EUlS17_E_NS1_11comp_targetILNS1_3genE8ELNS1_11target_archE1030ELNS1_3gpuE2ELNS1_3repE0EEENS1_30default_config_static_selectorELNS0_4arch9wavefront6targetE0EEEvT1_.has_dyn_sized_stack, 0
	.set _ZN7rocprim17ROCPRIM_400000_NS6detail17trampoline_kernelINS0_14default_configENS1_25partition_config_selectorILNS1_17partition_subalgoE8ElNS0_10empty_typeEbEEZZNS1_14partition_implILS5_8ELb0ES3_jPlPS6_PKS6_NS0_5tupleIJS9_S6_EEENSD_IJSA_SA_EEENS0_18inequality_wrapperIZN2at6native12_GLOBAL__N_124unique_dim_cuda_templateItEESt5tupleIJNSH_6TensorESM_SM_EERKSM_lbbbEUlllE0_EEPmJS6_EEE10hipError_tPvRmT3_T4_T5_T6_T7_T9_mT8_P12ihipStream_tbDpT10_ENKUlT_T0_E_clISt17integral_constantIbLb1EES1B_IbLb0EEEEDaS17_S18_EUlS17_E_NS1_11comp_targetILNS1_3genE8ELNS1_11target_archE1030ELNS1_3gpuE2ELNS1_3repE0EEENS1_30default_config_static_selectorELNS0_4arch9wavefront6targetE0EEEvT1_.has_recursion, 0
	.set _ZN7rocprim17ROCPRIM_400000_NS6detail17trampoline_kernelINS0_14default_configENS1_25partition_config_selectorILNS1_17partition_subalgoE8ElNS0_10empty_typeEbEEZZNS1_14partition_implILS5_8ELb0ES3_jPlPS6_PKS6_NS0_5tupleIJS9_S6_EEENSD_IJSA_SA_EEENS0_18inequality_wrapperIZN2at6native12_GLOBAL__N_124unique_dim_cuda_templateItEESt5tupleIJNSH_6TensorESM_SM_EERKSM_lbbbEUlllE0_EEPmJS6_EEE10hipError_tPvRmT3_T4_T5_T6_T7_T9_mT8_P12ihipStream_tbDpT10_ENKUlT_T0_E_clISt17integral_constantIbLb1EES1B_IbLb0EEEEDaS17_S18_EUlS17_E_NS1_11comp_targetILNS1_3genE8ELNS1_11target_archE1030ELNS1_3gpuE2ELNS1_3repE0EEENS1_30default_config_static_selectorELNS0_4arch9wavefront6targetE0EEEvT1_.has_indirect_call, 0
	.section	.AMDGPU.csdata,"",@progbits
; Kernel info:
; codeLenInByte = 0
; TotalNumSgprs: 0
; NumVgprs: 0
; ScratchSize: 0
; MemoryBound: 0
; FloatMode: 240
; IeeeMode: 1
; LDSByteSize: 0 bytes/workgroup (compile time only)
; SGPRBlocks: 0
; VGPRBlocks: 0
; NumSGPRsForWavesPerEU: 1
; NumVGPRsForWavesPerEU: 1
; NamedBarCnt: 0
; Occupancy: 16
; WaveLimiterHint : 0
; COMPUTE_PGM_RSRC2:SCRATCH_EN: 0
; COMPUTE_PGM_RSRC2:USER_SGPR: 2
; COMPUTE_PGM_RSRC2:TRAP_HANDLER: 0
; COMPUTE_PGM_RSRC2:TGID_X_EN: 1
; COMPUTE_PGM_RSRC2:TGID_Y_EN: 0
; COMPUTE_PGM_RSRC2:TGID_Z_EN: 0
; COMPUTE_PGM_RSRC2:TIDIG_COMP_CNT: 0
	.section	.text._ZN7rocprim17ROCPRIM_400000_NS6detail17trampoline_kernelINS0_14default_configENS1_25partition_config_selectorILNS1_17partition_subalgoE8ElNS0_10empty_typeEbEEZZNS1_14partition_implILS5_8ELb0ES3_jPlPS6_PKS6_NS0_5tupleIJS9_S6_EEENSD_IJSA_SA_EEENS0_18inequality_wrapperIZN2at6native12_GLOBAL__N_124unique_dim_cuda_templateItEESt5tupleIJNSH_6TensorESM_SM_EERKSM_lbbbEUlllE0_EEPmJS6_EEE10hipError_tPvRmT3_T4_T5_T6_T7_T9_mT8_P12ihipStream_tbDpT10_ENKUlT_T0_E_clISt17integral_constantIbLb0EES1B_IbLb1EEEEDaS17_S18_EUlS17_E_NS1_11comp_targetILNS1_3genE0ELNS1_11target_archE4294967295ELNS1_3gpuE0ELNS1_3repE0EEENS1_30default_config_static_selectorELNS0_4arch9wavefront6targetE0EEEvT1_,"axG",@progbits,_ZN7rocprim17ROCPRIM_400000_NS6detail17trampoline_kernelINS0_14default_configENS1_25partition_config_selectorILNS1_17partition_subalgoE8ElNS0_10empty_typeEbEEZZNS1_14partition_implILS5_8ELb0ES3_jPlPS6_PKS6_NS0_5tupleIJS9_S6_EEENSD_IJSA_SA_EEENS0_18inequality_wrapperIZN2at6native12_GLOBAL__N_124unique_dim_cuda_templateItEESt5tupleIJNSH_6TensorESM_SM_EERKSM_lbbbEUlllE0_EEPmJS6_EEE10hipError_tPvRmT3_T4_T5_T6_T7_T9_mT8_P12ihipStream_tbDpT10_ENKUlT_T0_E_clISt17integral_constantIbLb0EES1B_IbLb1EEEEDaS17_S18_EUlS17_E_NS1_11comp_targetILNS1_3genE0ELNS1_11target_archE4294967295ELNS1_3gpuE0ELNS1_3repE0EEENS1_30default_config_static_selectorELNS0_4arch9wavefront6targetE0EEEvT1_,comdat
	.globl	_ZN7rocprim17ROCPRIM_400000_NS6detail17trampoline_kernelINS0_14default_configENS1_25partition_config_selectorILNS1_17partition_subalgoE8ElNS0_10empty_typeEbEEZZNS1_14partition_implILS5_8ELb0ES3_jPlPS6_PKS6_NS0_5tupleIJS9_S6_EEENSD_IJSA_SA_EEENS0_18inequality_wrapperIZN2at6native12_GLOBAL__N_124unique_dim_cuda_templateItEESt5tupleIJNSH_6TensorESM_SM_EERKSM_lbbbEUlllE0_EEPmJS6_EEE10hipError_tPvRmT3_T4_T5_T6_T7_T9_mT8_P12ihipStream_tbDpT10_ENKUlT_T0_E_clISt17integral_constantIbLb0EES1B_IbLb1EEEEDaS17_S18_EUlS17_E_NS1_11comp_targetILNS1_3genE0ELNS1_11target_archE4294967295ELNS1_3gpuE0ELNS1_3repE0EEENS1_30default_config_static_selectorELNS0_4arch9wavefront6targetE0EEEvT1_ ; -- Begin function _ZN7rocprim17ROCPRIM_400000_NS6detail17trampoline_kernelINS0_14default_configENS1_25partition_config_selectorILNS1_17partition_subalgoE8ElNS0_10empty_typeEbEEZZNS1_14partition_implILS5_8ELb0ES3_jPlPS6_PKS6_NS0_5tupleIJS9_S6_EEENSD_IJSA_SA_EEENS0_18inequality_wrapperIZN2at6native12_GLOBAL__N_124unique_dim_cuda_templateItEESt5tupleIJNSH_6TensorESM_SM_EERKSM_lbbbEUlllE0_EEPmJS6_EEE10hipError_tPvRmT3_T4_T5_T6_T7_T9_mT8_P12ihipStream_tbDpT10_ENKUlT_T0_E_clISt17integral_constantIbLb0EES1B_IbLb1EEEEDaS17_S18_EUlS17_E_NS1_11comp_targetILNS1_3genE0ELNS1_11target_archE4294967295ELNS1_3gpuE0ELNS1_3repE0EEENS1_30default_config_static_selectorELNS0_4arch9wavefront6targetE0EEEvT1_
	.p2align	8
	.type	_ZN7rocprim17ROCPRIM_400000_NS6detail17trampoline_kernelINS0_14default_configENS1_25partition_config_selectorILNS1_17partition_subalgoE8ElNS0_10empty_typeEbEEZZNS1_14partition_implILS5_8ELb0ES3_jPlPS6_PKS6_NS0_5tupleIJS9_S6_EEENSD_IJSA_SA_EEENS0_18inequality_wrapperIZN2at6native12_GLOBAL__N_124unique_dim_cuda_templateItEESt5tupleIJNSH_6TensorESM_SM_EERKSM_lbbbEUlllE0_EEPmJS6_EEE10hipError_tPvRmT3_T4_T5_T6_T7_T9_mT8_P12ihipStream_tbDpT10_ENKUlT_T0_E_clISt17integral_constantIbLb0EES1B_IbLb1EEEEDaS17_S18_EUlS17_E_NS1_11comp_targetILNS1_3genE0ELNS1_11target_archE4294967295ELNS1_3gpuE0ELNS1_3repE0EEENS1_30default_config_static_selectorELNS0_4arch9wavefront6targetE0EEEvT1_,@function
_ZN7rocprim17ROCPRIM_400000_NS6detail17trampoline_kernelINS0_14default_configENS1_25partition_config_selectorILNS1_17partition_subalgoE8ElNS0_10empty_typeEbEEZZNS1_14partition_implILS5_8ELb0ES3_jPlPS6_PKS6_NS0_5tupleIJS9_S6_EEENSD_IJSA_SA_EEENS0_18inequality_wrapperIZN2at6native12_GLOBAL__N_124unique_dim_cuda_templateItEESt5tupleIJNSH_6TensorESM_SM_EERKSM_lbbbEUlllE0_EEPmJS6_EEE10hipError_tPvRmT3_T4_T5_T6_T7_T9_mT8_P12ihipStream_tbDpT10_ENKUlT_T0_E_clISt17integral_constantIbLb0EES1B_IbLb1EEEEDaS17_S18_EUlS17_E_NS1_11comp_targetILNS1_3genE0ELNS1_11target_archE4294967295ELNS1_3gpuE0ELNS1_3repE0EEENS1_30default_config_static_selectorELNS0_4arch9wavefront6targetE0EEEvT1_: ; @_ZN7rocprim17ROCPRIM_400000_NS6detail17trampoline_kernelINS0_14default_configENS1_25partition_config_selectorILNS1_17partition_subalgoE8ElNS0_10empty_typeEbEEZZNS1_14partition_implILS5_8ELb0ES3_jPlPS6_PKS6_NS0_5tupleIJS9_S6_EEENSD_IJSA_SA_EEENS0_18inequality_wrapperIZN2at6native12_GLOBAL__N_124unique_dim_cuda_templateItEESt5tupleIJNSH_6TensorESM_SM_EERKSM_lbbbEUlllE0_EEPmJS6_EEE10hipError_tPvRmT3_T4_T5_T6_T7_T9_mT8_P12ihipStream_tbDpT10_ENKUlT_T0_E_clISt17integral_constantIbLb0EES1B_IbLb1EEEEDaS17_S18_EUlS17_E_NS1_11comp_targetILNS1_3genE0ELNS1_11target_archE4294967295ELNS1_3gpuE0ELNS1_3repE0EEENS1_30default_config_static_selectorELNS0_4arch9wavefront6targetE0EEEvT1_
; %bb.0:
	s_clause 0x1
	s_load_b256 s[12:19], s[0:1], 0x40
	s_load_b128 s[8:11], s[0:1], 0x60
	v_cmp_ne_u32_e64 s3, 0, v0
	v_cmp_eq_u32_e64 s2, 0, v0
	s_and_saveexec_b32 s4, s2
	s_cbranch_execz .LBB1443_4
; %bb.1:
	s_mov_b32 s6, exec_lo
	s_mov_b32 s5, exec_lo
	v_mbcnt_lo_u32_b32 v1, s6, 0
                                        ; implicit-def: $vgpr2
	s_delay_alu instid0(VALU_DEP_1)
	v_cmpx_eq_u32_e32 0, v1
	s_cbranch_execz .LBB1443_3
; %bb.2:
	s_load_b64 s[20:21], s[0:1], 0x78
	s_bcnt1_i32_b32 s6, s6
	s_delay_alu instid0(SALU_CYCLE_1)
	v_dual_mov_b32 v2, 0 :: v_dual_mov_b32 v3, s6
	s_wait_xcnt 0x0
	s_wait_kmcnt 0x0
	global_atomic_add_u32 v2, v2, v3, s[20:21] th:TH_ATOMIC_RETURN scope:SCOPE_DEV
.LBB1443_3:
	s_wait_xcnt 0x0
	s_or_b32 exec_lo, exec_lo, s5
	s_wait_loadcnt 0x0
	v_readfirstlane_b32 s5, v2
	s_delay_alu instid0(VALU_DEP_1)
	v_dual_mov_b32 v2, 0 :: v_dual_add_nc_u32 v1, s5, v1
	ds_store_b32 v2, v1
.LBB1443_4:
	s_or_b32 exec_lo, exec_lo, s4
	v_dual_mov_b32 v3, 0 :: v_dual_lshlrev_b32 v18, 3, v0
	s_clause 0x2
	s_load_b128 s[4:7], s[0:1], 0x8
	s_load_b64 s[20:21], s[0:1], 0x28
	s_load_b32 s22, s[0:1], 0x70
	s_wait_dscnt 0x0
	s_barrier_signal -1
	s_barrier_wait -1
	ds_load_b32 v1, v3
	s_wait_dscnt 0x0
	s_barrier_signal -1
	s_barrier_wait -1
	s_wait_kmcnt 0x0
	global_load_b64 v[4:5], v3, s[14:15]
	s_wait_xcnt 0x0
	s_mov_b32 s15, 0
	s_lshl_b64 s[0:1], s[6:7], 3
	s_mul_i32 s14, s22, 0xe00
	s_add_co_i32 s26, s22, -1
	s_add_nc_u64 s[24:25], s[6:7], s[14:15]
	s_add_co_i32 s14, s14, s6
	v_cmp_le_u64_e64 s15, s[16:17], s[24:25]
	v_mul_lo_u32 v2, 0xe00, v1
	v_readfirstlane_b32 s22, v1
	s_sub_co_i32 s23, s16, s14
	s_add_nc_u64 s[0:1], s[4:5], s[0:1]
	s_cmp_eq_u32 s22, s26
	s_cselect_b32 s16, -1, 0
	s_delay_alu instid0(SALU_CYCLE_1) | instskip(SKIP_2) | instid1(SALU_CYCLE_1)
	s_and_b32 s24, s15, s16
	v_lshlrev_b64_e32 v[2:3], 3, v[2:3]
	s_xor_b32 s17, s24, -1
	s_and_b32 vcc_lo, exec_lo, s17
	s_delay_alu instid0(VALU_DEP_1)
	v_add_nc_u64_e32 v[20:21], s[0:1], v[2:3]
	s_mov_b32 s0, -1
	s_wait_loadcnt 0x0
	v_readfirstlane_b32 s14, v4
	v_readfirstlane_b32 s15, v5
	s_cbranch_vccz .LBB1443_6
; %bb.5:
	v_readfirstlane_b32 s0, v20
	v_readfirstlane_b32 s1, v21
	v_lshlrev_b32_e32 v1, 3, v0
	s_clause 0x6
	global_load_b64 v[2:3], v0, s[0:1] scale_offset
	global_load_b64 v[4:5], v0, s[0:1] offset:4096 scale_offset
	global_load_b64 v[6:7], v0, s[0:1] offset:8192 scale_offset
	;; [unrolled: 1-line block ×6, first 2 shown]
	s_wait_xcnt 0x0
	s_mov_b32 s0, 0
	s_wait_loadcnt 0x5
	ds_store_2addr_stride64_b64 v1, v[2:3], v[4:5] offset1:8
	s_wait_loadcnt 0x3
	ds_store_2addr_stride64_b64 v1, v[6:7], v[8:9] offset0:16 offset1:24
	s_wait_loadcnt 0x1
	ds_store_2addr_stride64_b64 v1, v[10:11], v[12:13] offset0:32 offset1:40
	s_wait_loadcnt 0x0
	ds_store_b64 v1, v[14:15] offset:24576
	s_wait_dscnt 0x0
	s_barrier_signal -1
	s_barrier_wait -1
.LBB1443_6:
	s_and_not1_b32 vcc_lo, exec_lo, s0
	s_addk_co_i32 s23, 0xe00
	s_cbranch_vccnz .LBB1443_22
; %bb.7:
	v_mov_b32_e32 v2, 0
	s_mov_b32 s0, exec_lo
	s_delay_alu instid0(VALU_DEP_1)
	v_dual_mov_b32 v3, v2 :: v_dual_mov_b32 v4, v2
	v_dual_mov_b32 v5, v2 :: v_dual_mov_b32 v6, v2
	;; [unrolled: 1-line block ×6, first 2 shown]
	v_mov_b32_e32 v15, v2
	v_cmpx_gt_u32_e64 s23, v0
	s_cbranch_execz .LBB1443_9
; %bb.8:
	v_readfirstlane_b32 s4, v20
	v_readfirstlane_b32 s5, v21
	v_dual_mov_b32 v6, v2 :: v_dual_mov_b32 v7, v2
	v_dual_mov_b32 v8, v2 :: v_dual_mov_b32 v9, v2
	global_load_b64 v[4:5], v0, s[4:5] scale_offset
	v_dual_mov_b32 v10, v2 :: v_dual_mov_b32 v11, v2
	v_dual_mov_b32 v12, v2 :: v_dual_mov_b32 v13, v2
	;; [unrolled: 1-line block ×4, first 2 shown]
	s_wait_loadcnt 0x0
	v_mov_b64_e32 v[2:3], v[4:5]
	v_mov_b64_e32 v[4:5], v[6:7]
	;; [unrolled: 1-line block ×8, first 2 shown]
.LBB1443_9:
	s_or_b32 exec_lo, exec_lo, s0
	v_or_b32_e32 v1, 0x200, v0
	s_mov_b32 s0, exec_lo
	s_delay_alu instid0(VALU_DEP_1)
	v_cmpx_gt_u32_e64 s23, v1
	s_cbranch_execz .LBB1443_11
; %bb.10:
	v_readfirstlane_b32 s4, v20
	v_readfirstlane_b32 s5, v21
	global_load_b64 v[4:5], v0, s[4:5] offset:4096 scale_offset
.LBB1443_11:
	s_wait_xcnt 0x0
	s_or_b32 exec_lo, exec_lo, s0
	v_or_b32_e32 v1, 0x400, v0
	s_mov_b32 s0, exec_lo
	s_delay_alu instid0(VALU_DEP_1)
	v_cmpx_gt_u32_e64 s23, v1
	s_cbranch_execz .LBB1443_13
; %bb.12:
	v_readfirstlane_b32 s4, v20
	v_readfirstlane_b32 s5, v21
	global_load_b64 v[6:7], v0, s[4:5] offset:8192 scale_offset
.LBB1443_13:
	s_wait_xcnt 0x0
	;; [unrolled: 12-line block ×6, first 2 shown]
	s_or_b32 exec_lo, exec_lo, s0
	v_lshlrev_b32_e32 v1, 3, v0
	s_wait_loadcnt 0x0
	ds_store_2addr_stride64_b64 v1, v[2:3], v[4:5] offset1:8
	ds_store_2addr_stride64_b64 v1, v[6:7], v[8:9] offset0:16 offset1:24
	ds_store_2addr_stride64_b64 v1, v[10:11], v[12:13] offset0:32 offset1:40
	ds_store_b64 v1, v[14:15] offset:24576
	s_wait_dscnt 0x0
	s_barrier_signal -1
	s_barrier_wait -1
.LBB1443_22:
	v_mul_u32_u24_e32 v1, 7, v0
	s_cmp_lg_u32 s22, 0
	s_cselect_b32 s25, -1, 0
	s_delay_alu instid0(VALU_DEP_1)
	v_lshlrev_b32_e32 v26, 3, v1
	s_cmp_lg_u64 s[6:7], 0
	v_cmp_gt_i64_e64 s7, s[18:19], 0
	s_cselect_b32 s0, -1, 0
	s_mov_b32 s6, 0
	ds_load_2addr_b64 v[10:13], v26 offset1:1
	ds_load_2addr_b64 v[6:9], v26 offset0:2 offset1:3
	ds_load_2addr_b64 v[2:5], v26 offset0:4 offset1:5
	ds_load_b64 v[14:15], v26 offset:48
	s_or_b32 s0, s0, s25
	s_wait_dscnt 0x0
	s_and_b32 vcc_lo, exec_lo, s0
	s_barrier_signal -1
	s_barrier_wait -1
	s_cbranch_vccz .LBB1443_38
; %bb.23:
	global_load_b64 v[20:21], v[20:21], off offset:-8
	v_cndmask_b32_e64 v27, 0, 1, s7
	v_lshlrev_b32_e32 v28, 3, v0
	s_and_b32 vcc_lo, exec_lo, s17
	s_delay_alu instid0(VALU_DEP_2)
	v_cmp_ne_u32_e64 s0, 1, v27
	ds_store_b64 v28, v[14:15]
	s_cbranch_vccz .LBB1443_40
; %bb.24:
	s_and_b32 vcc_lo, exec_lo, s0
	s_cbranch_vccnz .LBB1443_41
; %bb.25:
	v_mul_u64_e32 v[16:17], s[18:19], v[4:5]
	v_mul_u64_e32 v[22:23], s[18:19], v[14:15]
	s_add_nc_u64 s[4:5], s[18:19], -1
	s_mov_b32 s26, 0
	s_mov_b64 s[0:1], s[4:5]
                                        ; implicit-def: $sgpr6
	s_delay_alu instid0(VALU_DEP_2) | instskip(NEXT) | instid1(VALU_DEP_2)
	v_lshl_add_u64 v[16:17], v[16:17], 1, s[8:9]
	v_lshl_add_u64 v[22:23], v[22:23], 1, s[8:9]
	s_delay_alu instid0(VALU_DEP_2)
	v_mov_b64_e32 v[24:25], v[16:17]
.LBB1443_26:                            ; =>This Inner Loop Header: Depth=1
	global_load_u16 v19, v[24:25], off
	global_load_u16 v29, v[22:23], off
	s_cmp_eq_u64 s[0:1], 0
	s_add_nc_u64 s[28:29], s[0:1], -1
	s_cselect_b32 s1, -1, 0
	s_wait_xcnt 0x1
	v_add_nc_u64_e32 v[24:25], 2, v[24:25]
	s_wait_xcnt 0x0
	v_add_nc_u64_e32 v[22:23], 2, v[22:23]
	s_wait_loadcnt 0x0
	v_cmp_ne_u16_e32 vcc_lo, v19, v29
	v_cmp_eq_u16_e64 s0, v19, v29
	s_or_b32 s1, vcc_lo, s1
	s_delay_alu instid0(SALU_CYCLE_1) | instskip(NEXT) | instid1(SALU_CYCLE_1)
	s_and_b32 s1, exec_lo, s1
	s_or_b32 s26, s1, s26
	s_and_not1_b32 s6, s6, exec_lo
	s_and_b32 s27, s0, exec_lo
	s_mov_b64 s[0:1], s[28:29]
	s_or_b32 s6, s6, s27
	s_and_not1_b32 exec_lo, exec_lo, s26
	s_cbranch_execnz .LBB1443_26
; %bb.27:
	s_or_b32 exec_lo, exec_lo, s26
	v_mul_u64_e32 v[22:23], s[18:19], v[2:3]
	s_mov_b32 s27, 0
	s_mov_b64 s[0:1], s[4:5]
                                        ; implicit-def: $sgpr26
	s_delay_alu instid0(VALU_DEP_1) | instskip(NEXT) | instid1(VALU_DEP_1)
	v_lshl_add_u64 v[22:23], v[22:23], 1, s[8:9]
	v_mov_b64_e32 v[24:25], v[22:23]
.LBB1443_28:                            ; =>This Inner Loop Header: Depth=1
	global_load_u16 v19, v[24:25], off
	global_load_u16 v29, v[16:17], off
	s_cmp_eq_u64 s[0:1], 0
	s_add_nc_u64 s[28:29], s[0:1], -1
	s_cselect_b32 s1, -1, 0
	s_wait_xcnt 0x1
	v_add_nc_u64_e32 v[24:25], 2, v[24:25]
	s_wait_xcnt 0x0
	v_add_nc_u64_e32 v[16:17], 2, v[16:17]
	s_wait_loadcnt 0x0
	v_cmp_ne_u16_e32 vcc_lo, v19, v29
	v_cmp_eq_u16_e64 s0, v19, v29
	s_or_b32 s1, vcc_lo, s1
	s_delay_alu instid0(SALU_CYCLE_1) | instskip(NEXT) | instid1(SALU_CYCLE_1)
	s_and_b32 s1, exec_lo, s1
	s_or_b32 s27, s1, s27
	s_and_not1_b32 s26, s26, exec_lo
	s_and_b32 s30, s0, exec_lo
	s_mov_b64 s[0:1], s[28:29]
	s_or_b32 s26, s26, s30
	s_and_not1_b32 exec_lo, exec_lo, s27
	s_cbranch_execnz .LBB1443_28
; %bb.29:
	s_or_b32 exec_lo, exec_lo, s27
	v_mul_u64_e32 v[16:17], s[18:19], v[8:9]
	s_mov_b32 s28, 0
	s_mov_b64 s[0:1], s[4:5]
                                        ; implicit-def: $sgpr27
	s_delay_alu instid0(VALU_DEP_1) | instskip(NEXT) | instid1(VALU_DEP_1)
	v_lshl_add_u64 v[16:17], v[16:17], 1, s[8:9]
	v_mov_b64_e32 v[24:25], v[16:17]
.LBB1443_30:                            ; =>This Inner Loop Header: Depth=1
	global_load_u16 v19, v[24:25], off
	global_load_u16 v29, v[22:23], off
	s_cmp_eq_u64 s[0:1], 0
	s_add_nc_u64 s[30:31], s[0:1], -1
	s_cselect_b32 s1, -1, 0
	s_wait_xcnt 0x1
	v_add_nc_u64_e32 v[24:25], 2, v[24:25]
	s_wait_xcnt 0x0
	v_add_nc_u64_e32 v[22:23], 2, v[22:23]
	s_wait_loadcnt 0x0
	v_cmp_ne_u16_e32 vcc_lo, v19, v29
	v_cmp_eq_u16_e64 s0, v19, v29
	s_or_b32 s1, vcc_lo, s1
	s_delay_alu instid0(SALU_CYCLE_1) | instskip(NEXT) | instid1(SALU_CYCLE_1)
	s_and_b32 s1, exec_lo, s1
	s_or_b32 s28, s1, s28
	s_and_not1_b32 s27, s27, exec_lo
	s_and_b32 s29, s0, exec_lo
	s_mov_b64 s[0:1], s[30:31]
	s_or_b32 s27, s27, s29
	s_and_not1_b32 exec_lo, exec_lo, s28
	s_cbranch_execnz .LBB1443_30
; %bb.31:
	s_or_b32 exec_lo, exec_lo, s28
	v_mul_u64_e32 v[22:23], s[18:19], v[6:7]
	s_mov_b32 s29, 0
	s_mov_b64 s[0:1], s[4:5]
                                        ; implicit-def: $sgpr28
	s_delay_alu instid0(VALU_DEP_1) | instskip(NEXT) | instid1(VALU_DEP_1)
	v_lshl_add_u64 v[22:23], v[22:23], 1, s[8:9]
	v_mov_b64_e32 v[24:25], v[22:23]
.LBB1443_32:                            ; =>This Inner Loop Header: Depth=1
	global_load_u16 v19, v[24:25], off
	global_load_u16 v29, v[16:17], off
	s_cmp_eq_u64 s[0:1], 0
	s_add_nc_u64 s[30:31], s[0:1], -1
	s_cselect_b32 s1, -1, 0
	s_wait_xcnt 0x1
	v_add_nc_u64_e32 v[24:25], 2, v[24:25]
	s_wait_xcnt 0x0
	v_add_nc_u64_e32 v[16:17], 2, v[16:17]
	s_wait_loadcnt 0x0
	v_cmp_ne_u16_e32 vcc_lo, v19, v29
	v_cmp_eq_u16_e64 s0, v19, v29
	s_or_b32 s1, vcc_lo, s1
	s_delay_alu instid0(SALU_CYCLE_1) | instskip(NEXT) | instid1(SALU_CYCLE_1)
	s_and_b32 s1, exec_lo, s1
	s_or_b32 s29, s1, s29
	s_and_not1_b32 s28, s28, exec_lo
	s_and_b32 s33, s0, exec_lo
	s_mov_b64 s[0:1], s[30:31]
	s_or_b32 s28, s28, s33
	s_and_not1_b32 exec_lo, exec_lo, s29
	s_cbranch_execnz .LBB1443_32
; %bb.33:
	s_or_b32 exec_lo, exec_lo, s29
	v_mul_u64_e32 v[16:17], s[18:19], v[12:13]
	s_mov_b32 s30, 0
	s_mov_b64 s[0:1], s[4:5]
                                        ; implicit-def: $sgpr29
	s_delay_alu instid0(VALU_DEP_1) | instskip(NEXT) | instid1(VALU_DEP_1)
	v_lshl_add_u64 v[16:17], v[16:17], 1, s[8:9]
	v_mov_b64_e32 v[24:25], v[16:17]
.LBB1443_34:                            ; =>This Inner Loop Header: Depth=1
	global_load_u16 v19, v[24:25], off
	global_load_u16 v29, v[22:23], off
	s_cmp_eq_u64 s[0:1], 0
	s_add_nc_u64 s[34:35], s[0:1], -1
	s_cselect_b32 s1, -1, 0
	s_wait_xcnt 0x1
	v_add_nc_u64_e32 v[24:25], 2, v[24:25]
	s_wait_xcnt 0x0
	v_add_nc_u64_e32 v[22:23], 2, v[22:23]
	s_wait_loadcnt 0x0
	v_cmp_ne_u16_e32 vcc_lo, v19, v29
	v_cmp_eq_u16_e64 s0, v19, v29
	s_or_b32 s1, vcc_lo, s1
	s_delay_alu instid0(SALU_CYCLE_1) | instskip(NEXT) | instid1(SALU_CYCLE_1)
	s_and_b32 s1, exec_lo, s1
	s_or_b32 s30, s1, s30
	s_and_not1_b32 s29, s29, exec_lo
	s_and_b32 s31, s0, exec_lo
	s_mov_b64 s[0:1], s[34:35]
	s_or_b32 s29, s29, s31
	s_and_not1_b32 exec_lo, exec_lo, s30
	s_cbranch_execnz .LBB1443_34
; %bb.35:
	s_or_b32 exec_lo, exec_lo, s30
	v_mul_u64_e32 v[22:23], s[18:19], v[10:11]
	s_mov_b32 s30, 0
                                        ; implicit-def: $sgpr1
	s_delay_alu instid0(VALU_DEP_1)
	v_lshl_add_u64 v[22:23], v[22:23], 1, s[8:9]
.LBB1443_36:                            ; =>This Inner Loop Header: Depth=1
	global_load_u16 v19, v[22:23], off
	global_load_u16 v24, v[16:17], off
	s_cmp_eq_u64 s[4:5], 0
	s_add_nc_u64 s[34:35], s[4:5], -1
	s_cselect_b32 s4, -1, 0
	s_wait_xcnt 0x1
	v_add_nc_u64_e32 v[22:23], 2, v[22:23]
	s_wait_xcnt 0x0
	v_add_nc_u64_e32 v[16:17], 2, v[16:17]
	s_wait_loadcnt 0x0
	v_cmp_ne_u16_e32 vcc_lo, v19, v24
	v_cmp_eq_u16_e64 s0, v19, v24
	s_or_b32 s4, vcc_lo, s4
	s_delay_alu instid0(SALU_CYCLE_1) | instskip(NEXT) | instid1(SALU_CYCLE_1)
	s_and_b32 s4, exec_lo, s4
	s_or_b32 s30, s4, s30
	s_and_not1_b32 s1, s1, exec_lo
	s_and_b32 s0, s0, exec_lo
	s_mov_b64 s[4:5], s[34:35]
	s_or_b32 s1, s1, s0
	s_and_not1_b32 exec_lo, exec_lo, s30
	s_cbranch_execnz .LBB1443_36
; %bb.37:
	s_or_b32 exec_lo, exec_lo, s30
	s_xor_b32 s0, s28, -1
	s_delay_alu instid0(SALU_CYCLE_1) | instskip(SKIP_1) | instid1(SALU_CYCLE_1)
	v_cndmask_b32_e64 v16, 0, 1, s0
	s_xor_b32 s0, s29, -1
	v_cndmask_b32_e64 v17, 0, 1, s0
	s_xor_b32 s0, s26, -1
	s_delay_alu instid0(VALU_DEP_2) | instskip(SKIP_2) | instid1(SALU_CYCLE_1)
	v_lshlrev_b16 v16, 8, v16
	v_cndmask_b32_e64 v30, 0, 1, s0
	s_xor_b32 s0, s6, -1
	v_cndmask_b32_e64 v19, 0, 1, s0
	s_delay_alu instid0(VALU_DEP_3) | instskip(SKIP_1) | instid1(VALU_DEP_1)
	v_lshrrev_b32_e32 v16, 8, v16
	s_xor_b32 s0, s27, -1
	v_and_b32_e32 v16, 1, v16
	s_delay_alu instid0(VALU_DEP_1) | instskip(NEXT) | instid1(VALU_DEP_1)
	v_lshlrev_b16 v16, 8, v16
	v_or_b32_e32 v16, v17, v16
	v_cndmask_b32_e64 v17, 0, 1, s0
	s_xor_b32 s0, s1, -1
	s_delay_alu instid0(VALU_DEP_2)
	v_lshlrev_b32_e32 v16, 16, v16
	s_branch .LBB1443_42
.LBB1443_38:
                                        ; implicit-def: $sgpr0
                                        ; implicit-def: $vgpr19
                                        ; implicit-def: $vgpr30
                                        ; implicit-def: $vgpr17
                                        ; implicit-def: $vgpr22
	s_branch .LBB1443_95
.LBB1443_39:
                                        ; implicit-def: $vgpr32
                                        ; implicit-def: $vgpr31
                                        ; implicit-def: $vgpr20
	s_branch .LBB1443_164
.LBB1443_40:
                                        ; implicit-def: $sgpr0
                                        ; implicit-def: $vgpr19
                                        ; implicit-def: $vgpr30
                                        ; implicit-def: $vgpr17
                                        ; implicit-def: $vgpr22
	s_cbranch_execnz .LBB1443_49
	s_branch .LBB1443_94
.LBB1443_41:
	v_dual_mov_b32 v16, 0 :: v_dual_mov_b32 v19, 0
	v_dual_mov_b32 v30, 0 :: v_dual_mov_b32 v17, 0
	s_mov_b32 s0, 0
.LBB1443_42:
	s_wait_loadcnt 0x0
	v_mov_b64_e32 v[22:23], v[20:21]
	s_wait_dscnt 0x0
	s_barrier_signal -1
	s_barrier_wait -1
	s_and_saveexec_b32 s1, s3
; %bb.43:
	v_add_nc_u32_e32 v22, -8, v28
	ds_load_b64 v[22:23], v22
; %bb.44:
	s_or_b32 exec_lo, exec_lo, s1
	v_cndmask_b32_e64 v24, 0, 1, s0
	v_lshrrev_b32_e32 v25, 16, v16
	s_mov_b32 s4, 0
	s_and_not1_b32 vcc_lo, exec_lo, s7
	s_mov_b32 s0, 0
	v_lshlrev_b16 v24, 8, v24
	s_delay_alu instid0(VALU_DEP_1) | instskip(SKIP_1) | instid1(VALU_DEP_2)
	v_bitop3_b16 v24, v16, v24, 0xff bitop3:0xec
	v_perm_b32 v16, v25, v16, 0xc0c0304
	v_and_b32_e32 v29, 0xffff, v24
	s_cbranch_vccnz .LBB1443_48
; %bb.45:
	s_wait_dscnt 0x0
	v_mul_u64_e32 v[22:23], s[18:19], v[22:23]
	v_mul_u64_e32 v[24:25], s[18:19], v[10:11]
	s_add_nc_u64 s[0:1], s[18:19], -1
	s_mov_b32 s5, 0
                                        ; implicit-def: $sgpr6
	s_delay_alu instid0(VALU_DEP_2) | instskip(NEXT) | instid1(VALU_DEP_2)
	v_lshl_add_u64 v[22:23], v[22:23], 1, s[8:9]
	v_lshl_add_u64 v[24:25], v[24:25], 1, s[8:9]
.LBB1443_46:                            ; =>This Inner Loop Header: Depth=1
	global_load_u16 v31, v[22:23], off
	global_load_u16 v32, v[24:25], off
	s_cmp_eq_u64 s[0:1], 0
	s_add_nc_u64 s[26:27], s[0:1], -1
	s_cselect_b32 s1, -1, 0
	s_wait_xcnt 0x1
	v_add_nc_u64_e32 v[22:23], 2, v[22:23]
	s_wait_xcnt 0x0
	v_add_nc_u64_e32 v[24:25], 2, v[24:25]
	s_wait_loadcnt 0x0
	v_cmp_ne_u16_e32 vcc_lo, v31, v32
	v_cmp_eq_u16_e64 s0, v31, v32
	s_or_b32 s1, vcc_lo, s1
	s_delay_alu instid0(SALU_CYCLE_1) | instskip(NEXT) | instid1(SALU_CYCLE_1)
	s_and_b32 s1, exec_lo, s1
	s_or_b32 s5, s1, s5
	s_and_not1_b32 s6, s6, exec_lo
	s_and_b32 s28, s0, exec_lo
	s_mov_b64 s[0:1], s[26:27]
	s_or_b32 s6, s6, s28
	s_and_not1_b32 exec_lo, exec_lo, s5
	s_cbranch_execnz .LBB1443_46
; %bb.47:
	s_or_b32 exec_lo, exec_lo, s5
	s_xor_b32 s0, s6, -1
.LBB1443_48:
	s_wait_dscnt 0x0
	s_delay_alu instid0(VALU_DEP_1)
	v_lshl_or_b32 v22, v16, 16, v29
	s_and_b32 vcc_lo, exec_lo, s4
	s_cbranch_vccz .LBB1443_94
.LBB1443_49:
	v_add_nc_u32_e32 v16, 6, v1
	s_mov_b32 s5, 0
	s_mov_b32 s4, 0
	s_mov_b32 s6, exec_lo
	s_wait_xcnt 0x0
	v_cmpx_gt_u32_e64 s23, v16
	s_cbranch_execz .LBB1443_55
; %bb.50:
	s_and_not1_b32 vcc_lo, exec_lo, s7
	s_mov_b32 s0, 0
	s_cbranch_vccnz .LBB1443_54
; %bb.51:
	v_mul_u64_e32 v[16:17], s[18:19], v[4:5]
	v_mul_u64_e32 v[22:23], s[18:19], v[14:15]
	s_add_nc_u64 s[0:1], s[18:19], -1
                                        ; implicit-def: $sgpr7
	s_delay_alu instid0(VALU_DEP_2) | instskip(NEXT) | instid1(VALU_DEP_2)
	v_lshl_add_u64 v[16:17], v[16:17], 1, s[8:9]
	v_lshl_add_u64 v[22:23], v[22:23], 1, s[8:9]
.LBB1443_52:                            ; =>This Inner Loop Header: Depth=1
	global_load_u16 v19, v[16:17], off
	global_load_u16 v24, v[22:23], off
	s_cmp_eq_u64 s[0:1], 0
	s_add_nc_u64 s[26:27], s[0:1], -1
	s_cselect_b32 s1, -1, 0
	s_wait_xcnt 0x1
	v_add_nc_u64_e32 v[16:17], 2, v[16:17]
	s_wait_xcnt 0x0
	v_add_nc_u64_e32 v[22:23], 2, v[22:23]
	s_wait_loadcnt 0x0
	v_cmp_ne_u16_e32 vcc_lo, v19, v24
	v_cmp_eq_u16_e64 s0, v19, v24
	s_or_b32 s1, vcc_lo, s1
	s_delay_alu instid0(SALU_CYCLE_1) | instskip(NEXT) | instid1(SALU_CYCLE_1)
	s_and_b32 s1, exec_lo, s1
	s_or_b32 s4, s1, s4
	s_and_not1_b32 s7, s7, exec_lo
	s_and_b32 s28, s0, exec_lo
	s_mov_b64 s[0:1], s[26:27]
	s_or_b32 s7, s7, s28
	s_and_not1_b32 exec_lo, exec_lo, s4
	s_cbranch_execnz .LBB1443_52
; %bb.53:
	s_or_b32 exec_lo, exec_lo, s4
	s_xor_b32 s0, s7, -1
.LBB1443_54:
	s_delay_alu instid0(SALU_CYCLE_1)
	s_and_b32 s4, s0, exec_lo
.LBB1443_55:
	s_or_b32 exec_lo, exec_lo, s6
	v_add_nc_u32_e32 v16, 5, v1
	s_mov_b32 s6, exec_lo
	s_delay_alu instid0(VALU_DEP_1)
	v_cmpx_gt_u32_e64 s23, v16
	s_cbranch_execz .LBB1443_61
; %bb.56:
	v_cmp_ne_u32_e32 vcc_lo, 1, v27
	s_mov_b32 s0, 0
	s_cbranch_vccnz .LBB1443_60
; %bb.57:
	v_mul_u64_e32 v[16:17], s[18:19], v[2:3]
	v_mul_u64_e32 v[22:23], s[18:19], v[4:5]
	s_add_nc_u64 s[0:1], s[18:19], -1
	s_mov_b32 s5, 0
                                        ; implicit-def: $sgpr7
	s_delay_alu instid0(VALU_DEP_2) | instskip(NEXT) | instid1(VALU_DEP_2)
	v_lshl_add_u64 v[16:17], v[16:17], 1, s[8:9]
	v_lshl_add_u64 v[22:23], v[22:23], 1, s[8:9]
.LBB1443_58:                            ; =>This Inner Loop Header: Depth=1
	global_load_u16 v19, v[16:17], off
	global_load_u16 v24, v[22:23], off
	s_cmp_eq_u64 s[0:1], 0
	s_add_nc_u64 s[26:27], s[0:1], -1
	s_cselect_b32 s1, -1, 0
	s_wait_xcnt 0x1
	v_add_nc_u64_e32 v[16:17], 2, v[16:17]
	s_wait_xcnt 0x0
	v_add_nc_u64_e32 v[22:23], 2, v[22:23]
	s_wait_loadcnt 0x0
	v_cmp_ne_u16_e32 vcc_lo, v19, v24
	v_cmp_eq_u16_e64 s0, v19, v24
	s_or_b32 s1, vcc_lo, s1
	s_delay_alu instid0(SALU_CYCLE_1) | instskip(NEXT) | instid1(SALU_CYCLE_1)
	s_and_b32 s1, exec_lo, s1
	s_or_b32 s5, s1, s5
	s_and_not1_b32 s7, s7, exec_lo
	s_and_b32 s28, s0, exec_lo
	s_mov_b64 s[0:1], s[26:27]
	s_or_b32 s7, s7, s28
	s_and_not1_b32 exec_lo, exec_lo, s5
	s_cbranch_execnz .LBB1443_58
; %bb.59:
	s_or_b32 exec_lo, exec_lo, s5
	s_xor_b32 s0, s7, -1
.LBB1443_60:
	s_delay_alu instid0(SALU_CYCLE_1)
	s_and_b32 s5, s0, exec_lo
.LBB1443_61:
	s_or_b32 exec_lo, exec_lo, s6
	v_add_nc_u32_e32 v16, 4, v1
	s_mov_b32 s7, 0
	s_mov_b32 s6, 0
	s_mov_b32 s26, exec_lo
	s_delay_alu instid0(VALU_DEP_1)
	v_cmpx_gt_u32_e64 s23, v16
	s_cbranch_execz .LBB1443_67
; %bb.62:
	v_cmp_ne_u32_e32 vcc_lo, 1, v27
	s_mov_b32 s0, 0
	s_cbranch_vccnz .LBB1443_66
; %bb.63:
	v_mul_u64_e32 v[16:17], s[18:19], v[8:9]
	v_mul_u64_e32 v[22:23], s[18:19], v[2:3]
	s_add_nc_u64 s[0:1], s[18:19], -1
                                        ; implicit-def: $sgpr27
	s_delay_alu instid0(VALU_DEP_2) | instskip(NEXT) | instid1(VALU_DEP_2)
	v_lshl_add_u64 v[16:17], v[16:17], 1, s[8:9]
	v_lshl_add_u64 v[22:23], v[22:23], 1, s[8:9]
.LBB1443_64:                            ; =>This Inner Loop Header: Depth=1
	global_load_u16 v19, v[16:17], off
	global_load_u16 v24, v[22:23], off
	s_cmp_eq_u64 s[0:1], 0
	s_add_nc_u64 s[28:29], s[0:1], -1
	s_cselect_b32 s1, -1, 0
	s_wait_xcnt 0x1
	v_add_nc_u64_e32 v[16:17], 2, v[16:17]
	s_wait_xcnt 0x0
	v_add_nc_u64_e32 v[22:23], 2, v[22:23]
	s_wait_loadcnt 0x0
	v_cmp_ne_u16_e32 vcc_lo, v19, v24
	v_cmp_eq_u16_e64 s0, v19, v24
	s_or_b32 s1, vcc_lo, s1
	s_delay_alu instid0(SALU_CYCLE_1) | instskip(NEXT) | instid1(SALU_CYCLE_1)
	s_and_b32 s1, exec_lo, s1
	s_or_b32 s6, s1, s6
	s_and_not1_b32 s27, s27, exec_lo
	s_and_b32 s30, s0, exec_lo
	s_mov_b64 s[0:1], s[28:29]
	s_or_b32 s27, s27, s30
	s_and_not1_b32 exec_lo, exec_lo, s6
	s_cbranch_execnz .LBB1443_64
; %bb.65:
	s_or_b32 exec_lo, exec_lo, s6
	s_xor_b32 s0, s27, -1
.LBB1443_66:
	s_delay_alu instid0(SALU_CYCLE_1)
	s_and_b32 s6, s0, exec_lo
.LBB1443_67:
	s_or_b32 exec_lo, exec_lo, s26
	v_add_nc_u32_e32 v16, 3, v1
	s_mov_b32 s26, exec_lo
	s_delay_alu instid0(VALU_DEP_1)
	v_cmpx_gt_u32_e64 s23, v16
	s_cbranch_execz .LBB1443_73
; %bb.68:
	v_cmp_ne_u32_e32 vcc_lo, 1, v27
	s_mov_b32 s0, 0
	s_cbranch_vccnz .LBB1443_72
; %bb.69:
	v_mul_u64_e32 v[16:17], s[18:19], v[6:7]
	v_mul_u64_e32 v[22:23], s[18:19], v[8:9]
	s_add_nc_u64 s[0:1], s[18:19], -1
	s_mov_b32 s7, 0
                                        ; implicit-def: $sgpr27
	s_delay_alu instid0(VALU_DEP_2) | instskip(NEXT) | instid1(VALU_DEP_2)
	v_lshl_add_u64 v[16:17], v[16:17], 1, s[8:9]
	v_lshl_add_u64 v[22:23], v[22:23], 1, s[8:9]
.LBB1443_70:                            ; =>This Inner Loop Header: Depth=1
	global_load_u16 v19, v[16:17], off
	global_load_u16 v24, v[22:23], off
	s_cmp_eq_u64 s[0:1], 0
	s_add_nc_u64 s[28:29], s[0:1], -1
	s_cselect_b32 s1, -1, 0
	s_wait_xcnt 0x1
	v_add_nc_u64_e32 v[16:17], 2, v[16:17]
	s_wait_xcnt 0x0
	v_add_nc_u64_e32 v[22:23], 2, v[22:23]
	s_wait_loadcnt 0x0
	v_cmp_ne_u16_e32 vcc_lo, v19, v24
	v_cmp_eq_u16_e64 s0, v19, v24
	s_or_b32 s1, vcc_lo, s1
	s_delay_alu instid0(SALU_CYCLE_1) | instskip(NEXT) | instid1(SALU_CYCLE_1)
	s_and_b32 s1, exec_lo, s1
	s_or_b32 s7, s1, s7
	s_and_not1_b32 s27, s27, exec_lo
	s_and_b32 s30, s0, exec_lo
	s_mov_b64 s[0:1], s[28:29]
	s_or_b32 s27, s27, s30
	s_and_not1_b32 exec_lo, exec_lo, s7
	s_cbranch_execnz .LBB1443_70
; %bb.71:
	s_or_b32 exec_lo, exec_lo, s7
	s_xor_b32 s0, s27, -1
.LBB1443_72:
	s_delay_alu instid0(SALU_CYCLE_1)
	s_and_b32 s7, s0, exec_lo
.LBB1443_73:
	s_or_b32 exec_lo, exec_lo, s26
	v_add_nc_u32_e32 v16, 2, v1
	s_mov_b32 s26, 0
	s_mov_b32 s27, 0
	s_mov_b32 s28, exec_lo
	s_delay_alu instid0(VALU_DEP_1)
	v_cmpx_gt_u32_e64 s23, v16
	s_cbranch_execz .LBB1443_79
; %bb.74:
	v_cmp_ne_u32_e32 vcc_lo, 1, v27
	s_mov_b32 s0, 0
	s_cbranch_vccnz .LBB1443_78
; %bb.75:
	v_mul_u64_e32 v[16:17], s[18:19], v[12:13]
	v_mul_u64_e32 v[22:23], s[18:19], v[6:7]
	s_add_nc_u64 s[0:1], s[18:19], -1
                                        ; implicit-def: $sgpr29
	s_delay_alu instid0(VALU_DEP_2) | instskip(NEXT) | instid1(VALU_DEP_2)
	v_lshl_add_u64 v[16:17], v[16:17], 1, s[8:9]
	v_lshl_add_u64 v[22:23], v[22:23], 1, s[8:9]
.LBB1443_76:                            ; =>This Inner Loop Header: Depth=1
	global_load_u16 v19, v[16:17], off
	global_load_u16 v24, v[22:23], off
	s_cmp_eq_u64 s[0:1], 0
	s_add_nc_u64 s[30:31], s[0:1], -1
	s_cselect_b32 s1, -1, 0
	s_wait_xcnt 0x1
	v_add_nc_u64_e32 v[16:17], 2, v[16:17]
	s_wait_xcnt 0x0
	v_add_nc_u64_e32 v[22:23], 2, v[22:23]
	s_wait_loadcnt 0x0
	v_cmp_ne_u16_e32 vcc_lo, v19, v24
	v_cmp_eq_u16_e64 s0, v19, v24
	s_or_b32 s1, vcc_lo, s1
	s_delay_alu instid0(SALU_CYCLE_1) | instskip(NEXT) | instid1(SALU_CYCLE_1)
	s_and_b32 s1, exec_lo, s1
	s_or_b32 s27, s1, s27
	s_and_not1_b32 s29, s29, exec_lo
	s_and_b32 s33, s0, exec_lo
	s_mov_b64 s[0:1], s[30:31]
	s_or_b32 s29, s29, s33
	s_and_not1_b32 exec_lo, exec_lo, s27
	s_cbranch_execnz .LBB1443_76
; %bb.77:
	s_or_b32 exec_lo, exec_lo, s27
	s_xor_b32 s0, s29, -1
.LBB1443_78:
	s_delay_alu instid0(SALU_CYCLE_1)
	s_and_b32 s27, s0, exec_lo
.LBB1443_79:
	s_or_b32 exec_lo, exec_lo, s28
	v_add_nc_u32_e32 v16, 1, v1
	s_mov_b32 s28, exec_lo
	s_delay_alu instid0(VALU_DEP_1)
	v_cmpx_gt_u32_e64 s23, v16
	s_cbranch_execz .LBB1443_85
; %bb.80:
	v_cmp_ne_u32_e32 vcc_lo, 1, v27
	s_mov_b32 s0, 0
	s_cbranch_vccnz .LBB1443_84
; %bb.81:
	v_mul_u64_e32 v[16:17], s[18:19], v[10:11]
	v_mul_u64_e32 v[22:23], s[18:19], v[12:13]
	s_add_nc_u64 s[0:1], s[18:19], -1
	s_mov_b32 s26, 0
                                        ; implicit-def: $sgpr29
	s_delay_alu instid0(VALU_DEP_2) | instskip(NEXT) | instid1(VALU_DEP_2)
	v_lshl_add_u64 v[16:17], v[16:17], 1, s[8:9]
	v_lshl_add_u64 v[22:23], v[22:23], 1, s[8:9]
.LBB1443_82:                            ; =>This Inner Loop Header: Depth=1
	global_load_u16 v19, v[16:17], off
	global_load_u16 v24, v[22:23], off
	s_cmp_eq_u64 s[0:1], 0
	s_add_nc_u64 s[30:31], s[0:1], -1
	s_cselect_b32 s1, -1, 0
	s_wait_xcnt 0x1
	v_add_nc_u64_e32 v[16:17], 2, v[16:17]
	s_wait_xcnt 0x0
	v_add_nc_u64_e32 v[22:23], 2, v[22:23]
	s_wait_loadcnt 0x0
	v_cmp_ne_u16_e32 vcc_lo, v19, v24
	v_cmp_eq_u16_e64 s0, v19, v24
	s_or_b32 s1, vcc_lo, s1
	s_delay_alu instid0(SALU_CYCLE_1) | instskip(NEXT) | instid1(SALU_CYCLE_1)
	s_and_b32 s1, exec_lo, s1
	s_or_b32 s26, s1, s26
	s_and_not1_b32 s29, s29, exec_lo
	s_and_b32 s33, s0, exec_lo
	s_mov_b64 s[0:1], s[30:31]
	s_or_b32 s29, s29, s33
	s_and_not1_b32 exec_lo, exec_lo, s26
	s_cbranch_execnz .LBB1443_82
; %bb.83:
	s_or_b32 exec_lo, exec_lo, s26
	s_xor_b32 s0, s29, -1
.LBB1443_84:
	s_delay_alu instid0(SALU_CYCLE_1)
	s_and_b32 s26, s0, exec_lo
.LBB1443_85:
	s_or_b32 exec_lo, exec_lo, s28
	s_wait_loadcnt_dscnt 0x0
	s_barrier_signal -1
	s_barrier_wait -1
	s_and_saveexec_b32 s0, s3
; %bb.86:
	v_add_nc_u32_e32 v16, -8, v28
	ds_load_b64 v[20:21], v16
; %bb.87:
	s_or_b32 exec_lo, exec_lo, s0
	v_cndmask_b32_e64 v16, 0, 1, s7
	v_cndmask_b32_e64 v17, 0, 1, s27
	v_cndmask_b32_e64 v19, 0, 1, s26
	s_mov_b32 s0, 0
	s_mov_b32 s7, exec_lo
	v_lshlrev_b16 v16, 8, v16
	s_delay_alu instid0(VALU_DEP_2) | instskip(NEXT) | instid1(VALU_DEP_2)
	v_lshlrev_b16 v19, 8, v19
	v_or_b32_e32 v16, v17, v16
	s_delay_alu instid0(VALU_DEP_2) | instskip(NEXT) | instid1(VALU_DEP_2)
	v_and_b32_e32 v22, 0xffff, v19
	v_lshlrev_b32_e32 v23, 16, v16
	v_cmpx_gt_u32_e64 s23, v1
	s_cbranch_execz .LBB1443_93
; %bb.88:
	v_cmp_ne_u32_e32 vcc_lo, 1, v27
	s_cbranch_vccnz .LBB1443_92
; %bb.89:
	s_wait_dscnt 0x0
	v_mul_u64_e32 v[16:17], s[18:19], v[20:21]
	v_mul_u64_e32 v[20:21], s[18:19], v[10:11]
	s_add_nc_u64 s[0:1], s[18:19], -1
	s_mov_b32 s26, 0
                                        ; implicit-def: $sgpr27
	s_delay_alu instid0(VALU_DEP_2) | instskip(NEXT) | instid1(VALU_DEP_2)
	v_lshl_add_u64 v[16:17], v[16:17], 1, s[8:9]
	v_lshl_add_u64 v[20:21], v[20:21], 1, s[8:9]
.LBB1443_90:                            ; =>This Inner Loop Header: Depth=1
	global_load_u16 v19, v[16:17], off
	global_load_u16 v24, v[20:21], off
	s_cmp_eq_u64 s[0:1], 0
	s_add_nc_u64 s[28:29], s[0:1], -1
	s_cselect_b32 s1, -1, 0
	s_wait_xcnt 0x1
	v_add_nc_u64_e32 v[16:17], 2, v[16:17]
	s_wait_xcnt 0x0
	v_add_nc_u64_e32 v[20:21], 2, v[20:21]
	s_wait_loadcnt 0x0
	v_cmp_ne_u16_e32 vcc_lo, v19, v24
	v_cmp_eq_u16_e64 s0, v19, v24
	s_or_b32 s1, vcc_lo, s1
	s_delay_alu instid0(SALU_CYCLE_1) | instskip(NEXT) | instid1(SALU_CYCLE_1)
	s_and_b32 s1, exec_lo, s1
	s_or_b32 s26, s1, s26
	s_and_not1_b32 s27, s27, exec_lo
	s_and_b32 s30, s0, exec_lo
	s_mov_b64 s[0:1], s[28:29]
	s_or_b32 s27, s27, s30
	s_and_not1_b32 exec_lo, exec_lo, s26
	s_cbranch_execnz .LBB1443_90
; %bb.91:
	s_or_b32 exec_lo, exec_lo, s26
	s_xor_b32 s0, s27, -1
.LBB1443_92:
	s_delay_alu instid0(SALU_CYCLE_1)
	s_and_b32 s0, s0, exec_lo
.LBB1443_93:
	s_or_b32 exec_lo, exec_lo, s7
	v_cndmask_b32_e64 v17, 0, 1, s6
	v_cndmask_b32_e64 v30, 0, 1, s5
	;; [unrolled: 1-line block ×3, first 2 shown]
	v_or_b32_e32 v22, v22, v23
.LBB1443_94:
	s_mov_b32 s6, -1
	s_cbranch_execnz .LBB1443_39
.LBB1443_95:
	v_cmp_gt_i64_e64 s7, s[18:19], 0
	v_mad_i32_i24 v26, 0xffffffd0, v0, v26
	s_and_b32 vcc_lo, exec_lo, s17
	ds_store_b64 v26, v[14:15]
	s_cbranch_vccz .LBB1443_110
; %bb.96:
	s_and_not1_b32 vcc_lo, exec_lo, s7
	s_cbranch_vccnz .LBB1443_111
; %bb.97:
	v_mul_u64_e32 v[16:17], s[18:19], v[4:5]
	s_wait_loadcnt_dscnt 0x1
	v_mul_u64_e32 v[20:21], s[18:19], v[14:15]
	s_add_nc_u64 s[4:5], s[18:19], -1
	s_mov_b32 s27, 0
	s_mov_b64 s[0:1], s[4:5]
                                        ; implicit-def: $sgpr26
	s_delay_alu instid0(VALU_DEP_2) | instskip(NEXT) | instid1(VALU_DEP_2)
	v_lshl_add_u64 v[16:17], v[16:17], 1, s[8:9]
	v_lshl_add_u64 v[20:21], v[20:21], 1, s[8:9]
	s_delay_alu instid0(VALU_DEP_2)
	v_mov_b64_e32 v[22:23], v[16:17]
.LBB1443_98:                            ; =>This Inner Loop Header: Depth=1
	global_load_u16 v19, v[22:23], off
	global_load_u16 v24, v[20:21], off
	s_cmp_eq_u64 s[0:1], 0
	s_add_nc_u64 s[28:29], s[0:1], -1
	s_cselect_b32 s1, -1, 0
	s_wait_xcnt 0x1
	v_add_nc_u64_e32 v[22:23], 2, v[22:23]
	s_wait_xcnt 0x0
	v_add_nc_u64_e32 v[20:21], 2, v[20:21]
	s_wait_loadcnt 0x0
	v_cmp_ne_u16_e32 vcc_lo, v19, v24
	v_cmp_eq_u16_e64 s0, v19, v24
	s_or_b32 s1, vcc_lo, s1
	s_delay_alu instid0(SALU_CYCLE_1) | instskip(NEXT) | instid1(SALU_CYCLE_1)
	s_and_b32 s1, exec_lo, s1
	s_or_b32 s27, s1, s27
	s_and_not1_b32 s26, s26, exec_lo
	s_and_b32 s30, s0, exec_lo
	s_mov_b64 s[0:1], s[28:29]
	s_or_b32 s26, s26, s30
	s_and_not1_b32 exec_lo, exec_lo, s27
	s_cbranch_execnz .LBB1443_98
; %bb.99:
	s_or_b32 exec_lo, exec_lo, s27
	v_mul_u64_e32 v[20:21], s[18:19], v[2:3]
	s_mov_b32 s28, 0
	s_mov_b64 s[0:1], s[4:5]
                                        ; implicit-def: $sgpr27
	s_delay_alu instid0(VALU_DEP_1) | instskip(NEXT) | instid1(VALU_DEP_1)
	v_lshl_add_u64 v[20:21], v[20:21], 1, s[8:9]
	v_mov_b64_e32 v[22:23], v[20:21]
.LBB1443_100:                           ; =>This Inner Loop Header: Depth=1
	global_load_u16 v19, v[22:23], off
	global_load_u16 v24, v[16:17], off
	s_cmp_eq_u64 s[0:1], 0
	s_add_nc_u64 s[30:31], s[0:1], -1
	s_cselect_b32 s1, -1, 0
	s_wait_xcnt 0x1
	v_add_nc_u64_e32 v[22:23], 2, v[22:23]
	s_wait_xcnt 0x0
	v_add_nc_u64_e32 v[16:17], 2, v[16:17]
	s_wait_loadcnt 0x0
	v_cmp_ne_u16_e32 vcc_lo, v19, v24
	v_cmp_eq_u16_e64 s0, v19, v24
	s_or_b32 s1, vcc_lo, s1
	s_delay_alu instid0(SALU_CYCLE_1) | instskip(NEXT) | instid1(SALU_CYCLE_1)
	s_and_b32 s1, exec_lo, s1
	s_or_b32 s28, s1, s28
	s_and_not1_b32 s27, s27, exec_lo
	s_and_b32 s29, s0, exec_lo
	s_mov_b64 s[0:1], s[30:31]
	s_or_b32 s27, s27, s29
	s_and_not1_b32 exec_lo, exec_lo, s28
	s_cbranch_execnz .LBB1443_100
; %bb.101:
	s_or_b32 exec_lo, exec_lo, s28
	v_mul_u64_e32 v[16:17], s[18:19], v[8:9]
	s_mov_b32 s29, 0
	s_mov_b64 s[0:1], s[4:5]
                                        ; implicit-def: $sgpr28
	s_delay_alu instid0(VALU_DEP_1) | instskip(NEXT) | instid1(VALU_DEP_1)
	v_lshl_add_u64 v[16:17], v[16:17], 1, s[8:9]
	v_mov_b64_e32 v[22:23], v[16:17]
.LBB1443_102:                           ; =>This Inner Loop Header: Depth=1
	global_load_u16 v19, v[22:23], off
	global_load_u16 v24, v[20:21], off
	s_cmp_eq_u64 s[0:1], 0
	s_add_nc_u64 s[30:31], s[0:1], -1
	s_cselect_b32 s1, -1, 0
	s_wait_xcnt 0x1
	v_add_nc_u64_e32 v[22:23], 2, v[22:23]
	s_wait_xcnt 0x0
	v_add_nc_u64_e32 v[20:21], 2, v[20:21]
	s_wait_loadcnt 0x0
	v_cmp_ne_u16_e32 vcc_lo, v19, v24
	v_cmp_eq_u16_e64 s0, v19, v24
	s_or_b32 s1, vcc_lo, s1
	s_delay_alu instid0(SALU_CYCLE_1) | instskip(NEXT) | instid1(SALU_CYCLE_1)
	s_and_b32 s1, exec_lo, s1
	s_or_b32 s29, s1, s29
	s_and_not1_b32 s28, s28, exec_lo
	s_and_b32 s33, s0, exec_lo
	s_mov_b64 s[0:1], s[30:31]
	s_or_b32 s28, s28, s33
	s_and_not1_b32 exec_lo, exec_lo, s29
	s_cbranch_execnz .LBB1443_102
; %bb.103:
	s_or_b32 exec_lo, exec_lo, s29
	v_mul_u64_e32 v[20:21], s[18:19], v[6:7]
	s_mov_b32 s30, 0
	s_mov_b64 s[0:1], s[4:5]
                                        ; implicit-def: $sgpr29
	s_delay_alu instid0(VALU_DEP_1) | instskip(NEXT) | instid1(VALU_DEP_1)
	v_lshl_add_u64 v[20:21], v[20:21], 1, s[8:9]
	v_mov_b64_e32 v[22:23], v[20:21]
.LBB1443_104:                           ; =>This Inner Loop Header: Depth=1
	global_load_u16 v19, v[22:23], off
	global_load_u16 v24, v[16:17], off
	s_cmp_eq_u64 s[0:1], 0
	s_add_nc_u64 s[34:35], s[0:1], -1
	s_cselect_b32 s1, -1, 0
	s_wait_xcnt 0x1
	v_add_nc_u64_e32 v[22:23], 2, v[22:23]
	s_wait_xcnt 0x0
	v_add_nc_u64_e32 v[16:17], 2, v[16:17]
	s_wait_loadcnt 0x0
	v_cmp_ne_u16_e32 vcc_lo, v19, v24
	v_cmp_eq_u16_e64 s0, v19, v24
	s_or_b32 s1, vcc_lo, s1
	s_delay_alu instid0(SALU_CYCLE_1) | instskip(NEXT) | instid1(SALU_CYCLE_1)
	s_and_b32 s1, exec_lo, s1
	s_or_b32 s30, s1, s30
	s_and_not1_b32 s29, s29, exec_lo
	s_and_b32 s31, s0, exec_lo
	s_mov_b64 s[0:1], s[34:35]
	s_or_b32 s29, s29, s31
	s_and_not1_b32 exec_lo, exec_lo, s30
	s_cbranch_execnz .LBB1443_104
; %bb.105:
	s_or_b32 exec_lo, exec_lo, s30
	v_mul_u64_e32 v[16:17], s[18:19], v[12:13]
	s_mov_b32 s31, 0
	s_mov_b64 s[0:1], s[4:5]
                                        ; implicit-def: $sgpr30
	s_delay_alu instid0(VALU_DEP_1) | instskip(NEXT) | instid1(VALU_DEP_1)
	v_lshl_add_u64 v[16:17], v[16:17], 1, s[8:9]
	v_mov_b64_e32 v[22:23], v[16:17]
.LBB1443_106:                           ; =>This Inner Loop Header: Depth=1
	global_load_u16 v19, v[22:23], off
	global_load_u16 v24, v[20:21], off
	s_cmp_eq_u64 s[0:1], 0
	s_add_nc_u64 s[34:35], s[0:1], -1
	s_cselect_b32 s1, -1, 0
	s_wait_xcnt 0x1
	v_add_nc_u64_e32 v[22:23], 2, v[22:23]
	s_wait_xcnt 0x0
	v_add_nc_u64_e32 v[20:21], 2, v[20:21]
	s_wait_loadcnt 0x0
	v_cmp_ne_u16_e32 vcc_lo, v19, v24
	v_cmp_eq_u16_e64 s0, v19, v24
	s_or_b32 s1, vcc_lo, s1
	s_delay_alu instid0(SALU_CYCLE_1) | instskip(NEXT) | instid1(SALU_CYCLE_1)
	s_and_b32 s1, exec_lo, s1
	s_or_b32 s31, s1, s31
	s_and_not1_b32 s30, s30, exec_lo
	s_and_b32 s33, s0, exec_lo
	s_mov_b64 s[0:1], s[34:35]
	s_or_b32 s30, s30, s33
	s_and_not1_b32 exec_lo, exec_lo, s31
	s_cbranch_execnz .LBB1443_106
; %bb.107:
	s_or_b32 exec_lo, exec_lo, s31
	v_mul_u64_e32 v[20:21], s[18:19], v[10:11]
	s_mov_b32 s31, 0
                                        ; implicit-def: $sgpr1
	s_delay_alu instid0(VALU_DEP_1)
	v_lshl_add_u64 v[20:21], v[20:21], 1, s[8:9]
.LBB1443_108:                           ; =>This Inner Loop Header: Depth=1
	global_load_u16 v19, v[20:21], off
	global_load_u16 v22, v[16:17], off
	s_cmp_eq_u64 s[4:5], 0
	s_add_nc_u64 s[34:35], s[4:5], -1
	s_cselect_b32 s4, -1, 0
	s_wait_xcnt 0x1
	v_add_nc_u64_e32 v[20:21], 2, v[20:21]
	s_wait_xcnt 0x0
	v_add_nc_u64_e32 v[16:17], 2, v[16:17]
	s_wait_loadcnt 0x0
	v_cmp_ne_u16_e32 vcc_lo, v19, v22
	v_cmp_eq_u16_e64 s0, v19, v22
	s_or_b32 s4, vcc_lo, s4
	s_delay_alu instid0(SALU_CYCLE_1) | instskip(NEXT) | instid1(SALU_CYCLE_1)
	s_and_b32 s4, exec_lo, s4
	s_or_b32 s31, s4, s31
	s_and_not1_b32 s1, s1, exec_lo
	s_and_b32 s0, s0, exec_lo
	s_mov_b64 s[4:5], s[34:35]
	s_or_b32 s1, s1, s0
	s_and_not1_b32 exec_lo, exec_lo, s31
	s_cbranch_execnz .LBB1443_108
; %bb.109:
	s_or_b32 exec_lo, exec_lo, s31
	s_xor_b32 s0, s29, -1
	s_delay_alu instid0(SALU_CYCLE_1) | instskip(SKIP_1) | instid1(SALU_CYCLE_1)
	v_cndmask_b32_e64 v16, 0, 1, s0
	s_xor_b32 s0, s30, -1
	v_cndmask_b32_e64 v17, 0, 1, s0
	s_xor_b32 s0, s27, -1
	s_delay_alu instid0(VALU_DEP_2) | instskip(SKIP_2) | instid1(SALU_CYCLE_1)
	v_lshlrev_b16 v16, 8, v16
	v_cndmask_b32_e64 v30, 0, 1, s0
	s_xor_b32 s0, s26, -1
	v_cndmask_b32_e64 v19, 0, 1, s0
	s_delay_alu instid0(VALU_DEP_3) | instskip(SKIP_1) | instid1(VALU_DEP_1)
	v_lshrrev_b32_e32 v16, 8, v16
	s_xor_b32 s0, s28, -1
	v_and_b32_e32 v16, 1, v16
	s_delay_alu instid0(VALU_DEP_1) | instskip(NEXT) | instid1(VALU_DEP_1)
	v_lshlrev_b16 v16, 8, v16
	v_or_b32_e32 v16, v17, v16
	v_cndmask_b32_e64 v17, 0, 1, s0
	s_xor_b32 s0, s1, -1
	s_delay_alu instid0(VALU_DEP_2)
	v_lshlrev_b32_e32 v16, 16, v16
	s_branch .LBB1443_112
.LBB1443_110:
                                        ; implicit-def: $sgpr0
                                        ; implicit-def: $vgpr19
                                        ; implicit-def: $vgpr30
                                        ; implicit-def: $vgpr17
                                        ; implicit-def: $vgpr22
                                        ; implicit-def: $vgpr32
                                        ; implicit-def: $vgpr31
                                        ; implicit-def: $vgpr20
	s_cbranch_execnz .LBB1443_119
	s_branch .LBB1443_164
.LBB1443_111:
	v_dual_mov_b32 v16, 0 :: v_dual_mov_b32 v19, 0
	v_dual_mov_b32 v30, 0 :: v_dual_mov_b32 v17, 0
	s_mov_b32 s0, 0
.LBB1443_112:
	s_wait_loadcnt_dscnt 0x1
	s_delay_alu instid0(VALU_DEP_1)
	v_dual_lshrrev_b32 v31, 16, v16 :: v_dual_lshrrev_b32 v20, 24, v16
	v_cndmask_b32_e64 v32, 0, 1, s0
	v_mov_b32_e32 v16, 1
	s_wait_dscnt 0x0
	s_barrier_signal -1
	s_barrier_wait -1
                                        ; implicit-def: $sgpr0
                                        ; implicit-def: $vgpr22
	s_and_saveexec_b32 s1, s3
	s_delay_alu instid0(SALU_CYCLE_1)
	s_xor_b32 s4, exec_lo, s1
	s_cbranch_execz .LBB1443_118
; %bb.113:
	v_lshlrev_b16 v21, 8, v20
	v_lshlrev_b16 v22, 8, v32
	s_and_not1_b32 vcc_lo, exec_lo, s7
	s_mov_b32 s0, 0
	s_delay_alu instid0(VALU_DEP_2) | instskip(NEXT) | instid1(VALU_DEP_1)
	v_bitop3_b16 v21, v31, v21, 0xff bitop3:0xec
	v_dual_lshlrev_b32 v21, 16, v21 :: v_dual_bitop2_b32 v22, 1, v22 bitop3:0x54
	s_delay_alu instid0(VALU_DEP_1) | instskip(NEXT) | instid1(VALU_DEP_1)
	v_and_b32_e32 v22, 0xffff, v22
	v_or_b32_e32 v21, v22, v21
	s_cbranch_vccnz .LBB1443_117
; %bb.114:
	v_add_nc_u32_e32 v22, -8, v26
	v_mul_u64_e32 v[24:25], s[18:19], v[10:11]
	s_add_nc_u64 s[0:1], s[18:19], -1
	s_mov_b32 s5, 0
                                        ; implicit-def: $sgpr26
	ds_load_b64 v[22:23], v22
	s_wait_dscnt 0x0
	v_mul_u64_e32 v[22:23], s[18:19], v[22:23]
	v_lshl_add_u64 v[24:25], v[24:25], 1, s[8:9]
	s_delay_alu instid0(VALU_DEP_2)
	v_lshl_add_u64 v[22:23], v[22:23], 1, s[8:9]
.LBB1443_115:                           ; =>This Inner Loop Header: Depth=1
	global_load_u16 v27, v[22:23], off
	global_load_u16 v28, v[24:25], off
	s_cmp_eq_u64 s[0:1], 0
	s_add_nc_u64 s[28:29], s[0:1], -1
	s_cselect_b32 s1, -1, 0
	s_wait_xcnt 0x1
	v_add_nc_u64_e32 v[22:23], 2, v[22:23]
	s_wait_xcnt 0x0
	v_add_nc_u64_e32 v[24:25], 2, v[24:25]
	s_wait_loadcnt 0x0
	v_cmp_ne_u16_e32 vcc_lo, v27, v28
	v_cmp_eq_u16_e64 s0, v27, v28
	s_or_b32 s1, vcc_lo, s1
	s_delay_alu instid0(SALU_CYCLE_1) | instskip(NEXT) | instid1(SALU_CYCLE_1)
	s_and_b32 s1, exec_lo, s1
	s_or_b32 s5, s1, s5
	s_and_not1_b32 s26, s26, exec_lo
	s_and_b32 s27, s0, exec_lo
	s_mov_b64 s[0:1], s[28:29]
	s_or_b32 s26, s26, s27
	s_and_not1_b32 exec_lo, exec_lo, s5
	s_cbranch_execnz .LBB1443_115
; %bb.116:
	s_or_b32 exec_lo, exec_lo, s5
	s_xor_b32 s0, s26, -1
.LBB1443_117:
	s_delay_alu instid0(VALU_DEP_1)
	v_perm_b32 v22, v21, v21, 0x3020104
	s_or_b32 s6, s6, exec_lo
.LBB1443_118:
	s_or_b32 exec_lo, exec_lo, s4
	s_branch .LBB1443_164
.LBB1443_119:
	v_add_nc_u32_e32 v16, 6, v1
	s_mov_b32 s5, 0
	s_mov_b32 s4, 0
	s_mov_b32 s26, exec_lo
	s_wait_xcnt 0x0
	v_cmpx_gt_u32_e64 s23, v16
	s_cbranch_execz .LBB1443_125
; %bb.120:
	s_and_not1_b32 vcc_lo, exec_lo, s7
	s_mov_b32 s0, 0
	s_cbranch_vccnz .LBB1443_124
; %bb.121:
	v_mul_u64_e32 v[16:17], s[18:19], v[4:5]
	s_wait_loadcnt_dscnt 0x1
	v_mul_u64_e32 v[20:21], s[18:19], v[14:15]
	s_add_nc_u64 s[0:1], s[18:19], -1
                                        ; implicit-def: $sgpr27
	s_delay_alu instid0(VALU_DEP_2) | instskip(NEXT) | instid1(VALU_DEP_2)
	v_lshl_add_u64 v[16:17], v[16:17], 1, s[8:9]
	v_lshl_add_u64 v[20:21], v[20:21], 1, s[8:9]
.LBB1443_122:                           ; =>This Inner Loop Header: Depth=1
	global_load_u16 v19, v[16:17], off
	global_load_u16 v22, v[20:21], off
	s_cmp_eq_u64 s[0:1], 0
	s_add_nc_u64 s[28:29], s[0:1], -1
	s_cselect_b32 s1, -1, 0
	s_wait_xcnt 0x1
	v_add_nc_u64_e32 v[16:17], 2, v[16:17]
	s_wait_xcnt 0x0
	v_add_nc_u64_e32 v[20:21], 2, v[20:21]
	s_wait_loadcnt 0x0
	v_cmp_ne_u16_e32 vcc_lo, v19, v22
	v_cmp_eq_u16_e64 s0, v19, v22
	s_or_b32 s1, vcc_lo, s1
	s_delay_alu instid0(SALU_CYCLE_1) | instskip(NEXT) | instid1(SALU_CYCLE_1)
	s_and_b32 s1, exec_lo, s1
	s_or_b32 s4, s1, s4
	s_and_not1_b32 s27, s27, exec_lo
	s_and_b32 s30, s0, exec_lo
	s_mov_b64 s[0:1], s[28:29]
	s_or_b32 s27, s27, s30
	s_and_not1_b32 exec_lo, exec_lo, s4
	s_cbranch_execnz .LBB1443_122
; %bb.123:
	s_or_b32 exec_lo, exec_lo, s4
	s_xor_b32 s0, s27, -1
.LBB1443_124:
	s_delay_alu instid0(SALU_CYCLE_1)
	s_and_b32 s4, s0, exec_lo
.LBB1443_125:
	s_or_b32 exec_lo, exec_lo, s26
	v_add_nc_u32_e32 v16, 5, v1
	s_mov_b32 s26, exec_lo
	s_delay_alu instid0(VALU_DEP_1)
	v_cmpx_gt_u32_e64 s23, v16
	s_cbranch_execz .LBB1443_131
; %bb.126:
	s_and_not1_b32 vcc_lo, exec_lo, s7
	s_mov_b32 s0, 0
	s_cbranch_vccnz .LBB1443_130
; %bb.127:
	v_mul_u64_e32 v[16:17], s[18:19], v[2:3]
	s_wait_loadcnt_dscnt 0x1
	v_mul_u64_e32 v[20:21], s[18:19], v[4:5]
	s_add_nc_u64 s[0:1], s[18:19], -1
	s_mov_b32 s5, 0
                                        ; implicit-def: $sgpr27
	s_delay_alu instid0(VALU_DEP_2) | instskip(NEXT) | instid1(VALU_DEP_2)
	v_lshl_add_u64 v[16:17], v[16:17], 1, s[8:9]
	v_lshl_add_u64 v[20:21], v[20:21], 1, s[8:9]
.LBB1443_128:                           ; =>This Inner Loop Header: Depth=1
	global_load_u16 v19, v[16:17], off
	global_load_u16 v22, v[20:21], off
	s_cmp_eq_u64 s[0:1], 0
	s_add_nc_u64 s[28:29], s[0:1], -1
	s_cselect_b32 s1, -1, 0
	s_wait_xcnt 0x1
	v_add_nc_u64_e32 v[16:17], 2, v[16:17]
	s_wait_xcnt 0x0
	v_add_nc_u64_e32 v[20:21], 2, v[20:21]
	s_wait_loadcnt 0x0
	v_cmp_ne_u16_e32 vcc_lo, v19, v22
	v_cmp_eq_u16_e64 s0, v19, v22
	s_or_b32 s1, vcc_lo, s1
	s_delay_alu instid0(SALU_CYCLE_1) | instskip(NEXT) | instid1(SALU_CYCLE_1)
	s_and_b32 s1, exec_lo, s1
	s_or_b32 s5, s1, s5
	s_and_not1_b32 s27, s27, exec_lo
	s_and_b32 s30, s0, exec_lo
	s_mov_b64 s[0:1], s[28:29]
	s_or_b32 s27, s27, s30
	s_and_not1_b32 exec_lo, exec_lo, s5
	s_cbranch_execnz .LBB1443_128
; %bb.129:
	s_or_b32 exec_lo, exec_lo, s5
	s_xor_b32 s0, s27, -1
.LBB1443_130:
	s_delay_alu instid0(SALU_CYCLE_1)
	s_and_b32 s5, s0, exec_lo
.LBB1443_131:
	s_or_b32 exec_lo, exec_lo, s26
	v_add_nc_u32_e32 v16, 4, v1
	s_mov_b32 s26, 0
	s_mov_b32 s27, 0
	s_mov_b32 s28, exec_lo
	s_delay_alu instid0(VALU_DEP_1)
	v_cmpx_gt_u32_e64 s23, v16
	s_cbranch_execz .LBB1443_137
; %bb.132:
	s_and_not1_b32 vcc_lo, exec_lo, s7
	s_mov_b32 s0, 0
	s_cbranch_vccnz .LBB1443_136
; %bb.133:
	v_mul_u64_e32 v[16:17], s[18:19], v[8:9]
	s_wait_loadcnt_dscnt 0x1
	v_mul_u64_e32 v[20:21], s[18:19], v[2:3]
	s_add_nc_u64 s[0:1], s[18:19], -1
                                        ; implicit-def: $sgpr29
	s_delay_alu instid0(VALU_DEP_2) | instskip(NEXT) | instid1(VALU_DEP_2)
	v_lshl_add_u64 v[16:17], v[16:17], 1, s[8:9]
	v_lshl_add_u64 v[20:21], v[20:21], 1, s[8:9]
.LBB1443_134:                           ; =>This Inner Loop Header: Depth=1
	global_load_u16 v19, v[16:17], off
	global_load_u16 v22, v[20:21], off
	s_cmp_eq_u64 s[0:1], 0
	s_add_nc_u64 s[30:31], s[0:1], -1
	s_cselect_b32 s1, -1, 0
	s_wait_xcnt 0x1
	v_add_nc_u64_e32 v[16:17], 2, v[16:17]
	s_wait_xcnt 0x0
	v_add_nc_u64_e32 v[20:21], 2, v[20:21]
	s_wait_loadcnt 0x0
	v_cmp_ne_u16_e32 vcc_lo, v19, v22
	v_cmp_eq_u16_e64 s0, v19, v22
	s_or_b32 s1, vcc_lo, s1
	s_delay_alu instid0(SALU_CYCLE_1) | instskip(NEXT) | instid1(SALU_CYCLE_1)
	s_and_b32 s1, exec_lo, s1
	s_or_b32 s27, s1, s27
	s_and_not1_b32 s29, s29, exec_lo
	s_and_b32 s33, s0, exec_lo
	s_mov_b64 s[0:1], s[30:31]
	s_or_b32 s29, s29, s33
	s_and_not1_b32 exec_lo, exec_lo, s27
	s_cbranch_execnz .LBB1443_134
; %bb.135:
	s_or_b32 exec_lo, exec_lo, s27
	s_xor_b32 s0, s29, -1
.LBB1443_136:
	s_delay_alu instid0(SALU_CYCLE_1)
	s_and_b32 s27, s0, exec_lo
.LBB1443_137:
	s_or_b32 exec_lo, exec_lo, s28
	v_add_nc_u32_e32 v16, 3, v1
	s_mov_b32 s28, exec_lo
	s_delay_alu instid0(VALU_DEP_1)
	v_cmpx_gt_u32_e64 s23, v16
	s_cbranch_execz .LBB1443_143
; %bb.138:
	s_and_not1_b32 vcc_lo, exec_lo, s7
	s_mov_b32 s0, 0
	s_cbranch_vccnz .LBB1443_142
; %bb.139:
	v_mul_u64_e32 v[16:17], s[18:19], v[6:7]
	s_wait_loadcnt_dscnt 0x1
	v_mul_u64_e32 v[20:21], s[18:19], v[8:9]
	s_add_nc_u64 s[0:1], s[18:19], -1
	s_mov_b32 s26, 0
                                        ; implicit-def: $sgpr29
	s_delay_alu instid0(VALU_DEP_2) | instskip(NEXT) | instid1(VALU_DEP_2)
	v_lshl_add_u64 v[16:17], v[16:17], 1, s[8:9]
	v_lshl_add_u64 v[20:21], v[20:21], 1, s[8:9]
.LBB1443_140:                           ; =>This Inner Loop Header: Depth=1
	global_load_u16 v19, v[16:17], off
	global_load_u16 v22, v[20:21], off
	s_cmp_eq_u64 s[0:1], 0
	s_add_nc_u64 s[30:31], s[0:1], -1
	s_cselect_b32 s1, -1, 0
	s_wait_xcnt 0x1
	v_add_nc_u64_e32 v[16:17], 2, v[16:17]
	s_wait_xcnt 0x0
	v_add_nc_u64_e32 v[20:21], 2, v[20:21]
	s_wait_loadcnt 0x0
	v_cmp_ne_u16_e32 vcc_lo, v19, v22
	v_cmp_eq_u16_e64 s0, v19, v22
	s_or_b32 s1, vcc_lo, s1
	s_delay_alu instid0(SALU_CYCLE_1) | instskip(NEXT) | instid1(SALU_CYCLE_1)
	s_and_b32 s1, exec_lo, s1
	s_or_b32 s26, s1, s26
	s_and_not1_b32 s29, s29, exec_lo
	s_and_b32 s33, s0, exec_lo
	s_mov_b64 s[0:1], s[30:31]
	s_or_b32 s29, s29, s33
	s_and_not1_b32 exec_lo, exec_lo, s26
	s_cbranch_execnz .LBB1443_140
; %bb.141:
	s_or_b32 exec_lo, exec_lo, s26
	s_xor_b32 s0, s29, -1
.LBB1443_142:
	s_delay_alu instid0(SALU_CYCLE_1)
	s_and_b32 s26, s0, exec_lo
.LBB1443_143:
	s_or_b32 exec_lo, exec_lo, s28
	v_add_nc_u32_e32 v16, 2, v1
	s_mov_b32 s28, 0
	s_mov_b32 s29, 0
	s_mov_b32 s30, exec_lo
	s_delay_alu instid0(VALU_DEP_1)
	v_cmpx_gt_u32_e64 s23, v16
	s_cbranch_execz .LBB1443_149
; %bb.144:
	s_and_not1_b32 vcc_lo, exec_lo, s7
	s_mov_b32 s0, 0
	s_cbranch_vccnz .LBB1443_148
; %bb.145:
	v_mul_u64_e32 v[16:17], s[18:19], v[12:13]
	s_wait_loadcnt_dscnt 0x1
	v_mul_u64_e32 v[20:21], s[18:19], v[6:7]
	s_add_nc_u64 s[0:1], s[18:19], -1
                                        ; implicit-def: $sgpr31
	s_delay_alu instid0(VALU_DEP_2) | instskip(NEXT) | instid1(VALU_DEP_2)
	v_lshl_add_u64 v[16:17], v[16:17], 1, s[8:9]
	v_lshl_add_u64 v[20:21], v[20:21], 1, s[8:9]
.LBB1443_146:                           ; =>This Inner Loop Header: Depth=1
	global_load_u16 v19, v[16:17], off
	global_load_u16 v22, v[20:21], off
	s_cmp_eq_u64 s[0:1], 0
	s_add_nc_u64 s[34:35], s[0:1], -1
	s_cselect_b32 s1, -1, 0
	s_wait_xcnt 0x1
	v_add_nc_u64_e32 v[16:17], 2, v[16:17]
	s_wait_xcnt 0x0
	v_add_nc_u64_e32 v[20:21], 2, v[20:21]
	s_wait_loadcnt 0x0
	v_cmp_ne_u16_e32 vcc_lo, v19, v22
	v_cmp_eq_u16_e64 s0, v19, v22
	s_or_b32 s1, vcc_lo, s1
	s_delay_alu instid0(SALU_CYCLE_1) | instskip(NEXT) | instid1(SALU_CYCLE_1)
	s_and_b32 s1, exec_lo, s1
	s_or_b32 s29, s1, s29
	s_and_not1_b32 s31, s31, exec_lo
	s_and_b32 s33, s0, exec_lo
	s_mov_b64 s[0:1], s[34:35]
	s_or_b32 s31, s31, s33
	s_and_not1_b32 exec_lo, exec_lo, s29
	s_cbranch_execnz .LBB1443_146
; %bb.147:
	s_or_b32 exec_lo, exec_lo, s29
	s_xor_b32 s0, s31, -1
.LBB1443_148:
	s_delay_alu instid0(SALU_CYCLE_1)
	s_and_b32 s29, s0, exec_lo
.LBB1443_149:
	s_or_b32 exec_lo, exec_lo, s30
	v_add_nc_u32_e32 v16, 1, v1
	s_mov_b32 s30, exec_lo
	s_delay_alu instid0(VALU_DEP_1)
	v_cmpx_gt_u32_e64 s23, v16
	s_cbranch_execz .LBB1443_155
; %bb.150:
	s_and_not1_b32 vcc_lo, exec_lo, s7
	s_mov_b32 s0, 0
	s_cbranch_vccnz .LBB1443_154
; %bb.151:
	v_mul_u64_e32 v[16:17], s[18:19], v[10:11]
	s_wait_loadcnt_dscnt 0x1
	v_mul_u64_e32 v[20:21], s[18:19], v[12:13]
	s_add_nc_u64 s[0:1], s[18:19], -1
	s_mov_b32 s28, 0
                                        ; implicit-def: $sgpr31
	s_delay_alu instid0(VALU_DEP_2) | instskip(NEXT) | instid1(VALU_DEP_2)
	v_lshl_add_u64 v[16:17], v[16:17], 1, s[8:9]
	v_lshl_add_u64 v[20:21], v[20:21], 1, s[8:9]
.LBB1443_152:                           ; =>This Inner Loop Header: Depth=1
	global_load_u16 v19, v[16:17], off
	global_load_u16 v22, v[20:21], off
	s_cmp_eq_u64 s[0:1], 0
	s_add_nc_u64 s[34:35], s[0:1], -1
	s_cselect_b32 s1, -1, 0
	s_wait_xcnt 0x1
	v_add_nc_u64_e32 v[16:17], 2, v[16:17]
	s_wait_xcnt 0x0
	v_add_nc_u64_e32 v[20:21], 2, v[20:21]
	s_wait_loadcnt 0x0
	v_cmp_ne_u16_e32 vcc_lo, v19, v22
	v_cmp_eq_u16_e64 s0, v19, v22
	s_or_b32 s1, vcc_lo, s1
	s_delay_alu instid0(SALU_CYCLE_1) | instskip(NEXT) | instid1(SALU_CYCLE_1)
	s_and_b32 s1, exec_lo, s1
	s_or_b32 s28, s1, s28
	s_and_not1_b32 s31, s31, exec_lo
	s_and_b32 s33, s0, exec_lo
	s_mov_b64 s[0:1], s[34:35]
	s_or_b32 s31, s31, s33
	s_and_not1_b32 exec_lo, exec_lo, s28
	s_cbranch_execnz .LBB1443_152
; %bb.153:
	s_or_b32 exec_lo, exec_lo, s28
	s_xor_b32 s0, s31, -1
.LBB1443_154:
	s_delay_alu instid0(SALU_CYCLE_1)
	s_and_b32 s28, s0, exec_lo
.LBB1443_155:
	s_or_b32 exec_lo, exec_lo, s30
	v_cndmask_b32_e64 v17, 0, 1, s27
	v_cndmask_b32_e64 v30, 0, 1, s5
	;; [unrolled: 1-line block ×4, first 2 shown]
	s_wait_loadcnt_dscnt 0x1
	v_cndmask_b32_e64 v20, 0, 1, s26
	v_cndmask_b32_e64 v32, 0, 1, s28
	v_mov_b32_e32 v16, 1
	s_wait_dscnt 0x0
	s_barrier_signal -1
	s_barrier_wait -1
                                        ; implicit-def: $sgpr0
                                        ; implicit-def: $vgpr22
	s_and_saveexec_b32 s4, s3
	s_cbranch_execz .LBB1443_163
; %bb.156:
	v_lshlrev_b16 v21, 8, v32
	v_lshlrev_b16 v22, 8, v20
	s_mov_b32 s0, 0
	s_mov_b32 s3, exec_lo
	s_delay_alu instid0(VALU_DEP_1) | instskip(NEXT) | instid1(VALU_DEP_1)
	v_or_b32_e32 v22, v31, v22
	v_dual_lshlrev_b32 v22, 16, v22 :: v_dual_bitop2_b32 v21, 1, v21 bitop3:0x54
	s_delay_alu instid0(VALU_DEP_1) | instskip(NEXT) | instid1(VALU_DEP_1)
	v_and_b32_e32 v21, 0xffff, v21
	v_or_b32_e32 v21, v21, v22
	v_cmpx_gt_u32_e64 s23, v1
	s_cbranch_execz .LBB1443_162
; %bb.157:
	s_and_not1_b32 vcc_lo, exec_lo, s7
	s_cbranch_vccnz .LBB1443_161
; %bb.158:
	v_add_nc_u32_e32 v22, -8, v26
	v_mul_u64_e32 v[24:25], s[18:19], v[10:11]
	s_add_nc_u64 s[0:1], s[18:19], -1
	s_mov_b32 s5, 0
                                        ; implicit-def: $sgpr7
	ds_load_b64 v[22:23], v22
	s_wait_dscnt 0x0
	v_mul_u64_e32 v[22:23], s[18:19], v[22:23]
	v_lshl_add_u64 v[24:25], v[24:25], 1, s[8:9]
	s_delay_alu instid0(VALU_DEP_2)
	v_lshl_add_u64 v[22:23], v[22:23], 1, s[8:9]
.LBB1443_159:                           ; =>This Inner Loop Header: Depth=1
	global_load_u16 v26, v[22:23], off
	global_load_u16 v27, v[24:25], off
	s_cmp_eq_u64 s[0:1], 0
	s_add_nc_u64 s[8:9], s[0:1], -1
	s_cselect_b32 s1, -1, 0
	s_wait_xcnt 0x1
	v_add_nc_u64_e32 v[22:23], 2, v[22:23]
	s_wait_xcnt 0x0
	v_add_nc_u64_e32 v[24:25], 2, v[24:25]
	s_wait_loadcnt 0x0
	v_cmp_ne_u16_e32 vcc_lo, v26, v27
	v_cmp_eq_u16_e64 s0, v26, v27
	s_or_b32 s1, vcc_lo, s1
	s_delay_alu instid0(SALU_CYCLE_1) | instskip(NEXT) | instid1(SALU_CYCLE_1)
	s_and_b32 s1, exec_lo, s1
	s_or_b32 s5, s1, s5
	s_and_not1_b32 s7, s7, exec_lo
	s_and_b32 s18, s0, exec_lo
	s_mov_b64 s[0:1], s[8:9]
	s_or_b32 s7, s7, s18
	s_and_not1_b32 exec_lo, exec_lo, s5
	s_cbranch_execnz .LBB1443_159
; %bb.160:
	s_or_b32 exec_lo, exec_lo, s5
	s_xor_b32 s0, s7, -1
.LBB1443_161:
	s_delay_alu instid0(SALU_CYCLE_1)
	s_and_b32 s0, s0, exec_lo
.LBB1443_162:
	s_or_b32 exec_lo, exec_lo, s3
	s_delay_alu instid0(VALU_DEP_2)
	v_perm_b32 v22, v21, v21, 0x3020104
	s_or_b32 s6, s6, exec_lo
.LBB1443_163:
	s_or_b32 exec_lo, exec_lo, s4
.LBB1443_164:
	s_wait_xcnt 0x0
	s_and_saveexec_b32 s1, s6
	s_cbranch_execz .LBB1443_166
; %bb.165:
	s_wait_loadcnt_dscnt 0x0
	v_dual_lshrrev_b32 v20, 24, v22 :: v_dual_lshrrev_b32 v31, 16, v22
	v_lshrrev_b32_e32 v32, 8, v22
	v_cndmask_b32_e64 v16, 0, 1, s0
.LBB1443_166:
	s_or_b32 exec_lo, exec_lo, s1
	s_delay_alu instid0(SALU_CYCLE_1)
	s_and_not1_b32 vcc_lo, exec_lo, s24
	s_cbranch_vccnz .LBB1443_170
; %bb.167:
	s_delay_alu instid0(VALU_DEP_1)
	v_perm_b32 v16, v16, v32, 0xc0c0004
	s_wait_loadcnt_dscnt 0x0
	v_perm_b32 v20, v31, v20, 0xc0c0004
	v_cmp_gt_u32_e32 vcc_lo, s23, v1
	v_and_b32_e32 v19, 0xff, v19
	v_perm_b32 v17, v17, v30, 0xc0c0004
	v_add_nc_u32_e32 v21, 1, v1
	v_lshl_or_b32 v16, v20, 16, v16
	s_delay_alu instid0(VALU_DEP_4) | instskip(NEXT) | instid1(VALU_DEP_2)
	v_dual_add_nc_u32 v22, 4, v1 :: v_dual_lshlrev_b32 v19, 16, v19
	v_cndmask_b32_e32 v20, 0, v16, vcc_lo
	s_delay_alu instid0(VALU_DEP_4) | instskip(SKIP_1) | instid1(VALU_DEP_3)
	v_cmp_gt_u32_e32 vcc_lo, s23, v21
	v_add_nc_u32_e32 v21, 2, v1
	v_and_b32_e32 v20, 0xff, v20
	s_delay_alu instid0(VALU_DEP_1) | instskip(NEXT) | instid1(VALU_DEP_3)
	v_cndmask_b32_e32 v20, v20, v16, vcc_lo
	v_cmp_gt_u32_e32 vcc_lo, s23, v21
	s_delay_alu instid0(VALU_DEP_2) | instskip(SKIP_2) | instid1(VALU_DEP_3)
	v_and_b32_e32 v20, 0xffff, v20
	v_or_b32_e32 v23, v17, v19
	v_bitop3_b32 v17, v17, 0xffff00, v19 bitop3:0xc8
	v_cndmask_b32_e32 v19, v20, v16, vcc_lo
	v_cmp_gt_u32_e32 vcc_lo, s23, v22
	v_add_nc_u32_e32 v20, 5, v1
	s_delay_alu instid0(VALU_DEP_3) | instskip(SKIP_1) | instid1(VALU_DEP_3)
	v_and_b32_e32 v19, 0xffffff, v19
	v_dual_add_nc_u32 v21, 3, v1 :: v_dual_cndmask_b32 v17, v17, v23, vcc_lo
	v_cmp_gt_u32_e64 s0, s23, v20
	s_delay_alu instid0(VALU_DEP_2) | instskip(NEXT) | instid1(VALU_DEP_3)
	v_cmp_gt_u32_e64 s1, s23, v21
	v_and_b32_e32 v17, 0xffff00ff, v17
	s_or_b32 vcc_lo, s0, vcc_lo
	s_delay_alu instid0(VALU_DEP_1) | instskip(SKIP_1) | instid1(VALU_DEP_1)
	v_dual_cndmask_b32 v19, v19, v16, s1 :: v_dual_cndmask_b32 v17, v17, v23, s0
	s_mov_b32 s0, exec_lo
	v_dual_cndmask_b32 v16, v19, v16 :: v_dual_add_nc_u32 v1, 6, v1
	s_delay_alu instid0(VALU_DEP_2) | instskip(NEXT) | instid1(VALU_DEP_2)
	v_dual_lshrrev_b32 v30, 8, v17 :: v_dual_lshrrev_b32 v19, 16, v17
	v_lshrrev_b32_e32 v32, 8, v16
	v_lshrrev_b64 v[20:21], 24, v[16:17]
	v_lshrrev_b32_e32 v31, 16, v16
	v_cmpx_le_u32_e64 s23, v1
; %bb.168:
	v_mov_b32_e32 v19, 0
; %bb.169:
	s_or_b32 exec_lo, exec_lo, s0
.LBB1443_170:
	s_delay_alu instid0(VALU_DEP_1)
	v_and_b32_e32 v1, 0xff, v16
	s_wait_loadcnt_dscnt 0x0
	v_and_b32_e32 v21, 0xff, v32
	v_and_b32_e32 v33, 0xff, v31
	;; [unrolled: 1-line block ×4, first 2 shown]
	v_mbcnt_lo_u32_b32 v37, -1, 0
	v_and_b32_e32 v36, 0xff, v30
	v_add3_u32 v22, v21, v1, v33
	v_and_b32_e32 v23, 0xff, v19
	s_delay_alu instid0(VALU_DEP_4) | instskip(SKIP_1) | instid1(VALU_DEP_3)
	v_dual_lshrrev_b32 v38, 5, v0 :: v_dual_bitop2_b32 v24, 15, v37 bitop3:0x40
	s_and_b32 vcc_lo, exec_lo, s25
	v_add3_u32 v22, v22, v34, v35
	s_mov_b32 s7, -1
	s_delay_alu instid0(VALU_DEP_2) | instskip(SKIP_1) | instid1(VALU_DEP_3)
	v_cmp_eq_u32_e64 s0, 0, v24
	v_cmp_lt_u32_e64 s3, 1, v24
	v_add3_u32 v39, v22, v36, v23
	v_and_b32_e32 v22, 16, v37
	v_or_b32_e32 v23, 31, v0
	v_cmp_lt_u32_e64 s4, 3, v24
	v_cmp_lt_u32_e64 s1, 7, v24
	s_barrier_signal -1
	v_cmp_eq_u32_e64 s6, 0, v22
	v_cmp_eq_u32_e64 s5, v0, v23
	s_barrier_wait -1
                                        ; implicit-def: $vgpr25
                                        ; implicit-def: $vgpr26
                                        ; implicit-def: $vgpr27
                                        ; implicit-def: $vgpr28
                                        ; implicit-def: $vgpr29
                                        ; implicit-def: $vgpr40
                                        ; implicit-def: $vgpr41
                                        ; implicit-def: $vgpr24
                                        ; implicit-def: $vgpr22
	s_cbranch_vccz .LBB1443_197
; %bb.171:
	v_mov_b32_dpp v22, v39 row_shr:1 row_mask:0xf bank_mask:0xf
	s_delay_alu instid0(VALU_DEP_1) | instskip(NEXT) | instid1(VALU_DEP_1)
	v_cndmask_b32_e64 v22, v22, 0, s0
	v_add_nc_u32_e32 v22, v22, v39
	s_delay_alu instid0(VALU_DEP_1) | instskip(NEXT) | instid1(VALU_DEP_1)
	v_mov_b32_dpp v23, v22 row_shr:2 row_mask:0xf bank_mask:0xf
	v_cndmask_b32_e64 v23, 0, v23, s3
	s_delay_alu instid0(VALU_DEP_1) | instskip(NEXT) | instid1(VALU_DEP_1)
	v_add_nc_u32_e32 v22, v22, v23
	v_mov_b32_dpp v23, v22 row_shr:4 row_mask:0xf bank_mask:0xf
	s_delay_alu instid0(VALU_DEP_1) | instskip(NEXT) | instid1(VALU_DEP_1)
	v_cndmask_b32_e64 v23, 0, v23, s4
	v_add_nc_u32_e32 v22, v22, v23
	s_delay_alu instid0(VALU_DEP_1) | instskip(NEXT) | instid1(VALU_DEP_1)
	v_mov_b32_dpp v23, v22 row_shr:8 row_mask:0xf bank_mask:0xf
	v_cndmask_b32_e64 v23, 0, v23, s1
	s_delay_alu instid0(VALU_DEP_1) | instskip(SKIP_3) | instid1(VALU_DEP_1)
	v_add_nc_u32_e32 v22, v22, v23
	ds_swizzle_b32 v23, v22 offset:swizzle(BROADCAST,32,15)
	s_wait_dscnt 0x0
	v_cndmask_b32_e64 v23, v23, 0, s6
	v_add_nc_u32_e32 v22, v22, v23
	s_and_saveexec_b32 s7, s5
; %bb.172:
	v_lshlrev_b32_e32 v23, 2, v38
	ds_store_b32 v23, v22
; %bb.173:
	s_or_b32 exec_lo, exec_lo, s7
	s_delay_alu instid0(SALU_CYCLE_1)
	s_mov_b32 s7, exec_lo
	s_wait_dscnt 0x0
	s_barrier_signal -1
	s_barrier_wait -1
	v_cmpx_gt_u32_e32 16, v0
	s_cbranch_execz .LBB1443_175
; %bb.174:
	v_lshlrev_b32_e32 v23, 2, v0
	ds_load_b32 v24, v23
	s_wait_dscnt 0x0
	v_mov_b32_dpp v25, v24 row_shr:1 row_mask:0xf bank_mask:0xf
	s_delay_alu instid0(VALU_DEP_1) | instskip(NEXT) | instid1(VALU_DEP_1)
	v_cndmask_b32_e64 v25, v25, 0, s0
	v_add_nc_u32_e32 v24, v25, v24
	s_delay_alu instid0(VALU_DEP_1) | instskip(NEXT) | instid1(VALU_DEP_1)
	v_mov_b32_dpp v25, v24 row_shr:2 row_mask:0xf bank_mask:0xf
	v_cndmask_b32_e64 v25, 0, v25, s3
	s_delay_alu instid0(VALU_DEP_1) | instskip(NEXT) | instid1(VALU_DEP_1)
	v_add_nc_u32_e32 v24, v24, v25
	v_mov_b32_dpp v25, v24 row_shr:4 row_mask:0xf bank_mask:0xf
	s_delay_alu instid0(VALU_DEP_1) | instskip(NEXT) | instid1(VALU_DEP_1)
	v_cndmask_b32_e64 v25, 0, v25, s4
	v_add_nc_u32_e32 v24, v24, v25
	s_delay_alu instid0(VALU_DEP_1) | instskip(NEXT) | instid1(VALU_DEP_1)
	v_mov_b32_dpp v25, v24 row_shr:8 row_mask:0xf bank_mask:0xf
	v_cndmask_b32_e64 v25, 0, v25, s1
	s_delay_alu instid0(VALU_DEP_1)
	v_add_nc_u32_e32 v24, v24, v25
	ds_store_b32 v23, v24
.LBB1443_175:
	s_or_b32 exec_lo, exec_lo, s7
	s_delay_alu instid0(SALU_CYCLE_1)
	s_mov_b32 s8, exec_lo
	v_cmp_gt_u32_e32 vcc_lo, 32, v0
	s_wait_dscnt 0x0
	s_barrier_signal -1
	s_barrier_wait -1
                                        ; implicit-def: $vgpr40
	v_cmpx_lt_u32_e32 31, v0
	s_cbranch_execz .LBB1443_177
; %bb.176:
	v_lshl_add_u32 v23, v38, 2, -4
	ds_load_b32 v40, v23
	s_wait_dscnt 0x0
	v_add_nc_u32_e32 v22, v40, v22
.LBB1443_177:
	s_or_b32 exec_lo, exec_lo, s8
	v_sub_co_u32 v23, s7, v37, 1
	s_delay_alu instid0(VALU_DEP_1) | instskip(NEXT) | instid1(VALU_DEP_1)
	v_cmp_gt_i32_e64 s8, 0, v23
	v_cndmask_b32_e64 v23, v23, v37, s8
	s_delay_alu instid0(VALU_DEP_1)
	v_lshlrev_b32_e32 v23, 2, v23
	ds_bpermute_b32 v41, v23, v22
	s_and_saveexec_b32 s8, vcc_lo
	s_cbranch_execz .LBB1443_196
; %bb.178:
	v_mov_b32_e32 v29, 0
	ds_load_b32 v22, v29 offset:60
	s_and_saveexec_b32 s9, s7
	s_cbranch_execz .LBB1443_180
; %bb.179:
	s_add_co_i32 s18, s22, 32
	s_delay_alu instid0(SALU_CYCLE_1)
	v_dual_mov_b32 v23, 1 :: v_dual_mov_b32 v24, s18
	s_wait_dscnt 0x0
	global_store_b64 v24, v[22:23], s[10:11] scale_offset scope:SCOPE_DEV
.LBB1443_180:
	s_wait_xcnt 0x0
	s_or_b32 exec_lo, exec_lo, s9
	v_xad_u32 v24, v37, -1, s22
	s_mov_b32 s18, 0
	s_mov_b32 s9, exec_lo
	s_delay_alu instid0(VALU_DEP_1) | instskip(SKIP_4) | instid1(VALU_DEP_1)
	v_add_nc_u32_e32 v28, 32, v24
	global_load_b64 v[26:27], v28, s[10:11] scale_offset scope:SCOPE_DEV
	s_wait_loadcnt 0x0
	v_and_b32_e32 v23, 0xff, v27
	s_wait_xcnt 0x0
	v_cmpx_eq_u16_e32 0, v23
	s_cbranch_execz .LBB1443_184
; %bb.181:
	v_lshl_add_u64 v[28:29], v[28:29], 3, s[10:11]
.LBB1443_182:                           ; =>This Inner Loop Header: Depth=1
	global_load_b64 v[26:27], v[28:29], off scope:SCOPE_DEV
	s_wait_loadcnt 0x0
	v_and_b32_e32 v23, 0xff, v27
	s_delay_alu instid0(VALU_DEP_1)
	v_cmp_ne_u16_e32 vcc_lo, 0, v23
	s_or_b32 s18, vcc_lo, s18
	s_wait_xcnt 0x0
	s_and_not1_b32 exec_lo, exec_lo, s18
	s_cbranch_execnz .LBB1443_182
; %bb.183:
	s_or_b32 exec_lo, exec_lo, s18
.LBB1443_184:
	s_delay_alu instid0(SALU_CYCLE_1)
	s_or_b32 exec_lo, exec_lo, s9
	v_cmp_ne_u32_e32 vcc_lo, 31, v37
	v_lshlrev_b32_e64 v43, v37, -1
	v_lshl_or_b32 v50, v37, 2, 64
	v_dual_add_nc_u32 v45, 2, v37 :: v_dual_add_nc_u32 v47, 4, v37
	v_add_co_ci_u32_e64 v23, null, 0, v37, vcc_lo
	v_dual_add_nc_u32 v49, 8, v37 :: v_dual_add_nc_u32 v51, 16, v37
	s_delay_alu instid0(VALU_DEP_2)
	v_lshlrev_b32_e32 v42, 2, v23
	v_and_b32_e32 v23, 0xff, v27
	ds_bpermute_b32 v25, v42, v26
	v_cmp_eq_u16_e32 vcc_lo, 2, v23
	v_and_or_b32 v23, vcc_lo, v43, 0x80000000
	v_cmp_gt_u32_e32 vcc_lo, 30, v37
	s_delay_alu instid0(VALU_DEP_2) | instskip(SKIP_1) | instid1(VALU_DEP_2)
	v_ctz_i32_b32_e32 v23, v23
	v_cndmask_b32_e64 v28, 0, 2, vcc_lo
	v_cmp_lt_u32_e32 vcc_lo, v37, v23
	s_delay_alu instid0(VALU_DEP_2) | instskip(SKIP_3) | instid1(VALU_DEP_2)
	v_add_lshl_u32 v44, v28, v37, 2
	s_wait_dscnt 0x0
	v_cndmask_b32_e32 v25, 0, v25, vcc_lo
	v_cmp_gt_u32_e32 vcc_lo, 28, v37
	v_add_nc_u32_e32 v25, v25, v26
	v_cndmask_b32_e64 v28, 0, 4, vcc_lo
	v_cmp_le_u32_e32 vcc_lo, v45, v23
	ds_bpermute_b32 v26, v44, v25
	v_add_lshl_u32 v46, v28, v37, 2
	s_wait_dscnt 0x0
	v_cndmask_b32_e32 v26, 0, v26, vcc_lo
	v_cmp_gt_u32_e32 vcc_lo, 24, v37
	v_cndmask_b32_e64 v28, 0, 8, vcc_lo
	v_cmp_le_u32_e32 vcc_lo, v47, v23
	s_delay_alu instid0(VALU_DEP_4) | instskip(NEXT) | instid1(VALU_DEP_3)
	v_add_nc_u32_e32 v25, v25, v26
	v_add_lshl_u32 v48, v28, v37, 2
	ds_bpermute_b32 v26, v46, v25
	s_wait_dscnt 0x0
	v_cndmask_b32_e32 v26, 0, v26, vcc_lo
	v_cmp_le_u32_e32 vcc_lo, v49, v23
	s_delay_alu instid0(VALU_DEP_2) | instskip(SKIP_4) | instid1(VALU_DEP_2)
	v_add_nc_u32_e32 v25, v25, v26
	ds_bpermute_b32 v26, v48, v25
	s_wait_dscnt 0x0
	v_cndmask_b32_e32 v26, 0, v26, vcc_lo
	v_cmp_le_u32_e32 vcc_lo, v51, v23
	v_add_nc_u32_e32 v25, v25, v26
	ds_bpermute_b32 v26, v50, v25
	s_wait_dscnt 0x0
	v_cndmask_b32_e32 v23, 0, v26, vcc_lo
	s_delay_alu instid0(VALU_DEP_1)
	v_dual_mov_b32 v25, 0 :: v_dual_add_nc_u32 v26, v25, v23
	s_branch .LBB1443_187
.LBB1443_185:                           ;   in Loop: Header=BB1443_187 Depth=1
	s_or_b32 exec_lo, exec_lo, s9
	v_and_b32_e32 v28, 0xff, v27
	ds_bpermute_b32 v29, v42, v26
	v_subrev_nc_u32_e32 v24, 32, v24
	s_mov_b32 s9, 0
	v_cmp_eq_u16_e32 vcc_lo, 2, v28
	v_and_or_b32 v28, vcc_lo, v43, 0x80000000
	s_delay_alu instid0(VALU_DEP_1) | instskip(NEXT) | instid1(VALU_DEP_1)
	v_ctz_i32_b32_e32 v28, v28
	v_cmp_lt_u32_e32 vcc_lo, v37, v28
	s_wait_dscnt 0x0
	v_cndmask_b32_e32 v29, 0, v29, vcc_lo
	v_cmp_le_u32_e32 vcc_lo, v45, v28
	s_delay_alu instid0(VALU_DEP_2) | instskip(SKIP_4) | instid1(VALU_DEP_2)
	v_add_nc_u32_e32 v26, v29, v26
	ds_bpermute_b32 v29, v44, v26
	s_wait_dscnt 0x0
	v_cndmask_b32_e32 v29, 0, v29, vcc_lo
	v_cmp_le_u32_e32 vcc_lo, v47, v28
	v_add_nc_u32_e32 v26, v26, v29
	ds_bpermute_b32 v29, v46, v26
	s_wait_dscnt 0x0
	v_cndmask_b32_e32 v29, 0, v29, vcc_lo
	v_cmp_le_u32_e32 vcc_lo, v49, v28
	s_delay_alu instid0(VALU_DEP_2) | instskip(SKIP_4) | instid1(VALU_DEP_2)
	v_add_nc_u32_e32 v26, v26, v29
	ds_bpermute_b32 v29, v48, v26
	s_wait_dscnt 0x0
	v_cndmask_b32_e32 v29, 0, v29, vcc_lo
	v_cmp_le_u32_e32 vcc_lo, v51, v28
	v_add_nc_u32_e32 v26, v26, v29
	ds_bpermute_b32 v29, v50, v26
	s_wait_dscnt 0x0
	v_cndmask_b32_e32 v28, 0, v29, vcc_lo
	s_delay_alu instid0(VALU_DEP_1)
	v_add3_u32 v26, v28, v23, v26
.LBB1443_186:                           ;   in Loop: Header=BB1443_187 Depth=1
	s_and_b32 vcc_lo, exec_lo, s9
	s_cbranch_vccnz .LBB1443_192
.LBB1443_187:                           ; =>This Loop Header: Depth=1
                                        ;     Child Loop BB1443_190 Depth 2
	v_and_b32_e32 v23, 0xff, v27
	s_mov_b32 s9, -1
                                        ; implicit-def: $vgpr27
	s_delay_alu instid0(VALU_DEP_1)
	v_cmp_ne_u16_e32 vcc_lo, 2, v23
	v_mov_b32_e32 v23, v26
                                        ; implicit-def: $vgpr26
	s_cmp_lg_u32 vcc_lo, exec_lo
	s_cbranch_scc1 .LBB1443_186
; %bb.188:                              ;   in Loop: Header=BB1443_187 Depth=1
	global_load_b64 v[26:27], v24, s[10:11] scale_offset scope:SCOPE_DEV
	s_mov_b32 s9, exec_lo
	s_wait_loadcnt 0x0
	v_and_b32_e32 v28, 0xff, v27
	s_wait_xcnt 0x0
	s_delay_alu instid0(VALU_DEP_1)
	v_cmpx_eq_u16_e32 0, v28
	s_cbranch_execz .LBB1443_185
; %bb.189:                              ;   in Loop: Header=BB1443_187 Depth=1
	v_lshl_add_u64 v[28:29], v[24:25], 3, s[10:11]
	s_mov_b32 s18, 0
.LBB1443_190:                           ;   Parent Loop BB1443_187 Depth=1
                                        ; =>  This Inner Loop Header: Depth=2
	global_load_b64 v[26:27], v[28:29], off scope:SCOPE_DEV
	s_wait_loadcnt 0x0
	v_and_b32_e32 v52, 0xff, v27
	s_delay_alu instid0(VALU_DEP_1)
	v_cmp_ne_u16_e32 vcc_lo, 0, v52
	s_or_b32 s18, vcc_lo, s18
	s_wait_xcnt 0x0
	s_and_not1_b32 exec_lo, exec_lo, s18
	s_cbranch_execnz .LBB1443_190
; %bb.191:                              ;   in Loop: Header=BB1443_187 Depth=1
	s_or_b32 exec_lo, exec_lo, s18
	s_branch .LBB1443_185
.LBB1443_192:
	s_and_saveexec_b32 s9, s7
	s_cbranch_execz .LBB1443_194
; %bb.193:
	s_add_co_i32 s18, s22, 32
	v_dual_mov_b32 v25, 2 :: v_dual_add_nc_u32 v24, v23, v22
	v_dual_mov_b32 v26, s18 :: v_dual_mov_b32 v27, 0
	global_store_b64 v26, v[24:25], s[10:11] scale_offset scope:SCOPE_DEV
	ds_store_b64 v27, v[22:23] offset:28672
.LBB1443_194:
	s_wait_xcnt 0x0
	s_or_b32 exec_lo, exec_lo, s9
	s_delay_alu instid0(SALU_CYCLE_1)
	s_and_b32 exec_lo, exec_lo, s2
; %bb.195:
	v_mov_b32_e32 v22, 0
	ds_store_b32 v22, v23 offset:60
.LBB1443_196:
	s_or_b32 exec_lo, exec_lo, s8
	s_wait_dscnt 0x0
	v_dual_mov_b32 v22, 0 :: v_dual_cndmask_b32 v24, v41, v40, s7
	s_wait_storecnt 0x0
	s_barrier_signal -1
	s_barrier_wait -1
	ds_load_b32 v23, v22 offset:60
	v_cndmask_b32_e64 v24, v24, 0, s2
	s_wait_dscnt 0x0
	s_barrier_signal -1
	s_barrier_wait -1
	s_mov_b32 s7, 0
	v_add_nc_u32_e32 v41, v23, v24
	ds_load_b64 v[22:23], v22 offset:28672
	v_add_nc_u32_e32 v40, v41, v1
	s_delay_alu instid0(VALU_DEP_1) | instskip(NEXT) | instid1(VALU_DEP_1)
	v_add_nc_u32_e32 v29, v40, v21
	v_add_nc_u32_e32 v28, v29, v33
	s_wait_dscnt 0x0
	s_delay_alu instid0(VALU_DEP_1) | instskip(NEXT) | instid1(VALU_DEP_1)
	v_dual_mov_b32 v24, v23 :: v_dual_add_nc_u32 v27, v28, v34
	v_add_nc_u32_e32 v26, v27, v35
	s_delay_alu instid0(VALU_DEP_1)
	v_add_nc_u32_e32 v25, v26, v36
.LBB1443_197:
	s_and_b32 vcc_lo, exec_lo, s7
	s_cbranch_vccz .LBB1443_207
; %bb.198:
	v_mov_b32_dpp v22, v39 row_shr:1 row_mask:0xf bank_mask:0xf
	s_delay_alu instid0(VALU_DEP_1) | instskip(NEXT) | instid1(VALU_DEP_1)
	v_cndmask_b32_e64 v22, v22, 0, s0
	v_add_nc_u32_e32 v22, v22, v39
	s_delay_alu instid0(VALU_DEP_1) | instskip(NEXT) | instid1(VALU_DEP_1)
	v_mov_b32_dpp v23, v22 row_shr:2 row_mask:0xf bank_mask:0xf
	v_cndmask_b32_e64 v23, 0, v23, s3
	s_delay_alu instid0(VALU_DEP_1) | instskip(NEXT) | instid1(VALU_DEP_1)
	v_add_nc_u32_e32 v22, v22, v23
	v_mov_b32_dpp v23, v22 row_shr:4 row_mask:0xf bank_mask:0xf
	s_delay_alu instid0(VALU_DEP_1) | instskip(NEXT) | instid1(VALU_DEP_1)
	v_cndmask_b32_e64 v23, 0, v23, s4
	v_add_nc_u32_e32 v22, v22, v23
	s_delay_alu instid0(VALU_DEP_1) | instskip(NEXT) | instid1(VALU_DEP_1)
	v_mov_b32_dpp v23, v22 row_shr:8 row_mask:0xf bank_mask:0xf
	v_cndmask_b32_e64 v23, 0, v23, s1
	s_delay_alu instid0(VALU_DEP_1) | instskip(SKIP_3) | instid1(VALU_DEP_1)
	v_add_nc_u32_e32 v22, v22, v23
	ds_swizzle_b32 v23, v22 offset:swizzle(BROADCAST,32,15)
	s_wait_dscnt 0x0
	v_cndmask_b32_e64 v23, v23, 0, s6
	v_add_nc_u32_e32 v22, v22, v23
	s_and_saveexec_b32 s6, s5
; %bb.199:
	v_lshlrev_b32_e32 v23, 2, v38
	ds_store_b32 v23, v22
; %bb.200:
	s_or_b32 exec_lo, exec_lo, s6
	s_delay_alu instid0(SALU_CYCLE_1)
	s_mov_b32 s5, exec_lo
	s_wait_dscnt 0x0
	s_barrier_signal -1
	s_barrier_wait -1
	v_cmpx_gt_u32_e32 16, v0
	s_cbranch_execz .LBB1443_202
; %bb.201:
	v_lshlrev_b32_e32 v23, 2, v0
	ds_load_b32 v24, v23
	s_wait_dscnt 0x0
	v_mov_b32_dpp v25, v24 row_shr:1 row_mask:0xf bank_mask:0xf
	s_delay_alu instid0(VALU_DEP_1) | instskip(NEXT) | instid1(VALU_DEP_1)
	v_cndmask_b32_e64 v25, v25, 0, s0
	v_add_nc_u32_e32 v24, v25, v24
	s_delay_alu instid0(VALU_DEP_1) | instskip(NEXT) | instid1(VALU_DEP_1)
	v_mov_b32_dpp v25, v24 row_shr:2 row_mask:0xf bank_mask:0xf
	v_cndmask_b32_e64 v25, 0, v25, s3
	s_delay_alu instid0(VALU_DEP_1) | instskip(NEXT) | instid1(VALU_DEP_1)
	v_add_nc_u32_e32 v24, v24, v25
	v_mov_b32_dpp v25, v24 row_shr:4 row_mask:0xf bank_mask:0xf
	s_delay_alu instid0(VALU_DEP_1) | instskip(NEXT) | instid1(VALU_DEP_1)
	v_cndmask_b32_e64 v25, 0, v25, s4
	v_add_nc_u32_e32 v24, v24, v25
	s_delay_alu instid0(VALU_DEP_1) | instskip(NEXT) | instid1(VALU_DEP_1)
	v_mov_b32_dpp v25, v24 row_shr:8 row_mask:0xf bank_mask:0xf
	v_cndmask_b32_e64 v25, 0, v25, s1
	s_delay_alu instid0(VALU_DEP_1)
	v_add_nc_u32_e32 v24, v24, v25
	ds_store_b32 v23, v24
.LBB1443_202:
	s_or_b32 exec_lo, exec_lo, s5
	v_dual_mov_b32 v23, 0 :: v_dual_mov_b32 v24, 0
	s_mov_b32 s0, exec_lo
	s_wait_dscnt 0x0
	s_barrier_signal -1
	s_barrier_wait -1
	v_cmpx_lt_u32_e32 31, v0
; %bb.203:
	v_lshl_add_u32 v24, v38, 2, -4
	ds_load_b32 v24, v24
; %bb.204:
	s_or_b32 exec_lo, exec_lo, s0
	v_sub_co_u32 v25, vcc_lo, v37, 1
	s_wait_dscnt 0x0
	v_add_nc_u32_e32 v22, v24, v22
	s_delay_alu instid0(VALU_DEP_2) | instskip(NEXT) | instid1(VALU_DEP_1)
	v_cmp_gt_i32_e64 s0, 0, v25
	v_cndmask_b32_e64 v25, v25, v37, s0
	s_delay_alu instid0(VALU_DEP_1)
	v_lshlrev_b32_e32 v25, 2, v25
	ds_bpermute_b32 v25, v25, v22
	ds_load_b32 v22, v23 offset:60
	s_and_saveexec_b32 s0, s2
	s_cbranch_execz .LBB1443_206
; %bb.205:
	v_dual_mov_b32 v26, 0 :: v_dual_mov_b32 v23, 2
	s_wait_dscnt 0x0
	global_store_b64 v26, v[22:23], s[10:11] offset:256 scope:SCOPE_DEV
.LBB1443_206:
	s_wait_xcnt 0x0
	s_or_b32 exec_lo, exec_lo, s0
	s_wait_dscnt 0x1
	v_cndmask_b32_e32 v23, v25, v24, vcc_lo
	s_wait_storecnt_dscnt 0x0
	s_barrier_signal -1
	s_barrier_wait -1
	s_delay_alu instid0(VALU_DEP_1) | instskip(NEXT) | instid1(VALU_DEP_1)
	v_cndmask_b32_e64 v41, v23, 0, s2
	v_dual_mov_b32 v24, 0 :: v_dual_add_nc_u32 v40, v41, v1
	s_delay_alu instid0(VALU_DEP_1) | instskip(NEXT) | instid1(VALU_DEP_1)
	v_add_nc_u32_e32 v29, v40, v21
	v_add_nc_u32_e32 v28, v29, v33
	s_delay_alu instid0(VALU_DEP_1) | instskip(NEXT) | instid1(VALU_DEP_1)
	v_add_nc_u32_e32 v27, v28, v34
	v_add_nc_u32_e32 v26, v27, v35
	s_delay_alu instid0(VALU_DEP_1)
	v_add_nc_u32_e32 v25, v26, v36
.LBB1443_207:
	v_and_b32_e32 v1, 1, v16
	v_cmp_gt_u32_e32 vcc_lo, 0x201, v22
	s_mov_b32 s1, -1
	s_delay_alu instid0(VALU_DEP_2)
	v_cmp_eq_u32_e64 s0, 1, v1
	s_cbranch_vccnz .LBB1443_211
; %bb.208:
	s_and_b32 vcc_lo, exec_lo, s1
	s_cbranch_vccnz .LBB1443_226
.LBB1443_209:
	s_and_b32 s0, s2, s16
	s_delay_alu instid0(SALU_CYCLE_1)
	s_and_saveexec_b32 s1, s0
	s_cbranch_execnz .LBB1443_243
.LBB1443_210:
	s_endpgm
.LBB1443_211:
	v_add_nc_u32_e32 v16, v24, v22
	s_delay_alu instid0(VALU_DEP_1) | instskip(SKIP_1) | instid1(SALU_CYCLE_1)
	v_cmp_lt_u32_e32 vcc_lo, v41, v16
	s_or_b32 s1, s17, vcc_lo
	s_and_b32 s1, s1, s0
	s_delay_alu instid0(SALU_CYCLE_1)
	s_and_saveexec_b32 s0, s1
	s_cbranch_execz .LBB1443_213
; %bb.212:
	s_lshl_b64 s[4:5], s[14:15], 3
	s_delay_alu instid0(SALU_CYCLE_1)
	s_add_nc_u64 s[4:5], s[20:21], s[4:5]
	global_store_b64 v41, v[10:11], s[4:5] scale_offset
.LBB1443_213:
	s_wait_xcnt 0x0
	s_or_b32 exec_lo, exec_lo, s0
	v_and_b32_e32 v21, 1, v32
	v_cmp_lt_u32_e32 vcc_lo, v40, v16
	s_delay_alu instid0(VALU_DEP_2) | instskip(SKIP_1) | instid1(SALU_CYCLE_1)
	v_cmp_eq_u32_e64 s0, 1, v21
	s_or_b32 s1, s17, vcc_lo
	s_and_b32 s1, s1, s0
	s_delay_alu instid0(SALU_CYCLE_1)
	s_and_saveexec_b32 s0, s1
	s_cbranch_execz .LBB1443_215
; %bb.214:
	s_lshl_b64 s[4:5], s[14:15], 3
	s_delay_alu instid0(SALU_CYCLE_1)
	s_add_nc_u64 s[4:5], s[20:21], s[4:5]
	global_store_b64 v40, v[12:13], s[4:5] scale_offset
.LBB1443_215:
	s_wait_xcnt 0x0
	s_or_b32 exec_lo, exec_lo, s0
	v_and_b32_e32 v21, 1, v31
	v_cmp_lt_u32_e32 vcc_lo, v29, v16
	s_delay_alu instid0(VALU_DEP_2) | instskip(SKIP_1) | instid1(SALU_CYCLE_1)
	v_cmp_eq_u32_e64 s0, 1, v21
	;; [unrolled: 17-line block ×6, first 2 shown]
	s_or_b32 s1, s17, vcc_lo
	s_and_b32 s1, s1, s0
	s_delay_alu instid0(SALU_CYCLE_1)
	s_and_saveexec_b32 s0, s1
	s_cbranch_execz .LBB1443_225
; %bb.224:
	s_lshl_b64 s[4:5], s[14:15], 3
	s_delay_alu instid0(SALU_CYCLE_1)
	s_add_nc_u64 s[4:5], s[20:21], s[4:5]
	global_store_b64 v25, v[14:15], s[4:5] scale_offset
.LBB1443_225:
	s_wait_xcnt 0x0
	s_or_b32 exec_lo, exec_lo, s0
	s_branch .LBB1443_209
.LBB1443_226:
	s_mov_b32 s0, exec_lo
	v_cmpx_eq_u32_e32 1, v1
; %bb.227:
	v_sub_nc_u32_e32 v1, v41, v24
	s_delay_alu instid0(VALU_DEP_1)
	v_lshlrev_b32_e32 v1, 3, v1
	ds_store_b64 v1, v[10:11]
; %bb.228:
	s_or_b32 exec_lo, exec_lo, s0
	v_and_b32_e32 v1, 1, v32
	s_mov_b32 s0, exec_lo
	s_delay_alu instid0(VALU_DEP_1)
	v_cmpx_eq_u32_e32 1, v1
; %bb.229:
	v_sub_nc_u32_e32 v1, v40, v24
	s_delay_alu instid0(VALU_DEP_1)
	v_lshlrev_b32_e32 v1, 3, v1
	ds_store_b64 v1, v[12:13]
; %bb.230:
	s_or_b32 exec_lo, exec_lo, s0
	v_and_b32_e32 v1, 1, v31
	s_mov_b32 s0, exec_lo
	s_delay_alu instid0(VALU_DEP_1)
	;; [unrolled: 11-line block ×6, first 2 shown]
	v_cmpx_eq_u32_e32 1, v1
; %bb.239:
	v_sub_nc_u32_e32 v1, v25, v24
	s_delay_alu instid0(VALU_DEP_1)
	v_lshlrev_b32_e32 v1, 3, v1
	ds_store_b64 v1, v[14:15]
; %bb.240:
	s_or_b32 exec_lo, exec_lo, s0
	v_mov_b32_e32 v25, 0
	s_lshl_b64 s[0:1], s[14:15], 3
	s_wait_storecnt_dscnt 0x0
	s_barrier_signal -1
	s_barrier_wait -1
	v_lshlrev_b64_e32 v[2:3], 3, v[24:25]
	v_mov_b32_e32 v19, v25
	s_delay_alu instid0(VALU_DEP_2) | instskip(SKIP_1) | instid1(VALU_DEP_1)
	v_add_nc_u64_e32 v[2:3], s[0:1], v[2:3]
	s_mov_b32 s0, 0
	v_add_nc_u64_e32 v[2:3], s[20:21], v[2:3]
	s_delay_alu instid0(VALU_DEP_1)
	v_add_nc_u64_e32 v[2:3], v[2:3], v[18:19]
.LBB1443_241:                           ; =>This Inner Loop Header: Depth=1
	ds_load_b64 v[4:5], v18
	v_add_nc_u32_e32 v0, 0x200, v0
	v_add_nc_u32_e32 v18, 0x1000, v18
	s_delay_alu instid0(VALU_DEP_2)
	v_cmp_ge_u32_e32 vcc_lo, v0, v22
	s_or_b32 s0, vcc_lo, s0
	s_wait_dscnt 0x0
	global_store_b64 v[2:3], v[4:5], off
	s_wait_xcnt 0x0
	v_add_nc_u64_e32 v[2:3], 0x1000, v[2:3]
	s_and_not1_b32 exec_lo, exec_lo, s0
	s_cbranch_execnz .LBB1443_241
; %bb.242:
	s_or_b32 exec_lo, exec_lo, s0
	s_and_b32 s0, s2, s16
	s_delay_alu instid0(SALU_CYCLE_1)
	s_and_saveexec_b32 s1, s0
	s_cbranch_execz .LBB1443_210
.LBB1443_243:
	v_mov_b32_e32 v23, 0
	s_delay_alu instid0(VALU_DEP_1) | instskip(SKIP_1) | instid1(VALU_DEP_1)
	v_add_nc_u64_e32 v[0:1], s[14:15], v[22:23]
	v_mov_b32_e32 v25, v23
	v_add_nc_u64_e32 v[0:1], v[0:1], v[24:25]
	global_store_b64 v23, v[0:1], s[12:13]
	s_endpgm
	.section	.rodata,"a",@progbits
	.p2align	6, 0x0
	.amdhsa_kernel _ZN7rocprim17ROCPRIM_400000_NS6detail17trampoline_kernelINS0_14default_configENS1_25partition_config_selectorILNS1_17partition_subalgoE8ElNS0_10empty_typeEbEEZZNS1_14partition_implILS5_8ELb0ES3_jPlPS6_PKS6_NS0_5tupleIJS9_S6_EEENSD_IJSA_SA_EEENS0_18inequality_wrapperIZN2at6native12_GLOBAL__N_124unique_dim_cuda_templateItEESt5tupleIJNSH_6TensorESM_SM_EERKSM_lbbbEUlllE0_EEPmJS6_EEE10hipError_tPvRmT3_T4_T5_T6_T7_T9_mT8_P12ihipStream_tbDpT10_ENKUlT_T0_E_clISt17integral_constantIbLb0EES1B_IbLb1EEEEDaS17_S18_EUlS17_E_NS1_11comp_targetILNS1_3genE0ELNS1_11target_archE4294967295ELNS1_3gpuE0ELNS1_3repE0EEENS1_30default_config_static_selectorELNS0_4arch9wavefront6targetE0EEEvT1_
		.amdhsa_group_segment_fixed_size 28680
		.amdhsa_private_segment_fixed_size 0
		.amdhsa_kernarg_size 136
		.amdhsa_user_sgpr_count 2
		.amdhsa_user_sgpr_dispatch_ptr 0
		.amdhsa_user_sgpr_queue_ptr 0
		.amdhsa_user_sgpr_kernarg_segment_ptr 1
		.amdhsa_user_sgpr_dispatch_id 0
		.amdhsa_user_sgpr_kernarg_preload_length 0
		.amdhsa_user_sgpr_kernarg_preload_offset 0
		.amdhsa_user_sgpr_private_segment_size 0
		.amdhsa_wavefront_size32 1
		.amdhsa_uses_dynamic_stack 0
		.amdhsa_enable_private_segment 0
		.amdhsa_system_sgpr_workgroup_id_x 1
		.amdhsa_system_sgpr_workgroup_id_y 0
		.amdhsa_system_sgpr_workgroup_id_z 0
		.amdhsa_system_sgpr_workgroup_info 0
		.amdhsa_system_vgpr_workitem_id 0
		.amdhsa_next_free_vgpr 53
		.amdhsa_next_free_sgpr 36
		.amdhsa_named_barrier_count 0
		.amdhsa_reserve_vcc 1
		.amdhsa_float_round_mode_32 0
		.amdhsa_float_round_mode_16_64 0
		.amdhsa_float_denorm_mode_32 3
		.amdhsa_float_denorm_mode_16_64 3
		.amdhsa_fp16_overflow 0
		.amdhsa_memory_ordered 1
		.amdhsa_forward_progress 1
		.amdhsa_inst_pref_size 83
		.amdhsa_round_robin_scheduling 0
		.amdhsa_exception_fp_ieee_invalid_op 0
		.amdhsa_exception_fp_denorm_src 0
		.amdhsa_exception_fp_ieee_div_zero 0
		.amdhsa_exception_fp_ieee_overflow 0
		.amdhsa_exception_fp_ieee_underflow 0
		.amdhsa_exception_fp_ieee_inexact 0
		.amdhsa_exception_int_div_zero 0
	.end_amdhsa_kernel
	.section	.text._ZN7rocprim17ROCPRIM_400000_NS6detail17trampoline_kernelINS0_14default_configENS1_25partition_config_selectorILNS1_17partition_subalgoE8ElNS0_10empty_typeEbEEZZNS1_14partition_implILS5_8ELb0ES3_jPlPS6_PKS6_NS0_5tupleIJS9_S6_EEENSD_IJSA_SA_EEENS0_18inequality_wrapperIZN2at6native12_GLOBAL__N_124unique_dim_cuda_templateItEESt5tupleIJNSH_6TensorESM_SM_EERKSM_lbbbEUlllE0_EEPmJS6_EEE10hipError_tPvRmT3_T4_T5_T6_T7_T9_mT8_P12ihipStream_tbDpT10_ENKUlT_T0_E_clISt17integral_constantIbLb0EES1B_IbLb1EEEEDaS17_S18_EUlS17_E_NS1_11comp_targetILNS1_3genE0ELNS1_11target_archE4294967295ELNS1_3gpuE0ELNS1_3repE0EEENS1_30default_config_static_selectorELNS0_4arch9wavefront6targetE0EEEvT1_,"axG",@progbits,_ZN7rocprim17ROCPRIM_400000_NS6detail17trampoline_kernelINS0_14default_configENS1_25partition_config_selectorILNS1_17partition_subalgoE8ElNS0_10empty_typeEbEEZZNS1_14partition_implILS5_8ELb0ES3_jPlPS6_PKS6_NS0_5tupleIJS9_S6_EEENSD_IJSA_SA_EEENS0_18inequality_wrapperIZN2at6native12_GLOBAL__N_124unique_dim_cuda_templateItEESt5tupleIJNSH_6TensorESM_SM_EERKSM_lbbbEUlllE0_EEPmJS6_EEE10hipError_tPvRmT3_T4_T5_T6_T7_T9_mT8_P12ihipStream_tbDpT10_ENKUlT_T0_E_clISt17integral_constantIbLb0EES1B_IbLb1EEEEDaS17_S18_EUlS17_E_NS1_11comp_targetILNS1_3genE0ELNS1_11target_archE4294967295ELNS1_3gpuE0ELNS1_3repE0EEENS1_30default_config_static_selectorELNS0_4arch9wavefront6targetE0EEEvT1_,comdat
.Lfunc_end1443:
	.size	_ZN7rocprim17ROCPRIM_400000_NS6detail17trampoline_kernelINS0_14default_configENS1_25partition_config_selectorILNS1_17partition_subalgoE8ElNS0_10empty_typeEbEEZZNS1_14partition_implILS5_8ELb0ES3_jPlPS6_PKS6_NS0_5tupleIJS9_S6_EEENSD_IJSA_SA_EEENS0_18inequality_wrapperIZN2at6native12_GLOBAL__N_124unique_dim_cuda_templateItEESt5tupleIJNSH_6TensorESM_SM_EERKSM_lbbbEUlllE0_EEPmJS6_EEE10hipError_tPvRmT3_T4_T5_T6_T7_T9_mT8_P12ihipStream_tbDpT10_ENKUlT_T0_E_clISt17integral_constantIbLb0EES1B_IbLb1EEEEDaS17_S18_EUlS17_E_NS1_11comp_targetILNS1_3genE0ELNS1_11target_archE4294967295ELNS1_3gpuE0ELNS1_3repE0EEENS1_30default_config_static_selectorELNS0_4arch9wavefront6targetE0EEEvT1_, .Lfunc_end1443-_ZN7rocprim17ROCPRIM_400000_NS6detail17trampoline_kernelINS0_14default_configENS1_25partition_config_selectorILNS1_17partition_subalgoE8ElNS0_10empty_typeEbEEZZNS1_14partition_implILS5_8ELb0ES3_jPlPS6_PKS6_NS0_5tupleIJS9_S6_EEENSD_IJSA_SA_EEENS0_18inequality_wrapperIZN2at6native12_GLOBAL__N_124unique_dim_cuda_templateItEESt5tupleIJNSH_6TensorESM_SM_EERKSM_lbbbEUlllE0_EEPmJS6_EEE10hipError_tPvRmT3_T4_T5_T6_T7_T9_mT8_P12ihipStream_tbDpT10_ENKUlT_T0_E_clISt17integral_constantIbLb0EES1B_IbLb1EEEEDaS17_S18_EUlS17_E_NS1_11comp_targetILNS1_3genE0ELNS1_11target_archE4294967295ELNS1_3gpuE0ELNS1_3repE0EEENS1_30default_config_static_selectorELNS0_4arch9wavefront6targetE0EEEvT1_
                                        ; -- End function
	.set _ZN7rocprim17ROCPRIM_400000_NS6detail17trampoline_kernelINS0_14default_configENS1_25partition_config_selectorILNS1_17partition_subalgoE8ElNS0_10empty_typeEbEEZZNS1_14partition_implILS5_8ELb0ES3_jPlPS6_PKS6_NS0_5tupleIJS9_S6_EEENSD_IJSA_SA_EEENS0_18inequality_wrapperIZN2at6native12_GLOBAL__N_124unique_dim_cuda_templateItEESt5tupleIJNSH_6TensorESM_SM_EERKSM_lbbbEUlllE0_EEPmJS6_EEE10hipError_tPvRmT3_T4_T5_T6_T7_T9_mT8_P12ihipStream_tbDpT10_ENKUlT_T0_E_clISt17integral_constantIbLb0EES1B_IbLb1EEEEDaS17_S18_EUlS17_E_NS1_11comp_targetILNS1_3genE0ELNS1_11target_archE4294967295ELNS1_3gpuE0ELNS1_3repE0EEENS1_30default_config_static_selectorELNS0_4arch9wavefront6targetE0EEEvT1_.num_vgpr, 53
	.set _ZN7rocprim17ROCPRIM_400000_NS6detail17trampoline_kernelINS0_14default_configENS1_25partition_config_selectorILNS1_17partition_subalgoE8ElNS0_10empty_typeEbEEZZNS1_14partition_implILS5_8ELb0ES3_jPlPS6_PKS6_NS0_5tupleIJS9_S6_EEENSD_IJSA_SA_EEENS0_18inequality_wrapperIZN2at6native12_GLOBAL__N_124unique_dim_cuda_templateItEESt5tupleIJNSH_6TensorESM_SM_EERKSM_lbbbEUlllE0_EEPmJS6_EEE10hipError_tPvRmT3_T4_T5_T6_T7_T9_mT8_P12ihipStream_tbDpT10_ENKUlT_T0_E_clISt17integral_constantIbLb0EES1B_IbLb1EEEEDaS17_S18_EUlS17_E_NS1_11comp_targetILNS1_3genE0ELNS1_11target_archE4294967295ELNS1_3gpuE0ELNS1_3repE0EEENS1_30default_config_static_selectorELNS0_4arch9wavefront6targetE0EEEvT1_.num_agpr, 0
	.set _ZN7rocprim17ROCPRIM_400000_NS6detail17trampoline_kernelINS0_14default_configENS1_25partition_config_selectorILNS1_17partition_subalgoE8ElNS0_10empty_typeEbEEZZNS1_14partition_implILS5_8ELb0ES3_jPlPS6_PKS6_NS0_5tupleIJS9_S6_EEENSD_IJSA_SA_EEENS0_18inequality_wrapperIZN2at6native12_GLOBAL__N_124unique_dim_cuda_templateItEESt5tupleIJNSH_6TensorESM_SM_EERKSM_lbbbEUlllE0_EEPmJS6_EEE10hipError_tPvRmT3_T4_T5_T6_T7_T9_mT8_P12ihipStream_tbDpT10_ENKUlT_T0_E_clISt17integral_constantIbLb0EES1B_IbLb1EEEEDaS17_S18_EUlS17_E_NS1_11comp_targetILNS1_3genE0ELNS1_11target_archE4294967295ELNS1_3gpuE0ELNS1_3repE0EEENS1_30default_config_static_selectorELNS0_4arch9wavefront6targetE0EEEvT1_.numbered_sgpr, 36
	.set _ZN7rocprim17ROCPRIM_400000_NS6detail17trampoline_kernelINS0_14default_configENS1_25partition_config_selectorILNS1_17partition_subalgoE8ElNS0_10empty_typeEbEEZZNS1_14partition_implILS5_8ELb0ES3_jPlPS6_PKS6_NS0_5tupleIJS9_S6_EEENSD_IJSA_SA_EEENS0_18inequality_wrapperIZN2at6native12_GLOBAL__N_124unique_dim_cuda_templateItEESt5tupleIJNSH_6TensorESM_SM_EERKSM_lbbbEUlllE0_EEPmJS6_EEE10hipError_tPvRmT3_T4_T5_T6_T7_T9_mT8_P12ihipStream_tbDpT10_ENKUlT_T0_E_clISt17integral_constantIbLb0EES1B_IbLb1EEEEDaS17_S18_EUlS17_E_NS1_11comp_targetILNS1_3genE0ELNS1_11target_archE4294967295ELNS1_3gpuE0ELNS1_3repE0EEENS1_30default_config_static_selectorELNS0_4arch9wavefront6targetE0EEEvT1_.num_named_barrier, 0
	.set _ZN7rocprim17ROCPRIM_400000_NS6detail17trampoline_kernelINS0_14default_configENS1_25partition_config_selectorILNS1_17partition_subalgoE8ElNS0_10empty_typeEbEEZZNS1_14partition_implILS5_8ELb0ES3_jPlPS6_PKS6_NS0_5tupleIJS9_S6_EEENSD_IJSA_SA_EEENS0_18inequality_wrapperIZN2at6native12_GLOBAL__N_124unique_dim_cuda_templateItEESt5tupleIJNSH_6TensorESM_SM_EERKSM_lbbbEUlllE0_EEPmJS6_EEE10hipError_tPvRmT3_T4_T5_T6_T7_T9_mT8_P12ihipStream_tbDpT10_ENKUlT_T0_E_clISt17integral_constantIbLb0EES1B_IbLb1EEEEDaS17_S18_EUlS17_E_NS1_11comp_targetILNS1_3genE0ELNS1_11target_archE4294967295ELNS1_3gpuE0ELNS1_3repE0EEENS1_30default_config_static_selectorELNS0_4arch9wavefront6targetE0EEEvT1_.private_seg_size, 0
	.set _ZN7rocprim17ROCPRIM_400000_NS6detail17trampoline_kernelINS0_14default_configENS1_25partition_config_selectorILNS1_17partition_subalgoE8ElNS0_10empty_typeEbEEZZNS1_14partition_implILS5_8ELb0ES3_jPlPS6_PKS6_NS0_5tupleIJS9_S6_EEENSD_IJSA_SA_EEENS0_18inequality_wrapperIZN2at6native12_GLOBAL__N_124unique_dim_cuda_templateItEESt5tupleIJNSH_6TensorESM_SM_EERKSM_lbbbEUlllE0_EEPmJS6_EEE10hipError_tPvRmT3_T4_T5_T6_T7_T9_mT8_P12ihipStream_tbDpT10_ENKUlT_T0_E_clISt17integral_constantIbLb0EES1B_IbLb1EEEEDaS17_S18_EUlS17_E_NS1_11comp_targetILNS1_3genE0ELNS1_11target_archE4294967295ELNS1_3gpuE0ELNS1_3repE0EEENS1_30default_config_static_selectorELNS0_4arch9wavefront6targetE0EEEvT1_.uses_vcc, 1
	.set _ZN7rocprim17ROCPRIM_400000_NS6detail17trampoline_kernelINS0_14default_configENS1_25partition_config_selectorILNS1_17partition_subalgoE8ElNS0_10empty_typeEbEEZZNS1_14partition_implILS5_8ELb0ES3_jPlPS6_PKS6_NS0_5tupleIJS9_S6_EEENSD_IJSA_SA_EEENS0_18inequality_wrapperIZN2at6native12_GLOBAL__N_124unique_dim_cuda_templateItEESt5tupleIJNSH_6TensorESM_SM_EERKSM_lbbbEUlllE0_EEPmJS6_EEE10hipError_tPvRmT3_T4_T5_T6_T7_T9_mT8_P12ihipStream_tbDpT10_ENKUlT_T0_E_clISt17integral_constantIbLb0EES1B_IbLb1EEEEDaS17_S18_EUlS17_E_NS1_11comp_targetILNS1_3genE0ELNS1_11target_archE4294967295ELNS1_3gpuE0ELNS1_3repE0EEENS1_30default_config_static_selectorELNS0_4arch9wavefront6targetE0EEEvT1_.uses_flat_scratch, 0
	.set _ZN7rocprim17ROCPRIM_400000_NS6detail17trampoline_kernelINS0_14default_configENS1_25partition_config_selectorILNS1_17partition_subalgoE8ElNS0_10empty_typeEbEEZZNS1_14partition_implILS5_8ELb0ES3_jPlPS6_PKS6_NS0_5tupleIJS9_S6_EEENSD_IJSA_SA_EEENS0_18inequality_wrapperIZN2at6native12_GLOBAL__N_124unique_dim_cuda_templateItEESt5tupleIJNSH_6TensorESM_SM_EERKSM_lbbbEUlllE0_EEPmJS6_EEE10hipError_tPvRmT3_T4_T5_T6_T7_T9_mT8_P12ihipStream_tbDpT10_ENKUlT_T0_E_clISt17integral_constantIbLb0EES1B_IbLb1EEEEDaS17_S18_EUlS17_E_NS1_11comp_targetILNS1_3genE0ELNS1_11target_archE4294967295ELNS1_3gpuE0ELNS1_3repE0EEENS1_30default_config_static_selectorELNS0_4arch9wavefront6targetE0EEEvT1_.has_dyn_sized_stack, 0
	.set _ZN7rocprim17ROCPRIM_400000_NS6detail17trampoline_kernelINS0_14default_configENS1_25partition_config_selectorILNS1_17partition_subalgoE8ElNS0_10empty_typeEbEEZZNS1_14partition_implILS5_8ELb0ES3_jPlPS6_PKS6_NS0_5tupleIJS9_S6_EEENSD_IJSA_SA_EEENS0_18inequality_wrapperIZN2at6native12_GLOBAL__N_124unique_dim_cuda_templateItEESt5tupleIJNSH_6TensorESM_SM_EERKSM_lbbbEUlllE0_EEPmJS6_EEE10hipError_tPvRmT3_T4_T5_T6_T7_T9_mT8_P12ihipStream_tbDpT10_ENKUlT_T0_E_clISt17integral_constantIbLb0EES1B_IbLb1EEEEDaS17_S18_EUlS17_E_NS1_11comp_targetILNS1_3genE0ELNS1_11target_archE4294967295ELNS1_3gpuE0ELNS1_3repE0EEENS1_30default_config_static_selectorELNS0_4arch9wavefront6targetE0EEEvT1_.has_recursion, 0
	.set _ZN7rocprim17ROCPRIM_400000_NS6detail17trampoline_kernelINS0_14default_configENS1_25partition_config_selectorILNS1_17partition_subalgoE8ElNS0_10empty_typeEbEEZZNS1_14partition_implILS5_8ELb0ES3_jPlPS6_PKS6_NS0_5tupleIJS9_S6_EEENSD_IJSA_SA_EEENS0_18inequality_wrapperIZN2at6native12_GLOBAL__N_124unique_dim_cuda_templateItEESt5tupleIJNSH_6TensorESM_SM_EERKSM_lbbbEUlllE0_EEPmJS6_EEE10hipError_tPvRmT3_T4_T5_T6_T7_T9_mT8_P12ihipStream_tbDpT10_ENKUlT_T0_E_clISt17integral_constantIbLb0EES1B_IbLb1EEEEDaS17_S18_EUlS17_E_NS1_11comp_targetILNS1_3genE0ELNS1_11target_archE4294967295ELNS1_3gpuE0ELNS1_3repE0EEENS1_30default_config_static_selectorELNS0_4arch9wavefront6targetE0EEEvT1_.has_indirect_call, 0
	.section	.AMDGPU.csdata,"",@progbits
; Kernel info:
; codeLenInByte = 10604
; TotalNumSgprs: 38
; NumVgprs: 53
; ScratchSize: 0
; MemoryBound: 0
; FloatMode: 240
; IeeeMode: 1
; LDSByteSize: 28680 bytes/workgroup (compile time only)
; SGPRBlocks: 0
; VGPRBlocks: 3
; NumSGPRsForWavesPerEU: 38
; NumVGPRsForWavesPerEU: 53
; NamedBarCnt: 0
; Occupancy: 16
; WaveLimiterHint : 1
; COMPUTE_PGM_RSRC2:SCRATCH_EN: 0
; COMPUTE_PGM_RSRC2:USER_SGPR: 2
; COMPUTE_PGM_RSRC2:TRAP_HANDLER: 0
; COMPUTE_PGM_RSRC2:TGID_X_EN: 1
; COMPUTE_PGM_RSRC2:TGID_Y_EN: 0
; COMPUTE_PGM_RSRC2:TGID_Z_EN: 0
; COMPUTE_PGM_RSRC2:TIDIG_COMP_CNT: 0
	.section	.text._ZN7rocprim17ROCPRIM_400000_NS6detail17trampoline_kernelINS0_14default_configENS1_25partition_config_selectorILNS1_17partition_subalgoE8ElNS0_10empty_typeEbEEZZNS1_14partition_implILS5_8ELb0ES3_jPlPS6_PKS6_NS0_5tupleIJS9_S6_EEENSD_IJSA_SA_EEENS0_18inequality_wrapperIZN2at6native12_GLOBAL__N_124unique_dim_cuda_templateItEESt5tupleIJNSH_6TensorESM_SM_EERKSM_lbbbEUlllE0_EEPmJS6_EEE10hipError_tPvRmT3_T4_T5_T6_T7_T9_mT8_P12ihipStream_tbDpT10_ENKUlT_T0_E_clISt17integral_constantIbLb0EES1B_IbLb1EEEEDaS17_S18_EUlS17_E_NS1_11comp_targetILNS1_3genE5ELNS1_11target_archE942ELNS1_3gpuE9ELNS1_3repE0EEENS1_30default_config_static_selectorELNS0_4arch9wavefront6targetE0EEEvT1_,"axG",@progbits,_ZN7rocprim17ROCPRIM_400000_NS6detail17trampoline_kernelINS0_14default_configENS1_25partition_config_selectorILNS1_17partition_subalgoE8ElNS0_10empty_typeEbEEZZNS1_14partition_implILS5_8ELb0ES3_jPlPS6_PKS6_NS0_5tupleIJS9_S6_EEENSD_IJSA_SA_EEENS0_18inequality_wrapperIZN2at6native12_GLOBAL__N_124unique_dim_cuda_templateItEESt5tupleIJNSH_6TensorESM_SM_EERKSM_lbbbEUlllE0_EEPmJS6_EEE10hipError_tPvRmT3_T4_T5_T6_T7_T9_mT8_P12ihipStream_tbDpT10_ENKUlT_T0_E_clISt17integral_constantIbLb0EES1B_IbLb1EEEEDaS17_S18_EUlS17_E_NS1_11comp_targetILNS1_3genE5ELNS1_11target_archE942ELNS1_3gpuE9ELNS1_3repE0EEENS1_30default_config_static_selectorELNS0_4arch9wavefront6targetE0EEEvT1_,comdat
	.globl	_ZN7rocprim17ROCPRIM_400000_NS6detail17trampoline_kernelINS0_14default_configENS1_25partition_config_selectorILNS1_17partition_subalgoE8ElNS0_10empty_typeEbEEZZNS1_14partition_implILS5_8ELb0ES3_jPlPS6_PKS6_NS0_5tupleIJS9_S6_EEENSD_IJSA_SA_EEENS0_18inequality_wrapperIZN2at6native12_GLOBAL__N_124unique_dim_cuda_templateItEESt5tupleIJNSH_6TensorESM_SM_EERKSM_lbbbEUlllE0_EEPmJS6_EEE10hipError_tPvRmT3_T4_T5_T6_T7_T9_mT8_P12ihipStream_tbDpT10_ENKUlT_T0_E_clISt17integral_constantIbLb0EES1B_IbLb1EEEEDaS17_S18_EUlS17_E_NS1_11comp_targetILNS1_3genE5ELNS1_11target_archE942ELNS1_3gpuE9ELNS1_3repE0EEENS1_30default_config_static_selectorELNS0_4arch9wavefront6targetE0EEEvT1_ ; -- Begin function _ZN7rocprim17ROCPRIM_400000_NS6detail17trampoline_kernelINS0_14default_configENS1_25partition_config_selectorILNS1_17partition_subalgoE8ElNS0_10empty_typeEbEEZZNS1_14partition_implILS5_8ELb0ES3_jPlPS6_PKS6_NS0_5tupleIJS9_S6_EEENSD_IJSA_SA_EEENS0_18inequality_wrapperIZN2at6native12_GLOBAL__N_124unique_dim_cuda_templateItEESt5tupleIJNSH_6TensorESM_SM_EERKSM_lbbbEUlllE0_EEPmJS6_EEE10hipError_tPvRmT3_T4_T5_T6_T7_T9_mT8_P12ihipStream_tbDpT10_ENKUlT_T0_E_clISt17integral_constantIbLb0EES1B_IbLb1EEEEDaS17_S18_EUlS17_E_NS1_11comp_targetILNS1_3genE5ELNS1_11target_archE942ELNS1_3gpuE9ELNS1_3repE0EEENS1_30default_config_static_selectorELNS0_4arch9wavefront6targetE0EEEvT1_
	.p2align	8
	.type	_ZN7rocprim17ROCPRIM_400000_NS6detail17trampoline_kernelINS0_14default_configENS1_25partition_config_selectorILNS1_17partition_subalgoE8ElNS0_10empty_typeEbEEZZNS1_14partition_implILS5_8ELb0ES3_jPlPS6_PKS6_NS0_5tupleIJS9_S6_EEENSD_IJSA_SA_EEENS0_18inequality_wrapperIZN2at6native12_GLOBAL__N_124unique_dim_cuda_templateItEESt5tupleIJNSH_6TensorESM_SM_EERKSM_lbbbEUlllE0_EEPmJS6_EEE10hipError_tPvRmT3_T4_T5_T6_T7_T9_mT8_P12ihipStream_tbDpT10_ENKUlT_T0_E_clISt17integral_constantIbLb0EES1B_IbLb1EEEEDaS17_S18_EUlS17_E_NS1_11comp_targetILNS1_3genE5ELNS1_11target_archE942ELNS1_3gpuE9ELNS1_3repE0EEENS1_30default_config_static_selectorELNS0_4arch9wavefront6targetE0EEEvT1_,@function
_ZN7rocprim17ROCPRIM_400000_NS6detail17trampoline_kernelINS0_14default_configENS1_25partition_config_selectorILNS1_17partition_subalgoE8ElNS0_10empty_typeEbEEZZNS1_14partition_implILS5_8ELb0ES3_jPlPS6_PKS6_NS0_5tupleIJS9_S6_EEENSD_IJSA_SA_EEENS0_18inequality_wrapperIZN2at6native12_GLOBAL__N_124unique_dim_cuda_templateItEESt5tupleIJNSH_6TensorESM_SM_EERKSM_lbbbEUlllE0_EEPmJS6_EEE10hipError_tPvRmT3_T4_T5_T6_T7_T9_mT8_P12ihipStream_tbDpT10_ENKUlT_T0_E_clISt17integral_constantIbLb0EES1B_IbLb1EEEEDaS17_S18_EUlS17_E_NS1_11comp_targetILNS1_3genE5ELNS1_11target_archE942ELNS1_3gpuE9ELNS1_3repE0EEENS1_30default_config_static_selectorELNS0_4arch9wavefront6targetE0EEEvT1_: ; @_ZN7rocprim17ROCPRIM_400000_NS6detail17trampoline_kernelINS0_14default_configENS1_25partition_config_selectorILNS1_17partition_subalgoE8ElNS0_10empty_typeEbEEZZNS1_14partition_implILS5_8ELb0ES3_jPlPS6_PKS6_NS0_5tupleIJS9_S6_EEENSD_IJSA_SA_EEENS0_18inequality_wrapperIZN2at6native12_GLOBAL__N_124unique_dim_cuda_templateItEESt5tupleIJNSH_6TensorESM_SM_EERKSM_lbbbEUlllE0_EEPmJS6_EEE10hipError_tPvRmT3_T4_T5_T6_T7_T9_mT8_P12ihipStream_tbDpT10_ENKUlT_T0_E_clISt17integral_constantIbLb0EES1B_IbLb1EEEEDaS17_S18_EUlS17_E_NS1_11comp_targetILNS1_3genE5ELNS1_11target_archE942ELNS1_3gpuE9ELNS1_3repE0EEENS1_30default_config_static_selectorELNS0_4arch9wavefront6targetE0EEEvT1_
; %bb.0:
	.section	.rodata,"a",@progbits
	.p2align	6, 0x0
	.amdhsa_kernel _ZN7rocprim17ROCPRIM_400000_NS6detail17trampoline_kernelINS0_14default_configENS1_25partition_config_selectorILNS1_17partition_subalgoE8ElNS0_10empty_typeEbEEZZNS1_14partition_implILS5_8ELb0ES3_jPlPS6_PKS6_NS0_5tupleIJS9_S6_EEENSD_IJSA_SA_EEENS0_18inequality_wrapperIZN2at6native12_GLOBAL__N_124unique_dim_cuda_templateItEESt5tupleIJNSH_6TensorESM_SM_EERKSM_lbbbEUlllE0_EEPmJS6_EEE10hipError_tPvRmT3_T4_T5_T6_T7_T9_mT8_P12ihipStream_tbDpT10_ENKUlT_T0_E_clISt17integral_constantIbLb0EES1B_IbLb1EEEEDaS17_S18_EUlS17_E_NS1_11comp_targetILNS1_3genE5ELNS1_11target_archE942ELNS1_3gpuE9ELNS1_3repE0EEENS1_30default_config_static_selectorELNS0_4arch9wavefront6targetE0EEEvT1_
		.amdhsa_group_segment_fixed_size 0
		.amdhsa_private_segment_fixed_size 0
		.amdhsa_kernarg_size 136
		.amdhsa_user_sgpr_count 2
		.amdhsa_user_sgpr_dispatch_ptr 0
		.amdhsa_user_sgpr_queue_ptr 0
		.amdhsa_user_sgpr_kernarg_segment_ptr 1
		.amdhsa_user_sgpr_dispatch_id 0
		.amdhsa_user_sgpr_kernarg_preload_length 0
		.amdhsa_user_sgpr_kernarg_preload_offset 0
		.amdhsa_user_sgpr_private_segment_size 0
		.amdhsa_wavefront_size32 1
		.amdhsa_uses_dynamic_stack 0
		.amdhsa_enable_private_segment 0
		.amdhsa_system_sgpr_workgroup_id_x 1
		.amdhsa_system_sgpr_workgroup_id_y 0
		.amdhsa_system_sgpr_workgroup_id_z 0
		.amdhsa_system_sgpr_workgroup_info 0
		.amdhsa_system_vgpr_workitem_id 0
		.amdhsa_next_free_vgpr 1
		.amdhsa_next_free_sgpr 1
		.amdhsa_named_barrier_count 0
		.amdhsa_reserve_vcc 0
		.amdhsa_float_round_mode_32 0
		.amdhsa_float_round_mode_16_64 0
		.amdhsa_float_denorm_mode_32 3
		.amdhsa_float_denorm_mode_16_64 3
		.amdhsa_fp16_overflow 0
		.amdhsa_memory_ordered 1
		.amdhsa_forward_progress 1
		.amdhsa_inst_pref_size 0
		.amdhsa_round_robin_scheduling 0
		.amdhsa_exception_fp_ieee_invalid_op 0
		.amdhsa_exception_fp_denorm_src 0
		.amdhsa_exception_fp_ieee_div_zero 0
		.amdhsa_exception_fp_ieee_overflow 0
		.amdhsa_exception_fp_ieee_underflow 0
		.amdhsa_exception_fp_ieee_inexact 0
		.amdhsa_exception_int_div_zero 0
	.end_amdhsa_kernel
	.section	.text._ZN7rocprim17ROCPRIM_400000_NS6detail17trampoline_kernelINS0_14default_configENS1_25partition_config_selectorILNS1_17partition_subalgoE8ElNS0_10empty_typeEbEEZZNS1_14partition_implILS5_8ELb0ES3_jPlPS6_PKS6_NS0_5tupleIJS9_S6_EEENSD_IJSA_SA_EEENS0_18inequality_wrapperIZN2at6native12_GLOBAL__N_124unique_dim_cuda_templateItEESt5tupleIJNSH_6TensorESM_SM_EERKSM_lbbbEUlllE0_EEPmJS6_EEE10hipError_tPvRmT3_T4_T5_T6_T7_T9_mT8_P12ihipStream_tbDpT10_ENKUlT_T0_E_clISt17integral_constantIbLb0EES1B_IbLb1EEEEDaS17_S18_EUlS17_E_NS1_11comp_targetILNS1_3genE5ELNS1_11target_archE942ELNS1_3gpuE9ELNS1_3repE0EEENS1_30default_config_static_selectorELNS0_4arch9wavefront6targetE0EEEvT1_,"axG",@progbits,_ZN7rocprim17ROCPRIM_400000_NS6detail17trampoline_kernelINS0_14default_configENS1_25partition_config_selectorILNS1_17partition_subalgoE8ElNS0_10empty_typeEbEEZZNS1_14partition_implILS5_8ELb0ES3_jPlPS6_PKS6_NS0_5tupleIJS9_S6_EEENSD_IJSA_SA_EEENS0_18inequality_wrapperIZN2at6native12_GLOBAL__N_124unique_dim_cuda_templateItEESt5tupleIJNSH_6TensorESM_SM_EERKSM_lbbbEUlllE0_EEPmJS6_EEE10hipError_tPvRmT3_T4_T5_T6_T7_T9_mT8_P12ihipStream_tbDpT10_ENKUlT_T0_E_clISt17integral_constantIbLb0EES1B_IbLb1EEEEDaS17_S18_EUlS17_E_NS1_11comp_targetILNS1_3genE5ELNS1_11target_archE942ELNS1_3gpuE9ELNS1_3repE0EEENS1_30default_config_static_selectorELNS0_4arch9wavefront6targetE0EEEvT1_,comdat
.Lfunc_end1444:
	.size	_ZN7rocprim17ROCPRIM_400000_NS6detail17trampoline_kernelINS0_14default_configENS1_25partition_config_selectorILNS1_17partition_subalgoE8ElNS0_10empty_typeEbEEZZNS1_14partition_implILS5_8ELb0ES3_jPlPS6_PKS6_NS0_5tupleIJS9_S6_EEENSD_IJSA_SA_EEENS0_18inequality_wrapperIZN2at6native12_GLOBAL__N_124unique_dim_cuda_templateItEESt5tupleIJNSH_6TensorESM_SM_EERKSM_lbbbEUlllE0_EEPmJS6_EEE10hipError_tPvRmT3_T4_T5_T6_T7_T9_mT8_P12ihipStream_tbDpT10_ENKUlT_T0_E_clISt17integral_constantIbLb0EES1B_IbLb1EEEEDaS17_S18_EUlS17_E_NS1_11comp_targetILNS1_3genE5ELNS1_11target_archE942ELNS1_3gpuE9ELNS1_3repE0EEENS1_30default_config_static_selectorELNS0_4arch9wavefront6targetE0EEEvT1_, .Lfunc_end1444-_ZN7rocprim17ROCPRIM_400000_NS6detail17trampoline_kernelINS0_14default_configENS1_25partition_config_selectorILNS1_17partition_subalgoE8ElNS0_10empty_typeEbEEZZNS1_14partition_implILS5_8ELb0ES3_jPlPS6_PKS6_NS0_5tupleIJS9_S6_EEENSD_IJSA_SA_EEENS0_18inequality_wrapperIZN2at6native12_GLOBAL__N_124unique_dim_cuda_templateItEESt5tupleIJNSH_6TensorESM_SM_EERKSM_lbbbEUlllE0_EEPmJS6_EEE10hipError_tPvRmT3_T4_T5_T6_T7_T9_mT8_P12ihipStream_tbDpT10_ENKUlT_T0_E_clISt17integral_constantIbLb0EES1B_IbLb1EEEEDaS17_S18_EUlS17_E_NS1_11comp_targetILNS1_3genE5ELNS1_11target_archE942ELNS1_3gpuE9ELNS1_3repE0EEENS1_30default_config_static_selectorELNS0_4arch9wavefront6targetE0EEEvT1_
                                        ; -- End function
	.set _ZN7rocprim17ROCPRIM_400000_NS6detail17trampoline_kernelINS0_14default_configENS1_25partition_config_selectorILNS1_17partition_subalgoE8ElNS0_10empty_typeEbEEZZNS1_14partition_implILS5_8ELb0ES3_jPlPS6_PKS6_NS0_5tupleIJS9_S6_EEENSD_IJSA_SA_EEENS0_18inequality_wrapperIZN2at6native12_GLOBAL__N_124unique_dim_cuda_templateItEESt5tupleIJNSH_6TensorESM_SM_EERKSM_lbbbEUlllE0_EEPmJS6_EEE10hipError_tPvRmT3_T4_T5_T6_T7_T9_mT8_P12ihipStream_tbDpT10_ENKUlT_T0_E_clISt17integral_constantIbLb0EES1B_IbLb1EEEEDaS17_S18_EUlS17_E_NS1_11comp_targetILNS1_3genE5ELNS1_11target_archE942ELNS1_3gpuE9ELNS1_3repE0EEENS1_30default_config_static_selectorELNS0_4arch9wavefront6targetE0EEEvT1_.num_vgpr, 0
	.set _ZN7rocprim17ROCPRIM_400000_NS6detail17trampoline_kernelINS0_14default_configENS1_25partition_config_selectorILNS1_17partition_subalgoE8ElNS0_10empty_typeEbEEZZNS1_14partition_implILS5_8ELb0ES3_jPlPS6_PKS6_NS0_5tupleIJS9_S6_EEENSD_IJSA_SA_EEENS0_18inequality_wrapperIZN2at6native12_GLOBAL__N_124unique_dim_cuda_templateItEESt5tupleIJNSH_6TensorESM_SM_EERKSM_lbbbEUlllE0_EEPmJS6_EEE10hipError_tPvRmT3_T4_T5_T6_T7_T9_mT8_P12ihipStream_tbDpT10_ENKUlT_T0_E_clISt17integral_constantIbLb0EES1B_IbLb1EEEEDaS17_S18_EUlS17_E_NS1_11comp_targetILNS1_3genE5ELNS1_11target_archE942ELNS1_3gpuE9ELNS1_3repE0EEENS1_30default_config_static_selectorELNS0_4arch9wavefront6targetE0EEEvT1_.num_agpr, 0
	.set _ZN7rocprim17ROCPRIM_400000_NS6detail17trampoline_kernelINS0_14default_configENS1_25partition_config_selectorILNS1_17partition_subalgoE8ElNS0_10empty_typeEbEEZZNS1_14partition_implILS5_8ELb0ES3_jPlPS6_PKS6_NS0_5tupleIJS9_S6_EEENSD_IJSA_SA_EEENS0_18inequality_wrapperIZN2at6native12_GLOBAL__N_124unique_dim_cuda_templateItEESt5tupleIJNSH_6TensorESM_SM_EERKSM_lbbbEUlllE0_EEPmJS6_EEE10hipError_tPvRmT3_T4_T5_T6_T7_T9_mT8_P12ihipStream_tbDpT10_ENKUlT_T0_E_clISt17integral_constantIbLb0EES1B_IbLb1EEEEDaS17_S18_EUlS17_E_NS1_11comp_targetILNS1_3genE5ELNS1_11target_archE942ELNS1_3gpuE9ELNS1_3repE0EEENS1_30default_config_static_selectorELNS0_4arch9wavefront6targetE0EEEvT1_.numbered_sgpr, 0
	.set _ZN7rocprim17ROCPRIM_400000_NS6detail17trampoline_kernelINS0_14default_configENS1_25partition_config_selectorILNS1_17partition_subalgoE8ElNS0_10empty_typeEbEEZZNS1_14partition_implILS5_8ELb0ES3_jPlPS6_PKS6_NS0_5tupleIJS9_S6_EEENSD_IJSA_SA_EEENS0_18inequality_wrapperIZN2at6native12_GLOBAL__N_124unique_dim_cuda_templateItEESt5tupleIJNSH_6TensorESM_SM_EERKSM_lbbbEUlllE0_EEPmJS6_EEE10hipError_tPvRmT3_T4_T5_T6_T7_T9_mT8_P12ihipStream_tbDpT10_ENKUlT_T0_E_clISt17integral_constantIbLb0EES1B_IbLb1EEEEDaS17_S18_EUlS17_E_NS1_11comp_targetILNS1_3genE5ELNS1_11target_archE942ELNS1_3gpuE9ELNS1_3repE0EEENS1_30default_config_static_selectorELNS0_4arch9wavefront6targetE0EEEvT1_.num_named_barrier, 0
	.set _ZN7rocprim17ROCPRIM_400000_NS6detail17trampoline_kernelINS0_14default_configENS1_25partition_config_selectorILNS1_17partition_subalgoE8ElNS0_10empty_typeEbEEZZNS1_14partition_implILS5_8ELb0ES3_jPlPS6_PKS6_NS0_5tupleIJS9_S6_EEENSD_IJSA_SA_EEENS0_18inequality_wrapperIZN2at6native12_GLOBAL__N_124unique_dim_cuda_templateItEESt5tupleIJNSH_6TensorESM_SM_EERKSM_lbbbEUlllE0_EEPmJS6_EEE10hipError_tPvRmT3_T4_T5_T6_T7_T9_mT8_P12ihipStream_tbDpT10_ENKUlT_T0_E_clISt17integral_constantIbLb0EES1B_IbLb1EEEEDaS17_S18_EUlS17_E_NS1_11comp_targetILNS1_3genE5ELNS1_11target_archE942ELNS1_3gpuE9ELNS1_3repE0EEENS1_30default_config_static_selectorELNS0_4arch9wavefront6targetE0EEEvT1_.private_seg_size, 0
	.set _ZN7rocprim17ROCPRIM_400000_NS6detail17trampoline_kernelINS0_14default_configENS1_25partition_config_selectorILNS1_17partition_subalgoE8ElNS0_10empty_typeEbEEZZNS1_14partition_implILS5_8ELb0ES3_jPlPS6_PKS6_NS0_5tupleIJS9_S6_EEENSD_IJSA_SA_EEENS0_18inequality_wrapperIZN2at6native12_GLOBAL__N_124unique_dim_cuda_templateItEESt5tupleIJNSH_6TensorESM_SM_EERKSM_lbbbEUlllE0_EEPmJS6_EEE10hipError_tPvRmT3_T4_T5_T6_T7_T9_mT8_P12ihipStream_tbDpT10_ENKUlT_T0_E_clISt17integral_constantIbLb0EES1B_IbLb1EEEEDaS17_S18_EUlS17_E_NS1_11comp_targetILNS1_3genE5ELNS1_11target_archE942ELNS1_3gpuE9ELNS1_3repE0EEENS1_30default_config_static_selectorELNS0_4arch9wavefront6targetE0EEEvT1_.uses_vcc, 0
	.set _ZN7rocprim17ROCPRIM_400000_NS6detail17trampoline_kernelINS0_14default_configENS1_25partition_config_selectorILNS1_17partition_subalgoE8ElNS0_10empty_typeEbEEZZNS1_14partition_implILS5_8ELb0ES3_jPlPS6_PKS6_NS0_5tupleIJS9_S6_EEENSD_IJSA_SA_EEENS0_18inequality_wrapperIZN2at6native12_GLOBAL__N_124unique_dim_cuda_templateItEESt5tupleIJNSH_6TensorESM_SM_EERKSM_lbbbEUlllE0_EEPmJS6_EEE10hipError_tPvRmT3_T4_T5_T6_T7_T9_mT8_P12ihipStream_tbDpT10_ENKUlT_T0_E_clISt17integral_constantIbLb0EES1B_IbLb1EEEEDaS17_S18_EUlS17_E_NS1_11comp_targetILNS1_3genE5ELNS1_11target_archE942ELNS1_3gpuE9ELNS1_3repE0EEENS1_30default_config_static_selectorELNS0_4arch9wavefront6targetE0EEEvT1_.uses_flat_scratch, 0
	.set _ZN7rocprim17ROCPRIM_400000_NS6detail17trampoline_kernelINS0_14default_configENS1_25partition_config_selectorILNS1_17partition_subalgoE8ElNS0_10empty_typeEbEEZZNS1_14partition_implILS5_8ELb0ES3_jPlPS6_PKS6_NS0_5tupleIJS9_S6_EEENSD_IJSA_SA_EEENS0_18inequality_wrapperIZN2at6native12_GLOBAL__N_124unique_dim_cuda_templateItEESt5tupleIJNSH_6TensorESM_SM_EERKSM_lbbbEUlllE0_EEPmJS6_EEE10hipError_tPvRmT3_T4_T5_T6_T7_T9_mT8_P12ihipStream_tbDpT10_ENKUlT_T0_E_clISt17integral_constantIbLb0EES1B_IbLb1EEEEDaS17_S18_EUlS17_E_NS1_11comp_targetILNS1_3genE5ELNS1_11target_archE942ELNS1_3gpuE9ELNS1_3repE0EEENS1_30default_config_static_selectorELNS0_4arch9wavefront6targetE0EEEvT1_.has_dyn_sized_stack, 0
	.set _ZN7rocprim17ROCPRIM_400000_NS6detail17trampoline_kernelINS0_14default_configENS1_25partition_config_selectorILNS1_17partition_subalgoE8ElNS0_10empty_typeEbEEZZNS1_14partition_implILS5_8ELb0ES3_jPlPS6_PKS6_NS0_5tupleIJS9_S6_EEENSD_IJSA_SA_EEENS0_18inequality_wrapperIZN2at6native12_GLOBAL__N_124unique_dim_cuda_templateItEESt5tupleIJNSH_6TensorESM_SM_EERKSM_lbbbEUlllE0_EEPmJS6_EEE10hipError_tPvRmT3_T4_T5_T6_T7_T9_mT8_P12ihipStream_tbDpT10_ENKUlT_T0_E_clISt17integral_constantIbLb0EES1B_IbLb1EEEEDaS17_S18_EUlS17_E_NS1_11comp_targetILNS1_3genE5ELNS1_11target_archE942ELNS1_3gpuE9ELNS1_3repE0EEENS1_30default_config_static_selectorELNS0_4arch9wavefront6targetE0EEEvT1_.has_recursion, 0
	.set _ZN7rocprim17ROCPRIM_400000_NS6detail17trampoline_kernelINS0_14default_configENS1_25partition_config_selectorILNS1_17partition_subalgoE8ElNS0_10empty_typeEbEEZZNS1_14partition_implILS5_8ELb0ES3_jPlPS6_PKS6_NS0_5tupleIJS9_S6_EEENSD_IJSA_SA_EEENS0_18inequality_wrapperIZN2at6native12_GLOBAL__N_124unique_dim_cuda_templateItEESt5tupleIJNSH_6TensorESM_SM_EERKSM_lbbbEUlllE0_EEPmJS6_EEE10hipError_tPvRmT3_T4_T5_T6_T7_T9_mT8_P12ihipStream_tbDpT10_ENKUlT_T0_E_clISt17integral_constantIbLb0EES1B_IbLb1EEEEDaS17_S18_EUlS17_E_NS1_11comp_targetILNS1_3genE5ELNS1_11target_archE942ELNS1_3gpuE9ELNS1_3repE0EEENS1_30default_config_static_selectorELNS0_4arch9wavefront6targetE0EEEvT1_.has_indirect_call, 0
	.section	.AMDGPU.csdata,"",@progbits
; Kernel info:
; codeLenInByte = 0
; TotalNumSgprs: 0
; NumVgprs: 0
; ScratchSize: 0
; MemoryBound: 0
; FloatMode: 240
; IeeeMode: 1
; LDSByteSize: 0 bytes/workgroup (compile time only)
; SGPRBlocks: 0
; VGPRBlocks: 0
; NumSGPRsForWavesPerEU: 1
; NumVGPRsForWavesPerEU: 1
; NamedBarCnt: 0
; Occupancy: 16
; WaveLimiterHint : 0
; COMPUTE_PGM_RSRC2:SCRATCH_EN: 0
; COMPUTE_PGM_RSRC2:USER_SGPR: 2
; COMPUTE_PGM_RSRC2:TRAP_HANDLER: 0
; COMPUTE_PGM_RSRC2:TGID_X_EN: 1
; COMPUTE_PGM_RSRC2:TGID_Y_EN: 0
; COMPUTE_PGM_RSRC2:TGID_Z_EN: 0
; COMPUTE_PGM_RSRC2:TIDIG_COMP_CNT: 0
	.section	.text._ZN7rocprim17ROCPRIM_400000_NS6detail17trampoline_kernelINS0_14default_configENS1_25partition_config_selectorILNS1_17partition_subalgoE8ElNS0_10empty_typeEbEEZZNS1_14partition_implILS5_8ELb0ES3_jPlPS6_PKS6_NS0_5tupleIJS9_S6_EEENSD_IJSA_SA_EEENS0_18inequality_wrapperIZN2at6native12_GLOBAL__N_124unique_dim_cuda_templateItEESt5tupleIJNSH_6TensorESM_SM_EERKSM_lbbbEUlllE0_EEPmJS6_EEE10hipError_tPvRmT3_T4_T5_T6_T7_T9_mT8_P12ihipStream_tbDpT10_ENKUlT_T0_E_clISt17integral_constantIbLb0EES1B_IbLb1EEEEDaS17_S18_EUlS17_E_NS1_11comp_targetILNS1_3genE4ELNS1_11target_archE910ELNS1_3gpuE8ELNS1_3repE0EEENS1_30default_config_static_selectorELNS0_4arch9wavefront6targetE0EEEvT1_,"axG",@progbits,_ZN7rocprim17ROCPRIM_400000_NS6detail17trampoline_kernelINS0_14default_configENS1_25partition_config_selectorILNS1_17partition_subalgoE8ElNS0_10empty_typeEbEEZZNS1_14partition_implILS5_8ELb0ES3_jPlPS6_PKS6_NS0_5tupleIJS9_S6_EEENSD_IJSA_SA_EEENS0_18inequality_wrapperIZN2at6native12_GLOBAL__N_124unique_dim_cuda_templateItEESt5tupleIJNSH_6TensorESM_SM_EERKSM_lbbbEUlllE0_EEPmJS6_EEE10hipError_tPvRmT3_T4_T5_T6_T7_T9_mT8_P12ihipStream_tbDpT10_ENKUlT_T0_E_clISt17integral_constantIbLb0EES1B_IbLb1EEEEDaS17_S18_EUlS17_E_NS1_11comp_targetILNS1_3genE4ELNS1_11target_archE910ELNS1_3gpuE8ELNS1_3repE0EEENS1_30default_config_static_selectorELNS0_4arch9wavefront6targetE0EEEvT1_,comdat
	.globl	_ZN7rocprim17ROCPRIM_400000_NS6detail17trampoline_kernelINS0_14default_configENS1_25partition_config_selectorILNS1_17partition_subalgoE8ElNS0_10empty_typeEbEEZZNS1_14partition_implILS5_8ELb0ES3_jPlPS6_PKS6_NS0_5tupleIJS9_S6_EEENSD_IJSA_SA_EEENS0_18inequality_wrapperIZN2at6native12_GLOBAL__N_124unique_dim_cuda_templateItEESt5tupleIJNSH_6TensorESM_SM_EERKSM_lbbbEUlllE0_EEPmJS6_EEE10hipError_tPvRmT3_T4_T5_T6_T7_T9_mT8_P12ihipStream_tbDpT10_ENKUlT_T0_E_clISt17integral_constantIbLb0EES1B_IbLb1EEEEDaS17_S18_EUlS17_E_NS1_11comp_targetILNS1_3genE4ELNS1_11target_archE910ELNS1_3gpuE8ELNS1_3repE0EEENS1_30default_config_static_selectorELNS0_4arch9wavefront6targetE0EEEvT1_ ; -- Begin function _ZN7rocprim17ROCPRIM_400000_NS6detail17trampoline_kernelINS0_14default_configENS1_25partition_config_selectorILNS1_17partition_subalgoE8ElNS0_10empty_typeEbEEZZNS1_14partition_implILS5_8ELb0ES3_jPlPS6_PKS6_NS0_5tupleIJS9_S6_EEENSD_IJSA_SA_EEENS0_18inequality_wrapperIZN2at6native12_GLOBAL__N_124unique_dim_cuda_templateItEESt5tupleIJNSH_6TensorESM_SM_EERKSM_lbbbEUlllE0_EEPmJS6_EEE10hipError_tPvRmT3_T4_T5_T6_T7_T9_mT8_P12ihipStream_tbDpT10_ENKUlT_T0_E_clISt17integral_constantIbLb0EES1B_IbLb1EEEEDaS17_S18_EUlS17_E_NS1_11comp_targetILNS1_3genE4ELNS1_11target_archE910ELNS1_3gpuE8ELNS1_3repE0EEENS1_30default_config_static_selectorELNS0_4arch9wavefront6targetE0EEEvT1_
	.p2align	8
	.type	_ZN7rocprim17ROCPRIM_400000_NS6detail17trampoline_kernelINS0_14default_configENS1_25partition_config_selectorILNS1_17partition_subalgoE8ElNS0_10empty_typeEbEEZZNS1_14partition_implILS5_8ELb0ES3_jPlPS6_PKS6_NS0_5tupleIJS9_S6_EEENSD_IJSA_SA_EEENS0_18inequality_wrapperIZN2at6native12_GLOBAL__N_124unique_dim_cuda_templateItEESt5tupleIJNSH_6TensorESM_SM_EERKSM_lbbbEUlllE0_EEPmJS6_EEE10hipError_tPvRmT3_T4_T5_T6_T7_T9_mT8_P12ihipStream_tbDpT10_ENKUlT_T0_E_clISt17integral_constantIbLb0EES1B_IbLb1EEEEDaS17_S18_EUlS17_E_NS1_11comp_targetILNS1_3genE4ELNS1_11target_archE910ELNS1_3gpuE8ELNS1_3repE0EEENS1_30default_config_static_selectorELNS0_4arch9wavefront6targetE0EEEvT1_,@function
_ZN7rocprim17ROCPRIM_400000_NS6detail17trampoline_kernelINS0_14default_configENS1_25partition_config_selectorILNS1_17partition_subalgoE8ElNS0_10empty_typeEbEEZZNS1_14partition_implILS5_8ELb0ES3_jPlPS6_PKS6_NS0_5tupleIJS9_S6_EEENSD_IJSA_SA_EEENS0_18inequality_wrapperIZN2at6native12_GLOBAL__N_124unique_dim_cuda_templateItEESt5tupleIJNSH_6TensorESM_SM_EERKSM_lbbbEUlllE0_EEPmJS6_EEE10hipError_tPvRmT3_T4_T5_T6_T7_T9_mT8_P12ihipStream_tbDpT10_ENKUlT_T0_E_clISt17integral_constantIbLb0EES1B_IbLb1EEEEDaS17_S18_EUlS17_E_NS1_11comp_targetILNS1_3genE4ELNS1_11target_archE910ELNS1_3gpuE8ELNS1_3repE0EEENS1_30default_config_static_selectorELNS0_4arch9wavefront6targetE0EEEvT1_: ; @_ZN7rocprim17ROCPRIM_400000_NS6detail17trampoline_kernelINS0_14default_configENS1_25partition_config_selectorILNS1_17partition_subalgoE8ElNS0_10empty_typeEbEEZZNS1_14partition_implILS5_8ELb0ES3_jPlPS6_PKS6_NS0_5tupleIJS9_S6_EEENSD_IJSA_SA_EEENS0_18inequality_wrapperIZN2at6native12_GLOBAL__N_124unique_dim_cuda_templateItEESt5tupleIJNSH_6TensorESM_SM_EERKSM_lbbbEUlllE0_EEPmJS6_EEE10hipError_tPvRmT3_T4_T5_T6_T7_T9_mT8_P12ihipStream_tbDpT10_ENKUlT_T0_E_clISt17integral_constantIbLb0EES1B_IbLb1EEEEDaS17_S18_EUlS17_E_NS1_11comp_targetILNS1_3genE4ELNS1_11target_archE910ELNS1_3gpuE8ELNS1_3repE0EEENS1_30default_config_static_selectorELNS0_4arch9wavefront6targetE0EEEvT1_
; %bb.0:
	.section	.rodata,"a",@progbits
	.p2align	6, 0x0
	.amdhsa_kernel _ZN7rocprim17ROCPRIM_400000_NS6detail17trampoline_kernelINS0_14default_configENS1_25partition_config_selectorILNS1_17partition_subalgoE8ElNS0_10empty_typeEbEEZZNS1_14partition_implILS5_8ELb0ES3_jPlPS6_PKS6_NS0_5tupleIJS9_S6_EEENSD_IJSA_SA_EEENS0_18inequality_wrapperIZN2at6native12_GLOBAL__N_124unique_dim_cuda_templateItEESt5tupleIJNSH_6TensorESM_SM_EERKSM_lbbbEUlllE0_EEPmJS6_EEE10hipError_tPvRmT3_T4_T5_T6_T7_T9_mT8_P12ihipStream_tbDpT10_ENKUlT_T0_E_clISt17integral_constantIbLb0EES1B_IbLb1EEEEDaS17_S18_EUlS17_E_NS1_11comp_targetILNS1_3genE4ELNS1_11target_archE910ELNS1_3gpuE8ELNS1_3repE0EEENS1_30default_config_static_selectorELNS0_4arch9wavefront6targetE0EEEvT1_
		.amdhsa_group_segment_fixed_size 0
		.amdhsa_private_segment_fixed_size 0
		.amdhsa_kernarg_size 136
		.amdhsa_user_sgpr_count 2
		.amdhsa_user_sgpr_dispatch_ptr 0
		.amdhsa_user_sgpr_queue_ptr 0
		.amdhsa_user_sgpr_kernarg_segment_ptr 1
		.amdhsa_user_sgpr_dispatch_id 0
		.amdhsa_user_sgpr_kernarg_preload_length 0
		.amdhsa_user_sgpr_kernarg_preload_offset 0
		.amdhsa_user_sgpr_private_segment_size 0
		.amdhsa_wavefront_size32 1
		.amdhsa_uses_dynamic_stack 0
		.amdhsa_enable_private_segment 0
		.amdhsa_system_sgpr_workgroup_id_x 1
		.amdhsa_system_sgpr_workgroup_id_y 0
		.amdhsa_system_sgpr_workgroup_id_z 0
		.amdhsa_system_sgpr_workgroup_info 0
		.amdhsa_system_vgpr_workitem_id 0
		.amdhsa_next_free_vgpr 1
		.amdhsa_next_free_sgpr 1
		.amdhsa_named_barrier_count 0
		.amdhsa_reserve_vcc 0
		.amdhsa_float_round_mode_32 0
		.amdhsa_float_round_mode_16_64 0
		.amdhsa_float_denorm_mode_32 3
		.amdhsa_float_denorm_mode_16_64 3
		.amdhsa_fp16_overflow 0
		.amdhsa_memory_ordered 1
		.amdhsa_forward_progress 1
		.amdhsa_inst_pref_size 0
		.amdhsa_round_robin_scheduling 0
		.amdhsa_exception_fp_ieee_invalid_op 0
		.amdhsa_exception_fp_denorm_src 0
		.amdhsa_exception_fp_ieee_div_zero 0
		.amdhsa_exception_fp_ieee_overflow 0
		.amdhsa_exception_fp_ieee_underflow 0
		.amdhsa_exception_fp_ieee_inexact 0
		.amdhsa_exception_int_div_zero 0
	.end_amdhsa_kernel
	.section	.text._ZN7rocprim17ROCPRIM_400000_NS6detail17trampoline_kernelINS0_14default_configENS1_25partition_config_selectorILNS1_17partition_subalgoE8ElNS0_10empty_typeEbEEZZNS1_14partition_implILS5_8ELb0ES3_jPlPS6_PKS6_NS0_5tupleIJS9_S6_EEENSD_IJSA_SA_EEENS0_18inequality_wrapperIZN2at6native12_GLOBAL__N_124unique_dim_cuda_templateItEESt5tupleIJNSH_6TensorESM_SM_EERKSM_lbbbEUlllE0_EEPmJS6_EEE10hipError_tPvRmT3_T4_T5_T6_T7_T9_mT8_P12ihipStream_tbDpT10_ENKUlT_T0_E_clISt17integral_constantIbLb0EES1B_IbLb1EEEEDaS17_S18_EUlS17_E_NS1_11comp_targetILNS1_3genE4ELNS1_11target_archE910ELNS1_3gpuE8ELNS1_3repE0EEENS1_30default_config_static_selectorELNS0_4arch9wavefront6targetE0EEEvT1_,"axG",@progbits,_ZN7rocprim17ROCPRIM_400000_NS6detail17trampoline_kernelINS0_14default_configENS1_25partition_config_selectorILNS1_17partition_subalgoE8ElNS0_10empty_typeEbEEZZNS1_14partition_implILS5_8ELb0ES3_jPlPS6_PKS6_NS0_5tupleIJS9_S6_EEENSD_IJSA_SA_EEENS0_18inequality_wrapperIZN2at6native12_GLOBAL__N_124unique_dim_cuda_templateItEESt5tupleIJNSH_6TensorESM_SM_EERKSM_lbbbEUlllE0_EEPmJS6_EEE10hipError_tPvRmT3_T4_T5_T6_T7_T9_mT8_P12ihipStream_tbDpT10_ENKUlT_T0_E_clISt17integral_constantIbLb0EES1B_IbLb1EEEEDaS17_S18_EUlS17_E_NS1_11comp_targetILNS1_3genE4ELNS1_11target_archE910ELNS1_3gpuE8ELNS1_3repE0EEENS1_30default_config_static_selectorELNS0_4arch9wavefront6targetE0EEEvT1_,comdat
.Lfunc_end1445:
	.size	_ZN7rocprim17ROCPRIM_400000_NS6detail17trampoline_kernelINS0_14default_configENS1_25partition_config_selectorILNS1_17partition_subalgoE8ElNS0_10empty_typeEbEEZZNS1_14partition_implILS5_8ELb0ES3_jPlPS6_PKS6_NS0_5tupleIJS9_S6_EEENSD_IJSA_SA_EEENS0_18inequality_wrapperIZN2at6native12_GLOBAL__N_124unique_dim_cuda_templateItEESt5tupleIJNSH_6TensorESM_SM_EERKSM_lbbbEUlllE0_EEPmJS6_EEE10hipError_tPvRmT3_T4_T5_T6_T7_T9_mT8_P12ihipStream_tbDpT10_ENKUlT_T0_E_clISt17integral_constantIbLb0EES1B_IbLb1EEEEDaS17_S18_EUlS17_E_NS1_11comp_targetILNS1_3genE4ELNS1_11target_archE910ELNS1_3gpuE8ELNS1_3repE0EEENS1_30default_config_static_selectorELNS0_4arch9wavefront6targetE0EEEvT1_, .Lfunc_end1445-_ZN7rocprim17ROCPRIM_400000_NS6detail17trampoline_kernelINS0_14default_configENS1_25partition_config_selectorILNS1_17partition_subalgoE8ElNS0_10empty_typeEbEEZZNS1_14partition_implILS5_8ELb0ES3_jPlPS6_PKS6_NS0_5tupleIJS9_S6_EEENSD_IJSA_SA_EEENS0_18inequality_wrapperIZN2at6native12_GLOBAL__N_124unique_dim_cuda_templateItEESt5tupleIJNSH_6TensorESM_SM_EERKSM_lbbbEUlllE0_EEPmJS6_EEE10hipError_tPvRmT3_T4_T5_T6_T7_T9_mT8_P12ihipStream_tbDpT10_ENKUlT_T0_E_clISt17integral_constantIbLb0EES1B_IbLb1EEEEDaS17_S18_EUlS17_E_NS1_11comp_targetILNS1_3genE4ELNS1_11target_archE910ELNS1_3gpuE8ELNS1_3repE0EEENS1_30default_config_static_selectorELNS0_4arch9wavefront6targetE0EEEvT1_
                                        ; -- End function
	.set _ZN7rocprim17ROCPRIM_400000_NS6detail17trampoline_kernelINS0_14default_configENS1_25partition_config_selectorILNS1_17partition_subalgoE8ElNS0_10empty_typeEbEEZZNS1_14partition_implILS5_8ELb0ES3_jPlPS6_PKS6_NS0_5tupleIJS9_S6_EEENSD_IJSA_SA_EEENS0_18inequality_wrapperIZN2at6native12_GLOBAL__N_124unique_dim_cuda_templateItEESt5tupleIJNSH_6TensorESM_SM_EERKSM_lbbbEUlllE0_EEPmJS6_EEE10hipError_tPvRmT3_T4_T5_T6_T7_T9_mT8_P12ihipStream_tbDpT10_ENKUlT_T0_E_clISt17integral_constantIbLb0EES1B_IbLb1EEEEDaS17_S18_EUlS17_E_NS1_11comp_targetILNS1_3genE4ELNS1_11target_archE910ELNS1_3gpuE8ELNS1_3repE0EEENS1_30default_config_static_selectorELNS0_4arch9wavefront6targetE0EEEvT1_.num_vgpr, 0
	.set _ZN7rocprim17ROCPRIM_400000_NS6detail17trampoline_kernelINS0_14default_configENS1_25partition_config_selectorILNS1_17partition_subalgoE8ElNS0_10empty_typeEbEEZZNS1_14partition_implILS5_8ELb0ES3_jPlPS6_PKS6_NS0_5tupleIJS9_S6_EEENSD_IJSA_SA_EEENS0_18inequality_wrapperIZN2at6native12_GLOBAL__N_124unique_dim_cuda_templateItEESt5tupleIJNSH_6TensorESM_SM_EERKSM_lbbbEUlllE0_EEPmJS6_EEE10hipError_tPvRmT3_T4_T5_T6_T7_T9_mT8_P12ihipStream_tbDpT10_ENKUlT_T0_E_clISt17integral_constantIbLb0EES1B_IbLb1EEEEDaS17_S18_EUlS17_E_NS1_11comp_targetILNS1_3genE4ELNS1_11target_archE910ELNS1_3gpuE8ELNS1_3repE0EEENS1_30default_config_static_selectorELNS0_4arch9wavefront6targetE0EEEvT1_.num_agpr, 0
	.set _ZN7rocprim17ROCPRIM_400000_NS6detail17trampoline_kernelINS0_14default_configENS1_25partition_config_selectorILNS1_17partition_subalgoE8ElNS0_10empty_typeEbEEZZNS1_14partition_implILS5_8ELb0ES3_jPlPS6_PKS6_NS0_5tupleIJS9_S6_EEENSD_IJSA_SA_EEENS0_18inequality_wrapperIZN2at6native12_GLOBAL__N_124unique_dim_cuda_templateItEESt5tupleIJNSH_6TensorESM_SM_EERKSM_lbbbEUlllE0_EEPmJS6_EEE10hipError_tPvRmT3_T4_T5_T6_T7_T9_mT8_P12ihipStream_tbDpT10_ENKUlT_T0_E_clISt17integral_constantIbLb0EES1B_IbLb1EEEEDaS17_S18_EUlS17_E_NS1_11comp_targetILNS1_3genE4ELNS1_11target_archE910ELNS1_3gpuE8ELNS1_3repE0EEENS1_30default_config_static_selectorELNS0_4arch9wavefront6targetE0EEEvT1_.numbered_sgpr, 0
	.set _ZN7rocprim17ROCPRIM_400000_NS6detail17trampoline_kernelINS0_14default_configENS1_25partition_config_selectorILNS1_17partition_subalgoE8ElNS0_10empty_typeEbEEZZNS1_14partition_implILS5_8ELb0ES3_jPlPS6_PKS6_NS0_5tupleIJS9_S6_EEENSD_IJSA_SA_EEENS0_18inequality_wrapperIZN2at6native12_GLOBAL__N_124unique_dim_cuda_templateItEESt5tupleIJNSH_6TensorESM_SM_EERKSM_lbbbEUlllE0_EEPmJS6_EEE10hipError_tPvRmT3_T4_T5_T6_T7_T9_mT8_P12ihipStream_tbDpT10_ENKUlT_T0_E_clISt17integral_constantIbLb0EES1B_IbLb1EEEEDaS17_S18_EUlS17_E_NS1_11comp_targetILNS1_3genE4ELNS1_11target_archE910ELNS1_3gpuE8ELNS1_3repE0EEENS1_30default_config_static_selectorELNS0_4arch9wavefront6targetE0EEEvT1_.num_named_barrier, 0
	.set _ZN7rocprim17ROCPRIM_400000_NS6detail17trampoline_kernelINS0_14default_configENS1_25partition_config_selectorILNS1_17partition_subalgoE8ElNS0_10empty_typeEbEEZZNS1_14partition_implILS5_8ELb0ES3_jPlPS6_PKS6_NS0_5tupleIJS9_S6_EEENSD_IJSA_SA_EEENS0_18inequality_wrapperIZN2at6native12_GLOBAL__N_124unique_dim_cuda_templateItEESt5tupleIJNSH_6TensorESM_SM_EERKSM_lbbbEUlllE0_EEPmJS6_EEE10hipError_tPvRmT3_T4_T5_T6_T7_T9_mT8_P12ihipStream_tbDpT10_ENKUlT_T0_E_clISt17integral_constantIbLb0EES1B_IbLb1EEEEDaS17_S18_EUlS17_E_NS1_11comp_targetILNS1_3genE4ELNS1_11target_archE910ELNS1_3gpuE8ELNS1_3repE0EEENS1_30default_config_static_selectorELNS0_4arch9wavefront6targetE0EEEvT1_.private_seg_size, 0
	.set _ZN7rocprim17ROCPRIM_400000_NS6detail17trampoline_kernelINS0_14default_configENS1_25partition_config_selectorILNS1_17partition_subalgoE8ElNS0_10empty_typeEbEEZZNS1_14partition_implILS5_8ELb0ES3_jPlPS6_PKS6_NS0_5tupleIJS9_S6_EEENSD_IJSA_SA_EEENS0_18inequality_wrapperIZN2at6native12_GLOBAL__N_124unique_dim_cuda_templateItEESt5tupleIJNSH_6TensorESM_SM_EERKSM_lbbbEUlllE0_EEPmJS6_EEE10hipError_tPvRmT3_T4_T5_T6_T7_T9_mT8_P12ihipStream_tbDpT10_ENKUlT_T0_E_clISt17integral_constantIbLb0EES1B_IbLb1EEEEDaS17_S18_EUlS17_E_NS1_11comp_targetILNS1_3genE4ELNS1_11target_archE910ELNS1_3gpuE8ELNS1_3repE0EEENS1_30default_config_static_selectorELNS0_4arch9wavefront6targetE0EEEvT1_.uses_vcc, 0
	.set _ZN7rocprim17ROCPRIM_400000_NS6detail17trampoline_kernelINS0_14default_configENS1_25partition_config_selectorILNS1_17partition_subalgoE8ElNS0_10empty_typeEbEEZZNS1_14partition_implILS5_8ELb0ES3_jPlPS6_PKS6_NS0_5tupleIJS9_S6_EEENSD_IJSA_SA_EEENS0_18inequality_wrapperIZN2at6native12_GLOBAL__N_124unique_dim_cuda_templateItEESt5tupleIJNSH_6TensorESM_SM_EERKSM_lbbbEUlllE0_EEPmJS6_EEE10hipError_tPvRmT3_T4_T5_T6_T7_T9_mT8_P12ihipStream_tbDpT10_ENKUlT_T0_E_clISt17integral_constantIbLb0EES1B_IbLb1EEEEDaS17_S18_EUlS17_E_NS1_11comp_targetILNS1_3genE4ELNS1_11target_archE910ELNS1_3gpuE8ELNS1_3repE0EEENS1_30default_config_static_selectorELNS0_4arch9wavefront6targetE0EEEvT1_.uses_flat_scratch, 0
	.set _ZN7rocprim17ROCPRIM_400000_NS6detail17trampoline_kernelINS0_14default_configENS1_25partition_config_selectorILNS1_17partition_subalgoE8ElNS0_10empty_typeEbEEZZNS1_14partition_implILS5_8ELb0ES3_jPlPS6_PKS6_NS0_5tupleIJS9_S6_EEENSD_IJSA_SA_EEENS0_18inequality_wrapperIZN2at6native12_GLOBAL__N_124unique_dim_cuda_templateItEESt5tupleIJNSH_6TensorESM_SM_EERKSM_lbbbEUlllE0_EEPmJS6_EEE10hipError_tPvRmT3_T4_T5_T6_T7_T9_mT8_P12ihipStream_tbDpT10_ENKUlT_T0_E_clISt17integral_constantIbLb0EES1B_IbLb1EEEEDaS17_S18_EUlS17_E_NS1_11comp_targetILNS1_3genE4ELNS1_11target_archE910ELNS1_3gpuE8ELNS1_3repE0EEENS1_30default_config_static_selectorELNS0_4arch9wavefront6targetE0EEEvT1_.has_dyn_sized_stack, 0
	.set _ZN7rocprim17ROCPRIM_400000_NS6detail17trampoline_kernelINS0_14default_configENS1_25partition_config_selectorILNS1_17partition_subalgoE8ElNS0_10empty_typeEbEEZZNS1_14partition_implILS5_8ELb0ES3_jPlPS6_PKS6_NS0_5tupleIJS9_S6_EEENSD_IJSA_SA_EEENS0_18inequality_wrapperIZN2at6native12_GLOBAL__N_124unique_dim_cuda_templateItEESt5tupleIJNSH_6TensorESM_SM_EERKSM_lbbbEUlllE0_EEPmJS6_EEE10hipError_tPvRmT3_T4_T5_T6_T7_T9_mT8_P12ihipStream_tbDpT10_ENKUlT_T0_E_clISt17integral_constantIbLb0EES1B_IbLb1EEEEDaS17_S18_EUlS17_E_NS1_11comp_targetILNS1_3genE4ELNS1_11target_archE910ELNS1_3gpuE8ELNS1_3repE0EEENS1_30default_config_static_selectorELNS0_4arch9wavefront6targetE0EEEvT1_.has_recursion, 0
	.set _ZN7rocprim17ROCPRIM_400000_NS6detail17trampoline_kernelINS0_14default_configENS1_25partition_config_selectorILNS1_17partition_subalgoE8ElNS0_10empty_typeEbEEZZNS1_14partition_implILS5_8ELb0ES3_jPlPS6_PKS6_NS0_5tupleIJS9_S6_EEENSD_IJSA_SA_EEENS0_18inequality_wrapperIZN2at6native12_GLOBAL__N_124unique_dim_cuda_templateItEESt5tupleIJNSH_6TensorESM_SM_EERKSM_lbbbEUlllE0_EEPmJS6_EEE10hipError_tPvRmT3_T4_T5_T6_T7_T9_mT8_P12ihipStream_tbDpT10_ENKUlT_T0_E_clISt17integral_constantIbLb0EES1B_IbLb1EEEEDaS17_S18_EUlS17_E_NS1_11comp_targetILNS1_3genE4ELNS1_11target_archE910ELNS1_3gpuE8ELNS1_3repE0EEENS1_30default_config_static_selectorELNS0_4arch9wavefront6targetE0EEEvT1_.has_indirect_call, 0
	.section	.AMDGPU.csdata,"",@progbits
; Kernel info:
; codeLenInByte = 0
; TotalNumSgprs: 0
; NumVgprs: 0
; ScratchSize: 0
; MemoryBound: 0
; FloatMode: 240
; IeeeMode: 1
; LDSByteSize: 0 bytes/workgroup (compile time only)
; SGPRBlocks: 0
; VGPRBlocks: 0
; NumSGPRsForWavesPerEU: 1
; NumVGPRsForWavesPerEU: 1
; NamedBarCnt: 0
; Occupancy: 16
; WaveLimiterHint : 0
; COMPUTE_PGM_RSRC2:SCRATCH_EN: 0
; COMPUTE_PGM_RSRC2:USER_SGPR: 2
; COMPUTE_PGM_RSRC2:TRAP_HANDLER: 0
; COMPUTE_PGM_RSRC2:TGID_X_EN: 1
; COMPUTE_PGM_RSRC2:TGID_Y_EN: 0
; COMPUTE_PGM_RSRC2:TGID_Z_EN: 0
; COMPUTE_PGM_RSRC2:TIDIG_COMP_CNT: 0
	.section	.text._ZN7rocprim17ROCPRIM_400000_NS6detail17trampoline_kernelINS0_14default_configENS1_25partition_config_selectorILNS1_17partition_subalgoE8ElNS0_10empty_typeEbEEZZNS1_14partition_implILS5_8ELb0ES3_jPlPS6_PKS6_NS0_5tupleIJS9_S6_EEENSD_IJSA_SA_EEENS0_18inequality_wrapperIZN2at6native12_GLOBAL__N_124unique_dim_cuda_templateItEESt5tupleIJNSH_6TensorESM_SM_EERKSM_lbbbEUlllE0_EEPmJS6_EEE10hipError_tPvRmT3_T4_T5_T6_T7_T9_mT8_P12ihipStream_tbDpT10_ENKUlT_T0_E_clISt17integral_constantIbLb0EES1B_IbLb1EEEEDaS17_S18_EUlS17_E_NS1_11comp_targetILNS1_3genE3ELNS1_11target_archE908ELNS1_3gpuE7ELNS1_3repE0EEENS1_30default_config_static_selectorELNS0_4arch9wavefront6targetE0EEEvT1_,"axG",@progbits,_ZN7rocprim17ROCPRIM_400000_NS6detail17trampoline_kernelINS0_14default_configENS1_25partition_config_selectorILNS1_17partition_subalgoE8ElNS0_10empty_typeEbEEZZNS1_14partition_implILS5_8ELb0ES3_jPlPS6_PKS6_NS0_5tupleIJS9_S6_EEENSD_IJSA_SA_EEENS0_18inequality_wrapperIZN2at6native12_GLOBAL__N_124unique_dim_cuda_templateItEESt5tupleIJNSH_6TensorESM_SM_EERKSM_lbbbEUlllE0_EEPmJS6_EEE10hipError_tPvRmT3_T4_T5_T6_T7_T9_mT8_P12ihipStream_tbDpT10_ENKUlT_T0_E_clISt17integral_constantIbLb0EES1B_IbLb1EEEEDaS17_S18_EUlS17_E_NS1_11comp_targetILNS1_3genE3ELNS1_11target_archE908ELNS1_3gpuE7ELNS1_3repE0EEENS1_30default_config_static_selectorELNS0_4arch9wavefront6targetE0EEEvT1_,comdat
	.globl	_ZN7rocprim17ROCPRIM_400000_NS6detail17trampoline_kernelINS0_14default_configENS1_25partition_config_selectorILNS1_17partition_subalgoE8ElNS0_10empty_typeEbEEZZNS1_14partition_implILS5_8ELb0ES3_jPlPS6_PKS6_NS0_5tupleIJS9_S6_EEENSD_IJSA_SA_EEENS0_18inequality_wrapperIZN2at6native12_GLOBAL__N_124unique_dim_cuda_templateItEESt5tupleIJNSH_6TensorESM_SM_EERKSM_lbbbEUlllE0_EEPmJS6_EEE10hipError_tPvRmT3_T4_T5_T6_T7_T9_mT8_P12ihipStream_tbDpT10_ENKUlT_T0_E_clISt17integral_constantIbLb0EES1B_IbLb1EEEEDaS17_S18_EUlS17_E_NS1_11comp_targetILNS1_3genE3ELNS1_11target_archE908ELNS1_3gpuE7ELNS1_3repE0EEENS1_30default_config_static_selectorELNS0_4arch9wavefront6targetE0EEEvT1_ ; -- Begin function _ZN7rocprim17ROCPRIM_400000_NS6detail17trampoline_kernelINS0_14default_configENS1_25partition_config_selectorILNS1_17partition_subalgoE8ElNS0_10empty_typeEbEEZZNS1_14partition_implILS5_8ELb0ES3_jPlPS6_PKS6_NS0_5tupleIJS9_S6_EEENSD_IJSA_SA_EEENS0_18inequality_wrapperIZN2at6native12_GLOBAL__N_124unique_dim_cuda_templateItEESt5tupleIJNSH_6TensorESM_SM_EERKSM_lbbbEUlllE0_EEPmJS6_EEE10hipError_tPvRmT3_T4_T5_T6_T7_T9_mT8_P12ihipStream_tbDpT10_ENKUlT_T0_E_clISt17integral_constantIbLb0EES1B_IbLb1EEEEDaS17_S18_EUlS17_E_NS1_11comp_targetILNS1_3genE3ELNS1_11target_archE908ELNS1_3gpuE7ELNS1_3repE0EEENS1_30default_config_static_selectorELNS0_4arch9wavefront6targetE0EEEvT1_
	.p2align	8
	.type	_ZN7rocprim17ROCPRIM_400000_NS6detail17trampoline_kernelINS0_14default_configENS1_25partition_config_selectorILNS1_17partition_subalgoE8ElNS0_10empty_typeEbEEZZNS1_14partition_implILS5_8ELb0ES3_jPlPS6_PKS6_NS0_5tupleIJS9_S6_EEENSD_IJSA_SA_EEENS0_18inequality_wrapperIZN2at6native12_GLOBAL__N_124unique_dim_cuda_templateItEESt5tupleIJNSH_6TensorESM_SM_EERKSM_lbbbEUlllE0_EEPmJS6_EEE10hipError_tPvRmT3_T4_T5_T6_T7_T9_mT8_P12ihipStream_tbDpT10_ENKUlT_T0_E_clISt17integral_constantIbLb0EES1B_IbLb1EEEEDaS17_S18_EUlS17_E_NS1_11comp_targetILNS1_3genE3ELNS1_11target_archE908ELNS1_3gpuE7ELNS1_3repE0EEENS1_30default_config_static_selectorELNS0_4arch9wavefront6targetE0EEEvT1_,@function
_ZN7rocprim17ROCPRIM_400000_NS6detail17trampoline_kernelINS0_14default_configENS1_25partition_config_selectorILNS1_17partition_subalgoE8ElNS0_10empty_typeEbEEZZNS1_14partition_implILS5_8ELb0ES3_jPlPS6_PKS6_NS0_5tupleIJS9_S6_EEENSD_IJSA_SA_EEENS0_18inequality_wrapperIZN2at6native12_GLOBAL__N_124unique_dim_cuda_templateItEESt5tupleIJNSH_6TensorESM_SM_EERKSM_lbbbEUlllE0_EEPmJS6_EEE10hipError_tPvRmT3_T4_T5_T6_T7_T9_mT8_P12ihipStream_tbDpT10_ENKUlT_T0_E_clISt17integral_constantIbLb0EES1B_IbLb1EEEEDaS17_S18_EUlS17_E_NS1_11comp_targetILNS1_3genE3ELNS1_11target_archE908ELNS1_3gpuE7ELNS1_3repE0EEENS1_30default_config_static_selectorELNS0_4arch9wavefront6targetE0EEEvT1_: ; @_ZN7rocprim17ROCPRIM_400000_NS6detail17trampoline_kernelINS0_14default_configENS1_25partition_config_selectorILNS1_17partition_subalgoE8ElNS0_10empty_typeEbEEZZNS1_14partition_implILS5_8ELb0ES3_jPlPS6_PKS6_NS0_5tupleIJS9_S6_EEENSD_IJSA_SA_EEENS0_18inequality_wrapperIZN2at6native12_GLOBAL__N_124unique_dim_cuda_templateItEESt5tupleIJNSH_6TensorESM_SM_EERKSM_lbbbEUlllE0_EEPmJS6_EEE10hipError_tPvRmT3_T4_T5_T6_T7_T9_mT8_P12ihipStream_tbDpT10_ENKUlT_T0_E_clISt17integral_constantIbLb0EES1B_IbLb1EEEEDaS17_S18_EUlS17_E_NS1_11comp_targetILNS1_3genE3ELNS1_11target_archE908ELNS1_3gpuE7ELNS1_3repE0EEENS1_30default_config_static_selectorELNS0_4arch9wavefront6targetE0EEEvT1_
; %bb.0:
	.section	.rodata,"a",@progbits
	.p2align	6, 0x0
	.amdhsa_kernel _ZN7rocprim17ROCPRIM_400000_NS6detail17trampoline_kernelINS0_14default_configENS1_25partition_config_selectorILNS1_17partition_subalgoE8ElNS0_10empty_typeEbEEZZNS1_14partition_implILS5_8ELb0ES3_jPlPS6_PKS6_NS0_5tupleIJS9_S6_EEENSD_IJSA_SA_EEENS0_18inequality_wrapperIZN2at6native12_GLOBAL__N_124unique_dim_cuda_templateItEESt5tupleIJNSH_6TensorESM_SM_EERKSM_lbbbEUlllE0_EEPmJS6_EEE10hipError_tPvRmT3_T4_T5_T6_T7_T9_mT8_P12ihipStream_tbDpT10_ENKUlT_T0_E_clISt17integral_constantIbLb0EES1B_IbLb1EEEEDaS17_S18_EUlS17_E_NS1_11comp_targetILNS1_3genE3ELNS1_11target_archE908ELNS1_3gpuE7ELNS1_3repE0EEENS1_30default_config_static_selectorELNS0_4arch9wavefront6targetE0EEEvT1_
		.amdhsa_group_segment_fixed_size 0
		.amdhsa_private_segment_fixed_size 0
		.amdhsa_kernarg_size 136
		.amdhsa_user_sgpr_count 2
		.amdhsa_user_sgpr_dispatch_ptr 0
		.amdhsa_user_sgpr_queue_ptr 0
		.amdhsa_user_sgpr_kernarg_segment_ptr 1
		.amdhsa_user_sgpr_dispatch_id 0
		.amdhsa_user_sgpr_kernarg_preload_length 0
		.amdhsa_user_sgpr_kernarg_preload_offset 0
		.amdhsa_user_sgpr_private_segment_size 0
		.amdhsa_wavefront_size32 1
		.amdhsa_uses_dynamic_stack 0
		.amdhsa_enable_private_segment 0
		.amdhsa_system_sgpr_workgroup_id_x 1
		.amdhsa_system_sgpr_workgroup_id_y 0
		.amdhsa_system_sgpr_workgroup_id_z 0
		.amdhsa_system_sgpr_workgroup_info 0
		.amdhsa_system_vgpr_workitem_id 0
		.amdhsa_next_free_vgpr 1
		.amdhsa_next_free_sgpr 1
		.amdhsa_named_barrier_count 0
		.amdhsa_reserve_vcc 0
		.amdhsa_float_round_mode_32 0
		.amdhsa_float_round_mode_16_64 0
		.amdhsa_float_denorm_mode_32 3
		.amdhsa_float_denorm_mode_16_64 3
		.amdhsa_fp16_overflow 0
		.amdhsa_memory_ordered 1
		.amdhsa_forward_progress 1
		.amdhsa_inst_pref_size 0
		.amdhsa_round_robin_scheduling 0
		.amdhsa_exception_fp_ieee_invalid_op 0
		.amdhsa_exception_fp_denorm_src 0
		.amdhsa_exception_fp_ieee_div_zero 0
		.amdhsa_exception_fp_ieee_overflow 0
		.amdhsa_exception_fp_ieee_underflow 0
		.amdhsa_exception_fp_ieee_inexact 0
		.amdhsa_exception_int_div_zero 0
	.end_amdhsa_kernel
	.section	.text._ZN7rocprim17ROCPRIM_400000_NS6detail17trampoline_kernelINS0_14default_configENS1_25partition_config_selectorILNS1_17partition_subalgoE8ElNS0_10empty_typeEbEEZZNS1_14partition_implILS5_8ELb0ES3_jPlPS6_PKS6_NS0_5tupleIJS9_S6_EEENSD_IJSA_SA_EEENS0_18inequality_wrapperIZN2at6native12_GLOBAL__N_124unique_dim_cuda_templateItEESt5tupleIJNSH_6TensorESM_SM_EERKSM_lbbbEUlllE0_EEPmJS6_EEE10hipError_tPvRmT3_T4_T5_T6_T7_T9_mT8_P12ihipStream_tbDpT10_ENKUlT_T0_E_clISt17integral_constantIbLb0EES1B_IbLb1EEEEDaS17_S18_EUlS17_E_NS1_11comp_targetILNS1_3genE3ELNS1_11target_archE908ELNS1_3gpuE7ELNS1_3repE0EEENS1_30default_config_static_selectorELNS0_4arch9wavefront6targetE0EEEvT1_,"axG",@progbits,_ZN7rocprim17ROCPRIM_400000_NS6detail17trampoline_kernelINS0_14default_configENS1_25partition_config_selectorILNS1_17partition_subalgoE8ElNS0_10empty_typeEbEEZZNS1_14partition_implILS5_8ELb0ES3_jPlPS6_PKS6_NS0_5tupleIJS9_S6_EEENSD_IJSA_SA_EEENS0_18inequality_wrapperIZN2at6native12_GLOBAL__N_124unique_dim_cuda_templateItEESt5tupleIJNSH_6TensorESM_SM_EERKSM_lbbbEUlllE0_EEPmJS6_EEE10hipError_tPvRmT3_T4_T5_T6_T7_T9_mT8_P12ihipStream_tbDpT10_ENKUlT_T0_E_clISt17integral_constantIbLb0EES1B_IbLb1EEEEDaS17_S18_EUlS17_E_NS1_11comp_targetILNS1_3genE3ELNS1_11target_archE908ELNS1_3gpuE7ELNS1_3repE0EEENS1_30default_config_static_selectorELNS0_4arch9wavefront6targetE0EEEvT1_,comdat
.Lfunc_end1446:
	.size	_ZN7rocprim17ROCPRIM_400000_NS6detail17trampoline_kernelINS0_14default_configENS1_25partition_config_selectorILNS1_17partition_subalgoE8ElNS0_10empty_typeEbEEZZNS1_14partition_implILS5_8ELb0ES3_jPlPS6_PKS6_NS0_5tupleIJS9_S6_EEENSD_IJSA_SA_EEENS0_18inequality_wrapperIZN2at6native12_GLOBAL__N_124unique_dim_cuda_templateItEESt5tupleIJNSH_6TensorESM_SM_EERKSM_lbbbEUlllE0_EEPmJS6_EEE10hipError_tPvRmT3_T4_T5_T6_T7_T9_mT8_P12ihipStream_tbDpT10_ENKUlT_T0_E_clISt17integral_constantIbLb0EES1B_IbLb1EEEEDaS17_S18_EUlS17_E_NS1_11comp_targetILNS1_3genE3ELNS1_11target_archE908ELNS1_3gpuE7ELNS1_3repE0EEENS1_30default_config_static_selectorELNS0_4arch9wavefront6targetE0EEEvT1_, .Lfunc_end1446-_ZN7rocprim17ROCPRIM_400000_NS6detail17trampoline_kernelINS0_14default_configENS1_25partition_config_selectorILNS1_17partition_subalgoE8ElNS0_10empty_typeEbEEZZNS1_14partition_implILS5_8ELb0ES3_jPlPS6_PKS6_NS0_5tupleIJS9_S6_EEENSD_IJSA_SA_EEENS0_18inequality_wrapperIZN2at6native12_GLOBAL__N_124unique_dim_cuda_templateItEESt5tupleIJNSH_6TensorESM_SM_EERKSM_lbbbEUlllE0_EEPmJS6_EEE10hipError_tPvRmT3_T4_T5_T6_T7_T9_mT8_P12ihipStream_tbDpT10_ENKUlT_T0_E_clISt17integral_constantIbLb0EES1B_IbLb1EEEEDaS17_S18_EUlS17_E_NS1_11comp_targetILNS1_3genE3ELNS1_11target_archE908ELNS1_3gpuE7ELNS1_3repE0EEENS1_30default_config_static_selectorELNS0_4arch9wavefront6targetE0EEEvT1_
                                        ; -- End function
	.set _ZN7rocprim17ROCPRIM_400000_NS6detail17trampoline_kernelINS0_14default_configENS1_25partition_config_selectorILNS1_17partition_subalgoE8ElNS0_10empty_typeEbEEZZNS1_14partition_implILS5_8ELb0ES3_jPlPS6_PKS6_NS0_5tupleIJS9_S6_EEENSD_IJSA_SA_EEENS0_18inequality_wrapperIZN2at6native12_GLOBAL__N_124unique_dim_cuda_templateItEESt5tupleIJNSH_6TensorESM_SM_EERKSM_lbbbEUlllE0_EEPmJS6_EEE10hipError_tPvRmT3_T4_T5_T6_T7_T9_mT8_P12ihipStream_tbDpT10_ENKUlT_T0_E_clISt17integral_constantIbLb0EES1B_IbLb1EEEEDaS17_S18_EUlS17_E_NS1_11comp_targetILNS1_3genE3ELNS1_11target_archE908ELNS1_3gpuE7ELNS1_3repE0EEENS1_30default_config_static_selectorELNS0_4arch9wavefront6targetE0EEEvT1_.num_vgpr, 0
	.set _ZN7rocprim17ROCPRIM_400000_NS6detail17trampoline_kernelINS0_14default_configENS1_25partition_config_selectorILNS1_17partition_subalgoE8ElNS0_10empty_typeEbEEZZNS1_14partition_implILS5_8ELb0ES3_jPlPS6_PKS6_NS0_5tupleIJS9_S6_EEENSD_IJSA_SA_EEENS0_18inequality_wrapperIZN2at6native12_GLOBAL__N_124unique_dim_cuda_templateItEESt5tupleIJNSH_6TensorESM_SM_EERKSM_lbbbEUlllE0_EEPmJS6_EEE10hipError_tPvRmT3_T4_T5_T6_T7_T9_mT8_P12ihipStream_tbDpT10_ENKUlT_T0_E_clISt17integral_constantIbLb0EES1B_IbLb1EEEEDaS17_S18_EUlS17_E_NS1_11comp_targetILNS1_3genE3ELNS1_11target_archE908ELNS1_3gpuE7ELNS1_3repE0EEENS1_30default_config_static_selectorELNS0_4arch9wavefront6targetE0EEEvT1_.num_agpr, 0
	.set _ZN7rocprim17ROCPRIM_400000_NS6detail17trampoline_kernelINS0_14default_configENS1_25partition_config_selectorILNS1_17partition_subalgoE8ElNS0_10empty_typeEbEEZZNS1_14partition_implILS5_8ELb0ES3_jPlPS6_PKS6_NS0_5tupleIJS9_S6_EEENSD_IJSA_SA_EEENS0_18inequality_wrapperIZN2at6native12_GLOBAL__N_124unique_dim_cuda_templateItEESt5tupleIJNSH_6TensorESM_SM_EERKSM_lbbbEUlllE0_EEPmJS6_EEE10hipError_tPvRmT3_T4_T5_T6_T7_T9_mT8_P12ihipStream_tbDpT10_ENKUlT_T0_E_clISt17integral_constantIbLb0EES1B_IbLb1EEEEDaS17_S18_EUlS17_E_NS1_11comp_targetILNS1_3genE3ELNS1_11target_archE908ELNS1_3gpuE7ELNS1_3repE0EEENS1_30default_config_static_selectorELNS0_4arch9wavefront6targetE0EEEvT1_.numbered_sgpr, 0
	.set _ZN7rocprim17ROCPRIM_400000_NS6detail17trampoline_kernelINS0_14default_configENS1_25partition_config_selectorILNS1_17partition_subalgoE8ElNS0_10empty_typeEbEEZZNS1_14partition_implILS5_8ELb0ES3_jPlPS6_PKS6_NS0_5tupleIJS9_S6_EEENSD_IJSA_SA_EEENS0_18inequality_wrapperIZN2at6native12_GLOBAL__N_124unique_dim_cuda_templateItEESt5tupleIJNSH_6TensorESM_SM_EERKSM_lbbbEUlllE0_EEPmJS6_EEE10hipError_tPvRmT3_T4_T5_T6_T7_T9_mT8_P12ihipStream_tbDpT10_ENKUlT_T0_E_clISt17integral_constantIbLb0EES1B_IbLb1EEEEDaS17_S18_EUlS17_E_NS1_11comp_targetILNS1_3genE3ELNS1_11target_archE908ELNS1_3gpuE7ELNS1_3repE0EEENS1_30default_config_static_selectorELNS0_4arch9wavefront6targetE0EEEvT1_.num_named_barrier, 0
	.set _ZN7rocprim17ROCPRIM_400000_NS6detail17trampoline_kernelINS0_14default_configENS1_25partition_config_selectorILNS1_17partition_subalgoE8ElNS0_10empty_typeEbEEZZNS1_14partition_implILS5_8ELb0ES3_jPlPS6_PKS6_NS0_5tupleIJS9_S6_EEENSD_IJSA_SA_EEENS0_18inequality_wrapperIZN2at6native12_GLOBAL__N_124unique_dim_cuda_templateItEESt5tupleIJNSH_6TensorESM_SM_EERKSM_lbbbEUlllE0_EEPmJS6_EEE10hipError_tPvRmT3_T4_T5_T6_T7_T9_mT8_P12ihipStream_tbDpT10_ENKUlT_T0_E_clISt17integral_constantIbLb0EES1B_IbLb1EEEEDaS17_S18_EUlS17_E_NS1_11comp_targetILNS1_3genE3ELNS1_11target_archE908ELNS1_3gpuE7ELNS1_3repE0EEENS1_30default_config_static_selectorELNS0_4arch9wavefront6targetE0EEEvT1_.private_seg_size, 0
	.set _ZN7rocprim17ROCPRIM_400000_NS6detail17trampoline_kernelINS0_14default_configENS1_25partition_config_selectorILNS1_17partition_subalgoE8ElNS0_10empty_typeEbEEZZNS1_14partition_implILS5_8ELb0ES3_jPlPS6_PKS6_NS0_5tupleIJS9_S6_EEENSD_IJSA_SA_EEENS0_18inequality_wrapperIZN2at6native12_GLOBAL__N_124unique_dim_cuda_templateItEESt5tupleIJNSH_6TensorESM_SM_EERKSM_lbbbEUlllE0_EEPmJS6_EEE10hipError_tPvRmT3_T4_T5_T6_T7_T9_mT8_P12ihipStream_tbDpT10_ENKUlT_T0_E_clISt17integral_constantIbLb0EES1B_IbLb1EEEEDaS17_S18_EUlS17_E_NS1_11comp_targetILNS1_3genE3ELNS1_11target_archE908ELNS1_3gpuE7ELNS1_3repE0EEENS1_30default_config_static_selectorELNS0_4arch9wavefront6targetE0EEEvT1_.uses_vcc, 0
	.set _ZN7rocprim17ROCPRIM_400000_NS6detail17trampoline_kernelINS0_14default_configENS1_25partition_config_selectorILNS1_17partition_subalgoE8ElNS0_10empty_typeEbEEZZNS1_14partition_implILS5_8ELb0ES3_jPlPS6_PKS6_NS0_5tupleIJS9_S6_EEENSD_IJSA_SA_EEENS0_18inequality_wrapperIZN2at6native12_GLOBAL__N_124unique_dim_cuda_templateItEESt5tupleIJNSH_6TensorESM_SM_EERKSM_lbbbEUlllE0_EEPmJS6_EEE10hipError_tPvRmT3_T4_T5_T6_T7_T9_mT8_P12ihipStream_tbDpT10_ENKUlT_T0_E_clISt17integral_constantIbLb0EES1B_IbLb1EEEEDaS17_S18_EUlS17_E_NS1_11comp_targetILNS1_3genE3ELNS1_11target_archE908ELNS1_3gpuE7ELNS1_3repE0EEENS1_30default_config_static_selectorELNS0_4arch9wavefront6targetE0EEEvT1_.uses_flat_scratch, 0
	.set _ZN7rocprim17ROCPRIM_400000_NS6detail17trampoline_kernelINS0_14default_configENS1_25partition_config_selectorILNS1_17partition_subalgoE8ElNS0_10empty_typeEbEEZZNS1_14partition_implILS5_8ELb0ES3_jPlPS6_PKS6_NS0_5tupleIJS9_S6_EEENSD_IJSA_SA_EEENS0_18inequality_wrapperIZN2at6native12_GLOBAL__N_124unique_dim_cuda_templateItEESt5tupleIJNSH_6TensorESM_SM_EERKSM_lbbbEUlllE0_EEPmJS6_EEE10hipError_tPvRmT3_T4_T5_T6_T7_T9_mT8_P12ihipStream_tbDpT10_ENKUlT_T0_E_clISt17integral_constantIbLb0EES1B_IbLb1EEEEDaS17_S18_EUlS17_E_NS1_11comp_targetILNS1_3genE3ELNS1_11target_archE908ELNS1_3gpuE7ELNS1_3repE0EEENS1_30default_config_static_selectorELNS0_4arch9wavefront6targetE0EEEvT1_.has_dyn_sized_stack, 0
	.set _ZN7rocprim17ROCPRIM_400000_NS6detail17trampoline_kernelINS0_14default_configENS1_25partition_config_selectorILNS1_17partition_subalgoE8ElNS0_10empty_typeEbEEZZNS1_14partition_implILS5_8ELb0ES3_jPlPS6_PKS6_NS0_5tupleIJS9_S6_EEENSD_IJSA_SA_EEENS0_18inequality_wrapperIZN2at6native12_GLOBAL__N_124unique_dim_cuda_templateItEESt5tupleIJNSH_6TensorESM_SM_EERKSM_lbbbEUlllE0_EEPmJS6_EEE10hipError_tPvRmT3_T4_T5_T6_T7_T9_mT8_P12ihipStream_tbDpT10_ENKUlT_T0_E_clISt17integral_constantIbLb0EES1B_IbLb1EEEEDaS17_S18_EUlS17_E_NS1_11comp_targetILNS1_3genE3ELNS1_11target_archE908ELNS1_3gpuE7ELNS1_3repE0EEENS1_30default_config_static_selectorELNS0_4arch9wavefront6targetE0EEEvT1_.has_recursion, 0
	.set _ZN7rocprim17ROCPRIM_400000_NS6detail17trampoline_kernelINS0_14default_configENS1_25partition_config_selectorILNS1_17partition_subalgoE8ElNS0_10empty_typeEbEEZZNS1_14partition_implILS5_8ELb0ES3_jPlPS6_PKS6_NS0_5tupleIJS9_S6_EEENSD_IJSA_SA_EEENS0_18inequality_wrapperIZN2at6native12_GLOBAL__N_124unique_dim_cuda_templateItEESt5tupleIJNSH_6TensorESM_SM_EERKSM_lbbbEUlllE0_EEPmJS6_EEE10hipError_tPvRmT3_T4_T5_T6_T7_T9_mT8_P12ihipStream_tbDpT10_ENKUlT_T0_E_clISt17integral_constantIbLb0EES1B_IbLb1EEEEDaS17_S18_EUlS17_E_NS1_11comp_targetILNS1_3genE3ELNS1_11target_archE908ELNS1_3gpuE7ELNS1_3repE0EEENS1_30default_config_static_selectorELNS0_4arch9wavefront6targetE0EEEvT1_.has_indirect_call, 0
	.section	.AMDGPU.csdata,"",@progbits
; Kernel info:
; codeLenInByte = 0
; TotalNumSgprs: 0
; NumVgprs: 0
; ScratchSize: 0
; MemoryBound: 0
; FloatMode: 240
; IeeeMode: 1
; LDSByteSize: 0 bytes/workgroup (compile time only)
; SGPRBlocks: 0
; VGPRBlocks: 0
; NumSGPRsForWavesPerEU: 1
; NumVGPRsForWavesPerEU: 1
; NamedBarCnt: 0
; Occupancy: 16
; WaveLimiterHint : 0
; COMPUTE_PGM_RSRC2:SCRATCH_EN: 0
; COMPUTE_PGM_RSRC2:USER_SGPR: 2
; COMPUTE_PGM_RSRC2:TRAP_HANDLER: 0
; COMPUTE_PGM_RSRC2:TGID_X_EN: 1
; COMPUTE_PGM_RSRC2:TGID_Y_EN: 0
; COMPUTE_PGM_RSRC2:TGID_Z_EN: 0
; COMPUTE_PGM_RSRC2:TIDIG_COMP_CNT: 0
	.section	.text._ZN7rocprim17ROCPRIM_400000_NS6detail17trampoline_kernelINS0_14default_configENS1_25partition_config_selectorILNS1_17partition_subalgoE8ElNS0_10empty_typeEbEEZZNS1_14partition_implILS5_8ELb0ES3_jPlPS6_PKS6_NS0_5tupleIJS9_S6_EEENSD_IJSA_SA_EEENS0_18inequality_wrapperIZN2at6native12_GLOBAL__N_124unique_dim_cuda_templateItEESt5tupleIJNSH_6TensorESM_SM_EERKSM_lbbbEUlllE0_EEPmJS6_EEE10hipError_tPvRmT3_T4_T5_T6_T7_T9_mT8_P12ihipStream_tbDpT10_ENKUlT_T0_E_clISt17integral_constantIbLb0EES1B_IbLb1EEEEDaS17_S18_EUlS17_E_NS1_11comp_targetILNS1_3genE2ELNS1_11target_archE906ELNS1_3gpuE6ELNS1_3repE0EEENS1_30default_config_static_selectorELNS0_4arch9wavefront6targetE0EEEvT1_,"axG",@progbits,_ZN7rocprim17ROCPRIM_400000_NS6detail17trampoline_kernelINS0_14default_configENS1_25partition_config_selectorILNS1_17partition_subalgoE8ElNS0_10empty_typeEbEEZZNS1_14partition_implILS5_8ELb0ES3_jPlPS6_PKS6_NS0_5tupleIJS9_S6_EEENSD_IJSA_SA_EEENS0_18inequality_wrapperIZN2at6native12_GLOBAL__N_124unique_dim_cuda_templateItEESt5tupleIJNSH_6TensorESM_SM_EERKSM_lbbbEUlllE0_EEPmJS6_EEE10hipError_tPvRmT3_T4_T5_T6_T7_T9_mT8_P12ihipStream_tbDpT10_ENKUlT_T0_E_clISt17integral_constantIbLb0EES1B_IbLb1EEEEDaS17_S18_EUlS17_E_NS1_11comp_targetILNS1_3genE2ELNS1_11target_archE906ELNS1_3gpuE6ELNS1_3repE0EEENS1_30default_config_static_selectorELNS0_4arch9wavefront6targetE0EEEvT1_,comdat
	.globl	_ZN7rocprim17ROCPRIM_400000_NS6detail17trampoline_kernelINS0_14default_configENS1_25partition_config_selectorILNS1_17partition_subalgoE8ElNS0_10empty_typeEbEEZZNS1_14partition_implILS5_8ELb0ES3_jPlPS6_PKS6_NS0_5tupleIJS9_S6_EEENSD_IJSA_SA_EEENS0_18inequality_wrapperIZN2at6native12_GLOBAL__N_124unique_dim_cuda_templateItEESt5tupleIJNSH_6TensorESM_SM_EERKSM_lbbbEUlllE0_EEPmJS6_EEE10hipError_tPvRmT3_T4_T5_T6_T7_T9_mT8_P12ihipStream_tbDpT10_ENKUlT_T0_E_clISt17integral_constantIbLb0EES1B_IbLb1EEEEDaS17_S18_EUlS17_E_NS1_11comp_targetILNS1_3genE2ELNS1_11target_archE906ELNS1_3gpuE6ELNS1_3repE0EEENS1_30default_config_static_selectorELNS0_4arch9wavefront6targetE0EEEvT1_ ; -- Begin function _ZN7rocprim17ROCPRIM_400000_NS6detail17trampoline_kernelINS0_14default_configENS1_25partition_config_selectorILNS1_17partition_subalgoE8ElNS0_10empty_typeEbEEZZNS1_14partition_implILS5_8ELb0ES3_jPlPS6_PKS6_NS0_5tupleIJS9_S6_EEENSD_IJSA_SA_EEENS0_18inequality_wrapperIZN2at6native12_GLOBAL__N_124unique_dim_cuda_templateItEESt5tupleIJNSH_6TensorESM_SM_EERKSM_lbbbEUlllE0_EEPmJS6_EEE10hipError_tPvRmT3_T4_T5_T6_T7_T9_mT8_P12ihipStream_tbDpT10_ENKUlT_T0_E_clISt17integral_constantIbLb0EES1B_IbLb1EEEEDaS17_S18_EUlS17_E_NS1_11comp_targetILNS1_3genE2ELNS1_11target_archE906ELNS1_3gpuE6ELNS1_3repE0EEENS1_30default_config_static_selectorELNS0_4arch9wavefront6targetE0EEEvT1_
	.p2align	8
	.type	_ZN7rocprim17ROCPRIM_400000_NS6detail17trampoline_kernelINS0_14default_configENS1_25partition_config_selectorILNS1_17partition_subalgoE8ElNS0_10empty_typeEbEEZZNS1_14partition_implILS5_8ELb0ES3_jPlPS6_PKS6_NS0_5tupleIJS9_S6_EEENSD_IJSA_SA_EEENS0_18inequality_wrapperIZN2at6native12_GLOBAL__N_124unique_dim_cuda_templateItEESt5tupleIJNSH_6TensorESM_SM_EERKSM_lbbbEUlllE0_EEPmJS6_EEE10hipError_tPvRmT3_T4_T5_T6_T7_T9_mT8_P12ihipStream_tbDpT10_ENKUlT_T0_E_clISt17integral_constantIbLb0EES1B_IbLb1EEEEDaS17_S18_EUlS17_E_NS1_11comp_targetILNS1_3genE2ELNS1_11target_archE906ELNS1_3gpuE6ELNS1_3repE0EEENS1_30default_config_static_selectorELNS0_4arch9wavefront6targetE0EEEvT1_,@function
_ZN7rocprim17ROCPRIM_400000_NS6detail17trampoline_kernelINS0_14default_configENS1_25partition_config_selectorILNS1_17partition_subalgoE8ElNS0_10empty_typeEbEEZZNS1_14partition_implILS5_8ELb0ES3_jPlPS6_PKS6_NS0_5tupleIJS9_S6_EEENSD_IJSA_SA_EEENS0_18inequality_wrapperIZN2at6native12_GLOBAL__N_124unique_dim_cuda_templateItEESt5tupleIJNSH_6TensorESM_SM_EERKSM_lbbbEUlllE0_EEPmJS6_EEE10hipError_tPvRmT3_T4_T5_T6_T7_T9_mT8_P12ihipStream_tbDpT10_ENKUlT_T0_E_clISt17integral_constantIbLb0EES1B_IbLb1EEEEDaS17_S18_EUlS17_E_NS1_11comp_targetILNS1_3genE2ELNS1_11target_archE906ELNS1_3gpuE6ELNS1_3repE0EEENS1_30default_config_static_selectorELNS0_4arch9wavefront6targetE0EEEvT1_: ; @_ZN7rocprim17ROCPRIM_400000_NS6detail17trampoline_kernelINS0_14default_configENS1_25partition_config_selectorILNS1_17partition_subalgoE8ElNS0_10empty_typeEbEEZZNS1_14partition_implILS5_8ELb0ES3_jPlPS6_PKS6_NS0_5tupleIJS9_S6_EEENSD_IJSA_SA_EEENS0_18inequality_wrapperIZN2at6native12_GLOBAL__N_124unique_dim_cuda_templateItEESt5tupleIJNSH_6TensorESM_SM_EERKSM_lbbbEUlllE0_EEPmJS6_EEE10hipError_tPvRmT3_T4_T5_T6_T7_T9_mT8_P12ihipStream_tbDpT10_ENKUlT_T0_E_clISt17integral_constantIbLb0EES1B_IbLb1EEEEDaS17_S18_EUlS17_E_NS1_11comp_targetILNS1_3genE2ELNS1_11target_archE906ELNS1_3gpuE6ELNS1_3repE0EEENS1_30default_config_static_selectorELNS0_4arch9wavefront6targetE0EEEvT1_
; %bb.0:
	.section	.rodata,"a",@progbits
	.p2align	6, 0x0
	.amdhsa_kernel _ZN7rocprim17ROCPRIM_400000_NS6detail17trampoline_kernelINS0_14default_configENS1_25partition_config_selectorILNS1_17partition_subalgoE8ElNS0_10empty_typeEbEEZZNS1_14partition_implILS5_8ELb0ES3_jPlPS6_PKS6_NS0_5tupleIJS9_S6_EEENSD_IJSA_SA_EEENS0_18inequality_wrapperIZN2at6native12_GLOBAL__N_124unique_dim_cuda_templateItEESt5tupleIJNSH_6TensorESM_SM_EERKSM_lbbbEUlllE0_EEPmJS6_EEE10hipError_tPvRmT3_T4_T5_T6_T7_T9_mT8_P12ihipStream_tbDpT10_ENKUlT_T0_E_clISt17integral_constantIbLb0EES1B_IbLb1EEEEDaS17_S18_EUlS17_E_NS1_11comp_targetILNS1_3genE2ELNS1_11target_archE906ELNS1_3gpuE6ELNS1_3repE0EEENS1_30default_config_static_selectorELNS0_4arch9wavefront6targetE0EEEvT1_
		.amdhsa_group_segment_fixed_size 0
		.amdhsa_private_segment_fixed_size 0
		.amdhsa_kernarg_size 136
		.amdhsa_user_sgpr_count 2
		.amdhsa_user_sgpr_dispatch_ptr 0
		.amdhsa_user_sgpr_queue_ptr 0
		.amdhsa_user_sgpr_kernarg_segment_ptr 1
		.amdhsa_user_sgpr_dispatch_id 0
		.amdhsa_user_sgpr_kernarg_preload_length 0
		.amdhsa_user_sgpr_kernarg_preload_offset 0
		.amdhsa_user_sgpr_private_segment_size 0
		.amdhsa_wavefront_size32 1
		.amdhsa_uses_dynamic_stack 0
		.amdhsa_enable_private_segment 0
		.amdhsa_system_sgpr_workgroup_id_x 1
		.amdhsa_system_sgpr_workgroup_id_y 0
		.amdhsa_system_sgpr_workgroup_id_z 0
		.amdhsa_system_sgpr_workgroup_info 0
		.amdhsa_system_vgpr_workitem_id 0
		.amdhsa_next_free_vgpr 1
		.amdhsa_next_free_sgpr 1
		.amdhsa_named_barrier_count 0
		.amdhsa_reserve_vcc 0
		.amdhsa_float_round_mode_32 0
		.amdhsa_float_round_mode_16_64 0
		.amdhsa_float_denorm_mode_32 3
		.amdhsa_float_denorm_mode_16_64 3
		.amdhsa_fp16_overflow 0
		.amdhsa_memory_ordered 1
		.amdhsa_forward_progress 1
		.amdhsa_inst_pref_size 0
		.amdhsa_round_robin_scheduling 0
		.amdhsa_exception_fp_ieee_invalid_op 0
		.amdhsa_exception_fp_denorm_src 0
		.amdhsa_exception_fp_ieee_div_zero 0
		.amdhsa_exception_fp_ieee_overflow 0
		.amdhsa_exception_fp_ieee_underflow 0
		.amdhsa_exception_fp_ieee_inexact 0
		.amdhsa_exception_int_div_zero 0
	.end_amdhsa_kernel
	.section	.text._ZN7rocprim17ROCPRIM_400000_NS6detail17trampoline_kernelINS0_14default_configENS1_25partition_config_selectorILNS1_17partition_subalgoE8ElNS0_10empty_typeEbEEZZNS1_14partition_implILS5_8ELb0ES3_jPlPS6_PKS6_NS0_5tupleIJS9_S6_EEENSD_IJSA_SA_EEENS0_18inequality_wrapperIZN2at6native12_GLOBAL__N_124unique_dim_cuda_templateItEESt5tupleIJNSH_6TensorESM_SM_EERKSM_lbbbEUlllE0_EEPmJS6_EEE10hipError_tPvRmT3_T4_T5_T6_T7_T9_mT8_P12ihipStream_tbDpT10_ENKUlT_T0_E_clISt17integral_constantIbLb0EES1B_IbLb1EEEEDaS17_S18_EUlS17_E_NS1_11comp_targetILNS1_3genE2ELNS1_11target_archE906ELNS1_3gpuE6ELNS1_3repE0EEENS1_30default_config_static_selectorELNS0_4arch9wavefront6targetE0EEEvT1_,"axG",@progbits,_ZN7rocprim17ROCPRIM_400000_NS6detail17trampoline_kernelINS0_14default_configENS1_25partition_config_selectorILNS1_17partition_subalgoE8ElNS0_10empty_typeEbEEZZNS1_14partition_implILS5_8ELb0ES3_jPlPS6_PKS6_NS0_5tupleIJS9_S6_EEENSD_IJSA_SA_EEENS0_18inequality_wrapperIZN2at6native12_GLOBAL__N_124unique_dim_cuda_templateItEESt5tupleIJNSH_6TensorESM_SM_EERKSM_lbbbEUlllE0_EEPmJS6_EEE10hipError_tPvRmT3_T4_T5_T6_T7_T9_mT8_P12ihipStream_tbDpT10_ENKUlT_T0_E_clISt17integral_constantIbLb0EES1B_IbLb1EEEEDaS17_S18_EUlS17_E_NS1_11comp_targetILNS1_3genE2ELNS1_11target_archE906ELNS1_3gpuE6ELNS1_3repE0EEENS1_30default_config_static_selectorELNS0_4arch9wavefront6targetE0EEEvT1_,comdat
.Lfunc_end1447:
	.size	_ZN7rocprim17ROCPRIM_400000_NS6detail17trampoline_kernelINS0_14default_configENS1_25partition_config_selectorILNS1_17partition_subalgoE8ElNS0_10empty_typeEbEEZZNS1_14partition_implILS5_8ELb0ES3_jPlPS6_PKS6_NS0_5tupleIJS9_S6_EEENSD_IJSA_SA_EEENS0_18inequality_wrapperIZN2at6native12_GLOBAL__N_124unique_dim_cuda_templateItEESt5tupleIJNSH_6TensorESM_SM_EERKSM_lbbbEUlllE0_EEPmJS6_EEE10hipError_tPvRmT3_T4_T5_T6_T7_T9_mT8_P12ihipStream_tbDpT10_ENKUlT_T0_E_clISt17integral_constantIbLb0EES1B_IbLb1EEEEDaS17_S18_EUlS17_E_NS1_11comp_targetILNS1_3genE2ELNS1_11target_archE906ELNS1_3gpuE6ELNS1_3repE0EEENS1_30default_config_static_selectorELNS0_4arch9wavefront6targetE0EEEvT1_, .Lfunc_end1447-_ZN7rocprim17ROCPRIM_400000_NS6detail17trampoline_kernelINS0_14default_configENS1_25partition_config_selectorILNS1_17partition_subalgoE8ElNS0_10empty_typeEbEEZZNS1_14partition_implILS5_8ELb0ES3_jPlPS6_PKS6_NS0_5tupleIJS9_S6_EEENSD_IJSA_SA_EEENS0_18inequality_wrapperIZN2at6native12_GLOBAL__N_124unique_dim_cuda_templateItEESt5tupleIJNSH_6TensorESM_SM_EERKSM_lbbbEUlllE0_EEPmJS6_EEE10hipError_tPvRmT3_T4_T5_T6_T7_T9_mT8_P12ihipStream_tbDpT10_ENKUlT_T0_E_clISt17integral_constantIbLb0EES1B_IbLb1EEEEDaS17_S18_EUlS17_E_NS1_11comp_targetILNS1_3genE2ELNS1_11target_archE906ELNS1_3gpuE6ELNS1_3repE0EEENS1_30default_config_static_selectorELNS0_4arch9wavefront6targetE0EEEvT1_
                                        ; -- End function
	.set _ZN7rocprim17ROCPRIM_400000_NS6detail17trampoline_kernelINS0_14default_configENS1_25partition_config_selectorILNS1_17partition_subalgoE8ElNS0_10empty_typeEbEEZZNS1_14partition_implILS5_8ELb0ES3_jPlPS6_PKS6_NS0_5tupleIJS9_S6_EEENSD_IJSA_SA_EEENS0_18inequality_wrapperIZN2at6native12_GLOBAL__N_124unique_dim_cuda_templateItEESt5tupleIJNSH_6TensorESM_SM_EERKSM_lbbbEUlllE0_EEPmJS6_EEE10hipError_tPvRmT3_T4_T5_T6_T7_T9_mT8_P12ihipStream_tbDpT10_ENKUlT_T0_E_clISt17integral_constantIbLb0EES1B_IbLb1EEEEDaS17_S18_EUlS17_E_NS1_11comp_targetILNS1_3genE2ELNS1_11target_archE906ELNS1_3gpuE6ELNS1_3repE0EEENS1_30default_config_static_selectorELNS0_4arch9wavefront6targetE0EEEvT1_.num_vgpr, 0
	.set _ZN7rocprim17ROCPRIM_400000_NS6detail17trampoline_kernelINS0_14default_configENS1_25partition_config_selectorILNS1_17partition_subalgoE8ElNS0_10empty_typeEbEEZZNS1_14partition_implILS5_8ELb0ES3_jPlPS6_PKS6_NS0_5tupleIJS9_S6_EEENSD_IJSA_SA_EEENS0_18inequality_wrapperIZN2at6native12_GLOBAL__N_124unique_dim_cuda_templateItEESt5tupleIJNSH_6TensorESM_SM_EERKSM_lbbbEUlllE0_EEPmJS6_EEE10hipError_tPvRmT3_T4_T5_T6_T7_T9_mT8_P12ihipStream_tbDpT10_ENKUlT_T0_E_clISt17integral_constantIbLb0EES1B_IbLb1EEEEDaS17_S18_EUlS17_E_NS1_11comp_targetILNS1_3genE2ELNS1_11target_archE906ELNS1_3gpuE6ELNS1_3repE0EEENS1_30default_config_static_selectorELNS0_4arch9wavefront6targetE0EEEvT1_.num_agpr, 0
	.set _ZN7rocprim17ROCPRIM_400000_NS6detail17trampoline_kernelINS0_14default_configENS1_25partition_config_selectorILNS1_17partition_subalgoE8ElNS0_10empty_typeEbEEZZNS1_14partition_implILS5_8ELb0ES3_jPlPS6_PKS6_NS0_5tupleIJS9_S6_EEENSD_IJSA_SA_EEENS0_18inequality_wrapperIZN2at6native12_GLOBAL__N_124unique_dim_cuda_templateItEESt5tupleIJNSH_6TensorESM_SM_EERKSM_lbbbEUlllE0_EEPmJS6_EEE10hipError_tPvRmT3_T4_T5_T6_T7_T9_mT8_P12ihipStream_tbDpT10_ENKUlT_T0_E_clISt17integral_constantIbLb0EES1B_IbLb1EEEEDaS17_S18_EUlS17_E_NS1_11comp_targetILNS1_3genE2ELNS1_11target_archE906ELNS1_3gpuE6ELNS1_3repE0EEENS1_30default_config_static_selectorELNS0_4arch9wavefront6targetE0EEEvT1_.numbered_sgpr, 0
	.set _ZN7rocprim17ROCPRIM_400000_NS6detail17trampoline_kernelINS0_14default_configENS1_25partition_config_selectorILNS1_17partition_subalgoE8ElNS0_10empty_typeEbEEZZNS1_14partition_implILS5_8ELb0ES3_jPlPS6_PKS6_NS0_5tupleIJS9_S6_EEENSD_IJSA_SA_EEENS0_18inequality_wrapperIZN2at6native12_GLOBAL__N_124unique_dim_cuda_templateItEESt5tupleIJNSH_6TensorESM_SM_EERKSM_lbbbEUlllE0_EEPmJS6_EEE10hipError_tPvRmT3_T4_T5_T6_T7_T9_mT8_P12ihipStream_tbDpT10_ENKUlT_T0_E_clISt17integral_constantIbLb0EES1B_IbLb1EEEEDaS17_S18_EUlS17_E_NS1_11comp_targetILNS1_3genE2ELNS1_11target_archE906ELNS1_3gpuE6ELNS1_3repE0EEENS1_30default_config_static_selectorELNS0_4arch9wavefront6targetE0EEEvT1_.num_named_barrier, 0
	.set _ZN7rocprim17ROCPRIM_400000_NS6detail17trampoline_kernelINS0_14default_configENS1_25partition_config_selectorILNS1_17partition_subalgoE8ElNS0_10empty_typeEbEEZZNS1_14partition_implILS5_8ELb0ES3_jPlPS6_PKS6_NS0_5tupleIJS9_S6_EEENSD_IJSA_SA_EEENS0_18inequality_wrapperIZN2at6native12_GLOBAL__N_124unique_dim_cuda_templateItEESt5tupleIJNSH_6TensorESM_SM_EERKSM_lbbbEUlllE0_EEPmJS6_EEE10hipError_tPvRmT3_T4_T5_T6_T7_T9_mT8_P12ihipStream_tbDpT10_ENKUlT_T0_E_clISt17integral_constantIbLb0EES1B_IbLb1EEEEDaS17_S18_EUlS17_E_NS1_11comp_targetILNS1_3genE2ELNS1_11target_archE906ELNS1_3gpuE6ELNS1_3repE0EEENS1_30default_config_static_selectorELNS0_4arch9wavefront6targetE0EEEvT1_.private_seg_size, 0
	.set _ZN7rocprim17ROCPRIM_400000_NS6detail17trampoline_kernelINS0_14default_configENS1_25partition_config_selectorILNS1_17partition_subalgoE8ElNS0_10empty_typeEbEEZZNS1_14partition_implILS5_8ELb0ES3_jPlPS6_PKS6_NS0_5tupleIJS9_S6_EEENSD_IJSA_SA_EEENS0_18inequality_wrapperIZN2at6native12_GLOBAL__N_124unique_dim_cuda_templateItEESt5tupleIJNSH_6TensorESM_SM_EERKSM_lbbbEUlllE0_EEPmJS6_EEE10hipError_tPvRmT3_T4_T5_T6_T7_T9_mT8_P12ihipStream_tbDpT10_ENKUlT_T0_E_clISt17integral_constantIbLb0EES1B_IbLb1EEEEDaS17_S18_EUlS17_E_NS1_11comp_targetILNS1_3genE2ELNS1_11target_archE906ELNS1_3gpuE6ELNS1_3repE0EEENS1_30default_config_static_selectorELNS0_4arch9wavefront6targetE0EEEvT1_.uses_vcc, 0
	.set _ZN7rocprim17ROCPRIM_400000_NS6detail17trampoline_kernelINS0_14default_configENS1_25partition_config_selectorILNS1_17partition_subalgoE8ElNS0_10empty_typeEbEEZZNS1_14partition_implILS5_8ELb0ES3_jPlPS6_PKS6_NS0_5tupleIJS9_S6_EEENSD_IJSA_SA_EEENS0_18inequality_wrapperIZN2at6native12_GLOBAL__N_124unique_dim_cuda_templateItEESt5tupleIJNSH_6TensorESM_SM_EERKSM_lbbbEUlllE0_EEPmJS6_EEE10hipError_tPvRmT3_T4_T5_T6_T7_T9_mT8_P12ihipStream_tbDpT10_ENKUlT_T0_E_clISt17integral_constantIbLb0EES1B_IbLb1EEEEDaS17_S18_EUlS17_E_NS1_11comp_targetILNS1_3genE2ELNS1_11target_archE906ELNS1_3gpuE6ELNS1_3repE0EEENS1_30default_config_static_selectorELNS0_4arch9wavefront6targetE0EEEvT1_.uses_flat_scratch, 0
	.set _ZN7rocprim17ROCPRIM_400000_NS6detail17trampoline_kernelINS0_14default_configENS1_25partition_config_selectorILNS1_17partition_subalgoE8ElNS0_10empty_typeEbEEZZNS1_14partition_implILS5_8ELb0ES3_jPlPS6_PKS6_NS0_5tupleIJS9_S6_EEENSD_IJSA_SA_EEENS0_18inequality_wrapperIZN2at6native12_GLOBAL__N_124unique_dim_cuda_templateItEESt5tupleIJNSH_6TensorESM_SM_EERKSM_lbbbEUlllE0_EEPmJS6_EEE10hipError_tPvRmT3_T4_T5_T6_T7_T9_mT8_P12ihipStream_tbDpT10_ENKUlT_T0_E_clISt17integral_constantIbLb0EES1B_IbLb1EEEEDaS17_S18_EUlS17_E_NS1_11comp_targetILNS1_3genE2ELNS1_11target_archE906ELNS1_3gpuE6ELNS1_3repE0EEENS1_30default_config_static_selectorELNS0_4arch9wavefront6targetE0EEEvT1_.has_dyn_sized_stack, 0
	.set _ZN7rocprim17ROCPRIM_400000_NS6detail17trampoline_kernelINS0_14default_configENS1_25partition_config_selectorILNS1_17partition_subalgoE8ElNS0_10empty_typeEbEEZZNS1_14partition_implILS5_8ELb0ES3_jPlPS6_PKS6_NS0_5tupleIJS9_S6_EEENSD_IJSA_SA_EEENS0_18inequality_wrapperIZN2at6native12_GLOBAL__N_124unique_dim_cuda_templateItEESt5tupleIJNSH_6TensorESM_SM_EERKSM_lbbbEUlllE0_EEPmJS6_EEE10hipError_tPvRmT3_T4_T5_T6_T7_T9_mT8_P12ihipStream_tbDpT10_ENKUlT_T0_E_clISt17integral_constantIbLb0EES1B_IbLb1EEEEDaS17_S18_EUlS17_E_NS1_11comp_targetILNS1_3genE2ELNS1_11target_archE906ELNS1_3gpuE6ELNS1_3repE0EEENS1_30default_config_static_selectorELNS0_4arch9wavefront6targetE0EEEvT1_.has_recursion, 0
	.set _ZN7rocprim17ROCPRIM_400000_NS6detail17trampoline_kernelINS0_14default_configENS1_25partition_config_selectorILNS1_17partition_subalgoE8ElNS0_10empty_typeEbEEZZNS1_14partition_implILS5_8ELb0ES3_jPlPS6_PKS6_NS0_5tupleIJS9_S6_EEENSD_IJSA_SA_EEENS0_18inequality_wrapperIZN2at6native12_GLOBAL__N_124unique_dim_cuda_templateItEESt5tupleIJNSH_6TensorESM_SM_EERKSM_lbbbEUlllE0_EEPmJS6_EEE10hipError_tPvRmT3_T4_T5_T6_T7_T9_mT8_P12ihipStream_tbDpT10_ENKUlT_T0_E_clISt17integral_constantIbLb0EES1B_IbLb1EEEEDaS17_S18_EUlS17_E_NS1_11comp_targetILNS1_3genE2ELNS1_11target_archE906ELNS1_3gpuE6ELNS1_3repE0EEENS1_30default_config_static_selectorELNS0_4arch9wavefront6targetE0EEEvT1_.has_indirect_call, 0
	.section	.AMDGPU.csdata,"",@progbits
; Kernel info:
; codeLenInByte = 0
; TotalNumSgprs: 0
; NumVgprs: 0
; ScratchSize: 0
; MemoryBound: 0
; FloatMode: 240
; IeeeMode: 1
; LDSByteSize: 0 bytes/workgroup (compile time only)
; SGPRBlocks: 0
; VGPRBlocks: 0
; NumSGPRsForWavesPerEU: 1
; NumVGPRsForWavesPerEU: 1
; NamedBarCnt: 0
; Occupancy: 16
; WaveLimiterHint : 0
; COMPUTE_PGM_RSRC2:SCRATCH_EN: 0
; COMPUTE_PGM_RSRC2:USER_SGPR: 2
; COMPUTE_PGM_RSRC2:TRAP_HANDLER: 0
; COMPUTE_PGM_RSRC2:TGID_X_EN: 1
; COMPUTE_PGM_RSRC2:TGID_Y_EN: 0
; COMPUTE_PGM_RSRC2:TGID_Z_EN: 0
; COMPUTE_PGM_RSRC2:TIDIG_COMP_CNT: 0
	.section	.text._ZN7rocprim17ROCPRIM_400000_NS6detail17trampoline_kernelINS0_14default_configENS1_25partition_config_selectorILNS1_17partition_subalgoE8ElNS0_10empty_typeEbEEZZNS1_14partition_implILS5_8ELb0ES3_jPlPS6_PKS6_NS0_5tupleIJS9_S6_EEENSD_IJSA_SA_EEENS0_18inequality_wrapperIZN2at6native12_GLOBAL__N_124unique_dim_cuda_templateItEESt5tupleIJNSH_6TensorESM_SM_EERKSM_lbbbEUlllE0_EEPmJS6_EEE10hipError_tPvRmT3_T4_T5_T6_T7_T9_mT8_P12ihipStream_tbDpT10_ENKUlT_T0_E_clISt17integral_constantIbLb0EES1B_IbLb1EEEEDaS17_S18_EUlS17_E_NS1_11comp_targetILNS1_3genE10ELNS1_11target_archE1200ELNS1_3gpuE4ELNS1_3repE0EEENS1_30default_config_static_selectorELNS0_4arch9wavefront6targetE0EEEvT1_,"axG",@progbits,_ZN7rocprim17ROCPRIM_400000_NS6detail17trampoline_kernelINS0_14default_configENS1_25partition_config_selectorILNS1_17partition_subalgoE8ElNS0_10empty_typeEbEEZZNS1_14partition_implILS5_8ELb0ES3_jPlPS6_PKS6_NS0_5tupleIJS9_S6_EEENSD_IJSA_SA_EEENS0_18inequality_wrapperIZN2at6native12_GLOBAL__N_124unique_dim_cuda_templateItEESt5tupleIJNSH_6TensorESM_SM_EERKSM_lbbbEUlllE0_EEPmJS6_EEE10hipError_tPvRmT3_T4_T5_T6_T7_T9_mT8_P12ihipStream_tbDpT10_ENKUlT_T0_E_clISt17integral_constantIbLb0EES1B_IbLb1EEEEDaS17_S18_EUlS17_E_NS1_11comp_targetILNS1_3genE10ELNS1_11target_archE1200ELNS1_3gpuE4ELNS1_3repE0EEENS1_30default_config_static_selectorELNS0_4arch9wavefront6targetE0EEEvT1_,comdat
	.globl	_ZN7rocprim17ROCPRIM_400000_NS6detail17trampoline_kernelINS0_14default_configENS1_25partition_config_selectorILNS1_17partition_subalgoE8ElNS0_10empty_typeEbEEZZNS1_14partition_implILS5_8ELb0ES3_jPlPS6_PKS6_NS0_5tupleIJS9_S6_EEENSD_IJSA_SA_EEENS0_18inequality_wrapperIZN2at6native12_GLOBAL__N_124unique_dim_cuda_templateItEESt5tupleIJNSH_6TensorESM_SM_EERKSM_lbbbEUlllE0_EEPmJS6_EEE10hipError_tPvRmT3_T4_T5_T6_T7_T9_mT8_P12ihipStream_tbDpT10_ENKUlT_T0_E_clISt17integral_constantIbLb0EES1B_IbLb1EEEEDaS17_S18_EUlS17_E_NS1_11comp_targetILNS1_3genE10ELNS1_11target_archE1200ELNS1_3gpuE4ELNS1_3repE0EEENS1_30default_config_static_selectorELNS0_4arch9wavefront6targetE0EEEvT1_ ; -- Begin function _ZN7rocprim17ROCPRIM_400000_NS6detail17trampoline_kernelINS0_14default_configENS1_25partition_config_selectorILNS1_17partition_subalgoE8ElNS0_10empty_typeEbEEZZNS1_14partition_implILS5_8ELb0ES3_jPlPS6_PKS6_NS0_5tupleIJS9_S6_EEENSD_IJSA_SA_EEENS0_18inequality_wrapperIZN2at6native12_GLOBAL__N_124unique_dim_cuda_templateItEESt5tupleIJNSH_6TensorESM_SM_EERKSM_lbbbEUlllE0_EEPmJS6_EEE10hipError_tPvRmT3_T4_T5_T6_T7_T9_mT8_P12ihipStream_tbDpT10_ENKUlT_T0_E_clISt17integral_constantIbLb0EES1B_IbLb1EEEEDaS17_S18_EUlS17_E_NS1_11comp_targetILNS1_3genE10ELNS1_11target_archE1200ELNS1_3gpuE4ELNS1_3repE0EEENS1_30default_config_static_selectorELNS0_4arch9wavefront6targetE0EEEvT1_
	.p2align	8
	.type	_ZN7rocprim17ROCPRIM_400000_NS6detail17trampoline_kernelINS0_14default_configENS1_25partition_config_selectorILNS1_17partition_subalgoE8ElNS0_10empty_typeEbEEZZNS1_14partition_implILS5_8ELb0ES3_jPlPS6_PKS6_NS0_5tupleIJS9_S6_EEENSD_IJSA_SA_EEENS0_18inequality_wrapperIZN2at6native12_GLOBAL__N_124unique_dim_cuda_templateItEESt5tupleIJNSH_6TensorESM_SM_EERKSM_lbbbEUlllE0_EEPmJS6_EEE10hipError_tPvRmT3_T4_T5_T6_T7_T9_mT8_P12ihipStream_tbDpT10_ENKUlT_T0_E_clISt17integral_constantIbLb0EES1B_IbLb1EEEEDaS17_S18_EUlS17_E_NS1_11comp_targetILNS1_3genE10ELNS1_11target_archE1200ELNS1_3gpuE4ELNS1_3repE0EEENS1_30default_config_static_selectorELNS0_4arch9wavefront6targetE0EEEvT1_,@function
_ZN7rocprim17ROCPRIM_400000_NS6detail17trampoline_kernelINS0_14default_configENS1_25partition_config_selectorILNS1_17partition_subalgoE8ElNS0_10empty_typeEbEEZZNS1_14partition_implILS5_8ELb0ES3_jPlPS6_PKS6_NS0_5tupleIJS9_S6_EEENSD_IJSA_SA_EEENS0_18inequality_wrapperIZN2at6native12_GLOBAL__N_124unique_dim_cuda_templateItEESt5tupleIJNSH_6TensorESM_SM_EERKSM_lbbbEUlllE0_EEPmJS6_EEE10hipError_tPvRmT3_T4_T5_T6_T7_T9_mT8_P12ihipStream_tbDpT10_ENKUlT_T0_E_clISt17integral_constantIbLb0EES1B_IbLb1EEEEDaS17_S18_EUlS17_E_NS1_11comp_targetILNS1_3genE10ELNS1_11target_archE1200ELNS1_3gpuE4ELNS1_3repE0EEENS1_30default_config_static_selectorELNS0_4arch9wavefront6targetE0EEEvT1_: ; @_ZN7rocprim17ROCPRIM_400000_NS6detail17trampoline_kernelINS0_14default_configENS1_25partition_config_selectorILNS1_17partition_subalgoE8ElNS0_10empty_typeEbEEZZNS1_14partition_implILS5_8ELb0ES3_jPlPS6_PKS6_NS0_5tupleIJS9_S6_EEENSD_IJSA_SA_EEENS0_18inequality_wrapperIZN2at6native12_GLOBAL__N_124unique_dim_cuda_templateItEESt5tupleIJNSH_6TensorESM_SM_EERKSM_lbbbEUlllE0_EEPmJS6_EEE10hipError_tPvRmT3_T4_T5_T6_T7_T9_mT8_P12ihipStream_tbDpT10_ENKUlT_T0_E_clISt17integral_constantIbLb0EES1B_IbLb1EEEEDaS17_S18_EUlS17_E_NS1_11comp_targetILNS1_3genE10ELNS1_11target_archE1200ELNS1_3gpuE4ELNS1_3repE0EEENS1_30default_config_static_selectorELNS0_4arch9wavefront6targetE0EEEvT1_
; %bb.0:
	.section	.rodata,"a",@progbits
	.p2align	6, 0x0
	.amdhsa_kernel _ZN7rocprim17ROCPRIM_400000_NS6detail17trampoline_kernelINS0_14default_configENS1_25partition_config_selectorILNS1_17partition_subalgoE8ElNS0_10empty_typeEbEEZZNS1_14partition_implILS5_8ELb0ES3_jPlPS6_PKS6_NS0_5tupleIJS9_S6_EEENSD_IJSA_SA_EEENS0_18inequality_wrapperIZN2at6native12_GLOBAL__N_124unique_dim_cuda_templateItEESt5tupleIJNSH_6TensorESM_SM_EERKSM_lbbbEUlllE0_EEPmJS6_EEE10hipError_tPvRmT3_T4_T5_T6_T7_T9_mT8_P12ihipStream_tbDpT10_ENKUlT_T0_E_clISt17integral_constantIbLb0EES1B_IbLb1EEEEDaS17_S18_EUlS17_E_NS1_11comp_targetILNS1_3genE10ELNS1_11target_archE1200ELNS1_3gpuE4ELNS1_3repE0EEENS1_30default_config_static_selectorELNS0_4arch9wavefront6targetE0EEEvT1_
		.amdhsa_group_segment_fixed_size 0
		.amdhsa_private_segment_fixed_size 0
		.amdhsa_kernarg_size 136
		.amdhsa_user_sgpr_count 2
		.amdhsa_user_sgpr_dispatch_ptr 0
		.amdhsa_user_sgpr_queue_ptr 0
		.amdhsa_user_sgpr_kernarg_segment_ptr 1
		.amdhsa_user_sgpr_dispatch_id 0
		.amdhsa_user_sgpr_kernarg_preload_length 0
		.amdhsa_user_sgpr_kernarg_preload_offset 0
		.amdhsa_user_sgpr_private_segment_size 0
		.amdhsa_wavefront_size32 1
		.amdhsa_uses_dynamic_stack 0
		.amdhsa_enable_private_segment 0
		.amdhsa_system_sgpr_workgroup_id_x 1
		.amdhsa_system_sgpr_workgroup_id_y 0
		.amdhsa_system_sgpr_workgroup_id_z 0
		.amdhsa_system_sgpr_workgroup_info 0
		.amdhsa_system_vgpr_workitem_id 0
		.amdhsa_next_free_vgpr 1
		.amdhsa_next_free_sgpr 1
		.amdhsa_named_barrier_count 0
		.amdhsa_reserve_vcc 0
		.amdhsa_float_round_mode_32 0
		.amdhsa_float_round_mode_16_64 0
		.amdhsa_float_denorm_mode_32 3
		.amdhsa_float_denorm_mode_16_64 3
		.amdhsa_fp16_overflow 0
		.amdhsa_memory_ordered 1
		.amdhsa_forward_progress 1
		.amdhsa_inst_pref_size 0
		.amdhsa_round_robin_scheduling 0
		.amdhsa_exception_fp_ieee_invalid_op 0
		.amdhsa_exception_fp_denorm_src 0
		.amdhsa_exception_fp_ieee_div_zero 0
		.amdhsa_exception_fp_ieee_overflow 0
		.amdhsa_exception_fp_ieee_underflow 0
		.amdhsa_exception_fp_ieee_inexact 0
		.amdhsa_exception_int_div_zero 0
	.end_amdhsa_kernel
	.section	.text._ZN7rocprim17ROCPRIM_400000_NS6detail17trampoline_kernelINS0_14default_configENS1_25partition_config_selectorILNS1_17partition_subalgoE8ElNS0_10empty_typeEbEEZZNS1_14partition_implILS5_8ELb0ES3_jPlPS6_PKS6_NS0_5tupleIJS9_S6_EEENSD_IJSA_SA_EEENS0_18inequality_wrapperIZN2at6native12_GLOBAL__N_124unique_dim_cuda_templateItEESt5tupleIJNSH_6TensorESM_SM_EERKSM_lbbbEUlllE0_EEPmJS6_EEE10hipError_tPvRmT3_T4_T5_T6_T7_T9_mT8_P12ihipStream_tbDpT10_ENKUlT_T0_E_clISt17integral_constantIbLb0EES1B_IbLb1EEEEDaS17_S18_EUlS17_E_NS1_11comp_targetILNS1_3genE10ELNS1_11target_archE1200ELNS1_3gpuE4ELNS1_3repE0EEENS1_30default_config_static_selectorELNS0_4arch9wavefront6targetE0EEEvT1_,"axG",@progbits,_ZN7rocprim17ROCPRIM_400000_NS6detail17trampoline_kernelINS0_14default_configENS1_25partition_config_selectorILNS1_17partition_subalgoE8ElNS0_10empty_typeEbEEZZNS1_14partition_implILS5_8ELb0ES3_jPlPS6_PKS6_NS0_5tupleIJS9_S6_EEENSD_IJSA_SA_EEENS0_18inequality_wrapperIZN2at6native12_GLOBAL__N_124unique_dim_cuda_templateItEESt5tupleIJNSH_6TensorESM_SM_EERKSM_lbbbEUlllE0_EEPmJS6_EEE10hipError_tPvRmT3_T4_T5_T6_T7_T9_mT8_P12ihipStream_tbDpT10_ENKUlT_T0_E_clISt17integral_constantIbLb0EES1B_IbLb1EEEEDaS17_S18_EUlS17_E_NS1_11comp_targetILNS1_3genE10ELNS1_11target_archE1200ELNS1_3gpuE4ELNS1_3repE0EEENS1_30default_config_static_selectorELNS0_4arch9wavefront6targetE0EEEvT1_,comdat
.Lfunc_end1448:
	.size	_ZN7rocprim17ROCPRIM_400000_NS6detail17trampoline_kernelINS0_14default_configENS1_25partition_config_selectorILNS1_17partition_subalgoE8ElNS0_10empty_typeEbEEZZNS1_14partition_implILS5_8ELb0ES3_jPlPS6_PKS6_NS0_5tupleIJS9_S6_EEENSD_IJSA_SA_EEENS0_18inequality_wrapperIZN2at6native12_GLOBAL__N_124unique_dim_cuda_templateItEESt5tupleIJNSH_6TensorESM_SM_EERKSM_lbbbEUlllE0_EEPmJS6_EEE10hipError_tPvRmT3_T4_T5_T6_T7_T9_mT8_P12ihipStream_tbDpT10_ENKUlT_T0_E_clISt17integral_constantIbLb0EES1B_IbLb1EEEEDaS17_S18_EUlS17_E_NS1_11comp_targetILNS1_3genE10ELNS1_11target_archE1200ELNS1_3gpuE4ELNS1_3repE0EEENS1_30default_config_static_selectorELNS0_4arch9wavefront6targetE0EEEvT1_, .Lfunc_end1448-_ZN7rocprim17ROCPRIM_400000_NS6detail17trampoline_kernelINS0_14default_configENS1_25partition_config_selectorILNS1_17partition_subalgoE8ElNS0_10empty_typeEbEEZZNS1_14partition_implILS5_8ELb0ES3_jPlPS6_PKS6_NS0_5tupleIJS9_S6_EEENSD_IJSA_SA_EEENS0_18inequality_wrapperIZN2at6native12_GLOBAL__N_124unique_dim_cuda_templateItEESt5tupleIJNSH_6TensorESM_SM_EERKSM_lbbbEUlllE0_EEPmJS6_EEE10hipError_tPvRmT3_T4_T5_T6_T7_T9_mT8_P12ihipStream_tbDpT10_ENKUlT_T0_E_clISt17integral_constantIbLb0EES1B_IbLb1EEEEDaS17_S18_EUlS17_E_NS1_11comp_targetILNS1_3genE10ELNS1_11target_archE1200ELNS1_3gpuE4ELNS1_3repE0EEENS1_30default_config_static_selectorELNS0_4arch9wavefront6targetE0EEEvT1_
                                        ; -- End function
	.set _ZN7rocprim17ROCPRIM_400000_NS6detail17trampoline_kernelINS0_14default_configENS1_25partition_config_selectorILNS1_17partition_subalgoE8ElNS0_10empty_typeEbEEZZNS1_14partition_implILS5_8ELb0ES3_jPlPS6_PKS6_NS0_5tupleIJS9_S6_EEENSD_IJSA_SA_EEENS0_18inequality_wrapperIZN2at6native12_GLOBAL__N_124unique_dim_cuda_templateItEESt5tupleIJNSH_6TensorESM_SM_EERKSM_lbbbEUlllE0_EEPmJS6_EEE10hipError_tPvRmT3_T4_T5_T6_T7_T9_mT8_P12ihipStream_tbDpT10_ENKUlT_T0_E_clISt17integral_constantIbLb0EES1B_IbLb1EEEEDaS17_S18_EUlS17_E_NS1_11comp_targetILNS1_3genE10ELNS1_11target_archE1200ELNS1_3gpuE4ELNS1_3repE0EEENS1_30default_config_static_selectorELNS0_4arch9wavefront6targetE0EEEvT1_.num_vgpr, 0
	.set _ZN7rocprim17ROCPRIM_400000_NS6detail17trampoline_kernelINS0_14default_configENS1_25partition_config_selectorILNS1_17partition_subalgoE8ElNS0_10empty_typeEbEEZZNS1_14partition_implILS5_8ELb0ES3_jPlPS6_PKS6_NS0_5tupleIJS9_S6_EEENSD_IJSA_SA_EEENS0_18inequality_wrapperIZN2at6native12_GLOBAL__N_124unique_dim_cuda_templateItEESt5tupleIJNSH_6TensorESM_SM_EERKSM_lbbbEUlllE0_EEPmJS6_EEE10hipError_tPvRmT3_T4_T5_T6_T7_T9_mT8_P12ihipStream_tbDpT10_ENKUlT_T0_E_clISt17integral_constantIbLb0EES1B_IbLb1EEEEDaS17_S18_EUlS17_E_NS1_11comp_targetILNS1_3genE10ELNS1_11target_archE1200ELNS1_3gpuE4ELNS1_3repE0EEENS1_30default_config_static_selectorELNS0_4arch9wavefront6targetE0EEEvT1_.num_agpr, 0
	.set _ZN7rocprim17ROCPRIM_400000_NS6detail17trampoline_kernelINS0_14default_configENS1_25partition_config_selectorILNS1_17partition_subalgoE8ElNS0_10empty_typeEbEEZZNS1_14partition_implILS5_8ELb0ES3_jPlPS6_PKS6_NS0_5tupleIJS9_S6_EEENSD_IJSA_SA_EEENS0_18inequality_wrapperIZN2at6native12_GLOBAL__N_124unique_dim_cuda_templateItEESt5tupleIJNSH_6TensorESM_SM_EERKSM_lbbbEUlllE0_EEPmJS6_EEE10hipError_tPvRmT3_T4_T5_T6_T7_T9_mT8_P12ihipStream_tbDpT10_ENKUlT_T0_E_clISt17integral_constantIbLb0EES1B_IbLb1EEEEDaS17_S18_EUlS17_E_NS1_11comp_targetILNS1_3genE10ELNS1_11target_archE1200ELNS1_3gpuE4ELNS1_3repE0EEENS1_30default_config_static_selectorELNS0_4arch9wavefront6targetE0EEEvT1_.numbered_sgpr, 0
	.set _ZN7rocprim17ROCPRIM_400000_NS6detail17trampoline_kernelINS0_14default_configENS1_25partition_config_selectorILNS1_17partition_subalgoE8ElNS0_10empty_typeEbEEZZNS1_14partition_implILS5_8ELb0ES3_jPlPS6_PKS6_NS0_5tupleIJS9_S6_EEENSD_IJSA_SA_EEENS0_18inequality_wrapperIZN2at6native12_GLOBAL__N_124unique_dim_cuda_templateItEESt5tupleIJNSH_6TensorESM_SM_EERKSM_lbbbEUlllE0_EEPmJS6_EEE10hipError_tPvRmT3_T4_T5_T6_T7_T9_mT8_P12ihipStream_tbDpT10_ENKUlT_T0_E_clISt17integral_constantIbLb0EES1B_IbLb1EEEEDaS17_S18_EUlS17_E_NS1_11comp_targetILNS1_3genE10ELNS1_11target_archE1200ELNS1_3gpuE4ELNS1_3repE0EEENS1_30default_config_static_selectorELNS0_4arch9wavefront6targetE0EEEvT1_.num_named_barrier, 0
	.set _ZN7rocprim17ROCPRIM_400000_NS6detail17trampoline_kernelINS0_14default_configENS1_25partition_config_selectorILNS1_17partition_subalgoE8ElNS0_10empty_typeEbEEZZNS1_14partition_implILS5_8ELb0ES3_jPlPS6_PKS6_NS0_5tupleIJS9_S6_EEENSD_IJSA_SA_EEENS0_18inequality_wrapperIZN2at6native12_GLOBAL__N_124unique_dim_cuda_templateItEESt5tupleIJNSH_6TensorESM_SM_EERKSM_lbbbEUlllE0_EEPmJS6_EEE10hipError_tPvRmT3_T4_T5_T6_T7_T9_mT8_P12ihipStream_tbDpT10_ENKUlT_T0_E_clISt17integral_constantIbLb0EES1B_IbLb1EEEEDaS17_S18_EUlS17_E_NS1_11comp_targetILNS1_3genE10ELNS1_11target_archE1200ELNS1_3gpuE4ELNS1_3repE0EEENS1_30default_config_static_selectorELNS0_4arch9wavefront6targetE0EEEvT1_.private_seg_size, 0
	.set _ZN7rocprim17ROCPRIM_400000_NS6detail17trampoline_kernelINS0_14default_configENS1_25partition_config_selectorILNS1_17partition_subalgoE8ElNS0_10empty_typeEbEEZZNS1_14partition_implILS5_8ELb0ES3_jPlPS6_PKS6_NS0_5tupleIJS9_S6_EEENSD_IJSA_SA_EEENS0_18inequality_wrapperIZN2at6native12_GLOBAL__N_124unique_dim_cuda_templateItEESt5tupleIJNSH_6TensorESM_SM_EERKSM_lbbbEUlllE0_EEPmJS6_EEE10hipError_tPvRmT3_T4_T5_T6_T7_T9_mT8_P12ihipStream_tbDpT10_ENKUlT_T0_E_clISt17integral_constantIbLb0EES1B_IbLb1EEEEDaS17_S18_EUlS17_E_NS1_11comp_targetILNS1_3genE10ELNS1_11target_archE1200ELNS1_3gpuE4ELNS1_3repE0EEENS1_30default_config_static_selectorELNS0_4arch9wavefront6targetE0EEEvT1_.uses_vcc, 0
	.set _ZN7rocprim17ROCPRIM_400000_NS6detail17trampoline_kernelINS0_14default_configENS1_25partition_config_selectorILNS1_17partition_subalgoE8ElNS0_10empty_typeEbEEZZNS1_14partition_implILS5_8ELb0ES3_jPlPS6_PKS6_NS0_5tupleIJS9_S6_EEENSD_IJSA_SA_EEENS0_18inequality_wrapperIZN2at6native12_GLOBAL__N_124unique_dim_cuda_templateItEESt5tupleIJNSH_6TensorESM_SM_EERKSM_lbbbEUlllE0_EEPmJS6_EEE10hipError_tPvRmT3_T4_T5_T6_T7_T9_mT8_P12ihipStream_tbDpT10_ENKUlT_T0_E_clISt17integral_constantIbLb0EES1B_IbLb1EEEEDaS17_S18_EUlS17_E_NS1_11comp_targetILNS1_3genE10ELNS1_11target_archE1200ELNS1_3gpuE4ELNS1_3repE0EEENS1_30default_config_static_selectorELNS0_4arch9wavefront6targetE0EEEvT1_.uses_flat_scratch, 0
	.set _ZN7rocprim17ROCPRIM_400000_NS6detail17trampoline_kernelINS0_14default_configENS1_25partition_config_selectorILNS1_17partition_subalgoE8ElNS0_10empty_typeEbEEZZNS1_14partition_implILS5_8ELb0ES3_jPlPS6_PKS6_NS0_5tupleIJS9_S6_EEENSD_IJSA_SA_EEENS0_18inequality_wrapperIZN2at6native12_GLOBAL__N_124unique_dim_cuda_templateItEESt5tupleIJNSH_6TensorESM_SM_EERKSM_lbbbEUlllE0_EEPmJS6_EEE10hipError_tPvRmT3_T4_T5_T6_T7_T9_mT8_P12ihipStream_tbDpT10_ENKUlT_T0_E_clISt17integral_constantIbLb0EES1B_IbLb1EEEEDaS17_S18_EUlS17_E_NS1_11comp_targetILNS1_3genE10ELNS1_11target_archE1200ELNS1_3gpuE4ELNS1_3repE0EEENS1_30default_config_static_selectorELNS0_4arch9wavefront6targetE0EEEvT1_.has_dyn_sized_stack, 0
	.set _ZN7rocprim17ROCPRIM_400000_NS6detail17trampoline_kernelINS0_14default_configENS1_25partition_config_selectorILNS1_17partition_subalgoE8ElNS0_10empty_typeEbEEZZNS1_14partition_implILS5_8ELb0ES3_jPlPS6_PKS6_NS0_5tupleIJS9_S6_EEENSD_IJSA_SA_EEENS0_18inequality_wrapperIZN2at6native12_GLOBAL__N_124unique_dim_cuda_templateItEESt5tupleIJNSH_6TensorESM_SM_EERKSM_lbbbEUlllE0_EEPmJS6_EEE10hipError_tPvRmT3_T4_T5_T6_T7_T9_mT8_P12ihipStream_tbDpT10_ENKUlT_T0_E_clISt17integral_constantIbLb0EES1B_IbLb1EEEEDaS17_S18_EUlS17_E_NS1_11comp_targetILNS1_3genE10ELNS1_11target_archE1200ELNS1_3gpuE4ELNS1_3repE0EEENS1_30default_config_static_selectorELNS0_4arch9wavefront6targetE0EEEvT1_.has_recursion, 0
	.set _ZN7rocprim17ROCPRIM_400000_NS6detail17trampoline_kernelINS0_14default_configENS1_25partition_config_selectorILNS1_17partition_subalgoE8ElNS0_10empty_typeEbEEZZNS1_14partition_implILS5_8ELb0ES3_jPlPS6_PKS6_NS0_5tupleIJS9_S6_EEENSD_IJSA_SA_EEENS0_18inequality_wrapperIZN2at6native12_GLOBAL__N_124unique_dim_cuda_templateItEESt5tupleIJNSH_6TensorESM_SM_EERKSM_lbbbEUlllE0_EEPmJS6_EEE10hipError_tPvRmT3_T4_T5_T6_T7_T9_mT8_P12ihipStream_tbDpT10_ENKUlT_T0_E_clISt17integral_constantIbLb0EES1B_IbLb1EEEEDaS17_S18_EUlS17_E_NS1_11comp_targetILNS1_3genE10ELNS1_11target_archE1200ELNS1_3gpuE4ELNS1_3repE0EEENS1_30default_config_static_selectorELNS0_4arch9wavefront6targetE0EEEvT1_.has_indirect_call, 0
	.section	.AMDGPU.csdata,"",@progbits
; Kernel info:
; codeLenInByte = 0
; TotalNumSgprs: 0
; NumVgprs: 0
; ScratchSize: 0
; MemoryBound: 0
; FloatMode: 240
; IeeeMode: 1
; LDSByteSize: 0 bytes/workgroup (compile time only)
; SGPRBlocks: 0
; VGPRBlocks: 0
; NumSGPRsForWavesPerEU: 1
; NumVGPRsForWavesPerEU: 1
; NamedBarCnt: 0
; Occupancy: 16
; WaveLimiterHint : 0
; COMPUTE_PGM_RSRC2:SCRATCH_EN: 0
; COMPUTE_PGM_RSRC2:USER_SGPR: 2
; COMPUTE_PGM_RSRC2:TRAP_HANDLER: 0
; COMPUTE_PGM_RSRC2:TGID_X_EN: 1
; COMPUTE_PGM_RSRC2:TGID_Y_EN: 0
; COMPUTE_PGM_RSRC2:TGID_Z_EN: 0
; COMPUTE_PGM_RSRC2:TIDIG_COMP_CNT: 0
	.section	.text._ZN7rocprim17ROCPRIM_400000_NS6detail17trampoline_kernelINS0_14default_configENS1_25partition_config_selectorILNS1_17partition_subalgoE8ElNS0_10empty_typeEbEEZZNS1_14partition_implILS5_8ELb0ES3_jPlPS6_PKS6_NS0_5tupleIJS9_S6_EEENSD_IJSA_SA_EEENS0_18inequality_wrapperIZN2at6native12_GLOBAL__N_124unique_dim_cuda_templateItEESt5tupleIJNSH_6TensorESM_SM_EERKSM_lbbbEUlllE0_EEPmJS6_EEE10hipError_tPvRmT3_T4_T5_T6_T7_T9_mT8_P12ihipStream_tbDpT10_ENKUlT_T0_E_clISt17integral_constantIbLb0EES1B_IbLb1EEEEDaS17_S18_EUlS17_E_NS1_11comp_targetILNS1_3genE9ELNS1_11target_archE1100ELNS1_3gpuE3ELNS1_3repE0EEENS1_30default_config_static_selectorELNS0_4arch9wavefront6targetE0EEEvT1_,"axG",@progbits,_ZN7rocprim17ROCPRIM_400000_NS6detail17trampoline_kernelINS0_14default_configENS1_25partition_config_selectorILNS1_17partition_subalgoE8ElNS0_10empty_typeEbEEZZNS1_14partition_implILS5_8ELb0ES3_jPlPS6_PKS6_NS0_5tupleIJS9_S6_EEENSD_IJSA_SA_EEENS0_18inequality_wrapperIZN2at6native12_GLOBAL__N_124unique_dim_cuda_templateItEESt5tupleIJNSH_6TensorESM_SM_EERKSM_lbbbEUlllE0_EEPmJS6_EEE10hipError_tPvRmT3_T4_T5_T6_T7_T9_mT8_P12ihipStream_tbDpT10_ENKUlT_T0_E_clISt17integral_constantIbLb0EES1B_IbLb1EEEEDaS17_S18_EUlS17_E_NS1_11comp_targetILNS1_3genE9ELNS1_11target_archE1100ELNS1_3gpuE3ELNS1_3repE0EEENS1_30default_config_static_selectorELNS0_4arch9wavefront6targetE0EEEvT1_,comdat
	.globl	_ZN7rocprim17ROCPRIM_400000_NS6detail17trampoline_kernelINS0_14default_configENS1_25partition_config_selectorILNS1_17partition_subalgoE8ElNS0_10empty_typeEbEEZZNS1_14partition_implILS5_8ELb0ES3_jPlPS6_PKS6_NS0_5tupleIJS9_S6_EEENSD_IJSA_SA_EEENS0_18inequality_wrapperIZN2at6native12_GLOBAL__N_124unique_dim_cuda_templateItEESt5tupleIJNSH_6TensorESM_SM_EERKSM_lbbbEUlllE0_EEPmJS6_EEE10hipError_tPvRmT3_T4_T5_T6_T7_T9_mT8_P12ihipStream_tbDpT10_ENKUlT_T0_E_clISt17integral_constantIbLb0EES1B_IbLb1EEEEDaS17_S18_EUlS17_E_NS1_11comp_targetILNS1_3genE9ELNS1_11target_archE1100ELNS1_3gpuE3ELNS1_3repE0EEENS1_30default_config_static_selectorELNS0_4arch9wavefront6targetE0EEEvT1_ ; -- Begin function _ZN7rocprim17ROCPRIM_400000_NS6detail17trampoline_kernelINS0_14default_configENS1_25partition_config_selectorILNS1_17partition_subalgoE8ElNS0_10empty_typeEbEEZZNS1_14partition_implILS5_8ELb0ES3_jPlPS6_PKS6_NS0_5tupleIJS9_S6_EEENSD_IJSA_SA_EEENS0_18inequality_wrapperIZN2at6native12_GLOBAL__N_124unique_dim_cuda_templateItEESt5tupleIJNSH_6TensorESM_SM_EERKSM_lbbbEUlllE0_EEPmJS6_EEE10hipError_tPvRmT3_T4_T5_T6_T7_T9_mT8_P12ihipStream_tbDpT10_ENKUlT_T0_E_clISt17integral_constantIbLb0EES1B_IbLb1EEEEDaS17_S18_EUlS17_E_NS1_11comp_targetILNS1_3genE9ELNS1_11target_archE1100ELNS1_3gpuE3ELNS1_3repE0EEENS1_30default_config_static_selectorELNS0_4arch9wavefront6targetE0EEEvT1_
	.p2align	8
	.type	_ZN7rocprim17ROCPRIM_400000_NS6detail17trampoline_kernelINS0_14default_configENS1_25partition_config_selectorILNS1_17partition_subalgoE8ElNS0_10empty_typeEbEEZZNS1_14partition_implILS5_8ELb0ES3_jPlPS6_PKS6_NS0_5tupleIJS9_S6_EEENSD_IJSA_SA_EEENS0_18inequality_wrapperIZN2at6native12_GLOBAL__N_124unique_dim_cuda_templateItEESt5tupleIJNSH_6TensorESM_SM_EERKSM_lbbbEUlllE0_EEPmJS6_EEE10hipError_tPvRmT3_T4_T5_T6_T7_T9_mT8_P12ihipStream_tbDpT10_ENKUlT_T0_E_clISt17integral_constantIbLb0EES1B_IbLb1EEEEDaS17_S18_EUlS17_E_NS1_11comp_targetILNS1_3genE9ELNS1_11target_archE1100ELNS1_3gpuE3ELNS1_3repE0EEENS1_30default_config_static_selectorELNS0_4arch9wavefront6targetE0EEEvT1_,@function
_ZN7rocprim17ROCPRIM_400000_NS6detail17trampoline_kernelINS0_14default_configENS1_25partition_config_selectorILNS1_17partition_subalgoE8ElNS0_10empty_typeEbEEZZNS1_14partition_implILS5_8ELb0ES3_jPlPS6_PKS6_NS0_5tupleIJS9_S6_EEENSD_IJSA_SA_EEENS0_18inequality_wrapperIZN2at6native12_GLOBAL__N_124unique_dim_cuda_templateItEESt5tupleIJNSH_6TensorESM_SM_EERKSM_lbbbEUlllE0_EEPmJS6_EEE10hipError_tPvRmT3_T4_T5_T6_T7_T9_mT8_P12ihipStream_tbDpT10_ENKUlT_T0_E_clISt17integral_constantIbLb0EES1B_IbLb1EEEEDaS17_S18_EUlS17_E_NS1_11comp_targetILNS1_3genE9ELNS1_11target_archE1100ELNS1_3gpuE3ELNS1_3repE0EEENS1_30default_config_static_selectorELNS0_4arch9wavefront6targetE0EEEvT1_: ; @_ZN7rocprim17ROCPRIM_400000_NS6detail17trampoline_kernelINS0_14default_configENS1_25partition_config_selectorILNS1_17partition_subalgoE8ElNS0_10empty_typeEbEEZZNS1_14partition_implILS5_8ELb0ES3_jPlPS6_PKS6_NS0_5tupleIJS9_S6_EEENSD_IJSA_SA_EEENS0_18inequality_wrapperIZN2at6native12_GLOBAL__N_124unique_dim_cuda_templateItEESt5tupleIJNSH_6TensorESM_SM_EERKSM_lbbbEUlllE0_EEPmJS6_EEE10hipError_tPvRmT3_T4_T5_T6_T7_T9_mT8_P12ihipStream_tbDpT10_ENKUlT_T0_E_clISt17integral_constantIbLb0EES1B_IbLb1EEEEDaS17_S18_EUlS17_E_NS1_11comp_targetILNS1_3genE9ELNS1_11target_archE1100ELNS1_3gpuE3ELNS1_3repE0EEENS1_30default_config_static_selectorELNS0_4arch9wavefront6targetE0EEEvT1_
; %bb.0:
	.section	.rodata,"a",@progbits
	.p2align	6, 0x0
	.amdhsa_kernel _ZN7rocprim17ROCPRIM_400000_NS6detail17trampoline_kernelINS0_14default_configENS1_25partition_config_selectorILNS1_17partition_subalgoE8ElNS0_10empty_typeEbEEZZNS1_14partition_implILS5_8ELb0ES3_jPlPS6_PKS6_NS0_5tupleIJS9_S6_EEENSD_IJSA_SA_EEENS0_18inequality_wrapperIZN2at6native12_GLOBAL__N_124unique_dim_cuda_templateItEESt5tupleIJNSH_6TensorESM_SM_EERKSM_lbbbEUlllE0_EEPmJS6_EEE10hipError_tPvRmT3_T4_T5_T6_T7_T9_mT8_P12ihipStream_tbDpT10_ENKUlT_T0_E_clISt17integral_constantIbLb0EES1B_IbLb1EEEEDaS17_S18_EUlS17_E_NS1_11comp_targetILNS1_3genE9ELNS1_11target_archE1100ELNS1_3gpuE3ELNS1_3repE0EEENS1_30default_config_static_selectorELNS0_4arch9wavefront6targetE0EEEvT1_
		.amdhsa_group_segment_fixed_size 0
		.amdhsa_private_segment_fixed_size 0
		.amdhsa_kernarg_size 136
		.amdhsa_user_sgpr_count 2
		.amdhsa_user_sgpr_dispatch_ptr 0
		.amdhsa_user_sgpr_queue_ptr 0
		.amdhsa_user_sgpr_kernarg_segment_ptr 1
		.amdhsa_user_sgpr_dispatch_id 0
		.amdhsa_user_sgpr_kernarg_preload_length 0
		.amdhsa_user_sgpr_kernarg_preload_offset 0
		.amdhsa_user_sgpr_private_segment_size 0
		.amdhsa_wavefront_size32 1
		.amdhsa_uses_dynamic_stack 0
		.amdhsa_enable_private_segment 0
		.amdhsa_system_sgpr_workgroup_id_x 1
		.amdhsa_system_sgpr_workgroup_id_y 0
		.amdhsa_system_sgpr_workgroup_id_z 0
		.amdhsa_system_sgpr_workgroup_info 0
		.amdhsa_system_vgpr_workitem_id 0
		.amdhsa_next_free_vgpr 1
		.amdhsa_next_free_sgpr 1
		.amdhsa_named_barrier_count 0
		.amdhsa_reserve_vcc 0
		.amdhsa_float_round_mode_32 0
		.amdhsa_float_round_mode_16_64 0
		.amdhsa_float_denorm_mode_32 3
		.amdhsa_float_denorm_mode_16_64 3
		.amdhsa_fp16_overflow 0
		.amdhsa_memory_ordered 1
		.amdhsa_forward_progress 1
		.amdhsa_inst_pref_size 0
		.amdhsa_round_robin_scheduling 0
		.amdhsa_exception_fp_ieee_invalid_op 0
		.amdhsa_exception_fp_denorm_src 0
		.amdhsa_exception_fp_ieee_div_zero 0
		.amdhsa_exception_fp_ieee_overflow 0
		.amdhsa_exception_fp_ieee_underflow 0
		.amdhsa_exception_fp_ieee_inexact 0
		.amdhsa_exception_int_div_zero 0
	.end_amdhsa_kernel
	.section	.text._ZN7rocprim17ROCPRIM_400000_NS6detail17trampoline_kernelINS0_14default_configENS1_25partition_config_selectorILNS1_17partition_subalgoE8ElNS0_10empty_typeEbEEZZNS1_14partition_implILS5_8ELb0ES3_jPlPS6_PKS6_NS0_5tupleIJS9_S6_EEENSD_IJSA_SA_EEENS0_18inequality_wrapperIZN2at6native12_GLOBAL__N_124unique_dim_cuda_templateItEESt5tupleIJNSH_6TensorESM_SM_EERKSM_lbbbEUlllE0_EEPmJS6_EEE10hipError_tPvRmT3_T4_T5_T6_T7_T9_mT8_P12ihipStream_tbDpT10_ENKUlT_T0_E_clISt17integral_constantIbLb0EES1B_IbLb1EEEEDaS17_S18_EUlS17_E_NS1_11comp_targetILNS1_3genE9ELNS1_11target_archE1100ELNS1_3gpuE3ELNS1_3repE0EEENS1_30default_config_static_selectorELNS0_4arch9wavefront6targetE0EEEvT1_,"axG",@progbits,_ZN7rocprim17ROCPRIM_400000_NS6detail17trampoline_kernelINS0_14default_configENS1_25partition_config_selectorILNS1_17partition_subalgoE8ElNS0_10empty_typeEbEEZZNS1_14partition_implILS5_8ELb0ES3_jPlPS6_PKS6_NS0_5tupleIJS9_S6_EEENSD_IJSA_SA_EEENS0_18inequality_wrapperIZN2at6native12_GLOBAL__N_124unique_dim_cuda_templateItEESt5tupleIJNSH_6TensorESM_SM_EERKSM_lbbbEUlllE0_EEPmJS6_EEE10hipError_tPvRmT3_T4_T5_T6_T7_T9_mT8_P12ihipStream_tbDpT10_ENKUlT_T0_E_clISt17integral_constantIbLb0EES1B_IbLb1EEEEDaS17_S18_EUlS17_E_NS1_11comp_targetILNS1_3genE9ELNS1_11target_archE1100ELNS1_3gpuE3ELNS1_3repE0EEENS1_30default_config_static_selectorELNS0_4arch9wavefront6targetE0EEEvT1_,comdat
.Lfunc_end1449:
	.size	_ZN7rocprim17ROCPRIM_400000_NS6detail17trampoline_kernelINS0_14default_configENS1_25partition_config_selectorILNS1_17partition_subalgoE8ElNS0_10empty_typeEbEEZZNS1_14partition_implILS5_8ELb0ES3_jPlPS6_PKS6_NS0_5tupleIJS9_S6_EEENSD_IJSA_SA_EEENS0_18inequality_wrapperIZN2at6native12_GLOBAL__N_124unique_dim_cuda_templateItEESt5tupleIJNSH_6TensorESM_SM_EERKSM_lbbbEUlllE0_EEPmJS6_EEE10hipError_tPvRmT3_T4_T5_T6_T7_T9_mT8_P12ihipStream_tbDpT10_ENKUlT_T0_E_clISt17integral_constantIbLb0EES1B_IbLb1EEEEDaS17_S18_EUlS17_E_NS1_11comp_targetILNS1_3genE9ELNS1_11target_archE1100ELNS1_3gpuE3ELNS1_3repE0EEENS1_30default_config_static_selectorELNS0_4arch9wavefront6targetE0EEEvT1_, .Lfunc_end1449-_ZN7rocprim17ROCPRIM_400000_NS6detail17trampoline_kernelINS0_14default_configENS1_25partition_config_selectorILNS1_17partition_subalgoE8ElNS0_10empty_typeEbEEZZNS1_14partition_implILS5_8ELb0ES3_jPlPS6_PKS6_NS0_5tupleIJS9_S6_EEENSD_IJSA_SA_EEENS0_18inequality_wrapperIZN2at6native12_GLOBAL__N_124unique_dim_cuda_templateItEESt5tupleIJNSH_6TensorESM_SM_EERKSM_lbbbEUlllE0_EEPmJS6_EEE10hipError_tPvRmT3_T4_T5_T6_T7_T9_mT8_P12ihipStream_tbDpT10_ENKUlT_T0_E_clISt17integral_constantIbLb0EES1B_IbLb1EEEEDaS17_S18_EUlS17_E_NS1_11comp_targetILNS1_3genE9ELNS1_11target_archE1100ELNS1_3gpuE3ELNS1_3repE0EEENS1_30default_config_static_selectorELNS0_4arch9wavefront6targetE0EEEvT1_
                                        ; -- End function
	.set _ZN7rocprim17ROCPRIM_400000_NS6detail17trampoline_kernelINS0_14default_configENS1_25partition_config_selectorILNS1_17partition_subalgoE8ElNS0_10empty_typeEbEEZZNS1_14partition_implILS5_8ELb0ES3_jPlPS6_PKS6_NS0_5tupleIJS9_S6_EEENSD_IJSA_SA_EEENS0_18inequality_wrapperIZN2at6native12_GLOBAL__N_124unique_dim_cuda_templateItEESt5tupleIJNSH_6TensorESM_SM_EERKSM_lbbbEUlllE0_EEPmJS6_EEE10hipError_tPvRmT3_T4_T5_T6_T7_T9_mT8_P12ihipStream_tbDpT10_ENKUlT_T0_E_clISt17integral_constantIbLb0EES1B_IbLb1EEEEDaS17_S18_EUlS17_E_NS1_11comp_targetILNS1_3genE9ELNS1_11target_archE1100ELNS1_3gpuE3ELNS1_3repE0EEENS1_30default_config_static_selectorELNS0_4arch9wavefront6targetE0EEEvT1_.num_vgpr, 0
	.set _ZN7rocprim17ROCPRIM_400000_NS6detail17trampoline_kernelINS0_14default_configENS1_25partition_config_selectorILNS1_17partition_subalgoE8ElNS0_10empty_typeEbEEZZNS1_14partition_implILS5_8ELb0ES3_jPlPS6_PKS6_NS0_5tupleIJS9_S6_EEENSD_IJSA_SA_EEENS0_18inequality_wrapperIZN2at6native12_GLOBAL__N_124unique_dim_cuda_templateItEESt5tupleIJNSH_6TensorESM_SM_EERKSM_lbbbEUlllE0_EEPmJS6_EEE10hipError_tPvRmT3_T4_T5_T6_T7_T9_mT8_P12ihipStream_tbDpT10_ENKUlT_T0_E_clISt17integral_constantIbLb0EES1B_IbLb1EEEEDaS17_S18_EUlS17_E_NS1_11comp_targetILNS1_3genE9ELNS1_11target_archE1100ELNS1_3gpuE3ELNS1_3repE0EEENS1_30default_config_static_selectorELNS0_4arch9wavefront6targetE0EEEvT1_.num_agpr, 0
	.set _ZN7rocprim17ROCPRIM_400000_NS6detail17trampoline_kernelINS0_14default_configENS1_25partition_config_selectorILNS1_17partition_subalgoE8ElNS0_10empty_typeEbEEZZNS1_14partition_implILS5_8ELb0ES3_jPlPS6_PKS6_NS0_5tupleIJS9_S6_EEENSD_IJSA_SA_EEENS0_18inequality_wrapperIZN2at6native12_GLOBAL__N_124unique_dim_cuda_templateItEESt5tupleIJNSH_6TensorESM_SM_EERKSM_lbbbEUlllE0_EEPmJS6_EEE10hipError_tPvRmT3_T4_T5_T6_T7_T9_mT8_P12ihipStream_tbDpT10_ENKUlT_T0_E_clISt17integral_constantIbLb0EES1B_IbLb1EEEEDaS17_S18_EUlS17_E_NS1_11comp_targetILNS1_3genE9ELNS1_11target_archE1100ELNS1_3gpuE3ELNS1_3repE0EEENS1_30default_config_static_selectorELNS0_4arch9wavefront6targetE0EEEvT1_.numbered_sgpr, 0
	.set _ZN7rocprim17ROCPRIM_400000_NS6detail17trampoline_kernelINS0_14default_configENS1_25partition_config_selectorILNS1_17partition_subalgoE8ElNS0_10empty_typeEbEEZZNS1_14partition_implILS5_8ELb0ES3_jPlPS6_PKS6_NS0_5tupleIJS9_S6_EEENSD_IJSA_SA_EEENS0_18inequality_wrapperIZN2at6native12_GLOBAL__N_124unique_dim_cuda_templateItEESt5tupleIJNSH_6TensorESM_SM_EERKSM_lbbbEUlllE0_EEPmJS6_EEE10hipError_tPvRmT3_T4_T5_T6_T7_T9_mT8_P12ihipStream_tbDpT10_ENKUlT_T0_E_clISt17integral_constantIbLb0EES1B_IbLb1EEEEDaS17_S18_EUlS17_E_NS1_11comp_targetILNS1_3genE9ELNS1_11target_archE1100ELNS1_3gpuE3ELNS1_3repE0EEENS1_30default_config_static_selectorELNS0_4arch9wavefront6targetE0EEEvT1_.num_named_barrier, 0
	.set _ZN7rocprim17ROCPRIM_400000_NS6detail17trampoline_kernelINS0_14default_configENS1_25partition_config_selectorILNS1_17partition_subalgoE8ElNS0_10empty_typeEbEEZZNS1_14partition_implILS5_8ELb0ES3_jPlPS6_PKS6_NS0_5tupleIJS9_S6_EEENSD_IJSA_SA_EEENS0_18inequality_wrapperIZN2at6native12_GLOBAL__N_124unique_dim_cuda_templateItEESt5tupleIJNSH_6TensorESM_SM_EERKSM_lbbbEUlllE0_EEPmJS6_EEE10hipError_tPvRmT3_T4_T5_T6_T7_T9_mT8_P12ihipStream_tbDpT10_ENKUlT_T0_E_clISt17integral_constantIbLb0EES1B_IbLb1EEEEDaS17_S18_EUlS17_E_NS1_11comp_targetILNS1_3genE9ELNS1_11target_archE1100ELNS1_3gpuE3ELNS1_3repE0EEENS1_30default_config_static_selectorELNS0_4arch9wavefront6targetE0EEEvT1_.private_seg_size, 0
	.set _ZN7rocprim17ROCPRIM_400000_NS6detail17trampoline_kernelINS0_14default_configENS1_25partition_config_selectorILNS1_17partition_subalgoE8ElNS0_10empty_typeEbEEZZNS1_14partition_implILS5_8ELb0ES3_jPlPS6_PKS6_NS0_5tupleIJS9_S6_EEENSD_IJSA_SA_EEENS0_18inequality_wrapperIZN2at6native12_GLOBAL__N_124unique_dim_cuda_templateItEESt5tupleIJNSH_6TensorESM_SM_EERKSM_lbbbEUlllE0_EEPmJS6_EEE10hipError_tPvRmT3_T4_T5_T6_T7_T9_mT8_P12ihipStream_tbDpT10_ENKUlT_T0_E_clISt17integral_constantIbLb0EES1B_IbLb1EEEEDaS17_S18_EUlS17_E_NS1_11comp_targetILNS1_3genE9ELNS1_11target_archE1100ELNS1_3gpuE3ELNS1_3repE0EEENS1_30default_config_static_selectorELNS0_4arch9wavefront6targetE0EEEvT1_.uses_vcc, 0
	.set _ZN7rocprim17ROCPRIM_400000_NS6detail17trampoline_kernelINS0_14default_configENS1_25partition_config_selectorILNS1_17partition_subalgoE8ElNS0_10empty_typeEbEEZZNS1_14partition_implILS5_8ELb0ES3_jPlPS6_PKS6_NS0_5tupleIJS9_S6_EEENSD_IJSA_SA_EEENS0_18inequality_wrapperIZN2at6native12_GLOBAL__N_124unique_dim_cuda_templateItEESt5tupleIJNSH_6TensorESM_SM_EERKSM_lbbbEUlllE0_EEPmJS6_EEE10hipError_tPvRmT3_T4_T5_T6_T7_T9_mT8_P12ihipStream_tbDpT10_ENKUlT_T0_E_clISt17integral_constantIbLb0EES1B_IbLb1EEEEDaS17_S18_EUlS17_E_NS1_11comp_targetILNS1_3genE9ELNS1_11target_archE1100ELNS1_3gpuE3ELNS1_3repE0EEENS1_30default_config_static_selectorELNS0_4arch9wavefront6targetE0EEEvT1_.uses_flat_scratch, 0
	.set _ZN7rocprim17ROCPRIM_400000_NS6detail17trampoline_kernelINS0_14default_configENS1_25partition_config_selectorILNS1_17partition_subalgoE8ElNS0_10empty_typeEbEEZZNS1_14partition_implILS5_8ELb0ES3_jPlPS6_PKS6_NS0_5tupleIJS9_S6_EEENSD_IJSA_SA_EEENS0_18inequality_wrapperIZN2at6native12_GLOBAL__N_124unique_dim_cuda_templateItEESt5tupleIJNSH_6TensorESM_SM_EERKSM_lbbbEUlllE0_EEPmJS6_EEE10hipError_tPvRmT3_T4_T5_T6_T7_T9_mT8_P12ihipStream_tbDpT10_ENKUlT_T0_E_clISt17integral_constantIbLb0EES1B_IbLb1EEEEDaS17_S18_EUlS17_E_NS1_11comp_targetILNS1_3genE9ELNS1_11target_archE1100ELNS1_3gpuE3ELNS1_3repE0EEENS1_30default_config_static_selectorELNS0_4arch9wavefront6targetE0EEEvT1_.has_dyn_sized_stack, 0
	.set _ZN7rocprim17ROCPRIM_400000_NS6detail17trampoline_kernelINS0_14default_configENS1_25partition_config_selectorILNS1_17partition_subalgoE8ElNS0_10empty_typeEbEEZZNS1_14partition_implILS5_8ELb0ES3_jPlPS6_PKS6_NS0_5tupleIJS9_S6_EEENSD_IJSA_SA_EEENS0_18inequality_wrapperIZN2at6native12_GLOBAL__N_124unique_dim_cuda_templateItEESt5tupleIJNSH_6TensorESM_SM_EERKSM_lbbbEUlllE0_EEPmJS6_EEE10hipError_tPvRmT3_T4_T5_T6_T7_T9_mT8_P12ihipStream_tbDpT10_ENKUlT_T0_E_clISt17integral_constantIbLb0EES1B_IbLb1EEEEDaS17_S18_EUlS17_E_NS1_11comp_targetILNS1_3genE9ELNS1_11target_archE1100ELNS1_3gpuE3ELNS1_3repE0EEENS1_30default_config_static_selectorELNS0_4arch9wavefront6targetE0EEEvT1_.has_recursion, 0
	.set _ZN7rocprim17ROCPRIM_400000_NS6detail17trampoline_kernelINS0_14default_configENS1_25partition_config_selectorILNS1_17partition_subalgoE8ElNS0_10empty_typeEbEEZZNS1_14partition_implILS5_8ELb0ES3_jPlPS6_PKS6_NS0_5tupleIJS9_S6_EEENSD_IJSA_SA_EEENS0_18inequality_wrapperIZN2at6native12_GLOBAL__N_124unique_dim_cuda_templateItEESt5tupleIJNSH_6TensorESM_SM_EERKSM_lbbbEUlllE0_EEPmJS6_EEE10hipError_tPvRmT3_T4_T5_T6_T7_T9_mT8_P12ihipStream_tbDpT10_ENKUlT_T0_E_clISt17integral_constantIbLb0EES1B_IbLb1EEEEDaS17_S18_EUlS17_E_NS1_11comp_targetILNS1_3genE9ELNS1_11target_archE1100ELNS1_3gpuE3ELNS1_3repE0EEENS1_30default_config_static_selectorELNS0_4arch9wavefront6targetE0EEEvT1_.has_indirect_call, 0
	.section	.AMDGPU.csdata,"",@progbits
; Kernel info:
; codeLenInByte = 0
; TotalNumSgprs: 0
; NumVgprs: 0
; ScratchSize: 0
; MemoryBound: 0
; FloatMode: 240
; IeeeMode: 1
; LDSByteSize: 0 bytes/workgroup (compile time only)
; SGPRBlocks: 0
; VGPRBlocks: 0
; NumSGPRsForWavesPerEU: 1
; NumVGPRsForWavesPerEU: 1
; NamedBarCnt: 0
; Occupancy: 16
; WaveLimiterHint : 0
; COMPUTE_PGM_RSRC2:SCRATCH_EN: 0
; COMPUTE_PGM_RSRC2:USER_SGPR: 2
; COMPUTE_PGM_RSRC2:TRAP_HANDLER: 0
; COMPUTE_PGM_RSRC2:TGID_X_EN: 1
; COMPUTE_PGM_RSRC2:TGID_Y_EN: 0
; COMPUTE_PGM_RSRC2:TGID_Z_EN: 0
; COMPUTE_PGM_RSRC2:TIDIG_COMP_CNT: 0
	.section	.text._ZN7rocprim17ROCPRIM_400000_NS6detail17trampoline_kernelINS0_14default_configENS1_25partition_config_selectorILNS1_17partition_subalgoE8ElNS0_10empty_typeEbEEZZNS1_14partition_implILS5_8ELb0ES3_jPlPS6_PKS6_NS0_5tupleIJS9_S6_EEENSD_IJSA_SA_EEENS0_18inequality_wrapperIZN2at6native12_GLOBAL__N_124unique_dim_cuda_templateItEESt5tupleIJNSH_6TensorESM_SM_EERKSM_lbbbEUlllE0_EEPmJS6_EEE10hipError_tPvRmT3_T4_T5_T6_T7_T9_mT8_P12ihipStream_tbDpT10_ENKUlT_T0_E_clISt17integral_constantIbLb0EES1B_IbLb1EEEEDaS17_S18_EUlS17_E_NS1_11comp_targetILNS1_3genE8ELNS1_11target_archE1030ELNS1_3gpuE2ELNS1_3repE0EEENS1_30default_config_static_selectorELNS0_4arch9wavefront6targetE0EEEvT1_,"axG",@progbits,_ZN7rocprim17ROCPRIM_400000_NS6detail17trampoline_kernelINS0_14default_configENS1_25partition_config_selectorILNS1_17partition_subalgoE8ElNS0_10empty_typeEbEEZZNS1_14partition_implILS5_8ELb0ES3_jPlPS6_PKS6_NS0_5tupleIJS9_S6_EEENSD_IJSA_SA_EEENS0_18inequality_wrapperIZN2at6native12_GLOBAL__N_124unique_dim_cuda_templateItEESt5tupleIJNSH_6TensorESM_SM_EERKSM_lbbbEUlllE0_EEPmJS6_EEE10hipError_tPvRmT3_T4_T5_T6_T7_T9_mT8_P12ihipStream_tbDpT10_ENKUlT_T0_E_clISt17integral_constantIbLb0EES1B_IbLb1EEEEDaS17_S18_EUlS17_E_NS1_11comp_targetILNS1_3genE8ELNS1_11target_archE1030ELNS1_3gpuE2ELNS1_3repE0EEENS1_30default_config_static_selectorELNS0_4arch9wavefront6targetE0EEEvT1_,comdat
	.globl	_ZN7rocprim17ROCPRIM_400000_NS6detail17trampoline_kernelINS0_14default_configENS1_25partition_config_selectorILNS1_17partition_subalgoE8ElNS0_10empty_typeEbEEZZNS1_14partition_implILS5_8ELb0ES3_jPlPS6_PKS6_NS0_5tupleIJS9_S6_EEENSD_IJSA_SA_EEENS0_18inequality_wrapperIZN2at6native12_GLOBAL__N_124unique_dim_cuda_templateItEESt5tupleIJNSH_6TensorESM_SM_EERKSM_lbbbEUlllE0_EEPmJS6_EEE10hipError_tPvRmT3_T4_T5_T6_T7_T9_mT8_P12ihipStream_tbDpT10_ENKUlT_T0_E_clISt17integral_constantIbLb0EES1B_IbLb1EEEEDaS17_S18_EUlS17_E_NS1_11comp_targetILNS1_3genE8ELNS1_11target_archE1030ELNS1_3gpuE2ELNS1_3repE0EEENS1_30default_config_static_selectorELNS0_4arch9wavefront6targetE0EEEvT1_ ; -- Begin function _ZN7rocprim17ROCPRIM_400000_NS6detail17trampoline_kernelINS0_14default_configENS1_25partition_config_selectorILNS1_17partition_subalgoE8ElNS0_10empty_typeEbEEZZNS1_14partition_implILS5_8ELb0ES3_jPlPS6_PKS6_NS0_5tupleIJS9_S6_EEENSD_IJSA_SA_EEENS0_18inequality_wrapperIZN2at6native12_GLOBAL__N_124unique_dim_cuda_templateItEESt5tupleIJNSH_6TensorESM_SM_EERKSM_lbbbEUlllE0_EEPmJS6_EEE10hipError_tPvRmT3_T4_T5_T6_T7_T9_mT8_P12ihipStream_tbDpT10_ENKUlT_T0_E_clISt17integral_constantIbLb0EES1B_IbLb1EEEEDaS17_S18_EUlS17_E_NS1_11comp_targetILNS1_3genE8ELNS1_11target_archE1030ELNS1_3gpuE2ELNS1_3repE0EEENS1_30default_config_static_selectorELNS0_4arch9wavefront6targetE0EEEvT1_
	.p2align	8
	.type	_ZN7rocprim17ROCPRIM_400000_NS6detail17trampoline_kernelINS0_14default_configENS1_25partition_config_selectorILNS1_17partition_subalgoE8ElNS0_10empty_typeEbEEZZNS1_14partition_implILS5_8ELb0ES3_jPlPS6_PKS6_NS0_5tupleIJS9_S6_EEENSD_IJSA_SA_EEENS0_18inequality_wrapperIZN2at6native12_GLOBAL__N_124unique_dim_cuda_templateItEESt5tupleIJNSH_6TensorESM_SM_EERKSM_lbbbEUlllE0_EEPmJS6_EEE10hipError_tPvRmT3_T4_T5_T6_T7_T9_mT8_P12ihipStream_tbDpT10_ENKUlT_T0_E_clISt17integral_constantIbLb0EES1B_IbLb1EEEEDaS17_S18_EUlS17_E_NS1_11comp_targetILNS1_3genE8ELNS1_11target_archE1030ELNS1_3gpuE2ELNS1_3repE0EEENS1_30default_config_static_selectorELNS0_4arch9wavefront6targetE0EEEvT1_,@function
_ZN7rocprim17ROCPRIM_400000_NS6detail17trampoline_kernelINS0_14default_configENS1_25partition_config_selectorILNS1_17partition_subalgoE8ElNS0_10empty_typeEbEEZZNS1_14partition_implILS5_8ELb0ES3_jPlPS6_PKS6_NS0_5tupleIJS9_S6_EEENSD_IJSA_SA_EEENS0_18inequality_wrapperIZN2at6native12_GLOBAL__N_124unique_dim_cuda_templateItEESt5tupleIJNSH_6TensorESM_SM_EERKSM_lbbbEUlllE0_EEPmJS6_EEE10hipError_tPvRmT3_T4_T5_T6_T7_T9_mT8_P12ihipStream_tbDpT10_ENKUlT_T0_E_clISt17integral_constantIbLb0EES1B_IbLb1EEEEDaS17_S18_EUlS17_E_NS1_11comp_targetILNS1_3genE8ELNS1_11target_archE1030ELNS1_3gpuE2ELNS1_3repE0EEENS1_30default_config_static_selectorELNS0_4arch9wavefront6targetE0EEEvT1_: ; @_ZN7rocprim17ROCPRIM_400000_NS6detail17trampoline_kernelINS0_14default_configENS1_25partition_config_selectorILNS1_17partition_subalgoE8ElNS0_10empty_typeEbEEZZNS1_14partition_implILS5_8ELb0ES3_jPlPS6_PKS6_NS0_5tupleIJS9_S6_EEENSD_IJSA_SA_EEENS0_18inequality_wrapperIZN2at6native12_GLOBAL__N_124unique_dim_cuda_templateItEESt5tupleIJNSH_6TensorESM_SM_EERKSM_lbbbEUlllE0_EEPmJS6_EEE10hipError_tPvRmT3_T4_T5_T6_T7_T9_mT8_P12ihipStream_tbDpT10_ENKUlT_T0_E_clISt17integral_constantIbLb0EES1B_IbLb1EEEEDaS17_S18_EUlS17_E_NS1_11comp_targetILNS1_3genE8ELNS1_11target_archE1030ELNS1_3gpuE2ELNS1_3repE0EEENS1_30default_config_static_selectorELNS0_4arch9wavefront6targetE0EEEvT1_
; %bb.0:
	.section	.rodata,"a",@progbits
	.p2align	6, 0x0
	.amdhsa_kernel _ZN7rocprim17ROCPRIM_400000_NS6detail17trampoline_kernelINS0_14default_configENS1_25partition_config_selectorILNS1_17partition_subalgoE8ElNS0_10empty_typeEbEEZZNS1_14partition_implILS5_8ELb0ES3_jPlPS6_PKS6_NS0_5tupleIJS9_S6_EEENSD_IJSA_SA_EEENS0_18inequality_wrapperIZN2at6native12_GLOBAL__N_124unique_dim_cuda_templateItEESt5tupleIJNSH_6TensorESM_SM_EERKSM_lbbbEUlllE0_EEPmJS6_EEE10hipError_tPvRmT3_T4_T5_T6_T7_T9_mT8_P12ihipStream_tbDpT10_ENKUlT_T0_E_clISt17integral_constantIbLb0EES1B_IbLb1EEEEDaS17_S18_EUlS17_E_NS1_11comp_targetILNS1_3genE8ELNS1_11target_archE1030ELNS1_3gpuE2ELNS1_3repE0EEENS1_30default_config_static_selectorELNS0_4arch9wavefront6targetE0EEEvT1_
		.amdhsa_group_segment_fixed_size 0
		.amdhsa_private_segment_fixed_size 0
		.amdhsa_kernarg_size 136
		.amdhsa_user_sgpr_count 2
		.amdhsa_user_sgpr_dispatch_ptr 0
		.amdhsa_user_sgpr_queue_ptr 0
		.amdhsa_user_sgpr_kernarg_segment_ptr 1
		.amdhsa_user_sgpr_dispatch_id 0
		.amdhsa_user_sgpr_kernarg_preload_length 0
		.amdhsa_user_sgpr_kernarg_preload_offset 0
		.amdhsa_user_sgpr_private_segment_size 0
		.amdhsa_wavefront_size32 1
		.amdhsa_uses_dynamic_stack 0
		.amdhsa_enable_private_segment 0
		.amdhsa_system_sgpr_workgroup_id_x 1
		.amdhsa_system_sgpr_workgroup_id_y 0
		.amdhsa_system_sgpr_workgroup_id_z 0
		.amdhsa_system_sgpr_workgroup_info 0
		.amdhsa_system_vgpr_workitem_id 0
		.amdhsa_next_free_vgpr 1
		.amdhsa_next_free_sgpr 1
		.amdhsa_named_barrier_count 0
		.amdhsa_reserve_vcc 0
		.amdhsa_float_round_mode_32 0
		.amdhsa_float_round_mode_16_64 0
		.amdhsa_float_denorm_mode_32 3
		.amdhsa_float_denorm_mode_16_64 3
		.amdhsa_fp16_overflow 0
		.amdhsa_memory_ordered 1
		.amdhsa_forward_progress 1
		.amdhsa_inst_pref_size 0
		.amdhsa_round_robin_scheduling 0
		.amdhsa_exception_fp_ieee_invalid_op 0
		.amdhsa_exception_fp_denorm_src 0
		.amdhsa_exception_fp_ieee_div_zero 0
		.amdhsa_exception_fp_ieee_overflow 0
		.amdhsa_exception_fp_ieee_underflow 0
		.amdhsa_exception_fp_ieee_inexact 0
		.amdhsa_exception_int_div_zero 0
	.end_amdhsa_kernel
	.section	.text._ZN7rocprim17ROCPRIM_400000_NS6detail17trampoline_kernelINS0_14default_configENS1_25partition_config_selectorILNS1_17partition_subalgoE8ElNS0_10empty_typeEbEEZZNS1_14partition_implILS5_8ELb0ES3_jPlPS6_PKS6_NS0_5tupleIJS9_S6_EEENSD_IJSA_SA_EEENS0_18inequality_wrapperIZN2at6native12_GLOBAL__N_124unique_dim_cuda_templateItEESt5tupleIJNSH_6TensorESM_SM_EERKSM_lbbbEUlllE0_EEPmJS6_EEE10hipError_tPvRmT3_T4_T5_T6_T7_T9_mT8_P12ihipStream_tbDpT10_ENKUlT_T0_E_clISt17integral_constantIbLb0EES1B_IbLb1EEEEDaS17_S18_EUlS17_E_NS1_11comp_targetILNS1_3genE8ELNS1_11target_archE1030ELNS1_3gpuE2ELNS1_3repE0EEENS1_30default_config_static_selectorELNS0_4arch9wavefront6targetE0EEEvT1_,"axG",@progbits,_ZN7rocprim17ROCPRIM_400000_NS6detail17trampoline_kernelINS0_14default_configENS1_25partition_config_selectorILNS1_17partition_subalgoE8ElNS0_10empty_typeEbEEZZNS1_14partition_implILS5_8ELb0ES3_jPlPS6_PKS6_NS0_5tupleIJS9_S6_EEENSD_IJSA_SA_EEENS0_18inequality_wrapperIZN2at6native12_GLOBAL__N_124unique_dim_cuda_templateItEESt5tupleIJNSH_6TensorESM_SM_EERKSM_lbbbEUlllE0_EEPmJS6_EEE10hipError_tPvRmT3_T4_T5_T6_T7_T9_mT8_P12ihipStream_tbDpT10_ENKUlT_T0_E_clISt17integral_constantIbLb0EES1B_IbLb1EEEEDaS17_S18_EUlS17_E_NS1_11comp_targetILNS1_3genE8ELNS1_11target_archE1030ELNS1_3gpuE2ELNS1_3repE0EEENS1_30default_config_static_selectorELNS0_4arch9wavefront6targetE0EEEvT1_,comdat
.Lfunc_end1450:
	.size	_ZN7rocprim17ROCPRIM_400000_NS6detail17trampoline_kernelINS0_14default_configENS1_25partition_config_selectorILNS1_17partition_subalgoE8ElNS0_10empty_typeEbEEZZNS1_14partition_implILS5_8ELb0ES3_jPlPS6_PKS6_NS0_5tupleIJS9_S6_EEENSD_IJSA_SA_EEENS0_18inequality_wrapperIZN2at6native12_GLOBAL__N_124unique_dim_cuda_templateItEESt5tupleIJNSH_6TensorESM_SM_EERKSM_lbbbEUlllE0_EEPmJS6_EEE10hipError_tPvRmT3_T4_T5_T6_T7_T9_mT8_P12ihipStream_tbDpT10_ENKUlT_T0_E_clISt17integral_constantIbLb0EES1B_IbLb1EEEEDaS17_S18_EUlS17_E_NS1_11comp_targetILNS1_3genE8ELNS1_11target_archE1030ELNS1_3gpuE2ELNS1_3repE0EEENS1_30default_config_static_selectorELNS0_4arch9wavefront6targetE0EEEvT1_, .Lfunc_end1450-_ZN7rocprim17ROCPRIM_400000_NS6detail17trampoline_kernelINS0_14default_configENS1_25partition_config_selectorILNS1_17partition_subalgoE8ElNS0_10empty_typeEbEEZZNS1_14partition_implILS5_8ELb0ES3_jPlPS6_PKS6_NS0_5tupleIJS9_S6_EEENSD_IJSA_SA_EEENS0_18inequality_wrapperIZN2at6native12_GLOBAL__N_124unique_dim_cuda_templateItEESt5tupleIJNSH_6TensorESM_SM_EERKSM_lbbbEUlllE0_EEPmJS6_EEE10hipError_tPvRmT3_T4_T5_T6_T7_T9_mT8_P12ihipStream_tbDpT10_ENKUlT_T0_E_clISt17integral_constantIbLb0EES1B_IbLb1EEEEDaS17_S18_EUlS17_E_NS1_11comp_targetILNS1_3genE8ELNS1_11target_archE1030ELNS1_3gpuE2ELNS1_3repE0EEENS1_30default_config_static_selectorELNS0_4arch9wavefront6targetE0EEEvT1_
                                        ; -- End function
	.set _ZN7rocprim17ROCPRIM_400000_NS6detail17trampoline_kernelINS0_14default_configENS1_25partition_config_selectorILNS1_17partition_subalgoE8ElNS0_10empty_typeEbEEZZNS1_14partition_implILS5_8ELb0ES3_jPlPS6_PKS6_NS0_5tupleIJS9_S6_EEENSD_IJSA_SA_EEENS0_18inequality_wrapperIZN2at6native12_GLOBAL__N_124unique_dim_cuda_templateItEESt5tupleIJNSH_6TensorESM_SM_EERKSM_lbbbEUlllE0_EEPmJS6_EEE10hipError_tPvRmT3_T4_T5_T6_T7_T9_mT8_P12ihipStream_tbDpT10_ENKUlT_T0_E_clISt17integral_constantIbLb0EES1B_IbLb1EEEEDaS17_S18_EUlS17_E_NS1_11comp_targetILNS1_3genE8ELNS1_11target_archE1030ELNS1_3gpuE2ELNS1_3repE0EEENS1_30default_config_static_selectorELNS0_4arch9wavefront6targetE0EEEvT1_.num_vgpr, 0
	.set _ZN7rocprim17ROCPRIM_400000_NS6detail17trampoline_kernelINS0_14default_configENS1_25partition_config_selectorILNS1_17partition_subalgoE8ElNS0_10empty_typeEbEEZZNS1_14partition_implILS5_8ELb0ES3_jPlPS6_PKS6_NS0_5tupleIJS9_S6_EEENSD_IJSA_SA_EEENS0_18inequality_wrapperIZN2at6native12_GLOBAL__N_124unique_dim_cuda_templateItEESt5tupleIJNSH_6TensorESM_SM_EERKSM_lbbbEUlllE0_EEPmJS6_EEE10hipError_tPvRmT3_T4_T5_T6_T7_T9_mT8_P12ihipStream_tbDpT10_ENKUlT_T0_E_clISt17integral_constantIbLb0EES1B_IbLb1EEEEDaS17_S18_EUlS17_E_NS1_11comp_targetILNS1_3genE8ELNS1_11target_archE1030ELNS1_3gpuE2ELNS1_3repE0EEENS1_30default_config_static_selectorELNS0_4arch9wavefront6targetE0EEEvT1_.num_agpr, 0
	.set _ZN7rocprim17ROCPRIM_400000_NS6detail17trampoline_kernelINS0_14default_configENS1_25partition_config_selectorILNS1_17partition_subalgoE8ElNS0_10empty_typeEbEEZZNS1_14partition_implILS5_8ELb0ES3_jPlPS6_PKS6_NS0_5tupleIJS9_S6_EEENSD_IJSA_SA_EEENS0_18inequality_wrapperIZN2at6native12_GLOBAL__N_124unique_dim_cuda_templateItEESt5tupleIJNSH_6TensorESM_SM_EERKSM_lbbbEUlllE0_EEPmJS6_EEE10hipError_tPvRmT3_T4_T5_T6_T7_T9_mT8_P12ihipStream_tbDpT10_ENKUlT_T0_E_clISt17integral_constantIbLb0EES1B_IbLb1EEEEDaS17_S18_EUlS17_E_NS1_11comp_targetILNS1_3genE8ELNS1_11target_archE1030ELNS1_3gpuE2ELNS1_3repE0EEENS1_30default_config_static_selectorELNS0_4arch9wavefront6targetE0EEEvT1_.numbered_sgpr, 0
	.set _ZN7rocprim17ROCPRIM_400000_NS6detail17trampoline_kernelINS0_14default_configENS1_25partition_config_selectorILNS1_17partition_subalgoE8ElNS0_10empty_typeEbEEZZNS1_14partition_implILS5_8ELb0ES3_jPlPS6_PKS6_NS0_5tupleIJS9_S6_EEENSD_IJSA_SA_EEENS0_18inequality_wrapperIZN2at6native12_GLOBAL__N_124unique_dim_cuda_templateItEESt5tupleIJNSH_6TensorESM_SM_EERKSM_lbbbEUlllE0_EEPmJS6_EEE10hipError_tPvRmT3_T4_T5_T6_T7_T9_mT8_P12ihipStream_tbDpT10_ENKUlT_T0_E_clISt17integral_constantIbLb0EES1B_IbLb1EEEEDaS17_S18_EUlS17_E_NS1_11comp_targetILNS1_3genE8ELNS1_11target_archE1030ELNS1_3gpuE2ELNS1_3repE0EEENS1_30default_config_static_selectorELNS0_4arch9wavefront6targetE0EEEvT1_.num_named_barrier, 0
	.set _ZN7rocprim17ROCPRIM_400000_NS6detail17trampoline_kernelINS0_14default_configENS1_25partition_config_selectorILNS1_17partition_subalgoE8ElNS0_10empty_typeEbEEZZNS1_14partition_implILS5_8ELb0ES3_jPlPS6_PKS6_NS0_5tupleIJS9_S6_EEENSD_IJSA_SA_EEENS0_18inequality_wrapperIZN2at6native12_GLOBAL__N_124unique_dim_cuda_templateItEESt5tupleIJNSH_6TensorESM_SM_EERKSM_lbbbEUlllE0_EEPmJS6_EEE10hipError_tPvRmT3_T4_T5_T6_T7_T9_mT8_P12ihipStream_tbDpT10_ENKUlT_T0_E_clISt17integral_constantIbLb0EES1B_IbLb1EEEEDaS17_S18_EUlS17_E_NS1_11comp_targetILNS1_3genE8ELNS1_11target_archE1030ELNS1_3gpuE2ELNS1_3repE0EEENS1_30default_config_static_selectorELNS0_4arch9wavefront6targetE0EEEvT1_.private_seg_size, 0
	.set _ZN7rocprim17ROCPRIM_400000_NS6detail17trampoline_kernelINS0_14default_configENS1_25partition_config_selectorILNS1_17partition_subalgoE8ElNS0_10empty_typeEbEEZZNS1_14partition_implILS5_8ELb0ES3_jPlPS6_PKS6_NS0_5tupleIJS9_S6_EEENSD_IJSA_SA_EEENS0_18inequality_wrapperIZN2at6native12_GLOBAL__N_124unique_dim_cuda_templateItEESt5tupleIJNSH_6TensorESM_SM_EERKSM_lbbbEUlllE0_EEPmJS6_EEE10hipError_tPvRmT3_T4_T5_T6_T7_T9_mT8_P12ihipStream_tbDpT10_ENKUlT_T0_E_clISt17integral_constantIbLb0EES1B_IbLb1EEEEDaS17_S18_EUlS17_E_NS1_11comp_targetILNS1_3genE8ELNS1_11target_archE1030ELNS1_3gpuE2ELNS1_3repE0EEENS1_30default_config_static_selectorELNS0_4arch9wavefront6targetE0EEEvT1_.uses_vcc, 0
	.set _ZN7rocprim17ROCPRIM_400000_NS6detail17trampoline_kernelINS0_14default_configENS1_25partition_config_selectorILNS1_17partition_subalgoE8ElNS0_10empty_typeEbEEZZNS1_14partition_implILS5_8ELb0ES3_jPlPS6_PKS6_NS0_5tupleIJS9_S6_EEENSD_IJSA_SA_EEENS0_18inequality_wrapperIZN2at6native12_GLOBAL__N_124unique_dim_cuda_templateItEESt5tupleIJNSH_6TensorESM_SM_EERKSM_lbbbEUlllE0_EEPmJS6_EEE10hipError_tPvRmT3_T4_T5_T6_T7_T9_mT8_P12ihipStream_tbDpT10_ENKUlT_T0_E_clISt17integral_constantIbLb0EES1B_IbLb1EEEEDaS17_S18_EUlS17_E_NS1_11comp_targetILNS1_3genE8ELNS1_11target_archE1030ELNS1_3gpuE2ELNS1_3repE0EEENS1_30default_config_static_selectorELNS0_4arch9wavefront6targetE0EEEvT1_.uses_flat_scratch, 0
	.set _ZN7rocprim17ROCPRIM_400000_NS6detail17trampoline_kernelINS0_14default_configENS1_25partition_config_selectorILNS1_17partition_subalgoE8ElNS0_10empty_typeEbEEZZNS1_14partition_implILS5_8ELb0ES3_jPlPS6_PKS6_NS0_5tupleIJS9_S6_EEENSD_IJSA_SA_EEENS0_18inequality_wrapperIZN2at6native12_GLOBAL__N_124unique_dim_cuda_templateItEESt5tupleIJNSH_6TensorESM_SM_EERKSM_lbbbEUlllE0_EEPmJS6_EEE10hipError_tPvRmT3_T4_T5_T6_T7_T9_mT8_P12ihipStream_tbDpT10_ENKUlT_T0_E_clISt17integral_constantIbLb0EES1B_IbLb1EEEEDaS17_S18_EUlS17_E_NS1_11comp_targetILNS1_3genE8ELNS1_11target_archE1030ELNS1_3gpuE2ELNS1_3repE0EEENS1_30default_config_static_selectorELNS0_4arch9wavefront6targetE0EEEvT1_.has_dyn_sized_stack, 0
	.set _ZN7rocprim17ROCPRIM_400000_NS6detail17trampoline_kernelINS0_14default_configENS1_25partition_config_selectorILNS1_17partition_subalgoE8ElNS0_10empty_typeEbEEZZNS1_14partition_implILS5_8ELb0ES3_jPlPS6_PKS6_NS0_5tupleIJS9_S6_EEENSD_IJSA_SA_EEENS0_18inequality_wrapperIZN2at6native12_GLOBAL__N_124unique_dim_cuda_templateItEESt5tupleIJNSH_6TensorESM_SM_EERKSM_lbbbEUlllE0_EEPmJS6_EEE10hipError_tPvRmT3_T4_T5_T6_T7_T9_mT8_P12ihipStream_tbDpT10_ENKUlT_T0_E_clISt17integral_constantIbLb0EES1B_IbLb1EEEEDaS17_S18_EUlS17_E_NS1_11comp_targetILNS1_3genE8ELNS1_11target_archE1030ELNS1_3gpuE2ELNS1_3repE0EEENS1_30default_config_static_selectorELNS0_4arch9wavefront6targetE0EEEvT1_.has_recursion, 0
	.set _ZN7rocprim17ROCPRIM_400000_NS6detail17trampoline_kernelINS0_14default_configENS1_25partition_config_selectorILNS1_17partition_subalgoE8ElNS0_10empty_typeEbEEZZNS1_14partition_implILS5_8ELb0ES3_jPlPS6_PKS6_NS0_5tupleIJS9_S6_EEENSD_IJSA_SA_EEENS0_18inequality_wrapperIZN2at6native12_GLOBAL__N_124unique_dim_cuda_templateItEESt5tupleIJNSH_6TensorESM_SM_EERKSM_lbbbEUlllE0_EEPmJS6_EEE10hipError_tPvRmT3_T4_T5_T6_T7_T9_mT8_P12ihipStream_tbDpT10_ENKUlT_T0_E_clISt17integral_constantIbLb0EES1B_IbLb1EEEEDaS17_S18_EUlS17_E_NS1_11comp_targetILNS1_3genE8ELNS1_11target_archE1030ELNS1_3gpuE2ELNS1_3repE0EEENS1_30default_config_static_selectorELNS0_4arch9wavefront6targetE0EEEvT1_.has_indirect_call, 0
	.section	.AMDGPU.csdata,"",@progbits
; Kernel info:
; codeLenInByte = 0
; TotalNumSgprs: 0
; NumVgprs: 0
; ScratchSize: 0
; MemoryBound: 0
; FloatMode: 240
; IeeeMode: 1
; LDSByteSize: 0 bytes/workgroup (compile time only)
; SGPRBlocks: 0
; VGPRBlocks: 0
; NumSGPRsForWavesPerEU: 1
; NumVGPRsForWavesPerEU: 1
; NamedBarCnt: 0
; Occupancy: 16
; WaveLimiterHint : 0
; COMPUTE_PGM_RSRC2:SCRATCH_EN: 0
; COMPUTE_PGM_RSRC2:USER_SGPR: 2
; COMPUTE_PGM_RSRC2:TRAP_HANDLER: 0
; COMPUTE_PGM_RSRC2:TGID_X_EN: 1
; COMPUTE_PGM_RSRC2:TGID_Y_EN: 0
; COMPUTE_PGM_RSRC2:TGID_Z_EN: 0
; COMPUTE_PGM_RSRC2:TIDIG_COMP_CNT: 0
	.section	.text._ZN7rocprim17ROCPRIM_400000_NS6detail17trampoline_kernelINS0_14default_configENS1_25partition_config_selectorILNS1_17partition_subalgoE9EllbEEZZNS1_14partition_implILS5_9ELb0ES3_jPlS8_PNS0_10empty_typeENS0_5tupleIJS8_S9_EEENSB_IJS8_SA_EEENS0_18inequality_wrapperIZN2at6native12_GLOBAL__N_124unique_dim_cuda_templateItEESt5tupleIJNSF_6TensorESK_SK_EERKSK_lbbbEUlllE0_EEPmJS9_EEE10hipError_tPvRmT3_T4_T5_T6_T7_T9_mT8_P12ihipStream_tbDpT10_ENKUlT_T0_E_clISt17integral_constantIbLb0EES1A_EEDaS15_S16_EUlS15_E_NS1_11comp_targetILNS1_3genE0ELNS1_11target_archE4294967295ELNS1_3gpuE0ELNS1_3repE0EEENS1_30default_config_static_selectorELNS0_4arch9wavefront6targetE0EEEvT1_,"axG",@progbits,_ZN7rocprim17ROCPRIM_400000_NS6detail17trampoline_kernelINS0_14default_configENS1_25partition_config_selectorILNS1_17partition_subalgoE9EllbEEZZNS1_14partition_implILS5_9ELb0ES3_jPlS8_PNS0_10empty_typeENS0_5tupleIJS8_S9_EEENSB_IJS8_SA_EEENS0_18inequality_wrapperIZN2at6native12_GLOBAL__N_124unique_dim_cuda_templateItEESt5tupleIJNSF_6TensorESK_SK_EERKSK_lbbbEUlllE0_EEPmJS9_EEE10hipError_tPvRmT3_T4_T5_T6_T7_T9_mT8_P12ihipStream_tbDpT10_ENKUlT_T0_E_clISt17integral_constantIbLb0EES1A_EEDaS15_S16_EUlS15_E_NS1_11comp_targetILNS1_3genE0ELNS1_11target_archE4294967295ELNS1_3gpuE0ELNS1_3repE0EEENS1_30default_config_static_selectorELNS0_4arch9wavefront6targetE0EEEvT1_,comdat
	.globl	_ZN7rocprim17ROCPRIM_400000_NS6detail17trampoline_kernelINS0_14default_configENS1_25partition_config_selectorILNS1_17partition_subalgoE9EllbEEZZNS1_14partition_implILS5_9ELb0ES3_jPlS8_PNS0_10empty_typeENS0_5tupleIJS8_S9_EEENSB_IJS8_SA_EEENS0_18inequality_wrapperIZN2at6native12_GLOBAL__N_124unique_dim_cuda_templateItEESt5tupleIJNSF_6TensorESK_SK_EERKSK_lbbbEUlllE0_EEPmJS9_EEE10hipError_tPvRmT3_T4_T5_T6_T7_T9_mT8_P12ihipStream_tbDpT10_ENKUlT_T0_E_clISt17integral_constantIbLb0EES1A_EEDaS15_S16_EUlS15_E_NS1_11comp_targetILNS1_3genE0ELNS1_11target_archE4294967295ELNS1_3gpuE0ELNS1_3repE0EEENS1_30default_config_static_selectorELNS0_4arch9wavefront6targetE0EEEvT1_ ; -- Begin function _ZN7rocprim17ROCPRIM_400000_NS6detail17trampoline_kernelINS0_14default_configENS1_25partition_config_selectorILNS1_17partition_subalgoE9EllbEEZZNS1_14partition_implILS5_9ELb0ES3_jPlS8_PNS0_10empty_typeENS0_5tupleIJS8_S9_EEENSB_IJS8_SA_EEENS0_18inequality_wrapperIZN2at6native12_GLOBAL__N_124unique_dim_cuda_templateItEESt5tupleIJNSF_6TensorESK_SK_EERKSK_lbbbEUlllE0_EEPmJS9_EEE10hipError_tPvRmT3_T4_T5_T6_T7_T9_mT8_P12ihipStream_tbDpT10_ENKUlT_T0_E_clISt17integral_constantIbLb0EES1A_EEDaS15_S16_EUlS15_E_NS1_11comp_targetILNS1_3genE0ELNS1_11target_archE4294967295ELNS1_3gpuE0ELNS1_3repE0EEENS1_30default_config_static_selectorELNS0_4arch9wavefront6targetE0EEEvT1_
	.p2align	8
	.type	_ZN7rocprim17ROCPRIM_400000_NS6detail17trampoline_kernelINS0_14default_configENS1_25partition_config_selectorILNS1_17partition_subalgoE9EllbEEZZNS1_14partition_implILS5_9ELb0ES3_jPlS8_PNS0_10empty_typeENS0_5tupleIJS8_S9_EEENSB_IJS8_SA_EEENS0_18inequality_wrapperIZN2at6native12_GLOBAL__N_124unique_dim_cuda_templateItEESt5tupleIJNSF_6TensorESK_SK_EERKSK_lbbbEUlllE0_EEPmJS9_EEE10hipError_tPvRmT3_T4_T5_T6_T7_T9_mT8_P12ihipStream_tbDpT10_ENKUlT_T0_E_clISt17integral_constantIbLb0EES1A_EEDaS15_S16_EUlS15_E_NS1_11comp_targetILNS1_3genE0ELNS1_11target_archE4294967295ELNS1_3gpuE0ELNS1_3repE0EEENS1_30default_config_static_selectorELNS0_4arch9wavefront6targetE0EEEvT1_,@function
_ZN7rocprim17ROCPRIM_400000_NS6detail17trampoline_kernelINS0_14default_configENS1_25partition_config_selectorILNS1_17partition_subalgoE9EllbEEZZNS1_14partition_implILS5_9ELb0ES3_jPlS8_PNS0_10empty_typeENS0_5tupleIJS8_S9_EEENSB_IJS8_SA_EEENS0_18inequality_wrapperIZN2at6native12_GLOBAL__N_124unique_dim_cuda_templateItEESt5tupleIJNSF_6TensorESK_SK_EERKSK_lbbbEUlllE0_EEPmJS9_EEE10hipError_tPvRmT3_T4_T5_T6_T7_T9_mT8_P12ihipStream_tbDpT10_ENKUlT_T0_E_clISt17integral_constantIbLb0EES1A_EEDaS15_S16_EUlS15_E_NS1_11comp_targetILNS1_3genE0ELNS1_11target_archE4294967295ELNS1_3gpuE0ELNS1_3repE0EEENS1_30default_config_static_selectorELNS0_4arch9wavefront6targetE0EEEvT1_: ; @_ZN7rocprim17ROCPRIM_400000_NS6detail17trampoline_kernelINS0_14default_configENS1_25partition_config_selectorILNS1_17partition_subalgoE9EllbEEZZNS1_14partition_implILS5_9ELb0ES3_jPlS8_PNS0_10empty_typeENS0_5tupleIJS8_S9_EEENSB_IJS8_SA_EEENS0_18inequality_wrapperIZN2at6native12_GLOBAL__N_124unique_dim_cuda_templateItEESt5tupleIJNSF_6TensorESK_SK_EERKSK_lbbbEUlllE0_EEPmJS9_EEE10hipError_tPvRmT3_T4_T5_T6_T7_T9_mT8_P12ihipStream_tbDpT10_ENKUlT_T0_E_clISt17integral_constantIbLb0EES1A_EEDaS15_S16_EUlS15_E_NS1_11comp_targetILNS1_3genE0ELNS1_11target_archE4294967295ELNS1_3gpuE0ELNS1_3repE0EEENS1_30default_config_static_selectorELNS0_4arch9wavefront6targetE0EEEvT1_
; %bb.0:
	s_clause 0x2
	s_load_b128 s[4:7], s[0:1], 0x8
	s_load_b256 s[12:19], s[0:1], 0x40
	s_load_b32 s2, s[0:1], 0x70
	s_bfe_u32 s10, ttmp6, 0x4000c
	s_and_b32 s8, ttmp6, 15
	s_add_co_i32 s10, s10, 1
	s_load_b64 s[20:21], s[0:1], 0x18
	s_mul_i32 s10, ttmp9, s10
	s_getreg_b32 s24, hwreg(HW_REG_IB_STS2, 6, 4)
	s_add_co_i32 s10, s8, s10
	s_mov_b32 s9, 0
	v_dual_mov_b32 v1, v0 :: v_dual_lshlrev_b32 v34, 3, v0
	s_mov_b32 s11, s9
	s_mov_b32 s3, -1
	s_wait_kmcnt 0x0
	s_lshl_b64 s[22:23], s[6:7], 3
	s_load_b64 s[14:15], s[14:15], 0x0
	s_mul_i32 s8, s2, 0x280
	s_cmp_eq_u32 s24, 0
	s_add_nc_u64 s[24:25], s[6:7], s[8:9]
	s_cselect_b32 s26, ttmp9, s10
	s_add_co_i32 s8, s8, s6
	v_cmp_le_u64_e64 s9, s[16:17], s[24:25]
	s_sub_co_i32 s27, s16, s8
	s_add_co_i32 s2, s2, -1
	s_addk_co_i32 s27, 0x280
	s_cmp_eq_u32 s26, s2
	s_mul_i32 s10, s26, 0x280
	s_cselect_b32 s24, -1, 0
	s_add_nc_u64 s[4:5], s[4:5], s[22:23]
	s_and_b32 s28, s24, s9
	s_lshl_b64 s[16:17], s[10:11], 3
	s_xor_b32 s25, s28, -1
	s_add_nc_u64 s[4:5], s[4:5], s[16:17]
	s_and_b32 vcc_lo, exec_lo, s25
	s_cbranch_vccz .LBB1451_2
; %bb.1:
	s_clause 0x4
	global_load_b64 v[2:3], v0, s[4:5] scale_offset
	global_load_b64 v[4:5], v0, s[4:5] offset:1024 scale_offset
	global_load_b64 v[6:7], v0, s[4:5] offset:2048 scale_offset
	;; [unrolled: 1-line block ×4, first 2 shown]
	v_lshlrev_b32_e32 v12, 3, v0
	s_mov_b32 s3, 0
	s_wait_loadcnt 0x3
	ds_store_2addr_stride64_b64 v12, v[2:3], v[4:5] offset1:2
	s_wait_loadcnt 0x1
	ds_store_2addr_stride64_b64 v12, v[6:7], v[8:9] offset0:4 offset1:6
	s_wait_loadcnt 0x0
	ds_store_b64 v12, v[10:11] offset:4096
	s_wait_dscnt 0x0
	s_barrier_signal -1
	s_barrier_wait -1
.LBB1451_2:
	s_load_b128 s[8:11], s[0:1], 0x60
	v_cmp_gt_u32_e64 s2, s27, v0
	s_and_not1_b32 vcc_lo, exec_lo, s3
	s_cbranch_vccnz .LBB1451_14
; %bb.3:
	v_mov_b32_e32 v2, 0
	s_delay_alu instid0(VALU_DEP_1)
	v_dual_mov_b32 v3, v2 :: v_dual_mov_b32 v4, v2
	v_dual_mov_b32 v5, v2 :: v_dual_mov_b32 v6, v2
	;; [unrolled: 1-line block ×4, first 2 shown]
	v_mov_b32_e32 v11, v2
	s_and_saveexec_b32 s3, s2
	s_cbranch_execz .LBB1451_5
; %bb.4:
	global_load_b64 v[4:5], v0, s[4:5] scale_offset
	v_dual_mov_b32 v6, v2 :: v_dual_mov_b32 v7, v2
	v_dual_mov_b32 v8, v2 :: v_dual_mov_b32 v9, v2
	;; [unrolled: 1-line block ×4, first 2 shown]
	s_wait_loadcnt 0x0
	v_mov_b64_e32 v[2:3], v[4:5]
	v_mov_b64_e32 v[4:5], v[6:7]
	;; [unrolled: 1-line block ×8, first 2 shown]
.LBB1451_5:
	s_or_b32 exec_lo, exec_lo, s3
	v_or_b32_e32 v12, 0x80, v0
	s_mov_b32 s2, exec_lo
	s_delay_alu instid0(VALU_DEP_1)
	v_cmpx_gt_u32_e64 s27, v12
	s_cbranch_execz .LBB1451_7
; %bb.6:
	global_load_b64 v[4:5], v0, s[4:5] offset:1024 scale_offset
.LBB1451_7:
	s_wait_xcnt 0x0
	s_or_b32 exec_lo, exec_lo, s2
	v_or_b32_e32 v12, 0x100, v0
	s_mov_b32 s2, exec_lo
	s_delay_alu instid0(VALU_DEP_1)
	v_cmpx_gt_u32_e64 s27, v12
	s_cbranch_execz .LBB1451_9
; %bb.8:
	global_load_b64 v[6:7], v0, s[4:5] offset:2048 scale_offset
.LBB1451_9:
	s_wait_xcnt 0x0
	;; [unrolled: 10-line block ×4, first 2 shown]
	s_or_b32 exec_lo, exec_lo, s2
	v_lshlrev_b32_e32 v12, 3, v0
	s_wait_loadcnt 0x0
	ds_store_2addr_stride64_b64 v12, v[2:3], v[4:5] offset1:2
	ds_store_2addr_stride64_b64 v12, v[6:7], v[8:9] offset0:4 offset1:6
	ds_store_b64 v12, v[10:11] offset:4096
	s_wait_dscnt 0x0
	s_barrier_signal -1
	s_barrier_wait -1
.LBB1451_14:
	v_mul_u32_u24_e32 v30, 5, v0
	s_add_nc_u64 s[2:3], s[20:21], s[22:23]
	s_and_b32 vcc_lo, exec_lo, s25
	s_add_nc_u64 s[2:3], s[2:3], s[16:17]
	s_delay_alu instid0(VALU_DEP_1)
	v_lshlrev_b32_e32 v28, 3, v30
	s_mov_b32 s16, -1
	ds_load_2addr_b64 v[14:17], v28 offset1:1
	ds_load_2addr_b64 v[10:13], v28 offset0:2 offset1:3
	ds_load_b64 v[20:21], v28 offset:32
	s_wait_dscnt 0x0
	s_barrier_signal -1
	s_barrier_wait -1
	s_cbranch_vccz .LBB1451_16
; %bb.15:
	s_clause 0x4
	global_load_b64 v[2:3], v0, s[2:3] scale_offset
	global_load_b64 v[4:5], v0, s[2:3] offset:1024 scale_offset
	global_load_b64 v[6:7], v0, s[2:3] offset:2048 scale_offset
	;; [unrolled: 1-line block ×4, first 2 shown]
	v_lshlrev_b32_e32 v22, 3, v0
	s_mov_b32 s16, 0
	s_wait_loadcnt 0x3
	ds_store_2addr_stride64_b64 v22, v[2:3], v[4:5] offset1:2
	s_wait_loadcnt 0x1
	ds_store_2addr_stride64_b64 v22, v[6:7], v[8:9] offset0:4 offset1:6
	s_wait_loadcnt 0x0
	ds_store_b64 v22, v[18:19] offset:4096
	s_wait_dscnt 0x0
	s_barrier_signal -1
	s_barrier_wait -1
.LBB1451_16:
	s_and_not1_b32 vcc_lo, exec_lo, s16
	s_cbranch_vccnz .LBB1451_28
; %bb.17:
	s_mov_b32 s16, exec_lo
                                        ; implicit-def: $vgpr2_vgpr3
	v_cmpx_gt_u32_e64 s27, v0
	s_cbranch_execz .LBB1451_19
; %bb.18:
	global_load_b64 v[2:3], v0, s[2:3] scale_offset
.LBB1451_19:
	s_wait_xcnt 0x0
	s_or_b32 exec_lo, exec_lo, s16
	v_or_b32_e32 v4, 0x80, v0
	s_delay_alu instid0(VALU_DEP_1)
	v_cmp_gt_u32_e32 vcc_lo, s27, v4
                                        ; implicit-def: $vgpr4_vgpr5
	s_and_saveexec_b32 s16, vcc_lo
	s_cbranch_execz .LBB1451_21
; %bb.20:
	global_load_b64 v[4:5], v0, s[2:3] offset:1024 scale_offset
.LBB1451_21:
	s_wait_xcnt 0x0
	s_or_b32 exec_lo, exec_lo, s16
	v_or_b32_e32 v6, 0x100, v0
	s_delay_alu instid0(VALU_DEP_1)
	v_cmp_gt_u32_e32 vcc_lo, s27, v6
                                        ; implicit-def: $vgpr6_vgpr7
	s_and_saveexec_b32 s16, vcc_lo
	s_cbranch_execz .LBB1451_23
; %bb.22:
	global_load_b64 v[6:7], v0, s[2:3] offset:2048 scale_offset
.LBB1451_23:
	s_wait_xcnt 0x0
	s_or_b32 exec_lo, exec_lo, s16
	v_or_b32_e32 v8, 0x180, v0
	s_delay_alu instid0(VALU_DEP_1)
	v_cmp_gt_u32_e32 vcc_lo, s27, v8
                                        ; implicit-def: $vgpr8_vgpr9
	s_and_saveexec_b32 s16, vcc_lo
	s_cbranch_execz .LBB1451_25
; %bb.24:
	global_load_b64 v[8:9], v0, s[2:3] offset:3072 scale_offset
.LBB1451_25:
	s_wait_xcnt 0x0
	s_or_b32 exec_lo, exec_lo, s16
	v_or_b32_e32 v18, 0x200, v0
	s_delay_alu instid0(VALU_DEP_1)
	v_cmp_gt_u32_e32 vcc_lo, s27, v18
                                        ; implicit-def: $vgpr18_vgpr19
	s_and_saveexec_b32 s16, vcc_lo
	s_cbranch_execz .LBB1451_27
; %bb.26:
	global_load_b64 v[18:19], v0, s[2:3] offset:4096 scale_offset
.LBB1451_27:
	s_wait_xcnt 0x0
	s_or_b32 exec_lo, exec_lo, s16
	v_lshlrev_b32_e32 v22, 5, v0
	s_delay_alu instid0(VALU_DEP_1)
	v_sub_nc_u32_e32 v22, v28, v22
	s_wait_loadcnt 0x0
	ds_store_2addr_stride64_b64 v22, v[2:3], v[4:5] offset1:2
	ds_store_2addr_stride64_b64 v22, v[6:7], v[8:9] offset0:4 offset1:6
	ds_store_b64 v22, v[18:19] offset:4096
	s_wait_dscnt 0x0
	s_barrier_signal -1
	s_barrier_wait -1
.LBB1451_28:
	ds_load_b64 v[18:19], v28 offset:32
	ds_load_2addr_b64 v[2:5], v28 offset0:2 offset1:3
	ds_load_2addr_b64 v[6:9], v28 offset1:1
	s_cmp_lg_u32 s26, 0
	v_cmp_gt_i64_e64 s17, s[18:19], 0
	s_cselect_b32 s16, -1, 0
	s_cmp_lg_u64 s[6:7], 0
	s_mov_b32 s6, 0
	s_cselect_b32 s2, -1, 0
	s_wait_dscnt 0x0
	s_or_b32 s2, s16, s2
	s_barrier_signal -1
	s_and_b32 vcc_lo, exec_lo, s2
	s_barrier_wait -1
	s_cbranch_vccz .LBB1451_40
; %bb.29:
	s_add_nc_u64 s[2:3], s[4:5], -8
	v_cndmask_b32_e64 v29, 0, 1, s17
	s_load_b64 s[4:5], s[2:3], 0x0
	v_lshlrev_b32_e32 v31, 3, v0
	s_and_b32 vcc_lo, exec_lo, s25
	s_wait_xcnt 0x0
	v_cmp_ne_u32_e64 s2, 1, v29
	ds_store_b64 v31, v[20:21]
	s_cbranch_vccz .LBB1451_42
; %bb.30:
	s_and_b32 vcc_lo, exec_lo, s2
	s_cbranch_vccnz .LBB1451_43
; %bb.31:
	v_mul_u64_e32 v[22:23], s[18:19], v[12:13]
	v_mul_u64_e32 v[24:25], s[18:19], v[20:21]
	s_add_nc_u64 s[6:7], s[18:19], -1
	s_mov_b32 s21, 0
	s_mov_b64 s[2:3], s[6:7]
                                        ; implicit-def: $sgpr20
	s_wait_kmcnt 0x0
	s_delay_alu instid0(VALU_DEP_2) | instskip(NEXT) | instid1(VALU_DEP_2)
	v_lshl_add_u64 v[22:23], v[22:23], 1, s[8:9]
	v_lshl_add_u64 v[24:25], v[24:25], 1, s[8:9]
	s_delay_alu instid0(VALU_DEP_2)
	v_mov_b64_e32 v[26:27], v[22:23]
.LBB1451_32:                            ; =>This Inner Loop Header: Depth=1
	global_load_u16 v32, v[26:27], off
	global_load_u16 v33, v[24:25], off
	s_cmp_eq_u64 s[2:3], 0
	s_add_nc_u64 s[22:23], s[2:3], -1
	s_cselect_b32 s3, -1, 0
	s_wait_xcnt 0x1
	v_add_nc_u64_e32 v[26:27], 2, v[26:27]
	s_wait_xcnt 0x0
	v_add_nc_u64_e32 v[24:25], 2, v[24:25]
	s_wait_loadcnt 0x0
	v_cmp_ne_u16_e32 vcc_lo, v32, v33
	v_cmp_eq_u16_e64 s2, v32, v33
	s_or_b32 s3, vcc_lo, s3
	s_delay_alu instid0(SALU_CYCLE_1) | instskip(NEXT) | instid1(SALU_CYCLE_1)
	s_and_b32 s3, exec_lo, s3
	s_or_b32 s21, s3, s21
	s_and_not1_b32 s20, s20, exec_lo
	s_and_b32 s29, s2, exec_lo
	s_mov_b64 s[2:3], s[22:23]
	s_or_b32 s20, s20, s29
	s_and_not1_b32 exec_lo, exec_lo, s21
	s_cbranch_execnz .LBB1451_32
; %bb.33:
	s_or_b32 exec_lo, exec_lo, s21
	v_mul_u64_e32 v[24:25], s[18:19], v[10:11]
	s_mov_b32 s22, 0
	s_mov_b64 s[2:3], s[6:7]
                                        ; implicit-def: $sgpr21
	s_delay_alu instid0(VALU_DEP_1) | instskip(NEXT) | instid1(VALU_DEP_1)
	v_lshl_add_u64 v[24:25], v[24:25], 1, s[8:9]
	v_mov_b64_e32 v[26:27], v[24:25]
.LBB1451_34:                            ; =>This Inner Loop Header: Depth=1
	global_load_u16 v32, v[26:27], off
	global_load_u16 v33, v[22:23], off
	s_cmp_eq_u64 s[2:3], 0
	s_add_nc_u64 s[30:31], s[2:3], -1
	s_cselect_b32 s3, -1, 0
	s_wait_xcnt 0x1
	v_add_nc_u64_e32 v[26:27], 2, v[26:27]
	s_wait_xcnt 0x0
	v_add_nc_u64_e32 v[22:23], 2, v[22:23]
	s_wait_loadcnt 0x0
	v_cmp_ne_u16_e32 vcc_lo, v32, v33
	v_cmp_eq_u16_e64 s2, v32, v33
	s_or_b32 s3, vcc_lo, s3
	s_delay_alu instid0(SALU_CYCLE_1) | instskip(NEXT) | instid1(SALU_CYCLE_1)
	s_and_b32 s3, exec_lo, s3
	s_or_b32 s22, s3, s22
	s_and_not1_b32 s21, s21, exec_lo
	s_and_b32 s23, s2, exec_lo
	s_mov_b64 s[2:3], s[30:31]
	s_or_b32 s21, s21, s23
	s_and_not1_b32 exec_lo, exec_lo, s22
	s_cbranch_execnz .LBB1451_34
; %bb.35:
	s_or_b32 exec_lo, exec_lo, s22
	v_mul_u64_e32 v[22:23], s[18:19], v[16:17]
	s_mov_b32 s23, 0
	s_mov_b64 s[2:3], s[6:7]
                                        ; implicit-def: $sgpr22
	s_delay_alu instid0(VALU_DEP_1) | instskip(NEXT) | instid1(VALU_DEP_1)
	v_lshl_add_u64 v[22:23], v[22:23], 1, s[8:9]
	v_mov_b64_e32 v[26:27], v[22:23]
.LBB1451_36:                            ; =>This Inner Loop Header: Depth=1
	global_load_u16 v32, v[26:27], off
	global_load_u16 v33, v[24:25], off
	s_cmp_eq_u64 s[2:3], 0
	s_add_nc_u64 s[30:31], s[2:3], -1
	s_cselect_b32 s3, -1, 0
	s_wait_xcnt 0x1
	v_add_nc_u64_e32 v[26:27], 2, v[26:27]
	s_wait_xcnt 0x0
	v_add_nc_u64_e32 v[24:25], 2, v[24:25]
	s_wait_loadcnt 0x0
	v_cmp_ne_u16_e32 vcc_lo, v32, v33
	v_cmp_eq_u16_e64 s2, v32, v33
	s_or_b32 s3, vcc_lo, s3
	s_delay_alu instid0(SALU_CYCLE_1) | instskip(NEXT) | instid1(SALU_CYCLE_1)
	s_and_b32 s3, exec_lo, s3
	s_or_b32 s23, s3, s23
	s_and_not1_b32 s22, s22, exec_lo
	s_and_b32 s29, s2, exec_lo
	s_mov_b64 s[2:3], s[30:31]
	s_or_b32 s22, s22, s29
	s_and_not1_b32 exec_lo, exec_lo, s23
	s_cbranch_execnz .LBB1451_36
; %bb.37:
	s_or_b32 exec_lo, exec_lo, s23
	v_mul_u64_e32 v[24:25], s[18:19], v[14:15]
	s_mov_b32 s23, 0
                                        ; implicit-def: $sgpr3
	s_delay_alu instid0(VALU_DEP_1)
	v_lshl_add_u64 v[24:25], v[24:25], 1, s[8:9]
.LBB1451_38:                            ; =>This Inner Loop Header: Depth=1
	global_load_u16 v26, v[24:25], off
	global_load_u16 v27, v[22:23], off
	s_cmp_eq_u64 s[6:7], 0
	s_add_nc_u64 s[30:31], s[6:7], -1
	s_cselect_b32 s6, -1, 0
	s_wait_xcnt 0x1
	v_add_nc_u64_e32 v[24:25], 2, v[24:25]
	s_wait_xcnt 0x0
	v_add_nc_u64_e32 v[22:23], 2, v[22:23]
	s_wait_loadcnt 0x0
	v_cmp_ne_u16_e32 vcc_lo, v26, v27
	v_cmp_eq_u16_e64 s2, v26, v27
	s_or_b32 s6, vcc_lo, s6
	s_delay_alu instid0(SALU_CYCLE_1) | instskip(NEXT) | instid1(SALU_CYCLE_1)
	s_and_b32 s6, exec_lo, s6
	s_or_b32 s23, s6, s23
	s_and_not1_b32 s3, s3, exec_lo
	s_and_b32 s2, s2, exec_lo
	s_mov_b64 s[6:7], s[30:31]
	s_or_b32 s3, s3, s2
	s_and_not1_b32 exec_lo, exec_lo, s23
	s_cbranch_execnz .LBB1451_38
; %bb.39:
	s_or_b32 exec_lo, exec_lo, s23
	s_xor_b32 s2, s21, -1
	s_xor_b32 s3, s3, -1
	v_cndmask_b32_e64 v22, 0, 1, s2
	s_xor_b32 s2, s22, -1
	s_delay_alu instid0(SALU_CYCLE_1) | instskip(SKIP_1) | instid1(VALU_DEP_2)
	v_cndmask_b32_e64 v23, 0, 1, s2
	s_xor_b32 s2, s20, -1
	v_lshlrev_b16 v22, 8, v22
	v_cndmask_b32_e64 v35, 0, 1, s2
	s_delay_alu instid0(VALU_DEP_2) | instskip(NEXT) | instid1(VALU_DEP_1)
	v_lshrrev_b32_e32 v22, 8, v22
	v_lshlrev_b16 v22, 8, v22
	s_delay_alu instid0(VALU_DEP_1) | instskip(NEXT) | instid1(VALU_DEP_1)
	v_or_b32_e32 v22, v23, v22
	v_lshlrev_b32_e32 v24, 16, v22
	s_branch .LBB1451_44
.LBB1451_40:
                                        ; implicit-def: $sgpr2
                                        ; implicit-def: $vgpr35
                                        ; implicit-def: $vgpr25
	s_branch .LBB1451_85
.LBB1451_41:
                                        ; implicit-def: $vgpr24
                                        ; implicit-def: $vgpr23
                                        ; implicit-def: $vgpr36
                                        ; implicit-def: $vgpr22
	s_branch .LBB1451_138
.LBB1451_42:
                                        ; implicit-def: $sgpr2
                                        ; implicit-def: $vgpr35
                                        ; implicit-def: $vgpr25
	s_cbranch_execnz .LBB1451_51
	s_branch .LBB1451_84
.LBB1451_43:
	v_dual_mov_b32 v24, 0 :: v_dual_mov_b32 v35, 0
	s_mov_b32 s3, 0
.LBB1451_44:
	s_wait_kmcnt 0x0
	v_mov_b64_e32 v[22:23], s[4:5]
	s_mov_b32 s2, 0
	s_mov_b32 s6, exec_lo
	s_wait_dscnt 0x0
	s_barrier_signal -1
	s_barrier_wait -1
	v_cmpx_ne_u32_e32 0, v0
; %bb.45:
	v_add_nc_u32_e32 v22, -8, v31
	ds_load_b64 v[22:23], v22
; %bb.46:
	s_or_b32 exec_lo, exec_lo, s6
	v_cndmask_b32_e64 v25, 0, 1, s3
	v_lshrrev_b32_e32 v26, 16, v24
	s_and_not1_b32 vcc_lo, exec_lo, s17
	s_delay_alu instid0(VALU_DEP_2) | instskip(NEXT) | instid1(VALU_DEP_2)
	v_lshlrev_b16 v25, 8, v25
	v_perm_b32 v26, v26, v24, 0xc0c0304
	s_delay_alu instid0(VALU_DEP_2) | instskip(NEXT) | instid1(VALU_DEP_1)
	v_bitop3_b16 v25, v24, v25, 0xff bitop3:0xec
	v_and_b32_e32 v27, 0xffff, v25
	s_cbranch_vccnz .LBB1451_50
; %bb.47:
	s_wait_dscnt 0x0
	v_mul_u64_e32 v[22:23], s[18:19], v[22:23]
	v_mul_u64_e32 v[24:25], s[18:19], v[14:15]
	s_add_nc_u64 s[2:3], s[18:19], -1
	s_mov_b32 s6, 0
                                        ; implicit-def: $sgpr7
	s_delay_alu instid0(VALU_DEP_2) | instskip(NEXT) | instid1(VALU_DEP_2)
	v_lshl_add_u64 v[22:23], v[22:23], 1, s[8:9]
	v_lshl_add_u64 v[24:25], v[24:25], 1, s[8:9]
.LBB1451_48:                            ; =>This Inner Loop Header: Depth=1
	global_load_u16 v32, v[22:23], off
	global_load_u16 v33, v[24:25], off
	s_cmp_eq_u64 s[2:3], 0
	s_add_nc_u64 s[20:21], s[2:3], -1
	s_cselect_b32 s3, -1, 0
	s_wait_xcnt 0x1
	v_add_nc_u64_e32 v[22:23], 2, v[22:23]
	s_wait_xcnt 0x0
	v_add_nc_u64_e32 v[24:25], 2, v[24:25]
	s_wait_loadcnt 0x0
	v_cmp_ne_u16_e32 vcc_lo, v32, v33
	v_cmp_eq_u16_e64 s2, v32, v33
	s_or_b32 s3, vcc_lo, s3
	s_delay_alu instid0(SALU_CYCLE_1) | instskip(NEXT) | instid1(SALU_CYCLE_1)
	s_and_b32 s3, exec_lo, s3
	s_or_b32 s6, s3, s6
	s_and_not1_b32 s7, s7, exec_lo
	s_and_b32 s22, s2, exec_lo
	s_mov_b64 s[2:3], s[20:21]
	s_or_b32 s7, s7, s22
	s_and_not1_b32 exec_lo, exec_lo, s6
	s_cbranch_execnz .LBB1451_48
; %bb.49:
	s_or_b32 exec_lo, exec_lo, s6
	s_xor_b32 s2, s7, -1
.LBB1451_50:
	s_delay_alu instid0(VALU_DEP_1)
	v_lshl_or_b32 v25, v26, 16, v27
	s_branch .LBB1451_84
.LBB1451_51:
	s_wait_dscnt 0x0
	v_add_nc_u32_e32 v22, 4, v30
	s_mov_b32 s7, 0
	s_mov_b32 s6, 0
	s_mov_b32 s20, exec_lo
	s_delay_alu instid0(VALU_DEP_1)
	v_cmpx_gt_u32_e64 s27, v22
	s_cbranch_execz .LBB1451_57
; %bb.52:
	s_and_not1_b32 vcc_lo, exec_lo, s17
	s_mov_b32 s2, 0
	s_cbranch_vccnz .LBB1451_56
; %bb.53:
	v_mul_u64_e32 v[22:23], s[18:19], v[12:13]
	v_mul_u64_e32 v[24:25], s[18:19], v[20:21]
	s_add_nc_u64 s[2:3], s[18:19], -1
                                        ; implicit-def: $sgpr17
	s_wait_kmcnt 0x0
	s_delay_alu instid0(VALU_DEP_2) | instskip(NEXT) | instid1(VALU_DEP_2)
	v_lshl_add_u64 v[22:23], v[22:23], 1, s[8:9]
	v_lshl_add_u64 v[24:25], v[24:25], 1, s[8:9]
.LBB1451_54:                            ; =>This Inner Loop Header: Depth=1
	global_load_u16 v26, v[22:23], off
	global_load_u16 v27, v[24:25], off
	s_cmp_eq_u64 s[2:3], 0
	s_add_nc_u64 s[22:23], s[2:3], -1
	s_cselect_b32 s3, -1, 0
	s_wait_xcnt 0x1
	v_add_nc_u64_e32 v[22:23], 2, v[22:23]
	s_wait_xcnt 0x0
	v_add_nc_u64_e32 v[24:25], 2, v[24:25]
	s_wait_loadcnt 0x0
	v_cmp_ne_u16_e32 vcc_lo, v26, v27
	v_cmp_eq_u16_e64 s2, v26, v27
	s_or_b32 s3, vcc_lo, s3
	s_delay_alu instid0(SALU_CYCLE_1) | instskip(NEXT) | instid1(SALU_CYCLE_1)
	s_and_b32 s3, exec_lo, s3
	s_or_b32 s6, s3, s6
	s_and_not1_b32 s17, s17, exec_lo
	s_and_b32 s21, s2, exec_lo
	s_mov_b64 s[2:3], s[22:23]
	s_or_b32 s17, s17, s21
	s_and_not1_b32 exec_lo, exec_lo, s6
	s_cbranch_execnz .LBB1451_54
; %bb.55:
	s_or_b32 exec_lo, exec_lo, s6
	s_xor_b32 s2, s17, -1
.LBB1451_56:
	s_delay_alu instid0(SALU_CYCLE_1)
	s_and_b32 s6, s2, exec_lo
.LBB1451_57:
	s_or_b32 exec_lo, exec_lo, s20
	v_add_nc_u32_e32 v22, 3, v30
	s_mov_b32 s17, exec_lo
	s_delay_alu instid0(VALU_DEP_1)
	v_cmpx_gt_u32_e64 s27, v22
	s_cbranch_execz .LBB1451_63
; %bb.58:
	v_cmp_ne_u32_e32 vcc_lo, 1, v29
	s_mov_b32 s2, 0
	s_cbranch_vccnz .LBB1451_62
; %bb.59:
	v_mul_u64_e32 v[22:23], s[18:19], v[10:11]
	v_mul_u64_e32 v[24:25], s[18:19], v[12:13]
	s_add_nc_u64 s[2:3], s[18:19], -1
	s_mov_b32 s7, 0
                                        ; implicit-def: $sgpr20
	s_wait_kmcnt 0x0
	s_delay_alu instid0(VALU_DEP_2) | instskip(NEXT) | instid1(VALU_DEP_2)
	v_lshl_add_u64 v[22:23], v[22:23], 1, s[8:9]
	v_lshl_add_u64 v[24:25], v[24:25], 1, s[8:9]
.LBB1451_60:                            ; =>This Inner Loop Header: Depth=1
	global_load_u16 v26, v[22:23], off
	global_load_u16 v27, v[24:25], off
	s_cmp_eq_u64 s[2:3], 0
	s_add_nc_u64 s[22:23], s[2:3], -1
	s_cselect_b32 s3, -1, 0
	s_wait_xcnt 0x1
	v_add_nc_u64_e32 v[22:23], 2, v[22:23]
	s_wait_xcnt 0x0
	v_add_nc_u64_e32 v[24:25], 2, v[24:25]
	s_wait_loadcnt 0x0
	v_cmp_ne_u16_e32 vcc_lo, v26, v27
	v_cmp_eq_u16_e64 s2, v26, v27
	s_or_b32 s3, vcc_lo, s3
	s_delay_alu instid0(SALU_CYCLE_1) | instskip(NEXT) | instid1(SALU_CYCLE_1)
	s_and_b32 s3, exec_lo, s3
	s_or_b32 s7, s3, s7
	s_and_not1_b32 s20, s20, exec_lo
	s_and_b32 s21, s2, exec_lo
	s_mov_b64 s[2:3], s[22:23]
	s_or_b32 s20, s20, s21
	s_and_not1_b32 exec_lo, exec_lo, s7
	s_cbranch_execnz .LBB1451_60
; %bb.61:
	s_or_b32 exec_lo, exec_lo, s7
	s_xor_b32 s2, s20, -1
.LBB1451_62:
	s_delay_alu instid0(SALU_CYCLE_1)
	s_and_b32 s7, s2, exec_lo
.LBB1451_63:
	s_or_b32 exec_lo, exec_lo, s17
	v_add_nc_u32_e32 v22, 2, v30
	s_mov_b32 s17, 0
	s_mov_b32 s20, 0
	s_mov_b32 s21, exec_lo
	s_delay_alu instid0(VALU_DEP_1)
	v_cmpx_gt_u32_e64 s27, v22
	s_cbranch_execz .LBB1451_69
; %bb.64:
	v_cmp_ne_u32_e32 vcc_lo, 1, v29
	s_mov_b32 s2, 0
	s_cbranch_vccnz .LBB1451_68
; %bb.65:
	v_mul_u64_e32 v[22:23], s[18:19], v[16:17]
	v_mul_u64_e32 v[24:25], s[18:19], v[10:11]
	s_add_nc_u64 s[2:3], s[18:19], -1
                                        ; implicit-def: $sgpr22
	s_wait_kmcnt 0x0
	s_delay_alu instid0(VALU_DEP_2) | instskip(NEXT) | instid1(VALU_DEP_2)
	v_lshl_add_u64 v[22:23], v[22:23], 1, s[8:9]
	v_lshl_add_u64 v[24:25], v[24:25], 1, s[8:9]
.LBB1451_66:                            ; =>This Inner Loop Header: Depth=1
	global_load_u16 v26, v[22:23], off
	global_load_u16 v27, v[24:25], off
	s_cmp_eq_u64 s[2:3], 0
	s_add_nc_u64 s[30:31], s[2:3], -1
	s_cselect_b32 s3, -1, 0
	s_wait_xcnt 0x1
	v_add_nc_u64_e32 v[22:23], 2, v[22:23]
	s_wait_xcnt 0x0
	v_add_nc_u64_e32 v[24:25], 2, v[24:25]
	s_wait_loadcnt 0x0
	v_cmp_ne_u16_e32 vcc_lo, v26, v27
	v_cmp_eq_u16_e64 s2, v26, v27
	s_or_b32 s3, vcc_lo, s3
	s_delay_alu instid0(SALU_CYCLE_1) | instskip(NEXT) | instid1(SALU_CYCLE_1)
	s_and_b32 s3, exec_lo, s3
	s_or_b32 s20, s3, s20
	s_and_not1_b32 s22, s22, exec_lo
	s_and_b32 s23, s2, exec_lo
	s_mov_b64 s[2:3], s[30:31]
	s_or_b32 s22, s22, s23
	s_and_not1_b32 exec_lo, exec_lo, s20
	s_cbranch_execnz .LBB1451_66
; %bb.67:
	s_or_b32 exec_lo, exec_lo, s20
	s_xor_b32 s2, s22, -1
.LBB1451_68:
	s_delay_alu instid0(SALU_CYCLE_1)
	s_and_b32 s20, s2, exec_lo
.LBB1451_69:
	s_or_b32 exec_lo, exec_lo, s21
	v_add_nc_u32_e32 v22, 1, v30
	s_mov_b32 s21, exec_lo
	s_delay_alu instid0(VALU_DEP_1)
	v_cmpx_gt_u32_e64 s27, v22
	s_cbranch_execz .LBB1451_75
; %bb.70:
	v_cmp_ne_u32_e32 vcc_lo, 1, v29
	s_mov_b32 s2, 0
	s_cbranch_vccnz .LBB1451_74
; %bb.71:
	v_mul_u64_e32 v[22:23], s[18:19], v[14:15]
	v_mul_u64_e32 v[24:25], s[18:19], v[16:17]
	s_add_nc_u64 s[2:3], s[18:19], -1
	s_mov_b32 s17, 0
                                        ; implicit-def: $sgpr22
	s_wait_kmcnt 0x0
	s_delay_alu instid0(VALU_DEP_2) | instskip(NEXT) | instid1(VALU_DEP_2)
	v_lshl_add_u64 v[22:23], v[22:23], 1, s[8:9]
	v_lshl_add_u64 v[24:25], v[24:25], 1, s[8:9]
.LBB1451_72:                            ; =>This Inner Loop Header: Depth=1
	global_load_u16 v26, v[22:23], off
	global_load_u16 v27, v[24:25], off
	s_cmp_eq_u64 s[2:3], 0
	s_add_nc_u64 s[30:31], s[2:3], -1
	s_cselect_b32 s3, -1, 0
	s_wait_xcnt 0x1
	v_add_nc_u64_e32 v[22:23], 2, v[22:23]
	s_wait_xcnt 0x0
	v_add_nc_u64_e32 v[24:25], 2, v[24:25]
	s_wait_loadcnt 0x0
	v_cmp_ne_u16_e32 vcc_lo, v26, v27
	v_cmp_eq_u16_e64 s2, v26, v27
	s_or_b32 s3, vcc_lo, s3
	s_delay_alu instid0(SALU_CYCLE_1) | instskip(NEXT) | instid1(SALU_CYCLE_1)
	s_and_b32 s3, exec_lo, s3
	s_or_b32 s17, s3, s17
	s_and_not1_b32 s22, s22, exec_lo
	s_and_b32 s23, s2, exec_lo
	s_mov_b64 s[2:3], s[30:31]
	s_or_b32 s22, s22, s23
	s_and_not1_b32 exec_lo, exec_lo, s17
	s_cbranch_execnz .LBB1451_72
; %bb.73:
	s_or_b32 exec_lo, exec_lo, s17
	s_xor_b32 s2, s22, -1
.LBB1451_74:
	s_delay_alu instid0(SALU_CYCLE_1)
	s_and_b32 s17, s2, exec_lo
.LBB1451_75:
	s_or_b32 exec_lo, exec_lo, s21
	s_wait_kmcnt 0x0
	v_mov_b64_e32 v[22:23], s[4:5]
	s_mov_b32 s2, 0
	s_mov_b32 s3, exec_lo
	s_barrier_signal -1
	s_barrier_wait -1
	v_cmpx_ne_u32_e32 0, v0
; %bb.76:
	v_add_nc_u32_e32 v22, -8, v31
	ds_load_b64 v[22:23], v22
; %bb.77:
	s_or_b32 exec_lo, exec_lo, s3
	v_cndmask_b32_e64 v24, 0, 1, s7
	v_cndmask_b32_e64 v25, 0, 1, s20
	;; [unrolled: 1-line block ×3, first 2 shown]
	s_mov_b32 s4, exec_lo
	s_delay_alu instid0(VALU_DEP_3) | instskip(NEXT) | instid1(VALU_DEP_2)
	v_lshlrev_b16 v24, 8, v24
	v_lshlrev_b16 v26, 8, v26
	s_delay_alu instid0(VALU_DEP_2) | instskip(NEXT) | instid1(VALU_DEP_2)
	v_or_b32_e32 v24, v25, v24
	v_and_b32_e32 v26, 0xffff, v26
	s_delay_alu instid0(VALU_DEP_2)
	v_lshlrev_b32_e32 v27, 16, v24
	v_cmpx_gt_u32_e64 s27, v30
	s_cbranch_execz .LBB1451_83
; %bb.78:
	v_cmp_ne_u32_e32 vcc_lo, 1, v29
	s_cbranch_vccnz .LBB1451_82
; %bb.79:
	s_wait_dscnt 0x0
	v_mul_u64_e32 v[22:23], s[18:19], v[22:23]
	v_mul_u64_e32 v[24:25], s[18:19], v[14:15]
	s_add_nc_u64 s[2:3], s[18:19], -1
	s_mov_b32 s5, 0
                                        ; implicit-def: $sgpr7
	s_delay_alu instid0(VALU_DEP_2) | instskip(NEXT) | instid1(VALU_DEP_2)
	v_lshl_add_u64 v[22:23], v[22:23], 1, s[8:9]
	v_lshl_add_u64 v[24:25], v[24:25], 1, s[8:9]
.LBB1451_80:                            ; =>This Inner Loop Header: Depth=1
	global_load_u16 v29, v[22:23], off
	global_load_u16 v31, v[24:25], off
	s_cmp_eq_u64 s[2:3], 0
	s_add_nc_u64 s[20:21], s[2:3], -1
	s_cselect_b32 s3, -1, 0
	s_wait_xcnt 0x1
	v_add_nc_u64_e32 v[22:23], 2, v[22:23]
	s_wait_xcnt 0x0
	v_add_nc_u64_e32 v[24:25], 2, v[24:25]
	s_wait_loadcnt 0x0
	v_cmp_ne_u16_e32 vcc_lo, v29, v31
	v_cmp_eq_u16_e64 s2, v29, v31
	s_or_b32 s3, vcc_lo, s3
	s_delay_alu instid0(SALU_CYCLE_1) | instskip(NEXT) | instid1(SALU_CYCLE_1)
	s_and_b32 s3, exec_lo, s3
	s_or_b32 s5, s3, s5
	s_and_not1_b32 s7, s7, exec_lo
	s_and_b32 s17, s2, exec_lo
	s_mov_b64 s[2:3], s[20:21]
	s_or_b32 s7, s7, s17
	s_and_not1_b32 exec_lo, exec_lo, s5
	s_cbranch_execnz .LBB1451_80
; %bb.81:
	s_or_b32 exec_lo, exec_lo, s5
	s_xor_b32 s2, s7, -1
.LBB1451_82:
	s_delay_alu instid0(SALU_CYCLE_1)
	s_and_b32 s2, s2, exec_lo
.LBB1451_83:
	s_or_b32 exec_lo, exec_lo, s4
	v_cndmask_b32_e64 v35, 0, 1, s6
	v_or_b32_e32 v25, v26, v27
.LBB1451_84:
	s_mov_b32 s6, -1
	s_cbranch_execnz .LBB1451_41
.LBB1451_85:
	s_wait_dscnt 0x0
	v_lshlrev_b32_e32 v22, 5, v0
	v_cmp_gt_i64_e64 s7, s[18:19], 0
	s_and_b32 vcc_lo, exec_lo, s25
	v_sub_nc_u32_e32 v31, v28, v22
	ds_store_b64 v31, v[20:21]
	s_cbranch_vccz .LBB1451_96
; %bb.86:
	s_and_not1_b32 vcc_lo, exec_lo, s7
	s_cbranch_vccnz .LBB1451_97
; %bb.87:
	v_mul_u64_e32 v[22:23], s[18:19], v[12:13]
	v_mul_u64_e32 v[24:25], s[18:19], v[20:21]
	s_wait_kmcnt 0x0
	s_add_nc_u64 s[4:5], s[18:19], -1
	s_mov_b32 s20, 0
	s_mov_b64 s[2:3], s[4:5]
                                        ; implicit-def: $sgpr17
	s_delay_alu instid0(VALU_DEP_2) | instskip(NEXT) | instid1(VALU_DEP_2)
	v_lshl_add_u64 v[22:23], v[22:23], 1, s[8:9]
	v_lshl_add_u64 v[24:25], v[24:25], 1, s[8:9]
	s_delay_alu instid0(VALU_DEP_2)
	v_mov_b64_e32 v[26:27], v[22:23]
.LBB1451_88:                            ; =>This Inner Loop Header: Depth=1
	global_load_u16 v28, v[26:27], off
	global_load_u16 v29, v[24:25], off
	s_cmp_eq_u64 s[2:3], 0
	s_add_nc_u64 s[22:23], s[2:3], -1
	s_cselect_b32 s3, -1, 0
	s_wait_xcnt 0x1
	v_add_nc_u64_e32 v[26:27], 2, v[26:27]
	s_wait_xcnt 0x0
	v_add_nc_u64_e32 v[24:25], 2, v[24:25]
	s_wait_loadcnt 0x0
	v_cmp_ne_u16_e32 vcc_lo, v28, v29
	v_cmp_eq_u16_e64 s2, v28, v29
	s_or_b32 s3, vcc_lo, s3
	s_delay_alu instid0(SALU_CYCLE_1) | instskip(NEXT) | instid1(SALU_CYCLE_1)
	s_and_b32 s3, exec_lo, s3
	s_or_b32 s20, s3, s20
	s_and_not1_b32 s17, s17, exec_lo
	s_and_b32 s21, s2, exec_lo
	s_mov_b64 s[2:3], s[22:23]
	s_or_b32 s17, s17, s21
	s_and_not1_b32 exec_lo, exec_lo, s20
	s_cbranch_execnz .LBB1451_88
; %bb.89:
	s_or_b32 exec_lo, exec_lo, s20
	v_mul_u64_e32 v[24:25], s[18:19], v[10:11]
	s_mov_b32 s21, 0
	s_mov_b64 s[2:3], s[4:5]
                                        ; implicit-def: $sgpr20
	s_delay_alu instid0(VALU_DEP_1) | instskip(NEXT) | instid1(VALU_DEP_1)
	v_lshl_add_u64 v[24:25], v[24:25], 1, s[8:9]
	v_mov_b64_e32 v[26:27], v[24:25]
.LBB1451_90:                            ; =>This Inner Loop Header: Depth=1
	global_load_u16 v28, v[26:27], off
	global_load_u16 v29, v[22:23], off
	s_cmp_eq_u64 s[2:3], 0
	s_add_nc_u64 s[22:23], s[2:3], -1
	s_cselect_b32 s3, -1, 0
	s_wait_xcnt 0x1
	v_add_nc_u64_e32 v[26:27], 2, v[26:27]
	s_wait_xcnt 0x0
	v_add_nc_u64_e32 v[22:23], 2, v[22:23]
	s_wait_loadcnt 0x0
	v_cmp_ne_u16_e32 vcc_lo, v28, v29
	v_cmp_eq_u16_e64 s2, v28, v29
	s_or_b32 s3, vcc_lo, s3
	s_delay_alu instid0(SALU_CYCLE_1) | instskip(NEXT) | instid1(SALU_CYCLE_1)
	s_and_b32 s3, exec_lo, s3
	s_or_b32 s21, s3, s21
	s_and_not1_b32 s20, s20, exec_lo
	s_and_b32 s29, s2, exec_lo
	s_mov_b64 s[2:3], s[22:23]
	s_or_b32 s20, s20, s29
	s_and_not1_b32 exec_lo, exec_lo, s21
	s_cbranch_execnz .LBB1451_90
; %bb.91:
	s_or_b32 exec_lo, exec_lo, s21
	v_mul_u64_e32 v[22:23], s[18:19], v[16:17]
	s_mov_b32 s22, 0
	s_mov_b64 s[2:3], s[4:5]
                                        ; implicit-def: $sgpr21
	s_delay_alu instid0(VALU_DEP_1) | instskip(NEXT) | instid1(VALU_DEP_1)
	v_lshl_add_u64 v[22:23], v[22:23], 1, s[8:9]
	v_mov_b64_e32 v[26:27], v[22:23]
.LBB1451_92:                            ; =>This Inner Loop Header: Depth=1
	global_load_u16 v28, v[26:27], off
	global_load_u16 v29, v[24:25], off
	s_cmp_eq_u64 s[2:3], 0
	s_add_nc_u64 s[30:31], s[2:3], -1
	s_cselect_b32 s3, -1, 0
	s_wait_xcnt 0x1
	v_add_nc_u64_e32 v[26:27], 2, v[26:27]
	s_wait_xcnt 0x0
	v_add_nc_u64_e32 v[24:25], 2, v[24:25]
	s_wait_loadcnt 0x0
	v_cmp_ne_u16_e32 vcc_lo, v28, v29
	v_cmp_eq_u16_e64 s2, v28, v29
	s_or_b32 s3, vcc_lo, s3
	s_delay_alu instid0(SALU_CYCLE_1) | instskip(NEXT) | instid1(SALU_CYCLE_1)
	s_and_b32 s3, exec_lo, s3
	s_or_b32 s22, s3, s22
	s_and_not1_b32 s21, s21, exec_lo
	s_and_b32 s23, s2, exec_lo
	s_mov_b64 s[2:3], s[30:31]
	s_or_b32 s21, s21, s23
	s_and_not1_b32 exec_lo, exec_lo, s22
	s_cbranch_execnz .LBB1451_92
; %bb.93:
	s_or_b32 exec_lo, exec_lo, s22
	v_mul_u64_e32 v[24:25], s[18:19], v[14:15]
	s_mov_b32 s22, 0
                                        ; implicit-def: $sgpr3
	s_delay_alu instid0(VALU_DEP_1)
	v_lshl_add_u64 v[24:25], v[24:25], 1, s[8:9]
.LBB1451_94:                            ; =>This Inner Loop Header: Depth=1
	global_load_u16 v26, v[24:25], off
	global_load_u16 v27, v[22:23], off
	s_cmp_eq_u64 s[4:5], 0
	s_add_nc_u64 s[30:31], s[4:5], -1
	s_cselect_b32 s4, -1, 0
	s_wait_xcnt 0x1
	v_add_nc_u64_e32 v[24:25], 2, v[24:25]
	s_wait_xcnt 0x0
	v_add_nc_u64_e32 v[22:23], 2, v[22:23]
	s_wait_loadcnt 0x0
	v_cmp_ne_u16_e32 vcc_lo, v26, v27
	v_cmp_eq_u16_e64 s2, v26, v27
	s_or_b32 s4, vcc_lo, s4
	s_delay_alu instid0(SALU_CYCLE_1) | instskip(NEXT) | instid1(SALU_CYCLE_1)
	s_and_b32 s4, exec_lo, s4
	s_or_b32 s22, s4, s22
	s_and_not1_b32 s3, s3, exec_lo
	s_and_b32 s2, s2, exec_lo
	s_mov_b64 s[4:5], s[30:31]
	s_or_b32 s3, s3, s2
	s_and_not1_b32 exec_lo, exec_lo, s22
	s_cbranch_execnz .LBB1451_94
; %bb.95:
	s_or_b32 exec_lo, exec_lo, s22
	s_xor_b32 s2, s20, -1
	s_delay_alu instid0(SALU_CYCLE_1) | instskip(SKIP_1) | instid1(SALU_CYCLE_1)
	v_cndmask_b32_e64 v22, 0, 1, s2
	s_xor_b32 s2, s21, -1
	v_cndmask_b32_e64 v23, 0, 1, s2
	s_xor_b32 s2, s17, -1
	s_delay_alu instid0(VALU_DEP_2) | instskip(SKIP_2) | instid1(VALU_DEP_2)
	v_lshlrev_b16 v22, 8, v22
	v_cndmask_b32_e64 v35, 0, 1, s2
	s_xor_b32 s2, s3, -1
	v_lshrrev_b32_e32 v22, 8, v22
	s_delay_alu instid0(VALU_DEP_1) | instskip(NEXT) | instid1(VALU_DEP_1)
	v_lshlrev_b16 v22, 8, v22
	v_or_b32_e32 v22, v23, v22
	s_delay_alu instid0(VALU_DEP_1)
	v_lshlrev_b32_e32 v22, 16, v22
	s_branch .LBB1451_98
.LBB1451_96:
	s_wait_kmcnt 0x0
                                        ; implicit-def: $sgpr2
                                        ; implicit-def: $vgpr35
                                        ; implicit-def: $vgpr25
                                        ; implicit-def: $vgpr24
                                        ; implicit-def: $vgpr23
                                        ; implicit-def: $vgpr36
                                        ; implicit-def: $vgpr22
	s_cbranch_execnz .LBB1451_105
	s_branch .LBB1451_138
.LBB1451_97:
	v_dual_mov_b32 v22, 0 :: v_dual_mov_b32 v35, 0
	s_mov_b32 s2, 0
.LBB1451_98:
	s_delay_alu instid0(VALU_DEP_1)
	v_dual_lshrrev_b32 v36, 16, v22 :: v_dual_lshrrev_b32 v22, 24, v22
	v_cndmask_b32_e64 v23, 0, 1, s2
	v_mov_b32_e32 v24, 1
	s_wait_kmcnt 0x0
	s_mov_b32 s4, 0
	s_wait_dscnt 0x0
	s_barrier_signal -1
	s_barrier_wait -1
                                        ; implicit-def: $sgpr2
                                        ; implicit-def: $vgpr25
	s_mov_b32 s3, exec_lo
	v_cmpx_ne_u32_e32 0, v0
	s_xor_b32 s5, exec_lo, s3
	s_cbranch_execz .LBB1451_104
; %bb.99:
	v_lshlrev_b16 v25, 8, v22
	v_lshlrev_b16 v26, 8, v23
	s_and_not1_b32 vcc_lo, exec_lo, s7
	s_mov_b32 s2, 0
	s_delay_alu instid0(VALU_DEP_2) | instskip(NEXT) | instid1(VALU_DEP_1)
	v_bitop3_b16 v25, v36, v25, 0xff bitop3:0xec
	v_dual_lshlrev_b32 v25, 16, v25 :: v_dual_bitop2_b32 v26, 1, v26 bitop3:0x54
	s_delay_alu instid0(VALU_DEP_1) | instskip(NEXT) | instid1(VALU_DEP_1)
	v_and_b32_e32 v26, 0xffff, v26
	v_or_b32_e32 v25, v26, v25
	s_cbranch_vccnz .LBB1451_103
; %bb.100:
	v_add_nc_u32_e32 v26, -8, v31
	v_mul_u64_e32 v[28:29], s[18:19], v[14:15]
	s_add_nc_u64 s[2:3], s[18:19], -1
	s_mov_b32 s17, 0
                                        ; implicit-def: $sgpr20
	ds_load_b64 v[26:27], v26
	s_wait_dscnt 0x0
	v_mul_u64_e32 v[26:27], s[18:19], v[26:27]
	v_lshl_add_u64 v[28:29], v[28:29], 1, s[8:9]
	s_delay_alu instid0(VALU_DEP_2)
	v_lshl_add_u64 v[26:27], v[26:27], 1, s[8:9]
.LBB1451_101:                           ; =>This Inner Loop Header: Depth=1
	global_load_u16 v32, v[26:27], off
	global_load_u16 v33, v[28:29], off
	s_cmp_eq_u64 s[2:3], 0
	s_add_nc_u64 s[22:23], s[2:3], -1
	s_cselect_b32 s3, -1, 0
	s_wait_xcnt 0x1
	v_add_nc_u64_e32 v[26:27], 2, v[26:27]
	s_wait_xcnt 0x0
	v_add_nc_u64_e32 v[28:29], 2, v[28:29]
	s_wait_loadcnt 0x0
	v_cmp_ne_u16_e32 vcc_lo, v32, v33
	v_cmp_eq_u16_e64 s2, v32, v33
	s_or_b32 s3, vcc_lo, s3
	s_delay_alu instid0(SALU_CYCLE_1) | instskip(NEXT) | instid1(SALU_CYCLE_1)
	s_and_b32 s3, exec_lo, s3
	s_or_b32 s17, s3, s17
	s_and_not1_b32 s20, s20, exec_lo
	s_and_b32 s21, s2, exec_lo
	s_mov_b64 s[2:3], s[22:23]
	s_or_b32 s20, s20, s21
	s_and_not1_b32 exec_lo, exec_lo, s17
	s_cbranch_execnz .LBB1451_101
; %bb.102:
	s_or_b32 exec_lo, exec_lo, s17
	s_xor_b32 s2, s20, -1
.LBB1451_103:
	s_delay_alu instid0(VALU_DEP_1)
	v_perm_b32 v25, v25, v25, 0x3020104
	s_or_b32 s6, s6, exec_lo
.LBB1451_104:
	s_or_b32 exec_lo, exec_lo, s5
	s_delay_alu instid0(SALU_CYCLE_1)
	s_and_b32 vcc_lo, exec_lo, s4
	s_cbranch_vccz .LBB1451_138
.LBB1451_105:
	v_add_nc_u32_e32 v22, 4, v30
	s_mov_b32 s4, 0
	s_mov_b32 s5, 0
	s_mov_b32 s17, exec_lo
	s_delay_alu instid0(VALU_DEP_1)
	v_cmpx_gt_u32_e64 s27, v22
	s_cbranch_execz .LBB1451_111
; %bb.106:
	s_and_not1_b32 vcc_lo, exec_lo, s7
	s_mov_b32 s2, 0
	s_cbranch_vccnz .LBB1451_110
; %bb.107:
	v_mul_u64_e32 v[22:23], s[18:19], v[12:13]
	v_mul_u64_e32 v[24:25], s[18:19], v[20:21]
	s_add_nc_u64 s[2:3], s[18:19], -1
                                        ; implicit-def: $sgpr20
	s_delay_alu instid0(VALU_DEP_2) | instskip(NEXT) | instid1(VALU_DEP_2)
	v_lshl_add_u64 v[22:23], v[22:23], 1, s[8:9]
	v_lshl_add_u64 v[24:25], v[24:25], 1, s[8:9]
.LBB1451_108:                           ; =>This Inner Loop Header: Depth=1
	global_load_u16 v26, v[22:23], off
	global_load_u16 v27, v[24:25], off
	s_cmp_eq_u64 s[2:3], 0
	s_add_nc_u64 s[22:23], s[2:3], -1
	s_cselect_b32 s3, -1, 0
	s_wait_xcnt 0x1
	v_add_nc_u64_e32 v[22:23], 2, v[22:23]
	s_wait_xcnt 0x0
	v_add_nc_u64_e32 v[24:25], 2, v[24:25]
	s_wait_loadcnt 0x0
	v_cmp_ne_u16_e32 vcc_lo, v26, v27
	v_cmp_eq_u16_e64 s2, v26, v27
	s_or_b32 s3, vcc_lo, s3
	s_delay_alu instid0(SALU_CYCLE_1) | instskip(NEXT) | instid1(SALU_CYCLE_1)
	s_and_b32 s3, exec_lo, s3
	s_or_b32 s5, s3, s5
	s_and_not1_b32 s20, s20, exec_lo
	s_and_b32 s21, s2, exec_lo
	s_mov_b64 s[2:3], s[22:23]
	s_or_b32 s20, s20, s21
	s_and_not1_b32 exec_lo, exec_lo, s5
	s_cbranch_execnz .LBB1451_108
; %bb.109:
	s_or_b32 exec_lo, exec_lo, s5
	s_xor_b32 s2, s20, -1
.LBB1451_110:
	s_delay_alu instid0(SALU_CYCLE_1)
	s_and_b32 s5, s2, exec_lo
.LBB1451_111:
	s_or_b32 exec_lo, exec_lo, s17
	v_add_nc_u32_e32 v22, 3, v30
	s_mov_b32 s17, exec_lo
	s_delay_alu instid0(VALU_DEP_1)
	v_cmpx_gt_u32_e64 s27, v22
	s_cbranch_execz .LBB1451_117
; %bb.112:
	s_and_not1_b32 vcc_lo, exec_lo, s7
	s_mov_b32 s2, 0
	s_cbranch_vccnz .LBB1451_116
; %bb.113:
	v_mul_u64_e32 v[22:23], s[18:19], v[10:11]
	v_mul_u64_e32 v[24:25], s[18:19], v[12:13]
	s_add_nc_u64 s[2:3], s[18:19], -1
	s_mov_b32 s4, 0
                                        ; implicit-def: $sgpr20
	s_delay_alu instid0(VALU_DEP_2) | instskip(NEXT) | instid1(VALU_DEP_2)
	v_lshl_add_u64 v[22:23], v[22:23], 1, s[8:9]
	v_lshl_add_u64 v[24:25], v[24:25], 1, s[8:9]
.LBB1451_114:                           ; =>This Inner Loop Header: Depth=1
	global_load_u16 v26, v[22:23], off
	global_load_u16 v27, v[24:25], off
	s_cmp_eq_u64 s[2:3], 0
	s_add_nc_u64 s[22:23], s[2:3], -1
	s_cselect_b32 s3, -1, 0
	s_wait_xcnt 0x1
	v_add_nc_u64_e32 v[22:23], 2, v[22:23]
	s_wait_xcnt 0x0
	v_add_nc_u64_e32 v[24:25], 2, v[24:25]
	s_wait_loadcnt 0x0
	v_cmp_ne_u16_e32 vcc_lo, v26, v27
	v_cmp_eq_u16_e64 s2, v26, v27
	s_or_b32 s3, vcc_lo, s3
	s_delay_alu instid0(SALU_CYCLE_1) | instskip(NEXT) | instid1(SALU_CYCLE_1)
	s_and_b32 s3, exec_lo, s3
	s_or_b32 s4, s3, s4
	s_and_not1_b32 s20, s20, exec_lo
	s_and_b32 s21, s2, exec_lo
	s_mov_b64 s[2:3], s[22:23]
	s_or_b32 s20, s20, s21
	s_and_not1_b32 exec_lo, exec_lo, s4
	s_cbranch_execnz .LBB1451_114
; %bb.115:
	s_or_b32 exec_lo, exec_lo, s4
	s_xor_b32 s2, s20, -1
.LBB1451_116:
	s_delay_alu instid0(SALU_CYCLE_1)
	s_and_b32 s4, s2, exec_lo
.LBB1451_117:
	s_or_b32 exec_lo, exec_lo, s17
	v_add_nc_u32_e32 v22, 2, v30
	s_mov_b32 s17, 0
	s_mov_b32 s20, 0
	s_mov_b32 s21, exec_lo
	s_delay_alu instid0(VALU_DEP_1)
	v_cmpx_gt_u32_e64 s27, v22
	s_cbranch_execz .LBB1451_123
; %bb.118:
	s_and_not1_b32 vcc_lo, exec_lo, s7
	s_mov_b32 s2, 0
	s_cbranch_vccnz .LBB1451_122
; %bb.119:
	v_mul_u64_e32 v[22:23], s[18:19], v[16:17]
	v_mul_u64_e32 v[24:25], s[18:19], v[10:11]
	s_add_nc_u64 s[2:3], s[18:19], -1
                                        ; implicit-def: $sgpr22
	s_delay_alu instid0(VALU_DEP_2) | instskip(NEXT) | instid1(VALU_DEP_2)
	v_lshl_add_u64 v[22:23], v[22:23], 1, s[8:9]
	v_lshl_add_u64 v[24:25], v[24:25], 1, s[8:9]
.LBB1451_120:                           ; =>This Inner Loop Header: Depth=1
	global_load_u16 v26, v[22:23], off
	global_load_u16 v27, v[24:25], off
	s_cmp_eq_u64 s[2:3], 0
	s_add_nc_u64 s[30:31], s[2:3], -1
	s_cselect_b32 s3, -1, 0
	s_wait_xcnt 0x1
	v_add_nc_u64_e32 v[22:23], 2, v[22:23]
	s_wait_xcnt 0x0
	v_add_nc_u64_e32 v[24:25], 2, v[24:25]
	s_wait_loadcnt 0x0
	v_cmp_ne_u16_e32 vcc_lo, v26, v27
	v_cmp_eq_u16_e64 s2, v26, v27
	s_or_b32 s3, vcc_lo, s3
	s_delay_alu instid0(SALU_CYCLE_1) | instskip(NEXT) | instid1(SALU_CYCLE_1)
	s_and_b32 s3, exec_lo, s3
	s_or_b32 s20, s3, s20
	s_and_not1_b32 s22, s22, exec_lo
	s_and_b32 s23, s2, exec_lo
	s_mov_b64 s[2:3], s[30:31]
	s_or_b32 s22, s22, s23
	s_and_not1_b32 exec_lo, exec_lo, s20
	s_cbranch_execnz .LBB1451_120
; %bb.121:
	s_or_b32 exec_lo, exec_lo, s20
	s_xor_b32 s2, s22, -1
.LBB1451_122:
	s_delay_alu instid0(SALU_CYCLE_1)
	s_and_b32 s20, s2, exec_lo
.LBB1451_123:
	s_or_b32 exec_lo, exec_lo, s21
	v_add_nc_u32_e32 v22, 1, v30
	s_mov_b32 s21, exec_lo
	s_delay_alu instid0(VALU_DEP_1)
	v_cmpx_gt_u32_e64 s27, v22
	s_cbranch_execz .LBB1451_129
; %bb.124:
	s_and_not1_b32 vcc_lo, exec_lo, s7
	s_mov_b32 s2, 0
	s_cbranch_vccnz .LBB1451_128
; %bb.125:
	v_mul_u64_e32 v[22:23], s[18:19], v[14:15]
	v_mul_u64_e32 v[24:25], s[18:19], v[16:17]
	s_add_nc_u64 s[2:3], s[18:19], -1
	s_mov_b32 s17, 0
                                        ; implicit-def: $sgpr22
	s_delay_alu instid0(VALU_DEP_2) | instskip(NEXT) | instid1(VALU_DEP_2)
	v_lshl_add_u64 v[22:23], v[22:23], 1, s[8:9]
	v_lshl_add_u64 v[24:25], v[24:25], 1, s[8:9]
.LBB1451_126:                           ; =>This Inner Loop Header: Depth=1
	global_load_u16 v26, v[22:23], off
	global_load_u16 v27, v[24:25], off
	s_cmp_eq_u64 s[2:3], 0
	s_add_nc_u64 s[30:31], s[2:3], -1
	s_cselect_b32 s3, -1, 0
	s_wait_xcnt 0x1
	v_add_nc_u64_e32 v[22:23], 2, v[22:23]
	s_wait_xcnt 0x0
	v_add_nc_u64_e32 v[24:25], 2, v[24:25]
	s_wait_loadcnt 0x0
	v_cmp_ne_u16_e32 vcc_lo, v26, v27
	v_cmp_eq_u16_e64 s2, v26, v27
	s_or_b32 s3, vcc_lo, s3
	s_delay_alu instid0(SALU_CYCLE_1) | instskip(NEXT) | instid1(SALU_CYCLE_1)
	s_and_b32 s3, exec_lo, s3
	s_or_b32 s17, s3, s17
	s_and_not1_b32 s22, s22, exec_lo
	s_and_b32 s23, s2, exec_lo
	s_mov_b64 s[2:3], s[30:31]
	s_or_b32 s22, s22, s23
	s_and_not1_b32 exec_lo, exec_lo, s17
	s_cbranch_execnz .LBB1451_126
; %bb.127:
	s_or_b32 exec_lo, exec_lo, s17
	s_xor_b32 s2, s22, -1
.LBB1451_128:
	s_delay_alu instid0(SALU_CYCLE_1)
	s_and_b32 s17, s2, exec_lo
.LBB1451_129:
	s_or_b32 exec_lo, exec_lo, s21
	v_cndmask_b32_e64 v35, 0, 1, s5
	v_cndmask_b32_e64 v36, 0, 1, s20
	;; [unrolled: 1-line block ×4, first 2 shown]
	v_mov_b32_e32 v24, 1
	s_mov_b32 s2, 0
	s_mov_b32 s4, exec_lo
	s_wait_dscnt 0x0
	s_barrier_signal -1
	s_barrier_wait -1
                                        ; implicit-def: $vgpr25
	v_cmpx_ne_u32_e32 0, v0
	s_cbranch_execz .LBB1451_137
; %bb.130:
	v_lshlrev_b16 v25, 8, v23
	v_lshlrev_b16 v26, 8, v22
	s_mov_b32 s5, exec_lo
	s_delay_alu instid0(VALU_DEP_1) | instskip(NEXT) | instid1(VALU_DEP_1)
	v_or_b32_e32 v26, v36, v26
	v_dual_lshlrev_b32 v26, 16, v26 :: v_dual_bitop2_b32 v25, 1, v25 bitop3:0x54
	s_delay_alu instid0(VALU_DEP_1) | instskip(NEXT) | instid1(VALU_DEP_1)
	v_and_b32_e32 v25, 0xffff, v25
	v_or_b32_e32 v25, v25, v26
	v_cmpx_gt_u32_e64 s27, v30
	s_cbranch_execz .LBB1451_136
; %bb.131:
	s_and_not1_b32 vcc_lo, exec_lo, s7
	s_cbranch_vccnz .LBB1451_135
; %bb.132:
	v_add_nc_u32_e32 v26, -8, v31
	v_mul_u64_e32 v[28:29], s[18:19], v[14:15]
	s_add_nc_u64 s[2:3], s[18:19], -1
	s_mov_b32 s7, 0
	ds_load_b64 v[26:27], v26
	s_wait_dscnt 0x0
	v_mul_u64_e32 v[26:27], s[18:19], v[26:27]
	v_lshl_add_u64 v[28:29], v[28:29], 1, s[8:9]
	s_delay_alu instid0(VALU_DEP_2)
	v_lshl_add_u64 v[26:27], v[26:27], 1, s[8:9]
                                        ; implicit-def: $sgpr8
.LBB1451_133:                           ; =>This Inner Loop Header: Depth=1
	global_load_u16 v31, v[26:27], off
	global_load_u16 v32, v[28:29], off
	s_cmp_eq_u64 s[2:3], 0
	s_add_nc_u64 s[18:19], s[2:3], -1
	s_cselect_b32 s3, -1, 0
	s_wait_xcnt 0x1
	v_add_nc_u64_e32 v[26:27], 2, v[26:27]
	s_wait_xcnt 0x0
	v_add_nc_u64_e32 v[28:29], 2, v[28:29]
	s_wait_loadcnt 0x0
	v_cmp_ne_u16_e32 vcc_lo, v31, v32
	v_cmp_eq_u16_e64 s2, v31, v32
	s_or_b32 s3, vcc_lo, s3
	s_delay_alu instid0(SALU_CYCLE_1) | instskip(NEXT) | instid1(SALU_CYCLE_1)
	s_and_b32 s3, exec_lo, s3
	s_or_b32 s7, s3, s7
	s_and_not1_b32 s8, s8, exec_lo
	s_and_b32 s9, s2, exec_lo
	s_mov_b64 s[2:3], s[18:19]
	s_or_b32 s8, s8, s9
	s_and_not1_b32 exec_lo, exec_lo, s7
	s_cbranch_execnz .LBB1451_133
; %bb.134:
	s_or_b32 exec_lo, exec_lo, s7
	s_xor_b32 s2, s8, -1
.LBB1451_135:
	s_delay_alu instid0(SALU_CYCLE_1)
	s_and_b32 s2, s2, exec_lo
.LBB1451_136:
	s_or_b32 exec_lo, exec_lo, s5
	s_delay_alu instid0(VALU_DEP_2)
	v_perm_b32 v25, v25, v25, 0x3020104
	s_or_b32 s6, s6, exec_lo
.LBB1451_137:
	s_or_b32 exec_lo, exec_lo, s4
.LBB1451_138:
	s_and_saveexec_b32 s3, s6
	s_cbranch_execz .LBB1451_140
; %bb.139:
	s_wait_dscnt 0x0
	v_dual_lshrrev_b32 v22, 24, v25 :: v_dual_lshrrev_b32 v36, 16, v25
	v_lshrrev_b32_e32 v23, 8, v25
	v_cndmask_b32_e64 v24, 0, 1, s2
.LBB1451_140:
	s_or_b32 exec_lo, exec_lo, s3
	s_delay_alu instid0(SALU_CYCLE_1)
	s_and_not1_b32 vcc_lo, exec_lo, s28
	s_cbranch_vccnz .LBB1451_144
; %bb.141:
	s_wait_dscnt 0x0
	v_perm_b32 v23, v24, v23, 0xc0c0004
	v_perm_b32 v22, v36, v22, 0xc0c0004
	v_cmp_gt_u32_e32 vcc_lo, s27, v30
	v_dual_add_nc_u32 v24, 1, v30 :: v_dual_add_nc_u32 v26, 4, v30
	v_and_b32_e32 v35, 0xff, v35
	s_delay_alu instid0(VALU_DEP_4) | instskip(SKIP_1) | instid1(VALU_DEP_2)
	v_lshl_or_b32 v22, v22, 16, v23
	s_mov_b32 s2, exec_lo
	v_and_b32_e32 v25, 0xffff, v35
	s_delay_alu instid0(VALU_DEP_2) | instskip(SKIP_2) | instid1(VALU_DEP_3)
	v_cndmask_b32_e32 v23, 0, v22, vcc_lo
	v_cmp_gt_u32_e32 vcc_lo, s27, v24
	v_add_nc_u32_e32 v24, 2, v30
	v_and_b32_e32 v23, 0xff, v23
	s_delay_alu instid0(VALU_DEP_1) | instskip(NEXT) | instid1(VALU_DEP_3)
	v_cndmask_b32_e32 v23, v23, v22, vcc_lo
	v_cmp_gt_u32_e32 vcc_lo, s27, v24
	v_add_nc_u32_e32 v24, 3, v30
	s_delay_alu instid0(VALU_DEP_3) | instskip(NEXT) | instid1(VALU_DEP_1)
	v_and_b32_e32 v23, 0xffff, v23
	v_cndmask_b32_e32 v23, v23, v22, vcc_lo
	s_delay_alu instid0(VALU_DEP_3) | instskip(NEXT) | instid1(VALU_DEP_2)
	v_cmp_gt_u32_e32 vcc_lo, s27, v24
	v_and_b32_e32 v23, 0xffffff, v23
	s_delay_alu instid0(VALU_DEP_1) | instskip(NEXT) | instid1(VALU_DEP_1)
	v_cndmask_b32_e32 v24, v23, v22, vcc_lo
	v_lshrrev_b64 v[22:23], 24, v[24:25]
	v_dual_lshrrev_b32 v36, 16, v24 :: v_dual_lshrrev_b32 v23, 8, v24
	v_cmpx_le_u32_e64 s27, v26
; %bb.142:
	v_mov_b32_e32 v35, 0
; %bb.143:
	s_or_b32 exec_lo, exec_lo, s2
.LBB1451_144:
	s_delay_alu instid0(VALU_DEP_1)
	v_and_b32_e32 v25, 0xff, v24
	s_wait_dscnt 0x0
	v_and_b32_e32 v37, 0xff, v23
	v_and_b32_e32 v38, 0xff, v36
	v_mbcnt_lo_u32_b32 v40, -1, 0
	v_and_b32_e32 v39, 0xff, v22
	v_and_b32_e32 v26, 0xff, v35
	s_wait_kmcnt 0x0
	v_readfirstlane_b32 s8, v0
	v_add3_u32 v27, v37, v25, v38
	v_and_b32_e32 v28, 15, v40
	s_and_b32 vcc_lo, exec_lo, s16
	v_lshrrev_b32_e32 v41, 5, v0
	s_mov_b32 s9, -1
	v_add3_u32 v42, v27, v39, v26
	v_and_b32_e32 v26, 16, v40
	v_or_b32_e32 v27, 31, v0
	v_cmp_eq_u32_e64 s4, 0, v28
	v_cmp_lt_u32_e64 s6, 1, v28
	v_cmp_lt_u32_e64 s7, 3, v28
	;; [unrolled: 1-line block ×3, first 2 shown]
	v_cmp_eq_u32_e64 s3, 0, v26
	v_cmp_eq_u32_e64 s2, v0, v27
	s_barrier_signal -1
	s_barrier_wait -1
                                        ; implicit-def: $vgpr28
                                        ; implicit-def: $vgpr29
                                        ; implicit-def: $vgpr30
                                        ; implicit-def: $vgpr31
                                        ; implicit-def: $vgpr32
                                        ; implicit-def: $vgpr26
	s_cbranch_vccz .LBB1451_171
; %bb.145:
	v_mov_b32_dpp v26, v42 row_shr:1 row_mask:0xf bank_mask:0xf
	s_delay_alu instid0(VALU_DEP_1) | instskip(NEXT) | instid1(VALU_DEP_1)
	v_cndmask_b32_e64 v26, v26, 0, s4
	v_add_nc_u32_e32 v26, v26, v42
	s_delay_alu instid0(VALU_DEP_1) | instskip(NEXT) | instid1(VALU_DEP_1)
	v_mov_b32_dpp v27, v26 row_shr:2 row_mask:0xf bank_mask:0xf
	v_cndmask_b32_e64 v27, 0, v27, s6
	s_delay_alu instid0(VALU_DEP_1) | instskip(NEXT) | instid1(VALU_DEP_1)
	v_add_nc_u32_e32 v26, v26, v27
	v_mov_b32_dpp v27, v26 row_shr:4 row_mask:0xf bank_mask:0xf
	s_delay_alu instid0(VALU_DEP_1) | instskip(NEXT) | instid1(VALU_DEP_1)
	v_cndmask_b32_e64 v27, 0, v27, s7
	v_add_nc_u32_e32 v26, v26, v27
	s_delay_alu instid0(VALU_DEP_1) | instskip(NEXT) | instid1(VALU_DEP_1)
	v_mov_b32_dpp v27, v26 row_shr:8 row_mask:0xf bank_mask:0xf
	v_cndmask_b32_e64 v27, 0, v27, s5
	s_delay_alu instid0(VALU_DEP_1) | instskip(SKIP_3) | instid1(VALU_DEP_1)
	v_add_nc_u32_e32 v26, v26, v27
	ds_swizzle_b32 v27, v26 offset:swizzle(BROADCAST,32,15)
	s_wait_dscnt 0x0
	v_cndmask_b32_e64 v27, v27, 0, s3
	v_add_nc_u32_e32 v26, v26, v27
	s_and_saveexec_b32 s8, s2
; %bb.146:
	v_lshlrev_b32_e32 v27, 2, v41
	ds_store_b32 v27, v26
; %bb.147:
	s_or_b32 exec_lo, exec_lo, s8
	s_delay_alu instid0(SALU_CYCLE_1)
	s_mov_b32 s8, exec_lo
	s_wait_dscnt 0x0
	s_barrier_signal -1
	s_barrier_wait -1
	v_cmpx_gt_u32_e32 4, v0
	s_cbranch_execz .LBB1451_149
; %bb.148:
	v_and_b32_e32 v29, 3, v40
	s_delay_alu instid0(VALU_DEP_1) | instskip(SKIP_4) | instid1(VALU_DEP_1)
	v_cmp_ne_u32_e32 vcc_lo, 0, v29
	v_lshlrev_b32_e32 v27, 2, v0
	ds_load_b32 v28, v27
	s_wait_dscnt 0x0
	v_mov_b32_dpp v30, v28 row_shr:1 row_mask:0xf bank_mask:0xf
	v_cndmask_b32_e32 v30, 0, v30, vcc_lo
	v_cmp_lt_u32_e32 vcc_lo, 1, v29
	s_delay_alu instid0(VALU_DEP_2) | instskip(NEXT) | instid1(VALU_DEP_1)
	v_add_nc_u32_e32 v28, v30, v28
	v_mov_b32_dpp v30, v28 row_shr:2 row_mask:0xf bank_mask:0xf
	s_delay_alu instid0(VALU_DEP_1) | instskip(NEXT) | instid1(VALU_DEP_1)
	v_cndmask_b32_e32 v29, 0, v30, vcc_lo
	v_add_nc_u32_e32 v28, v28, v29
	ds_store_b32 v27, v28
.LBB1451_149:
	s_or_b32 exec_lo, exec_lo, s8
	s_delay_alu instid0(SALU_CYCLE_1)
	s_mov_b32 s9, exec_lo
	v_cmp_gt_u32_e32 vcc_lo, 32, v0
	s_wait_dscnt 0x0
	s_barrier_signal -1
	s_barrier_wait -1
                                        ; implicit-def: $vgpr43
	v_cmpx_lt_u32_e32 31, v0
	s_cbranch_execz .LBB1451_151
; %bb.150:
	v_lshl_add_u32 v27, v41, 2, -4
	ds_load_b32 v43, v27
	s_wait_dscnt 0x0
	v_add_nc_u32_e32 v26, v43, v26
.LBB1451_151:
	s_or_b32 exec_lo, exec_lo, s9
	v_sub_co_u32 v27, s8, v40, 1
	s_delay_alu instid0(VALU_DEP_1) | instskip(NEXT) | instid1(VALU_DEP_1)
	v_cmp_gt_i32_e64 s9, 0, v27
	v_cndmask_b32_e64 v27, v27, v40, s9
	s_delay_alu instid0(VALU_DEP_1)
	v_lshlrev_b32_e32 v27, 2, v27
	ds_bpermute_b32 v44, v27, v26
	s_and_saveexec_b32 s9, vcc_lo
	s_cbranch_execz .LBB1451_170
; %bb.152:
	v_mov_b32_e32 v33, 0
	ds_load_b32 v26, v33 offset:12
	s_and_saveexec_b32 s16, s8
	s_cbranch_execz .LBB1451_154
; %bb.153:
	s_add_co_i32 s17, s26, 32
	s_delay_alu instid0(SALU_CYCLE_1)
	v_dual_mov_b32 v27, 1 :: v_dual_mov_b32 v28, s17
	s_wait_dscnt 0x0
	global_store_b64 v28, v[26:27], s[10:11] scale_offset scope:SCOPE_DEV
.LBB1451_154:
	s_wait_xcnt 0x0
	s_or_b32 exec_lo, exec_lo, s16
	v_xad_u32 v28, v40, -1, s26
	s_mov_b32 s17, 0
	s_mov_b32 s16, exec_lo
	s_delay_alu instid0(VALU_DEP_1) | instskip(SKIP_4) | instid1(VALU_DEP_1)
	v_add_nc_u32_e32 v32, 32, v28
	global_load_b64 v[30:31], v32, s[10:11] scale_offset scope:SCOPE_DEV
	s_wait_loadcnt 0x0
	v_and_b32_e32 v27, 0xff, v31
	s_wait_xcnt 0x0
	v_cmpx_eq_u16_e32 0, v27
	s_cbranch_execz .LBB1451_158
; %bb.155:
	v_lshl_add_u64 v[32:33], v[32:33], 3, s[10:11]
.LBB1451_156:                           ; =>This Inner Loop Header: Depth=1
	global_load_b64 v[30:31], v[32:33], off scope:SCOPE_DEV
	s_wait_loadcnt 0x0
	v_and_b32_e32 v27, 0xff, v31
	s_delay_alu instid0(VALU_DEP_1)
	v_cmp_ne_u16_e32 vcc_lo, 0, v27
	s_or_b32 s17, vcc_lo, s17
	s_wait_xcnt 0x0
	s_and_not1_b32 exec_lo, exec_lo, s17
	s_cbranch_execnz .LBB1451_156
; %bb.157:
	s_or_b32 exec_lo, exec_lo, s17
.LBB1451_158:
	s_delay_alu instid0(SALU_CYCLE_1)
	s_or_b32 exec_lo, exec_lo, s16
	v_cmp_ne_u32_e32 vcc_lo, 31, v40
	v_lshlrev_b32_e64 v46, v40, -1
	v_lshl_or_b32 v53, v40, 2, 64
	v_dual_add_nc_u32 v48, 2, v40 :: v_dual_add_nc_u32 v50, 4, v40
	v_add_co_ci_u32_e64 v27, null, 0, v40, vcc_lo
	v_dual_add_nc_u32 v52, 8, v40 :: v_dual_add_nc_u32 v54, 16, v40
	s_delay_alu instid0(VALU_DEP_2)
	v_lshlrev_b32_e32 v45, 2, v27
	v_and_b32_e32 v27, 0xff, v31
	ds_bpermute_b32 v29, v45, v30
	v_cmp_eq_u16_e32 vcc_lo, 2, v27
	v_and_or_b32 v27, vcc_lo, v46, 0x80000000
	v_cmp_gt_u32_e32 vcc_lo, 30, v40
	s_delay_alu instid0(VALU_DEP_2) | instskip(SKIP_1) | instid1(VALU_DEP_2)
	v_ctz_i32_b32_e32 v27, v27
	v_cndmask_b32_e64 v32, 0, 2, vcc_lo
	v_cmp_lt_u32_e32 vcc_lo, v40, v27
	s_delay_alu instid0(VALU_DEP_2) | instskip(SKIP_3) | instid1(VALU_DEP_2)
	v_add_lshl_u32 v47, v32, v40, 2
	s_wait_dscnt 0x0
	v_cndmask_b32_e32 v29, 0, v29, vcc_lo
	v_cmp_gt_u32_e32 vcc_lo, 28, v40
	v_add_nc_u32_e32 v29, v29, v30
	v_cndmask_b32_e64 v32, 0, 4, vcc_lo
	v_cmp_le_u32_e32 vcc_lo, v48, v27
	ds_bpermute_b32 v30, v47, v29
	v_add_lshl_u32 v49, v32, v40, 2
	s_wait_dscnt 0x0
	v_cndmask_b32_e32 v30, 0, v30, vcc_lo
	v_cmp_gt_u32_e32 vcc_lo, 24, v40
	v_cndmask_b32_e64 v32, 0, 8, vcc_lo
	v_cmp_le_u32_e32 vcc_lo, v50, v27
	s_delay_alu instid0(VALU_DEP_4) | instskip(NEXT) | instid1(VALU_DEP_3)
	v_add_nc_u32_e32 v29, v29, v30
	v_add_lshl_u32 v51, v32, v40, 2
	ds_bpermute_b32 v30, v49, v29
	s_wait_dscnt 0x0
	v_cndmask_b32_e32 v30, 0, v30, vcc_lo
	v_cmp_le_u32_e32 vcc_lo, v52, v27
	s_delay_alu instid0(VALU_DEP_2) | instskip(SKIP_4) | instid1(VALU_DEP_2)
	v_add_nc_u32_e32 v29, v29, v30
	ds_bpermute_b32 v30, v51, v29
	s_wait_dscnt 0x0
	v_cndmask_b32_e32 v30, 0, v30, vcc_lo
	v_cmp_le_u32_e32 vcc_lo, v54, v27
	v_add_nc_u32_e32 v29, v29, v30
	ds_bpermute_b32 v30, v53, v29
	s_wait_dscnt 0x0
	v_cndmask_b32_e32 v27, 0, v30, vcc_lo
	s_delay_alu instid0(VALU_DEP_1)
	v_dual_mov_b32 v29, 0 :: v_dual_add_nc_u32 v30, v29, v27
	s_branch .LBB1451_161
.LBB1451_159:                           ;   in Loop: Header=BB1451_161 Depth=1
	s_or_b32 exec_lo, exec_lo, s16
	v_and_b32_e32 v32, 0xff, v31
	ds_bpermute_b32 v33, v45, v30
	v_subrev_nc_u32_e32 v28, 32, v28
	s_mov_b32 s16, 0
	v_cmp_eq_u16_e32 vcc_lo, 2, v32
	v_and_or_b32 v32, vcc_lo, v46, 0x80000000
	s_delay_alu instid0(VALU_DEP_1) | instskip(NEXT) | instid1(VALU_DEP_1)
	v_ctz_i32_b32_e32 v32, v32
	v_cmp_lt_u32_e32 vcc_lo, v40, v32
	s_wait_dscnt 0x0
	v_cndmask_b32_e32 v33, 0, v33, vcc_lo
	v_cmp_le_u32_e32 vcc_lo, v48, v32
	s_delay_alu instid0(VALU_DEP_2) | instskip(SKIP_4) | instid1(VALU_DEP_2)
	v_add_nc_u32_e32 v30, v33, v30
	ds_bpermute_b32 v33, v47, v30
	s_wait_dscnt 0x0
	v_cndmask_b32_e32 v33, 0, v33, vcc_lo
	v_cmp_le_u32_e32 vcc_lo, v50, v32
	v_add_nc_u32_e32 v30, v30, v33
	ds_bpermute_b32 v33, v49, v30
	s_wait_dscnt 0x0
	v_cndmask_b32_e32 v33, 0, v33, vcc_lo
	v_cmp_le_u32_e32 vcc_lo, v52, v32
	s_delay_alu instid0(VALU_DEP_2) | instskip(SKIP_4) | instid1(VALU_DEP_2)
	v_add_nc_u32_e32 v30, v30, v33
	ds_bpermute_b32 v33, v51, v30
	s_wait_dscnt 0x0
	v_cndmask_b32_e32 v33, 0, v33, vcc_lo
	v_cmp_le_u32_e32 vcc_lo, v54, v32
	v_add_nc_u32_e32 v30, v30, v33
	ds_bpermute_b32 v33, v53, v30
	s_wait_dscnt 0x0
	v_cndmask_b32_e32 v32, 0, v33, vcc_lo
	s_delay_alu instid0(VALU_DEP_1)
	v_add3_u32 v30, v32, v27, v30
.LBB1451_160:                           ;   in Loop: Header=BB1451_161 Depth=1
	s_and_b32 vcc_lo, exec_lo, s16
	s_cbranch_vccnz .LBB1451_166
.LBB1451_161:                           ; =>This Loop Header: Depth=1
                                        ;     Child Loop BB1451_164 Depth 2
	v_and_b32_e32 v27, 0xff, v31
	s_mov_b32 s16, -1
                                        ; implicit-def: $vgpr31
	s_delay_alu instid0(VALU_DEP_1)
	v_cmp_ne_u16_e32 vcc_lo, 2, v27
	v_mov_b32_e32 v27, v30
                                        ; implicit-def: $vgpr30
	s_cmp_lg_u32 vcc_lo, exec_lo
	s_cbranch_scc1 .LBB1451_160
; %bb.162:                              ;   in Loop: Header=BB1451_161 Depth=1
	global_load_b64 v[30:31], v28, s[10:11] scale_offset scope:SCOPE_DEV
	s_mov_b32 s16, exec_lo
	s_wait_loadcnt 0x0
	v_and_b32_e32 v32, 0xff, v31
	s_wait_xcnt 0x0
	s_delay_alu instid0(VALU_DEP_1)
	v_cmpx_eq_u16_e32 0, v32
	s_cbranch_execz .LBB1451_159
; %bb.163:                              ;   in Loop: Header=BB1451_161 Depth=1
	v_lshl_add_u64 v[32:33], v[28:29], 3, s[10:11]
	s_mov_b32 s17, 0
.LBB1451_164:                           ;   Parent Loop BB1451_161 Depth=1
                                        ; =>  This Inner Loop Header: Depth=2
	global_load_b64 v[30:31], v[32:33], off scope:SCOPE_DEV
	s_wait_loadcnt 0x0
	v_and_b32_e32 v55, 0xff, v31
	s_delay_alu instid0(VALU_DEP_1)
	v_cmp_ne_u16_e32 vcc_lo, 0, v55
	s_or_b32 s17, vcc_lo, s17
	s_wait_xcnt 0x0
	s_and_not1_b32 exec_lo, exec_lo, s17
	s_cbranch_execnz .LBB1451_164
; %bb.165:                              ;   in Loop: Header=BB1451_161 Depth=1
	s_or_b32 exec_lo, exec_lo, s17
	s_branch .LBB1451_159
.LBB1451_166:
	s_and_saveexec_b32 s16, s8
	s_cbranch_execz .LBB1451_168
; %bb.167:
	s_add_co_i32 s17, s26, 32
	v_dual_mov_b32 v29, 2 :: v_dual_add_nc_u32 v28, v27, v26
	v_dual_mov_b32 v30, s17 :: v_dual_mov_b32 v31, 0
	global_store_b64 v30, v[28:29], s[10:11] scale_offset scope:SCOPE_DEV
	ds_store_b64 v31, v[26:27] offset:5120
.LBB1451_168:
	s_wait_xcnt 0x0
	s_or_b32 exec_lo, exec_lo, s16
	v_cmp_eq_u32_e32 vcc_lo, 0, v0
	s_and_b32 exec_lo, exec_lo, vcc_lo
; %bb.169:
	v_mov_b32_e32 v26, 0
	ds_store_b32 v26, v27 offset:12
.LBB1451_170:
	s_or_b32 exec_lo, exec_lo, s9
	s_wait_dscnt 0x0
	v_dual_mov_b32 v26, 0 :: v_dual_cndmask_b32 v28, v44, v43, s8
	s_wait_storecnt 0x0
	s_barrier_signal -1
	s_barrier_wait -1
	ds_load_b32 v27, v26 offset:12
	v_cmp_ne_u32_e32 vcc_lo, 0, v0
	s_wait_dscnt 0x0
	s_barrier_signal -1
	s_barrier_wait -1
	v_cndmask_b32_e32 v28, 0, v28, vcc_lo
	s_mov_b32 s9, 0
	s_delay_alu instid0(VALU_DEP_1) | instskip(SKIP_2) | instid1(VALU_DEP_1)
	v_add_nc_u32_e32 v32, v27, v28
	ds_load_b64 v[26:27], v26 offset:5120
	v_add_nc_u32_e32 v31, v32, v25
	v_add_nc_u32_e32 v30, v31, v37
	s_delay_alu instid0(VALU_DEP_1) | instskip(NEXT) | instid1(VALU_DEP_1)
	v_add_nc_u32_e32 v29, v30, v38
	v_add_nc_u32_e32 v28, v29, v39
	s_wait_dscnt 0x0
	v_readfirstlane_b32 s8, v27
.LBB1451_171:
	s_and_b32 vcc_lo, exec_lo, s9
	s_cbranch_vccz .LBB1451_181
; %bb.172:
	v_mov_b32_dpp v26, v42 row_shr:1 row_mask:0xf bank_mask:0xf
	s_delay_alu instid0(VALU_DEP_1) | instskip(NEXT) | instid1(VALU_DEP_1)
	v_cndmask_b32_e64 v26, v26, 0, s4
	v_add_nc_u32_e32 v26, v26, v42
	s_delay_alu instid0(VALU_DEP_1) | instskip(NEXT) | instid1(VALU_DEP_1)
	v_mov_b32_dpp v27, v26 row_shr:2 row_mask:0xf bank_mask:0xf
	v_cndmask_b32_e64 v27, 0, v27, s6
	s_delay_alu instid0(VALU_DEP_1) | instskip(NEXT) | instid1(VALU_DEP_1)
	v_add_nc_u32_e32 v26, v26, v27
	v_mov_b32_dpp v27, v26 row_shr:4 row_mask:0xf bank_mask:0xf
	s_delay_alu instid0(VALU_DEP_1) | instskip(NEXT) | instid1(VALU_DEP_1)
	v_cndmask_b32_e64 v27, 0, v27, s7
	v_add_nc_u32_e32 v26, v26, v27
	s_delay_alu instid0(VALU_DEP_1) | instskip(NEXT) | instid1(VALU_DEP_1)
	v_mov_b32_dpp v27, v26 row_shr:8 row_mask:0xf bank_mask:0xf
	v_cndmask_b32_e64 v27, 0, v27, s5
	s_delay_alu instid0(VALU_DEP_1) | instskip(SKIP_3) | instid1(VALU_DEP_1)
	v_add_nc_u32_e32 v26, v26, v27
	ds_swizzle_b32 v27, v26 offset:swizzle(BROADCAST,32,15)
	s_wait_dscnt 0x0
	v_cndmask_b32_e64 v27, v27, 0, s3
	v_add_nc_u32_e32 v26, v26, v27
	s_and_saveexec_b32 s3, s2
; %bb.173:
	v_lshlrev_b32_e32 v27, 2, v41
	ds_store_b32 v27, v26
; %bb.174:
	s_or_b32 exec_lo, exec_lo, s3
	s_delay_alu instid0(SALU_CYCLE_1)
	s_mov_b32 s2, exec_lo
	s_wait_dscnt 0x0
	s_barrier_signal -1
	s_barrier_wait -1
	v_cmpx_gt_u32_e32 4, v0
	s_cbranch_execz .LBB1451_176
; %bb.175:
	v_and_b32_e32 v29, 3, v40
	s_delay_alu instid0(VALU_DEP_1) | instskip(SKIP_4) | instid1(VALU_DEP_1)
	v_cmp_ne_u32_e32 vcc_lo, 0, v29
	v_lshlrev_b32_e32 v27, 2, v0
	ds_load_b32 v28, v27
	s_wait_dscnt 0x0
	v_mov_b32_dpp v30, v28 row_shr:1 row_mask:0xf bank_mask:0xf
	v_cndmask_b32_e32 v30, 0, v30, vcc_lo
	v_cmp_lt_u32_e32 vcc_lo, 1, v29
	s_delay_alu instid0(VALU_DEP_2) | instskip(NEXT) | instid1(VALU_DEP_1)
	v_add_nc_u32_e32 v28, v30, v28
	v_mov_b32_dpp v30, v28 row_shr:2 row_mask:0xf bank_mask:0xf
	s_delay_alu instid0(VALU_DEP_1) | instskip(NEXT) | instid1(VALU_DEP_1)
	v_cndmask_b32_e32 v29, 0, v30, vcc_lo
	v_add_nc_u32_e32 v28, v28, v29
	ds_store_b32 v27, v28
.LBB1451_176:
	s_or_b32 exec_lo, exec_lo, s2
	v_dual_mov_b32 v27, 0 :: v_dual_mov_b32 v28, 0
	s_mov_b32 s2, exec_lo
	s_wait_dscnt 0x0
	s_barrier_signal -1
	s_barrier_wait -1
	v_cmpx_lt_u32_e32 31, v0
; %bb.177:
	v_lshl_add_u32 v28, v41, 2, -4
	ds_load_b32 v28, v28
; %bb.178:
	s_or_b32 exec_lo, exec_lo, s2
	v_sub_co_u32 v29, vcc_lo, v40, 1
	s_mov_b32 s8, 0
	s_wait_dscnt 0x0
	v_add_nc_u32_e32 v26, v28, v26
	v_cmp_gt_i32_e64 s2, 0, v29
	s_delay_alu instid0(VALU_DEP_1) | instskip(SKIP_1) | instid1(VALU_DEP_2)
	v_cndmask_b32_e64 v29, v29, v40, s2
	v_cmp_eq_u32_e64 s2, 0, v0
	v_lshlrev_b32_e32 v29, 2, v29
	ds_bpermute_b32 v29, v29, v26
	ds_load_b32 v26, v27 offset:12
	s_and_saveexec_b32 s3, s2
	s_cbranch_execz .LBB1451_180
; %bb.179:
	v_dual_mov_b32 v30, 0 :: v_dual_mov_b32 v27, 2
	s_wait_dscnt 0x0
	global_store_b64 v30, v[26:27], s[10:11] offset:256 scope:SCOPE_DEV
.LBB1451_180:
	s_wait_xcnt 0x0
	s_or_b32 exec_lo, exec_lo, s3
	s_wait_dscnt 0x1
	v_cndmask_b32_e32 v27, v29, v28, vcc_lo
	s_wait_storecnt_dscnt 0x0
	s_barrier_signal -1
	s_barrier_wait -1
	s_delay_alu instid0(VALU_DEP_1) | instskip(NEXT) | instid1(VALU_DEP_1)
	v_cndmask_b32_e64 v32, v27, 0, s2
	v_add_nc_u32_e32 v31, v32, v25
	s_delay_alu instid0(VALU_DEP_1) | instskip(NEXT) | instid1(VALU_DEP_1)
	v_add_nc_u32_e32 v30, v31, v37
	v_add_nc_u32_e32 v29, v30, v38
	s_delay_alu instid0(VALU_DEP_1)
	v_add_nc_u32_e32 v28, v29, v39
.LBB1451_181:
	s_load_b128 s[4:7], s[0:1], 0x28
	s_delay_alu instid0(VALU_DEP_1)
	v_dual_add_nc_u32 v25, s8, v26 :: v_dual_bitop2_b32 v24, 1, v24 bitop3:0x40
	s_wait_xcnt 0x0
	v_cmp_gt_u32_e64 s0, 0x81, v26
	s_mov_b32 s3, -1
	v_cmp_lt_u32_e64 s1, v32, v25
	v_cmp_eq_u32_e64 s2, 1, v24
	s_and_b32 vcc_lo, exec_lo, s0
	s_cbranch_vccz .LBB1451_193
; %bb.182:
	s_or_b32 s1, s25, s1
	s_delay_alu instid0(SALU_CYCLE_1) | instskip(NEXT) | instid1(SALU_CYCLE_1)
	s_and_b32 s2, s1, s2
	s_and_saveexec_b32 s1, s2
	s_cbranch_execz .LBB1451_184
; %bb.183:
	s_lshl_b64 s[2:3], s[14:15], 3
	s_wait_kmcnt 0x0
	s_add_nc_u64 s[2:3], s[4:5], s[2:3]
	global_store_b64 v32, v[14:15], s[2:3] scale_offset
.LBB1451_184:
	s_wait_xcnt 0x0
	s_or_b32 exec_lo, exec_lo, s1
	v_and_b32_e32 v27, 1, v23
	v_cmp_lt_u32_e32 vcc_lo, v31, v25
	s_delay_alu instid0(VALU_DEP_2) | instskip(SKIP_1) | instid1(SALU_CYCLE_1)
	v_cmp_eq_u32_e64 s1, 1, v27
	s_or_b32 s2, s25, vcc_lo
	s_and_b32 s2, s2, s1
	s_delay_alu instid0(SALU_CYCLE_1)
	s_and_saveexec_b32 s1, s2
	s_cbranch_execz .LBB1451_186
; %bb.185:
	s_lshl_b64 s[2:3], s[14:15], 3
	s_wait_kmcnt 0x0
	s_add_nc_u64 s[2:3], s[4:5], s[2:3]
	global_store_b64 v31, v[16:17], s[2:3] scale_offset
.LBB1451_186:
	s_wait_xcnt 0x0
	s_or_b32 exec_lo, exec_lo, s1
	v_and_b32_e32 v27, 1, v36
	v_cmp_lt_u32_e32 vcc_lo, v30, v25
	s_delay_alu instid0(VALU_DEP_2) | instskip(SKIP_1) | instid1(SALU_CYCLE_1)
	v_cmp_eq_u32_e64 s1, 1, v27
	s_or_b32 s2, s25, vcc_lo
	s_and_b32 s2, s2, s1
	s_delay_alu instid0(SALU_CYCLE_1)
	;; [unrolled: 17-line block ×4, first 2 shown]
	s_and_saveexec_b32 s1, s2
	s_cbranch_execz .LBB1451_192
; %bb.191:
	s_lshl_b64 s[2:3], s[14:15], 3
	s_wait_kmcnt 0x0
	s_add_nc_u64 s[2:3], s[4:5], s[2:3]
	global_store_b64 v28, v[20:21], s[2:3] scale_offset
.LBB1451_192:
	s_wait_xcnt 0x0
	s_or_b32 exec_lo, exec_lo, s1
	s_mov_b32 s3, 0
.LBB1451_193:
	s_delay_alu instid0(SALU_CYCLE_1)
	s_and_b32 vcc_lo, exec_lo, s3
	s_cbranch_vccz .LBB1451_207
; %bb.194:
	s_mov_b32 s1, exec_lo
	v_cmpx_eq_u32_e32 1, v24
; %bb.195:
	v_subrev_nc_u32_e32 v27, s8, v32
	s_delay_alu instid0(VALU_DEP_1)
	v_lshlrev_b32_e32 v27, 3, v27
	ds_store_b64 v27, v[14:15]
; %bb.196:
	s_or_b32 exec_lo, exec_lo, s1
	v_and_b32_e32 v14, 1, v23
	s_mov_b32 s1, exec_lo
	s_delay_alu instid0(VALU_DEP_1)
	v_cmpx_eq_u32_e32 1, v14
; %bb.197:
	v_subrev_nc_u32_e32 v14, s8, v31
	s_delay_alu instid0(VALU_DEP_1)
	v_lshlrev_b32_e32 v14, 3, v14
	ds_store_b64 v14, v[16:17]
; %bb.198:
	s_or_b32 exec_lo, exec_lo, s1
	v_and_b32_e32 v14, 1, v36
	s_mov_b32 s1, exec_lo
	s_delay_alu instid0(VALU_DEP_1)
	v_cmpx_eq_u32_e32 1, v14
; %bb.199:
	v_subrev_nc_u32_e32 v14, s8, v30
	s_delay_alu instid0(VALU_DEP_1)
	v_lshlrev_b32_e32 v14, 3, v14
	ds_store_b64 v14, v[10:11]
; %bb.200:
	s_or_b32 exec_lo, exec_lo, s1
	v_and_b32_e32 v10, 1, v22
	s_mov_b32 s1, exec_lo
	s_delay_alu instid0(VALU_DEP_1)
	v_cmpx_eq_u32_e32 1, v10
; %bb.201:
	v_subrev_nc_u32_e32 v10, s8, v29
	s_delay_alu instid0(VALU_DEP_1)
	v_lshlrev_b32_e32 v10, 3, v10
	ds_store_b64 v10, v[12:13]
; %bb.202:
	s_or_b32 exec_lo, exec_lo, s1
	v_and_b32_e32 v10, 1, v35
	s_mov_b32 s1, exec_lo
	s_delay_alu instid0(VALU_DEP_1)
	v_cmpx_eq_u32_e32 1, v10
; %bb.203:
	v_subrev_nc_u32_e32 v10, s8, v28
	s_delay_alu instid0(VALU_DEP_1)
	v_lshlrev_b32_e32 v10, 3, v10
	ds_store_b64 v10, v[20:21]
; %bb.204:
	s_or_b32 exec_lo, exec_lo, s1
	s_mov_b32 s9, 0
	v_dual_mov_b32 v11, v1 :: v_dual_lshlrev_b32 v10, 3, v0
	s_lshl_b64 s[2:3], s[8:9], 3
	s_wait_storecnt_dscnt 0x0
	s_wait_kmcnt 0x0
	s_add_nc_u64 s[2:3], s[4:5], s[2:3]
	s_lshl_b64 s[4:5], s[14:15], 3
	s_barrier_signal -1
	s_add_nc_u64 s[2:3], s[2:3], s[4:5]
	s_barrier_wait -1
.LBB1451_205:                           ; =>This Inner Loop Header: Depth=1
	ds_load_b64 v[12:13], v10
	v_add_nc_u32_e32 v10, 0x400, v10
	s_wait_dscnt 0x0
	global_store_b64 v11, v[12:13], s[2:3] scale_offset
	s_wait_xcnt 0x0
	v_add_nc_u32_e32 v11, 0x80, v11
	s_delay_alu instid0(VALU_DEP_1) | instskip(SKIP_1) | instid1(SALU_CYCLE_1)
	v_cmp_ge_u32_e32 vcc_lo, v11, v26
	s_or_b32 s9, vcc_lo, s9
	s_and_not1_b32 exec_lo, exec_lo, s9
	s_cbranch_execnz .LBB1451_205
; %bb.206:
	s_or_b32 exec_lo, exec_lo, s9
.LBB1451_207:
	s_delay_alu instid0(SALU_CYCLE_1)
	s_and_b32 vcc_lo, exec_lo, s0
	s_mov_b32 s0, -1
	s_wait_storecnt 0x0
	s_barrier_signal -1
	s_barrier_wait -1
	s_cbranch_vccz .LBB1451_219
; %bb.208:
	v_cmp_lt_u32_e32 vcc_lo, v32, v25
	v_cmp_eq_u32_e64 s0, 1, v24
	s_or_b32 s1, s25, vcc_lo
	s_delay_alu instid0(SALU_CYCLE_1) | instskip(NEXT) | instid1(SALU_CYCLE_1)
	s_and_b32 s1, s1, s0
	s_and_saveexec_b32 s0, s1
	s_cbranch_execz .LBB1451_210
; %bb.209:
	s_lshl_b64 s[2:3], s[14:15], 3
	s_wait_kmcnt 0x0
	s_add_nc_u64 s[2:3], s[6:7], s[2:3]
	global_store_b64 v32, v[6:7], s[2:3] scale_offset
.LBB1451_210:
	s_wait_xcnt 0x0
	s_or_b32 exec_lo, exec_lo, s0
	v_and_b32_e32 v10, 1, v23
	v_cmp_lt_u32_e32 vcc_lo, v31, v25
	s_delay_alu instid0(VALU_DEP_2) | instskip(SKIP_1) | instid1(SALU_CYCLE_1)
	v_cmp_eq_u32_e64 s0, 1, v10
	s_or_b32 s1, s25, vcc_lo
	s_and_b32 s1, s1, s0
	s_delay_alu instid0(SALU_CYCLE_1)
	s_and_saveexec_b32 s0, s1
	s_cbranch_execz .LBB1451_212
; %bb.211:
	s_lshl_b64 s[2:3], s[14:15], 3
	s_wait_kmcnt 0x0
	s_add_nc_u64 s[2:3], s[6:7], s[2:3]
	global_store_b64 v31, v[8:9], s[2:3] scale_offset
.LBB1451_212:
	s_wait_xcnt 0x0
	s_or_b32 exec_lo, exec_lo, s0
	v_and_b32_e32 v10, 1, v36
	v_cmp_lt_u32_e32 vcc_lo, v30, v25
	s_delay_alu instid0(VALU_DEP_2) | instskip(SKIP_1) | instid1(SALU_CYCLE_1)
	v_cmp_eq_u32_e64 s0, 1, v10
	s_or_b32 s1, s25, vcc_lo
	s_and_b32 s1, s1, s0
	s_delay_alu instid0(SALU_CYCLE_1)
	;; [unrolled: 17-line block ×4, first 2 shown]
	s_and_saveexec_b32 s0, s1
	s_cbranch_execz .LBB1451_218
; %bb.217:
	s_lshl_b64 s[2:3], s[14:15], 3
	s_wait_kmcnt 0x0
	s_add_nc_u64 s[2:3], s[6:7], s[2:3]
	global_store_b64 v28, v[18:19], s[2:3] scale_offset
.LBB1451_218:
	s_wait_xcnt 0x0
	s_or_b32 exec_lo, exec_lo, s0
	s_mov_b32 s0, 0
.LBB1451_219:
	s_delay_alu instid0(SALU_CYCLE_1)
	s_and_b32 vcc_lo, exec_lo, s0
	s_cbranch_vccz .LBB1451_233
; %bb.220:
	s_mov_b32 s0, exec_lo
	v_cmpx_eq_u32_e32 1, v24
; %bb.221:
	v_subrev_nc_u32_e32 v10, s8, v32
	s_delay_alu instid0(VALU_DEP_1)
	v_lshlrev_b32_e32 v10, 3, v10
	ds_store_b64 v10, v[6:7]
; %bb.222:
	s_or_b32 exec_lo, exec_lo, s0
	v_and_b32_e32 v6, 1, v23
	s_mov_b32 s0, exec_lo
	s_delay_alu instid0(VALU_DEP_1)
	v_cmpx_eq_u32_e32 1, v6
; %bb.223:
	v_subrev_nc_u32_e32 v6, s8, v31
	s_delay_alu instid0(VALU_DEP_1)
	v_lshlrev_b32_e32 v6, 3, v6
	ds_store_b64 v6, v[8:9]
; %bb.224:
	s_or_b32 exec_lo, exec_lo, s0
	v_and_b32_e32 v6, 1, v36
	s_mov_b32 s0, exec_lo
	s_delay_alu instid0(VALU_DEP_1)
	;; [unrolled: 11-line block ×4, first 2 shown]
	v_cmpx_eq_u32_e32 1, v2
; %bb.229:
	v_subrev_nc_u32_e32 v2, s8, v28
	s_delay_alu instid0(VALU_DEP_1)
	v_lshlrev_b32_e32 v2, 3, v2
	ds_store_b64 v2, v[18:19]
; %bb.230:
	s_or_b32 exec_lo, exec_lo, s0
	s_mov_b32 s9, 0
	s_lshl_b64 s[2:3], s[14:15], 3
	s_lshl_b64 s[0:1], s[8:9], 3
	s_wait_storecnt_dscnt 0x0
	s_wait_kmcnt 0x0
	s_add_nc_u64 s[0:1], s[6:7], s[0:1]
	s_barrier_signal -1
	s_add_nc_u64 s[0:1], s[0:1], s[2:3]
	s_barrier_wait -1
.LBB1451_231:                           ; =>This Inner Loop Header: Depth=1
	ds_load_b64 v[2:3], v34
	v_add_nc_u32_e32 v34, 0x400, v34
	s_wait_dscnt 0x0
	global_store_b64 v1, v[2:3], s[0:1] scale_offset
	s_wait_xcnt 0x0
	v_add_nc_u32_e32 v1, 0x80, v1
	s_delay_alu instid0(VALU_DEP_1) | instskip(SKIP_1) | instid1(SALU_CYCLE_1)
	v_cmp_ge_u32_e32 vcc_lo, v1, v26
	s_or_b32 s9, vcc_lo, s9
	s_and_not1_b32 exec_lo, exec_lo, s9
	s_cbranch_execnz .LBB1451_231
; %bb.232:
	s_or_b32 exec_lo, exec_lo, s9
.LBB1451_233:
	v_cmp_eq_u32_e32 vcc_lo, 0, v0
	s_mov_b32 s9, 0
	s_and_b32 s0, vcc_lo, s24
	s_delay_alu instid0(SALU_CYCLE_1)
	s_and_saveexec_b32 s1, s0
	s_cbranch_execz .LBB1451_235
; %bb.234:
	v_mov_b32_e32 v27, 0
	s_delay_alu instid0(VALU_DEP_1) | instskip(NEXT) | instid1(VALU_DEP_1)
	v_add_nc_u64_e32 v[0:1], s[14:15], v[26:27]
	v_add_nc_u64_e32 v[0:1], s[8:9], v[0:1]
	global_store_b64 v27, v[0:1], s[12:13]
.LBB1451_235:
	s_endpgm
	.section	.rodata,"a",@progbits
	.p2align	6, 0x0
	.amdhsa_kernel _ZN7rocprim17ROCPRIM_400000_NS6detail17trampoline_kernelINS0_14default_configENS1_25partition_config_selectorILNS1_17partition_subalgoE9EllbEEZZNS1_14partition_implILS5_9ELb0ES3_jPlS8_PNS0_10empty_typeENS0_5tupleIJS8_S9_EEENSB_IJS8_SA_EEENS0_18inequality_wrapperIZN2at6native12_GLOBAL__N_124unique_dim_cuda_templateItEESt5tupleIJNSF_6TensorESK_SK_EERKSK_lbbbEUlllE0_EEPmJS9_EEE10hipError_tPvRmT3_T4_T5_T6_T7_T9_mT8_P12ihipStream_tbDpT10_ENKUlT_T0_E_clISt17integral_constantIbLb0EES1A_EEDaS15_S16_EUlS15_E_NS1_11comp_targetILNS1_3genE0ELNS1_11target_archE4294967295ELNS1_3gpuE0ELNS1_3repE0EEENS1_30default_config_static_selectorELNS0_4arch9wavefront6targetE0EEEvT1_
		.amdhsa_group_segment_fixed_size 5128
		.amdhsa_private_segment_fixed_size 0
		.amdhsa_kernarg_size 120
		.amdhsa_user_sgpr_count 2
		.amdhsa_user_sgpr_dispatch_ptr 0
		.amdhsa_user_sgpr_queue_ptr 0
		.amdhsa_user_sgpr_kernarg_segment_ptr 1
		.amdhsa_user_sgpr_dispatch_id 0
		.amdhsa_user_sgpr_kernarg_preload_length 0
		.amdhsa_user_sgpr_kernarg_preload_offset 0
		.amdhsa_user_sgpr_private_segment_size 0
		.amdhsa_wavefront_size32 1
		.amdhsa_uses_dynamic_stack 0
		.amdhsa_enable_private_segment 0
		.amdhsa_system_sgpr_workgroup_id_x 1
		.amdhsa_system_sgpr_workgroup_id_y 0
		.amdhsa_system_sgpr_workgroup_id_z 0
		.amdhsa_system_sgpr_workgroup_info 0
		.amdhsa_system_vgpr_workitem_id 0
		.amdhsa_next_free_vgpr 56
		.amdhsa_next_free_sgpr 32
		.amdhsa_named_barrier_count 0
		.amdhsa_reserve_vcc 1
		.amdhsa_float_round_mode_32 0
		.amdhsa_float_round_mode_16_64 0
		.amdhsa_float_denorm_mode_32 3
		.amdhsa_float_denorm_mode_16_64 3
		.amdhsa_fp16_overflow 0
		.amdhsa_memory_ordered 1
		.amdhsa_forward_progress 1
		.amdhsa_inst_pref_size 74
		.amdhsa_round_robin_scheduling 0
		.amdhsa_exception_fp_ieee_invalid_op 0
		.amdhsa_exception_fp_denorm_src 0
		.amdhsa_exception_fp_ieee_div_zero 0
		.amdhsa_exception_fp_ieee_overflow 0
		.amdhsa_exception_fp_ieee_underflow 0
		.amdhsa_exception_fp_ieee_inexact 0
		.amdhsa_exception_int_div_zero 0
	.end_amdhsa_kernel
	.section	.text._ZN7rocprim17ROCPRIM_400000_NS6detail17trampoline_kernelINS0_14default_configENS1_25partition_config_selectorILNS1_17partition_subalgoE9EllbEEZZNS1_14partition_implILS5_9ELb0ES3_jPlS8_PNS0_10empty_typeENS0_5tupleIJS8_S9_EEENSB_IJS8_SA_EEENS0_18inequality_wrapperIZN2at6native12_GLOBAL__N_124unique_dim_cuda_templateItEESt5tupleIJNSF_6TensorESK_SK_EERKSK_lbbbEUlllE0_EEPmJS9_EEE10hipError_tPvRmT3_T4_T5_T6_T7_T9_mT8_P12ihipStream_tbDpT10_ENKUlT_T0_E_clISt17integral_constantIbLb0EES1A_EEDaS15_S16_EUlS15_E_NS1_11comp_targetILNS1_3genE0ELNS1_11target_archE4294967295ELNS1_3gpuE0ELNS1_3repE0EEENS1_30default_config_static_selectorELNS0_4arch9wavefront6targetE0EEEvT1_,"axG",@progbits,_ZN7rocprim17ROCPRIM_400000_NS6detail17trampoline_kernelINS0_14default_configENS1_25partition_config_selectorILNS1_17partition_subalgoE9EllbEEZZNS1_14partition_implILS5_9ELb0ES3_jPlS8_PNS0_10empty_typeENS0_5tupleIJS8_S9_EEENSB_IJS8_SA_EEENS0_18inequality_wrapperIZN2at6native12_GLOBAL__N_124unique_dim_cuda_templateItEESt5tupleIJNSF_6TensorESK_SK_EERKSK_lbbbEUlllE0_EEPmJS9_EEE10hipError_tPvRmT3_T4_T5_T6_T7_T9_mT8_P12ihipStream_tbDpT10_ENKUlT_T0_E_clISt17integral_constantIbLb0EES1A_EEDaS15_S16_EUlS15_E_NS1_11comp_targetILNS1_3genE0ELNS1_11target_archE4294967295ELNS1_3gpuE0ELNS1_3repE0EEENS1_30default_config_static_selectorELNS0_4arch9wavefront6targetE0EEEvT1_,comdat
.Lfunc_end1451:
	.size	_ZN7rocprim17ROCPRIM_400000_NS6detail17trampoline_kernelINS0_14default_configENS1_25partition_config_selectorILNS1_17partition_subalgoE9EllbEEZZNS1_14partition_implILS5_9ELb0ES3_jPlS8_PNS0_10empty_typeENS0_5tupleIJS8_S9_EEENSB_IJS8_SA_EEENS0_18inequality_wrapperIZN2at6native12_GLOBAL__N_124unique_dim_cuda_templateItEESt5tupleIJNSF_6TensorESK_SK_EERKSK_lbbbEUlllE0_EEPmJS9_EEE10hipError_tPvRmT3_T4_T5_T6_T7_T9_mT8_P12ihipStream_tbDpT10_ENKUlT_T0_E_clISt17integral_constantIbLb0EES1A_EEDaS15_S16_EUlS15_E_NS1_11comp_targetILNS1_3genE0ELNS1_11target_archE4294967295ELNS1_3gpuE0ELNS1_3repE0EEENS1_30default_config_static_selectorELNS0_4arch9wavefront6targetE0EEEvT1_, .Lfunc_end1451-_ZN7rocprim17ROCPRIM_400000_NS6detail17trampoline_kernelINS0_14default_configENS1_25partition_config_selectorILNS1_17partition_subalgoE9EllbEEZZNS1_14partition_implILS5_9ELb0ES3_jPlS8_PNS0_10empty_typeENS0_5tupleIJS8_S9_EEENSB_IJS8_SA_EEENS0_18inequality_wrapperIZN2at6native12_GLOBAL__N_124unique_dim_cuda_templateItEESt5tupleIJNSF_6TensorESK_SK_EERKSK_lbbbEUlllE0_EEPmJS9_EEE10hipError_tPvRmT3_T4_T5_T6_T7_T9_mT8_P12ihipStream_tbDpT10_ENKUlT_T0_E_clISt17integral_constantIbLb0EES1A_EEDaS15_S16_EUlS15_E_NS1_11comp_targetILNS1_3genE0ELNS1_11target_archE4294967295ELNS1_3gpuE0ELNS1_3repE0EEENS1_30default_config_static_selectorELNS0_4arch9wavefront6targetE0EEEvT1_
                                        ; -- End function
	.set _ZN7rocprim17ROCPRIM_400000_NS6detail17trampoline_kernelINS0_14default_configENS1_25partition_config_selectorILNS1_17partition_subalgoE9EllbEEZZNS1_14partition_implILS5_9ELb0ES3_jPlS8_PNS0_10empty_typeENS0_5tupleIJS8_S9_EEENSB_IJS8_SA_EEENS0_18inequality_wrapperIZN2at6native12_GLOBAL__N_124unique_dim_cuda_templateItEESt5tupleIJNSF_6TensorESK_SK_EERKSK_lbbbEUlllE0_EEPmJS9_EEE10hipError_tPvRmT3_T4_T5_T6_T7_T9_mT8_P12ihipStream_tbDpT10_ENKUlT_T0_E_clISt17integral_constantIbLb0EES1A_EEDaS15_S16_EUlS15_E_NS1_11comp_targetILNS1_3genE0ELNS1_11target_archE4294967295ELNS1_3gpuE0ELNS1_3repE0EEENS1_30default_config_static_selectorELNS0_4arch9wavefront6targetE0EEEvT1_.num_vgpr, 56
	.set _ZN7rocprim17ROCPRIM_400000_NS6detail17trampoline_kernelINS0_14default_configENS1_25partition_config_selectorILNS1_17partition_subalgoE9EllbEEZZNS1_14partition_implILS5_9ELb0ES3_jPlS8_PNS0_10empty_typeENS0_5tupleIJS8_S9_EEENSB_IJS8_SA_EEENS0_18inequality_wrapperIZN2at6native12_GLOBAL__N_124unique_dim_cuda_templateItEESt5tupleIJNSF_6TensorESK_SK_EERKSK_lbbbEUlllE0_EEPmJS9_EEE10hipError_tPvRmT3_T4_T5_T6_T7_T9_mT8_P12ihipStream_tbDpT10_ENKUlT_T0_E_clISt17integral_constantIbLb0EES1A_EEDaS15_S16_EUlS15_E_NS1_11comp_targetILNS1_3genE0ELNS1_11target_archE4294967295ELNS1_3gpuE0ELNS1_3repE0EEENS1_30default_config_static_selectorELNS0_4arch9wavefront6targetE0EEEvT1_.num_agpr, 0
	.set _ZN7rocprim17ROCPRIM_400000_NS6detail17trampoline_kernelINS0_14default_configENS1_25partition_config_selectorILNS1_17partition_subalgoE9EllbEEZZNS1_14partition_implILS5_9ELb0ES3_jPlS8_PNS0_10empty_typeENS0_5tupleIJS8_S9_EEENSB_IJS8_SA_EEENS0_18inequality_wrapperIZN2at6native12_GLOBAL__N_124unique_dim_cuda_templateItEESt5tupleIJNSF_6TensorESK_SK_EERKSK_lbbbEUlllE0_EEPmJS9_EEE10hipError_tPvRmT3_T4_T5_T6_T7_T9_mT8_P12ihipStream_tbDpT10_ENKUlT_T0_E_clISt17integral_constantIbLb0EES1A_EEDaS15_S16_EUlS15_E_NS1_11comp_targetILNS1_3genE0ELNS1_11target_archE4294967295ELNS1_3gpuE0ELNS1_3repE0EEENS1_30default_config_static_selectorELNS0_4arch9wavefront6targetE0EEEvT1_.numbered_sgpr, 32
	.set _ZN7rocprim17ROCPRIM_400000_NS6detail17trampoline_kernelINS0_14default_configENS1_25partition_config_selectorILNS1_17partition_subalgoE9EllbEEZZNS1_14partition_implILS5_9ELb0ES3_jPlS8_PNS0_10empty_typeENS0_5tupleIJS8_S9_EEENSB_IJS8_SA_EEENS0_18inequality_wrapperIZN2at6native12_GLOBAL__N_124unique_dim_cuda_templateItEESt5tupleIJNSF_6TensorESK_SK_EERKSK_lbbbEUlllE0_EEPmJS9_EEE10hipError_tPvRmT3_T4_T5_T6_T7_T9_mT8_P12ihipStream_tbDpT10_ENKUlT_T0_E_clISt17integral_constantIbLb0EES1A_EEDaS15_S16_EUlS15_E_NS1_11comp_targetILNS1_3genE0ELNS1_11target_archE4294967295ELNS1_3gpuE0ELNS1_3repE0EEENS1_30default_config_static_selectorELNS0_4arch9wavefront6targetE0EEEvT1_.num_named_barrier, 0
	.set _ZN7rocprim17ROCPRIM_400000_NS6detail17trampoline_kernelINS0_14default_configENS1_25partition_config_selectorILNS1_17partition_subalgoE9EllbEEZZNS1_14partition_implILS5_9ELb0ES3_jPlS8_PNS0_10empty_typeENS0_5tupleIJS8_S9_EEENSB_IJS8_SA_EEENS0_18inequality_wrapperIZN2at6native12_GLOBAL__N_124unique_dim_cuda_templateItEESt5tupleIJNSF_6TensorESK_SK_EERKSK_lbbbEUlllE0_EEPmJS9_EEE10hipError_tPvRmT3_T4_T5_T6_T7_T9_mT8_P12ihipStream_tbDpT10_ENKUlT_T0_E_clISt17integral_constantIbLb0EES1A_EEDaS15_S16_EUlS15_E_NS1_11comp_targetILNS1_3genE0ELNS1_11target_archE4294967295ELNS1_3gpuE0ELNS1_3repE0EEENS1_30default_config_static_selectorELNS0_4arch9wavefront6targetE0EEEvT1_.private_seg_size, 0
	.set _ZN7rocprim17ROCPRIM_400000_NS6detail17trampoline_kernelINS0_14default_configENS1_25partition_config_selectorILNS1_17partition_subalgoE9EllbEEZZNS1_14partition_implILS5_9ELb0ES3_jPlS8_PNS0_10empty_typeENS0_5tupleIJS8_S9_EEENSB_IJS8_SA_EEENS0_18inequality_wrapperIZN2at6native12_GLOBAL__N_124unique_dim_cuda_templateItEESt5tupleIJNSF_6TensorESK_SK_EERKSK_lbbbEUlllE0_EEPmJS9_EEE10hipError_tPvRmT3_T4_T5_T6_T7_T9_mT8_P12ihipStream_tbDpT10_ENKUlT_T0_E_clISt17integral_constantIbLb0EES1A_EEDaS15_S16_EUlS15_E_NS1_11comp_targetILNS1_3genE0ELNS1_11target_archE4294967295ELNS1_3gpuE0ELNS1_3repE0EEENS1_30default_config_static_selectorELNS0_4arch9wavefront6targetE0EEEvT1_.uses_vcc, 1
	.set _ZN7rocprim17ROCPRIM_400000_NS6detail17trampoline_kernelINS0_14default_configENS1_25partition_config_selectorILNS1_17partition_subalgoE9EllbEEZZNS1_14partition_implILS5_9ELb0ES3_jPlS8_PNS0_10empty_typeENS0_5tupleIJS8_S9_EEENSB_IJS8_SA_EEENS0_18inequality_wrapperIZN2at6native12_GLOBAL__N_124unique_dim_cuda_templateItEESt5tupleIJNSF_6TensorESK_SK_EERKSK_lbbbEUlllE0_EEPmJS9_EEE10hipError_tPvRmT3_T4_T5_T6_T7_T9_mT8_P12ihipStream_tbDpT10_ENKUlT_T0_E_clISt17integral_constantIbLb0EES1A_EEDaS15_S16_EUlS15_E_NS1_11comp_targetILNS1_3genE0ELNS1_11target_archE4294967295ELNS1_3gpuE0ELNS1_3repE0EEENS1_30default_config_static_selectorELNS0_4arch9wavefront6targetE0EEEvT1_.uses_flat_scratch, 0
	.set _ZN7rocprim17ROCPRIM_400000_NS6detail17trampoline_kernelINS0_14default_configENS1_25partition_config_selectorILNS1_17partition_subalgoE9EllbEEZZNS1_14partition_implILS5_9ELb0ES3_jPlS8_PNS0_10empty_typeENS0_5tupleIJS8_S9_EEENSB_IJS8_SA_EEENS0_18inequality_wrapperIZN2at6native12_GLOBAL__N_124unique_dim_cuda_templateItEESt5tupleIJNSF_6TensorESK_SK_EERKSK_lbbbEUlllE0_EEPmJS9_EEE10hipError_tPvRmT3_T4_T5_T6_T7_T9_mT8_P12ihipStream_tbDpT10_ENKUlT_T0_E_clISt17integral_constantIbLb0EES1A_EEDaS15_S16_EUlS15_E_NS1_11comp_targetILNS1_3genE0ELNS1_11target_archE4294967295ELNS1_3gpuE0ELNS1_3repE0EEENS1_30default_config_static_selectorELNS0_4arch9wavefront6targetE0EEEvT1_.has_dyn_sized_stack, 0
	.set _ZN7rocprim17ROCPRIM_400000_NS6detail17trampoline_kernelINS0_14default_configENS1_25partition_config_selectorILNS1_17partition_subalgoE9EllbEEZZNS1_14partition_implILS5_9ELb0ES3_jPlS8_PNS0_10empty_typeENS0_5tupleIJS8_S9_EEENSB_IJS8_SA_EEENS0_18inequality_wrapperIZN2at6native12_GLOBAL__N_124unique_dim_cuda_templateItEESt5tupleIJNSF_6TensorESK_SK_EERKSK_lbbbEUlllE0_EEPmJS9_EEE10hipError_tPvRmT3_T4_T5_T6_T7_T9_mT8_P12ihipStream_tbDpT10_ENKUlT_T0_E_clISt17integral_constantIbLb0EES1A_EEDaS15_S16_EUlS15_E_NS1_11comp_targetILNS1_3genE0ELNS1_11target_archE4294967295ELNS1_3gpuE0ELNS1_3repE0EEENS1_30default_config_static_selectorELNS0_4arch9wavefront6targetE0EEEvT1_.has_recursion, 0
	.set _ZN7rocprim17ROCPRIM_400000_NS6detail17trampoline_kernelINS0_14default_configENS1_25partition_config_selectorILNS1_17partition_subalgoE9EllbEEZZNS1_14partition_implILS5_9ELb0ES3_jPlS8_PNS0_10empty_typeENS0_5tupleIJS8_S9_EEENSB_IJS8_SA_EEENS0_18inequality_wrapperIZN2at6native12_GLOBAL__N_124unique_dim_cuda_templateItEESt5tupleIJNSF_6TensorESK_SK_EERKSK_lbbbEUlllE0_EEPmJS9_EEE10hipError_tPvRmT3_T4_T5_T6_T7_T9_mT8_P12ihipStream_tbDpT10_ENKUlT_T0_E_clISt17integral_constantIbLb0EES1A_EEDaS15_S16_EUlS15_E_NS1_11comp_targetILNS1_3genE0ELNS1_11target_archE4294967295ELNS1_3gpuE0ELNS1_3repE0EEENS1_30default_config_static_selectorELNS0_4arch9wavefront6targetE0EEEvT1_.has_indirect_call, 0
	.section	.AMDGPU.csdata,"",@progbits
; Kernel info:
; codeLenInByte = 9388
; TotalNumSgprs: 34
; NumVgprs: 56
; ScratchSize: 0
; MemoryBound: 0
; FloatMode: 240
; IeeeMode: 1
; LDSByteSize: 5128 bytes/workgroup (compile time only)
; SGPRBlocks: 0
; VGPRBlocks: 3
; NumSGPRsForWavesPerEU: 34
; NumVGPRsForWavesPerEU: 56
; NamedBarCnt: 0
; Occupancy: 16
; WaveLimiterHint : 1
; COMPUTE_PGM_RSRC2:SCRATCH_EN: 0
; COMPUTE_PGM_RSRC2:USER_SGPR: 2
; COMPUTE_PGM_RSRC2:TRAP_HANDLER: 0
; COMPUTE_PGM_RSRC2:TGID_X_EN: 1
; COMPUTE_PGM_RSRC2:TGID_Y_EN: 0
; COMPUTE_PGM_RSRC2:TGID_Z_EN: 0
; COMPUTE_PGM_RSRC2:TIDIG_COMP_CNT: 0
	.section	.text._ZN7rocprim17ROCPRIM_400000_NS6detail17trampoline_kernelINS0_14default_configENS1_25partition_config_selectorILNS1_17partition_subalgoE9EllbEEZZNS1_14partition_implILS5_9ELb0ES3_jPlS8_PNS0_10empty_typeENS0_5tupleIJS8_S9_EEENSB_IJS8_SA_EEENS0_18inequality_wrapperIZN2at6native12_GLOBAL__N_124unique_dim_cuda_templateItEESt5tupleIJNSF_6TensorESK_SK_EERKSK_lbbbEUlllE0_EEPmJS9_EEE10hipError_tPvRmT3_T4_T5_T6_T7_T9_mT8_P12ihipStream_tbDpT10_ENKUlT_T0_E_clISt17integral_constantIbLb0EES1A_EEDaS15_S16_EUlS15_E_NS1_11comp_targetILNS1_3genE5ELNS1_11target_archE942ELNS1_3gpuE9ELNS1_3repE0EEENS1_30default_config_static_selectorELNS0_4arch9wavefront6targetE0EEEvT1_,"axG",@progbits,_ZN7rocprim17ROCPRIM_400000_NS6detail17trampoline_kernelINS0_14default_configENS1_25partition_config_selectorILNS1_17partition_subalgoE9EllbEEZZNS1_14partition_implILS5_9ELb0ES3_jPlS8_PNS0_10empty_typeENS0_5tupleIJS8_S9_EEENSB_IJS8_SA_EEENS0_18inequality_wrapperIZN2at6native12_GLOBAL__N_124unique_dim_cuda_templateItEESt5tupleIJNSF_6TensorESK_SK_EERKSK_lbbbEUlllE0_EEPmJS9_EEE10hipError_tPvRmT3_T4_T5_T6_T7_T9_mT8_P12ihipStream_tbDpT10_ENKUlT_T0_E_clISt17integral_constantIbLb0EES1A_EEDaS15_S16_EUlS15_E_NS1_11comp_targetILNS1_3genE5ELNS1_11target_archE942ELNS1_3gpuE9ELNS1_3repE0EEENS1_30default_config_static_selectorELNS0_4arch9wavefront6targetE0EEEvT1_,comdat
	.globl	_ZN7rocprim17ROCPRIM_400000_NS6detail17trampoline_kernelINS0_14default_configENS1_25partition_config_selectorILNS1_17partition_subalgoE9EllbEEZZNS1_14partition_implILS5_9ELb0ES3_jPlS8_PNS0_10empty_typeENS0_5tupleIJS8_S9_EEENSB_IJS8_SA_EEENS0_18inequality_wrapperIZN2at6native12_GLOBAL__N_124unique_dim_cuda_templateItEESt5tupleIJNSF_6TensorESK_SK_EERKSK_lbbbEUlllE0_EEPmJS9_EEE10hipError_tPvRmT3_T4_T5_T6_T7_T9_mT8_P12ihipStream_tbDpT10_ENKUlT_T0_E_clISt17integral_constantIbLb0EES1A_EEDaS15_S16_EUlS15_E_NS1_11comp_targetILNS1_3genE5ELNS1_11target_archE942ELNS1_3gpuE9ELNS1_3repE0EEENS1_30default_config_static_selectorELNS0_4arch9wavefront6targetE0EEEvT1_ ; -- Begin function _ZN7rocprim17ROCPRIM_400000_NS6detail17trampoline_kernelINS0_14default_configENS1_25partition_config_selectorILNS1_17partition_subalgoE9EllbEEZZNS1_14partition_implILS5_9ELb0ES3_jPlS8_PNS0_10empty_typeENS0_5tupleIJS8_S9_EEENSB_IJS8_SA_EEENS0_18inequality_wrapperIZN2at6native12_GLOBAL__N_124unique_dim_cuda_templateItEESt5tupleIJNSF_6TensorESK_SK_EERKSK_lbbbEUlllE0_EEPmJS9_EEE10hipError_tPvRmT3_T4_T5_T6_T7_T9_mT8_P12ihipStream_tbDpT10_ENKUlT_T0_E_clISt17integral_constantIbLb0EES1A_EEDaS15_S16_EUlS15_E_NS1_11comp_targetILNS1_3genE5ELNS1_11target_archE942ELNS1_3gpuE9ELNS1_3repE0EEENS1_30default_config_static_selectorELNS0_4arch9wavefront6targetE0EEEvT1_
	.p2align	8
	.type	_ZN7rocprim17ROCPRIM_400000_NS6detail17trampoline_kernelINS0_14default_configENS1_25partition_config_selectorILNS1_17partition_subalgoE9EllbEEZZNS1_14partition_implILS5_9ELb0ES3_jPlS8_PNS0_10empty_typeENS0_5tupleIJS8_S9_EEENSB_IJS8_SA_EEENS0_18inequality_wrapperIZN2at6native12_GLOBAL__N_124unique_dim_cuda_templateItEESt5tupleIJNSF_6TensorESK_SK_EERKSK_lbbbEUlllE0_EEPmJS9_EEE10hipError_tPvRmT3_T4_T5_T6_T7_T9_mT8_P12ihipStream_tbDpT10_ENKUlT_T0_E_clISt17integral_constantIbLb0EES1A_EEDaS15_S16_EUlS15_E_NS1_11comp_targetILNS1_3genE5ELNS1_11target_archE942ELNS1_3gpuE9ELNS1_3repE0EEENS1_30default_config_static_selectorELNS0_4arch9wavefront6targetE0EEEvT1_,@function
_ZN7rocprim17ROCPRIM_400000_NS6detail17trampoline_kernelINS0_14default_configENS1_25partition_config_selectorILNS1_17partition_subalgoE9EllbEEZZNS1_14partition_implILS5_9ELb0ES3_jPlS8_PNS0_10empty_typeENS0_5tupleIJS8_S9_EEENSB_IJS8_SA_EEENS0_18inequality_wrapperIZN2at6native12_GLOBAL__N_124unique_dim_cuda_templateItEESt5tupleIJNSF_6TensorESK_SK_EERKSK_lbbbEUlllE0_EEPmJS9_EEE10hipError_tPvRmT3_T4_T5_T6_T7_T9_mT8_P12ihipStream_tbDpT10_ENKUlT_T0_E_clISt17integral_constantIbLb0EES1A_EEDaS15_S16_EUlS15_E_NS1_11comp_targetILNS1_3genE5ELNS1_11target_archE942ELNS1_3gpuE9ELNS1_3repE0EEENS1_30default_config_static_selectorELNS0_4arch9wavefront6targetE0EEEvT1_: ; @_ZN7rocprim17ROCPRIM_400000_NS6detail17trampoline_kernelINS0_14default_configENS1_25partition_config_selectorILNS1_17partition_subalgoE9EllbEEZZNS1_14partition_implILS5_9ELb0ES3_jPlS8_PNS0_10empty_typeENS0_5tupleIJS8_S9_EEENSB_IJS8_SA_EEENS0_18inequality_wrapperIZN2at6native12_GLOBAL__N_124unique_dim_cuda_templateItEESt5tupleIJNSF_6TensorESK_SK_EERKSK_lbbbEUlllE0_EEPmJS9_EEE10hipError_tPvRmT3_T4_T5_T6_T7_T9_mT8_P12ihipStream_tbDpT10_ENKUlT_T0_E_clISt17integral_constantIbLb0EES1A_EEDaS15_S16_EUlS15_E_NS1_11comp_targetILNS1_3genE5ELNS1_11target_archE942ELNS1_3gpuE9ELNS1_3repE0EEENS1_30default_config_static_selectorELNS0_4arch9wavefront6targetE0EEEvT1_
; %bb.0:
	.section	.rodata,"a",@progbits
	.p2align	6, 0x0
	.amdhsa_kernel _ZN7rocprim17ROCPRIM_400000_NS6detail17trampoline_kernelINS0_14default_configENS1_25partition_config_selectorILNS1_17partition_subalgoE9EllbEEZZNS1_14partition_implILS5_9ELb0ES3_jPlS8_PNS0_10empty_typeENS0_5tupleIJS8_S9_EEENSB_IJS8_SA_EEENS0_18inequality_wrapperIZN2at6native12_GLOBAL__N_124unique_dim_cuda_templateItEESt5tupleIJNSF_6TensorESK_SK_EERKSK_lbbbEUlllE0_EEPmJS9_EEE10hipError_tPvRmT3_T4_T5_T6_T7_T9_mT8_P12ihipStream_tbDpT10_ENKUlT_T0_E_clISt17integral_constantIbLb0EES1A_EEDaS15_S16_EUlS15_E_NS1_11comp_targetILNS1_3genE5ELNS1_11target_archE942ELNS1_3gpuE9ELNS1_3repE0EEENS1_30default_config_static_selectorELNS0_4arch9wavefront6targetE0EEEvT1_
		.amdhsa_group_segment_fixed_size 0
		.amdhsa_private_segment_fixed_size 0
		.amdhsa_kernarg_size 120
		.amdhsa_user_sgpr_count 2
		.amdhsa_user_sgpr_dispatch_ptr 0
		.amdhsa_user_sgpr_queue_ptr 0
		.amdhsa_user_sgpr_kernarg_segment_ptr 1
		.amdhsa_user_sgpr_dispatch_id 0
		.amdhsa_user_sgpr_kernarg_preload_length 0
		.amdhsa_user_sgpr_kernarg_preload_offset 0
		.amdhsa_user_sgpr_private_segment_size 0
		.amdhsa_wavefront_size32 1
		.amdhsa_uses_dynamic_stack 0
		.amdhsa_enable_private_segment 0
		.amdhsa_system_sgpr_workgroup_id_x 1
		.amdhsa_system_sgpr_workgroup_id_y 0
		.amdhsa_system_sgpr_workgroup_id_z 0
		.amdhsa_system_sgpr_workgroup_info 0
		.amdhsa_system_vgpr_workitem_id 0
		.amdhsa_next_free_vgpr 1
		.amdhsa_next_free_sgpr 1
		.amdhsa_named_barrier_count 0
		.amdhsa_reserve_vcc 0
		.amdhsa_float_round_mode_32 0
		.amdhsa_float_round_mode_16_64 0
		.amdhsa_float_denorm_mode_32 3
		.amdhsa_float_denorm_mode_16_64 3
		.amdhsa_fp16_overflow 0
		.amdhsa_memory_ordered 1
		.amdhsa_forward_progress 1
		.amdhsa_inst_pref_size 0
		.amdhsa_round_robin_scheduling 0
		.amdhsa_exception_fp_ieee_invalid_op 0
		.amdhsa_exception_fp_denorm_src 0
		.amdhsa_exception_fp_ieee_div_zero 0
		.amdhsa_exception_fp_ieee_overflow 0
		.amdhsa_exception_fp_ieee_underflow 0
		.amdhsa_exception_fp_ieee_inexact 0
		.amdhsa_exception_int_div_zero 0
	.end_amdhsa_kernel
	.section	.text._ZN7rocprim17ROCPRIM_400000_NS6detail17trampoline_kernelINS0_14default_configENS1_25partition_config_selectorILNS1_17partition_subalgoE9EllbEEZZNS1_14partition_implILS5_9ELb0ES3_jPlS8_PNS0_10empty_typeENS0_5tupleIJS8_S9_EEENSB_IJS8_SA_EEENS0_18inequality_wrapperIZN2at6native12_GLOBAL__N_124unique_dim_cuda_templateItEESt5tupleIJNSF_6TensorESK_SK_EERKSK_lbbbEUlllE0_EEPmJS9_EEE10hipError_tPvRmT3_T4_T5_T6_T7_T9_mT8_P12ihipStream_tbDpT10_ENKUlT_T0_E_clISt17integral_constantIbLb0EES1A_EEDaS15_S16_EUlS15_E_NS1_11comp_targetILNS1_3genE5ELNS1_11target_archE942ELNS1_3gpuE9ELNS1_3repE0EEENS1_30default_config_static_selectorELNS0_4arch9wavefront6targetE0EEEvT1_,"axG",@progbits,_ZN7rocprim17ROCPRIM_400000_NS6detail17trampoline_kernelINS0_14default_configENS1_25partition_config_selectorILNS1_17partition_subalgoE9EllbEEZZNS1_14partition_implILS5_9ELb0ES3_jPlS8_PNS0_10empty_typeENS0_5tupleIJS8_S9_EEENSB_IJS8_SA_EEENS0_18inequality_wrapperIZN2at6native12_GLOBAL__N_124unique_dim_cuda_templateItEESt5tupleIJNSF_6TensorESK_SK_EERKSK_lbbbEUlllE0_EEPmJS9_EEE10hipError_tPvRmT3_T4_T5_T6_T7_T9_mT8_P12ihipStream_tbDpT10_ENKUlT_T0_E_clISt17integral_constantIbLb0EES1A_EEDaS15_S16_EUlS15_E_NS1_11comp_targetILNS1_3genE5ELNS1_11target_archE942ELNS1_3gpuE9ELNS1_3repE0EEENS1_30default_config_static_selectorELNS0_4arch9wavefront6targetE0EEEvT1_,comdat
.Lfunc_end1452:
	.size	_ZN7rocprim17ROCPRIM_400000_NS6detail17trampoline_kernelINS0_14default_configENS1_25partition_config_selectorILNS1_17partition_subalgoE9EllbEEZZNS1_14partition_implILS5_9ELb0ES3_jPlS8_PNS0_10empty_typeENS0_5tupleIJS8_S9_EEENSB_IJS8_SA_EEENS0_18inequality_wrapperIZN2at6native12_GLOBAL__N_124unique_dim_cuda_templateItEESt5tupleIJNSF_6TensorESK_SK_EERKSK_lbbbEUlllE0_EEPmJS9_EEE10hipError_tPvRmT3_T4_T5_T6_T7_T9_mT8_P12ihipStream_tbDpT10_ENKUlT_T0_E_clISt17integral_constantIbLb0EES1A_EEDaS15_S16_EUlS15_E_NS1_11comp_targetILNS1_3genE5ELNS1_11target_archE942ELNS1_3gpuE9ELNS1_3repE0EEENS1_30default_config_static_selectorELNS0_4arch9wavefront6targetE0EEEvT1_, .Lfunc_end1452-_ZN7rocprim17ROCPRIM_400000_NS6detail17trampoline_kernelINS0_14default_configENS1_25partition_config_selectorILNS1_17partition_subalgoE9EllbEEZZNS1_14partition_implILS5_9ELb0ES3_jPlS8_PNS0_10empty_typeENS0_5tupleIJS8_S9_EEENSB_IJS8_SA_EEENS0_18inequality_wrapperIZN2at6native12_GLOBAL__N_124unique_dim_cuda_templateItEESt5tupleIJNSF_6TensorESK_SK_EERKSK_lbbbEUlllE0_EEPmJS9_EEE10hipError_tPvRmT3_T4_T5_T6_T7_T9_mT8_P12ihipStream_tbDpT10_ENKUlT_T0_E_clISt17integral_constantIbLb0EES1A_EEDaS15_S16_EUlS15_E_NS1_11comp_targetILNS1_3genE5ELNS1_11target_archE942ELNS1_3gpuE9ELNS1_3repE0EEENS1_30default_config_static_selectorELNS0_4arch9wavefront6targetE0EEEvT1_
                                        ; -- End function
	.set _ZN7rocprim17ROCPRIM_400000_NS6detail17trampoline_kernelINS0_14default_configENS1_25partition_config_selectorILNS1_17partition_subalgoE9EllbEEZZNS1_14partition_implILS5_9ELb0ES3_jPlS8_PNS0_10empty_typeENS0_5tupleIJS8_S9_EEENSB_IJS8_SA_EEENS0_18inequality_wrapperIZN2at6native12_GLOBAL__N_124unique_dim_cuda_templateItEESt5tupleIJNSF_6TensorESK_SK_EERKSK_lbbbEUlllE0_EEPmJS9_EEE10hipError_tPvRmT3_T4_T5_T6_T7_T9_mT8_P12ihipStream_tbDpT10_ENKUlT_T0_E_clISt17integral_constantIbLb0EES1A_EEDaS15_S16_EUlS15_E_NS1_11comp_targetILNS1_3genE5ELNS1_11target_archE942ELNS1_3gpuE9ELNS1_3repE0EEENS1_30default_config_static_selectorELNS0_4arch9wavefront6targetE0EEEvT1_.num_vgpr, 0
	.set _ZN7rocprim17ROCPRIM_400000_NS6detail17trampoline_kernelINS0_14default_configENS1_25partition_config_selectorILNS1_17partition_subalgoE9EllbEEZZNS1_14partition_implILS5_9ELb0ES3_jPlS8_PNS0_10empty_typeENS0_5tupleIJS8_S9_EEENSB_IJS8_SA_EEENS0_18inequality_wrapperIZN2at6native12_GLOBAL__N_124unique_dim_cuda_templateItEESt5tupleIJNSF_6TensorESK_SK_EERKSK_lbbbEUlllE0_EEPmJS9_EEE10hipError_tPvRmT3_T4_T5_T6_T7_T9_mT8_P12ihipStream_tbDpT10_ENKUlT_T0_E_clISt17integral_constantIbLb0EES1A_EEDaS15_S16_EUlS15_E_NS1_11comp_targetILNS1_3genE5ELNS1_11target_archE942ELNS1_3gpuE9ELNS1_3repE0EEENS1_30default_config_static_selectorELNS0_4arch9wavefront6targetE0EEEvT1_.num_agpr, 0
	.set _ZN7rocprim17ROCPRIM_400000_NS6detail17trampoline_kernelINS0_14default_configENS1_25partition_config_selectorILNS1_17partition_subalgoE9EllbEEZZNS1_14partition_implILS5_9ELb0ES3_jPlS8_PNS0_10empty_typeENS0_5tupleIJS8_S9_EEENSB_IJS8_SA_EEENS0_18inequality_wrapperIZN2at6native12_GLOBAL__N_124unique_dim_cuda_templateItEESt5tupleIJNSF_6TensorESK_SK_EERKSK_lbbbEUlllE0_EEPmJS9_EEE10hipError_tPvRmT3_T4_T5_T6_T7_T9_mT8_P12ihipStream_tbDpT10_ENKUlT_T0_E_clISt17integral_constantIbLb0EES1A_EEDaS15_S16_EUlS15_E_NS1_11comp_targetILNS1_3genE5ELNS1_11target_archE942ELNS1_3gpuE9ELNS1_3repE0EEENS1_30default_config_static_selectorELNS0_4arch9wavefront6targetE0EEEvT1_.numbered_sgpr, 0
	.set _ZN7rocprim17ROCPRIM_400000_NS6detail17trampoline_kernelINS0_14default_configENS1_25partition_config_selectorILNS1_17partition_subalgoE9EllbEEZZNS1_14partition_implILS5_9ELb0ES3_jPlS8_PNS0_10empty_typeENS0_5tupleIJS8_S9_EEENSB_IJS8_SA_EEENS0_18inequality_wrapperIZN2at6native12_GLOBAL__N_124unique_dim_cuda_templateItEESt5tupleIJNSF_6TensorESK_SK_EERKSK_lbbbEUlllE0_EEPmJS9_EEE10hipError_tPvRmT3_T4_T5_T6_T7_T9_mT8_P12ihipStream_tbDpT10_ENKUlT_T0_E_clISt17integral_constantIbLb0EES1A_EEDaS15_S16_EUlS15_E_NS1_11comp_targetILNS1_3genE5ELNS1_11target_archE942ELNS1_3gpuE9ELNS1_3repE0EEENS1_30default_config_static_selectorELNS0_4arch9wavefront6targetE0EEEvT1_.num_named_barrier, 0
	.set _ZN7rocprim17ROCPRIM_400000_NS6detail17trampoline_kernelINS0_14default_configENS1_25partition_config_selectorILNS1_17partition_subalgoE9EllbEEZZNS1_14partition_implILS5_9ELb0ES3_jPlS8_PNS0_10empty_typeENS0_5tupleIJS8_S9_EEENSB_IJS8_SA_EEENS0_18inequality_wrapperIZN2at6native12_GLOBAL__N_124unique_dim_cuda_templateItEESt5tupleIJNSF_6TensorESK_SK_EERKSK_lbbbEUlllE0_EEPmJS9_EEE10hipError_tPvRmT3_T4_T5_T6_T7_T9_mT8_P12ihipStream_tbDpT10_ENKUlT_T0_E_clISt17integral_constantIbLb0EES1A_EEDaS15_S16_EUlS15_E_NS1_11comp_targetILNS1_3genE5ELNS1_11target_archE942ELNS1_3gpuE9ELNS1_3repE0EEENS1_30default_config_static_selectorELNS0_4arch9wavefront6targetE0EEEvT1_.private_seg_size, 0
	.set _ZN7rocprim17ROCPRIM_400000_NS6detail17trampoline_kernelINS0_14default_configENS1_25partition_config_selectorILNS1_17partition_subalgoE9EllbEEZZNS1_14partition_implILS5_9ELb0ES3_jPlS8_PNS0_10empty_typeENS0_5tupleIJS8_S9_EEENSB_IJS8_SA_EEENS0_18inequality_wrapperIZN2at6native12_GLOBAL__N_124unique_dim_cuda_templateItEESt5tupleIJNSF_6TensorESK_SK_EERKSK_lbbbEUlllE0_EEPmJS9_EEE10hipError_tPvRmT3_T4_T5_T6_T7_T9_mT8_P12ihipStream_tbDpT10_ENKUlT_T0_E_clISt17integral_constantIbLb0EES1A_EEDaS15_S16_EUlS15_E_NS1_11comp_targetILNS1_3genE5ELNS1_11target_archE942ELNS1_3gpuE9ELNS1_3repE0EEENS1_30default_config_static_selectorELNS0_4arch9wavefront6targetE0EEEvT1_.uses_vcc, 0
	.set _ZN7rocprim17ROCPRIM_400000_NS6detail17trampoline_kernelINS0_14default_configENS1_25partition_config_selectorILNS1_17partition_subalgoE9EllbEEZZNS1_14partition_implILS5_9ELb0ES3_jPlS8_PNS0_10empty_typeENS0_5tupleIJS8_S9_EEENSB_IJS8_SA_EEENS0_18inequality_wrapperIZN2at6native12_GLOBAL__N_124unique_dim_cuda_templateItEESt5tupleIJNSF_6TensorESK_SK_EERKSK_lbbbEUlllE0_EEPmJS9_EEE10hipError_tPvRmT3_T4_T5_T6_T7_T9_mT8_P12ihipStream_tbDpT10_ENKUlT_T0_E_clISt17integral_constantIbLb0EES1A_EEDaS15_S16_EUlS15_E_NS1_11comp_targetILNS1_3genE5ELNS1_11target_archE942ELNS1_3gpuE9ELNS1_3repE0EEENS1_30default_config_static_selectorELNS0_4arch9wavefront6targetE0EEEvT1_.uses_flat_scratch, 0
	.set _ZN7rocprim17ROCPRIM_400000_NS6detail17trampoline_kernelINS0_14default_configENS1_25partition_config_selectorILNS1_17partition_subalgoE9EllbEEZZNS1_14partition_implILS5_9ELb0ES3_jPlS8_PNS0_10empty_typeENS0_5tupleIJS8_S9_EEENSB_IJS8_SA_EEENS0_18inequality_wrapperIZN2at6native12_GLOBAL__N_124unique_dim_cuda_templateItEESt5tupleIJNSF_6TensorESK_SK_EERKSK_lbbbEUlllE0_EEPmJS9_EEE10hipError_tPvRmT3_T4_T5_T6_T7_T9_mT8_P12ihipStream_tbDpT10_ENKUlT_T0_E_clISt17integral_constantIbLb0EES1A_EEDaS15_S16_EUlS15_E_NS1_11comp_targetILNS1_3genE5ELNS1_11target_archE942ELNS1_3gpuE9ELNS1_3repE0EEENS1_30default_config_static_selectorELNS0_4arch9wavefront6targetE0EEEvT1_.has_dyn_sized_stack, 0
	.set _ZN7rocprim17ROCPRIM_400000_NS6detail17trampoline_kernelINS0_14default_configENS1_25partition_config_selectorILNS1_17partition_subalgoE9EllbEEZZNS1_14partition_implILS5_9ELb0ES3_jPlS8_PNS0_10empty_typeENS0_5tupleIJS8_S9_EEENSB_IJS8_SA_EEENS0_18inequality_wrapperIZN2at6native12_GLOBAL__N_124unique_dim_cuda_templateItEESt5tupleIJNSF_6TensorESK_SK_EERKSK_lbbbEUlllE0_EEPmJS9_EEE10hipError_tPvRmT3_T4_T5_T6_T7_T9_mT8_P12ihipStream_tbDpT10_ENKUlT_T0_E_clISt17integral_constantIbLb0EES1A_EEDaS15_S16_EUlS15_E_NS1_11comp_targetILNS1_3genE5ELNS1_11target_archE942ELNS1_3gpuE9ELNS1_3repE0EEENS1_30default_config_static_selectorELNS0_4arch9wavefront6targetE0EEEvT1_.has_recursion, 0
	.set _ZN7rocprim17ROCPRIM_400000_NS6detail17trampoline_kernelINS0_14default_configENS1_25partition_config_selectorILNS1_17partition_subalgoE9EllbEEZZNS1_14partition_implILS5_9ELb0ES3_jPlS8_PNS0_10empty_typeENS0_5tupleIJS8_S9_EEENSB_IJS8_SA_EEENS0_18inequality_wrapperIZN2at6native12_GLOBAL__N_124unique_dim_cuda_templateItEESt5tupleIJNSF_6TensorESK_SK_EERKSK_lbbbEUlllE0_EEPmJS9_EEE10hipError_tPvRmT3_T4_T5_T6_T7_T9_mT8_P12ihipStream_tbDpT10_ENKUlT_T0_E_clISt17integral_constantIbLb0EES1A_EEDaS15_S16_EUlS15_E_NS1_11comp_targetILNS1_3genE5ELNS1_11target_archE942ELNS1_3gpuE9ELNS1_3repE0EEENS1_30default_config_static_selectorELNS0_4arch9wavefront6targetE0EEEvT1_.has_indirect_call, 0
	.section	.AMDGPU.csdata,"",@progbits
; Kernel info:
; codeLenInByte = 0
; TotalNumSgprs: 0
; NumVgprs: 0
; ScratchSize: 0
; MemoryBound: 0
; FloatMode: 240
; IeeeMode: 1
; LDSByteSize: 0 bytes/workgroup (compile time only)
; SGPRBlocks: 0
; VGPRBlocks: 0
; NumSGPRsForWavesPerEU: 1
; NumVGPRsForWavesPerEU: 1
; NamedBarCnt: 0
; Occupancy: 16
; WaveLimiterHint : 0
; COMPUTE_PGM_RSRC2:SCRATCH_EN: 0
; COMPUTE_PGM_RSRC2:USER_SGPR: 2
; COMPUTE_PGM_RSRC2:TRAP_HANDLER: 0
; COMPUTE_PGM_RSRC2:TGID_X_EN: 1
; COMPUTE_PGM_RSRC2:TGID_Y_EN: 0
; COMPUTE_PGM_RSRC2:TGID_Z_EN: 0
; COMPUTE_PGM_RSRC2:TIDIG_COMP_CNT: 0
	.section	.text._ZN7rocprim17ROCPRIM_400000_NS6detail17trampoline_kernelINS0_14default_configENS1_25partition_config_selectorILNS1_17partition_subalgoE9EllbEEZZNS1_14partition_implILS5_9ELb0ES3_jPlS8_PNS0_10empty_typeENS0_5tupleIJS8_S9_EEENSB_IJS8_SA_EEENS0_18inequality_wrapperIZN2at6native12_GLOBAL__N_124unique_dim_cuda_templateItEESt5tupleIJNSF_6TensorESK_SK_EERKSK_lbbbEUlllE0_EEPmJS9_EEE10hipError_tPvRmT3_T4_T5_T6_T7_T9_mT8_P12ihipStream_tbDpT10_ENKUlT_T0_E_clISt17integral_constantIbLb0EES1A_EEDaS15_S16_EUlS15_E_NS1_11comp_targetILNS1_3genE4ELNS1_11target_archE910ELNS1_3gpuE8ELNS1_3repE0EEENS1_30default_config_static_selectorELNS0_4arch9wavefront6targetE0EEEvT1_,"axG",@progbits,_ZN7rocprim17ROCPRIM_400000_NS6detail17trampoline_kernelINS0_14default_configENS1_25partition_config_selectorILNS1_17partition_subalgoE9EllbEEZZNS1_14partition_implILS5_9ELb0ES3_jPlS8_PNS0_10empty_typeENS0_5tupleIJS8_S9_EEENSB_IJS8_SA_EEENS0_18inequality_wrapperIZN2at6native12_GLOBAL__N_124unique_dim_cuda_templateItEESt5tupleIJNSF_6TensorESK_SK_EERKSK_lbbbEUlllE0_EEPmJS9_EEE10hipError_tPvRmT3_T4_T5_T6_T7_T9_mT8_P12ihipStream_tbDpT10_ENKUlT_T0_E_clISt17integral_constantIbLb0EES1A_EEDaS15_S16_EUlS15_E_NS1_11comp_targetILNS1_3genE4ELNS1_11target_archE910ELNS1_3gpuE8ELNS1_3repE0EEENS1_30default_config_static_selectorELNS0_4arch9wavefront6targetE0EEEvT1_,comdat
	.globl	_ZN7rocprim17ROCPRIM_400000_NS6detail17trampoline_kernelINS0_14default_configENS1_25partition_config_selectorILNS1_17partition_subalgoE9EllbEEZZNS1_14partition_implILS5_9ELb0ES3_jPlS8_PNS0_10empty_typeENS0_5tupleIJS8_S9_EEENSB_IJS8_SA_EEENS0_18inequality_wrapperIZN2at6native12_GLOBAL__N_124unique_dim_cuda_templateItEESt5tupleIJNSF_6TensorESK_SK_EERKSK_lbbbEUlllE0_EEPmJS9_EEE10hipError_tPvRmT3_T4_T5_T6_T7_T9_mT8_P12ihipStream_tbDpT10_ENKUlT_T0_E_clISt17integral_constantIbLb0EES1A_EEDaS15_S16_EUlS15_E_NS1_11comp_targetILNS1_3genE4ELNS1_11target_archE910ELNS1_3gpuE8ELNS1_3repE0EEENS1_30default_config_static_selectorELNS0_4arch9wavefront6targetE0EEEvT1_ ; -- Begin function _ZN7rocprim17ROCPRIM_400000_NS6detail17trampoline_kernelINS0_14default_configENS1_25partition_config_selectorILNS1_17partition_subalgoE9EllbEEZZNS1_14partition_implILS5_9ELb0ES3_jPlS8_PNS0_10empty_typeENS0_5tupleIJS8_S9_EEENSB_IJS8_SA_EEENS0_18inequality_wrapperIZN2at6native12_GLOBAL__N_124unique_dim_cuda_templateItEESt5tupleIJNSF_6TensorESK_SK_EERKSK_lbbbEUlllE0_EEPmJS9_EEE10hipError_tPvRmT3_T4_T5_T6_T7_T9_mT8_P12ihipStream_tbDpT10_ENKUlT_T0_E_clISt17integral_constantIbLb0EES1A_EEDaS15_S16_EUlS15_E_NS1_11comp_targetILNS1_3genE4ELNS1_11target_archE910ELNS1_3gpuE8ELNS1_3repE0EEENS1_30default_config_static_selectorELNS0_4arch9wavefront6targetE0EEEvT1_
	.p2align	8
	.type	_ZN7rocprim17ROCPRIM_400000_NS6detail17trampoline_kernelINS0_14default_configENS1_25partition_config_selectorILNS1_17partition_subalgoE9EllbEEZZNS1_14partition_implILS5_9ELb0ES3_jPlS8_PNS0_10empty_typeENS0_5tupleIJS8_S9_EEENSB_IJS8_SA_EEENS0_18inequality_wrapperIZN2at6native12_GLOBAL__N_124unique_dim_cuda_templateItEESt5tupleIJNSF_6TensorESK_SK_EERKSK_lbbbEUlllE0_EEPmJS9_EEE10hipError_tPvRmT3_T4_T5_T6_T7_T9_mT8_P12ihipStream_tbDpT10_ENKUlT_T0_E_clISt17integral_constantIbLb0EES1A_EEDaS15_S16_EUlS15_E_NS1_11comp_targetILNS1_3genE4ELNS1_11target_archE910ELNS1_3gpuE8ELNS1_3repE0EEENS1_30default_config_static_selectorELNS0_4arch9wavefront6targetE0EEEvT1_,@function
_ZN7rocprim17ROCPRIM_400000_NS6detail17trampoline_kernelINS0_14default_configENS1_25partition_config_selectorILNS1_17partition_subalgoE9EllbEEZZNS1_14partition_implILS5_9ELb0ES3_jPlS8_PNS0_10empty_typeENS0_5tupleIJS8_S9_EEENSB_IJS8_SA_EEENS0_18inequality_wrapperIZN2at6native12_GLOBAL__N_124unique_dim_cuda_templateItEESt5tupleIJNSF_6TensorESK_SK_EERKSK_lbbbEUlllE0_EEPmJS9_EEE10hipError_tPvRmT3_T4_T5_T6_T7_T9_mT8_P12ihipStream_tbDpT10_ENKUlT_T0_E_clISt17integral_constantIbLb0EES1A_EEDaS15_S16_EUlS15_E_NS1_11comp_targetILNS1_3genE4ELNS1_11target_archE910ELNS1_3gpuE8ELNS1_3repE0EEENS1_30default_config_static_selectorELNS0_4arch9wavefront6targetE0EEEvT1_: ; @_ZN7rocprim17ROCPRIM_400000_NS6detail17trampoline_kernelINS0_14default_configENS1_25partition_config_selectorILNS1_17partition_subalgoE9EllbEEZZNS1_14partition_implILS5_9ELb0ES3_jPlS8_PNS0_10empty_typeENS0_5tupleIJS8_S9_EEENSB_IJS8_SA_EEENS0_18inequality_wrapperIZN2at6native12_GLOBAL__N_124unique_dim_cuda_templateItEESt5tupleIJNSF_6TensorESK_SK_EERKSK_lbbbEUlllE0_EEPmJS9_EEE10hipError_tPvRmT3_T4_T5_T6_T7_T9_mT8_P12ihipStream_tbDpT10_ENKUlT_T0_E_clISt17integral_constantIbLb0EES1A_EEDaS15_S16_EUlS15_E_NS1_11comp_targetILNS1_3genE4ELNS1_11target_archE910ELNS1_3gpuE8ELNS1_3repE0EEENS1_30default_config_static_selectorELNS0_4arch9wavefront6targetE0EEEvT1_
; %bb.0:
	.section	.rodata,"a",@progbits
	.p2align	6, 0x0
	.amdhsa_kernel _ZN7rocprim17ROCPRIM_400000_NS6detail17trampoline_kernelINS0_14default_configENS1_25partition_config_selectorILNS1_17partition_subalgoE9EllbEEZZNS1_14partition_implILS5_9ELb0ES3_jPlS8_PNS0_10empty_typeENS0_5tupleIJS8_S9_EEENSB_IJS8_SA_EEENS0_18inequality_wrapperIZN2at6native12_GLOBAL__N_124unique_dim_cuda_templateItEESt5tupleIJNSF_6TensorESK_SK_EERKSK_lbbbEUlllE0_EEPmJS9_EEE10hipError_tPvRmT3_T4_T5_T6_T7_T9_mT8_P12ihipStream_tbDpT10_ENKUlT_T0_E_clISt17integral_constantIbLb0EES1A_EEDaS15_S16_EUlS15_E_NS1_11comp_targetILNS1_3genE4ELNS1_11target_archE910ELNS1_3gpuE8ELNS1_3repE0EEENS1_30default_config_static_selectorELNS0_4arch9wavefront6targetE0EEEvT1_
		.amdhsa_group_segment_fixed_size 0
		.amdhsa_private_segment_fixed_size 0
		.amdhsa_kernarg_size 120
		.amdhsa_user_sgpr_count 2
		.amdhsa_user_sgpr_dispatch_ptr 0
		.amdhsa_user_sgpr_queue_ptr 0
		.amdhsa_user_sgpr_kernarg_segment_ptr 1
		.amdhsa_user_sgpr_dispatch_id 0
		.amdhsa_user_sgpr_kernarg_preload_length 0
		.amdhsa_user_sgpr_kernarg_preload_offset 0
		.amdhsa_user_sgpr_private_segment_size 0
		.amdhsa_wavefront_size32 1
		.amdhsa_uses_dynamic_stack 0
		.amdhsa_enable_private_segment 0
		.amdhsa_system_sgpr_workgroup_id_x 1
		.amdhsa_system_sgpr_workgroup_id_y 0
		.amdhsa_system_sgpr_workgroup_id_z 0
		.amdhsa_system_sgpr_workgroup_info 0
		.amdhsa_system_vgpr_workitem_id 0
		.amdhsa_next_free_vgpr 1
		.amdhsa_next_free_sgpr 1
		.amdhsa_named_barrier_count 0
		.amdhsa_reserve_vcc 0
		.amdhsa_float_round_mode_32 0
		.amdhsa_float_round_mode_16_64 0
		.amdhsa_float_denorm_mode_32 3
		.amdhsa_float_denorm_mode_16_64 3
		.amdhsa_fp16_overflow 0
		.amdhsa_memory_ordered 1
		.amdhsa_forward_progress 1
		.amdhsa_inst_pref_size 0
		.amdhsa_round_robin_scheduling 0
		.amdhsa_exception_fp_ieee_invalid_op 0
		.amdhsa_exception_fp_denorm_src 0
		.amdhsa_exception_fp_ieee_div_zero 0
		.amdhsa_exception_fp_ieee_overflow 0
		.amdhsa_exception_fp_ieee_underflow 0
		.amdhsa_exception_fp_ieee_inexact 0
		.amdhsa_exception_int_div_zero 0
	.end_amdhsa_kernel
	.section	.text._ZN7rocprim17ROCPRIM_400000_NS6detail17trampoline_kernelINS0_14default_configENS1_25partition_config_selectorILNS1_17partition_subalgoE9EllbEEZZNS1_14partition_implILS5_9ELb0ES3_jPlS8_PNS0_10empty_typeENS0_5tupleIJS8_S9_EEENSB_IJS8_SA_EEENS0_18inequality_wrapperIZN2at6native12_GLOBAL__N_124unique_dim_cuda_templateItEESt5tupleIJNSF_6TensorESK_SK_EERKSK_lbbbEUlllE0_EEPmJS9_EEE10hipError_tPvRmT3_T4_T5_T6_T7_T9_mT8_P12ihipStream_tbDpT10_ENKUlT_T0_E_clISt17integral_constantIbLb0EES1A_EEDaS15_S16_EUlS15_E_NS1_11comp_targetILNS1_3genE4ELNS1_11target_archE910ELNS1_3gpuE8ELNS1_3repE0EEENS1_30default_config_static_selectorELNS0_4arch9wavefront6targetE0EEEvT1_,"axG",@progbits,_ZN7rocprim17ROCPRIM_400000_NS6detail17trampoline_kernelINS0_14default_configENS1_25partition_config_selectorILNS1_17partition_subalgoE9EllbEEZZNS1_14partition_implILS5_9ELb0ES3_jPlS8_PNS0_10empty_typeENS0_5tupleIJS8_S9_EEENSB_IJS8_SA_EEENS0_18inequality_wrapperIZN2at6native12_GLOBAL__N_124unique_dim_cuda_templateItEESt5tupleIJNSF_6TensorESK_SK_EERKSK_lbbbEUlllE0_EEPmJS9_EEE10hipError_tPvRmT3_T4_T5_T6_T7_T9_mT8_P12ihipStream_tbDpT10_ENKUlT_T0_E_clISt17integral_constantIbLb0EES1A_EEDaS15_S16_EUlS15_E_NS1_11comp_targetILNS1_3genE4ELNS1_11target_archE910ELNS1_3gpuE8ELNS1_3repE0EEENS1_30default_config_static_selectorELNS0_4arch9wavefront6targetE0EEEvT1_,comdat
.Lfunc_end1453:
	.size	_ZN7rocprim17ROCPRIM_400000_NS6detail17trampoline_kernelINS0_14default_configENS1_25partition_config_selectorILNS1_17partition_subalgoE9EllbEEZZNS1_14partition_implILS5_9ELb0ES3_jPlS8_PNS0_10empty_typeENS0_5tupleIJS8_S9_EEENSB_IJS8_SA_EEENS0_18inequality_wrapperIZN2at6native12_GLOBAL__N_124unique_dim_cuda_templateItEESt5tupleIJNSF_6TensorESK_SK_EERKSK_lbbbEUlllE0_EEPmJS9_EEE10hipError_tPvRmT3_T4_T5_T6_T7_T9_mT8_P12ihipStream_tbDpT10_ENKUlT_T0_E_clISt17integral_constantIbLb0EES1A_EEDaS15_S16_EUlS15_E_NS1_11comp_targetILNS1_3genE4ELNS1_11target_archE910ELNS1_3gpuE8ELNS1_3repE0EEENS1_30default_config_static_selectorELNS0_4arch9wavefront6targetE0EEEvT1_, .Lfunc_end1453-_ZN7rocprim17ROCPRIM_400000_NS6detail17trampoline_kernelINS0_14default_configENS1_25partition_config_selectorILNS1_17partition_subalgoE9EllbEEZZNS1_14partition_implILS5_9ELb0ES3_jPlS8_PNS0_10empty_typeENS0_5tupleIJS8_S9_EEENSB_IJS8_SA_EEENS0_18inequality_wrapperIZN2at6native12_GLOBAL__N_124unique_dim_cuda_templateItEESt5tupleIJNSF_6TensorESK_SK_EERKSK_lbbbEUlllE0_EEPmJS9_EEE10hipError_tPvRmT3_T4_T5_T6_T7_T9_mT8_P12ihipStream_tbDpT10_ENKUlT_T0_E_clISt17integral_constantIbLb0EES1A_EEDaS15_S16_EUlS15_E_NS1_11comp_targetILNS1_3genE4ELNS1_11target_archE910ELNS1_3gpuE8ELNS1_3repE0EEENS1_30default_config_static_selectorELNS0_4arch9wavefront6targetE0EEEvT1_
                                        ; -- End function
	.set _ZN7rocprim17ROCPRIM_400000_NS6detail17trampoline_kernelINS0_14default_configENS1_25partition_config_selectorILNS1_17partition_subalgoE9EllbEEZZNS1_14partition_implILS5_9ELb0ES3_jPlS8_PNS0_10empty_typeENS0_5tupleIJS8_S9_EEENSB_IJS8_SA_EEENS0_18inequality_wrapperIZN2at6native12_GLOBAL__N_124unique_dim_cuda_templateItEESt5tupleIJNSF_6TensorESK_SK_EERKSK_lbbbEUlllE0_EEPmJS9_EEE10hipError_tPvRmT3_T4_T5_T6_T7_T9_mT8_P12ihipStream_tbDpT10_ENKUlT_T0_E_clISt17integral_constantIbLb0EES1A_EEDaS15_S16_EUlS15_E_NS1_11comp_targetILNS1_3genE4ELNS1_11target_archE910ELNS1_3gpuE8ELNS1_3repE0EEENS1_30default_config_static_selectorELNS0_4arch9wavefront6targetE0EEEvT1_.num_vgpr, 0
	.set _ZN7rocprim17ROCPRIM_400000_NS6detail17trampoline_kernelINS0_14default_configENS1_25partition_config_selectorILNS1_17partition_subalgoE9EllbEEZZNS1_14partition_implILS5_9ELb0ES3_jPlS8_PNS0_10empty_typeENS0_5tupleIJS8_S9_EEENSB_IJS8_SA_EEENS0_18inequality_wrapperIZN2at6native12_GLOBAL__N_124unique_dim_cuda_templateItEESt5tupleIJNSF_6TensorESK_SK_EERKSK_lbbbEUlllE0_EEPmJS9_EEE10hipError_tPvRmT3_T4_T5_T6_T7_T9_mT8_P12ihipStream_tbDpT10_ENKUlT_T0_E_clISt17integral_constantIbLb0EES1A_EEDaS15_S16_EUlS15_E_NS1_11comp_targetILNS1_3genE4ELNS1_11target_archE910ELNS1_3gpuE8ELNS1_3repE0EEENS1_30default_config_static_selectorELNS0_4arch9wavefront6targetE0EEEvT1_.num_agpr, 0
	.set _ZN7rocprim17ROCPRIM_400000_NS6detail17trampoline_kernelINS0_14default_configENS1_25partition_config_selectorILNS1_17partition_subalgoE9EllbEEZZNS1_14partition_implILS5_9ELb0ES3_jPlS8_PNS0_10empty_typeENS0_5tupleIJS8_S9_EEENSB_IJS8_SA_EEENS0_18inequality_wrapperIZN2at6native12_GLOBAL__N_124unique_dim_cuda_templateItEESt5tupleIJNSF_6TensorESK_SK_EERKSK_lbbbEUlllE0_EEPmJS9_EEE10hipError_tPvRmT3_T4_T5_T6_T7_T9_mT8_P12ihipStream_tbDpT10_ENKUlT_T0_E_clISt17integral_constantIbLb0EES1A_EEDaS15_S16_EUlS15_E_NS1_11comp_targetILNS1_3genE4ELNS1_11target_archE910ELNS1_3gpuE8ELNS1_3repE0EEENS1_30default_config_static_selectorELNS0_4arch9wavefront6targetE0EEEvT1_.numbered_sgpr, 0
	.set _ZN7rocprim17ROCPRIM_400000_NS6detail17trampoline_kernelINS0_14default_configENS1_25partition_config_selectorILNS1_17partition_subalgoE9EllbEEZZNS1_14partition_implILS5_9ELb0ES3_jPlS8_PNS0_10empty_typeENS0_5tupleIJS8_S9_EEENSB_IJS8_SA_EEENS0_18inequality_wrapperIZN2at6native12_GLOBAL__N_124unique_dim_cuda_templateItEESt5tupleIJNSF_6TensorESK_SK_EERKSK_lbbbEUlllE0_EEPmJS9_EEE10hipError_tPvRmT3_T4_T5_T6_T7_T9_mT8_P12ihipStream_tbDpT10_ENKUlT_T0_E_clISt17integral_constantIbLb0EES1A_EEDaS15_S16_EUlS15_E_NS1_11comp_targetILNS1_3genE4ELNS1_11target_archE910ELNS1_3gpuE8ELNS1_3repE0EEENS1_30default_config_static_selectorELNS0_4arch9wavefront6targetE0EEEvT1_.num_named_barrier, 0
	.set _ZN7rocprim17ROCPRIM_400000_NS6detail17trampoline_kernelINS0_14default_configENS1_25partition_config_selectorILNS1_17partition_subalgoE9EllbEEZZNS1_14partition_implILS5_9ELb0ES3_jPlS8_PNS0_10empty_typeENS0_5tupleIJS8_S9_EEENSB_IJS8_SA_EEENS0_18inequality_wrapperIZN2at6native12_GLOBAL__N_124unique_dim_cuda_templateItEESt5tupleIJNSF_6TensorESK_SK_EERKSK_lbbbEUlllE0_EEPmJS9_EEE10hipError_tPvRmT3_T4_T5_T6_T7_T9_mT8_P12ihipStream_tbDpT10_ENKUlT_T0_E_clISt17integral_constantIbLb0EES1A_EEDaS15_S16_EUlS15_E_NS1_11comp_targetILNS1_3genE4ELNS1_11target_archE910ELNS1_3gpuE8ELNS1_3repE0EEENS1_30default_config_static_selectorELNS0_4arch9wavefront6targetE0EEEvT1_.private_seg_size, 0
	.set _ZN7rocprim17ROCPRIM_400000_NS6detail17trampoline_kernelINS0_14default_configENS1_25partition_config_selectorILNS1_17partition_subalgoE9EllbEEZZNS1_14partition_implILS5_9ELb0ES3_jPlS8_PNS0_10empty_typeENS0_5tupleIJS8_S9_EEENSB_IJS8_SA_EEENS0_18inequality_wrapperIZN2at6native12_GLOBAL__N_124unique_dim_cuda_templateItEESt5tupleIJNSF_6TensorESK_SK_EERKSK_lbbbEUlllE0_EEPmJS9_EEE10hipError_tPvRmT3_T4_T5_T6_T7_T9_mT8_P12ihipStream_tbDpT10_ENKUlT_T0_E_clISt17integral_constantIbLb0EES1A_EEDaS15_S16_EUlS15_E_NS1_11comp_targetILNS1_3genE4ELNS1_11target_archE910ELNS1_3gpuE8ELNS1_3repE0EEENS1_30default_config_static_selectorELNS0_4arch9wavefront6targetE0EEEvT1_.uses_vcc, 0
	.set _ZN7rocprim17ROCPRIM_400000_NS6detail17trampoline_kernelINS0_14default_configENS1_25partition_config_selectorILNS1_17partition_subalgoE9EllbEEZZNS1_14partition_implILS5_9ELb0ES3_jPlS8_PNS0_10empty_typeENS0_5tupleIJS8_S9_EEENSB_IJS8_SA_EEENS0_18inequality_wrapperIZN2at6native12_GLOBAL__N_124unique_dim_cuda_templateItEESt5tupleIJNSF_6TensorESK_SK_EERKSK_lbbbEUlllE0_EEPmJS9_EEE10hipError_tPvRmT3_T4_T5_T6_T7_T9_mT8_P12ihipStream_tbDpT10_ENKUlT_T0_E_clISt17integral_constantIbLb0EES1A_EEDaS15_S16_EUlS15_E_NS1_11comp_targetILNS1_3genE4ELNS1_11target_archE910ELNS1_3gpuE8ELNS1_3repE0EEENS1_30default_config_static_selectorELNS0_4arch9wavefront6targetE0EEEvT1_.uses_flat_scratch, 0
	.set _ZN7rocprim17ROCPRIM_400000_NS6detail17trampoline_kernelINS0_14default_configENS1_25partition_config_selectorILNS1_17partition_subalgoE9EllbEEZZNS1_14partition_implILS5_9ELb0ES3_jPlS8_PNS0_10empty_typeENS0_5tupleIJS8_S9_EEENSB_IJS8_SA_EEENS0_18inequality_wrapperIZN2at6native12_GLOBAL__N_124unique_dim_cuda_templateItEESt5tupleIJNSF_6TensorESK_SK_EERKSK_lbbbEUlllE0_EEPmJS9_EEE10hipError_tPvRmT3_T4_T5_T6_T7_T9_mT8_P12ihipStream_tbDpT10_ENKUlT_T0_E_clISt17integral_constantIbLb0EES1A_EEDaS15_S16_EUlS15_E_NS1_11comp_targetILNS1_3genE4ELNS1_11target_archE910ELNS1_3gpuE8ELNS1_3repE0EEENS1_30default_config_static_selectorELNS0_4arch9wavefront6targetE0EEEvT1_.has_dyn_sized_stack, 0
	.set _ZN7rocprim17ROCPRIM_400000_NS6detail17trampoline_kernelINS0_14default_configENS1_25partition_config_selectorILNS1_17partition_subalgoE9EllbEEZZNS1_14partition_implILS5_9ELb0ES3_jPlS8_PNS0_10empty_typeENS0_5tupleIJS8_S9_EEENSB_IJS8_SA_EEENS0_18inequality_wrapperIZN2at6native12_GLOBAL__N_124unique_dim_cuda_templateItEESt5tupleIJNSF_6TensorESK_SK_EERKSK_lbbbEUlllE0_EEPmJS9_EEE10hipError_tPvRmT3_T4_T5_T6_T7_T9_mT8_P12ihipStream_tbDpT10_ENKUlT_T0_E_clISt17integral_constantIbLb0EES1A_EEDaS15_S16_EUlS15_E_NS1_11comp_targetILNS1_3genE4ELNS1_11target_archE910ELNS1_3gpuE8ELNS1_3repE0EEENS1_30default_config_static_selectorELNS0_4arch9wavefront6targetE0EEEvT1_.has_recursion, 0
	.set _ZN7rocprim17ROCPRIM_400000_NS6detail17trampoline_kernelINS0_14default_configENS1_25partition_config_selectorILNS1_17partition_subalgoE9EllbEEZZNS1_14partition_implILS5_9ELb0ES3_jPlS8_PNS0_10empty_typeENS0_5tupleIJS8_S9_EEENSB_IJS8_SA_EEENS0_18inequality_wrapperIZN2at6native12_GLOBAL__N_124unique_dim_cuda_templateItEESt5tupleIJNSF_6TensorESK_SK_EERKSK_lbbbEUlllE0_EEPmJS9_EEE10hipError_tPvRmT3_T4_T5_T6_T7_T9_mT8_P12ihipStream_tbDpT10_ENKUlT_T0_E_clISt17integral_constantIbLb0EES1A_EEDaS15_S16_EUlS15_E_NS1_11comp_targetILNS1_3genE4ELNS1_11target_archE910ELNS1_3gpuE8ELNS1_3repE0EEENS1_30default_config_static_selectorELNS0_4arch9wavefront6targetE0EEEvT1_.has_indirect_call, 0
	.section	.AMDGPU.csdata,"",@progbits
; Kernel info:
; codeLenInByte = 0
; TotalNumSgprs: 0
; NumVgprs: 0
; ScratchSize: 0
; MemoryBound: 0
; FloatMode: 240
; IeeeMode: 1
; LDSByteSize: 0 bytes/workgroup (compile time only)
; SGPRBlocks: 0
; VGPRBlocks: 0
; NumSGPRsForWavesPerEU: 1
; NumVGPRsForWavesPerEU: 1
; NamedBarCnt: 0
; Occupancy: 16
; WaveLimiterHint : 0
; COMPUTE_PGM_RSRC2:SCRATCH_EN: 0
; COMPUTE_PGM_RSRC2:USER_SGPR: 2
; COMPUTE_PGM_RSRC2:TRAP_HANDLER: 0
; COMPUTE_PGM_RSRC2:TGID_X_EN: 1
; COMPUTE_PGM_RSRC2:TGID_Y_EN: 0
; COMPUTE_PGM_RSRC2:TGID_Z_EN: 0
; COMPUTE_PGM_RSRC2:TIDIG_COMP_CNT: 0
	.section	.text._ZN7rocprim17ROCPRIM_400000_NS6detail17trampoline_kernelINS0_14default_configENS1_25partition_config_selectorILNS1_17partition_subalgoE9EllbEEZZNS1_14partition_implILS5_9ELb0ES3_jPlS8_PNS0_10empty_typeENS0_5tupleIJS8_S9_EEENSB_IJS8_SA_EEENS0_18inequality_wrapperIZN2at6native12_GLOBAL__N_124unique_dim_cuda_templateItEESt5tupleIJNSF_6TensorESK_SK_EERKSK_lbbbEUlllE0_EEPmJS9_EEE10hipError_tPvRmT3_T4_T5_T6_T7_T9_mT8_P12ihipStream_tbDpT10_ENKUlT_T0_E_clISt17integral_constantIbLb0EES1A_EEDaS15_S16_EUlS15_E_NS1_11comp_targetILNS1_3genE3ELNS1_11target_archE908ELNS1_3gpuE7ELNS1_3repE0EEENS1_30default_config_static_selectorELNS0_4arch9wavefront6targetE0EEEvT1_,"axG",@progbits,_ZN7rocprim17ROCPRIM_400000_NS6detail17trampoline_kernelINS0_14default_configENS1_25partition_config_selectorILNS1_17partition_subalgoE9EllbEEZZNS1_14partition_implILS5_9ELb0ES3_jPlS8_PNS0_10empty_typeENS0_5tupleIJS8_S9_EEENSB_IJS8_SA_EEENS0_18inequality_wrapperIZN2at6native12_GLOBAL__N_124unique_dim_cuda_templateItEESt5tupleIJNSF_6TensorESK_SK_EERKSK_lbbbEUlllE0_EEPmJS9_EEE10hipError_tPvRmT3_T4_T5_T6_T7_T9_mT8_P12ihipStream_tbDpT10_ENKUlT_T0_E_clISt17integral_constantIbLb0EES1A_EEDaS15_S16_EUlS15_E_NS1_11comp_targetILNS1_3genE3ELNS1_11target_archE908ELNS1_3gpuE7ELNS1_3repE0EEENS1_30default_config_static_selectorELNS0_4arch9wavefront6targetE0EEEvT1_,comdat
	.globl	_ZN7rocprim17ROCPRIM_400000_NS6detail17trampoline_kernelINS0_14default_configENS1_25partition_config_selectorILNS1_17partition_subalgoE9EllbEEZZNS1_14partition_implILS5_9ELb0ES3_jPlS8_PNS0_10empty_typeENS0_5tupleIJS8_S9_EEENSB_IJS8_SA_EEENS0_18inequality_wrapperIZN2at6native12_GLOBAL__N_124unique_dim_cuda_templateItEESt5tupleIJNSF_6TensorESK_SK_EERKSK_lbbbEUlllE0_EEPmJS9_EEE10hipError_tPvRmT3_T4_T5_T6_T7_T9_mT8_P12ihipStream_tbDpT10_ENKUlT_T0_E_clISt17integral_constantIbLb0EES1A_EEDaS15_S16_EUlS15_E_NS1_11comp_targetILNS1_3genE3ELNS1_11target_archE908ELNS1_3gpuE7ELNS1_3repE0EEENS1_30default_config_static_selectorELNS0_4arch9wavefront6targetE0EEEvT1_ ; -- Begin function _ZN7rocprim17ROCPRIM_400000_NS6detail17trampoline_kernelINS0_14default_configENS1_25partition_config_selectorILNS1_17partition_subalgoE9EllbEEZZNS1_14partition_implILS5_9ELb0ES3_jPlS8_PNS0_10empty_typeENS0_5tupleIJS8_S9_EEENSB_IJS8_SA_EEENS0_18inequality_wrapperIZN2at6native12_GLOBAL__N_124unique_dim_cuda_templateItEESt5tupleIJNSF_6TensorESK_SK_EERKSK_lbbbEUlllE0_EEPmJS9_EEE10hipError_tPvRmT3_T4_T5_T6_T7_T9_mT8_P12ihipStream_tbDpT10_ENKUlT_T0_E_clISt17integral_constantIbLb0EES1A_EEDaS15_S16_EUlS15_E_NS1_11comp_targetILNS1_3genE3ELNS1_11target_archE908ELNS1_3gpuE7ELNS1_3repE0EEENS1_30default_config_static_selectorELNS0_4arch9wavefront6targetE0EEEvT1_
	.p2align	8
	.type	_ZN7rocprim17ROCPRIM_400000_NS6detail17trampoline_kernelINS0_14default_configENS1_25partition_config_selectorILNS1_17partition_subalgoE9EllbEEZZNS1_14partition_implILS5_9ELb0ES3_jPlS8_PNS0_10empty_typeENS0_5tupleIJS8_S9_EEENSB_IJS8_SA_EEENS0_18inequality_wrapperIZN2at6native12_GLOBAL__N_124unique_dim_cuda_templateItEESt5tupleIJNSF_6TensorESK_SK_EERKSK_lbbbEUlllE0_EEPmJS9_EEE10hipError_tPvRmT3_T4_T5_T6_T7_T9_mT8_P12ihipStream_tbDpT10_ENKUlT_T0_E_clISt17integral_constantIbLb0EES1A_EEDaS15_S16_EUlS15_E_NS1_11comp_targetILNS1_3genE3ELNS1_11target_archE908ELNS1_3gpuE7ELNS1_3repE0EEENS1_30default_config_static_selectorELNS0_4arch9wavefront6targetE0EEEvT1_,@function
_ZN7rocprim17ROCPRIM_400000_NS6detail17trampoline_kernelINS0_14default_configENS1_25partition_config_selectorILNS1_17partition_subalgoE9EllbEEZZNS1_14partition_implILS5_9ELb0ES3_jPlS8_PNS0_10empty_typeENS0_5tupleIJS8_S9_EEENSB_IJS8_SA_EEENS0_18inequality_wrapperIZN2at6native12_GLOBAL__N_124unique_dim_cuda_templateItEESt5tupleIJNSF_6TensorESK_SK_EERKSK_lbbbEUlllE0_EEPmJS9_EEE10hipError_tPvRmT3_T4_T5_T6_T7_T9_mT8_P12ihipStream_tbDpT10_ENKUlT_T0_E_clISt17integral_constantIbLb0EES1A_EEDaS15_S16_EUlS15_E_NS1_11comp_targetILNS1_3genE3ELNS1_11target_archE908ELNS1_3gpuE7ELNS1_3repE0EEENS1_30default_config_static_selectorELNS0_4arch9wavefront6targetE0EEEvT1_: ; @_ZN7rocprim17ROCPRIM_400000_NS6detail17trampoline_kernelINS0_14default_configENS1_25partition_config_selectorILNS1_17partition_subalgoE9EllbEEZZNS1_14partition_implILS5_9ELb0ES3_jPlS8_PNS0_10empty_typeENS0_5tupleIJS8_S9_EEENSB_IJS8_SA_EEENS0_18inequality_wrapperIZN2at6native12_GLOBAL__N_124unique_dim_cuda_templateItEESt5tupleIJNSF_6TensorESK_SK_EERKSK_lbbbEUlllE0_EEPmJS9_EEE10hipError_tPvRmT3_T4_T5_T6_T7_T9_mT8_P12ihipStream_tbDpT10_ENKUlT_T0_E_clISt17integral_constantIbLb0EES1A_EEDaS15_S16_EUlS15_E_NS1_11comp_targetILNS1_3genE3ELNS1_11target_archE908ELNS1_3gpuE7ELNS1_3repE0EEENS1_30default_config_static_selectorELNS0_4arch9wavefront6targetE0EEEvT1_
; %bb.0:
	.section	.rodata,"a",@progbits
	.p2align	6, 0x0
	.amdhsa_kernel _ZN7rocprim17ROCPRIM_400000_NS6detail17trampoline_kernelINS0_14default_configENS1_25partition_config_selectorILNS1_17partition_subalgoE9EllbEEZZNS1_14partition_implILS5_9ELb0ES3_jPlS8_PNS0_10empty_typeENS0_5tupleIJS8_S9_EEENSB_IJS8_SA_EEENS0_18inequality_wrapperIZN2at6native12_GLOBAL__N_124unique_dim_cuda_templateItEESt5tupleIJNSF_6TensorESK_SK_EERKSK_lbbbEUlllE0_EEPmJS9_EEE10hipError_tPvRmT3_T4_T5_T6_T7_T9_mT8_P12ihipStream_tbDpT10_ENKUlT_T0_E_clISt17integral_constantIbLb0EES1A_EEDaS15_S16_EUlS15_E_NS1_11comp_targetILNS1_3genE3ELNS1_11target_archE908ELNS1_3gpuE7ELNS1_3repE0EEENS1_30default_config_static_selectorELNS0_4arch9wavefront6targetE0EEEvT1_
		.amdhsa_group_segment_fixed_size 0
		.amdhsa_private_segment_fixed_size 0
		.amdhsa_kernarg_size 120
		.amdhsa_user_sgpr_count 2
		.amdhsa_user_sgpr_dispatch_ptr 0
		.amdhsa_user_sgpr_queue_ptr 0
		.amdhsa_user_sgpr_kernarg_segment_ptr 1
		.amdhsa_user_sgpr_dispatch_id 0
		.amdhsa_user_sgpr_kernarg_preload_length 0
		.amdhsa_user_sgpr_kernarg_preload_offset 0
		.amdhsa_user_sgpr_private_segment_size 0
		.amdhsa_wavefront_size32 1
		.amdhsa_uses_dynamic_stack 0
		.amdhsa_enable_private_segment 0
		.amdhsa_system_sgpr_workgroup_id_x 1
		.amdhsa_system_sgpr_workgroup_id_y 0
		.amdhsa_system_sgpr_workgroup_id_z 0
		.amdhsa_system_sgpr_workgroup_info 0
		.amdhsa_system_vgpr_workitem_id 0
		.amdhsa_next_free_vgpr 1
		.amdhsa_next_free_sgpr 1
		.amdhsa_named_barrier_count 0
		.amdhsa_reserve_vcc 0
		.amdhsa_float_round_mode_32 0
		.amdhsa_float_round_mode_16_64 0
		.amdhsa_float_denorm_mode_32 3
		.amdhsa_float_denorm_mode_16_64 3
		.amdhsa_fp16_overflow 0
		.amdhsa_memory_ordered 1
		.amdhsa_forward_progress 1
		.amdhsa_inst_pref_size 0
		.amdhsa_round_robin_scheduling 0
		.amdhsa_exception_fp_ieee_invalid_op 0
		.amdhsa_exception_fp_denorm_src 0
		.amdhsa_exception_fp_ieee_div_zero 0
		.amdhsa_exception_fp_ieee_overflow 0
		.amdhsa_exception_fp_ieee_underflow 0
		.amdhsa_exception_fp_ieee_inexact 0
		.amdhsa_exception_int_div_zero 0
	.end_amdhsa_kernel
	.section	.text._ZN7rocprim17ROCPRIM_400000_NS6detail17trampoline_kernelINS0_14default_configENS1_25partition_config_selectorILNS1_17partition_subalgoE9EllbEEZZNS1_14partition_implILS5_9ELb0ES3_jPlS8_PNS0_10empty_typeENS0_5tupleIJS8_S9_EEENSB_IJS8_SA_EEENS0_18inequality_wrapperIZN2at6native12_GLOBAL__N_124unique_dim_cuda_templateItEESt5tupleIJNSF_6TensorESK_SK_EERKSK_lbbbEUlllE0_EEPmJS9_EEE10hipError_tPvRmT3_T4_T5_T6_T7_T9_mT8_P12ihipStream_tbDpT10_ENKUlT_T0_E_clISt17integral_constantIbLb0EES1A_EEDaS15_S16_EUlS15_E_NS1_11comp_targetILNS1_3genE3ELNS1_11target_archE908ELNS1_3gpuE7ELNS1_3repE0EEENS1_30default_config_static_selectorELNS0_4arch9wavefront6targetE0EEEvT1_,"axG",@progbits,_ZN7rocprim17ROCPRIM_400000_NS6detail17trampoline_kernelINS0_14default_configENS1_25partition_config_selectorILNS1_17partition_subalgoE9EllbEEZZNS1_14partition_implILS5_9ELb0ES3_jPlS8_PNS0_10empty_typeENS0_5tupleIJS8_S9_EEENSB_IJS8_SA_EEENS0_18inequality_wrapperIZN2at6native12_GLOBAL__N_124unique_dim_cuda_templateItEESt5tupleIJNSF_6TensorESK_SK_EERKSK_lbbbEUlllE0_EEPmJS9_EEE10hipError_tPvRmT3_T4_T5_T6_T7_T9_mT8_P12ihipStream_tbDpT10_ENKUlT_T0_E_clISt17integral_constantIbLb0EES1A_EEDaS15_S16_EUlS15_E_NS1_11comp_targetILNS1_3genE3ELNS1_11target_archE908ELNS1_3gpuE7ELNS1_3repE0EEENS1_30default_config_static_selectorELNS0_4arch9wavefront6targetE0EEEvT1_,comdat
.Lfunc_end1454:
	.size	_ZN7rocprim17ROCPRIM_400000_NS6detail17trampoline_kernelINS0_14default_configENS1_25partition_config_selectorILNS1_17partition_subalgoE9EllbEEZZNS1_14partition_implILS5_9ELb0ES3_jPlS8_PNS0_10empty_typeENS0_5tupleIJS8_S9_EEENSB_IJS8_SA_EEENS0_18inequality_wrapperIZN2at6native12_GLOBAL__N_124unique_dim_cuda_templateItEESt5tupleIJNSF_6TensorESK_SK_EERKSK_lbbbEUlllE0_EEPmJS9_EEE10hipError_tPvRmT3_T4_T5_T6_T7_T9_mT8_P12ihipStream_tbDpT10_ENKUlT_T0_E_clISt17integral_constantIbLb0EES1A_EEDaS15_S16_EUlS15_E_NS1_11comp_targetILNS1_3genE3ELNS1_11target_archE908ELNS1_3gpuE7ELNS1_3repE0EEENS1_30default_config_static_selectorELNS0_4arch9wavefront6targetE0EEEvT1_, .Lfunc_end1454-_ZN7rocprim17ROCPRIM_400000_NS6detail17trampoline_kernelINS0_14default_configENS1_25partition_config_selectorILNS1_17partition_subalgoE9EllbEEZZNS1_14partition_implILS5_9ELb0ES3_jPlS8_PNS0_10empty_typeENS0_5tupleIJS8_S9_EEENSB_IJS8_SA_EEENS0_18inequality_wrapperIZN2at6native12_GLOBAL__N_124unique_dim_cuda_templateItEESt5tupleIJNSF_6TensorESK_SK_EERKSK_lbbbEUlllE0_EEPmJS9_EEE10hipError_tPvRmT3_T4_T5_T6_T7_T9_mT8_P12ihipStream_tbDpT10_ENKUlT_T0_E_clISt17integral_constantIbLb0EES1A_EEDaS15_S16_EUlS15_E_NS1_11comp_targetILNS1_3genE3ELNS1_11target_archE908ELNS1_3gpuE7ELNS1_3repE0EEENS1_30default_config_static_selectorELNS0_4arch9wavefront6targetE0EEEvT1_
                                        ; -- End function
	.set _ZN7rocprim17ROCPRIM_400000_NS6detail17trampoline_kernelINS0_14default_configENS1_25partition_config_selectorILNS1_17partition_subalgoE9EllbEEZZNS1_14partition_implILS5_9ELb0ES3_jPlS8_PNS0_10empty_typeENS0_5tupleIJS8_S9_EEENSB_IJS8_SA_EEENS0_18inequality_wrapperIZN2at6native12_GLOBAL__N_124unique_dim_cuda_templateItEESt5tupleIJNSF_6TensorESK_SK_EERKSK_lbbbEUlllE0_EEPmJS9_EEE10hipError_tPvRmT3_T4_T5_T6_T7_T9_mT8_P12ihipStream_tbDpT10_ENKUlT_T0_E_clISt17integral_constantIbLb0EES1A_EEDaS15_S16_EUlS15_E_NS1_11comp_targetILNS1_3genE3ELNS1_11target_archE908ELNS1_3gpuE7ELNS1_3repE0EEENS1_30default_config_static_selectorELNS0_4arch9wavefront6targetE0EEEvT1_.num_vgpr, 0
	.set _ZN7rocprim17ROCPRIM_400000_NS6detail17trampoline_kernelINS0_14default_configENS1_25partition_config_selectorILNS1_17partition_subalgoE9EllbEEZZNS1_14partition_implILS5_9ELb0ES3_jPlS8_PNS0_10empty_typeENS0_5tupleIJS8_S9_EEENSB_IJS8_SA_EEENS0_18inequality_wrapperIZN2at6native12_GLOBAL__N_124unique_dim_cuda_templateItEESt5tupleIJNSF_6TensorESK_SK_EERKSK_lbbbEUlllE0_EEPmJS9_EEE10hipError_tPvRmT3_T4_T5_T6_T7_T9_mT8_P12ihipStream_tbDpT10_ENKUlT_T0_E_clISt17integral_constantIbLb0EES1A_EEDaS15_S16_EUlS15_E_NS1_11comp_targetILNS1_3genE3ELNS1_11target_archE908ELNS1_3gpuE7ELNS1_3repE0EEENS1_30default_config_static_selectorELNS0_4arch9wavefront6targetE0EEEvT1_.num_agpr, 0
	.set _ZN7rocprim17ROCPRIM_400000_NS6detail17trampoline_kernelINS0_14default_configENS1_25partition_config_selectorILNS1_17partition_subalgoE9EllbEEZZNS1_14partition_implILS5_9ELb0ES3_jPlS8_PNS0_10empty_typeENS0_5tupleIJS8_S9_EEENSB_IJS8_SA_EEENS0_18inequality_wrapperIZN2at6native12_GLOBAL__N_124unique_dim_cuda_templateItEESt5tupleIJNSF_6TensorESK_SK_EERKSK_lbbbEUlllE0_EEPmJS9_EEE10hipError_tPvRmT3_T4_T5_T6_T7_T9_mT8_P12ihipStream_tbDpT10_ENKUlT_T0_E_clISt17integral_constantIbLb0EES1A_EEDaS15_S16_EUlS15_E_NS1_11comp_targetILNS1_3genE3ELNS1_11target_archE908ELNS1_3gpuE7ELNS1_3repE0EEENS1_30default_config_static_selectorELNS0_4arch9wavefront6targetE0EEEvT1_.numbered_sgpr, 0
	.set _ZN7rocprim17ROCPRIM_400000_NS6detail17trampoline_kernelINS0_14default_configENS1_25partition_config_selectorILNS1_17partition_subalgoE9EllbEEZZNS1_14partition_implILS5_9ELb0ES3_jPlS8_PNS0_10empty_typeENS0_5tupleIJS8_S9_EEENSB_IJS8_SA_EEENS0_18inequality_wrapperIZN2at6native12_GLOBAL__N_124unique_dim_cuda_templateItEESt5tupleIJNSF_6TensorESK_SK_EERKSK_lbbbEUlllE0_EEPmJS9_EEE10hipError_tPvRmT3_T4_T5_T6_T7_T9_mT8_P12ihipStream_tbDpT10_ENKUlT_T0_E_clISt17integral_constantIbLb0EES1A_EEDaS15_S16_EUlS15_E_NS1_11comp_targetILNS1_3genE3ELNS1_11target_archE908ELNS1_3gpuE7ELNS1_3repE0EEENS1_30default_config_static_selectorELNS0_4arch9wavefront6targetE0EEEvT1_.num_named_barrier, 0
	.set _ZN7rocprim17ROCPRIM_400000_NS6detail17trampoline_kernelINS0_14default_configENS1_25partition_config_selectorILNS1_17partition_subalgoE9EllbEEZZNS1_14partition_implILS5_9ELb0ES3_jPlS8_PNS0_10empty_typeENS0_5tupleIJS8_S9_EEENSB_IJS8_SA_EEENS0_18inequality_wrapperIZN2at6native12_GLOBAL__N_124unique_dim_cuda_templateItEESt5tupleIJNSF_6TensorESK_SK_EERKSK_lbbbEUlllE0_EEPmJS9_EEE10hipError_tPvRmT3_T4_T5_T6_T7_T9_mT8_P12ihipStream_tbDpT10_ENKUlT_T0_E_clISt17integral_constantIbLb0EES1A_EEDaS15_S16_EUlS15_E_NS1_11comp_targetILNS1_3genE3ELNS1_11target_archE908ELNS1_3gpuE7ELNS1_3repE0EEENS1_30default_config_static_selectorELNS0_4arch9wavefront6targetE0EEEvT1_.private_seg_size, 0
	.set _ZN7rocprim17ROCPRIM_400000_NS6detail17trampoline_kernelINS0_14default_configENS1_25partition_config_selectorILNS1_17partition_subalgoE9EllbEEZZNS1_14partition_implILS5_9ELb0ES3_jPlS8_PNS0_10empty_typeENS0_5tupleIJS8_S9_EEENSB_IJS8_SA_EEENS0_18inequality_wrapperIZN2at6native12_GLOBAL__N_124unique_dim_cuda_templateItEESt5tupleIJNSF_6TensorESK_SK_EERKSK_lbbbEUlllE0_EEPmJS9_EEE10hipError_tPvRmT3_T4_T5_T6_T7_T9_mT8_P12ihipStream_tbDpT10_ENKUlT_T0_E_clISt17integral_constantIbLb0EES1A_EEDaS15_S16_EUlS15_E_NS1_11comp_targetILNS1_3genE3ELNS1_11target_archE908ELNS1_3gpuE7ELNS1_3repE0EEENS1_30default_config_static_selectorELNS0_4arch9wavefront6targetE0EEEvT1_.uses_vcc, 0
	.set _ZN7rocprim17ROCPRIM_400000_NS6detail17trampoline_kernelINS0_14default_configENS1_25partition_config_selectorILNS1_17partition_subalgoE9EllbEEZZNS1_14partition_implILS5_9ELb0ES3_jPlS8_PNS0_10empty_typeENS0_5tupleIJS8_S9_EEENSB_IJS8_SA_EEENS0_18inequality_wrapperIZN2at6native12_GLOBAL__N_124unique_dim_cuda_templateItEESt5tupleIJNSF_6TensorESK_SK_EERKSK_lbbbEUlllE0_EEPmJS9_EEE10hipError_tPvRmT3_T4_T5_T6_T7_T9_mT8_P12ihipStream_tbDpT10_ENKUlT_T0_E_clISt17integral_constantIbLb0EES1A_EEDaS15_S16_EUlS15_E_NS1_11comp_targetILNS1_3genE3ELNS1_11target_archE908ELNS1_3gpuE7ELNS1_3repE0EEENS1_30default_config_static_selectorELNS0_4arch9wavefront6targetE0EEEvT1_.uses_flat_scratch, 0
	.set _ZN7rocprim17ROCPRIM_400000_NS6detail17trampoline_kernelINS0_14default_configENS1_25partition_config_selectorILNS1_17partition_subalgoE9EllbEEZZNS1_14partition_implILS5_9ELb0ES3_jPlS8_PNS0_10empty_typeENS0_5tupleIJS8_S9_EEENSB_IJS8_SA_EEENS0_18inequality_wrapperIZN2at6native12_GLOBAL__N_124unique_dim_cuda_templateItEESt5tupleIJNSF_6TensorESK_SK_EERKSK_lbbbEUlllE0_EEPmJS9_EEE10hipError_tPvRmT3_T4_T5_T6_T7_T9_mT8_P12ihipStream_tbDpT10_ENKUlT_T0_E_clISt17integral_constantIbLb0EES1A_EEDaS15_S16_EUlS15_E_NS1_11comp_targetILNS1_3genE3ELNS1_11target_archE908ELNS1_3gpuE7ELNS1_3repE0EEENS1_30default_config_static_selectorELNS0_4arch9wavefront6targetE0EEEvT1_.has_dyn_sized_stack, 0
	.set _ZN7rocprim17ROCPRIM_400000_NS6detail17trampoline_kernelINS0_14default_configENS1_25partition_config_selectorILNS1_17partition_subalgoE9EllbEEZZNS1_14partition_implILS5_9ELb0ES3_jPlS8_PNS0_10empty_typeENS0_5tupleIJS8_S9_EEENSB_IJS8_SA_EEENS0_18inequality_wrapperIZN2at6native12_GLOBAL__N_124unique_dim_cuda_templateItEESt5tupleIJNSF_6TensorESK_SK_EERKSK_lbbbEUlllE0_EEPmJS9_EEE10hipError_tPvRmT3_T4_T5_T6_T7_T9_mT8_P12ihipStream_tbDpT10_ENKUlT_T0_E_clISt17integral_constantIbLb0EES1A_EEDaS15_S16_EUlS15_E_NS1_11comp_targetILNS1_3genE3ELNS1_11target_archE908ELNS1_3gpuE7ELNS1_3repE0EEENS1_30default_config_static_selectorELNS0_4arch9wavefront6targetE0EEEvT1_.has_recursion, 0
	.set _ZN7rocprim17ROCPRIM_400000_NS6detail17trampoline_kernelINS0_14default_configENS1_25partition_config_selectorILNS1_17partition_subalgoE9EllbEEZZNS1_14partition_implILS5_9ELb0ES3_jPlS8_PNS0_10empty_typeENS0_5tupleIJS8_S9_EEENSB_IJS8_SA_EEENS0_18inequality_wrapperIZN2at6native12_GLOBAL__N_124unique_dim_cuda_templateItEESt5tupleIJNSF_6TensorESK_SK_EERKSK_lbbbEUlllE0_EEPmJS9_EEE10hipError_tPvRmT3_T4_T5_T6_T7_T9_mT8_P12ihipStream_tbDpT10_ENKUlT_T0_E_clISt17integral_constantIbLb0EES1A_EEDaS15_S16_EUlS15_E_NS1_11comp_targetILNS1_3genE3ELNS1_11target_archE908ELNS1_3gpuE7ELNS1_3repE0EEENS1_30default_config_static_selectorELNS0_4arch9wavefront6targetE0EEEvT1_.has_indirect_call, 0
	.section	.AMDGPU.csdata,"",@progbits
; Kernel info:
; codeLenInByte = 0
; TotalNumSgprs: 0
; NumVgprs: 0
; ScratchSize: 0
; MemoryBound: 0
; FloatMode: 240
; IeeeMode: 1
; LDSByteSize: 0 bytes/workgroup (compile time only)
; SGPRBlocks: 0
; VGPRBlocks: 0
; NumSGPRsForWavesPerEU: 1
; NumVGPRsForWavesPerEU: 1
; NamedBarCnt: 0
; Occupancy: 16
; WaveLimiterHint : 0
; COMPUTE_PGM_RSRC2:SCRATCH_EN: 0
; COMPUTE_PGM_RSRC2:USER_SGPR: 2
; COMPUTE_PGM_RSRC2:TRAP_HANDLER: 0
; COMPUTE_PGM_RSRC2:TGID_X_EN: 1
; COMPUTE_PGM_RSRC2:TGID_Y_EN: 0
; COMPUTE_PGM_RSRC2:TGID_Z_EN: 0
; COMPUTE_PGM_RSRC2:TIDIG_COMP_CNT: 0
	.section	.text._ZN7rocprim17ROCPRIM_400000_NS6detail17trampoline_kernelINS0_14default_configENS1_25partition_config_selectorILNS1_17partition_subalgoE9EllbEEZZNS1_14partition_implILS5_9ELb0ES3_jPlS8_PNS0_10empty_typeENS0_5tupleIJS8_S9_EEENSB_IJS8_SA_EEENS0_18inequality_wrapperIZN2at6native12_GLOBAL__N_124unique_dim_cuda_templateItEESt5tupleIJNSF_6TensorESK_SK_EERKSK_lbbbEUlllE0_EEPmJS9_EEE10hipError_tPvRmT3_T4_T5_T6_T7_T9_mT8_P12ihipStream_tbDpT10_ENKUlT_T0_E_clISt17integral_constantIbLb0EES1A_EEDaS15_S16_EUlS15_E_NS1_11comp_targetILNS1_3genE2ELNS1_11target_archE906ELNS1_3gpuE6ELNS1_3repE0EEENS1_30default_config_static_selectorELNS0_4arch9wavefront6targetE0EEEvT1_,"axG",@progbits,_ZN7rocprim17ROCPRIM_400000_NS6detail17trampoline_kernelINS0_14default_configENS1_25partition_config_selectorILNS1_17partition_subalgoE9EllbEEZZNS1_14partition_implILS5_9ELb0ES3_jPlS8_PNS0_10empty_typeENS0_5tupleIJS8_S9_EEENSB_IJS8_SA_EEENS0_18inequality_wrapperIZN2at6native12_GLOBAL__N_124unique_dim_cuda_templateItEESt5tupleIJNSF_6TensorESK_SK_EERKSK_lbbbEUlllE0_EEPmJS9_EEE10hipError_tPvRmT3_T4_T5_T6_T7_T9_mT8_P12ihipStream_tbDpT10_ENKUlT_T0_E_clISt17integral_constantIbLb0EES1A_EEDaS15_S16_EUlS15_E_NS1_11comp_targetILNS1_3genE2ELNS1_11target_archE906ELNS1_3gpuE6ELNS1_3repE0EEENS1_30default_config_static_selectorELNS0_4arch9wavefront6targetE0EEEvT1_,comdat
	.globl	_ZN7rocprim17ROCPRIM_400000_NS6detail17trampoline_kernelINS0_14default_configENS1_25partition_config_selectorILNS1_17partition_subalgoE9EllbEEZZNS1_14partition_implILS5_9ELb0ES3_jPlS8_PNS0_10empty_typeENS0_5tupleIJS8_S9_EEENSB_IJS8_SA_EEENS0_18inequality_wrapperIZN2at6native12_GLOBAL__N_124unique_dim_cuda_templateItEESt5tupleIJNSF_6TensorESK_SK_EERKSK_lbbbEUlllE0_EEPmJS9_EEE10hipError_tPvRmT3_T4_T5_T6_T7_T9_mT8_P12ihipStream_tbDpT10_ENKUlT_T0_E_clISt17integral_constantIbLb0EES1A_EEDaS15_S16_EUlS15_E_NS1_11comp_targetILNS1_3genE2ELNS1_11target_archE906ELNS1_3gpuE6ELNS1_3repE0EEENS1_30default_config_static_selectorELNS0_4arch9wavefront6targetE0EEEvT1_ ; -- Begin function _ZN7rocprim17ROCPRIM_400000_NS6detail17trampoline_kernelINS0_14default_configENS1_25partition_config_selectorILNS1_17partition_subalgoE9EllbEEZZNS1_14partition_implILS5_9ELb0ES3_jPlS8_PNS0_10empty_typeENS0_5tupleIJS8_S9_EEENSB_IJS8_SA_EEENS0_18inequality_wrapperIZN2at6native12_GLOBAL__N_124unique_dim_cuda_templateItEESt5tupleIJNSF_6TensorESK_SK_EERKSK_lbbbEUlllE0_EEPmJS9_EEE10hipError_tPvRmT3_T4_T5_T6_T7_T9_mT8_P12ihipStream_tbDpT10_ENKUlT_T0_E_clISt17integral_constantIbLb0EES1A_EEDaS15_S16_EUlS15_E_NS1_11comp_targetILNS1_3genE2ELNS1_11target_archE906ELNS1_3gpuE6ELNS1_3repE0EEENS1_30default_config_static_selectorELNS0_4arch9wavefront6targetE0EEEvT1_
	.p2align	8
	.type	_ZN7rocprim17ROCPRIM_400000_NS6detail17trampoline_kernelINS0_14default_configENS1_25partition_config_selectorILNS1_17partition_subalgoE9EllbEEZZNS1_14partition_implILS5_9ELb0ES3_jPlS8_PNS0_10empty_typeENS0_5tupleIJS8_S9_EEENSB_IJS8_SA_EEENS0_18inequality_wrapperIZN2at6native12_GLOBAL__N_124unique_dim_cuda_templateItEESt5tupleIJNSF_6TensorESK_SK_EERKSK_lbbbEUlllE0_EEPmJS9_EEE10hipError_tPvRmT3_T4_T5_T6_T7_T9_mT8_P12ihipStream_tbDpT10_ENKUlT_T0_E_clISt17integral_constantIbLb0EES1A_EEDaS15_S16_EUlS15_E_NS1_11comp_targetILNS1_3genE2ELNS1_11target_archE906ELNS1_3gpuE6ELNS1_3repE0EEENS1_30default_config_static_selectorELNS0_4arch9wavefront6targetE0EEEvT1_,@function
_ZN7rocprim17ROCPRIM_400000_NS6detail17trampoline_kernelINS0_14default_configENS1_25partition_config_selectorILNS1_17partition_subalgoE9EllbEEZZNS1_14partition_implILS5_9ELb0ES3_jPlS8_PNS0_10empty_typeENS0_5tupleIJS8_S9_EEENSB_IJS8_SA_EEENS0_18inequality_wrapperIZN2at6native12_GLOBAL__N_124unique_dim_cuda_templateItEESt5tupleIJNSF_6TensorESK_SK_EERKSK_lbbbEUlllE0_EEPmJS9_EEE10hipError_tPvRmT3_T4_T5_T6_T7_T9_mT8_P12ihipStream_tbDpT10_ENKUlT_T0_E_clISt17integral_constantIbLb0EES1A_EEDaS15_S16_EUlS15_E_NS1_11comp_targetILNS1_3genE2ELNS1_11target_archE906ELNS1_3gpuE6ELNS1_3repE0EEENS1_30default_config_static_selectorELNS0_4arch9wavefront6targetE0EEEvT1_: ; @_ZN7rocprim17ROCPRIM_400000_NS6detail17trampoline_kernelINS0_14default_configENS1_25partition_config_selectorILNS1_17partition_subalgoE9EllbEEZZNS1_14partition_implILS5_9ELb0ES3_jPlS8_PNS0_10empty_typeENS0_5tupleIJS8_S9_EEENSB_IJS8_SA_EEENS0_18inequality_wrapperIZN2at6native12_GLOBAL__N_124unique_dim_cuda_templateItEESt5tupleIJNSF_6TensorESK_SK_EERKSK_lbbbEUlllE0_EEPmJS9_EEE10hipError_tPvRmT3_T4_T5_T6_T7_T9_mT8_P12ihipStream_tbDpT10_ENKUlT_T0_E_clISt17integral_constantIbLb0EES1A_EEDaS15_S16_EUlS15_E_NS1_11comp_targetILNS1_3genE2ELNS1_11target_archE906ELNS1_3gpuE6ELNS1_3repE0EEENS1_30default_config_static_selectorELNS0_4arch9wavefront6targetE0EEEvT1_
; %bb.0:
	.section	.rodata,"a",@progbits
	.p2align	6, 0x0
	.amdhsa_kernel _ZN7rocprim17ROCPRIM_400000_NS6detail17trampoline_kernelINS0_14default_configENS1_25partition_config_selectorILNS1_17partition_subalgoE9EllbEEZZNS1_14partition_implILS5_9ELb0ES3_jPlS8_PNS0_10empty_typeENS0_5tupleIJS8_S9_EEENSB_IJS8_SA_EEENS0_18inequality_wrapperIZN2at6native12_GLOBAL__N_124unique_dim_cuda_templateItEESt5tupleIJNSF_6TensorESK_SK_EERKSK_lbbbEUlllE0_EEPmJS9_EEE10hipError_tPvRmT3_T4_T5_T6_T7_T9_mT8_P12ihipStream_tbDpT10_ENKUlT_T0_E_clISt17integral_constantIbLb0EES1A_EEDaS15_S16_EUlS15_E_NS1_11comp_targetILNS1_3genE2ELNS1_11target_archE906ELNS1_3gpuE6ELNS1_3repE0EEENS1_30default_config_static_selectorELNS0_4arch9wavefront6targetE0EEEvT1_
		.amdhsa_group_segment_fixed_size 0
		.amdhsa_private_segment_fixed_size 0
		.amdhsa_kernarg_size 120
		.amdhsa_user_sgpr_count 2
		.amdhsa_user_sgpr_dispatch_ptr 0
		.amdhsa_user_sgpr_queue_ptr 0
		.amdhsa_user_sgpr_kernarg_segment_ptr 1
		.amdhsa_user_sgpr_dispatch_id 0
		.amdhsa_user_sgpr_kernarg_preload_length 0
		.amdhsa_user_sgpr_kernarg_preload_offset 0
		.amdhsa_user_sgpr_private_segment_size 0
		.amdhsa_wavefront_size32 1
		.amdhsa_uses_dynamic_stack 0
		.amdhsa_enable_private_segment 0
		.amdhsa_system_sgpr_workgroup_id_x 1
		.amdhsa_system_sgpr_workgroup_id_y 0
		.amdhsa_system_sgpr_workgroup_id_z 0
		.amdhsa_system_sgpr_workgroup_info 0
		.amdhsa_system_vgpr_workitem_id 0
		.amdhsa_next_free_vgpr 1
		.amdhsa_next_free_sgpr 1
		.amdhsa_named_barrier_count 0
		.amdhsa_reserve_vcc 0
		.amdhsa_float_round_mode_32 0
		.amdhsa_float_round_mode_16_64 0
		.amdhsa_float_denorm_mode_32 3
		.amdhsa_float_denorm_mode_16_64 3
		.amdhsa_fp16_overflow 0
		.amdhsa_memory_ordered 1
		.amdhsa_forward_progress 1
		.amdhsa_inst_pref_size 0
		.amdhsa_round_robin_scheduling 0
		.amdhsa_exception_fp_ieee_invalid_op 0
		.amdhsa_exception_fp_denorm_src 0
		.amdhsa_exception_fp_ieee_div_zero 0
		.amdhsa_exception_fp_ieee_overflow 0
		.amdhsa_exception_fp_ieee_underflow 0
		.amdhsa_exception_fp_ieee_inexact 0
		.amdhsa_exception_int_div_zero 0
	.end_amdhsa_kernel
	.section	.text._ZN7rocprim17ROCPRIM_400000_NS6detail17trampoline_kernelINS0_14default_configENS1_25partition_config_selectorILNS1_17partition_subalgoE9EllbEEZZNS1_14partition_implILS5_9ELb0ES3_jPlS8_PNS0_10empty_typeENS0_5tupleIJS8_S9_EEENSB_IJS8_SA_EEENS0_18inequality_wrapperIZN2at6native12_GLOBAL__N_124unique_dim_cuda_templateItEESt5tupleIJNSF_6TensorESK_SK_EERKSK_lbbbEUlllE0_EEPmJS9_EEE10hipError_tPvRmT3_T4_T5_T6_T7_T9_mT8_P12ihipStream_tbDpT10_ENKUlT_T0_E_clISt17integral_constantIbLb0EES1A_EEDaS15_S16_EUlS15_E_NS1_11comp_targetILNS1_3genE2ELNS1_11target_archE906ELNS1_3gpuE6ELNS1_3repE0EEENS1_30default_config_static_selectorELNS0_4arch9wavefront6targetE0EEEvT1_,"axG",@progbits,_ZN7rocprim17ROCPRIM_400000_NS6detail17trampoline_kernelINS0_14default_configENS1_25partition_config_selectorILNS1_17partition_subalgoE9EllbEEZZNS1_14partition_implILS5_9ELb0ES3_jPlS8_PNS0_10empty_typeENS0_5tupleIJS8_S9_EEENSB_IJS8_SA_EEENS0_18inequality_wrapperIZN2at6native12_GLOBAL__N_124unique_dim_cuda_templateItEESt5tupleIJNSF_6TensorESK_SK_EERKSK_lbbbEUlllE0_EEPmJS9_EEE10hipError_tPvRmT3_T4_T5_T6_T7_T9_mT8_P12ihipStream_tbDpT10_ENKUlT_T0_E_clISt17integral_constantIbLb0EES1A_EEDaS15_S16_EUlS15_E_NS1_11comp_targetILNS1_3genE2ELNS1_11target_archE906ELNS1_3gpuE6ELNS1_3repE0EEENS1_30default_config_static_selectorELNS0_4arch9wavefront6targetE0EEEvT1_,comdat
.Lfunc_end1455:
	.size	_ZN7rocprim17ROCPRIM_400000_NS6detail17trampoline_kernelINS0_14default_configENS1_25partition_config_selectorILNS1_17partition_subalgoE9EllbEEZZNS1_14partition_implILS5_9ELb0ES3_jPlS8_PNS0_10empty_typeENS0_5tupleIJS8_S9_EEENSB_IJS8_SA_EEENS0_18inequality_wrapperIZN2at6native12_GLOBAL__N_124unique_dim_cuda_templateItEESt5tupleIJNSF_6TensorESK_SK_EERKSK_lbbbEUlllE0_EEPmJS9_EEE10hipError_tPvRmT3_T4_T5_T6_T7_T9_mT8_P12ihipStream_tbDpT10_ENKUlT_T0_E_clISt17integral_constantIbLb0EES1A_EEDaS15_S16_EUlS15_E_NS1_11comp_targetILNS1_3genE2ELNS1_11target_archE906ELNS1_3gpuE6ELNS1_3repE0EEENS1_30default_config_static_selectorELNS0_4arch9wavefront6targetE0EEEvT1_, .Lfunc_end1455-_ZN7rocprim17ROCPRIM_400000_NS6detail17trampoline_kernelINS0_14default_configENS1_25partition_config_selectorILNS1_17partition_subalgoE9EllbEEZZNS1_14partition_implILS5_9ELb0ES3_jPlS8_PNS0_10empty_typeENS0_5tupleIJS8_S9_EEENSB_IJS8_SA_EEENS0_18inequality_wrapperIZN2at6native12_GLOBAL__N_124unique_dim_cuda_templateItEESt5tupleIJNSF_6TensorESK_SK_EERKSK_lbbbEUlllE0_EEPmJS9_EEE10hipError_tPvRmT3_T4_T5_T6_T7_T9_mT8_P12ihipStream_tbDpT10_ENKUlT_T0_E_clISt17integral_constantIbLb0EES1A_EEDaS15_S16_EUlS15_E_NS1_11comp_targetILNS1_3genE2ELNS1_11target_archE906ELNS1_3gpuE6ELNS1_3repE0EEENS1_30default_config_static_selectorELNS0_4arch9wavefront6targetE0EEEvT1_
                                        ; -- End function
	.set _ZN7rocprim17ROCPRIM_400000_NS6detail17trampoline_kernelINS0_14default_configENS1_25partition_config_selectorILNS1_17partition_subalgoE9EllbEEZZNS1_14partition_implILS5_9ELb0ES3_jPlS8_PNS0_10empty_typeENS0_5tupleIJS8_S9_EEENSB_IJS8_SA_EEENS0_18inequality_wrapperIZN2at6native12_GLOBAL__N_124unique_dim_cuda_templateItEESt5tupleIJNSF_6TensorESK_SK_EERKSK_lbbbEUlllE0_EEPmJS9_EEE10hipError_tPvRmT3_T4_T5_T6_T7_T9_mT8_P12ihipStream_tbDpT10_ENKUlT_T0_E_clISt17integral_constantIbLb0EES1A_EEDaS15_S16_EUlS15_E_NS1_11comp_targetILNS1_3genE2ELNS1_11target_archE906ELNS1_3gpuE6ELNS1_3repE0EEENS1_30default_config_static_selectorELNS0_4arch9wavefront6targetE0EEEvT1_.num_vgpr, 0
	.set _ZN7rocprim17ROCPRIM_400000_NS6detail17trampoline_kernelINS0_14default_configENS1_25partition_config_selectorILNS1_17partition_subalgoE9EllbEEZZNS1_14partition_implILS5_9ELb0ES3_jPlS8_PNS0_10empty_typeENS0_5tupleIJS8_S9_EEENSB_IJS8_SA_EEENS0_18inequality_wrapperIZN2at6native12_GLOBAL__N_124unique_dim_cuda_templateItEESt5tupleIJNSF_6TensorESK_SK_EERKSK_lbbbEUlllE0_EEPmJS9_EEE10hipError_tPvRmT3_T4_T5_T6_T7_T9_mT8_P12ihipStream_tbDpT10_ENKUlT_T0_E_clISt17integral_constantIbLb0EES1A_EEDaS15_S16_EUlS15_E_NS1_11comp_targetILNS1_3genE2ELNS1_11target_archE906ELNS1_3gpuE6ELNS1_3repE0EEENS1_30default_config_static_selectorELNS0_4arch9wavefront6targetE0EEEvT1_.num_agpr, 0
	.set _ZN7rocprim17ROCPRIM_400000_NS6detail17trampoline_kernelINS0_14default_configENS1_25partition_config_selectorILNS1_17partition_subalgoE9EllbEEZZNS1_14partition_implILS5_9ELb0ES3_jPlS8_PNS0_10empty_typeENS0_5tupleIJS8_S9_EEENSB_IJS8_SA_EEENS0_18inequality_wrapperIZN2at6native12_GLOBAL__N_124unique_dim_cuda_templateItEESt5tupleIJNSF_6TensorESK_SK_EERKSK_lbbbEUlllE0_EEPmJS9_EEE10hipError_tPvRmT3_T4_T5_T6_T7_T9_mT8_P12ihipStream_tbDpT10_ENKUlT_T0_E_clISt17integral_constantIbLb0EES1A_EEDaS15_S16_EUlS15_E_NS1_11comp_targetILNS1_3genE2ELNS1_11target_archE906ELNS1_3gpuE6ELNS1_3repE0EEENS1_30default_config_static_selectorELNS0_4arch9wavefront6targetE0EEEvT1_.numbered_sgpr, 0
	.set _ZN7rocprim17ROCPRIM_400000_NS6detail17trampoline_kernelINS0_14default_configENS1_25partition_config_selectorILNS1_17partition_subalgoE9EllbEEZZNS1_14partition_implILS5_9ELb0ES3_jPlS8_PNS0_10empty_typeENS0_5tupleIJS8_S9_EEENSB_IJS8_SA_EEENS0_18inequality_wrapperIZN2at6native12_GLOBAL__N_124unique_dim_cuda_templateItEESt5tupleIJNSF_6TensorESK_SK_EERKSK_lbbbEUlllE0_EEPmJS9_EEE10hipError_tPvRmT3_T4_T5_T6_T7_T9_mT8_P12ihipStream_tbDpT10_ENKUlT_T0_E_clISt17integral_constantIbLb0EES1A_EEDaS15_S16_EUlS15_E_NS1_11comp_targetILNS1_3genE2ELNS1_11target_archE906ELNS1_3gpuE6ELNS1_3repE0EEENS1_30default_config_static_selectorELNS0_4arch9wavefront6targetE0EEEvT1_.num_named_barrier, 0
	.set _ZN7rocprim17ROCPRIM_400000_NS6detail17trampoline_kernelINS0_14default_configENS1_25partition_config_selectorILNS1_17partition_subalgoE9EllbEEZZNS1_14partition_implILS5_9ELb0ES3_jPlS8_PNS0_10empty_typeENS0_5tupleIJS8_S9_EEENSB_IJS8_SA_EEENS0_18inequality_wrapperIZN2at6native12_GLOBAL__N_124unique_dim_cuda_templateItEESt5tupleIJNSF_6TensorESK_SK_EERKSK_lbbbEUlllE0_EEPmJS9_EEE10hipError_tPvRmT3_T4_T5_T6_T7_T9_mT8_P12ihipStream_tbDpT10_ENKUlT_T0_E_clISt17integral_constantIbLb0EES1A_EEDaS15_S16_EUlS15_E_NS1_11comp_targetILNS1_3genE2ELNS1_11target_archE906ELNS1_3gpuE6ELNS1_3repE0EEENS1_30default_config_static_selectorELNS0_4arch9wavefront6targetE0EEEvT1_.private_seg_size, 0
	.set _ZN7rocprim17ROCPRIM_400000_NS6detail17trampoline_kernelINS0_14default_configENS1_25partition_config_selectorILNS1_17partition_subalgoE9EllbEEZZNS1_14partition_implILS5_9ELb0ES3_jPlS8_PNS0_10empty_typeENS0_5tupleIJS8_S9_EEENSB_IJS8_SA_EEENS0_18inequality_wrapperIZN2at6native12_GLOBAL__N_124unique_dim_cuda_templateItEESt5tupleIJNSF_6TensorESK_SK_EERKSK_lbbbEUlllE0_EEPmJS9_EEE10hipError_tPvRmT3_T4_T5_T6_T7_T9_mT8_P12ihipStream_tbDpT10_ENKUlT_T0_E_clISt17integral_constantIbLb0EES1A_EEDaS15_S16_EUlS15_E_NS1_11comp_targetILNS1_3genE2ELNS1_11target_archE906ELNS1_3gpuE6ELNS1_3repE0EEENS1_30default_config_static_selectorELNS0_4arch9wavefront6targetE0EEEvT1_.uses_vcc, 0
	.set _ZN7rocprim17ROCPRIM_400000_NS6detail17trampoline_kernelINS0_14default_configENS1_25partition_config_selectorILNS1_17partition_subalgoE9EllbEEZZNS1_14partition_implILS5_9ELb0ES3_jPlS8_PNS0_10empty_typeENS0_5tupleIJS8_S9_EEENSB_IJS8_SA_EEENS0_18inequality_wrapperIZN2at6native12_GLOBAL__N_124unique_dim_cuda_templateItEESt5tupleIJNSF_6TensorESK_SK_EERKSK_lbbbEUlllE0_EEPmJS9_EEE10hipError_tPvRmT3_T4_T5_T6_T7_T9_mT8_P12ihipStream_tbDpT10_ENKUlT_T0_E_clISt17integral_constantIbLb0EES1A_EEDaS15_S16_EUlS15_E_NS1_11comp_targetILNS1_3genE2ELNS1_11target_archE906ELNS1_3gpuE6ELNS1_3repE0EEENS1_30default_config_static_selectorELNS0_4arch9wavefront6targetE0EEEvT1_.uses_flat_scratch, 0
	.set _ZN7rocprim17ROCPRIM_400000_NS6detail17trampoline_kernelINS0_14default_configENS1_25partition_config_selectorILNS1_17partition_subalgoE9EllbEEZZNS1_14partition_implILS5_9ELb0ES3_jPlS8_PNS0_10empty_typeENS0_5tupleIJS8_S9_EEENSB_IJS8_SA_EEENS0_18inequality_wrapperIZN2at6native12_GLOBAL__N_124unique_dim_cuda_templateItEESt5tupleIJNSF_6TensorESK_SK_EERKSK_lbbbEUlllE0_EEPmJS9_EEE10hipError_tPvRmT3_T4_T5_T6_T7_T9_mT8_P12ihipStream_tbDpT10_ENKUlT_T0_E_clISt17integral_constantIbLb0EES1A_EEDaS15_S16_EUlS15_E_NS1_11comp_targetILNS1_3genE2ELNS1_11target_archE906ELNS1_3gpuE6ELNS1_3repE0EEENS1_30default_config_static_selectorELNS0_4arch9wavefront6targetE0EEEvT1_.has_dyn_sized_stack, 0
	.set _ZN7rocprim17ROCPRIM_400000_NS6detail17trampoline_kernelINS0_14default_configENS1_25partition_config_selectorILNS1_17partition_subalgoE9EllbEEZZNS1_14partition_implILS5_9ELb0ES3_jPlS8_PNS0_10empty_typeENS0_5tupleIJS8_S9_EEENSB_IJS8_SA_EEENS0_18inequality_wrapperIZN2at6native12_GLOBAL__N_124unique_dim_cuda_templateItEESt5tupleIJNSF_6TensorESK_SK_EERKSK_lbbbEUlllE0_EEPmJS9_EEE10hipError_tPvRmT3_T4_T5_T6_T7_T9_mT8_P12ihipStream_tbDpT10_ENKUlT_T0_E_clISt17integral_constantIbLb0EES1A_EEDaS15_S16_EUlS15_E_NS1_11comp_targetILNS1_3genE2ELNS1_11target_archE906ELNS1_3gpuE6ELNS1_3repE0EEENS1_30default_config_static_selectorELNS0_4arch9wavefront6targetE0EEEvT1_.has_recursion, 0
	.set _ZN7rocprim17ROCPRIM_400000_NS6detail17trampoline_kernelINS0_14default_configENS1_25partition_config_selectorILNS1_17partition_subalgoE9EllbEEZZNS1_14partition_implILS5_9ELb0ES3_jPlS8_PNS0_10empty_typeENS0_5tupleIJS8_S9_EEENSB_IJS8_SA_EEENS0_18inequality_wrapperIZN2at6native12_GLOBAL__N_124unique_dim_cuda_templateItEESt5tupleIJNSF_6TensorESK_SK_EERKSK_lbbbEUlllE0_EEPmJS9_EEE10hipError_tPvRmT3_T4_T5_T6_T7_T9_mT8_P12ihipStream_tbDpT10_ENKUlT_T0_E_clISt17integral_constantIbLb0EES1A_EEDaS15_S16_EUlS15_E_NS1_11comp_targetILNS1_3genE2ELNS1_11target_archE906ELNS1_3gpuE6ELNS1_3repE0EEENS1_30default_config_static_selectorELNS0_4arch9wavefront6targetE0EEEvT1_.has_indirect_call, 0
	.section	.AMDGPU.csdata,"",@progbits
; Kernel info:
; codeLenInByte = 0
; TotalNumSgprs: 0
; NumVgprs: 0
; ScratchSize: 0
; MemoryBound: 0
; FloatMode: 240
; IeeeMode: 1
; LDSByteSize: 0 bytes/workgroup (compile time only)
; SGPRBlocks: 0
; VGPRBlocks: 0
; NumSGPRsForWavesPerEU: 1
; NumVGPRsForWavesPerEU: 1
; NamedBarCnt: 0
; Occupancy: 16
; WaveLimiterHint : 0
; COMPUTE_PGM_RSRC2:SCRATCH_EN: 0
; COMPUTE_PGM_RSRC2:USER_SGPR: 2
; COMPUTE_PGM_RSRC2:TRAP_HANDLER: 0
; COMPUTE_PGM_RSRC2:TGID_X_EN: 1
; COMPUTE_PGM_RSRC2:TGID_Y_EN: 0
; COMPUTE_PGM_RSRC2:TGID_Z_EN: 0
; COMPUTE_PGM_RSRC2:TIDIG_COMP_CNT: 0
	.section	.text._ZN7rocprim17ROCPRIM_400000_NS6detail17trampoline_kernelINS0_14default_configENS1_25partition_config_selectorILNS1_17partition_subalgoE9EllbEEZZNS1_14partition_implILS5_9ELb0ES3_jPlS8_PNS0_10empty_typeENS0_5tupleIJS8_S9_EEENSB_IJS8_SA_EEENS0_18inequality_wrapperIZN2at6native12_GLOBAL__N_124unique_dim_cuda_templateItEESt5tupleIJNSF_6TensorESK_SK_EERKSK_lbbbEUlllE0_EEPmJS9_EEE10hipError_tPvRmT3_T4_T5_T6_T7_T9_mT8_P12ihipStream_tbDpT10_ENKUlT_T0_E_clISt17integral_constantIbLb0EES1A_EEDaS15_S16_EUlS15_E_NS1_11comp_targetILNS1_3genE10ELNS1_11target_archE1200ELNS1_3gpuE4ELNS1_3repE0EEENS1_30default_config_static_selectorELNS0_4arch9wavefront6targetE0EEEvT1_,"axG",@progbits,_ZN7rocprim17ROCPRIM_400000_NS6detail17trampoline_kernelINS0_14default_configENS1_25partition_config_selectorILNS1_17partition_subalgoE9EllbEEZZNS1_14partition_implILS5_9ELb0ES3_jPlS8_PNS0_10empty_typeENS0_5tupleIJS8_S9_EEENSB_IJS8_SA_EEENS0_18inequality_wrapperIZN2at6native12_GLOBAL__N_124unique_dim_cuda_templateItEESt5tupleIJNSF_6TensorESK_SK_EERKSK_lbbbEUlllE0_EEPmJS9_EEE10hipError_tPvRmT3_T4_T5_T6_T7_T9_mT8_P12ihipStream_tbDpT10_ENKUlT_T0_E_clISt17integral_constantIbLb0EES1A_EEDaS15_S16_EUlS15_E_NS1_11comp_targetILNS1_3genE10ELNS1_11target_archE1200ELNS1_3gpuE4ELNS1_3repE0EEENS1_30default_config_static_selectorELNS0_4arch9wavefront6targetE0EEEvT1_,comdat
	.globl	_ZN7rocprim17ROCPRIM_400000_NS6detail17trampoline_kernelINS0_14default_configENS1_25partition_config_selectorILNS1_17partition_subalgoE9EllbEEZZNS1_14partition_implILS5_9ELb0ES3_jPlS8_PNS0_10empty_typeENS0_5tupleIJS8_S9_EEENSB_IJS8_SA_EEENS0_18inequality_wrapperIZN2at6native12_GLOBAL__N_124unique_dim_cuda_templateItEESt5tupleIJNSF_6TensorESK_SK_EERKSK_lbbbEUlllE0_EEPmJS9_EEE10hipError_tPvRmT3_T4_T5_T6_T7_T9_mT8_P12ihipStream_tbDpT10_ENKUlT_T0_E_clISt17integral_constantIbLb0EES1A_EEDaS15_S16_EUlS15_E_NS1_11comp_targetILNS1_3genE10ELNS1_11target_archE1200ELNS1_3gpuE4ELNS1_3repE0EEENS1_30default_config_static_selectorELNS0_4arch9wavefront6targetE0EEEvT1_ ; -- Begin function _ZN7rocprim17ROCPRIM_400000_NS6detail17trampoline_kernelINS0_14default_configENS1_25partition_config_selectorILNS1_17partition_subalgoE9EllbEEZZNS1_14partition_implILS5_9ELb0ES3_jPlS8_PNS0_10empty_typeENS0_5tupleIJS8_S9_EEENSB_IJS8_SA_EEENS0_18inequality_wrapperIZN2at6native12_GLOBAL__N_124unique_dim_cuda_templateItEESt5tupleIJNSF_6TensorESK_SK_EERKSK_lbbbEUlllE0_EEPmJS9_EEE10hipError_tPvRmT3_T4_T5_T6_T7_T9_mT8_P12ihipStream_tbDpT10_ENKUlT_T0_E_clISt17integral_constantIbLb0EES1A_EEDaS15_S16_EUlS15_E_NS1_11comp_targetILNS1_3genE10ELNS1_11target_archE1200ELNS1_3gpuE4ELNS1_3repE0EEENS1_30default_config_static_selectorELNS0_4arch9wavefront6targetE0EEEvT1_
	.p2align	8
	.type	_ZN7rocprim17ROCPRIM_400000_NS6detail17trampoline_kernelINS0_14default_configENS1_25partition_config_selectorILNS1_17partition_subalgoE9EllbEEZZNS1_14partition_implILS5_9ELb0ES3_jPlS8_PNS0_10empty_typeENS0_5tupleIJS8_S9_EEENSB_IJS8_SA_EEENS0_18inequality_wrapperIZN2at6native12_GLOBAL__N_124unique_dim_cuda_templateItEESt5tupleIJNSF_6TensorESK_SK_EERKSK_lbbbEUlllE0_EEPmJS9_EEE10hipError_tPvRmT3_T4_T5_T6_T7_T9_mT8_P12ihipStream_tbDpT10_ENKUlT_T0_E_clISt17integral_constantIbLb0EES1A_EEDaS15_S16_EUlS15_E_NS1_11comp_targetILNS1_3genE10ELNS1_11target_archE1200ELNS1_3gpuE4ELNS1_3repE0EEENS1_30default_config_static_selectorELNS0_4arch9wavefront6targetE0EEEvT1_,@function
_ZN7rocprim17ROCPRIM_400000_NS6detail17trampoline_kernelINS0_14default_configENS1_25partition_config_selectorILNS1_17partition_subalgoE9EllbEEZZNS1_14partition_implILS5_9ELb0ES3_jPlS8_PNS0_10empty_typeENS0_5tupleIJS8_S9_EEENSB_IJS8_SA_EEENS0_18inequality_wrapperIZN2at6native12_GLOBAL__N_124unique_dim_cuda_templateItEESt5tupleIJNSF_6TensorESK_SK_EERKSK_lbbbEUlllE0_EEPmJS9_EEE10hipError_tPvRmT3_T4_T5_T6_T7_T9_mT8_P12ihipStream_tbDpT10_ENKUlT_T0_E_clISt17integral_constantIbLb0EES1A_EEDaS15_S16_EUlS15_E_NS1_11comp_targetILNS1_3genE10ELNS1_11target_archE1200ELNS1_3gpuE4ELNS1_3repE0EEENS1_30default_config_static_selectorELNS0_4arch9wavefront6targetE0EEEvT1_: ; @_ZN7rocprim17ROCPRIM_400000_NS6detail17trampoline_kernelINS0_14default_configENS1_25partition_config_selectorILNS1_17partition_subalgoE9EllbEEZZNS1_14partition_implILS5_9ELb0ES3_jPlS8_PNS0_10empty_typeENS0_5tupleIJS8_S9_EEENSB_IJS8_SA_EEENS0_18inequality_wrapperIZN2at6native12_GLOBAL__N_124unique_dim_cuda_templateItEESt5tupleIJNSF_6TensorESK_SK_EERKSK_lbbbEUlllE0_EEPmJS9_EEE10hipError_tPvRmT3_T4_T5_T6_T7_T9_mT8_P12ihipStream_tbDpT10_ENKUlT_T0_E_clISt17integral_constantIbLb0EES1A_EEDaS15_S16_EUlS15_E_NS1_11comp_targetILNS1_3genE10ELNS1_11target_archE1200ELNS1_3gpuE4ELNS1_3repE0EEENS1_30default_config_static_selectorELNS0_4arch9wavefront6targetE0EEEvT1_
; %bb.0:
	.section	.rodata,"a",@progbits
	.p2align	6, 0x0
	.amdhsa_kernel _ZN7rocprim17ROCPRIM_400000_NS6detail17trampoline_kernelINS0_14default_configENS1_25partition_config_selectorILNS1_17partition_subalgoE9EllbEEZZNS1_14partition_implILS5_9ELb0ES3_jPlS8_PNS0_10empty_typeENS0_5tupleIJS8_S9_EEENSB_IJS8_SA_EEENS0_18inequality_wrapperIZN2at6native12_GLOBAL__N_124unique_dim_cuda_templateItEESt5tupleIJNSF_6TensorESK_SK_EERKSK_lbbbEUlllE0_EEPmJS9_EEE10hipError_tPvRmT3_T4_T5_T6_T7_T9_mT8_P12ihipStream_tbDpT10_ENKUlT_T0_E_clISt17integral_constantIbLb0EES1A_EEDaS15_S16_EUlS15_E_NS1_11comp_targetILNS1_3genE10ELNS1_11target_archE1200ELNS1_3gpuE4ELNS1_3repE0EEENS1_30default_config_static_selectorELNS0_4arch9wavefront6targetE0EEEvT1_
		.amdhsa_group_segment_fixed_size 0
		.amdhsa_private_segment_fixed_size 0
		.amdhsa_kernarg_size 120
		.amdhsa_user_sgpr_count 2
		.amdhsa_user_sgpr_dispatch_ptr 0
		.amdhsa_user_sgpr_queue_ptr 0
		.amdhsa_user_sgpr_kernarg_segment_ptr 1
		.amdhsa_user_sgpr_dispatch_id 0
		.amdhsa_user_sgpr_kernarg_preload_length 0
		.amdhsa_user_sgpr_kernarg_preload_offset 0
		.amdhsa_user_sgpr_private_segment_size 0
		.amdhsa_wavefront_size32 1
		.amdhsa_uses_dynamic_stack 0
		.amdhsa_enable_private_segment 0
		.amdhsa_system_sgpr_workgroup_id_x 1
		.amdhsa_system_sgpr_workgroup_id_y 0
		.amdhsa_system_sgpr_workgroup_id_z 0
		.amdhsa_system_sgpr_workgroup_info 0
		.amdhsa_system_vgpr_workitem_id 0
		.amdhsa_next_free_vgpr 1
		.amdhsa_next_free_sgpr 1
		.amdhsa_named_barrier_count 0
		.amdhsa_reserve_vcc 0
		.amdhsa_float_round_mode_32 0
		.amdhsa_float_round_mode_16_64 0
		.amdhsa_float_denorm_mode_32 3
		.amdhsa_float_denorm_mode_16_64 3
		.amdhsa_fp16_overflow 0
		.amdhsa_memory_ordered 1
		.amdhsa_forward_progress 1
		.amdhsa_inst_pref_size 0
		.amdhsa_round_robin_scheduling 0
		.amdhsa_exception_fp_ieee_invalid_op 0
		.amdhsa_exception_fp_denorm_src 0
		.amdhsa_exception_fp_ieee_div_zero 0
		.amdhsa_exception_fp_ieee_overflow 0
		.amdhsa_exception_fp_ieee_underflow 0
		.amdhsa_exception_fp_ieee_inexact 0
		.amdhsa_exception_int_div_zero 0
	.end_amdhsa_kernel
	.section	.text._ZN7rocprim17ROCPRIM_400000_NS6detail17trampoline_kernelINS0_14default_configENS1_25partition_config_selectorILNS1_17partition_subalgoE9EllbEEZZNS1_14partition_implILS5_9ELb0ES3_jPlS8_PNS0_10empty_typeENS0_5tupleIJS8_S9_EEENSB_IJS8_SA_EEENS0_18inequality_wrapperIZN2at6native12_GLOBAL__N_124unique_dim_cuda_templateItEESt5tupleIJNSF_6TensorESK_SK_EERKSK_lbbbEUlllE0_EEPmJS9_EEE10hipError_tPvRmT3_T4_T5_T6_T7_T9_mT8_P12ihipStream_tbDpT10_ENKUlT_T0_E_clISt17integral_constantIbLb0EES1A_EEDaS15_S16_EUlS15_E_NS1_11comp_targetILNS1_3genE10ELNS1_11target_archE1200ELNS1_3gpuE4ELNS1_3repE0EEENS1_30default_config_static_selectorELNS0_4arch9wavefront6targetE0EEEvT1_,"axG",@progbits,_ZN7rocprim17ROCPRIM_400000_NS6detail17trampoline_kernelINS0_14default_configENS1_25partition_config_selectorILNS1_17partition_subalgoE9EllbEEZZNS1_14partition_implILS5_9ELb0ES3_jPlS8_PNS0_10empty_typeENS0_5tupleIJS8_S9_EEENSB_IJS8_SA_EEENS0_18inequality_wrapperIZN2at6native12_GLOBAL__N_124unique_dim_cuda_templateItEESt5tupleIJNSF_6TensorESK_SK_EERKSK_lbbbEUlllE0_EEPmJS9_EEE10hipError_tPvRmT3_T4_T5_T6_T7_T9_mT8_P12ihipStream_tbDpT10_ENKUlT_T0_E_clISt17integral_constantIbLb0EES1A_EEDaS15_S16_EUlS15_E_NS1_11comp_targetILNS1_3genE10ELNS1_11target_archE1200ELNS1_3gpuE4ELNS1_3repE0EEENS1_30default_config_static_selectorELNS0_4arch9wavefront6targetE0EEEvT1_,comdat
.Lfunc_end1456:
	.size	_ZN7rocprim17ROCPRIM_400000_NS6detail17trampoline_kernelINS0_14default_configENS1_25partition_config_selectorILNS1_17partition_subalgoE9EllbEEZZNS1_14partition_implILS5_9ELb0ES3_jPlS8_PNS0_10empty_typeENS0_5tupleIJS8_S9_EEENSB_IJS8_SA_EEENS0_18inequality_wrapperIZN2at6native12_GLOBAL__N_124unique_dim_cuda_templateItEESt5tupleIJNSF_6TensorESK_SK_EERKSK_lbbbEUlllE0_EEPmJS9_EEE10hipError_tPvRmT3_T4_T5_T6_T7_T9_mT8_P12ihipStream_tbDpT10_ENKUlT_T0_E_clISt17integral_constantIbLb0EES1A_EEDaS15_S16_EUlS15_E_NS1_11comp_targetILNS1_3genE10ELNS1_11target_archE1200ELNS1_3gpuE4ELNS1_3repE0EEENS1_30default_config_static_selectorELNS0_4arch9wavefront6targetE0EEEvT1_, .Lfunc_end1456-_ZN7rocprim17ROCPRIM_400000_NS6detail17trampoline_kernelINS0_14default_configENS1_25partition_config_selectorILNS1_17partition_subalgoE9EllbEEZZNS1_14partition_implILS5_9ELb0ES3_jPlS8_PNS0_10empty_typeENS0_5tupleIJS8_S9_EEENSB_IJS8_SA_EEENS0_18inequality_wrapperIZN2at6native12_GLOBAL__N_124unique_dim_cuda_templateItEESt5tupleIJNSF_6TensorESK_SK_EERKSK_lbbbEUlllE0_EEPmJS9_EEE10hipError_tPvRmT3_T4_T5_T6_T7_T9_mT8_P12ihipStream_tbDpT10_ENKUlT_T0_E_clISt17integral_constantIbLb0EES1A_EEDaS15_S16_EUlS15_E_NS1_11comp_targetILNS1_3genE10ELNS1_11target_archE1200ELNS1_3gpuE4ELNS1_3repE0EEENS1_30default_config_static_selectorELNS0_4arch9wavefront6targetE0EEEvT1_
                                        ; -- End function
	.set _ZN7rocprim17ROCPRIM_400000_NS6detail17trampoline_kernelINS0_14default_configENS1_25partition_config_selectorILNS1_17partition_subalgoE9EllbEEZZNS1_14partition_implILS5_9ELb0ES3_jPlS8_PNS0_10empty_typeENS0_5tupleIJS8_S9_EEENSB_IJS8_SA_EEENS0_18inequality_wrapperIZN2at6native12_GLOBAL__N_124unique_dim_cuda_templateItEESt5tupleIJNSF_6TensorESK_SK_EERKSK_lbbbEUlllE0_EEPmJS9_EEE10hipError_tPvRmT3_T4_T5_T6_T7_T9_mT8_P12ihipStream_tbDpT10_ENKUlT_T0_E_clISt17integral_constantIbLb0EES1A_EEDaS15_S16_EUlS15_E_NS1_11comp_targetILNS1_3genE10ELNS1_11target_archE1200ELNS1_3gpuE4ELNS1_3repE0EEENS1_30default_config_static_selectorELNS0_4arch9wavefront6targetE0EEEvT1_.num_vgpr, 0
	.set _ZN7rocprim17ROCPRIM_400000_NS6detail17trampoline_kernelINS0_14default_configENS1_25partition_config_selectorILNS1_17partition_subalgoE9EllbEEZZNS1_14partition_implILS5_9ELb0ES3_jPlS8_PNS0_10empty_typeENS0_5tupleIJS8_S9_EEENSB_IJS8_SA_EEENS0_18inequality_wrapperIZN2at6native12_GLOBAL__N_124unique_dim_cuda_templateItEESt5tupleIJNSF_6TensorESK_SK_EERKSK_lbbbEUlllE0_EEPmJS9_EEE10hipError_tPvRmT3_T4_T5_T6_T7_T9_mT8_P12ihipStream_tbDpT10_ENKUlT_T0_E_clISt17integral_constantIbLb0EES1A_EEDaS15_S16_EUlS15_E_NS1_11comp_targetILNS1_3genE10ELNS1_11target_archE1200ELNS1_3gpuE4ELNS1_3repE0EEENS1_30default_config_static_selectorELNS0_4arch9wavefront6targetE0EEEvT1_.num_agpr, 0
	.set _ZN7rocprim17ROCPRIM_400000_NS6detail17trampoline_kernelINS0_14default_configENS1_25partition_config_selectorILNS1_17partition_subalgoE9EllbEEZZNS1_14partition_implILS5_9ELb0ES3_jPlS8_PNS0_10empty_typeENS0_5tupleIJS8_S9_EEENSB_IJS8_SA_EEENS0_18inequality_wrapperIZN2at6native12_GLOBAL__N_124unique_dim_cuda_templateItEESt5tupleIJNSF_6TensorESK_SK_EERKSK_lbbbEUlllE0_EEPmJS9_EEE10hipError_tPvRmT3_T4_T5_T6_T7_T9_mT8_P12ihipStream_tbDpT10_ENKUlT_T0_E_clISt17integral_constantIbLb0EES1A_EEDaS15_S16_EUlS15_E_NS1_11comp_targetILNS1_3genE10ELNS1_11target_archE1200ELNS1_3gpuE4ELNS1_3repE0EEENS1_30default_config_static_selectorELNS0_4arch9wavefront6targetE0EEEvT1_.numbered_sgpr, 0
	.set _ZN7rocprim17ROCPRIM_400000_NS6detail17trampoline_kernelINS0_14default_configENS1_25partition_config_selectorILNS1_17partition_subalgoE9EllbEEZZNS1_14partition_implILS5_9ELb0ES3_jPlS8_PNS0_10empty_typeENS0_5tupleIJS8_S9_EEENSB_IJS8_SA_EEENS0_18inequality_wrapperIZN2at6native12_GLOBAL__N_124unique_dim_cuda_templateItEESt5tupleIJNSF_6TensorESK_SK_EERKSK_lbbbEUlllE0_EEPmJS9_EEE10hipError_tPvRmT3_T4_T5_T6_T7_T9_mT8_P12ihipStream_tbDpT10_ENKUlT_T0_E_clISt17integral_constantIbLb0EES1A_EEDaS15_S16_EUlS15_E_NS1_11comp_targetILNS1_3genE10ELNS1_11target_archE1200ELNS1_3gpuE4ELNS1_3repE0EEENS1_30default_config_static_selectorELNS0_4arch9wavefront6targetE0EEEvT1_.num_named_barrier, 0
	.set _ZN7rocprim17ROCPRIM_400000_NS6detail17trampoline_kernelINS0_14default_configENS1_25partition_config_selectorILNS1_17partition_subalgoE9EllbEEZZNS1_14partition_implILS5_9ELb0ES3_jPlS8_PNS0_10empty_typeENS0_5tupleIJS8_S9_EEENSB_IJS8_SA_EEENS0_18inequality_wrapperIZN2at6native12_GLOBAL__N_124unique_dim_cuda_templateItEESt5tupleIJNSF_6TensorESK_SK_EERKSK_lbbbEUlllE0_EEPmJS9_EEE10hipError_tPvRmT3_T4_T5_T6_T7_T9_mT8_P12ihipStream_tbDpT10_ENKUlT_T0_E_clISt17integral_constantIbLb0EES1A_EEDaS15_S16_EUlS15_E_NS1_11comp_targetILNS1_3genE10ELNS1_11target_archE1200ELNS1_3gpuE4ELNS1_3repE0EEENS1_30default_config_static_selectorELNS0_4arch9wavefront6targetE0EEEvT1_.private_seg_size, 0
	.set _ZN7rocprim17ROCPRIM_400000_NS6detail17trampoline_kernelINS0_14default_configENS1_25partition_config_selectorILNS1_17partition_subalgoE9EllbEEZZNS1_14partition_implILS5_9ELb0ES3_jPlS8_PNS0_10empty_typeENS0_5tupleIJS8_S9_EEENSB_IJS8_SA_EEENS0_18inequality_wrapperIZN2at6native12_GLOBAL__N_124unique_dim_cuda_templateItEESt5tupleIJNSF_6TensorESK_SK_EERKSK_lbbbEUlllE0_EEPmJS9_EEE10hipError_tPvRmT3_T4_T5_T6_T7_T9_mT8_P12ihipStream_tbDpT10_ENKUlT_T0_E_clISt17integral_constantIbLb0EES1A_EEDaS15_S16_EUlS15_E_NS1_11comp_targetILNS1_3genE10ELNS1_11target_archE1200ELNS1_3gpuE4ELNS1_3repE0EEENS1_30default_config_static_selectorELNS0_4arch9wavefront6targetE0EEEvT1_.uses_vcc, 0
	.set _ZN7rocprim17ROCPRIM_400000_NS6detail17trampoline_kernelINS0_14default_configENS1_25partition_config_selectorILNS1_17partition_subalgoE9EllbEEZZNS1_14partition_implILS5_9ELb0ES3_jPlS8_PNS0_10empty_typeENS0_5tupleIJS8_S9_EEENSB_IJS8_SA_EEENS0_18inequality_wrapperIZN2at6native12_GLOBAL__N_124unique_dim_cuda_templateItEESt5tupleIJNSF_6TensorESK_SK_EERKSK_lbbbEUlllE0_EEPmJS9_EEE10hipError_tPvRmT3_T4_T5_T6_T7_T9_mT8_P12ihipStream_tbDpT10_ENKUlT_T0_E_clISt17integral_constantIbLb0EES1A_EEDaS15_S16_EUlS15_E_NS1_11comp_targetILNS1_3genE10ELNS1_11target_archE1200ELNS1_3gpuE4ELNS1_3repE0EEENS1_30default_config_static_selectorELNS0_4arch9wavefront6targetE0EEEvT1_.uses_flat_scratch, 0
	.set _ZN7rocprim17ROCPRIM_400000_NS6detail17trampoline_kernelINS0_14default_configENS1_25partition_config_selectorILNS1_17partition_subalgoE9EllbEEZZNS1_14partition_implILS5_9ELb0ES3_jPlS8_PNS0_10empty_typeENS0_5tupleIJS8_S9_EEENSB_IJS8_SA_EEENS0_18inequality_wrapperIZN2at6native12_GLOBAL__N_124unique_dim_cuda_templateItEESt5tupleIJNSF_6TensorESK_SK_EERKSK_lbbbEUlllE0_EEPmJS9_EEE10hipError_tPvRmT3_T4_T5_T6_T7_T9_mT8_P12ihipStream_tbDpT10_ENKUlT_T0_E_clISt17integral_constantIbLb0EES1A_EEDaS15_S16_EUlS15_E_NS1_11comp_targetILNS1_3genE10ELNS1_11target_archE1200ELNS1_3gpuE4ELNS1_3repE0EEENS1_30default_config_static_selectorELNS0_4arch9wavefront6targetE0EEEvT1_.has_dyn_sized_stack, 0
	.set _ZN7rocprim17ROCPRIM_400000_NS6detail17trampoline_kernelINS0_14default_configENS1_25partition_config_selectorILNS1_17partition_subalgoE9EllbEEZZNS1_14partition_implILS5_9ELb0ES3_jPlS8_PNS0_10empty_typeENS0_5tupleIJS8_S9_EEENSB_IJS8_SA_EEENS0_18inequality_wrapperIZN2at6native12_GLOBAL__N_124unique_dim_cuda_templateItEESt5tupleIJNSF_6TensorESK_SK_EERKSK_lbbbEUlllE0_EEPmJS9_EEE10hipError_tPvRmT3_T4_T5_T6_T7_T9_mT8_P12ihipStream_tbDpT10_ENKUlT_T0_E_clISt17integral_constantIbLb0EES1A_EEDaS15_S16_EUlS15_E_NS1_11comp_targetILNS1_3genE10ELNS1_11target_archE1200ELNS1_3gpuE4ELNS1_3repE0EEENS1_30default_config_static_selectorELNS0_4arch9wavefront6targetE0EEEvT1_.has_recursion, 0
	.set _ZN7rocprim17ROCPRIM_400000_NS6detail17trampoline_kernelINS0_14default_configENS1_25partition_config_selectorILNS1_17partition_subalgoE9EllbEEZZNS1_14partition_implILS5_9ELb0ES3_jPlS8_PNS0_10empty_typeENS0_5tupleIJS8_S9_EEENSB_IJS8_SA_EEENS0_18inequality_wrapperIZN2at6native12_GLOBAL__N_124unique_dim_cuda_templateItEESt5tupleIJNSF_6TensorESK_SK_EERKSK_lbbbEUlllE0_EEPmJS9_EEE10hipError_tPvRmT3_T4_T5_T6_T7_T9_mT8_P12ihipStream_tbDpT10_ENKUlT_T0_E_clISt17integral_constantIbLb0EES1A_EEDaS15_S16_EUlS15_E_NS1_11comp_targetILNS1_3genE10ELNS1_11target_archE1200ELNS1_3gpuE4ELNS1_3repE0EEENS1_30default_config_static_selectorELNS0_4arch9wavefront6targetE0EEEvT1_.has_indirect_call, 0
	.section	.AMDGPU.csdata,"",@progbits
; Kernel info:
; codeLenInByte = 0
; TotalNumSgprs: 0
; NumVgprs: 0
; ScratchSize: 0
; MemoryBound: 0
; FloatMode: 240
; IeeeMode: 1
; LDSByteSize: 0 bytes/workgroup (compile time only)
; SGPRBlocks: 0
; VGPRBlocks: 0
; NumSGPRsForWavesPerEU: 1
; NumVGPRsForWavesPerEU: 1
; NamedBarCnt: 0
; Occupancy: 16
; WaveLimiterHint : 0
; COMPUTE_PGM_RSRC2:SCRATCH_EN: 0
; COMPUTE_PGM_RSRC2:USER_SGPR: 2
; COMPUTE_PGM_RSRC2:TRAP_HANDLER: 0
; COMPUTE_PGM_RSRC2:TGID_X_EN: 1
; COMPUTE_PGM_RSRC2:TGID_Y_EN: 0
; COMPUTE_PGM_RSRC2:TGID_Z_EN: 0
; COMPUTE_PGM_RSRC2:TIDIG_COMP_CNT: 0
	.section	.text._ZN7rocprim17ROCPRIM_400000_NS6detail17trampoline_kernelINS0_14default_configENS1_25partition_config_selectorILNS1_17partition_subalgoE9EllbEEZZNS1_14partition_implILS5_9ELb0ES3_jPlS8_PNS0_10empty_typeENS0_5tupleIJS8_S9_EEENSB_IJS8_SA_EEENS0_18inequality_wrapperIZN2at6native12_GLOBAL__N_124unique_dim_cuda_templateItEESt5tupleIJNSF_6TensorESK_SK_EERKSK_lbbbEUlllE0_EEPmJS9_EEE10hipError_tPvRmT3_T4_T5_T6_T7_T9_mT8_P12ihipStream_tbDpT10_ENKUlT_T0_E_clISt17integral_constantIbLb0EES1A_EEDaS15_S16_EUlS15_E_NS1_11comp_targetILNS1_3genE9ELNS1_11target_archE1100ELNS1_3gpuE3ELNS1_3repE0EEENS1_30default_config_static_selectorELNS0_4arch9wavefront6targetE0EEEvT1_,"axG",@progbits,_ZN7rocprim17ROCPRIM_400000_NS6detail17trampoline_kernelINS0_14default_configENS1_25partition_config_selectorILNS1_17partition_subalgoE9EllbEEZZNS1_14partition_implILS5_9ELb0ES3_jPlS8_PNS0_10empty_typeENS0_5tupleIJS8_S9_EEENSB_IJS8_SA_EEENS0_18inequality_wrapperIZN2at6native12_GLOBAL__N_124unique_dim_cuda_templateItEESt5tupleIJNSF_6TensorESK_SK_EERKSK_lbbbEUlllE0_EEPmJS9_EEE10hipError_tPvRmT3_T4_T5_T6_T7_T9_mT8_P12ihipStream_tbDpT10_ENKUlT_T0_E_clISt17integral_constantIbLb0EES1A_EEDaS15_S16_EUlS15_E_NS1_11comp_targetILNS1_3genE9ELNS1_11target_archE1100ELNS1_3gpuE3ELNS1_3repE0EEENS1_30default_config_static_selectorELNS0_4arch9wavefront6targetE0EEEvT1_,comdat
	.globl	_ZN7rocprim17ROCPRIM_400000_NS6detail17trampoline_kernelINS0_14default_configENS1_25partition_config_selectorILNS1_17partition_subalgoE9EllbEEZZNS1_14partition_implILS5_9ELb0ES3_jPlS8_PNS0_10empty_typeENS0_5tupleIJS8_S9_EEENSB_IJS8_SA_EEENS0_18inequality_wrapperIZN2at6native12_GLOBAL__N_124unique_dim_cuda_templateItEESt5tupleIJNSF_6TensorESK_SK_EERKSK_lbbbEUlllE0_EEPmJS9_EEE10hipError_tPvRmT3_T4_T5_T6_T7_T9_mT8_P12ihipStream_tbDpT10_ENKUlT_T0_E_clISt17integral_constantIbLb0EES1A_EEDaS15_S16_EUlS15_E_NS1_11comp_targetILNS1_3genE9ELNS1_11target_archE1100ELNS1_3gpuE3ELNS1_3repE0EEENS1_30default_config_static_selectorELNS0_4arch9wavefront6targetE0EEEvT1_ ; -- Begin function _ZN7rocprim17ROCPRIM_400000_NS6detail17trampoline_kernelINS0_14default_configENS1_25partition_config_selectorILNS1_17partition_subalgoE9EllbEEZZNS1_14partition_implILS5_9ELb0ES3_jPlS8_PNS0_10empty_typeENS0_5tupleIJS8_S9_EEENSB_IJS8_SA_EEENS0_18inequality_wrapperIZN2at6native12_GLOBAL__N_124unique_dim_cuda_templateItEESt5tupleIJNSF_6TensorESK_SK_EERKSK_lbbbEUlllE0_EEPmJS9_EEE10hipError_tPvRmT3_T4_T5_T6_T7_T9_mT8_P12ihipStream_tbDpT10_ENKUlT_T0_E_clISt17integral_constantIbLb0EES1A_EEDaS15_S16_EUlS15_E_NS1_11comp_targetILNS1_3genE9ELNS1_11target_archE1100ELNS1_3gpuE3ELNS1_3repE0EEENS1_30default_config_static_selectorELNS0_4arch9wavefront6targetE0EEEvT1_
	.p2align	8
	.type	_ZN7rocprim17ROCPRIM_400000_NS6detail17trampoline_kernelINS0_14default_configENS1_25partition_config_selectorILNS1_17partition_subalgoE9EllbEEZZNS1_14partition_implILS5_9ELb0ES3_jPlS8_PNS0_10empty_typeENS0_5tupleIJS8_S9_EEENSB_IJS8_SA_EEENS0_18inequality_wrapperIZN2at6native12_GLOBAL__N_124unique_dim_cuda_templateItEESt5tupleIJNSF_6TensorESK_SK_EERKSK_lbbbEUlllE0_EEPmJS9_EEE10hipError_tPvRmT3_T4_T5_T6_T7_T9_mT8_P12ihipStream_tbDpT10_ENKUlT_T0_E_clISt17integral_constantIbLb0EES1A_EEDaS15_S16_EUlS15_E_NS1_11comp_targetILNS1_3genE9ELNS1_11target_archE1100ELNS1_3gpuE3ELNS1_3repE0EEENS1_30default_config_static_selectorELNS0_4arch9wavefront6targetE0EEEvT1_,@function
_ZN7rocprim17ROCPRIM_400000_NS6detail17trampoline_kernelINS0_14default_configENS1_25partition_config_selectorILNS1_17partition_subalgoE9EllbEEZZNS1_14partition_implILS5_9ELb0ES3_jPlS8_PNS0_10empty_typeENS0_5tupleIJS8_S9_EEENSB_IJS8_SA_EEENS0_18inequality_wrapperIZN2at6native12_GLOBAL__N_124unique_dim_cuda_templateItEESt5tupleIJNSF_6TensorESK_SK_EERKSK_lbbbEUlllE0_EEPmJS9_EEE10hipError_tPvRmT3_T4_T5_T6_T7_T9_mT8_P12ihipStream_tbDpT10_ENKUlT_T0_E_clISt17integral_constantIbLb0EES1A_EEDaS15_S16_EUlS15_E_NS1_11comp_targetILNS1_3genE9ELNS1_11target_archE1100ELNS1_3gpuE3ELNS1_3repE0EEENS1_30default_config_static_selectorELNS0_4arch9wavefront6targetE0EEEvT1_: ; @_ZN7rocprim17ROCPRIM_400000_NS6detail17trampoline_kernelINS0_14default_configENS1_25partition_config_selectorILNS1_17partition_subalgoE9EllbEEZZNS1_14partition_implILS5_9ELb0ES3_jPlS8_PNS0_10empty_typeENS0_5tupleIJS8_S9_EEENSB_IJS8_SA_EEENS0_18inequality_wrapperIZN2at6native12_GLOBAL__N_124unique_dim_cuda_templateItEESt5tupleIJNSF_6TensorESK_SK_EERKSK_lbbbEUlllE0_EEPmJS9_EEE10hipError_tPvRmT3_T4_T5_T6_T7_T9_mT8_P12ihipStream_tbDpT10_ENKUlT_T0_E_clISt17integral_constantIbLb0EES1A_EEDaS15_S16_EUlS15_E_NS1_11comp_targetILNS1_3genE9ELNS1_11target_archE1100ELNS1_3gpuE3ELNS1_3repE0EEENS1_30default_config_static_selectorELNS0_4arch9wavefront6targetE0EEEvT1_
; %bb.0:
	.section	.rodata,"a",@progbits
	.p2align	6, 0x0
	.amdhsa_kernel _ZN7rocprim17ROCPRIM_400000_NS6detail17trampoline_kernelINS0_14default_configENS1_25partition_config_selectorILNS1_17partition_subalgoE9EllbEEZZNS1_14partition_implILS5_9ELb0ES3_jPlS8_PNS0_10empty_typeENS0_5tupleIJS8_S9_EEENSB_IJS8_SA_EEENS0_18inequality_wrapperIZN2at6native12_GLOBAL__N_124unique_dim_cuda_templateItEESt5tupleIJNSF_6TensorESK_SK_EERKSK_lbbbEUlllE0_EEPmJS9_EEE10hipError_tPvRmT3_T4_T5_T6_T7_T9_mT8_P12ihipStream_tbDpT10_ENKUlT_T0_E_clISt17integral_constantIbLb0EES1A_EEDaS15_S16_EUlS15_E_NS1_11comp_targetILNS1_3genE9ELNS1_11target_archE1100ELNS1_3gpuE3ELNS1_3repE0EEENS1_30default_config_static_selectorELNS0_4arch9wavefront6targetE0EEEvT1_
		.amdhsa_group_segment_fixed_size 0
		.amdhsa_private_segment_fixed_size 0
		.amdhsa_kernarg_size 120
		.amdhsa_user_sgpr_count 2
		.amdhsa_user_sgpr_dispatch_ptr 0
		.amdhsa_user_sgpr_queue_ptr 0
		.amdhsa_user_sgpr_kernarg_segment_ptr 1
		.amdhsa_user_sgpr_dispatch_id 0
		.amdhsa_user_sgpr_kernarg_preload_length 0
		.amdhsa_user_sgpr_kernarg_preload_offset 0
		.amdhsa_user_sgpr_private_segment_size 0
		.amdhsa_wavefront_size32 1
		.amdhsa_uses_dynamic_stack 0
		.amdhsa_enable_private_segment 0
		.amdhsa_system_sgpr_workgroup_id_x 1
		.amdhsa_system_sgpr_workgroup_id_y 0
		.amdhsa_system_sgpr_workgroup_id_z 0
		.amdhsa_system_sgpr_workgroup_info 0
		.amdhsa_system_vgpr_workitem_id 0
		.amdhsa_next_free_vgpr 1
		.amdhsa_next_free_sgpr 1
		.amdhsa_named_barrier_count 0
		.amdhsa_reserve_vcc 0
		.amdhsa_float_round_mode_32 0
		.amdhsa_float_round_mode_16_64 0
		.amdhsa_float_denorm_mode_32 3
		.amdhsa_float_denorm_mode_16_64 3
		.amdhsa_fp16_overflow 0
		.amdhsa_memory_ordered 1
		.amdhsa_forward_progress 1
		.amdhsa_inst_pref_size 0
		.amdhsa_round_robin_scheduling 0
		.amdhsa_exception_fp_ieee_invalid_op 0
		.amdhsa_exception_fp_denorm_src 0
		.amdhsa_exception_fp_ieee_div_zero 0
		.amdhsa_exception_fp_ieee_overflow 0
		.amdhsa_exception_fp_ieee_underflow 0
		.amdhsa_exception_fp_ieee_inexact 0
		.amdhsa_exception_int_div_zero 0
	.end_amdhsa_kernel
	.section	.text._ZN7rocprim17ROCPRIM_400000_NS6detail17trampoline_kernelINS0_14default_configENS1_25partition_config_selectorILNS1_17partition_subalgoE9EllbEEZZNS1_14partition_implILS5_9ELb0ES3_jPlS8_PNS0_10empty_typeENS0_5tupleIJS8_S9_EEENSB_IJS8_SA_EEENS0_18inequality_wrapperIZN2at6native12_GLOBAL__N_124unique_dim_cuda_templateItEESt5tupleIJNSF_6TensorESK_SK_EERKSK_lbbbEUlllE0_EEPmJS9_EEE10hipError_tPvRmT3_T4_T5_T6_T7_T9_mT8_P12ihipStream_tbDpT10_ENKUlT_T0_E_clISt17integral_constantIbLb0EES1A_EEDaS15_S16_EUlS15_E_NS1_11comp_targetILNS1_3genE9ELNS1_11target_archE1100ELNS1_3gpuE3ELNS1_3repE0EEENS1_30default_config_static_selectorELNS0_4arch9wavefront6targetE0EEEvT1_,"axG",@progbits,_ZN7rocprim17ROCPRIM_400000_NS6detail17trampoline_kernelINS0_14default_configENS1_25partition_config_selectorILNS1_17partition_subalgoE9EllbEEZZNS1_14partition_implILS5_9ELb0ES3_jPlS8_PNS0_10empty_typeENS0_5tupleIJS8_S9_EEENSB_IJS8_SA_EEENS0_18inequality_wrapperIZN2at6native12_GLOBAL__N_124unique_dim_cuda_templateItEESt5tupleIJNSF_6TensorESK_SK_EERKSK_lbbbEUlllE0_EEPmJS9_EEE10hipError_tPvRmT3_T4_T5_T6_T7_T9_mT8_P12ihipStream_tbDpT10_ENKUlT_T0_E_clISt17integral_constantIbLb0EES1A_EEDaS15_S16_EUlS15_E_NS1_11comp_targetILNS1_3genE9ELNS1_11target_archE1100ELNS1_3gpuE3ELNS1_3repE0EEENS1_30default_config_static_selectorELNS0_4arch9wavefront6targetE0EEEvT1_,comdat
.Lfunc_end1457:
	.size	_ZN7rocprim17ROCPRIM_400000_NS6detail17trampoline_kernelINS0_14default_configENS1_25partition_config_selectorILNS1_17partition_subalgoE9EllbEEZZNS1_14partition_implILS5_9ELb0ES3_jPlS8_PNS0_10empty_typeENS0_5tupleIJS8_S9_EEENSB_IJS8_SA_EEENS0_18inequality_wrapperIZN2at6native12_GLOBAL__N_124unique_dim_cuda_templateItEESt5tupleIJNSF_6TensorESK_SK_EERKSK_lbbbEUlllE0_EEPmJS9_EEE10hipError_tPvRmT3_T4_T5_T6_T7_T9_mT8_P12ihipStream_tbDpT10_ENKUlT_T0_E_clISt17integral_constantIbLb0EES1A_EEDaS15_S16_EUlS15_E_NS1_11comp_targetILNS1_3genE9ELNS1_11target_archE1100ELNS1_3gpuE3ELNS1_3repE0EEENS1_30default_config_static_selectorELNS0_4arch9wavefront6targetE0EEEvT1_, .Lfunc_end1457-_ZN7rocprim17ROCPRIM_400000_NS6detail17trampoline_kernelINS0_14default_configENS1_25partition_config_selectorILNS1_17partition_subalgoE9EllbEEZZNS1_14partition_implILS5_9ELb0ES3_jPlS8_PNS0_10empty_typeENS0_5tupleIJS8_S9_EEENSB_IJS8_SA_EEENS0_18inequality_wrapperIZN2at6native12_GLOBAL__N_124unique_dim_cuda_templateItEESt5tupleIJNSF_6TensorESK_SK_EERKSK_lbbbEUlllE0_EEPmJS9_EEE10hipError_tPvRmT3_T4_T5_T6_T7_T9_mT8_P12ihipStream_tbDpT10_ENKUlT_T0_E_clISt17integral_constantIbLb0EES1A_EEDaS15_S16_EUlS15_E_NS1_11comp_targetILNS1_3genE9ELNS1_11target_archE1100ELNS1_3gpuE3ELNS1_3repE0EEENS1_30default_config_static_selectorELNS0_4arch9wavefront6targetE0EEEvT1_
                                        ; -- End function
	.set _ZN7rocprim17ROCPRIM_400000_NS6detail17trampoline_kernelINS0_14default_configENS1_25partition_config_selectorILNS1_17partition_subalgoE9EllbEEZZNS1_14partition_implILS5_9ELb0ES3_jPlS8_PNS0_10empty_typeENS0_5tupleIJS8_S9_EEENSB_IJS8_SA_EEENS0_18inequality_wrapperIZN2at6native12_GLOBAL__N_124unique_dim_cuda_templateItEESt5tupleIJNSF_6TensorESK_SK_EERKSK_lbbbEUlllE0_EEPmJS9_EEE10hipError_tPvRmT3_T4_T5_T6_T7_T9_mT8_P12ihipStream_tbDpT10_ENKUlT_T0_E_clISt17integral_constantIbLb0EES1A_EEDaS15_S16_EUlS15_E_NS1_11comp_targetILNS1_3genE9ELNS1_11target_archE1100ELNS1_3gpuE3ELNS1_3repE0EEENS1_30default_config_static_selectorELNS0_4arch9wavefront6targetE0EEEvT1_.num_vgpr, 0
	.set _ZN7rocprim17ROCPRIM_400000_NS6detail17trampoline_kernelINS0_14default_configENS1_25partition_config_selectorILNS1_17partition_subalgoE9EllbEEZZNS1_14partition_implILS5_9ELb0ES3_jPlS8_PNS0_10empty_typeENS0_5tupleIJS8_S9_EEENSB_IJS8_SA_EEENS0_18inequality_wrapperIZN2at6native12_GLOBAL__N_124unique_dim_cuda_templateItEESt5tupleIJNSF_6TensorESK_SK_EERKSK_lbbbEUlllE0_EEPmJS9_EEE10hipError_tPvRmT3_T4_T5_T6_T7_T9_mT8_P12ihipStream_tbDpT10_ENKUlT_T0_E_clISt17integral_constantIbLb0EES1A_EEDaS15_S16_EUlS15_E_NS1_11comp_targetILNS1_3genE9ELNS1_11target_archE1100ELNS1_3gpuE3ELNS1_3repE0EEENS1_30default_config_static_selectorELNS0_4arch9wavefront6targetE0EEEvT1_.num_agpr, 0
	.set _ZN7rocprim17ROCPRIM_400000_NS6detail17trampoline_kernelINS0_14default_configENS1_25partition_config_selectorILNS1_17partition_subalgoE9EllbEEZZNS1_14partition_implILS5_9ELb0ES3_jPlS8_PNS0_10empty_typeENS0_5tupleIJS8_S9_EEENSB_IJS8_SA_EEENS0_18inequality_wrapperIZN2at6native12_GLOBAL__N_124unique_dim_cuda_templateItEESt5tupleIJNSF_6TensorESK_SK_EERKSK_lbbbEUlllE0_EEPmJS9_EEE10hipError_tPvRmT3_T4_T5_T6_T7_T9_mT8_P12ihipStream_tbDpT10_ENKUlT_T0_E_clISt17integral_constantIbLb0EES1A_EEDaS15_S16_EUlS15_E_NS1_11comp_targetILNS1_3genE9ELNS1_11target_archE1100ELNS1_3gpuE3ELNS1_3repE0EEENS1_30default_config_static_selectorELNS0_4arch9wavefront6targetE0EEEvT1_.numbered_sgpr, 0
	.set _ZN7rocprim17ROCPRIM_400000_NS6detail17trampoline_kernelINS0_14default_configENS1_25partition_config_selectorILNS1_17partition_subalgoE9EllbEEZZNS1_14partition_implILS5_9ELb0ES3_jPlS8_PNS0_10empty_typeENS0_5tupleIJS8_S9_EEENSB_IJS8_SA_EEENS0_18inequality_wrapperIZN2at6native12_GLOBAL__N_124unique_dim_cuda_templateItEESt5tupleIJNSF_6TensorESK_SK_EERKSK_lbbbEUlllE0_EEPmJS9_EEE10hipError_tPvRmT3_T4_T5_T6_T7_T9_mT8_P12ihipStream_tbDpT10_ENKUlT_T0_E_clISt17integral_constantIbLb0EES1A_EEDaS15_S16_EUlS15_E_NS1_11comp_targetILNS1_3genE9ELNS1_11target_archE1100ELNS1_3gpuE3ELNS1_3repE0EEENS1_30default_config_static_selectorELNS0_4arch9wavefront6targetE0EEEvT1_.num_named_barrier, 0
	.set _ZN7rocprim17ROCPRIM_400000_NS6detail17trampoline_kernelINS0_14default_configENS1_25partition_config_selectorILNS1_17partition_subalgoE9EllbEEZZNS1_14partition_implILS5_9ELb0ES3_jPlS8_PNS0_10empty_typeENS0_5tupleIJS8_S9_EEENSB_IJS8_SA_EEENS0_18inequality_wrapperIZN2at6native12_GLOBAL__N_124unique_dim_cuda_templateItEESt5tupleIJNSF_6TensorESK_SK_EERKSK_lbbbEUlllE0_EEPmJS9_EEE10hipError_tPvRmT3_T4_T5_T6_T7_T9_mT8_P12ihipStream_tbDpT10_ENKUlT_T0_E_clISt17integral_constantIbLb0EES1A_EEDaS15_S16_EUlS15_E_NS1_11comp_targetILNS1_3genE9ELNS1_11target_archE1100ELNS1_3gpuE3ELNS1_3repE0EEENS1_30default_config_static_selectorELNS0_4arch9wavefront6targetE0EEEvT1_.private_seg_size, 0
	.set _ZN7rocprim17ROCPRIM_400000_NS6detail17trampoline_kernelINS0_14default_configENS1_25partition_config_selectorILNS1_17partition_subalgoE9EllbEEZZNS1_14partition_implILS5_9ELb0ES3_jPlS8_PNS0_10empty_typeENS0_5tupleIJS8_S9_EEENSB_IJS8_SA_EEENS0_18inequality_wrapperIZN2at6native12_GLOBAL__N_124unique_dim_cuda_templateItEESt5tupleIJNSF_6TensorESK_SK_EERKSK_lbbbEUlllE0_EEPmJS9_EEE10hipError_tPvRmT3_T4_T5_T6_T7_T9_mT8_P12ihipStream_tbDpT10_ENKUlT_T0_E_clISt17integral_constantIbLb0EES1A_EEDaS15_S16_EUlS15_E_NS1_11comp_targetILNS1_3genE9ELNS1_11target_archE1100ELNS1_3gpuE3ELNS1_3repE0EEENS1_30default_config_static_selectorELNS0_4arch9wavefront6targetE0EEEvT1_.uses_vcc, 0
	.set _ZN7rocprim17ROCPRIM_400000_NS6detail17trampoline_kernelINS0_14default_configENS1_25partition_config_selectorILNS1_17partition_subalgoE9EllbEEZZNS1_14partition_implILS5_9ELb0ES3_jPlS8_PNS0_10empty_typeENS0_5tupleIJS8_S9_EEENSB_IJS8_SA_EEENS0_18inequality_wrapperIZN2at6native12_GLOBAL__N_124unique_dim_cuda_templateItEESt5tupleIJNSF_6TensorESK_SK_EERKSK_lbbbEUlllE0_EEPmJS9_EEE10hipError_tPvRmT3_T4_T5_T6_T7_T9_mT8_P12ihipStream_tbDpT10_ENKUlT_T0_E_clISt17integral_constantIbLb0EES1A_EEDaS15_S16_EUlS15_E_NS1_11comp_targetILNS1_3genE9ELNS1_11target_archE1100ELNS1_3gpuE3ELNS1_3repE0EEENS1_30default_config_static_selectorELNS0_4arch9wavefront6targetE0EEEvT1_.uses_flat_scratch, 0
	.set _ZN7rocprim17ROCPRIM_400000_NS6detail17trampoline_kernelINS0_14default_configENS1_25partition_config_selectorILNS1_17partition_subalgoE9EllbEEZZNS1_14partition_implILS5_9ELb0ES3_jPlS8_PNS0_10empty_typeENS0_5tupleIJS8_S9_EEENSB_IJS8_SA_EEENS0_18inequality_wrapperIZN2at6native12_GLOBAL__N_124unique_dim_cuda_templateItEESt5tupleIJNSF_6TensorESK_SK_EERKSK_lbbbEUlllE0_EEPmJS9_EEE10hipError_tPvRmT3_T4_T5_T6_T7_T9_mT8_P12ihipStream_tbDpT10_ENKUlT_T0_E_clISt17integral_constantIbLb0EES1A_EEDaS15_S16_EUlS15_E_NS1_11comp_targetILNS1_3genE9ELNS1_11target_archE1100ELNS1_3gpuE3ELNS1_3repE0EEENS1_30default_config_static_selectorELNS0_4arch9wavefront6targetE0EEEvT1_.has_dyn_sized_stack, 0
	.set _ZN7rocprim17ROCPRIM_400000_NS6detail17trampoline_kernelINS0_14default_configENS1_25partition_config_selectorILNS1_17partition_subalgoE9EllbEEZZNS1_14partition_implILS5_9ELb0ES3_jPlS8_PNS0_10empty_typeENS0_5tupleIJS8_S9_EEENSB_IJS8_SA_EEENS0_18inequality_wrapperIZN2at6native12_GLOBAL__N_124unique_dim_cuda_templateItEESt5tupleIJNSF_6TensorESK_SK_EERKSK_lbbbEUlllE0_EEPmJS9_EEE10hipError_tPvRmT3_T4_T5_T6_T7_T9_mT8_P12ihipStream_tbDpT10_ENKUlT_T0_E_clISt17integral_constantIbLb0EES1A_EEDaS15_S16_EUlS15_E_NS1_11comp_targetILNS1_3genE9ELNS1_11target_archE1100ELNS1_3gpuE3ELNS1_3repE0EEENS1_30default_config_static_selectorELNS0_4arch9wavefront6targetE0EEEvT1_.has_recursion, 0
	.set _ZN7rocprim17ROCPRIM_400000_NS6detail17trampoline_kernelINS0_14default_configENS1_25partition_config_selectorILNS1_17partition_subalgoE9EllbEEZZNS1_14partition_implILS5_9ELb0ES3_jPlS8_PNS0_10empty_typeENS0_5tupleIJS8_S9_EEENSB_IJS8_SA_EEENS0_18inequality_wrapperIZN2at6native12_GLOBAL__N_124unique_dim_cuda_templateItEESt5tupleIJNSF_6TensorESK_SK_EERKSK_lbbbEUlllE0_EEPmJS9_EEE10hipError_tPvRmT3_T4_T5_T6_T7_T9_mT8_P12ihipStream_tbDpT10_ENKUlT_T0_E_clISt17integral_constantIbLb0EES1A_EEDaS15_S16_EUlS15_E_NS1_11comp_targetILNS1_3genE9ELNS1_11target_archE1100ELNS1_3gpuE3ELNS1_3repE0EEENS1_30default_config_static_selectorELNS0_4arch9wavefront6targetE0EEEvT1_.has_indirect_call, 0
	.section	.AMDGPU.csdata,"",@progbits
; Kernel info:
; codeLenInByte = 0
; TotalNumSgprs: 0
; NumVgprs: 0
; ScratchSize: 0
; MemoryBound: 0
; FloatMode: 240
; IeeeMode: 1
; LDSByteSize: 0 bytes/workgroup (compile time only)
; SGPRBlocks: 0
; VGPRBlocks: 0
; NumSGPRsForWavesPerEU: 1
; NumVGPRsForWavesPerEU: 1
; NamedBarCnt: 0
; Occupancy: 16
; WaveLimiterHint : 0
; COMPUTE_PGM_RSRC2:SCRATCH_EN: 0
; COMPUTE_PGM_RSRC2:USER_SGPR: 2
; COMPUTE_PGM_RSRC2:TRAP_HANDLER: 0
; COMPUTE_PGM_RSRC2:TGID_X_EN: 1
; COMPUTE_PGM_RSRC2:TGID_Y_EN: 0
; COMPUTE_PGM_RSRC2:TGID_Z_EN: 0
; COMPUTE_PGM_RSRC2:TIDIG_COMP_CNT: 0
	.section	.text._ZN7rocprim17ROCPRIM_400000_NS6detail17trampoline_kernelINS0_14default_configENS1_25partition_config_selectorILNS1_17partition_subalgoE9EllbEEZZNS1_14partition_implILS5_9ELb0ES3_jPlS8_PNS0_10empty_typeENS0_5tupleIJS8_S9_EEENSB_IJS8_SA_EEENS0_18inequality_wrapperIZN2at6native12_GLOBAL__N_124unique_dim_cuda_templateItEESt5tupleIJNSF_6TensorESK_SK_EERKSK_lbbbEUlllE0_EEPmJS9_EEE10hipError_tPvRmT3_T4_T5_T6_T7_T9_mT8_P12ihipStream_tbDpT10_ENKUlT_T0_E_clISt17integral_constantIbLb0EES1A_EEDaS15_S16_EUlS15_E_NS1_11comp_targetILNS1_3genE8ELNS1_11target_archE1030ELNS1_3gpuE2ELNS1_3repE0EEENS1_30default_config_static_selectorELNS0_4arch9wavefront6targetE0EEEvT1_,"axG",@progbits,_ZN7rocprim17ROCPRIM_400000_NS6detail17trampoline_kernelINS0_14default_configENS1_25partition_config_selectorILNS1_17partition_subalgoE9EllbEEZZNS1_14partition_implILS5_9ELb0ES3_jPlS8_PNS0_10empty_typeENS0_5tupleIJS8_S9_EEENSB_IJS8_SA_EEENS0_18inequality_wrapperIZN2at6native12_GLOBAL__N_124unique_dim_cuda_templateItEESt5tupleIJNSF_6TensorESK_SK_EERKSK_lbbbEUlllE0_EEPmJS9_EEE10hipError_tPvRmT3_T4_T5_T6_T7_T9_mT8_P12ihipStream_tbDpT10_ENKUlT_T0_E_clISt17integral_constantIbLb0EES1A_EEDaS15_S16_EUlS15_E_NS1_11comp_targetILNS1_3genE8ELNS1_11target_archE1030ELNS1_3gpuE2ELNS1_3repE0EEENS1_30default_config_static_selectorELNS0_4arch9wavefront6targetE0EEEvT1_,comdat
	.globl	_ZN7rocprim17ROCPRIM_400000_NS6detail17trampoline_kernelINS0_14default_configENS1_25partition_config_selectorILNS1_17partition_subalgoE9EllbEEZZNS1_14partition_implILS5_9ELb0ES3_jPlS8_PNS0_10empty_typeENS0_5tupleIJS8_S9_EEENSB_IJS8_SA_EEENS0_18inequality_wrapperIZN2at6native12_GLOBAL__N_124unique_dim_cuda_templateItEESt5tupleIJNSF_6TensorESK_SK_EERKSK_lbbbEUlllE0_EEPmJS9_EEE10hipError_tPvRmT3_T4_T5_T6_T7_T9_mT8_P12ihipStream_tbDpT10_ENKUlT_T0_E_clISt17integral_constantIbLb0EES1A_EEDaS15_S16_EUlS15_E_NS1_11comp_targetILNS1_3genE8ELNS1_11target_archE1030ELNS1_3gpuE2ELNS1_3repE0EEENS1_30default_config_static_selectorELNS0_4arch9wavefront6targetE0EEEvT1_ ; -- Begin function _ZN7rocprim17ROCPRIM_400000_NS6detail17trampoline_kernelINS0_14default_configENS1_25partition_config_selectorILNS1_17partition_subalgoE9EllbEEZZNS1_14partition_implILS5_9ELb0ES3_jPlS8_PNS0_10empty_typeENS0_5tupleIJS8_S9_EEENSB_IJS8_SA_EEENS0_18inequality_wrapperIZN2at6native12_GLOBAL__N_124unique_dim_cuda_templateItEESt5tupleIJNSF_6TensorESK_SK_EERKSK_lbbbEUlllE0_EEPmJS9_EEE10hipError_tPvRmT3_T4_T5_T6_T7_T9_mT8_P12ihipStream_tbDpT10_ENKUlT_T0_E_clISt17integral_constantIbLb0EES1A_EEDaS15_S16_EUlS15_E_NS1_11comp_targetILNS1_3genE8ELNS1_11target_archE1030ELNS1_3gpuE2ELNS1_3repE0EEENS1_30default_config_static_selectorELNS0_4arch9wavefront6targetE0EEEvT1_
	.p2align	8
	.type	_ZN7rocprim17ROCPRIM_400000_NS6detail17trampoline_kernelINS0_14default_configENS1_25partition_config_selectorILNS1_17partition_subalgoE9EllbEEZZNS1_14partition_implILS5_9ELb0ES3_jPlS8_PNS0_10empty_typeENS0_5tupleIJS8_S9_EEENSB_IJS8_SA_EEENS0_18inequality_wrapperIZN2at6native12_GLOBAL__N_124unique_dim_cuda_templateItEESt5tupleIJNSF_6TensorESK_SK_EERKSK_lbbbEUlllE0_EEPmJS9_EEE10hipError_tPvRmT3_T4_T5_T6_T7_T9_mT8_P12ihipStream_tbDpT10_ENKUlT_T0_E_clISt17integral_constantIbLb0EES1A_EEDaS15_S16_EUlS15_E_NS1_11comp_targetILNS1_3genE8ELNS1_11target_archE1030ELNS1_3gpuE2ELNS1_3repE0EEENS1_30default_config_static_selectorELNS0_4arch9wavefront6targetE0EEEvT1_,@function
_ZN7rocprim17ROCPRIM_400000_NS6detail17trampoline_kernelINS0_14default_configENS1_25partition_config_selectorILNS1_17partition_subalgoE9EllbEEZZNS1_14partition_implILS5_9ELb0ES3_jPlS8_PNS0_10empty_typeENS0_5tupleIJS8_S9_EEENSB_IJS8_SA_EEENS0_18inequality_wrapperIZN2at6native12_GLOBAL__N_124unique_dim_cuda_templateItEESt5tupleIJNSF_6TensorESK_SK_EERKSK_lbbbEUlllE0_EEPmJS9_EEE10hipError_tPvRmT3_T4_T5_T6_T7_T9_mT8_P12ihipStream_tbDpT10_ENKUlT_T0_E_clISt17integral_constantIbLb0EES1A_EEDaS15_S16_EUlS15_E_NS1_11comp_targetILNS1_3genE8ELNS1_11target_archE1030ELNS1_3gpuE2ELNS1_3repE0EEENS1_30default_config_static_selectorELNS0_4arch9wavefront6targetE0EEEvT1_: ; @_ZN7rocprim17ROCPRIM_400000_NS6detail17trampoline_kernelINS0_14default_configENS1_25partition_config_selectorILNS1_17partition_subalgoE9EllbEEZZNS1_14partition_implILS5_9ELb0ES3_jPlS8_PNS0_10empty_typeENS0_5tupleIJS8_S9_EEENSB_IJS8_SA_EEENS0_18inequality_wrapperIZN2at6native12_GLOBAL__N_124unique_dim_cuda_templateItEESt5tupleIJNSF_6TensorESK_SK_EERKSK_lbbbEUlllE0_EEPmJS9_EEE10hipError_tPvRmT3_T4_T5_T6_T7_T9_mT8_P12ihipStream_tbDpT10_ENKUlT_T0_E_clISt17integral_constantIbLb0EES1A_EEDaS15_S16_EUlS15_E_NS1_11comp_targetILNS1_3genE8ELNS1_11target_archE1030ELNS1_3gpuE2ELNS1_3repE0EEENS1_30default_config_static_selectorELNS0_4arch9wavefront6targetE0EEEvT1_
; %bb.0:
	.section	.rodata,"a",@progbits
	.p2align	6, 0x0
	.amdhsa_kernel _ZN7rocprim17ROCPRIM_400000_NS6detail17trampoline_kernelINS0_14default_configENS1_25partition_config_selectorILNS1_17partition_subalgoE9EllbEEZZNS1_14partition_implILS5_9ELb0ES3_jPlS8_PNS0_10empty_typeENS0_5tupleIJS8_S9_EEENSB_IJS8_SA_EEENS0_18inequality_wrapperIZN2at6native12_GLOBAL__N_124unique_dim_cuda_templateItEESt5tupleIJNSF_6TensorESK_SK_EERKSK_lbbbEUlllE0_EEPmJS9_EEE10hipError_tPvRmT3_T4_T5_T6_T7_T9_mT8_P12ihipStream_tbDpT10_ENKUlT_T0_E_clISt17integral_constantIbLb0EES1A_EEDaS15_S16_EUlS15_E_NS1_11comp_targetILNS1_3genE8ELNS1_11target_archE1030ELNS1_3gpuE2ELNS1_3repE0EEENS1_30default_config_static_selectorELNS0_4arch9wavefront6targetE0EEEvT1_
		.amdhsa_group_segment_fixed_size 0
		.amdhsa_private_segment_fixed_size 0
		.amdhsa_kernarg_size 120
		.amdhsa_user_sgpr_count 2
		.amdhsa_user_sgpr_dispatch_ptr 0
		.amdhsa_user_sgpr_queue_ptr 0
		.amdhsa_user_sgpr_kernarg_segment_ptr 1
		.amdhsa_user_sgpr_dispatch_id 0
		.amdhsa_user_sgpr_kernarg_preload_length 0
		.amdhsa_user_sgpr_kernarg_preload_offset 0
		.amdhsa_user_sgpr_private_segment_size 0
		.amdhsa_wavefront_size32 1
		.amdhsa_uses_dynamic_stack 0
		.amdhsa_enable_private_segment 0
		.amdhsa_system_sgpr_workgroup_id_x 1
		.amdhsa_system_sgpr_workgroup_id_y 0
		.amdhsa_system_sgpr_workgroup_id_z 0
		.amdhsa_system_sgpr_workgroup_info 0
		.amdhsa_system_vgpr_workitem_id 0
		.amdhsa_next_free_vgpr 1
		.amdhsa_next_free_sgpr 1
		.amdhsa_named_barrier_count 0
		.amdhsa_reserve_vcc 0
		.amdhsa_float_round_mode_32 0
		.amdhsa_float_round_mode_16_64 0
		.amdhsa_float_denorm_mode_32 3
		.amdhsa_float_denorm_mode_16_64 3
		.amdhsa_fp16_overflow 0
		.amdhsa_memory_ordered 1
		.amdhsa_forward_progress 1
		.amdhsa_inst_pref_size 0
		.amdhsa_round_robin_scheduling 0
		.amdhsa_exception_fp_ieee_invalid_op 0
		.amdhsa_exception_fp_denorm_src 0
		.amdhsa_exception_fp_ieee_div_zero 0
		.amdhsa_exception_fp_ieee_overflow 0
		.amdhsa_exception_fp_ieee_underflow 0
		.amdhsa_exception_fp_ieee_inexact 0
		.amdhsa_exception_int_div_zero 0
	.end_amdhsa_kernel
	.section	.text._ZN7rocprim17ROCPRIM_400000_NS6detail17trampoline_kernelINS0_14default_configENS1_25partition_config_selectorILNS1_17partition_subalgoE9EllbEEZZNS1_14partition_implILS5_9ELb0ES3_jPlS8_PNS0_10empty_typeENS0_5tupleIJS8_S9_EEENSB_IJS8_SA_EEENS0_18inequality_wrapperIZN2at6native12_GLOBAL__N_124unique_dim_cuda_templateItEESt5tupleIJNSF_6TensorESK_SK_EERKSK_lbbbEUlllE0_EEPmJS9_EEE10hipError_tPvRmT3_T4_T5_T6_T7_T9_mT8_P12ihipStream_tbDpT10_ENKUlT_T0_E_clISt17integral_constantIbLb0EES1A_EEDaS15_S16_EUlS15_E_NS1_11comp_targetILNS1_3genE8ELNS1_11target_archE1030ELNS1_3gpuE2ELNS1_3repE0EEENS1_30default_config_static_selectorELNS0_4arch9wavefront6targetE0EEEvT1_,"axG",@progbits,_ZN7rocprim17ROCPRIM_400000_NS6detail17trampoline_kernelINS0_14default_configENS1_25partition_config_selectorILNS1_17partition_subalgoE9EllbEEZZNS1_14partition_implILS5_9ELb0ES3_jPlS8_PNS0_10empty_typeENS0_5tupleIJS8_S9_EEENSB_IJS8_SA_EEENS0_18inequality_wrapperIZN2at6native12_GLOBAL__N_124unique_dim_cuda_templateItEESt5tupleIJNSF_6TensorESK_SK_EERKSK_lbbbEUlllE0_EEPmJS9_EEE10hipError_tPvRmT3_T4_T5_T6_T7_T9_mT8_P12ihipStream_tbDpT10_ENKUlT_T0_E_clISt17integral_constantIbLb0EES1A_EEDaS15_S16_EUlS15_E_NS1_11comp_targetILNS1_3genE8ELNS1_11target_archE1030ELNS1_3gpuE2ELNS1_3repE0EEENS1_30default_config_static_selectorELNS0_4arch9wavefront6targetE0EEEvT1_,comdat
.Lfunc_end1458:
	.size	_ZN7rocprim17ROCPRIM_400000_NS6detail17trampoline_kernelINS0_14default_configENS1_25partition_config_selectorILNS1_17partition_subalgoE9EllbEEZZNS1_14partition_implILS5_9ELb0ES3_jPlS8_PNS0_10empty_typeENS0_5tupleIJS8_S9_EEENSB_IJS8_SA_EEENS0_18inequality_wrapperIZN2at6native12_GLOBAL__N_124unique_dim_cuda_templateItEESt5tupleIJNSF_6TensorESK_SK_EERKSK_lbbbEUlllE0_EEPmJS9_EEE10hipError_tPvRmT3_T4_T5_T6_T7_T9_mT8_P12ihipStream_tbDpT10_ENKUlT_T0_E_clISt17integral_constantIbLb0EES1A_EEDaS15_S16_EUlS15_E_NS1_11comp_targetILNS1_3genE8ELNS1_11target_archE1030ELNS1_3gpuE2ELNS1_3repE0EEENS1_30default_config_static_selectorELNS0_4arch9wavefront6targetE0EEEvT1_, .Lfunc_end1458-_ZN7rocprim17ROCPRIM_400000_NS6detail17trampoline_kernelINS0_14default_configENS1_25partition_config_selectorILNS1_17partition_subalgoE9EllbEEZZNS1_14partition_implILS5_9ELb0ES3_jPlS8_PNS0_10empty_typeENS0_5tupleIJS8_S9_EEENSB_IJS8_SA_EEENS0_18inequality_wrapperIZN2at6native12_GLOBAL__N_124unique_dim_cuda_templateItEESt5tupleIJNSF_6TensorESK_SK_EERKSK_lbbbEUlllE0_EEPmJS9_EEE10hipError_tPvRmT3_T4_T5_T6_T7_T9_mT8_P12ihipStream_tbDpT10_ENKUlT_T0_E_clISt17integral_constantIbLb0EES1A_EEDaS15_S16_EUlS15_E_NS1_11comp_targetILNS1_3genE8ELNS1_11target_archE1030ELNS1_3gpuE2ELNS1_3repE0EEENS1_30default_config_static_selectorELNS0_4arch9wavefront6targetE0EEEvT1_
                                        ; -- End function
	.set _ZN7rocprim17ROCPRIM_400000_NS6detail17trampoline_kernelINS0_14default_configENS1_25partition_config_selectorILNS1_17partition_subalgoE9EllbEEZZNS1_14partition_implILS5_9ELb0ES3_jPlS8_PNS0_10empty_typeENS0_5tupleIJS8_S9_EEENSB_IJS8_SA_EEENS0_18inequality_wrapperIZN2at6native12_GLOBAL__N_124unique_dim_cuda_templateItEESt5tupleIJNSF_6TensorESK_SK_EERKSK_lbbbEUlllE0_EEPmJS9_EEE10hipError_tPvRmT3_T4_T5_T6_T7_T9_mT8_P12ihipStream_tbDpT10_ENKUlT_T0_E_clISt17integral_constantIbLb0EES1A_EEDaS15_S16_EUlS15_E_NS1_11comp_targetILNS1_3genE8ELNS1_11target_archE1030ELNS1_3gpuE2ELNS1_3repE0EEENS1_30default_config_static_selectorELNS0_4arch9wavefront6targetE0EEEvT1_.num_vgpr, 0
	.set _ZN7rocprim17ROCPRIM_400000_NS6detail17trampoline_kernelINS0_14default_configENS1_25partition_config_selectorILNS1_17partition_subalgoE9EllbEEZZNS1_14partition_implILS5_9ELb0ES3_jPlS8_PNS0_10empty_typeENS0_5tupleIJS8_S9_EEENSB_IJS8_SA_EEENS0_18inequality_wrapperIZN2at6native12_GLOBAL__N_124unique_dim_cuda_templateItEESt5tupleIJNSF_6TensorESK_SK_EERKSK_lbbbEUlllE0_EEPmJS9_EEE10hipError_tPvRmT3_T4_T5_T6_T7_T9_mT8_P12ihipStream_tbDpT10_ENKUlT_T0_E_clISt17integral_constantIbLb0EES1A_EEDaS15_S16_EUlS15_E_NS1_11comp_targetILNS1_3genE8ELNS1_11target_archE1030ELNS1_3gpuE2ELNS1_3repE0EEENS1_30default_config_static_selectorELNS0_4arch9wavefront6targetE0EEEvT1_.num_agpr, 0
	.set _ZN7rocprim17ROCPRIM_400000_NS6detail17trampoline_kernelINS0_14default_configENS1_25partition_config_selectorILNS1_17partition_subalgoE9EllbEEZZNS1_14partition_implILS5_9ELb0ES3_jPlS8_PNS0_10empty_typeENS0_5tupleIJS8_S9_EEENSB_IJS8_SA_EEENS0_18inequality_wrapperIZN2at6native12_GLOBAL__N_124unique_dim_cuda_templateItEESt5tupleIJNSF_6TensorESK_SK_EERKSK_lbbbEUlllE0_EEPmJS9_EEE10hipError_tPvRmT3_T4_T5_T6_T7_T9_mT8_P12ihipStream_tbDpT10_ENKUlT_T0_E_clISt17integral_constantIbLb0EES1A_EEDaS15_S16_EUlS15_E_NS1_11comp_targetILNS1_3genE8ELNS1_11target_archE1030ELNS1_3gpuE2ELNS1_3repE0EEENS1_30default_config_static_selectorELNS0_4arch9wavefront6targetE0EEEvT1_.numbered_sgpr, 0
	.set _ZN7rocprim17ROCPRIM_400000_NS6detail17trampoline_kernelINS0_14default_configENS1_25partition_config_selectorILNS1_17partition_subalgoE9EllbEEZZNS1_14partition_implILS5_9ELb0ES3_jPlS8_PNS0_10empty_typeENS0_5tupleIJS8_S9_EEENSB_IJS8_SA_EEENS0_18inequality_wrapperIZN2at6native12_GLOBAL__N_124unique_dim_cuda_templateItEESt5tupleIJNSF_6TensorESK_SK_EERKSK_lbbbEUlllE0_EEPmJS9_EEE10hipError_tPvRmT3_T4_T5_T6_T7_T9_mT8_P12ihipStream_tbDpT10_ENKUlT_T0_E_clISt17integral_constantIbLb0EES1A_EEDaS15_S16_EUlS15_E_NS1_11comp_targetILNS1_3genE8ELNS1_11target_archE1030ELNS1_3gpuE2ELNS1_3repE0EEENS1_30default_config_static_selectorELNS0_4arch9wavefront6targetE0EEEvT1_.num_named_barrier, 0
	.set _ZN7rocprim17ROCPRIM_400000_NS6detail17trampoline_kernelINS0_14default_configENS1_25partition_config_selectorILNS1_17partition_subalgoE9EllbEEZZNS1_14partition_implILS5_9ELb0ES3_jPlS8_PNS0_10empty_typeENS0_5tupleIJS8_S9_EEENSB_IJS8_SA_EEENS0_18inequality_wrapperIZN2at6native12_GLOBAL__N_124unique_dim_cuda_templateItEESt5tupleIJNSF_6TensorESK_SK_EERKSK_lbbbEUlllE0_EEPmJS9_EEE10hipError_tPvRmT3_T4_T5_T6_T7_T9_mT8_P12ihipStream_tbDpT10_ENKUlT_T0_E_clISt17integral_constantIbLb0EES1A_EEDaS15_S16_EUlS15_E_NS1_11comp_targetILNS1_3genE8ELNS1_11target_archE1030ELNS1_3gpuE2ELNS1_3repE0EEENS1_30default_config_static_selectorELNS0_4arch9wavefront6targetE0EEEvT1_.private_seg_size, 0
	.set _ZN7rocprim17ROCPRIM_400000_NS6detail17trampoline_kernelINS0_14default_configENS1_25partition_config_selectorILNS1_17partition_subalgoE9EllbEEZZNS1_14partition_implILS5_9ELb0ES3_jPlS8_PNS0_10empty_typeENS0_5tupleIJS8_S9_EEENSB_IJS8_SA_EEENS0_18inequality_wrapperIZN2at6native12_GLOBAL__N_124unique_dim_cuda_templateItEESt5tupleIJNSF_6TensorESK_SK_EERKSK_lbbbEUlllE0_EEPmJS9_EEE10hipError_tPvRmT3_T4_T5_T6_T7_T9_mT8_P12ihipStream_tbDpT10_ENKUlT_T0_E_clISt17integral_constantIbLb0EES1A_EEDaS15_S16_EUlS15_E_NS1_11comp_targetILNS1_3genE8ELNS1_11target_archE1030ELNS1_3gpuE2ELNS1_3repE0EEENS1_30default_config_static_selectorELNS0_4arch9wavefront6targetE0EEEvT1_.uses_vcc, 0
	.set _ZN7rocprim17ROCPRIM_400000_NS6detail17trampoline_kernelINS0_14default_configENS1_25partition_config_selectorILNS1_17partition_subalgoE9EllbEEZZNS1_14partition_implILS5_9ELb0ES3_jPlS8_PNS0_10empty_typeENS0_5tupleIJS8_S9_EEENSB_IJS8_SA_EEENS0_18inequality_wrapperIZN2at6native12_GLOBAL__N_124unique_dim_cuda_templateItEESt5tupleIJNSF_6TensorESK_SK_EERKSK_lbbbEUlllE0_EEPmJS9_EEE10hipError_tPvRmT3_T4_T5_T6_T7_T9_mT8_P12ihipStream_tbDpT10_ENKUlT_T0_E_clISt17integral_constantIbLb0EES1A_EEDaS15_S16_EUlS15_E_NS1_11comp_targetILNS1_3genE8ELNS1_11target_archE1030ELNS1_3gpuE2ELNS1_3repE0EEENS1_30default_config_static_selectorELNS0_4arch9wavefront6targetE0EEEvT1_.uses_flat_scratch, 0
	.set _ZN7rocprim17ROCPRIM_400000_NS6detail17trampoline_kernelINS0_14default_configENS1_25partition_config_selectorILNS1_17partition_subalgoE9EllbEEZZNS1_14partition_implILS5_9ELb0ES3_jPlS8_PNS0_10empty_typeENS0_5tupleIJS8_S9_EEENSB_IJS8_SA_EEENS0_18inequality_wrapperIZN2at6native12_GLOBAL__N_124unique_dim_cuda_templateItEESt5tupleIJNSF_6TensorESK_SK_EERKSK_lbbbEUlllE0_EEPmJS9_EEE10hipError_tPvRmT3_T4_T5_T6_T7_T9_mT8_P12ihipStream_tbDpT10_ENKUlT_T0_E_clISt17integral_constantIbLb0EES1A_EEDaS15_S16_EUlS15_E_NS1_11comp_targetILNS1_3genE8ELNS1_11target_archE1030ELNS1_3gpuE2ELNS1_3repE0EEENS1_30default_config_static_selectorELNS0_4arch9wavefront6targetE0EEEvT1_.has_dyn_sized_stack, 0
	.set _ZN7rocprim17ROCPRIM_400000_NS6detail17trampoline_kernelINS0_14default_configENS1_25partition_config_selectorILNS1_17partition_subalgoE9EllbEEZZNS1_14partition_implILS5_9ELb0ES3_jPlS8_PNS0_10empty_typeENS0_5tupleIJS8_S9_EEENSB_IJS8_SA_EEENS0_18inequality_wrapperIZN2at6native12_GLOBAL__N_124unique_dim_cuda_templateItEESt5tupleIJNSF_6TensorESK_SK_EERKSK_lbbbEUlllE0_EEPmJS9_EEE10hipError_tPvRmT3_T4_T5_T6_T7_T9_mT8_P12ihipStream_tbDpT10_ENKUlT_T0_E_clISt17integral_constantIbLb0EES1A_EEDaS15_S16_EUlS15_E_NS1_11comp_targetILNS1_3genE8ELNS1_11target_archE1030ELNS1_3gpuE2ELNS1_3repE0EEENS1_30default_config_static_selectorELNS0_4arch9wavefront6targetE0EEEvT1_.has_recursion, 0
	.set _ZN7rocprim17ROCPRIM_400000_NS6detail17trampoline_kernelINS0_14default_configENS1_25partition_config_selectorILNS1_17partition_subalgoE9EllbEEZZNS1_14partition_implILS5_9ELb0ES3_jPlS8_PNS0_10empty_typeENS0_5tupleIJS8_S9_EEENSB_IJS8_SA_EEENS0_18inequality_wrapperIZN2at6native12_GLOBAL__N_124unique_dim_cuda_templateItEESt5tupleIJNSF_6TensorESK_SK_EERKSK_lbbbEUlllE0_EEPmJS9_EEE10hipError_tPvRmT3_T4_T5_T6_T7_T9_mT8_P12ihipStream_tbDpT10_ENKUlT_T0_E_clISt17integral_constantIbLb0EES1A_EEDaS15_S16_EUlS15_E_NS1_11comp_targetILNS1_3genE8ELNS1_11target_archE1030ELNS1_3gpuE2ELNS1_3repE0EEENS1_30default_config_static_selectorELNS0_4arch9wavefront6targetE0EEEvT1_.has_indirect_call, 0
	.section	.AMDGPU.csdata,"",@progbits
; Kernel info:
; codeLenInByte = 0
; TotalNumSgprs: 0
; NumVgprs: 0
; ScratchSize: 0
; MemoryBound: 0
; FloatMode: 240
; IeeeMode: 1
; LDSByteSize: 0 bytes/workgroup (compile time only)
; SGPRBlocks: 0
; VGPRBlocks: 0
; NumSGPRsForWavesPerEU: 1
; NumVGPRsForWavesPerEU: 1
; NamedBarCnt: 0
; Occupancy: 16
; WaveLimiterHint : 0
; COMPUTE_PGM_RSRC2:SCRATCH_EN: 0
; COMPUTE_PGM_RSRC2:USER_SGPR: 2
; COMPUTE_PGM_RSRC2:TRAP_HANDLER: 0
; COMPUTE_PGM_RSRC2:TGID_X_EN: 1
; COMPUTE_PGM_RSRC2:TGID_Y_EN: 0
; COMPUTE_PGM_RSRC2:TGID_Z_EN: 0
; COMPUTE_PGM_RSRC2:TIDIG_COMP_CNT: 0
	.section	.text._ZN7rocprim17ROCPRIM_400000_NS6detail17trampoline_kernelINS0_14default_configENS1_25partition_config_selectorILNS1_17partition_subalgoE9EllbEEZZNS1_14partition_implILS5_9ELb0ES3_jPlS8_PNS0_10empty_typeENS0_5tupleIJS8_S9_EEENSB_IJS8_SA_EEENS0_18inequality_wrapperIZN2at6native12_GLOBAL__N_124unique_dim_cuda_templateItEESt5tupleIJNSF_6TensorESK_SK_EERKSK_lbbbEUlllE0_EEPmJS9_EEE10hipError_tPvRmT3_T4_T5_T6_T7_T9_mT8_P12ihipStream_tbDpT10_ENKUlT_T0_E_clISt17integral_constantIbLb1EES1A_EEDaS15_S16_EUlS15_E_NS1_11comp_targetILNS1_3genE0ELNS1_11target_archE4294967295ELNS1_3gpuE0ELNS1_3repE0EEENS1_30default_config_static_selectorELNS0_4arch9wavefront6targetE0EEEvT1_,"axG",@progbits,_ZN7rocprim17ROCPRIM_400000_NS6detail17trampoline_kernelINS0_14default_configENS1_25partition_config_selectorILNS1_17partition_subalgoE9EllbEEZZNS1_14partition_implILS5_9ELb0ES3_jPlS8_PNS0_10empty_typeENS0_5tupleIJS8_S9_EEENSB_IJS8_SA_EEENS0_18inequality_wrapperIZN2at6native12_GLOBAL__N_124unique_dim_cuda_templateItEESt5tupleIJNSF_6TensorESK_SK_EERKSK_lbbbEUlllE0_EEPmJS9_EEE10hipError_tPvRmT3_T4_T5_T6_T7_T9_mT8_P12ihipStream_tbDpT10_ENKUlT_T0_E_clISt17integral_constantIbLb1EES1A_EEDaS15_S16_EUlS15_E_NS1_11comp_targetILNS1_3genE0ELNS1_11target_archE4294967295ELNS1_3gpuE0ELNS1_3repE0EEENS1_30default_config_static_selectorELNS0_4arch9wavefront6targetE0EEEvT1_,comdat
	.globl	_ZN7rocprim17ROCPRIM_400000_NS6detail17trampoline_kernelINS0_14default_configENS1_25partition_config_selectorILNS1_17partition_subalgoE9EllbEEZZNS1_14partition_implILS5_9ELb0ES3_jPlS8_PNS0_10empty_typeENS0_5tupleIJS8_S9_EEENSB_IJS8_SA_EEENS0_18inequality_wrapperIZN2at6native12_GLOBAL__N_124unique_dim_cuda_templateItEESt5tupleIJNSF_6TensorESK_SK_EERKSK_lbbbEUlllE0_EEPmJS9_EEE10hipError_tPvRmT3_T4_T5_T6_T7_T9_mT8_P12ihipStream_tbDpT10_ENKUlT_T0_E_clISt17integral_constantIbLb1EES1A_EEDaS15_S16_EUlS15_E_NS1_11comp_targetILNS1_3genE0ELNS1_11target_archE4294967295ELNS1_3gpuE0ELNS1_3repE0EEENS1_30default_config_static_selectorELNS0_4arch9wavefront6targetE0EEEvT1_ ; -- Begin function _ZN7rocprim17ROCPRIM_400000_NS6detail17trampoline_kernelINS0_14default_configENS1_25partition_config_selectorILNS1_17partition_subalgoE9EllbEEZZNS1_14partition_implILS5_9ELb0ES3_jPlS8_PNS0_10empty_typeENS0_5tupleIJS8_S9_EEENSB_IJS8_SA_EEENS0_18inequality_wrapperIZN2at6native12_GLOBAL__N_124unique_dim_cuda_templateItEESt5tupleIJNSF_6TensorESK_SK_EERKSK_lbbbEUlllE0_EEPmJS9_EEE10hipError_tPvRmT3_T4_T5_T6_T7_T9_mT8_P12ihipStream_tbDpT10_ENKUlT_T0_E_clISt17integral_constantIbLb1EES1A_EEDaS15_S16_EUlS15_E_NS1_11comp_targetILNS1_3genE0ELNS1_11target_archE4294967295ELNS1_3gpuE0ELNS1_3repE0EEENS1_30default_config_static_selectorELNS0_4arch9wavefront6targetE0EEEvT1_
	.p2align	8
	.type	_ZN7rocprim17ROCPRIM_400000_NS6detail17trampoline_kernelINS0_14default_configENS1_25partition_config_selectorILNS1_17partition_subalgoE9EllbEEZZNS1_14partition_implILS5_9ELb0ES3_jPlS8_PNS0_10empty_typeENS0_5tupleIJS8_S9_EEENSB_IJS8_SA_EEENS0_18inequality_wrapperIZN2at6native12_GLOBAL__N_124unique_dim_cuda_templateItEESt5tupleIJNSF_6TensorESK_SK_EERKSK_lbbbEUlllE0_EEPmJS9_EEE10hipError_tPvRmT3_T4_T5_T6_T7_T9_mT8_P12ihipStream_tbDpT10_ENKUlT_T0_E_clISt17integral_constantIbLb1EES1A_EEDaS15_S16_EUlS15_E_NS1_11comp_targetILNS1_3genE0ELNS1_11target_archE4294967295ELNS1_3gpuE0ELNS1_3repE0EEENS1_30default_config_static_selectorELNS0_4arch9wavefront6targetE0EEEvT1_,@function
_ZN7rocprim17ROCPRIM_400000_NS6detail17trampoline_kernelINS0_14default_configENS1_25partition_config_selectorILNS1_17partition_subalgoE9EllbEEZZNS1_14partition_implILS5_9ELb0ES3_jPlS8_PNS0_10empty_typeENS0_5tupleIJS8_S9_EEENSB_IJS8_SA_EEENS0_18inequality_wrapperIZN2at6native12_GLOBAL__N_124unique_dim_cuda_templateItEESt5tupleIJNSF_6TensorESK_SK_EERKSK_lbbbEUlllE0_EEPmJS9_EEE10hipError_tPvRmT3_T4_T5_T6_T7_T9_mT8_P12ihipStream_tbDpT10_ENKUlT_T0_E_clISt17integral_constantIbLb1EES1A_EEDaS15_S16_EUlS15_E_NS1_11comp_targetILNS1_3genE0ELNS1_11target_archE4294967295ELNS1_3gpuE0ELNS1_3repE0EEENS1_30default_config_static_selectorELNS0_4arch9wavefront6targetE0EEEvT1_: ; @_ZN7rocprim17ROCPRIM_400000_NS6detail17trampoline_kernelINS0_14default_configENS1_25partition_config_selectorILNS1_17partition_subalgoE9EllbEEZZNS1_14partition_implILS5_9ELb0ES3_jPlS8_PNS0_10empty_typeENS0_5tupleIJS8_S9_EEENSB_IJS8_SA_EEENS0_18inequality_wrapperIZN2at6native12_GLOBAL__N_124unique_dim_cuda_templateItEESt5tupleIJNSF_6TensorESK_SK_EERKSK_lbbbEUlllE0_EEPmJS9_EEE10hipError_tPvRmT3_T4_T5_T6_T7_T9_mT8_P12ihipStream_tbDpT10_ENKUlT_T0_E_clISt17integral_constantIbLb1EES1A_EEDaS15_S16_EUlS15_E_NS1_11comp_targetILNS1_3genE0ELNS1_11target_archE4294967295ELNS1_3gpuE0ELNS1_3repE0EEENS1_30default_config_static_selectorELNS0_4arch9wavefront6targetE0EEEvT1_
; %bb.0:
	s_endpgm
	.section	.rodata,"a",@progbits
	.p2align	6, 0x0
	.amdhsa_kernel _ZN7rocprim17ROCPRIM_400000_NS6detail17trampoline_kernelINS0_14default_configENS1_25partition_config_selectorILNS1_17partition_subalgoE9EllbEEZZNS1_14partition_implILS5_9ELb0ES3_jPlS8_PNS0_10empty_typeENS0_5tupleIJS8_S9_EEENSB_IJS8_SA_EEENS0_18inequality_wrapperIZN2at6native12_GLOBAL__N_124unique_dim_cuda_templateItEESt5tupleIJNSF_6TensorESK_SK_EERKSK_lbbbEUlllE0_EEPmJS9_EEE10hipError_tPvRmT3_T4_T5_T6_T7_T9_mT8_P12ihipStream_tbDpT10_ENKUlT_T0_E_clISt17integral_constantIbLb1EES1A_EEDaS15_S16_EUlS15_E_NS1_11comp_targetILNS1_3genE0ELNS1_11target_archE4294967295ELNS1_3gpuE0ELNS1_3repE0EEENS1_30default_config_static_selectorELNS0_4arch9wavefront6targetE0EEEvT1_
		.amdhsa_group_segment_fixed_size 0
		.amdhsa_private_segment_fixed_size 0
		.amdhsa_kernarg_size 136
		.amdhsa_user_sgpr_count 2
		.amdhsa_user_sgpr_dispatch_ptr 0
		.amdhsa_user_sgpr_queue_ptr 0
		.amdhsa_user_sgpr_kernarg_segment_ptr 1
		.amdhsa_user_sgpr_dispatch_id 0
		.amdhsa_user_sgpr_kernarg_preload_length 0
		.amdhsa_user_sgpr_kernarg_preload_offset 0
		.amdhsa_user_sgpr_private_segment_size 0
		.amdhsa_wavefront_size32 1
		.amdhsa_uses_dynamic_stack 0
		.amdhsa_enable_private_segment 0
		.amdhsa_system_sgpr_workgroup_id_x 1
		.amdhsa_system_sgpr_workgroup_id_y 0
		.amdhsa_system_sgpr_workgroup_id_z 0
		.amdhsa_system_sgpr_workgroup_info 0
		.amdhsa_system_vgpr_workitem_id 0
		.amdhsa_next_free_vgpr 1
		.amdhsa_next_free_sgpr 1
		.amdhsa_named_barrier_count 0
		.amdhsa_reserve_vcc 0
		.amdhsa_float_round_mode_32 0
		.amdhsa_float_round_mode_16_64 0
		.amdhsa_float_denorm_mode_32 3
		.amdhsa_float_denorm_mode_16_64 3
		.amdhsa_fp16_overflow 0
		.amdhsa_memory_ordered 1
		.amdhsa_forward_progress 1
		.amdhsa_inst_pref_size 1
		.amdhsa_round_robin_scheduling 0
		.amdhsa_exception_fp_ieee_invalid_op 0
		.amdhsa_exception_fp_denorm_src 0
		.amdhsa_exception_fp_ieee_div_zero 0
		.amdhsa_exception_fp_ieee_overflow 0
		.amdhsa_exception_fp_ieee_underflow 0
		.amdhsa_exception_fp_ieee_inexact 0
		.amdhsa_exception_int_div_zero 0
	.end_amdhsa_kernel
	.section	.text._ZN7rocprim17ROCPRIM_400000_NS6detail17trampoline_kernelINS0_14default_configENS1_25partition_config_selectorILNS1_17partition_subalgoE9EllbEEZZNS1_14partition_implILS5_9ELb0ES3_jPlS8_PNS0_10empty_typeENS0_5tupleIJS8_S9_EEENSB_IJS8_SA_EEENS0_18inequality_wrapperIZN2at6native12_GLOBAL__N_124unique_dim_cuda_templateItEESt5tupleIJNSF_6TensorESK_SK_EERKSK_lbbbEUlllE0_EEPmJS9_EEE10hipError_tPvRmT3_T4_T5_T6_T7_T9_mT8_P12ihipStream_tbDpT10_ENKUlT_T0_E_clISt17integral_constantIbLb1EES1A_EEDaS15_S16_EUlS15_E_NS1_11comp_targetILNS1_3genE0ELNS1_11target_archE4294967295ELNS1_3gpuE0ELNS1_3repE0EEENS1_30default_config_static_selectorELNS0_4arch9wavefront6targetE0EEEvT1_,"axG",@progbits,_ZN7rocprim17ROCPRIM_400000_NS6detail17trampoline_kernelINS0_14default_configENS1_25partition_config_selectorILNS1_17partition_subalgoE9EllbEEZZNS1_14partition_implILS5_9ELb0ES3_jPlS8_PNS0_10empty_typeENS0_5tupleIJS8_S9_EEENSB_IJS8_SA_EEENS0_18inequality_wrapperIZN2at6native12_GLOBAL__N_124unique_dim_cuda_templateItEESt5tupleIJNSF_6TensorESK_SK_EERKSK_lbbbEUlllE0_EEPmJS9_EEE10hipError_tPvRmT3_T4_T5_T6_T7_T9_mT8_P12ihipStream_tbDpT10_ENKUlT_T0_E_clISt17integral_constantIbLb1EES1A_EEDaS15_S16_EUlS15_E_NS1_11comp_targetILNS1_3genE0ELNS1_11target_archE4294967295ELNS1_3gpuE0ELNS1_3repE0EEENS1_30default_config_static_selectorELNS0_4arch9wavefront6targetE0EEEvT1_,comdat
.Lfunc_end1459:
	.size	_ZN7rocprim17ROCPRIM_400000_NS6detail17trampoline_kernelINS0_14default_configENS1_25partition_config_selectorILNS1_17partition_subalgoE9EllbEEZZNS1_14partition_implILS5_9ELb0ES3_jPlS8_PNS0_10empty_typeENS0_5tupleIJS8_S9_EEENSB_IJS8_SA_EEENS0_18inequality_wrapperIZN2at6native12_GLOBAL__N_124unique_dim_cuda_templateItEESt5tupleIJNSF_6TensorESK_SK_EERKSK_lbbbEUlllE0_EEPmJS9_EEE10hipError_tPvRmT3_T4_T5_T6_T7_T9_mT8_P12ihipStream_tbDpT10_ENKUlT_T0_E_clISt17integral_constantIbLb1EES1A_EEDaS15_S16_EUlS15_E_NS1_11comp_targetILNS1_3genE0ELNS1_11target_archE4294967295ELNS1_3gpuE0ELNS1_3repE0EEENS1_30default_config_static_selectorELNS0_4arch9wavefront6targetE0EEEvT1_, .Lfunc_end1459-_ZN7rocprim17ROCPRIM_400000_NS6detail17trampoline_kernelINS0_14default_configENS1_25partition_config_selectorILNS1_17partition_subalgoE9EllbEEZZNS1_14partition_implILS5_9ELb0ES3_jPlS8_PNS0_10empty_typeENS0_5tupleIJS8_S9_EEENSB_IJS8_SA_EEENS0_18inequality_wrapperIZN2at6native12_GLOBAL__N_124unique_dim_cuda_templateItEESt5tupleIJNSF_6TensorESK_SK_EERKSK_lbbbEUlllE0_EEPmJS9_EEE10hipError_tPvRmT3_T4_T5_T6_T7_T9_mT8_P12ihipStream_tbDpT10_ENKUlT_T0_E_clISt17integral_constantIbLb1EES1A_EEDaS15_S16_EUlS15_E_NS1_11comp_targetILNS1_3genE0ELNS1_11target_archE4294967295ELNS1_3gpuE0ELNS1_3repE0EEENS1_30default_config_static_selectorELNS0_4arch9wavefront6targetE0EEEvT1_
                                        ; -- End function
	.set _ZN7rocprim17ROCPRIM_400000_NS6detail17trampoline_kernelINS0_14default_configENS1_25partition_config_selectorILNS1_17partition_subalgoE9EllbEEZZNS1_14partition_implILS5_9ELb0ES3_jPlS8_PNS0_10empty_typeENS0_5tupleIJS8_S9_EEENSB_IJS8_SA_EEENS0_18inequality_wrapperIZN2at6native12_GLOBAL__N_124unique_dim_cuda_templateItEESt5tupleIJNSF_6TensorESK_SK_EERKSK_lbbbEUlllE0_EEPmJS9_EEE10hipError_tPvRmT3_T4_T5_T6_T7_T9_mT8_P12ihipStream_tbDpT10_ENKUlT_T0_E_clISt17integral_constantIbLb1EES1A_EEDaS15_S16_EUlS15_E_NS1_11comp_targetILNS1_3genE0ELNS1_11target_archE4294967295ELNS1_3gpuE0ELNS1_3repE0EEENS1_30default_config_static_selectorELNS0_4arch9wavefront6targetE0EEEvT1_.num_vgpr, 0
	.set _ZN7rocprim17ROCPRIM_400000_NS6detail17trampoline_kernelINS0_14default_configENS1_25partition_config_selectorILNS1_17partition_subalgoE9EllbEEZZNS1_14partition_implILS5_9ELb0ES3_jPlS8_PNS0_10empty_typeENS0_5tupleIJS8_S9_EEENSB_IJS8_SA_EEENS0_18inequality_wrapperIZN2at6native12_GLOBAL__N_124unique_dim_cuda_templateItEESt5tupleIJNSF_6TensorESK_SK_EERKSK_lbbbEUlllE0_EEPmJS9_EEE10hipError_tPvRmT3_T4_T5_T6_T7_T9_mT8_P12ihipStream_tbDpT10_ENKUlT_T0_E_clISt17integral_constantIbLb1EES1A_EEDaS15_S16_EUlS15_E_NS1_11comp_targetILNS1_3genE0ELNS1_11target_archE4294967295ELNS1_3gpuE0ELNS1_3repE0EEENS1_30default_config_static_selectorELNS0_4arch9wavefront6targetE0EEEvT1_.num_agpr, 0
	.set _ZN7rocprim17ROCPRIM_400000_NS6detail17trampoline_kernelINS0_14default_configENS1_25partition_config_selectorILNS1_17partition_subalgoE9EllbEEZZNS1_14partition_implILS5_9ELb0ES3_jPlS8_PNS0_10empty_typeENS0_5tupleIJS8_S9_EEENSB_IJS8_SA_EEENS0_18inequality_wrapperIZN2at6native12_GLOBAL__N_124unique_dim_cuda_templateItEESt5tupleIJNSF_6TensorESK_SK_EERKSK_lbbbEUlllE0_EEPmJS9_EEE10hipError_tPvRmT3_T4_T5_T6_T7_T9_mT8_P12ihipStream_tbDpT10_ENKUlT_T0_E_clISt17integral_constantIbLb1EES1A_EEDaS15_S16_EUlS15_E_NS1_11comp_targetILNS1_3genE0ELNS1_11target_archE4294967295ELNS1_3gpuE0ELNS1_3repE0EEENS1_30default_config_static_selectorELNS0_4arch9wavefront6targetE0EEEvT1_.numbered_sgpr, 0
	.set _ZN7rocprim17ROCPRIM_400000_NS6detail17trampoline_kernelINS0_14default_configENS1_25partition_config_selectorILNS1_17partition_subalgoE9EllbEEZZNS1_14partition_implILS5_9ELb0ES3_jPlS8_PNS0_10empty_typeENS0_5tupleIJS8_S9_EEENSB_IJS8_SA_EEENS0_18inequality_wrapperIZN2at6native12_GLOBAL__N_124unique_dim_cuda_templateItEESt5tupleIJNSF_6TensorESK_SK_EERKSK_lbbbEUlllE0_EEPmJS9_EEE10hipError_tPvRmT3_T4_T5_T6_T7_T9_mT8_P12ihipStream_tbDpT10_ENKUlT_T0_E_clISt17integral_constantIbLb1EES1A_EEDaS15_S16_EUlS15_E_NS1_11comp_targetILNS1_3genE0ELNS1_11target_archE4294967295ELNS1_3gpuE0ELNS1_3repE0EEENS1_30default_config_static_selectorELNS0_4arch9wavefront6targetE0EEEvT1_.num_named_barrier, 0
	.set _ZN7rocprim17ROCPRIM_400000_NS6detail17trampoline_kernelINS0_14default_configENS1_25partition_config_selectorILNS1_17partition_subalgoE9EllbEEZZNS1_14partition_implILS5_9ELb0ES3_jPlS8_PNS0_10empty_typeENS0_5tupleIJS8_S9_EEENSB_IJS8_SA_EEENS0_18inequality_wrapperIZN2at6native12_GLOBAL__N_124unique_dim_cuda_templateItEESt5tupleIJNSF_6TensorESK_SK_EERKSK_lbbbEUlllE0_EEPmJS9_EEE10hipError_tPvRmT3_T4_T5_T6_T7_T9_mT8_P12ihipStream_tbDpT10_ENKUlT_T0_E_clISt17integral_constantIbLb1EES1A_EEDaS15_S16_EUlS15_E_NS1_11comp_targetILNS1_3genE0ELNS1_11target_archE4294967295ELNS1_3gpuE0ELNS1_3repE0EEENS1_30default_config_static_selectorELNS0_4arch9wavefront6targetE0EEEvT1_.private_seg_size, 0
	.set _ZN7rocprim17ROCPRIM_400000_NS6detail17trampoline_kernelINS0_14default_configENS1_25partition_config_selectorILNS1_17partition_subalgoE9EllbEEZZNS1_14partition_implILS5_9ELb0ES3_jPlS8_PNS0_10empty_typeENS0_5tupleIJS8_S9_EEENSB_IJS8_SA_EEENS0_18inequality_wrapperIZN2at6native12_GLOBAL__N_124unique_dim_cuda_templateItEESt5tupleIJNSF_6TensorESK_SK_EERKSK_lbbbEUlllE0_EEPmJS9_EEE10hipError_tPvRmT3_T4_T5_T6_T7_T9_mT8_P12ihipStream_tbDpT10_ENKUlT_T0_E_clISt17integral_constantIbLb1EES1A_EEDaS15_S16_EUlS15_E_NS1_11comp_targetILNS1_3genE0ELNS1_11target_archE4294967295ELNS1_3gpuE0ELNS1_3repE0EEENS1_30default_config_static_selectorELNS0_4arch9wavefront6targetE0EEEvT1_.uses_vcc, 0
	.set _ZN7rocprim17ROCPRIM_400000_NS6detail17trampoline_kernelINS0_14default_configENS1_25partition_config_selectorILNS1_17partition_subalgoE9EllbEEZZNS1_14partition_implILS5_9ELb0ES3_jPlS8_PNS0_10empty_typeENS0_5tupleIJS8_S9_EEENSB_IJS8_SA_EEENS0_18inequality_wrapperIZN2at6native12_GLOBAL__N_124unique_dim_cuda_templateItEESt5tupleIJNSF_6TensorESK_SK_EERKSK_lbbbEUlllE0_EEPmJS9_EEE10hipError_tPvRmT3_T4_T5_T6_T7_T9_mT8_P12ihipStream_tbDpT10_ENKUlT_T0_E_clISt17integral_constantIbLb1EES1A_EEDaS15_S16_EUlS15_E_NS1_11comp_targetILNS1_3genE0ELNS1_11target_archE4294967295ELNS1_3gpuE0ELNS1_3repE0EEENS1_30default_config_static_selectorELNS0_4arch9wavefront6targetE0EEEvT1_.uses_flat_scratch, 0
	.set _ZN7rocprim17ROCPRIM_400000_NS6detail17trampoline_kernelINS0_14default_configENS1_25partition_config_selectorILNS1_17partition_subalgoE9EllbEEZZNS1_14partition_implILS5_9ELb0ES3_jPlS8_PNS0_10empty_typeENS0_5tupleIJS8_S9_EEENSB_IJS8_SA_EEENS0_18inequality_wrapperIZN2at6native12_GLOBAL__N_124unique_dim_cuda_templateItEESt5tupleIJNSF_6TensorESK_SK_EERKSK_lbbbEUlllE0_EEPmJS9_EEE10hipError_tPvRmT3_T4_T5_T6_T7_T9_mT8_P12ihipStream_tbDpT10_ENKUlT_T0_E_clISt17integral_constantIbLb1EES1A_EEDaS15_S16_EUlS15_E_NS1_11comp_targetILNS1_3genE0ELNS1_11target_archE4294967295ELNS1_3gpuE0ELNS1_3repE0EEENS1_30default_config_static_selectorELNS0_4arch9wavefront6targetE0EEEvT1_.has_dyn_sized_stack, 0
	.set _ZN7rocprim17ROCPRIM_400000_NS6detail17trampoline_kernelINS0_14default_configENS1_25partition_config_selectorILNS1_17partition_subalgoE9EllbEEZZNS1_14partition_implILS5_9ELb0ES3_jPlS8_PNS0_10empty_typeENS0_5tupleIJS8_S9_EEENSB_IJS8_SA_EEENS0_18inequality_wrapperIZN2at6native12_GLOBAL__N_124unique_dim_cuda_templateItEESt5tupleIJNSF_6TensorESK_SK_EERKSK_lbbbEUlllE0_EEPmJS9_EEE10hipError_tPvRmT3_T4_T5_T6_T7_T9_mT8_P12ihipStream_tbDpT10_ENKUlT_T0_E_clISt17integral_constantIbLb1EES1A_EEDaS15_S16_EUlS15_E_NS1_11comp_targetILNS1_3genE0ELNS1_11target_archE4294967295ELNS1_3gpuE0ELNS1_3repE0EEENS1_30default_config_static_selectorELNS0_4arch9wavefront6targetE0EEEvT1_.has_recursion, 0
	.set _ZN7rocprim17ROCPRIM_400000_NS6detail17trampoline_kernelINS0_14default_configENS1_25partition_config_selectorILNS1_17partition_subalgoE9EllbEEZZNS1_14partition_implILS5_9ELb0ES3_jPlS8_PNS0_10empty_typeENS0_5tupleIJS8_S9_EEENSB_IJS8_SA_EEENS0_18inequality_wrapperIZN2at6native12_GLOBAL__N_124unique_dim_cuda_templateItEESt5tupleIJNSF_6TensorESK_SK_EERKSK_lbbbEUlllE0_EEPmJS9_EEE10hipError_tPvRmT3_T4_T5_T6_T7_T9_mT8_P12ihipStream_tbDpT10_ENKUlT_T0_E_clISt17integral_constantIbLb1EES1A_EEDaS15_S16_EUlS15_E_NS1_11comp_targetILNS1_3genE0ELNS1_11target_archE4294967295ELNS1_3gpuE0ELNS1_3repE0EEENS1_30default_config_static_selectorELNS0_4arch9wavefront6targetE0EEEvT1_.has_indirect_call, 0
	.section	.AMDGPU.csdata,"",@progbits
; Kernel info:
; codeLenInByte = 4
; TotalNumSgprs: 0
; NumVgprs: 0
; ScratchSize: 0
; MemoryBound: 0
; FloatMode: 240
; IeeeMode: 1
; LDSByteSize: 0 bytes/workgroup (compile time only)
; SGPRBlocks: 0
; VGPRBlocks: 0
; NumSGPRsForWavesPerEU: 1
; NumVGPRsForWavesPerEU: 1
; NamedBarCnt: 0
; Occupancy: 16
; WaveLimiterHint : 0
; COMPUTE_PGM_RSRC2:SCRATCH_EN: 0
; COMPUTE_PGM_RSRC2:USER_SGPR: 2
; COMPUTE_PGM_RSRC2:TRAP_HANDLER: 0
; COMPUTE_PGM_RSRC2:TGID_X_EN: 1
; COMPUTE_PGM_RSRC2:TGID_Y_EN: 0
; COMPUTE_PGM_RSRC2:TGID_Z_EN: 0
; COMPUTE_PGM_RSRC2:TIDIG_COMP_CNT: 0
	.section	.text._ZN7rocprim17ROCPRIM_400000_NS6detail17trampoline_kernelINS0_14default_configENS1_25partition_config_selectorILNS1_17partition_subalgoE9EllbEEZZNS1_14partition_implILS5_9ELb0ES3_jPlS8_PNS0_10empty_typeENS0_5tupleIJS8_S9_EEENSB_IJS8_SA_EEENS0_18inequality_wrapperIZN2at6native12_GLOBAL__N_124unique_dim_cuda_templateItEESt5tupleIJNSF_6TensorESK_SK_EERKSK_lbbbEUlllE0_EEPmJS9_EEE10hipError_tPvRmT3_T4_T5_T6_T7_T9_mT8_P12ihipStream_tbDpT10_ENKUlT_T0_E_clISt17integral_constantIbLb1EES1A_EEDaS15_S16_EUlS15_E_NS1_11comp_targetILNS1_3genE5ELNS1_11target_archE942ELNS1_3gpuE9ELNS1_3repE0EEENS1_30default_config_static_selectorELNS0_4arch9wavefront6targetE0EEEvT1_,"axG",@progbits,_ZN7rocprim17ROCPRIM_400000_NS6detail17trampoline_kernelINS0_14default_configENS1_25partition_config_selectorILNS1_17partition_subalgoE9EllbEEZZNS1_14partition_implILS5_9ELb0ES3_jPlS8_PNS0_10empty_typeENS0_5tupleIJS8_S9_EEENSB_IJS8_SA_EEENS0_18inequality_wrapperIZN2at6native12_GLOBAL__N_124unique_dim_cuda_templateItEESt5tupleIJNSF_6TensorESK_SK_EERKSK_lbbbEUlllE0_EEPmJS9_EEE10hipError_tPvRmT3_T4_T5_T6_T7_T9_mT8_P12ihipStream_tbDpT10_ENKUlT_T0_E_clISt17integral_constantIbLb1EES1A_EEDaS15_S16_EUlS15_E_NS1_11comp_targetILNS1_3genE5ELNS1_11target_archE942ELNS1_3gpuE9ELNS1_3repE0EEENS1_30default_config_static_selectorELNS0_4arch9wavefront6targetE0EEEvT1_,comdat
	.globl	_ZN7rocprim17ROCPRIM_400000_NS6detail17trampoline_kernelINS0_14default_configENS1_25partition_config_selectorILNS1_17partition_subalgoE9EllbEEZZNS1_14partition_implILS5_9ELb0ES3_jPlS8_PNS0_10empty_typeENS0_5tupleIJS8_S9_EEENSB_IJS8_SA_EEENS0_18inequality_wrapperIZN2at6native12_GLOBAL__N_124unique_dim_cuda_templateItEESt5tupleIJNSF_6TensorESK_SK_EERKSK_lbbbEUlllE0_EEPmJS9_EEE10hipError_tPvRmT3_T4_T5_T6_T7_T9_mT8_P12ihipStream_tbDpT10_ENKUlT_T0_E_clISt17integral_constantIbLb1EES1A_EEDaS15_S16_EUlS15_E_NS1_11comp_targetILNS1_3genE5ELNS1_11target_archE942ELNS1_3gpuE9ELNS1_3repE0EEENS1_30default_config_static_selectorELNS0_4arch9wavefront6targetE0EEEvT1_ ; -- Begin function _ZN7rocprim17ROCPRIM_400000_NS6detail17trampoline_kernelINS0_14default_configENS1_25partition_config_selectorILNS1_17partition_subalgoE9EllbEEZZNS1_14partition_implILS5_9ELb0ES3_jPlS8_PNS0_10empty_typeENS0_5tupleIJS8_S9_EEENSB_IJS8_SA_EEENS0_18inequality_wrapperIZN2at6native12_GLOBAL__N_124unique_dim_cuda_templateItEESt5tupleIJNSF_6TensorESK_SK_EERKSK_lbbbEUlllE0_EEPmJS9_EEE10hipError_tPvRmT3_T4_T5_T6_T7_T9_mT8_P12ihipStream_tbDpT10_ENKUlT_T0_E_clISt17integral_constantIbLb1EES1A_EEDaS15_S16_EUlS15_E_NS1_11comp_targetILNS1_3genE5ELNS1_11target_archE942ELNS1_3gpuE9ELNS1_3repE0EEENS1_30default_config_static_selectorELNS0_4arch9wavefront6targetE0EEEvT1_
	.p2align	8
	.type	_ZN7rocprim17ROCPRIM_400000_NS6detail17trampoline_kernelINS0_14default_configENS1_25partition_config_selectorILNS1_17partition_subalgoE9EllbEEZZNS1_14partition_implILS5_9ELb0ES3_jPlS8_PNS0_10empty_typeENS0_5tupleIJS8_S9_EEENSB_IJS8_SA_EEENS0_18inequality_wrapperIZN2at6native12_GLOBAL__N_124unique_dim_cuda_templateItEESt5tupleIJNSF_6TensorESK_SK_EERKSK_lbbbEUlllE0_EEPmJS9_EEE10hipError_tPvRmT3_T4_T5_T6_T7_T9_mT8_P12ihipStream_tbDpT10_ENKUlT_T0_E_clISt17integral_constantIbLb1EES1A_EEDaS15_S16_EUlS15_E_NS1_11comp_targetILNS1_3genE5ELNS1_11target_archE942ELNS1_3gpuE9ELNS1_3repE0EEENS1_30default_config_static_selectorELNS0_4arch9wavefront6targetE0EEEvT1_,@function
_ZN7rocprim17ROCPRIM_400000_NS6detail17trampoline_kernelINS0_14default_configENS1_25partition_config_selectorILNS1_17partition_subalgoE9EllbEEZZNS1_14partition_implILS5_9ELb0ES3_jPlS8_PNS0_10empty_typeENS0_5tupleIJS8_S9_EEENSB_IJS8_SA_EEENS0_18inequality_wrapperIZN2at6native12_GLOBAL__N_124unique_dim_cuda_templateItEESt5tupleIJNSF_6TensorESK_SK_EERKSK_lbbbEUlllE0_EEPmJS9_EEE10hipError_tPvRmT3_T4_T5_T6_T7_T9_mT8_P12ihipStream_tbDpT10_ENKUlT_T0_E_clISt17integral_constantIbLb1EES1A_EEDaS15_S16_EUlS15_E_NS1_11comp_targetILNS1_3genE5ELNS1_11target_archE942ELNS1_3gpuE9ELNS1_3repE0EEENS1_30default_config_static_selectorELNS0_4arch9wavefront6targetE0EEEvT1_: ; @_ZN7rocprim17ROCPRIM_400000_NS6detail17trampoline_kernelINS0_14default_configENS1_25partition_config_selectorILNS1_17partition_subalgoE9EllbEEZZNS1_14partition_implILS5_9ELb0ES3_jPlS8_PNS0_10empty_typeENS0_5tupleIJS8_S9_EEENSB_IJS8_SA_EEENS0_18inequality_wrapperIZN2at6native12_GLOBAL__N_124unique_dim_cuda_templateItEESt5tupleIJNSF_6TensorESK_SK_EERKSK_lbbbEUlllE0_EEPmJS9_EEE10hipError_tPvRmT3_T4_T5_T6_T7_T9_mT8_P12ihipStream_tbDpT10_ENKUlT_T0_E_clISt17integral_constantIbLb1EES1A_EEDaS15_S16_EUlS15_E_NS1_11comp_targetILNS1_3genE5ELNS1_11target_archE942ELNS1_3gpuE9ELNS1_3repE0EEENS1_30default_config_static_selectorELNS0_4arch9wavefront6targetE0EEEvT1_
; %bb.0:
	.section	.rodata,"a",@progbits
	.p2align	6, 0x0
	.amdhsa_kernel _ZN7rocprim17ROCPRIM_400000_NS6detail17trampoline_kernelINS0_14default_configENS1_25partition_config_selectorILNS1_17partition_subalgoE9EllbEEZZNS1_14partition_implILS5_9ELb0ES3_jPlS8_PNS0_10empty_typeENS0_5tupleIJS8_S9_EEENSB_IJS8_SA_EEENS0_18inequality_wrapperIZN2at6native12_GLOBAL__N_124unique_dim_cuda_templateItEESt5tupleIJNSF_6TensorESK_SK_EERKSK_lbbbEUlllE0_EEPmJS9_EEE10hipError_tPvRmT3_T4_T5_T6_T7_T9_mT8_P12ihipStream_tbDpT10_ENKUlT_T0_E_clISt17integral_constantIbLb1EES1A_EEDaS15_S16_EUlS15_E_NS1_11comp_targetILNS1_3genE5ELNS1_11target_archE942ELNS1_3gpuE9ELNS1_3repE0EEENS1_30default_config_static_selectorELNS0_4arch9wavefront6targetE0EEEvT1_
		.amdhsa_group_segment_fixed_size 0
		.amdhsa_private_segment_fixed_size 0
		.amdhsa_kernarg_size 136
		.amdhsa_user_sgpr_count 2
		.amdhsa_user_sgpr_dispatch_ptr 0
		.amdhsa_user_sgpr_queue_ptr 0
		.amdhsa_user_sgpr_kernarg_segment_ptr 1
		.amdhsa_user_sgpr_dispatch_id 0
		.amdhsa_user_sgpr_kernarg_preload_length 0
		.amdhsa_user_sgpr_kernarg_preload_offset 0
		.amdhsa_user_sgpr_private_segment_size 0
		.amdhsa_wavefront_size32 1
		.amdhsa_uses_dynamic_stack 0
		.amdhsa_enable_private_segment 0
		.amdhsa_system_sgpr_workgroup_id_x 1
		.amdhsa_system_sgpr_workgroup_id_y 0
		.amdhsa_system_sgpr_workgroup_id_z 0
		.amdhsa_system_sgpr_workgroup_info 0
		.amdhsa_system_vgpr_workitem_id 0
		.amdhsa_next_free_vgpr 1
		.amdhsa_next_free_sgpr 1
		.amdhsa_named_barrier_count 0
		.amdhsa_reserve_vcc 0
		.amdhsa_float_round_mode_32 0
		.amdhsa_float_round_mode_16_64 0
		.amdhsa_float_denorm_mode_32 3
		.amdhsa_float_denorm_mode_16_64 3
		.amdhsa_fp16_overflow 0
		.amdhsa_memory_ordered 1
		.amdhsa_forward_progress 1
		.amdhsa_inst_pref_size 0
		.amdhsa_round_robin_scheduling 0
		.amdhsa_exception_fp_ieee_invalid_op 0
		.amdhsa_exception_fp_denorm_src 0
		.amdhsa_exception_fp_ieee_div_zero 0
		.amdhsa_exception_fp_ieee_overflow 0
		.amdhsa_exception_fp_ieee_underflow 0
		.amdhsa_exception_fp_ieee_inexact 0
		.amdhsa_exception_int_div_zero 0
	.end_amdhsa_kernel
	.section	.text._ZN7rocprim17ROCPRIM_400000_NS6detail17trampoline_kernelINS0_14default_configENS1_25partition_config_selectorILNS1_17partition_subalgoE9EllbEEZZNS1_14partition_implILS5_9ELb0ES3_jPlS8_PNS0_10empty_typeENS0_5tupleIJS8_S9_EEENSB_IJS8_SA_EEENS0_18inequality_wrapperIZN2at6native12_GLOBAL__N_124unique_dim_cuda_templateItEESt5tupleIJNSF_6TensorESK_SK_EERKSK_lbbbEUlllE0_EEPmJS9_EEE10hipError_tPvRmT3_T4_T5_T6_T7_T9_mT8_P12ihipStream_tbDpT10_ENKUlT_T0_E_clISt17integral_constantIbLb1EES1A_EEDaS15_S16_EUlS15_E_NS1_11comp_targetILNS1_3genE5ELNS1_11target_archE942ELNS1_3gpuE9ELNS1_3repE0EEENS1_30default_config_static_selectorELNS0_4arch9wavefront6targetE0EEEvT1_,"axG",@progbits,_ZN7rocprim17ROCPRIM_400000_NS6detail17trampoline_kernelINS0_14default_configENS1_25partition_config_selectorILNS1_17partition_subalgoE9EllbEEZZNS1_14partition_implILS5_9ELb0ES3_jPlS8_PNS0_10empty_typeENS0_5tupleIJS8_S9_EEENSB_IJS8_SA_EEENS0_18inequality_wrapperIZN2at6native12_GLOBAL__N_124unique_dim_cuda_templateItEESt5tupleIJNSF_6TensorESK_SK_EERKSK_lbbbEUlllE0_EEPmJS9_EEE10hipError_tPvRmT3_T4_T5_T6_T7_T9_mT8_P12ihipStream_tbDpT10_ENKUlT_T0_E_clISt17integral_constantIbLb1EES1A_EEDaS15_S16_EUlS15_E_NS1_11comp_targetILNS1_3genE5ELNS1_11target_archE942ELNS1_3gpuE9ELNS1_3repE0EEENS1_30default_config_static_selectorELNS0_4arch9wavefront6targetE0EEEvT1_,comdat
.Lfunc_end1460:
	.size	_ZN7rocprim17ROCPRIM_400000_NS6detail17trampoline_kernelINS0_14default_configENS1_25partition_config_selectorILNS1_17partition_subalgoE9EllbEEZZNS1_14partition_implILS5_9ELb0ES3_jPlS8_PNS0_10empty_typeENS0_5tupleIJS8_S9_EEENSB_IJS8_SA_EEENS0_18inequality_wrapperIZN2at6native12_GLOBAL__N_124unique_dim_cuda_templateItEESt5tupleIJNSF_6TensorESK_SK_EERKSK_lbbbEUlllE0_EEPmJS9_EEE10hipError_tPvRmT3_T4_T5_T6_T7_T9_mT8_P12ihipStream_tbDpT10_ENKUlT_T0_E_clISt17integral_constantIbLb1EES1A_EEDaS15_S16_EUlS15_E_NS1_11comp_targetILNS1_3genE5ELNS1_11target_archE942ELNS1_3gpuE9ELNS1_3repE0EEENS1_30default_config_static_selectorELNS0_4arch9wavefront6targetE0EEEvT1_, .Lfunc_end1460-_ZN7rocprim17ROCPRIM_400000_NS6detail17trampoline_kernelINS0_14default_configENS1_25partition_config_selectorILNS1_17partition_subalgoE9EllbEEZZNS1_14partition_implILS5_9ELb0ES3_jPlS8_PNS0_10empty_typeENS0_5tupleIJS8_S9_EEENSB_IJS8_SA_EEENS0_18inequality_wrapperIZN2at6native12_GLOBAL__N_124unique_dim_cuda_templateItEESt5tupleIJNSF_6TensorESK_SK_EERKSK_lbbbEUlllE0_EEPmJS9_EEE10hipError_tPvRmT3_T4_T5_T6_T7_T9_mT8_P12ihipStream_tbDpT10_ENKUlT_T0_E_clISt17integral_constantIbLb1EES1A_EEDaS15_S16_EUlS15_E_NS1_11comp_targetILNS1_3genE5ELNS1_11target_archE942ELNS1_3gpuE9ELNS1_3repE0EEENS1_30default_config_static_selectorELNS0_4arch9wavefront6targetE0EEEvT1_
                                        ; -- End function
	.set _ZN7rocprim17ROCPRIM_400000_NS6detail17trampoline_kernelINS0_14default_configENS1_25partition_config_selectorILNS1_17partition_subalgoE9EllbEEZZNS1_14partition_implILS5_9ELb0ES3_jPlS8_PNS0_10empty_typeENS0_5tupleIJS8_S9_EEENSB_IJS8_SA_EEENS0_18inequality_wrapperIZN2at6native12_GLOBAL__N_124unique_dim_cuda_templateItEESt5tupleIJNSF_6TensorESK_SK_EERKSK_lbbbEUlllE0_EEPmJS9_EEE10hipError_tPvRmT3_T4_T5_T6_T7_T9_mT8_P12ihipStream_tbDpT10_ENKUlT_T0_E_clISt17integral_constantIbLb1EES1A_EEDaS15_S16_EUlS15_E_NS1_11comp_targetILNS1_3genE5ELNS1_11target_archE942ELNS1_3gpuE9ELNS1_3repE0EEENS1_30default_config_static_selectorELNS0_4arch9wavefront6targetE0EEEvT1_.num_vgpr, 0
	.set _ZN7rocprim17ROCPRIM_400000_NS6detail17trampoline_kernelINS0_14default_configENS1_25partition_config_selectorILNS1_17partition_subalgoE9EllbEEZZNS1_14partition_implILS5_9ELb0ES3_jPlS8_PNS0_10empty_typeENS0_5tupleIJS8_S9_EEENSB_IJS8_SA_EEENS0_18inequality_wrapperIZN2at6native12_GLOBAL__N_124unique_dim_cuda_templateItEESt5tupleIJNSF_6TensorESK_SK_EERKSK_lbbbEUlllE0_EEPmJS9_EEE10hipError_tPvRmT3_T4_T5_T6_T7_T9_mT8_P12ihipStream_tbDpT10_ENKUlT_T0_E_clISt17integral_constantIbLb1EES1A_EEDaS15_S16_EUlS15_E_NS1_11comp_targetILNS1_3genE5ELNS1_11target_archE942ELNS1_3gpuE9ELNS1_3repE0EEENS1_30default_config_static_selectorELNS0_4arch9wavefront6targetE0EEEvT1_.num_agpr, 0
	.set _ZN7rocprim17ROCPRIM_400000_NS6detail17trampoline_kernelINS0_14default_configENS1_25partition_config_selectorILNS1_17partition_subalgoE9EllbEEZZNS1_14partition_implILS5_9ELb0ES3_jPlS8_PNS0_10empty_typeENS0_5tupleIJS8_S9_EEENSB_IJS8_SA_EEENS0_18inequality_wrapperIZN2at6native12_GLOBAL__N_124unique_dim_cuda_templateItEESt5tupleIJNSF_6TensorESK_SK_EERKSK_lbbbEUlllE0_EEPmJS9_EEE10hipError_tPvRmT3_T4_T5_T6_T7_T9_mT8_P12ihipStream_tbDpT10_ENKUlT_T0_E_clISt17integral_constantIbLb1EES1A_EEDaS15_S16_EUlS15_E_NS1_11comp_targetILNS1_3genE5ELNS1_11target_archE942ELNS1_3gpuE9ELNS1_3repE0EEENS1_30default_config_static_selectorELNS0_4arch9wavefront6targetE0EEEvT1_.numbered_sgpr, 0
	.set _ZN7rocprim17ROCPRIM_400000_NS6detail17trampoline_kernelINS0_14default_configENS1_25partition_config_selectorILNS1_17partition_subalgoE9EllbEEZZNS1_14partition_implILS5_9ELb0ES3_jPlS8_PNS0_10empty_typeENS0_5tupleIJS8_S9_EEENSB_IJS8_SA_EEENS0_18inequality_wrapperIZN2at6native12_GLOBAL__N_124unique_dim_cuda_templateItEESt5tupleIJNSF_6TensorESK_SK_EERKSK_lbbbEUlllE0_EEPmJS9_EEE10hipError_tPvRmT3_T4_T5_T6_T7_T9_mT8_P12ihipStream_tbDpT10_ENKUlT_T0_E_clISt17integral_constantIbLb1EES1A_EEDaS15_S16_EUlS15_E_NS1_11comp_targetILNS1_3genE5ELNS1_11target_archE942ELNS1_3gpuE9ELNS1_3repE0EEENS1_30default_config_static_selectorELNS0_4arch9wavefront6targetE0EEEvT1_.num_named_barrier, 0
	.set _ZN7rocprim17ROCPRIM_400000_NS6detail17trampoline_kernelINS0_14default_configENS1_25partition_config_selectorILNS1_17partition_subalgoE9EllbEEZZNS1_14partition_implILS5_9ELb0ES3_jPlS8_PNS0_10empty_typeENS0_5tupleIJS8_S9_EEENSB_IJS8_SA_EEENS0_18inequality_wrapperIZN2at6native12_GLOBAL__N_124unique_dim_cuda_templateItEESt5tupleIJNSF_6TensorESK_SK_EERKSK_lbbbEUlllE0_EEPmJS9_EEE10hipError_tPvRmT3_T4_T5_T6_T7_T9_mT8_P12ihipStream_tbDpT10_ENKUlT_T0_E_clISt17integral_constantIbLb1EES1A_EEDaS15_S16_EUlS15_E_NS1_11comp_targetILNS1_3genE5ELNS1_11target_archE942ELNS1_3gpuE9ELNS1_3repE0EEENS1_30default_config_static_selectorELNS0_4arch9wavefront6targetE0EEEvT1_.private_seg_size, 0
	.set _ZN7rocprim17ROCPRIM_400000_NS6detail17trampoline_kernelINS0_14default_configENS1_25partition_config_selectorILNS1_17partition_subalgoE9EllbEEZZNS1_14partition_implILS5_9ELb0ES3_jPlS8_PNS0_10empty_typeENS0_5tupleIJS8_S9_EEENSB_IJS8_SA_EEENS0_18inequality_wrapperIZN2at6native12_GLOBAL__N_124unique_dim_cuda_templateItEESt5tupleIJNSF_6TensorESK_SK_EERKSK_lbbbEUlllE0_EEPmJS9_EEE10hipError_tPvRmT3_T4_T5_T6_T7_T9_mT8_P12ihipStream_tbDpT10_ENKUlT_T0_E_clISt17integral_constantIbLb1EES1A_EEDaS15_S16_EUlS15_E_NS1_11comp_targetILNS1_3genE5ELNS1_11target_archE942ELNS1_3gpuE9ELNS1_3repE0EEENS1_30default_config_static_selectorELNS0_4arch9wavefront6targetE0EEEvT1_.uses_vcc, 0
	.set _ZN7rocprim17ROCPRIM_400000_NS6detail17trampoline_kernelINS0_14default_configENS1_25partition_config_selectorILNS1_17partition_subalgoE9EllbEEZZNS1_14partition_implILS5_9ELb0ES3_jPlS8_PNS0_10empty_typeENS0_5tupleIJS8_S9_EEENSB_IJS8_SA_EEENS0_18inequality_wrapperIZN2at6native12_GLOBAL__N_124unique_dim_cuda_templateItEESt5tupleIJNSF_6TensorESK_SK_EERKSK_lbbbEUlllE0_EEPmJS9_EEE10hipError_tPvRmT3_T4_T5_T6_T7_T9_mT8_P12ihipStream_tbDpT10_ENKUlT_T0_E_clISt17integral_constantIbLb1EES1A_EEDaS15_S16_EUlS15_E_NS1_11comp_targetILNS1_3genE5ELNS1_11target_archE942ELNS1_3gpuE9ELNS1_3repE0EEENS1_30default_config_static_selectorELNS0_4arch9wavefront6targetE0EEEvT1_.uses_flat_scratch, 0
	.set _ZN7rocprim17ROCPRIM_400000_NS6detail17trampoline_kernelINS0_14default_configENS1_25partition_config_selectorILNS1_17partition_subalgoE9EllbEEZZNS1_14partition_implILS5_9ELb0ES3_jPlS8_PNS0_10empty_typeENS0_5tupleIJS8_S9_EEENSB_IJS8_SA_EEENS0_18inequality_wrapperIZN2at6native12_GLOBAL__N_124unique_dim_cuda_templateItEESt5tupleIJNSF_6TensorESK_SK_EERKSK_lbbbEUlllE0_EEPmJS9_EEE10hipError_tPvRmT3_T4_T5_T6_T7_T9_mT8_P12ihipStream_tbDpT10_ENKUlT_T0_E_clISt17integral_constantIbLb1EES1A_EEDaS15_S16_EUlS15_E_NS1_11comp_targetILNS1_3genE5ELNS1_11target_archE942ELNS1_3gpuE9ELNS1_3repE0EEENS1_30default_config_static_selectorELNS0_4arch9wavefront6targetE0EEEvT1_.has_dyn_sized_stack, 0
	.set _ZN7rocprim17ROCPRIM_400000_NS6detail17trampoline_kernelINS0_14default_configENS1_25partition_config_selectorILNS1_17partition_subalgoE9EllbEEZZNS1_14partition_implILS5_9ELb0ES3_jPlS8_PNS0_10empty_typeENS0_5tupleIJS8_S9_EEENSB_IJS8_SA_EEENS0_18inequality_wrapperIZN2at6native12_GLOBAL__N_124unique_dim_cuda_templateItEESt5tupleIJNSF_6TensorESK_SK_EERKSK_lbbbEUlllE0_EEPmJS9_EEE10hipError_tPvRmT3_T4_T5_T6_T7_T9_mT8_P12ihipStream_tbDpT10_ENKUlT_T0_E_clISt17integral_constantIbLb1EES1A_EEDaS15_S16_EUlS15_E_NS1_11comp_targetILNS1_3genE5ELNS1_11target_archE942ELNS1_3gpuE9ELNS1_3repE0EEENS1_30default_config_static_selectorELNS0_4arch9wavefront6targetE0EEEvT1_.has_recursion, 0
	.set _ZN7rocprim17ROCPRIM_400000_NS6detail17trampoline_kernelINS0_14default_configENS1_25partition_config_selectorILNS1_17partition_subalgoE9EllbEEZZNS1_14partition_implILS5_9ELb0ES3_jPlS8_PNS0_10empty_typeENS0_5tupleIJS8_S9_EEENSB_IJS8_SA_EEENS0_18inequality_wrapperIZN2at6native12_GLOBAL__N_124unique_dim_cuda_templateItEESt5tupleIJNSF_6TensorESK_SK_EERKSK_lbbbEUlllE0_EEPmJS9_EEE10hipError_tPvRmT3_T4_T5_T6_T7_T9_mT8_P12ihipStream_tbDpT10_ENKUlT_T0_E_clISt17integral_constantIbLb1EES1A_EEDaS15_S16_EUlS15_E_NS1_11comp_targetILNS1_3genE5ELNS1_11target_archE942ELNS1_3gpuE9ELNS1_3repE0EEENS1_30default_config_static_selectorELNS0_4arch9wavefront6targetE0EEEvT1_.has_indirect_call, 0
	.section	.AMDGPU.csdata,"",@progbits
; Kernel info:
; codeLenInByte = 0
; TotalNumSgprs: 0
; NumVgprs: 0
; ScratchSize: 0
; MemoryBound: 0
; FloatMode: 240
; IeeeMode: 1
; LDSByteSize: 0 bytes/workgroup (compile time only)
; SGPRBlocks: 0
; VGPRBlocks: 0
; NumSGPRsForWavesPerEU: 1
; NumVGPRsForWavesPerEU: 1
; NamedBarCnt: 0
; Occupancy: 16
; WaveLimiterHint : 0
; COMPUTE_PGM_RSRC2:SCRATCH_EN: 0
; COMPUTE_PGM_RSRC2:USER_SGPR: 2
; COMPUTE_PGM_RSRC2:TRAP_HANDLER: 0
; COMPUTE_PGM_RSRC2:TGID_X_EN: 1
; COMPUTE_PGM_RSRC2:TGID_Y_EN: 0
; COMPUTE_PGM_RSRC2:TGID_Z_EN: 0
; COMPUTE_PGM_RSRC2:TIDIG_COMP_CNT: 0
	.section	.text._ZN7rocprim17ROCPRIM_400000_NS6detail17trampoline_kernelINS0_14default_configENS1_25partition_config_selectorILNS1_17partition_subalgoE9EllbEEZZNS1_14partition_implILS5_9ELb0ES3_jPlS8_PNS0_10empty_typeENS0_5tupleIJS8_S9_EEENSB_IJS8_SA_EEENS0_18inequality_wrapperIZN2at6native12_GLOBAL__N_124unique_dim_cuda_templateItEESt5tupleIJNSF_6TensorESK_SK_EERKSK_lbbbEUlllE0_EEPmJS9_EEE10hipError_tPvRmT3_T4_T5_T6_T7_T9_mT8_P12ihipStream_tbDpT10_ENKUlT_T0_E_clISt17integral_constantIbLb1EES1A_EEDaS15_S16_EUlS15_E_NS1_11comp_targetILNS1_3genE4ELNS1_11target_archE910ELNS1_3gpuE8ELNS1_3repE0EEENS1_30default_config_static_selectorELNS0_4arch9wavefront6targetE0EEEvT1_,"axG",@progbits,_ZN7rocprim17ROCPRIM_400000_NS6detail17trampoline_kernelINS0_14default_configENS1_25partition_config_selectorILNS1_17partition_subalgoE9EllbEEZZNS1_14partition_implILS5_9ELb0ES3_jPlS8_PNS0_10empty_typeENS0_5tupleIJS8_S9_EEENSB_IJS8_SA_EEENS0_18inequality_wrapperIZN2at6native12_GLOBAL__N_124unique_dim_cuda_templateItEESt5tupleIJNSF_6TensorESK_SK_EERKSK_lbbbEUlllE0_EEPmJS9_EEE10hipError_tPvRmT3_T4_T5_T6_T7_T9_mT8_P12ihipStream_tbDpT10_ENKUlT_T0_E_clISt17integral_constantIbLb1EES1A_EEDaS15_S16_EUlS15_E_NS1_11comp_targetILNS1_3genE4ELNS1_11target_archE910ELNS1_3gpuE8ELNS1_3repE0EEENS1_30default_config_static_selectorELNS0_4arch9wavefront6targetE0EEEvT1_,comdat
	.globl	_ZN7rocprim17ROCPRIM_400000_NS6detail17trampoline_kernelINS0_14default_configENS1_25partition_config_selectorILNS1_17partition_subalgoE9EllbEEZZNS1_14partition_implILS5_9ELb0ES3_jPlS8_PNS0_10empty_typeENS0_5tupleIJS8_S9_EEENSB_IJS8_SA_EEENS0_18inequality_wrapperIZN2at6native12_GLOBAL__N_124unique_dim_cuda_templateItEESt5tupleIJNSF_6TensorESK_SK_EERKSK_lbbbEUlllE0_EEPmJS9_EEE10hipError_tPvRmT3_T4_T5_T6_T7_T9_mT8_P12ihipStream_tbDpT10_ENKUlT_T0_E_clISt17integral_constantIbLb1EES1A_EEDaS15_S16_EUlS15_E_NS1_11comp_targetILNS1_3genE4ELNS1_11target_archE910ELNS1_3gpuE8ELNS1_3repE0EEENS1_30default_config_static_selectorELNS0_4arch9wavefront6targetE0EEEvT1_ ; -- Begin function _ZN7rocprim17ROCPRIM_400000_NS6detail17trampoline_kernelINS0_14default_configENS1_25partition_config_selectorILNS1_17partition_subalgoE9EllbEEZZNS1_14partition_implILS5_9ELb0ES3_jPlS8_PNS0_10empty_typeENS0_5tupleIJS8_S9_EEENSB_IJS8_SA_EEENS0_18inequality_wrapperIZN2at6native12_GLOBAL__N_124unique_dim_cuda_templateItEESt5tupleIJNSF_6TensorESK_SK_EERKSK_lbbbEUlllE0_EEPmJS9_EEE10hipError_tPvRmT3_T4_T5_T6_T7_T9_mT8_P12ihipStream_tbDpT10_ENKUlT_T0_E_clISt17integral_constantIbLb1EES1A_EEDaS15_S16_EUlS15_E_NS1_11comp_targetILNS1_3genE4ELNS1_11target_archE910ELNS1_3gpuE8ELNS1_3repE0EEENS1_30default_config_static_selectorELNS0_4arch9wavefront6targetE0EEEvT1_
	.p2align	8
	.type	_ZN7rocprim17ROCPRIM_400000_NS6detail17trampoline_kernelINS0_14default_configENS1_25partition_config_selectorILNS1_17partition_subalgoE9EllbEEZZNS1_14partition_implILS5_9ELb0ES3_jPlS8_PNS0_10empty_typeENS0_5tupleIJS8_S9_EEENSB_IJS8_SA_EEENS0_18inequality_wrapperIZN2at6native12_GLOBAL__N_124unique_dim_cuda_templateItEESt5tupleIJNSF_6TensorESK_SK_EERKSK_lbbbEUlllE0_EEPmJS9_EEE10hipError_tPvRmT3_T4_T5_T6_T7_T9_mT8_P12ihipStream_tbDpT10_ENKUlT_T0_E_clISt17integral_constantIbLb1EES1A_EEDaS15_S16_EUlS15_E_NS1_11comp_targetILNS1_3genE4ELNS1_11target_archE910ELNS1_3gpuE8ELNS1_3repE0EEENS1_30default_config_static_selectorELNS0_4arch9wavefront6targetE0EEEvT1_,@function
_ZN7rocprim17ROCPRIM_400000_NS6detail17trampoline_kernelINS0_14default_configENS1_25partition_config_selectorILNS1_17partition_subalgoE9EllbEEZZNS1_14partition_implILS5_9ELb0ES3_jPlS8_PNS0_10empty_typeENS0_5tupleIJS8_S9_EEENSB_IJS8_SA_EEENS0_18inequality_wrapperIZN2at6native12_GLOBAL__N_124unique_dim_cuda_templateItEESt5tupleIJNSF_6TensorESK_SK_EERKSK_lbbbEUlllE0_EEPmJS9_EEE10hipError_tPvRmT3_T4_T5_T6_T7_T9_mT8_P12ihipStream_tbDpT10_ENKUlT_T0_E_clISt17integral_constantIbLb1EES1A_EEDaS15_S16_EUlS15_E_NS1_11comp_targetILNS1_3genE4ELNS1_11target_archE910ELNS1_3gpuE8ELNS1_3repE0EEENS1_30default_config_static_selectorELNS0_4arch9wavefront6targetE0EEEvT1_: ; @_ZN7rocprim17ROCPRIM_400000_NS6detail17trampoline_kernelINS0_14default_configENS1_25partition_config_selectorILNS1_17partition_subalgoE9EllbEEZZNS1_14partition_implILS5_9ELb0ES3_jPlS8_PNS0_10empty_typeENS0_5tupleIJS8_S9_EEENSB_IJS8_SA_EEENS0_18inequality_wrapperIZN2at6native12_GLOBAL__N_124unique_dim_cuda_templateItEESt5tupleIJNSF_6TensorESK_SK_EERKSK_lbbbEUlllE0_EEPmJS9_EEE10hipError_tPvRmT3_T4_T5_T6_T7_T9_mT8_P12ihipStream_tbDpT10_ENKUlT_T0_E_clISt17integral_constantIbLb1EES1A_EEDaS15_S16_EUlS15_E_NS1_11comp_targetILNS1_3genE4ELNS1_11target_archE910ELNS1_3gpuE8ELNS1_3repE0EEENS1_30default_config_static_selectorELNS0_4arch9wavefront6targetE0EEEvT1_
; %bb.0:
	.section	.rodata,"a",@progbits
	.p2align	6, 0x0
	.amdhsa_kernel _ZN7rocprim17ROCPRIM_400000_NS6detail17trampoline_kernelINS0_14default_configENS1_25partition_config_selectorILNS1_17partition_subalgoE9EllbEEZZNS1_14partition_implILS5_9ELb0ES3_jPlS8_PNS0_10empty_typeENS0_5tupleIJS8_S9_EEENSB_IJS8_SA_EEENS0_18inequality_wrapperIZN2at6native12_GLOBAL__N_124unique_dim_cuda_templateItEESt5tupleIJNSF_6TensorESK_SK_EERKSK_lbbbEUlllE0_EEPmJS9_EEE10hipError_tPvRmT3_T4_T5_T6_T7_T9_mT8_P12ihipStream_tbDpT10_ENKUlT_T0_E_clISt17integral_constantIbLb1EES1A_EEDaS15_S16_EUlS15_E_NS1_11comp_targetILNS1_3genE4ELNS1_11target_archE910ELNS1_3gpuE8ELNS1_3repE0EEENS1_30default_config_static_selectorELNS0_4arch9wavefront6targetE0EEEvT1_
		.amdhsa_group_segment_fixed_size 0
		.amdhsa_private_segment_fixed_size 0
		.amdhsa_kernarg_size 136
		.amdhsa_user_sgpr_count 2
		.amdhsa_user_sgpr_dispatch_ptr 0
		.amdhsa_user_sgpr_queue_ptr 0
		.amdhsa_user_sgpr_kernarg_segment_ptr 1
		.amdhsa_user_sgpr_dispatch_id 0
		.amdhsa_user_sgpr_kernarg_preload_length 0
		.amdhsa_user_sgpr_kernarg_preload_offset 0
		.amdhsa_user_sgpr_private_segment_size 0
		.amdhsa_wavefront_size32 1
		.amdhsa_uses_dynamic_stack 0
		.amdhsa_enable_private_segment 0
		.amdhsa_system_sgpr_workgroup_id_x 1
		.amdhsa_system_sgpr_workgroup_id_y 0
		.amdhsa_system_sgpr_workgroup_id_z 0
		.amdhsa_system_sgpr_workgroup_info 0
		.amdhsa_system_vgpr_workitem_id 0
		.amdhsa_next_free_vgpr 1
		.amdhsa_next_free_sgpr 1
		.amdhsa_named_barrier_count 0
		.amdhsa_reserve_vcc 0
		.amdhsa_float_round_mode_32 0
		.amdhsa_float_round_mode_16_64 0
		.amdhsa_float_denorm_mode_32 3
		.amdhsa_float_denorm_mode_16_64 3
		.amdhsa_fp16_overflow 0
		.amdhsa_memory_ordered 1
		.amdhsa_forward_progress 1
		.amdhsa_inst_pref_size 0
		.amdhsa_round_robin_scheduling 0
		.amdhsa_exception_fp_ieee_invalid_op 0
		.amdhsa_exception_fp_denorm_src 0
		.amdhsa_exception_fp_ieee_div_zero 0
		.amdhsa_exception_fp_ieee_overflow 0
		.amdhsa_exception_fp_ieee_underflow 0
		.amdhsa_exception_fp_ieee_inexact 0
		.amdhsa_exception_int_div_zero 0
	.end_amdhsa_kernel
	.section	.text._ZN7rocprim17ROCPRIM_400000_NS6detail17trampoline_kernelINS0_14default_configENS1_25partition_config_selectorILNS1_17partition_subalgoE9EllbEEZZNS1_14partition_implILS5_9ELb0ES3_jPlS8_PNS0_10empty_typeENS0_5tupleIJS8_S9_EEENSB_IJS8_SA_EEENS0_18inequality_wrapperIZN2at6native12_GLOBAL__N_124unique_dim_cuda_templateItEESt5tupleIJNSF_6TensorESK_SK_EERKSK_lbbbEUlllE0_EEPmJS9_EEE10hipError_tPvRmT3_T4_T5_T6_T7_T9_mT8_P12ihipStream_tbDpT10_ENKUlT_T0_E_clISt17integral_constantIbLb1EES1A_EEDaS15_S16_EUlS15_E_NS1_11comp_targetILNS1_3genE4ELNS1_11target_archE910ELNS1_3gpuE8ELNS1_3repE0EEENS1_30default_config_static_selectorELNS0_4arch9wavefront6targetE0EEEvT1_,"axG",@progbits,_ZN7rocprim17ROCPRIM_400000_NS6detail17trampoline_kernelINS0_14default_configENS1_25partition_config_selectorILNS1_17partition_subalgoE9EllbEEZZNS1_14partition_implILS5_9ELb0ES3_jPlS8_PNS0_10empty_typeENS0_5tupleIJS8_S9_EEENSB_IJS8_SA_EEENS0_18inequality_wrapperIZN2at6native12_GLOBAL__N_124unique_dim_cuda_templateItEESt5tupleIJNSF_6TensorESK_SK_EERKSK_lbbbEUlllE0_EEPmJS9_EEE10hipError_tPvRmT3_T4_T5_T6_T7_T9_mT8_P12ihipStream_tbDpT10_ENKUlT_T0_E_clISt17integral_constantIbLb1EES1A_EEDaS15_S16_EUlS15_E_NS1_11comp_targetILNS1_3genE4ELNS1_11target_archE910ELNS1_3gpuE8ELNS1_3repE0EEENS1_30default_config_static_selectorELNS0_4arch9wavefront6targetE0EEEvT1_,comdat
.Lfunc_end1461:
	.size	_ZN7rocprim17ROCPRIM_400000_NS6detail17trampoline_kernelINS0_14default_configENS1_25partition_config_selectorILNS1_17partition_subalgoE9EllbEEZZNS1_14partition_implILS5_9ELb0ES3_jPlS8_PNS0_10empty_typeENS0_5tupleIJS8_S9_EEENSB_IJS8_SA_EEENS0_18inequality_wrapperIZN2at6native12_GLOBAL__N_124unique_dim_cuda_templateItEESt5tupleIJNSF_6TensorESK_SK_EERKSK_lbbbEUlllE0_EEPmJS9_EEE10hipError_tPvRmT3_T4_T5_T6_T7_T9_mT8_P12ihipStream_tbDpT10_ENKUlT_T0_E_clISt17integral_constantIbLb1EES1A_EEDaS15_S16_EUlS15_E_NS1_11comp_targetILNS1_3genE4ELNS1_11target_archE910ELNS1_3gpuE8ELNS1_3repE0EEENS1_30default_config_static_selectorELNS0_4arch9wavefront6targetE0EEEvT1_, .Lfunc_end1461-_ZN7rocprim17ROCPRIM_400000_NS6detail17trampoline_kernelINS0_14default_configENS1_25partition_config_selectorILNS1_17partition_subalgoE9EllbEEZZNS1_14partition_implILS5_9ELb0ES3_jPlS8_PNS0_10empty_typeENS0_5tupleIJS8_S9_EEENSB_IJS8_SA_EEENS0_18inequality_wrapperIZN2at6native12_GLOBAL__N_124unique_dim_cuda_templateItEESt5tupleIJNSF_6TensorESK_SK_EERKSK_lbbbEUlllE0_EEPmJS9_EEE10hipError_tPvRmT3_T4_T5_T6_T7_T9_mT8_P12ihipStream_tbDpT10_ENKUlT_T0_E_clISt17integral_constantIbLb1EES1A_EEDaS15_S16_EUlS15_E_NS1_11comp_targetILNS1_3genE4ELNS1_11target_archE910ELNS1_3gpuE8ELNS1_3repE0EEENS1_30default_config_static_selectorELNS0_4arch9wavefront6targetE0EEEvT1_
                                        ; -- End function
	.set _ZN7rocprim17ROCPRIM_400000_NS6detail17trampoline_kernelINS0_14default_configENS1_25partition_config_selectorILNS1_17partition_subalgoE9EllbEEZZNS1_14partition_implILS5_9ELb0ES3_jPlS8_PNS0_10empty_typeENS0_5tupleIJS8_S9_EEENSB_IJS8_SA_EEENS0_18inequality_wrapperIZN2at6native12_GLOBAL__N_124unique_dim_cuda_templateItEESt5tupleIJNSF_6TensorESK_SK_EERKSK_lbbbEUlllE0_EEPmJS9_EEE10hipError_tPvRmT3_T4_T5_T6_T7_T9_mT8_P12ihipStream_tbDpT10_ENKUlT_T0_E_clISt17integral_constantIbLb1EES1A_EEDaS15_S16_EUlS15_E_NS1_11comp_targetILNS1_3genE4ELNS1_11target_archE910ELNS1_3gpuE8ELNS1_3repE0EEENS1_30default_config_static_selectorELNS0_4arch9wavefront6targetE0EEEvT1_.num_vgpr, 0
	.set _ZN7rocprim17ROCPRIM_400000_NS6detail17trampoline_kernelINS0_14default_configENS1_25partition_config_selectorILNS1_17partition_subalgoE9EllbEEZZNS1_14partition_implILS5_9ELb0ES3_jPlS8_PNS0_10empty_typeENS0_5tupleIJS8_S9_EEENSB_IJS8_SA_EEENS0_18inequality_wrapperIZN2at6native12_GLOBAL__N_124unique_dim_cuda_templateItEESt5tupleIJNSF_6TensorESK_SK_EERKSK_lbbbEUlllE0_EEPmJS9_EEE10hipError_tPvRmT3_T4_T5_T6_T7_T9_mT8_P12ihipStream_tbDpT10_ENKUlT_T0_E_clISt17integral_constantIbLb1EES1A_EEDaS15_S16_EUlS15_E_NS1_11comp_targetILNS1_3genE4ELNS1_11target_archE910ELNS1_3gpuE8ELNS1_3repE0EEENS1_30default_config_static_selectorELNS0_4arch9wavefront6targetE0EEEvT1_.num_agpr, 0
	.set _ZN7rocprim17ROCPRIM_400000_NS6detail17trampoline_kernelINS0_14default_configENS1_25partition_config_selectorILNS1_17partition_subalgoE9EllbEEZZNS1_14partition_implILS5_9ELb0ES3_jPlS8_PNS0_10empty_typeENS0_5tupleIJS8_S9_EEENSB_IJS8_SA_EEENS0_18inequality_wrapperIZN2at6native12_GLOBAL__N_124unique_dim_cuda_templateItEESt5tupleIJNSF_6TensorESK_SK_EERKSK_lbbbEUlllE0_EEPmJS9_EEE10hipError_tPvRmT3_T4_T5_T6_T7_T9_mT8_P12ihipStream_tbDpT10_ENKUlT_T0_E_clISt17integral_constantIbLb1EES1A_EEDaS15_S16_EUlS15_E_NS1_11comp_targetILNS1_3genE4ELNS1_11target_archE910ELNS1_3gpuE8ELNS1_3repE0EEENS1_30default_config_static_selectorELNS0_4arch9wavefront6targetE0EEEvT1_.numbered_sgpr, 0
	.set _ZN7rocprim17ROCPRIM_400000_NS6detail17trampoline_kernelINS0_14default_configENS1_25partition_config_selectorILNS1_17partition_subalgoE9EllbEEZZNS1_14partition_implILS5_9ELb0ES3_jPlS8_PNS0_10empty_typeENS0_5tupleIJS8_S9_EEENSB_IJS8_SA_EEENS0_18inequality_wrapperIZN2at6native12_GLOBAL__N_124unique_dim_cuda_templateItEESt5tupleIJNSF_6TensorESK_SK_EERKSK_lbbbEUlllE0_EEPmJS9_EEE10hipError_tPvRmT3_T4_T5_T6_T7_T9_mT8_P12ihipStream_tbDpT10_ENKUlT_T0_E_clISt17integral_constantIbLb1EES1A_EEDaS15_S16_EUlS15_E_NS1_11comp_targetILNS1_3genE4ELNS1_11target_archE910ELNS1_3gpuE8ELNS1_3repE0EEENS1_30default_config_static_selectorELNS0_4arch9wavefront6targetE0EEEvT1_.num_named_barrier, 0
	.set _ZN7rocprim17ROCPRIM_400000_NS6detail17trampoline_kernelINS0_14default_configENS1_25partition_config_selectorILNS1_17partition_subalgoE9EllbEEZZNS1_14partition_implILS5_9ELb0ES3_jPlS8_PNS0_10empty_typeENS0_5tupleIJS8_S9_EEENSB_IJS8_SA_EEENS0_18inequality_wrapperIZN2at6native12_GLOBAL__N_124unique_dim_cuda_templateItEESt5tupleIJNSF_6TensorESK_SK_EERKSK_lbbbEUlllE0_EEPmJS9_EEE10hipError_tPvRmT3_T4_T5_T6_T7_T9_mT8_P12ihipStream_tbDpT10_ENKUlT_T0_E_clISt17integral_constantIbLb1EES1A_EEDaS15_S16_EUlS15_E_NS1_11comp_targetILNS1_3genE4ELNS1_11target_archE910ELNS1_3gpuE8ELNS1_3repE0EEENS1_30default_config_static_selectorELNS0_4arch9wavefront6targetE0EEEvT1_.private_seg_size, 0
	.set _ZN7rocprim17ROCPRIM_400000_NS6detail17trampoline_kernelINS0_14default_configENS1_25partition_config_selectorILNS1_17partition_subalgoE9EllbEEZZNS1_14partition_implILS5_9ELb0ES3_jPlS8_PNS0_10empty_typeENS0_5tupleIJS8_S9_EEENSB_IJS8_SA_EEENS0_18inequality_wrapperIZN2at6native12_GLOBAL__N_124unique_dim_cuda_templateItEESt5tupleIJNSF_6TensorESK_SK_EERKSK_lbbbEUlllE0_EEPmJS9_EEE10hipError_tPvRmT3_T4_T5_T6_T7_T9_mT8_P12ihipStream_tbDpT10_ENKUlT_T0_E_clISt17integral_constantIbLb1EES1A_EEDaS15_S16_EUlS15_E_NS1_11comp_targetILNS1_3genE4ELNS1_11target_archE910ELNS1_3gpuE8ELNS1_3repE0EEENS1_30default_config_static_selectorELNS0_4arch9wavefront6targetE0EEEvT1_.uses_vcc, 0
	.set _ZN7rocprim17ROCPRIM_400000_NS6detail17trampoline_kernelINS0_14default_configENS1_25partition_config_selectorILNS1_17partition_subalgoE9EllbEEZZNS1_14partition_implILS5_9ELb0ES3_jPlS8_PNS0_10empty_typeENS0_5tupleIJS8_S9_EEENSB_IJS8_SA_EEENS0_18inequality_wrapperIZN2at6native12_GLOBAL__N_124unique_dim_cuda_templateItEESt5tupleIJNSF_6TensorESK_SK_EERKSK_lbbbEUlllE0_EEPmJS9_EEE10hipError_tPvRmT3_T4_T5_T6_T7_T9_mT8_P12ihipStream_tbDpT10_ENKUlT_T0_E_clISt17integral_constantIbLb1EES1A_EEDaS15_S16_EUlS15_E_NS1_11comp_targetILNS1_3genE4ELNS1_11target_archE910ELNS1_3gpuE8ELNS1_3repE0EEENS1_30default_config_static_selectorELNS0_4arch9wavefront6targetE0EEEvT1_.uses_flat_scratch, 0
	.set _ZN7rocprim17ROCPRIM_400000_NS6detail17trampoline_kernelINS0_14default_configENS1_25partition_config_selectorILNS1_17partition_subalgoE9EllbEEZZNS1_14partition_implILS5_9ELb0ES3_jPlS8_PNS0_10empty_typeENS0_5tupleIJS8_S9_EEENSB_IJS8_SA_EEENS0_18inequality_wrapperIZN2at6native12_GLOBAL__N_124unique_dim_cuda_templateItEESt5tupleIJNSF_6TensorESK_SK_EERKSK_lbbbEUlllE0_EEPmJS9_EEE10hipError_tPvRmT3_T4_T5_T6_T7_T9_mT8_P12ihipStream_tbDpT10_ENKUlT_T0_E_clISt17integral_constantIbLb1EES1A_EEDaS15_S16_EUlS15_E_NS1_11comp_targetILNS1_3genE4ELNS1_11target_archE910ELNS1_3gpuE8ELNS1_3repE0EEENS1_30default_config_static_selectorELNS0_4arch9wavefront6targetE0EEEvT1_.has_dyn_sized_stack, 0
	.set _ZN7rocprim17ROCPRIM_400000_NS6detail17trampoline_kernelINS0_14default_configENS1_25partition_config_selectorILNS1_17partition_subalgoE9EllbEEZZNS1_14partition_implILS5_9ELb0ES3_jPlS8_PNS0_10empty_typeENS0_5tupleIJS8_S9_EEENSB_IJS8_SA_EEENS0_18inequality_wrapperIZN2at6native12_GLOBAL__N_124unique_dim_cuda_templateItEESt5tupleIJNSF_6TensorESK_SK_EERKSK_lbbbEUlllE0_EEPmJS9_EEE10hipError_tPvRmT3_T4_T5_T6_T7_T9_mT8_P12ihipStream_tbDpT10_ENKUlT_T0_E_clISt17integral_constantIbLb1EES1A_EEDaS15_S16_EUlS15_E_NS1_11comp_targetILNS1_3genE4ELNS1_11target_archE910ELNS1_3gpuE8ELNS1_3repE0EEENS1_30default_config_static_selectorELNS0_4arch9wavefront6targetE0EEEvT1_.has_recursion, 0
	.set _ZN7rocprim17ROCPRIM_400000_NS6detail17trampoline_kernelINS0_14default_configENS1_25partition_config_selectorILNS1_17partition_subalgoE9EllbEEZZNS1_14partition_implILS5_9ELb0ES3_jPlS8_PNS0_10empty_typeENS0_5tupleIJS8_S9_EEENSB_IJS8_SA_EEENS0_18inequality_wrapperIZN2at6native12_GLOBAL__N_124unique_dim_cuda_templateItEESt5tupleIJNSF_6TensorESK_SK_EERKSK_lbbbEUlllE0_EEPmJS9_EEE10hipError_tPvRmT3_T4_T5_T6_T7_T9_mT8_P12ihipStream_tbDpT10_ENKUlT_T0_E_clISt17integral_constantIbLb1EES1A_EEDaS15_S16_EUlS15_E_NS1_11comp_targetILNS1_3genE4ELNS1_11target_archE910ELNS1_3gpuE8ELNS1_3repE0EEENS1_30default_config_static_selectorELNS0_4arch9wavefront6targetE0EEEvT1_.has_indirect_call, 0
	.section	.AMDGPU.csdata,"",@progbits
; Kernel info:
; codeLenInByte = 0
; TotalNumSgprs: 0
; NumVgprs: 0
; ScratchSize: 0
; MemoryBound: 0
; FloatMode: 240
; IeeeMode: 1
; LDSByteSize: 0 bytes/workgroup (compile time only)
; SGPRBlocks: 0
; VGPRBlocks: 0
; NumSGPRsForWavesPerEU: 1
; NumVGPRsForWavesPerEU: 1
; NamedBarCnt: 0
; Occupancy: 16
; WaveLimiterHint : 0
; COMPUTE_PGM_RSRC2:SCRATCH_EN: 0
; COMPUTE_PGM_RSRC2:USER_SGPR: 2
; COMPUTE_PGM_RSRC2:TRAP_HANDLER: 0
; COMPUTE_PGM_RSRC2:TGID_X_EN: 1
; COMPUTE_PGM_RSRC2:TGID_Y_EN: 0
; COMPUTE_PGM_RSRC2:TGID_Z_EN: 0
; COMPUTE_PGM_RSRC2:TIDIG_COMP_CNT: 0
	.section	.text._ZN7rocprim17ROCPRIM_400000_NS6detail17trampoline_kernelINS0_14default_configENS1_25partition_config_selectorILNS1_17partition_subalgoE9EllbEEZZNS1_14partition_implILS5_9ELb0ES3_jPlS8_PNS0_10empty_typeENS0_5tupleIJS8_S9_EEENSB_IJS8_SA_EEENS0_18inequality_wrapperIZN2at6native12_GLOBAL__N_124unique_dim_cuda_templateItEESt5tupleIJNSF_6TensorESK_SK_EERKSK_lbbbEUlllE0_EEPmJS9_EEE10hipError_tPvRmT3_T4_T5_T6_T7_T9_mT8_P12ihipStream_tbDpT10_ENKUlT_T0_E_clISt17integral_constantIbLb1EES1A_EEDaS15_S16_EUlS15_E_NS1_11comp_targetILNS1_3genE3ELNS1_11target_archE908ELNS1_3gpuE7ELNS1_3repE0EEENS1_30default_config_static_selectorELNS0_4arch9wavefront6targetE0EEEvT1_,"axG",@progbits,_ZN7rocprim17ROCPRIM_400000_NS6detail17trampoline_kernelINS0_14default_configENS1_25partition_config_selectorILNS1_17partition_subalgoE9EllbEEZZNS1_14partition_implILS5_9ELb0ES3_jPlS8_PNS0_10empty_typeENS0_5tupleIJS8_S9_EEENSB_IJS8_SA_EEENS0_18inequality_wrapperIZN2at6native12_GLOBAL__N_124unique_dim_cuda_templateItEESt5tupleIJNSF_6TensorESK_SK_EERKSK_lbbbEUlllE0_EEPmJS9_EEE10hipError_tPvRmT3_T4_T5_T6_T7_T9_mT8_P12ihipStream_tbDpT10_ENKUlT_T0_E_clISt17integral_constantIbLb1EES1A_EEDaS15_S16_EUlS15_E_NS1_11comp_targetILNS1_3genE3ELNS1_11target_archE908ELNS1_3gpuE7ELNS1_3repE0EEENS1_30default_config_static_selectorELNS0_4arch9wavefront6targetE0EEEvT1_,comdat
	.globl	_ZN7rocprim17ROCPRIM_400000_NS6detail17trampoline_kernelINS0_14default_configENS1_25partition_config_selectorILNS1_17partition_subalgoE9EllbEEZZNS1_14partition_implILS5_9ELb0ES3_jPlS8_PNS0_10empty_typeENS0_5tupleIJS8_S9_EEENSB_IJS8_SA_EEENS0_18inequality_wrapperIZN2at6native12_GLOBAL__N_124unique_dim_cuda_templateItEESt5tupleIJNSF_6TensorESK_SK_EERKSK_lbbbEUlllE0_EEPmJS9_EEE10hipError_tPvRmT3_T4_T5_T6_T7_T9_mT8_P12ihipStream_tbDpT10_ENKUlT_T0_E_clISt17integral_constantIbLb1EES1A_EEDaS15_S16_EUlS15_E_NS1_11comp_targetILNS1_3genE3ELNS1_11target_archE908ELNS1_3gpuE7ELNS1_3repE0EEENS1_30default_config_static_selectorELNS0_4arch9wavefront6targetE0EEEvT1_ ; -- Begin function _ZN7rocprim17ROCPRIM_400000_NS6detail17trampoline_kernelINS0_14default_configENS1_25partition_config_selectorILNS1_17partition_subalgoE9EllbEEZZNS1_14partition_implILS5_9ELb0ES3_jPlS8_PNS0_10empty_typeENS0_5tupleIJS8_S9_EEENSB_IJS8_SA_EEENS0_18inequality_wrapperIZN2at6native12_GLOBAL__N_124unique_dim_cuda_templateItEESt5tupleIJNSF_6TensorESK_SK_EERKSK_lbbbEUlllE0_EEPmJS9_EEE10hipError_tPvRmT3_T4_T5_T6_T7_T9_mT8_P12ihipStream_tbDpT10_ENKUlT_T0_E_clISt17integral_constantIbLb1EES1A_EEDaS15_S16_EUlS15_E_NS1_11comp_targetILNS1_3genE3ELNS1_11target_archE908ELNS1_3gpuE7ELNS1_3repE0EEENS1_30default_config_static_selectorELNS0_4arch9wavefront6targetE0EEEvT1_
	.p2align	8
	.type	_ZN7rocprim17ROCPRIM_400000_NS6detail17trampoline_kernelINS0_14default_configENS1_25partition_config_selectorILNS1_17partition_subalgoE9EllbEEZZNS1_14partition_implILS5_9ELb0ES3_jPlS8_PNS0_10empty_typeENS0_5tupleIJS8_S9_EEENSB_IJS8_SA_EEENS0_18inequality_wrapperIZN2at6native12_GLOBAL__N_124unique_dim_cuda_templateItEESt5tupleIJNSF_6TensorESK_SK_EERKSK_lbbbEUlllE0_EEPmJS9_EEE10hipError_tPvRmT3_T4_T5_T6_T7_T9_mT8_P12ihipStream_tbDpT10_ENKUlT_T0_E_clISt17integral_constantIbLb1EES1A_EEDaS15_S16_EUlS15_E_NS1_11comp_targetILNS1_3genE3ELNS1_11target_archE908ELNS1_3gpuE7ELNS1_3repE0EEENS1_30default_config_static_selectorELNS0_4arch9wavefront6targetE0EEEvT1_,@function
_ZN7rocprim17ROCPRIM_400000_NS6detail17trampoline_kernelINS0_14default_configENS1_25partition_config_selectorILNS1_17partition_subalgoE9EllbEEZZNS1_14partition_implILS5_9ELb0ES3_jPlS8_PNS0_10empty_typeENS0_5tupleIJS8_S9_EEENSB_IJS8_SA_EEENS0_18inequality_wrapperIZN2at6native12_GLOBAL__N_124unique_dim_cuda_templateItEESt5tupleIJNSF_6TensorESK_SK_EERKSK_lbbbEUlllE0_EEPmJS9_EEE10hipError_tPvRmT3_T4_T5_T6_T7_T9_mT8_P12ihipStream_tbDpT10_ENKUlT_T0_E_clISt17integral_constantIbLb1EES1A_EEDaS15_S16_EUlS15_E_NS1_11comp_targetILNS1_3genE3ELNS1_11target_archE908ELNS1_3gpuE7ELNS1_3repE0EEENS1_30default_config_static_selectorELNS0_4arch9wavefront6targetE0EEEvT1_: ; @_ZN7rocprim17ROCPRIM_400000_NS6detail17trampoline_kernelINS0_14default_configENS1_25partition_config_selectorILNS1_17partition_subalgoE9EllbEEZZNS1_14partition_implILS5_9ELb0ES3_jPlS8_PNS0_10empty_typeENS0_5tupleIJS8_S9_EEENSB_IJS8_SA_EEENS0_18inequality_wrapperIZN2at6native12_GLOBAL__N_124unique_dim_cuda_templateItEESt5tupleIJNSF_6TensorESK_SK_EERKSK_lbbbEUlllE0_EEPmJS9_EEE10hipError_tPvRmT3_T4_T5_T6_T7_T9_mT8_P12ihipStream_tbDpT10_ENKUlT_T0_E_clISt17integral_constantIbLb1EES1A_EEDaS15_S16_EUlS15_E_NS1_11comp_targetILNS1_3genE3ELNS1_11target_archE908ELNS1_3gpuE7ELNS1_3repE0EEENS1_30default_config_static_selectorELNS0_4arch9wavefront6targetE0EEEvT1_
; %bb.0:
	.section	.rodata,"a",@progbits
	.p2align	6, 0x0
	.amdhsa_kernel _ZN7rocprim17ROCPRIM_400000_NS6detail17trampoline_kernelINS0_14default_configENS1_25partition_config_selectorILNS1_17partition_subalgoE9EllbEEZZNS1_14partition_implILS5_9ELb0ES3_jPlS8_PNS0_10empty_typeENS0_5tupleIJS8_S9_EEENSB_IJS8_SA_EEENS0_18inequality_wrapperIZN2at6native12_GLOBAL__N_124unique_dim_cuda_templateItEESt5tupleIJNSF_6TensorESK_SK_EERKSK_lbbbEUlllE0_EEPmJS9_EEE10hipError_tPvRmT3_T4_T5_T6_T7_T9_mT8_P12ihipStream_tbDpT10_ENKUlT_T0_E_clISt17integral_constantIbLb1EES1A_EEDaS15_S16_EUlS15_E_NS1_11comp_targetILNS1_3genE3ELNS1_11target_archE908ELNS1_3gpuE7ELNS1_3repE0EEENS1_30default_config_static_selectorELNS0_4arch9wavefront6targetE0EEEvT1_
		.amdhsa_group_segment_fixed_size 0
		.amdhsa_private_segment_fixed_size 0
		.amdhsa_kernarg_size 136
		.amdhsa_user_sgpr_count 2
		.amdhsa_user_sgpr_dispatch_ptr 0
		.amdhsa_user_sgpr_queue_ptr 0
		.amdhsa_user_sgpr_kernarg_segment_ptr 1
		.amdhsa_user_sgpr_dispatch_id 0
		.amdhsa_user_sgpr_kernarg_preload_length 0
		.amdhsa_user_sgpr_kernarg_preload_offset 0
		.amdhsa_user_sgpr_private_segment_size 0
		.amdhsa_wavefront_size32 1
		.amdhsa_uses_dynamic_stack 0
		.amdhsa_enable_private_segment 0
		.amdhsa_system_sgpr_workgroup_id_x 1
		.amdhsa_system_sgpr_workgroup_id_y 0
		.amdhsa_system_sgpr_workgroup_id_z 0
		.amdhsa_system_sgpr_workgroup_info 0
		.amdhsa_system_vgpr_workitem_id 0
		.amdhsa_next_free_vgpr 1
		.amdhsa_next_free_sgpr 1
		.amdhsa_named_barrier_count 0
		.amdhsa_reserve_vcc 0
		.amdhsa_float_round_mode_32 0
		.amdhsa_float_round_mode_16_64 0
		.amdhsa_float_denorm_mode_32 3
		.amdhsa_float_denorm_mode_16_64 3
		.amdhsa_fp16_overflow 0
		.amdhsa_memory_ordered 1
		.amdhsa_forward_progress 1
		.amdhsa_inst_pref_size 0
		.amdhsa_round_robin_scheduling 0
		.amdhsa_exception_fp_ieee_invalid_op 0
		.amdhsa_exception_fp_denorm_src 0
		.amdhsa_exception_fp_ieee_div_zero 0
		.amdhsa_exception_fp_ieee_overflow 0
		.amdhsa_exception_fp_ieee_underflow 0
		.amdhsa_exception_fp_ieee_inexact 0
		.amdhsa_exception_int_div_zero 0
	.end_amdhsa_kernel
	.section	.text._ZN7rocprim17ROCPRIM_400000_NS6detail17trampoline_kernelINS0_14default_configENS1_25partition_config_selectorILNS1_17partition_subalgoE9EllbEEZZNS1_14partition_implILS5_9ELb0ES3_jPlS8_PNS0_10empty_typeENS0_5tupleIJS8_S9_EEENSB_IJS8_SA_EEENS0_18inequality_wrapperIZN2at6native12_GLOBAL__N_124unique_dim_cuda_templateItEESt5tupleIJNSF_6TensorESK_SK_EERKSK_lbbbEUlllE0_EEPmJS9_EEE10hipError_tPvRmT3_T4_T5_T6_T7_T9_mT8_P12ihipStream_tbDpT10_ENKUlT_T0_E_clISt17integral_constantIbLb1EES1A_EEDaS15_S16_EUlS15_E_NS1_11comp_targetILNS1_3genE3ELNS1_11target_archE908ELNS1_3gpuE7ELNS1_3repE0EEENS1_30default_config_static_selectorELNS0_4arch9wavefront6targetE0EEEvT1_,"axG",@progbits,_ZN7rocprim17ROCPRIM_400000_NS6detail17trampoline_kernelINS0_14default_configENS1_25partition_config_selectorILNS1_17partition_subalgoE9EllbEEZZNS1_14partition_implILS5_9ELb0ES3_jPlS8_PNS0_10empty_typeENS0_5tupleIJS8_S9_EEENSB_IJS8_SA_EEENS0_18inequality_wrapperIZN2at6native12_GLOBAL__N_124unique_dim_cuda_templateItEESt5tupleIJNSF_6TensorESK_SK_EERKSK_lbbbEUlllE0_EEPmJS9_EEE10hipError_tPvRmT3_T4_T5_T6_T7_T9_mT8_P12ihipStream_tbDpT10_ENKUlT_T0_E_clISt17integral_constantIbLb1EES1A_EEDaS15_S16_EUlS15_E_NS1_11comp_targetILNS1_3genE3ELNS1_11target_archE908ELNS1_3gpuE7ELNS1_3repE0EEENS1_30default_config_static_selectorELNS0_4arch9wavefront6targetE0EEEvT1_,comdat
.Lfunc_end1462:
	.size	_ZN7rocprim17ROCPRIM_400000_NS6detail17trampoline_kernelINS0_14default_configENS1_25partition_config_selectorILNS1_17partition_subalgoE9EllbEEZZNS1_14partition_implILS5_9ELb0ES3_jPlS8_PNS0_10empty_typeENS0_5tupleIJS8_S9_EEENSB_IJS8_SA_EEENS0_18inequality_wrapperIZN2at6native12_GLOBAL__N_124unique_dim_cuda_templateItEESt5tupleIJNSF_6TensorESK_SK_EERKSK_lbbbEUlllE0_EEPmJS9_EEE10hipError_tPvRmT3_T4_T5_T6_T7_T9_mT8_P12ihipStream_tbDpT10_ENKUlT_T0_E_clISt17integral_constantIbLb1EES1A_EEDaS15_S16_EUlS15_E_NS1_11comp_targetILNS1_3genE3ELNS1_11target_archE908ELNS1_3gpuE7ELNS1_3repE0EEENS1_30default_config_static_selectorELNS0_4arch9wavefront6targetE0EEEvT1_, .Lfunc_end1462-_ZN7rocprim17ROCPRIM_400000_NS6detail17trampoline_kernelINS0_14default_configENS1_25partition_config_selectorILNS1_17partition_subalgoE9EllbEEZZNS1_14partition_implILS5_9ELb0ES3_jPlS8_PNS0_10empty_typeENS0_5tupleIJS8_S9_EEENSB_IJS8_SA_EEENS0_18inequality_wrapperIZN2at6native12_GLOBAL__N_124unique_dim_cuda_templateItEESt5tupleIJNSF_6TensorESK_SK_EERKSK_lbbbEUlllE0_EEPmJS9_EEE10hipError_tPvRmT3_T4_T5_T6_T7_T9_mT8_P12ihipStream_tbDpT10_ENKUlT_T0_E_clISt17integral_constantIbLb1EES1A_EEDaS15_S16_EUlS15_E_NS1_11comp_targetILNS1_3genE3ELNS1_11target_archE908ELNS1_3gpuE7ELNS1_3repE0EEENS1_30default_config_static_selectorELNS0_4arch9wavefront6targetE0EEEvT1_
                                        ; -- End function
	.set _ZN7rocprim17ROCPRIM_400000_NS6detail17trampoline_kernelINS0_14default_configENS1_25partition_config_selectorILNS1_17partition_subalgoE9EllbEEZZNS1_14partition_implILS5_9ELb0ES3_jPlS8_PNS0_10empty_typeENS0_5tupleIJS8_S9_EEENSB_IJS8_SA_EEENS0_18inequality_wrapperIZN2at6native12_GLOBAL__N_124unique_dim_cuda_templateItEESt5tupleIJNSF_6TensorESK_SK_EERKSK_lbbbEUlllE0_EEPmJS9_EEE10hipError_tPvRmT3_T4_T5_T6_T7_T9_mT8_P12ihipStream_tbDpT10_ENKUlT_T0_E_clISt17integral_constantIbLb1EES1A_EEDaS15_S16_EUlS15_E_NS1_11comp_targetILNS1_3genE3ELNS1_11target_archE908ELNS1_3gpuE7ELNS1_3repE0EEENS1_30default_config_static_selectorELNS0_4arch9wavefront6targetE0EEEvT1_.num_vgpr, 0
	.set _ZN7rocprim17ROCPRIM_400000_NS6detail17trampoline_kernelINS0_14default_configENS1_25partition_config_selectorILNS1_17partition_subalgoE9EllbEEZZNS1_14partition_implILS5_9ELb0ES3_jPlS8_PNS0_10empty_typeENS0_5tupleIJS8_S9_EEENSB_IJS8_SA_EEENS0_18inequality_wrapperIZN2at6native12_GLOBAL__N_124unique_dim_cuda_templateItEESt5tupleIJNSF_6TensorESK_SK_EERKSK_lbbbEUlllE0_EEPmJS9_EEE10hipError_tPvRmT3_T4_T5_T6_T7_T9_mT8_P12ihipStream_tbDpT10_ENKUlT_T0_E_clISt17integral_constantIbLb1EES1A_EEDaS15_S16_EUlS15_E_NS1_11comp_targetILNS1_3genE3ELNS1_11target_archE908ELNS1_3gpuE7ELNS1_3repE0EEENS1_30default_config_static_selectorELNS0_4arch9wavefront6targetE0EEEvT1_.num_agpr, 0
	.set _ZN7rocprim17ROCPRIM_400000_NS6detail17trampoline_kernelINS0_14default_configENS1_25partition_config_selectorILNS1_17partition_subalgoE9EllbEEZZNS1_14partition_implILS5_9ELb0ES3_jPlS8_PNS0_10empty_typeENS0_5tupleIJS8_S9_EEENSB_IJS8_SA_EEENS0_18inequality_wrapperIZN2at6native12_GLOBAL__N_124unique_dim_cuda_templateItEESt5tupleIJNSF_6TensorESK_SK_EERKSK_lbbbEUlllE0_EEPmJS9_EEE10hipError_tPvRmT3_T4_T5_T6_T7_T9_mT8_P12ihipStream_tbDpT10_ENKUlT_T0_E_clISt17integral_constantIbLb1EES1A_EEDaS15_S16_EUlS15_E_NS1_11comp_targetILNS1_3genE3ELNS1_11target_archE908ELNS1_3gpuE7ELNS1_3repE0EEENS1_30default_config_static_selectorELNS0_4arch9wavefront6targetE0EEEvT1_.numbered_sgpr, 0
	.set _ZN7rocprim17ROCPRIM_400000_NS6detail17trampoline_kernelINS0_14default_configENS1_25partition_config_selectorILNS1_17partition_subalgoE9EllbEEZZNS1_14partition_implILS5_9ELb0ES3_jPlS8_PNS0_10empty_typeENS0_5tupleIJS8_S9_EEENSB_IJS8_SA_EEENS0_18inequality_wrapperIZN2at6native12_GLOBAL__N_124unique_dim_cuda_templateItEESt5tupleIJNSF_6TensorESK_SK_EERKSK_lbbbEUlllE0_EEPmJS9_EEE10hipError_tPvRmT3_T4_T5_T6_T7_T9_mT8_P12ihipStream_tbDpT10_ENKUlT_T0_E_clISt17integral_constantIbLb1EES1A_EEDaS15_S16_EUlS15_E_NS1_11comp_targetILNS1_3genE3ELNS1_11target_archE908ELNS1_3gpuE7ELNS1_3repE0EEENS1_30default_config_static_selectorELNS0_4arch9wavefront6targetE0EEEvT1_.num_named_barrier, 0
	.set _ZN7rocprim17ROCPRIM_400000_NS6detail17trampoline_kernelINS0_14default_configENS1_25partition_config_selectorILNS1_17partition_subalgoE9EllbEEZZNS1_14partition_implILS5_9ELb0ES3_jPlS8_PNS0_10empty_typeENS0_5tupleIJS8_S9_EEENSB_IJS8_SA_EEENS0_18inequality_wrapperIZN2at6native12_GLOBAL__N_124unique_dim_cuda_templateItEESt5tupleIJNSF_6TensorESK_SK_EERKSK_lbbbEUlllE0_EEPmJS9_EEE10hipError_tPvRmT3_T4_T5_T6_T7_T9_mT8_P12ihipStream_tbDpT10_ENKUlT_T0_E_clISt17integral_constantIbLb1EES1A_EEDaS15_S16_EUlS15_E_NS1_11comp_targetILNS1_3genE3ELNS1_11target_archE908ELNS1_3gpuE7ELNS1_3repE0EEENS1_30default_config_static_selectorELNS0_4arch9wavefront6targetE0EEEvT1_.private_seg_size, 0
	.set _ZN7rocprim17ROCPRIM_400000_NS6detail17trampoline_kernelINS0_14default_configENS1_25partition_config_selectorILNS1_17partition_subalgoE9EllbEEZZNS1_14partition_implILS5_9ELb0ES3_jPlS8_PNS0_10empty_typeENS0_5tupleIJS8_S9_EEENSB_IJS8_SA_EEENS0_18inequality_wrapperIZN2at6native12_GLOBAL__N_124unique_dim_cuda_templateItEESt5tupleIJNSF_6TensorESK_SK_EERKSK_lbbbEUlllE0_EEPmJS9_EEE10hipError_tPvRmT3_T4_T5_T6_T7_T9_mT8_P12ihipStream_tbDpT10_ENKUlT_T0_E_clISt17integral_constantIbLb1EES1A_EEDaS15_S16_EUlS15_E_NS1_11comp_targetILNS1_3genE3ELNS1_11target_archE908ELNS1_3gpuE7ELNS1_3repE0EEENS1_30default_config_static_selectorELNS0_4arch9wavefront6targetE0EEEvT1_.uses_vcc, 0
	.set _ZN7rocprim17ROCPRIM_400000_NS6detail17trampoline_kernelINS0_14default_configENS1_25partition_config_selectorILNS1_17partition_subalgoE9EllbEEZZNS1_14partition_implILS5_9ELb0ES3_jPlS8_PNS0_10empty_typeENS0_5tupleIJS8_S9_EEENSB_IJS8_SA_EEENS0_18inequality_wrapperIZN2at6native12_GLOBAL__N_124unique_dim_cuda_templateItEESt5tupleIJNSF_6TensorESK_SK_EERKSK_lbbbEUlllE0_EEPmJS9_EEE10hipError_tPvRmT3_T4_T5_T6_T7_T9_mT8_P12ihipStream_tbDpT10_ENKUlT_T0_E_clISt17integral_constantIbLb1EES1A_EEDaS15_S16_EUlS15_E_NS1_11comp_targetILNS1_3genE3ELNS1_11target_archE908ELNS1_3gpuE7ELNS1_3repE0EEENS1_30default_config_static_selectorELNS0_4arch9wavefront6targetE0EEEvT1_.uses_flat_scratch, 0
	.set _ZN7rocprim17ROCPRIM_400000_NS6detail17trampoline_kernelINS0_14default_configENS1_25partition_config_selectorILNS1_17partition_subalgoE9EllbEEZZNS1_14partition_implILS5_9ELb0ES3_jPlS8_PNS0_10empty_typeENS0_5tupleIJS8_S9_EEENSB_IJS8_SA_EEENS0_18inequality_wrapperIZN2at6native12_GLOBAL__N_124unique_dim_cuda_templateItEESt5tupleIJNSF_6TensorESK_SK_EERKSK_lbbbEUlllE0_EEPmJS9_EEE10hipError_tPvRmT3_T4_T5_T6_T7_T9_mT8_P12ihipStream_tbDpT10_ENKUlT_T0_E_clISt17integral_constantIbLb1EES1A_EEDaS15_S16_EUlS15_E_NS1_11comp_targetILNS1_3genE3ELNS1_11target_archE908ELNS1_3gpuE7ELNS1_3repE0EEENS1_30default_config_static_selectorELNS0_4arch9wavefront6targetE0EEEvT1_.has_dyn_sized_stack, 0
	.set _ZN7rocprim17ROCPRIM_400000_NS6detail17trampoline_kernelINS0_14default_configENS1_25partition_config_selectorILNS1_17partition_subalgoE9EllbEEZZNS1_14partition_implILS5_9ELb0ES3_jPlS8_PNS0_10empty_typeENS0_5tupleIJS8_S9_EEENSB_IJS8_SA_EEENS0_18inequality_wrapperIZN2at6native12_GLOBAL__N_124unique_dim_cuda_templateItEESt5tupleIJNSF_6TensorESK_SK_EERKSK_lbbbEUlllE0_EEPmJS9_EEE10hipError_tPvRmT3_T4_T5_T6_T7_T9_mT8_P12ihipStream_tbDpT10_ENKUlT_T0_E_clISt17integral_constantIbLb1EES1A_EEDaS15_S16_EUlS15_E_NS1_11comp_targetILNS1_3genE3ELNS1_11target_archE908ELNS1_3gpuE7ELNS1_3repE0EEENS1_30default_config_static_selectorELNS0_4arch9wavefront6targetE0EEEvT1_.has_recursion, 0
	.set _ZN7rocprim17ROCPRIM_400000_NS6detail17trampoline_kernelINS0_14default_configENS1_25partition_config_selectorILNS1_17partition_subalgoE9EllbEEZZNS1_14partition_implILS5_9ELb0ES3_jPlS8_PNS0_10empty_typeENS0_5tupleIJS8_S9_EEENSB_IJS8_SA_EEENS0_18inequality_wrapperIZN2at6native12_GLOBAL__N_124unique_dim_cuda_templateItEESt5tupleIJNSF_6TensorESK_SK_EERKSK_lbbbEUlllE0_EEPmJS9_EEE10hipError_tPvRmT3_T4_T5_T6_T7_T9_mT8_P12ihipStream_tbDpT10_ENKUlT_T0_E_clISt17integral_constantIbLb1EES1A_EEDaS15_S16_EUlS15_E_NS1_11comp_targetILNS1_3genE3ELNS1_11target_archE908ELNS1_3gpuE7ELNS1_3repE0EEENS1_30default_config_static_selectorELNS0_4arch9wavefront6targetE0EEEvT1_.has_indirect_call, 0
	.section	.AMDGPU.csdata,"",@progbits
; Kernel info:
; codeLenInByte = 0
; TotalNumSgprs: 0
; NumVgprs: 0
; ScratchSize: 0
; MemoryBound: 0
; FloatMode: 240
; IeeeMode: 1
; LDSByteSize: 0 bytes/workgroup (compile time only)
; SGPRBlocks: 0
; VGPRBlocks: 0
; NumSGPRsForWavesPerEU: 1
; NumVGPRsForWavesPerEU: 1
; NamedBarCnt: 0
; Occupancy: 16
; WaveLimiterHint : 0
; COMPUTE_PGM_RSRC2:SCRATCH_EN: 0
; COMPUTE_PGM_RSRC2:USER_SGPR: 2
; COMPUTE_PGM_RSRC2:TRAP_HANDLER: 0
; COMPUTE_PGM_RSRC2:TGID_X_EN: 1
; COMPUTE_PGM_RSRC2:TGID_Y_EN: 0
; COMPUTE_PGM_RSRC2:TGID_Z_EN: 0
; COMPUTE_PGM_RSRC2:TIDIG_COMP_CNT: 0
	.section	.text._ZN7rocprim17ROCPRIM_400000_NS6detail17trampoline_kernelINS0_14default_configENS1_25partition_config_selectorILNS1_17partition_subalgoE9EllbEEZZNS1_14partition_implILS5_9ELb0ES3_jPlS8_PNS0_10empty_typeENS0_5tupleIJS8_S9_EEENSB_IJS8_SA_EEENS0_18inequality_wrapperIZN2at6native12_GLOBAL__N_124unique_dim_cuda_templateItEESt5tupleIJNSF_6TensorESK_SK_EERKSK_lbbbEUlllE0_EEPmJS9_EEE10hipError_tPvRmT3_T4_T5_T6_T7_T9_mT8_P12ihipStream_tbDpT10_ENKUlT_T0_E_clISt17integral_constantIbLb1EES1A_EEDaS15_S16_EUlS15_E_NS1_11comp_targetILNS1_3genE2ELNS1_11target_archE906ELNS1_3gpuE6ELNS1_3repE0EEENS1_30default_config_static_selectorELNS0_4arch9wavefront6targetE0EEEvT1_,"axG",@progbits,_ZN7rocprim17ROCPRIM_400000_NS6detail17trampoline_kernelINS0_14default_configENS1_25partition_config_selectorILNS1_17partition_subalgoE9EllbEEZZNS1_14partition_implILS5_9ELb0ES3_jPlS8_PNS0_10empty_typeENS0_5tupleIJS8_S9_EEENSB_IJS8_SA_EEENS0_18inequality_wrapperIZN2at6native12_GLOBAL__N_124unique_dim_cuda_templateItEESt5tupleIJNSF_6TensorESK_SK_EERKSK_lbbbEUlllE0_EEPmJS9_EEE10hipError_tPvRmT3_T4_T5_T6_T7_T9_mT8_P12ihipStream_tbDpT10_ENKUlT_T0_E_clISt17integral_constantIbLb1EES1A_EEDaS15_S16_EUlS15_E_NS1_11comp_targetILNS1_3genE2ELNS1_11target_archE906ELNS1_3gpuE6ELNS1_3repE0EEENS1_30default_config_static_selectorELNS0_4arch9wavefront6targetE0EEEvT1_,comdat
	.globl	_ZN7rocprim17ROCPRIM_400000_NS6detail17trampoline_kernelINS0_14default_configENS1_25partition_config_selectorILNS1_17partition_subalgoE9EllbEEZZNS1_14partition_implILS5_9ELb0ES3_jPlS8_PNS0_10empty_typeENS0_5tupleIJS8_S9_EEENSB_IJS8_SA_EEENS0_18inequality_wrapperIZN2at6native12_GLOBAL__N_124unique_dim_cuda_templateItEESt5tupleIJNSF_6TensorESK_SK_EERKSK_lbbbEUlllE0_EEPmJS9_EEE10hipError_tPvRmT3_T4_T5_T6_T7_T9_mT8_P12ihipStream_tbDpT10_ENKUlT_T0_E_clISt17integral_constantIbLb1EES1A_EEDaS15_S16_EUlS15_E_NS1_11comp_targetILNS1_3genE2ELNS1_11target_archE906ELNS1_3gpuE6ELNS1_3repE0EEENS1_30default_config_static_selectorELNS0_4arch9wavefront6targetE0EEEvT1_ ; -- Begin function _ZN7rocprim17ROCPRIM_400000_NS6detail17trampoline_kernelINS0_14default_configENS1_25partition_config_selectorILNS1_17partition_subalgoE9EllbEEZZNS1_14partition_implILS5_9ELb0ES3_jPlS8_PNS0_10empty_typeENS0_5tupleIJS8_S9_EEENSB_IJS8_SA_EEENS0_18inequality_wrapperIZN2at6native12_GLOBAL__N_124unique_dim_cuda_templateItEESt5tupleIJNSF_6TensorESK_SK_EERKSK_lbbbEUlllE0_EEPmJS9_EEE10hipError_tPvRmT3_T4_T5_T6_T7_T9_mT8_P12ihipStream_tbDpT10_ENKUlT_T0_E_clISt17integral_constantIbLb1EES1A_EEDaS15_S16_EUlS15_E_NS1_11comp_targetILNS1_3genE2ELNS1_11target_archE906ELNS1_3gpuE6ELNS1_3repE0EEENS1_30default_config_static_selectorELNS0_4arch9wavefront6targetE0EEEvT1_
	.p2align	8
	.type	_ZN7rocprim17ROCPRIM_400000_NS6detail17trampoline_kernelINS0_14default_configENS1_25partition_config_selectorILNS1_17partition_subalgoE9EllbEEZZNS1_14partition_implILS5_9ELb0ES3_jPlS8_PNS0_10empty_typeENS0_5tupleIJS8_S9_EEENSB_IJS8_SA_EEENS0_18inequality_wrapperIZN2at6native12_GLOBAL__N_124unique_dim_cuda_templateItEESt5tupleIJNSF_6TensorESK_SK_EERKSK_lbbbEUlllE0_EEPmJS9_EEE10hipError_tPvRmT3_T4_T5_T6_T7_T9_mT8_P12ihipStream_tbDpT10_ENKUlT_T0_E_clISt17integral_constantIbLb1EES1A_EEDaS15_S16_EUlS15_E_NS1_11comp_targetILNS1_3genE2ELNS1_11target_archE906ELNS1_3gpuE6ELNS1_3repE0EEENS1_30default_config_static_selectorELNS0_4arch9wavefront6targetE0EEEvT1_,@function
_ZN7rocprim17ROCPRIM_400000_NS6detail17trampoline_kernelINS0_14default_configENS1_25partition_config_selectorILNS1_17partition_subalgoE9EllbEEZZNS1_14partition_implILS5_9ELb0ES3_jPlS8_PNS0_10empty_typeENS0_5tupleIJS8_S9_EEENSB_IJS8_SA_EEENS0_18inequality_wrapperIZN2at6native12_GLOBAL__N_124unique_dim_cuda_templateItEESt5tupleIJNSF_6TensorESK_SK_EERKSK_lbbbEUlllE0_EEPmJS9_EEE10hipError_tPvRmT3_T4_T5_T6_T7_T9_mT8_P12ihipStream_tbDpT10_ENKUlT_T0_E_clISt17integral_constantIbLb1EES1A_EEDaS15_S16_EUlS15_E_NS1_11comp_targetILNS1_3genE2ELNS1_11target_archE906ELNS1_3gpuE6ELNS1_3repE0EEENS1_30default_config_static_selectorELNS0_4arch9wavefront6targetE0EEEvT1_: ; @_ZN7rocprim17ROCPRIM_400000_NS6detail17trampoline_kernelINS0_14default_configENS1_25partition_config_selectorILNS1_17partition_subalgoE9EllbEEZZNS1_14partition_implILS5_9ELb0ES3_jPlS8_PNS0_10empty_typeENS0_5tupleIJS8_S9_EEENSB_IJS8_SA_EEENS0_18inequality_wrapperIZN2at6native12_GLOBAL__N_124unique_dim_cuda_templateItEESt5tupleIJNSF_6TensorESK_SK_EERKSK_lbbbEUlllE0_EEPmJS9_EEE10hipError_tPvRmT3_T4_T5_T6_T7_T9_mT8_P12ihipStream_tbDpT10_ENKUlT_T0_E_clISt17integral_constantIbLb1EES1A_EEDaS15_S16_EUlS15_E_NS1_11comp_targetILNS1_3genE2ELNS1_11target_archE906ELNS1_3gpuE6ELNS1_3repE0EEENS1_30default_config_static_selectorELNS0_4arch9wavefront6targetE0EEEvT1_
; %bb.0:
	.section	.rodata,"a",@progbits
	.p2align	6, 0x0
	.amdhsa_kernel _ZN7rocprim17ROCPRIM_400000_NS6detail17trampoline_kernelINS0_14default_configENS1_25partition_config_selectorILNS1_17partition_subalgoE9EllbEEZZNS1_14partition_implILS5_9ELb0ES3_jPlS8_PNS0_10empty_typeENS0_5tupleIJS8_S9_EEENSB_IJS8_SA_EEENS0_18inequality_wrapperIZN2at6native12_GLOBAL__N_124unique_dim_cuda_templateItEESt5tupleIJNSF_6TensorESK_SK_EERKSK_lbbbEUlllE0_EEPmJS9_EEE10hipError_tPvRmT3_T4_T5_T6_T7_T9_mT8_P12ihipStream_tbDpT10_ENKUlT_T0_E_clISt17integral_constantIbLb1EES1A_EEDaS15_S16_EUlS15_E_NS1_11comp_targetILNS1_3genE2ELNS1_11target_archE906ELNS1_3gpuE6ELNS1_3repE0EEENS1_30default_config_static_selectorELNS0_4arch9wavefront6targetE0EEEvT1_
		.amdhsa_group_segment_fixed_size 0
		.amdhsa_private_segment_fixed_size 0
		.amdhsa_kernarg_size 136
		.amdhsa_user_sgpr_count 2
		.amdhsa_user_sgpr_dispatch_ptr 0
		.amdhsa_user_sgpr_queue_ptr 0
		.amdhsa_user_sgpr_kernarg_segment_ptr 1
		.amdhsa_user_sgpr_dispatch_id 0
		.amdhsa_user_sgpr_kernarg_preload_length 0
		.amdhsa_user_sgpr_kernarg_preload_offset 0
		.amdhsa_user_sgpr_private_segment_size 0
		.amdhsa_wavefront_size32 1
		.amdhsa_uses_dynamic_stack 0
		.amdhsa_enable_private_segment 0
		.amdhsa_system_sgpr_workgroup_id_x 1
		.amdhsa_system_sgpr_workgroup_id_y 0
		.amdhsa_system_sgpr_workgroup_id_z 0
		.amdhsa_system_sgpr_workgroup_info 0
		.amdhsa_system_vgpr_workitem_id 0
		.amdhsa_next_free_vgpr 1
		.amdhsa_next_free_sgpr 1
		.amdhsa_named_barrier_count 0
		.amdhsa_reserve_vcc 0
		.amdhsa_float_round_mode_32 0
		.amdhsa_float_round_mode_16_64 0
		.amdhsa_float_denorm_mode_32 3
		.amdhsa_float_denorm_mode_16_64 3
		.amdhsa_fp16_overflow 0
		.amdhsa_memory_ordered 1
		.amdhsa_forward_progress 1
		.amdhsa_inst_pref_size 0
		.amdhsa_round_robin_scheduling 0
		.amdhsa_exception_fp_ieee_invalid_op 0
		.amdhsa_exception_fp_denorm_src 0
		.amdhsa_exception_fp_ieee_div_zero 0
		.amdhsa_exception_fp_ieee_overflow 0
		.amdhsa_exception_fp_ieee_underflow 0
		.amdhsa_exception_fp_ieee_inexact 0
		.amdhsa_exception_int_div_zero 0
	.end_amdhsa_kernel
	.section	.text._ZN7rocprim17ROCPRIM_400000_NS6detail17trampoline_kernelINS0_14default_configENS1_25partition_config_selectorILNS1_17partition_subalgoE9EllbEEZZNS1_14partition_implILS5_9ELb0ES3_jPlS8_PNS0_10empty_typeENS0_5tupleIJS8_S9_EEENSB_IJS8_SA_EEENS0_18inequality_wrapperIZN2at6native12_GLOBAL__N_124unique_dim_cuda_templateItEESt5tupleIJNSF_6TensorESK_SK_EERKSK_lbbbEUlllE0_EEPmJS9_EEE10hipError_tPvRmT3_T4_T5_T6_T7_T9_mT8_P12ihipStream_tbDpT10_ENKUlT_T0_E_clISt17integral_constantIbLb1EES1A_EEDaS15_S16_EUlS15_E_NS1_11comp_targetILNS1_3genE2ELNS1_11target_archE906ELNS1_3gpuE6ELNS1_3repE0EEENS1_30default_config_static_selectorELNS0_4arch9wavefront6targetE0EEEvT1_,"axG",@progbits,_ZN7rocprim17ROCPRIM_400000_NS6detail17trampoline_kernelINS0_14default_configENS1_25partition_config_selectorILNS1_17partition_subalgoE9EllbEEZZNS1_14partition_implILS5_9ELb0ES3_jPlS8_PNS0_10empty_typeENS0_5tupleIJS8_S9_EEENSB_IJS8_SA_EEENS0_18inequality_wrapperIZN2at6native12_GLOBAL__N_124unique_dim_cuda_templateItEESt5tupleIJNSF_6TensorESK_SK_EERKSK_lbbbEUlllE0_EEPmJS9_EEE10hipError_tPvRmT3_T4_T5_T6_T7_T9_mT8_P12ihipStream_tbDpT10_ENKUlT_T0_E_clISt17integral_constantIbLb1EES1A_EEDaS15_S16_EUlS15_E_NS1_11comp_targetILNS1_3genE2ELNS1_11target_archE906ELNS1_3gpuE6ELNS1_3repE0EEENS1_30default_config_static_selectorELNS0_4arch9wavefront6targetE0EEEvT1_,comdat
.Lfunc_end1463:
	.size	_ZN7rocprim17ROCPRIM_400000_NS6detail17trampoline_kernelINS0_14default_configENS1_25partition_config_selectorILNS1_17partition_subalgoE9EllbEEZZNS1_14partition_implILS5_9ELb0ES3_jPlS8_PNS0_10empty_typeENS0_5tupleIJS8_S9_EEENSB_IJS8_SA_EEENS0_18inequality_wrapperIZN2at6native12_GLOBAL__N_124unique_dim_cuda_templateItEESt5tupleIJNSF_6TensorESK_SK_EERKSK_lbbbEUlllE0_EEPmJS9_EEE10hipError_tPvRmT3_T4_T5_T6_T7_T9_mT8_P12ihipStream_tbDpT10_ENKUlT_T0_E_clISt17integral_constantIbLb1EES1A_EEDaS15_S16_EUlS15_E_NS1_11comp_targetILNS1_3genE2ELNS1_11target_archE906ELNS1_3gpuE6ELNS1_3repE0EEENS1_30default_config_static_selectorELNS0_4arch9wavefront6targetE0EEEvT1_, .Lfunc_end1463-_ZN7rocprim17ROCPRIM_400000_NS6detail17trampoline_kernelINS0_14default_configENS1_25partition_config_selectorILNS1_17partition_subalgoE9EllbEEZZNS1_14partition_implILS5_9ELb0ES3_jPlS8_PNS0_10empty_typeENS0_5tupleIJS8_S9_EEENSB_IJS8_SA_EEENS0_18inequality_wrapperIZN2at6native12_GLOBAL__N_124unique_dim_cuda_templateItEESt5tupleIJNSF_6TensorESK_SK_EERKSK_lbbbEUlllE0_EEPmJS9_EEE10hipError_tPvRmT3_T4_T5_T6_T7_T9_mT8_P12ihipStream_tbDpT10_ENKUlT_T0_E_clISt17integral_constantIbLb1EES1A_EEDaS15_S16_EUlS15_E_NS1_11comp_targetILNS1_3genE2ELNS1_11target_archE906ELNS1_3gpuE6ELNS1_3repE0EEENS1_30default_config_static_selectorELNS0_4arch9wavefront6targetE0EEEvT1_
                                        ; -- End function
	.set _ZN7rocprim17ROCPRIM_400000_NS6detail17trampoline_kernelINS0_14default_configENS1_25partition_config_selectorILNS1_17partition_subalgoE9EllbEEZZNS1_14partition_implILS5_9ELb0ES3_jPlS8_PNS0_10empty_typeENS0_5tupleIJS8_S9_EEENSB_IJS8_SA_EEENS0_18inequality_wrapperIZN2at6native12_GLOBAL__N_124unique_dim_cuda_templateItEESt5tupleIJNSF_6TensorESK_SK_EERKSK_lbbbEUlllE0_EEPmJS9_EEE10hipError_tPvRmT3_T4_T5_T6_T7_T9_mT8_P12ihipStream_tbDpT10_ENKUlT_T0_E_clISt17integral_constantIbLb1EES1A_EEDaS15_S16_EUlS15_E_NS1_11comp_targetILNS1_3genE2ELNS1_11target_archE906ELNS1_3gpuE6ELNS1_3repE0EEENS1_30default_config_static_selectorELNS0_4arch9wavefront6targetE0EEEvT1_.num_vgpr, 0
	.set _ZN7rocprim17ROCPRIM_400000_NS6detail17trampoline_kernelINS0_14default_configENS1_25partition_config_selectorILNS1_17partition_subalgoE9EllbEEZZNS1_14partition_implILS5_9ELb0ES3_jPlS8_PNS0_10empty_typeENS0_5tupleIJS8_S9_EEENSB_IJS8_SA_EEENS0_18inequality_wrapperIZN2at6native12_GLOBAL__N_124unique_dim_cuda_templateItEESt5tupleIJNSF_6TensorESK_SK_EERKSK_lbbbEUlllE0_EEPmJS9_EEE10hipError_tPvRmT3_T4_T5_T6_T7_T9_mT8_P12ihipStream_tbDpT10_ENKUlT_T0_E_clISt17integral_constantIbLb1EES1A_EEDaS15_S16_EUlS15_E_NS1_11comp_targetILNS1_3genE2ELNS1_11target_archE906ELNS1_3gpuE6ELNS1_3repE0EEENS1_30default_config_static_selectorELNS0_4arch9wavefront6targetE0EEEvT1_.num_agpr, 0
	.set _ZN7rocprim17ROCPRIM_400000_NS6detail17trampoline_kernelINS0_14default_configENS1_25partition_config_selectorILNS1_17partition_subalgoE9EllbEEZZNS1_14partition_implILS5_9ELb0ES3_jPlS8_PNS0_10empty_typeENS0_5tupleIJS8_S9_EEENSB_IJS8_SA_EEENS0_18inequality_wrapperIZN2at6native12_GLOBAL__N_124unique_dim_cuda_templateItEESt5tupleIJNSF_6TensorESK_SK_EERKSK_lbbbEUlllE0_EEPmJS9_EEE10hipError_tPvRmT3_T4_T5_T6_T7_T9_mT8_P12ihipStream_tbDpT10_ENKUlT_T0_E_clISt17integral_constantIbLb1EES1A_EEDaS15_S16_EUlS15_E_NS1_11comp_targetILNS1_3genE2ELNS1_11target_archE906ELNS1_3gpuE6ELNS1_3repE0EEENS1_30default_config_static_selectorELNS0_4arch9wavefront6targetE0EEEvT1_.numbered_sgpr, 0
	.set _ZN7rocprim17ROCPRIM_400000_NS6detail17trampoline_kernelINS0_14default_configENS1_25partition_config_selectorILNS1_17partition_subalgoE9EllbEEZZNS1_14partition_implILS5_9ELb0ES3_jPlS8_PNS0_10empty_typeENS0_5tupleIJS8_S9_EEENSB_IJS8_SA_EEENS0_18inequality_wrapperIZN2at6native12_GLOBAL__N_124unique_dim_cuda_templateItEESt5tupleIJNSF_6TensorESK_SK_EERKSK_lbbbEUlllE0_EEPmJS9_EEE10hipError_tPvRmT3_T4_T5_T6_T7_T9_mT8_P12ihipStream_tbDpT10_ENKUlT_T0_E_clISt17integral_constantIbLb1EES1A_EEDaS15_S16_EUlS15_E_NS1_11comp_targetILNS1_3genE2ELNS1_11target_archE906ELNS1_3gpuE6ELNS1_3repE0EEENS1_30default_config_static_selectorELNS0_4arch9wavefront6targetE0EEEvT1_.num_named_barrier, 0
	.set _ZN7rocprim17ROCPRIM_400000_NS6detail17trampoline_kernelINS0_14default_configENS1_25partition_config_selectorILNS1_17partition_subalgoE9EllbEEZZNS1_14partition_implILS5_9ELb0ES3_jPlS8_PNS0_10empty_typeENS0_5tupleIJS8_S9_EEENSB_IJS8_SA_EEENS0_18inequality_wrapperIZN2at6native12_GLOBAL__N_124unique_dim_cuda_templateItEESt5tupleIJNSF_6TensorESK_SK_EERKSK_lbbbEUlllE0_EEPmJS9_EEE10hipError_tPvRmT3_T4_T5_T6_T7_T9_mT8_P12ihipStream_tbDpT10_ENKUlT_T0_E_clISt17integral_constantIbLb1EES1A_EEDaS15_S16_EUlS15_E_NS1_11comp_targetILNS1_3genE2ELNS1_11target_archE906ELNS1_3gpuE6ELNS1_3repE0EEENS1_30default_config_static_selectorELNS0_4arch9wavefront6targetE0EEEvT1_.private_seg_size, 0
	.set _ZN7rocprim17ROCPRIM_400000_NS6detail17trampoline_kernelINS0_14default_configENS1_25partition_config_selectorILNS1_17partition_subalgoE9EllbEEZZNS1_14partition_implILS5_9ELb0ES3_jPlS8_PNS0_10empty_typeENS0_5tupleIJS8_S9_EEENSB_IJS8_SA_EEENS0_18inequality_wrapperIZN2at6native12_GLOBAL__N_124unique_dim_cuda_templateItEESt5tupleIJNSF_6TensorESK_SK_EERKSK_lbbbEUlllE0_EEPmJS9_EEE10hipError_tPvRmT3_T4_T5_T6_T7_T9_mT8_P12ihipStream_tbDpT10_ENKUlT_T0_E_clISt17integral_constantIbLb1EES1A_EEDaS15_S16_EUlS15_E_NS1_11comp_targetILNS1_3genE2ELNS1_11target_archE906ELNS1_3gpuE6ELNS1_3repE0EEENS1_30default_config_static_selectorELNS0_4arch9wavefront6targetE0EEEvT1_.uses_vcc, 0
	.set _ZN7rocprim17ROCPRIM_400000_NS6detail17trampoline_kernelINS0_14default_configENS1_25partition_config_selectorILNS1_17partition_subalgoE9EllbEEZZNS1_14partition_implILS5_9ELb0ES3_jPlS8_PNS0_10empty_typeENS0_5tupleIJS8_S9_EEENSB_IJS8_SA_EEENS0_18inequality_wrapperIZN2at6native12_GLOBAL__N_124unique_dim_cuda_templateItEESt5tupleIJNSF_6TensorESK_SK_EERKSK_lbbbEUlllE0_EEPmJS9_EEE10hipError_tPvRmT3_T4_T5_T6_T7_T9_mT8_P12ihipStream_tbDpT10_ENKUlT_T0_E_clISt17integral_constantIbLb1EES1A_EEDaS15_S16_EUlS15_E_NS1_11comp_targetILNS1_3genE2ELNS1_11target_archE906ELNS1_3gpuE6ELNS1_3repE0EEENS1_30default_config_static_selectorELNS0_4arch9wavefront6targetE0EEEvT1_.uses_flat_scratch, 0
	.set _ZN7rocprim17ROCPRIM_400000_NS6detail17trampoline_kernelINS0_14default_configENS1_25partition_config_selectorILNS1_17partition_subalgoE9EllbEEZZNS1_14partition_implILS5_9ELb0ES3_jPlS8_PNS0_10empty_typeENS0_5tupleIJS8_S9_EEENSB_IJS8_SA_EEENS0_18inequality_wrapperIZN2at6native12_GLOBAL__N_124unique_dim_cuda_templateItEESt5tupleIJNSF_6TensorESK_SK_EERKSK_lbbbEUlllE0_EEPmJS9_EEE10hipError_tPvRmT3_T4_T5_T6_T7_T9_mT8_P12ihipStream_tbDpT10_ENKUlT_T0_E_clISt17integral_constantIbLb1EES1A_EEDaS15_S16_EUlS15_E_NS1_11comp_targetILNS1_3genE2ELNS1_11target_archE906ELNS1_3gpuE6ELNS1_3repE0EEENS1_30default_config_static_selectorELNS0_4arch9wavefront6targetE0EEEvT1_.has_dyn_sized_stack, 0
	.set _ZN7rocprim17ROCPRIM_400000_NS6detail17trampoline_kernelINS0_14default_configENS1_25partition_config_selectorILNS1_17partition_subalgoE9EllbEEZZNS1_14partition_implILS5_9ELb0ES3_jPlS8_PNS0_10empty_typeENS0_5tupleIJS8_S9_EEENSB_IJS8_SA_EEENS0_18inequality_wrapperIZN2at6native12_GLOBAL__N_124unique_dim_cuda_templateItEESt5tupleIJNSF_6TensorESK_SK_EERKSK_lbbbEUlllE0_EEPmJS9_EEE10hipError_tPvRmT3_T4_T5_T6_T7_T9_mT8_P12ihipStream_tbDpT10_ENKUlT_T0_E_clISt17integral_constantIbLb1EES1A_EEDaS15_S16_EUlS15_E_NS1_11comp_targetILNS1_3genE2ELNS1_11target_archE906ELNS1_3gpuE6ELNS1_3repE0EEENS1_30default_config_static_selectorELNS0_4arch9wavefront6targetE0EEEvT1_.has_recursion, 0
	.set _ZN7rocprim17ROCPRIM_400000_NS6detail17trampoline_kernelINS0_14default_configENS1_25partition_config_selectorILNS1_17partition_subalgoE9EllbEEZZNS1_14partition_implILS5_9ELb0ES3_jPlS8_PNS0_10empty_typeENS0_5tupleIJS8_S9_EEENSB_IJS8_SA_EEENS0_18inequality_wrapperIZN2at6native12_GLOBAL__N_124unique_dim_cuda_templateItEESt5tupleIJNSF_6TensorESK_SK_EERKSK_lbbbEUlllE0_EEPmJS9_EEE10hipError_tPvRmT3_T4_T5_T6_T7_T9_mT8_P12ihipStream_tbDpT10_ENKUlT_T0_E_clISt17integral_constantIbLb1EES1A_EEDaS15_S16_EUlS15_E_NS1_11comp_targetILNS1_3genE2ELNS1_11target_archE906ELNS1_3gpuE6ELNS1_3repE0EEENS1_30default_config_static_selectorELNS0_4arch9wavefront6targetE0EEEvT1_.has_indirect_call, 0
	.section	.AMDGPU.csdata,"",@progbits
; Kernel info:
; codeLenInByte = 0
; TotalNumSgprs: 0
; NumVgprs: 0
; ScratchSize: 0
; MemoryBound: 0
; FloatMode: 240
; IeeeMode: 1
; LDSByteSize: 0 bytes/workgroup (compile time only)
; SGPRBlocks: 0
; VGPRBlocks: 0
; NumSGPRsForWavesPerEU: 1
; NumVGPRsForWavesPerEU: 1
; NamedBarCnt: 0
; Occupancy: 16
; WaveLimiterHint : 0
; COMPUTE_PGM_RSRC2:SCRATCH_EN: 0
; COMPUTE_PGM_RSRC2:USER_SGPR: 2
; COMPUTE_PGM_RSRC2:TRAP_HANDLER: 0
; COMPUTE_PGM_RSRC2:TGID_X_EN: 1
; COMPUTE_PGM_RSRC2:TGID_Y_EN: 0
; COMPUTE_PGM_RSRC2:TGID_Z_EN: 0
; COMPUTE_PGM_RSRC2:TIDIG_COMP_CNT: 0
	.section	.text._ZN7rocprim17ROCPRIM_400000_NS6detail17trampoline_kernelINS0_14default_configENS1_25partition_config_selectorILNS1_17partition_subalgoE9EllbEEZZNS1_14partition_implILS5_9ELb0ES3_jPlS8_PNS0_10empty_typeENS0_5tupleIJS8_S9_EEENSB_IJS8_SA_EEENS0_18inequality_wrapperIZN2at6native12_GLOBAL__N_124unique_dim_cuda_templateItEESt5tupleIJNSF_6TensorESK_SK_EERKSK_lbbbEUlllE0_EEPmJS9_EEE10hipError_tPvRmT3_T4_T5_T6_T7_T9_mT8_P12ihipStream_tbDpT10_ENKUlT_T0_E_clISt17integral_constantIbLb1EES1A_EEDaS15_S16_EUlS15_E_NS1_11comp_targetILNS1_3genE10ELNS1_11target_archE1200ELNS1_3gpuE4ELNS1_3repE0EEENS1_30default_config_static_selectorELNS0_4arch9wavefront6targetE0EEEvT1_,"axG",@progbits,_ZN7rocprim17ROCPRIM_400000_NS6detail17trampoline_kernelINS0_14default_configENS1_25partition_config_selectorILNS1_17partition_subalgoE9EllbEEZZNS1_14partition_implILS5_9ELb0ES3_jPlS8_PNS0_10empty_typeENS0_5tupleIJS8_S9_EEENSB_IJS8_SA_EEENS0_18inequality_wrapperIZN2at6native12_GLOBAL__N_124unique_dim_cuda_templateItEESt5tupleIJNSF_6TensorESK_SK_EERKSK_lbbbEUlllE0_EEPmJS9_EEE10hipError_tPvRmT3_T4_T5_T6_T7_T9_mT8_P12ihipStream_tbDpT10_ENKUlT_T0_E_clISt17integral_constantIbLb1EES1A_EEDaS15_S16_EUlS15_E_NS1_11comp_targetILNS1_3genE10ELNS1_11target_archE1200ELNS1_3gpuE4ELNS1_3repE0EEENS1_30default_config_static_selectorELNS0_4arch9wavefront6targetE0EEEvT1_,comdat
	.globl	_ZN7rocprim17ROCPRIM_400000_NS6detail17trampoline_kernelINS0_14default_configENS1_25partition_config_selectorILNS1_17partition_subalgoE9EllbEEZZNS1_14partition_implILS5_9ELb0ES3_jPlS8_PNS0_10empty_typeENS0_5tupleIJS8_S9_EEENSB_IJS8_SA_EEENS0_18inequality_wrapperIZN2at6native12_GLOBAL__N_124unique_dim_cuda_templateItEESt5tupleIJNSF_6TensorESK_SK_EERKSK_lbbbEUlllE0_EEPmJS9_EEE10hipError_tPvRmT3_T4_T5_T6_T7_T9_mT8_P12ihipStream_tbDpT10_ENKUlT_T0_E_clISt17integral_constantIbLb1EES1A_EEDaS15_S16_EUlS15_E_NS1_11comp_targetILNS1_3genE10ELNS1_11target_archE1200ELNS1_3gpuE4ELNS1_3repE0EEENS1_30default_config_static_selectorELNS0_4arch9wavefront6targetE0EEEvT1_ ; -- Begin function _ZN7rocprim17ROCPRIM_400000_NS6detail17trampoline_kernelINS0_14default_configENS1_25partition_config_selectorILNS1_17partition_subalgoE9EllbEEZZNS1_14partition_implILS5_9ELb0ES3_jPlS8_PNS0_10empty_typeENS0_5tupleIJS8_S9_EEENSB_IJS8_SA_EEENS0_18inequality_wrapperIZN2at6native12_GLOBAL__N_124unique_dim_cuda_templateItEESt5tupleIJNSF_6TensorESK_SK_EERKSK_lbbbEUlllE0_EEPmJS9_EEE10hipError_tPvRmT3_T4_T5_T6_T7_T9_mT8_P12ihipStream_tbDpT10_ENKUlT_T0_E_clISt17integral_constantIbLb1EES1A_EEDaS15_S16_EUlS15_E_NS1_11comp_targetILNS1_3genE10ELNS1_11target_archE1200ELNS1_3gpuE4ELNS1_3repE0EEENS1_30default_config_static_selectorELNS0_4arch9wavefront6targetE0EEEvT1_
	.p2align	8
	.type	_ZN7rocprim17ROCPRIM_400000_NS6detail17trampoline_kernelINS0_14default_configENS1_25partition_config_selectorILNS1_17partition_subalgoE9EllbEEZZNS1_14partition_implILS5_9ELb0ES3_jPlS8_PNS0_10empty_typeENS0_5tupleIJS8_S9_EEENSB_IJS8_SA_EEENS0_18inequality_wrapperIZN2at6native12_GLOBAL__N_124unique_dim_cuda_templateItEESt5tupleIJNSF_6TensorESK_SK_EERKSK_lbbbEUlllE0_EEPmJS9_EEE10hipError_tPvRmT3_T4_T5_T6_T7_T9_mT8_P12ihipStream_tbDpT10_ENKUlT_T0_E_clISt17integral_constantIbLb1EES1A_EEDaS15_S16_EUlS15_E_NS1_11comp_targetILNS1_3genE10ELNS1_11target_archE1200ELNS1_3gpuE4ELNS1_3repE0EEENS1_30default_config_static_selectorELNS0_4arch9wavefront6targetE0EEEvT1_,@function
_ZN7rocprim17ROCPRIM_400000_NS6detail17trampoline_kernelINS0_14default_configENS1_25partition_config_selectorILNS1_17partition_subalgoE9EllbEEZZNS1_14partition_implILS5_9ELb0ES3_jPlS8_PNS0_10empty_typeENS0_5tupleIJS8_S9_EEENSB_IJS8_SA_EEENS0_18inequality_wrapperIZN2at6native12_GLOBAL__N_124unique_dim_cuda_templateItEESt5tupleIJNSF_6TensorESK_SK_EERKSK_lbbbEUlllE0_EEPmJS9_EEE10hipError_tPvRmT3_T4_T5_T6_T7_T9_mT8_P12ihipStream_tbDpT10_ENKUlT_T0_E_clISt17integral_constantIbLb1EES1A_EEDaS15_S16_EUlS15_E_NS1_11comp_targetILNS1_3genE10ELNS1_11target_archE1200ELNS1_3gpuE4ELNS1_3repE0EEENS1_30default_config_static_selectorELNS0_4arch9wavefront6targetE0EEEvT1_: ; @_ZN7rocprim17ROCPRIM_400000_NS6detail17trampoline_kernelINS0_14default_configENS1_25partition_config_selectorILNS1_17partition_subalgoE9EllbEEZZNS1_14partition_implILS5_9ELb0ES3_jPlS8_PNS0_10empty_typeENS0_5tupleIJS8_S9_EEENSB_IJS8_SA_EEENS0_18inequality_wrapperIZN2at6native12_GLOBAL__N_124unique_dim_cuda_templateItEESt5tupleIJNSF_6TensorESK_SK_EERKSK_lbbbEUlllE0_EEPmJS9_EEE10hipError_tPvRmT3_T4_T5_T6_T7_T9_mT8_P12ihipStream_tbDpT10_ENKUlT_T0_E_clISt17integral_constantIbLb1EES1A_EEDaS15_S16_EUlS15_E_NS1_11comp_targetILNS1_3genE10ELNS1_11target_archE1200ELNS1_3gpuE4ELNS1_3repE0EEENS1_30default_config_static_selectorELNS0_4arch9wavefront6targetE0EEEvT1_
; %bb.0:
	.section	.rodata,"a",@progbits
	.p2align	6, 0x0
	.amdhsa_kernel _ZN7rocprim17ROCPRIM_400000_NS6detail17trampoline_kernelINS0_14default_configENS1_25partition_config_selectorILNS1_17partition_subalgoE9EllbEEZZNS1_14partition_implILS5_9ELb0ES3_jPlS8_PNS0_10empty_typeENS0_5tupleIJS8_S9_EEENSB_IJS8_SA_EEENS0_18inequality_wrapperIZN2at6native12_GLOBAL__N_124unique_dim_cuda_templateItEESt5tupleIJNSF_6TensorESK_SK_EERKSK_lbbbEUlllE0_EEPmJS9_EEE10hipError_tPvRmT3_T4_T5_T6_T7_T9_mT8_P12ihipStream_tbDpT10_ENKUlT_T0_E_clISt17integral_constantIbLb1EES1A_EEDaS15_S16_EUlS15_E_NS1_11comp_targetILNS1_3genE10ELNS1_11target_archE1200ELNS1_3gpuE4ELNS1_3repE0EEENS1_30default_config_static_selectorELNS0_4arch9wavefront6targetE0EEEvT1_
		.amdhsa_group_segment_fixed_size 0
		.amdhsa_private_segment_fixed_size 0
		.amdhsa_kernarg_size 136
		.amdhsa_user_sgpr_count 2
		.amdhsa_user_sgpr_dispatch_ptr 0
		.amdhsa_user_sgpr_queue_ptr 0
		.amdhsa_user_sgpr_kernarg_segment_ptr 1
		.amdhsa_user_sgpr_dispatch_id 0
		.amdhsa_user_sgpr_kernarg_preload_length 0
		.amdhsa_user_sgpr_kernarg_preload_offset 0
		.amdhsa_user_sgpr_private_segment_size 0
		.amdhsa_wavefront_size32 1
		.amdhsa_uses_dynamic_stack 0
		.amdhsa_enable_private_segment 0
		.amdhsa_system_sgpr_workgroup_id_x 1
		.amdhsa_system_sgpr_workgroup_id_y 0
		.amdhsa_system_sgpr_workgroup_id_z 0
		.amdhsa_system_sgpr_workgroup_info 0
		.amdhsa_system_vgpr_workitem_id 0
		.amdhsa_next_free_vgpr 1
		.amdhsa_next_free_sgpr 1
		.amdhsa_named_barrier_count 0
		.amdhsa_reserve_vcc 0
		.amdhsa_float_round_mode_32 0
		.amdhsa_float_round_mode_16_64 0
		.amdhsa_float_denorm_mode_32 3
		.amdhsa_float_denorm_mode_16_64 3
		.amdhsa_fp16_overflow 0
		.amdhsa_memory_ordered 1
		.amdhsa_forward_progress 1
		.amdhsa_inst_pref_size 0
		.amdhsa_round_robin_scheduling 0
		.amdhsa_exception_fp_ieee_invalid_op 0
		.amdhsa_exception_fp_denorm_src 0
		.amdhsa_exception_fp_ieee_div_zero 0
		.amdhsa_exception_fp_ieee_overflow 0
		.amdhsa_exception_fp_ieee_underflow 0
		.amdhsa_exception_fp_ieee_inexact 0
		.amdhsa_exception_int_div_zero 0
	.end_amdhsa_kernel
	.section	.text._ZN7rocprim17ROCPRIM_400000_NS6detail17trampoline_kernelINS0_14default_configENS1_25partition_config_selectorILNS1_17partition_subalgoE9EllbEEZZNS1_14partition_implILS5_9ELb0ES3_jPlS8_PNS0_10empty_typeENS0_5tupleIJS8_S9_EEENSB_IJS8_SA_EEENS0_18inequality_wrapperIZN2at6native12_GLOBAL__N_124unique_dim_cuda_templateItEESt5tupleIJNSF_6TensorESK_SK_EERKSK_lbbbEUlllE0_EEPmJS9_EEE10hipError_tPvRmT3_T4_T5_T6_T7_T9_mT8_P12ihipStream_tbDpT10_ENKUlT_T0_E_clISt17integral_constantIbLb1EES1A_EEDaS15_S16_EUlS15_E_NS1_11comp_targetILNS1_3genE10ELNS1_11target_archE1200ELNS1_3gpuE4ELNS1_3repE0EEENS1_30default_config_static_selectorELNS0_4arch9wavefront6targetE0EEEvT1_,"axG",@progbits,_ZN7rocprim17ROCPRIM_400000_NS6detail17trampoline_kernelINS0_14default_configENS1_25partition_config_selectorILNS1_17partition_subalgoE9EllbEEZZNS1_14partition_implILS5_9ELb0ES3_jPlS8_PNS0_10empty_typeENS0_5tupleIJS8_S9_EEENSB_IJS8_SA_EEENS0_18inequality_wrapperIZN2at6native12_GLOBAL__N_124unique_dim_cuda_templateItEESt5tupleIJNSF_6TensorESK_SK_EERKSK_lbbbEUlllE0_EEPmJS9_EEE10hipError_tPvRmT3_T4_T5_T6_T7_T9_mT8_P12ihipStream_tbDpT10_ENKUlT_T0_E_clISt17integral_constantIbLb1EES1A_EEDaS15_S16_EUlS15_E_NS1_11comp_targetILNS1_3genE10ELNS1_11target_archE1200ELNS1_3gpuE4ELNS1_3repE0EEENS1_30default_config_static_selectorELNS0_4arch9wavefront6targetE0EEEvT1_,comdat
.Lfunc_end1464:
	.size	_ZN7rocprim17ROCPRIM_400000_NS6detail17trampoline_kernelINS0_14default_configENS1_25partition_config_selectorILNS1_17partition_subalgoE9EllbEEZZNS1_14partition_implILS5_9ELb0ES3_jPlS8_PNS0_10empty_typeENS0_5tupleIJS8_S9_EEENSB_IJS8_SA_EEENS0_18inequality_wrapperIZN2at6native12_GLOBAL__N_124unique_dim_cuda_templateItEESt5tupleIJNSF_6TensorESK_SK_EERKSK_lbbbEUlllE0_EEPmJS9_EEE10hipError_tPvRmT3_T4_T5_T6_T7_T9_mT8_P12ihipStream_tbDpT10_ENKUlT_T0_E_clISt17integral_constantIbLb1EES1A_EEDaS15_S16_EUlS15_E_NS1_11comp_targetILNS1_3genE10ELNS1_11target_archE1200ELNS1_3gpuE4ELNS1_3repE0EEENS1_30default_config_static_selectorELNS0_4arch9wavefront6targetE0EEEvT1_, .Lfunc_end1464-_ZN7rocprim17ROCPRIM_400000_NS6detail17trampoline_kernelINS0_14default_configENS1_25partition_config_selectorILNS1_17partition_subalgoE9EllbEEZZNS1_14partition_implILS5_9ELb0ES3_jPlS8_PNS0_10empty_typeENS0_5tupleIJS8_S9_EEENSB_IJS8_SA_EEENS0_18inequality_wrapperIZN2at6native12_GLOBAL__N_124unique_dim_cuda_templateItEESt5tupleIJNSF_6TensorESK_SK_EERKSK_lbbbEUlllE0_EEPmJS9_EEE10hipError_tPvRmT3_T4_T5_T6_T7_T9_mT8_P12ihipStream_tbDpT10_ENKUlT_T0_E_clISt17integral_constantIbLb1EES1A_EEDaS15_S16_EUlS15_E_NS1_11comp_targetILNS1_3genE10ELNS1_11target_archE1200ELNS1_3gpuE4ELNS1_3repE0EEENS1_30default_config_static_selectorELNS0_4arch9wavefront6targetE0EEEvT1_
                                        ; -- End function
	.set _ZN7rocprim17ROCPRIM_400000_NS6detail17trampoline_kernelINS0_14default_configENS1_25partition_config_selectorILNS1_17partition_subalgoE9EllbEEZZNS1_14partition_implILS5_9ELb0ES3_jPlS8_PNS0_10empty_typeENS0_5tupleIJS8_S9_EEENSB_IJS8_SA_EEENS0_18inequality_wrapperIZN2at6native12_GLOBAL__N_124unique_dim_cuda_templateItEESt5tupleIJNSF_6TensorESK_SK_EERKSK_lbbbEUlllE0_EEPmJS9_EEE10hipError_tPvRmT3_T4_T5_T6_T7_T9_mT8_P12ihipStream_tbDpT10_ENKUlT_T0_E_clISt17integral_constantIbLb1EES1A_EEDaS15_S16_EUlS15_E_NS1_11comp_targetILNS1_3genE10ELNS1_11target_archE1200ELNS1_3gpuE4ELNS1_3repE0EEENS1_30default_config_static_selectorELNS0_4arch9wavefront6targetE0EEEvT1_.num_vgpr, 0
	.set _ZN7rocprim17ROCPRIM_400000_NS6detail17trampoline_kernelINS0_14default_configENS1_25partition_config_selectorILNS1_17partition_subalgoE9EllbEEZZNS1_14partition_implILS5_9ELb0ES3_jPlS8_PNS0_10empty_typeENS0_5tupleIJS8_S9_EEENSB_IJS8_SA_EEENS0_18inequality_wrapperIZN2at6native12_GLOBAL__N_124unique_dim_cuda_templateItEESt5tupleIJNSF_6TensorESK_SK_EERKSK_lbbbEUlllE0_EEPmJS9_EEE10hipError_tPvRmT3_T4_T5_T6_T7_T9_mT8_P12ihipStream_tbDpT10_ENKUlT_T0_E_clISt17integral_constantIbLb1EES1A_EEDaS15_S16_EUlS15_E_NS1_11comp_targetILNS1_3genE10ELNS1_11target_archE1200ELNS1_3gpuE4ELNS1_3repE0EEENS1_30default_config_static_selectorELNS0_4arch9wavefront6targetE0EEEvT1_.num_agpr, 0
	.set _ZN7rocprim17ROCPRIM_400000_NS6detail17trampoline_kernelINS0_14default_configENS1_25partition_config_selectorILNS1_17partition_subalgoE9EllbEEZZNS1_14partition_implILS5_9ELb0ES3_jPlS8_PNS0_10empty_typeENS0_5tupleIJS8_S9_EEENSB_IJS8_SA_EEENS0_18inequality_wrapperIZN2at6native12_GLOBAL__N_124unique_dim_cuda_templateItEESt5tupleIJNSF_6TensorESK_SK_EERKSK_lbbbEUlllE0_EEPmJS9_EEE10hipError_tPvRmT3_T4_T5_T6_T7_T9_mT8_P12ihipStream_tbDpT10_ENKUlT_T0_E_clISt17integral_constantIbLb1EES1A_EEDaS15_S16_EUlS15_E_NS1_11comp_targetILNS1_3genE10ELNS1_11target_archE1200ELNS1_3gpuE4ELNS1_3repE0EEENS1_30default_config_static_selectorELNS0_4arch9wavefront6targetE0EEEvT1_.numbered_sgpr, 0
	.set _ZN7rocprim17ROCPRIM_400000_NS6detail17trampoline_kernelINS0_14default_configENS1_25partition_config_selectorILNS1_17partition_subalgoE9EllbEEZZNS1_14partition_implILS5_9ELb0ES3_jPlS8_PNS0_10empty_typeENS0_5tupleIJS8_S9_EEENSB_IJS8_SA_EEENS0_18inequality_wrapperIZN2at6native12_GLOBAL__N_124unique_dim_cuda_templateItEESt5tupleIJNSF_6TensorESK_SK_EERKSK_lbbbEUlllE0_EEPmJS9_EEE10hipError_tPvRmT3_T4_T5_T6_T7_T9_mT8_P12ihipStream_tbDpT10_ENKUlT_T0_E_clISt17integral_constantIbLb1EES1A_EEDaS15_S16_EUlS15_E_NS1_11comp_targetILNS1_3genE10ELNS1_11target_archE1200ELNS1_3gpuE4ELNS1_3repE0EEENS1_30default_config_static_selectorELNS0_4arch9wavefront6targetE0EEEvT1_.num_named_barrier, 0
	.set _ZN7rocprim17ROCPRIM_400000_NS6detail17trampoline_kernelINS0_14default_configENS1_25partition_config_selectorILNS1_17partition_subalgoE9EllbEEZZNS1_14partition_implILS5_9ELb0ES3_jPlS8_PNS0_10empty_typeENS0_5tupleIJS8_S9_EEENSB_IJS8_SA_EEENS0_18inequality_wrapperIZN2at6native12_GLOBAL__N_124unique_dim_cuda_templateItEESt5tupleIJNSF_6TensorESK_SK_EERKSK_lbbbEUlllE0_EEPmJS9_EEE10hipError_tPvRmT3_T4_T5_T6_T7_T9_mT8_P12ihipStream_tbDpT10_ENKUlT_T0_E_clISt17integral_constantIbLb1EES1A_EEDaS15_S16_EUlS15_E_NS1_11comp_targetILNS1_3genE10ELNS1_11target_archE1200ELNS1_3gpuE4ELNS1_3repE0EEENS1_30default_config_static_selectorELNS0_4arch9wavefront6targetE0EEEvT1_.private_seg_size, 0
	.set _ZN7rocprim17ROCPRIM_400000_NS6detail17trampoline_kernelINS0_14default_configENS1_25partition_config_selectorILNS1_17partition_subalgoE9EllbEEZZNS1_14partition_implILS5_9ELb0ES3_jPlS8_PNS0_10empty_typeENS0_5tupleIJS8_S9_EEENSB_IJS8_SA_EEENS0_18inequality_wrapperIZN2at6native12_GLOBAL__N_124unique_dim_cuda_templateItEESt5tupleIJNSF_6TensorESK_SK_EERKSK_lbbbEUlllE0_EEPmJS9_EEE10hipError_tPvRmT3_T4_T5_T6_T7_T9_mT8_P12ihipStream_tbDpT10_ENKUlT_T0_E_clISt17integral_constantIbLb1EES1A_EEDaS15_S16_EUlS15_E_NS1_11comp_targetILNS1_3genE10ELNS1_11target_archE1200ELNS1_3gpuE4ELNS1_3repE0EEENS1_30default_config_static_selectorELNS0_4arch9wavefront6targetE0EEEvT1_.uses_vcc, 0
	.set _ZN7rocprim17ROCPRIM_400000_NS6detail17trampoline_kernelINS0_14default_configENS1_25partition_config_selectorILNS1_17partition_subalgoE9EllbEEZZNS1_14partition_implILS5_9ELb0ES3_jPlS8_PNS0_10empty_typeENS0_5tupleIJS8_S9_EEENSB_IJS8_SA_EEENS0_18inequality_wrapperIZN2at6native12_GLOBAL__N_124unique_dim_cuda_templateItEESt5tupleIJNSF_6TensorESK_SK_EERKSK_lbbbEUlllE0_EEPmJS9_EEE10hipError_tPvRmT3_T4_T5_T6_T7_T9_mT8_P12ihipStream_tbDpT10_ENKUlT_T0_E_clISt17integral_constantIbLb1EES1A_EEDaS15_S16_EUlS15_E_NS1_11comp_targetILNS1_3genE10ELNS1_11target_archE1200ELNS1_3gpuE4ELNS1_3repE0EEENS1_30default_config_static_selectorELNS0_4arch9wavefront6targetE0EEEvT1_.uses_flat_scratch, 0
	.set _ZN7rocprim17ROCPRIM_400000_NS6detail17trampoline_kernelINS0_14default_configENS1_25partition_config_selectorILNS1_17partition_subalgoE9EllbEEZZNS1_14partition_implILS5_9ELb0ES3_jPlS8_PNS0_10empty_typeENS0_5tupleIJS8_S9_EEENSB_IJS8_SA_EEENS0_18inequality_wrapperIZN2at6native12_GLOBAL__N_124unique_dim_cuda_templateItEESt5tupleIJNSF_6TensorESK_SK_EERKSK_lbbbEUlllE0_EEPmJS9_EEE10hipError_tPvRmT3_T4_T5_T6_T7_T9_mT8_P12ihipStream_tbDpT10_ENKUlT_T0_E_clISt17integral_constantIbLb1EES1A_EEDaS15_S16_EUlS15_E_NS1_11comp_targetILNS1_3genE10ELNS1_11target_archE1200ELNS1_3gpuE4ELNS1_3repE0EEENS1_30default_config_static_selectorELNS0_4arch9wavefront6targetE0EEEvT1_.has_dyn_sized_stack, 0
	.set _ZN7rocprim17ROCPRIM_400000_NS6detail17trampoline_kernelINS0_14default_configENS1_25partition_config_selectorILNS1_17partition_subalgoE9EllbEEZZNS1_14partition_implILS5_9ELb0ES3_jPlS8_PNS0_10empty_typeENS0_5tupleIJS8_S9_EEENSB_IJS8_SA_EEENS0_18inequality_wrapperIZN2at6native12_GLOBAL__N_124unique_dim_cuda_templateItEESt5tupleIJNSF_6TensorESK_SK_EERKSK_lbbbEUlllE0_EEPmJS9_EEE10hipError_tPvRmT3_T4_T5_T6_T7_T9_mT8_P12ihipStream_tbDpT10_ENKUlT_T0_E_clISt17integral_constantIbLb1EES1A_EEDaS15_S16_EUlS15_E_NS1_11comp_targetILNS1_3genE10ELNS1_11target_archE1200ELNS1_3gpuE4ELNS1_3repE0EEENS1_30default_config_static_selectorELNS0_4arch9wavefront6targetE0EEEvT1_.has_recursion, 0
	.set _ZN7rocprim17ROCPRIM_400000_NS6detail17trampoline_kernelINS0_14default_configENS1_25partition_config_selectorILNS1_17partition_subalgoE9EllbEEZZNS1_14partition_implILS5_9ELb0ES3_jPlS8_PNS0_10empty_typeENS0_5tupleIJS8_S9_EEENSB_IJS8_SA_EEENS0_18inequality_wrapperIZN2at6native12_GLOBAL__N_124unique_dim_cuda_templateItEESt5tupleIJNSF_6TensorESK_SK_EERKSK_lbbbEUlllE0_EEPmJS9_EEE10hipError_tPvRmT3_T4_T5_T6_T7_T9_mT8_P12ihipStream_tbDpT10_ENKUlT_T0_E_clISt17integral_constantIbLb1EES1A_EEDaS15_S16_EUlS15_E_NS1_11comp_targetILNS1_3genE10ELNS1_11target_archE1200ELNS1_3gpuE4ELNS1_3repE0EEENS1_30default_config_static_selectorELNS0_4arch9wavefront6targetE0EEEvT1_.has_indirect_call, 0
	.section	.AMDGPU.csdata,"",@progbits
; Kernel info:
; codeLenInByte = 0
; TotalNumSgprs: 0
; NumVgprs: 0
; ScratchSize: 0
; MemoryBound: 0
; FloatMode: 240
; IeeeMode: 1
; LDSByteSize: 0 bytes/workgroup (compile time only)
; SGPRBlocks: 0
; VGPRBlocks: 0
; NumSGPRsForWavesPerEU: 1
; NumVGPRsForWavesPerEU: 1
; NamedBarCnt: 0
; Occupancy: 16
; WaveLimiterHint : 0
; COMPUTE_PGM_RSRC2:SCRATCH_EN: 0
; COMPUTE_PGM_RSRC2:USER_SGPR: 2
; COMPUTE_PGM_RSRC2:TRAP_HANDLER: 0
; COMPUTE_PGM_RSRC2:TGID_X_EN: 1
; COMPUTE_PGM_RSRC2:TGID_Y_EN: 0
; COMPUTE_PGM_RSRC2:TGID_Z_EN: 0
; COMPUTE_PGM_RSRC2:TIDIG_COMP_CNT: 0
	.section	.text._ZN7rocprim17ROCPRIM_400000_NS6detail17trampoline_kernelINS0_14default_configENS1_25partition_config_selectorILNS1_17partition_subalgoE9EllbEEZZNS1_14partition_implILS5_9ELb0ES3_jPlS8_PNS0_10empty_typeENS0_5tupleIJS8_S9_EEENSB_IJS8_SA_EEENS0_18inequality_wrapperIZN2at6native12_GLOBAL__N_124unique_dim_cuda_templateItEESt5tupleIJNSF_6TensorESK_SK_EERKSK_lbbbEUlllE0_EEPmJS9_EEE10hipError_tPvRmT3_T4_T5_T6_T7_T9_mT8_P12ihipStream_tbDpT10_ENKUlT_T0_E_clISt17integral_constantIbLb1EES1A_EEDaS15_S16_EUlS15_E_NS1_11comp_targetILNS1_3genE9ELNS1_11target_archE1100ELNS1_3gpuE3ELNS1_3repE0EEENS1_30default_config_static_selectorELNS0_4arch9wavefront6targetE0EEEvT1_,"axG",@progbits,_ZN7rocprim17ROCPRIM_400000_NS6detail17trampoline_kernelINS0_14default_configENS1_25partition_config_selectorILNS1_17partition_subalgoE9EllbEEZZNS1_14partition_implILS5_9ELb0ES3_jPlS8_PNS0_10empty_typeENS0_5tupleIJS8_S9_EEENSB_IJS8_SA_EEENS0_18inequality_wrapperIZN2at6native12_GLOBAL__N_124unique_dim_cuda_templateItEESt5tupleIJNSF_6TensorESK_SK_EERKSK_lbbbEUlllE0_EEPmJS9_EEE10hipError_tPvRmT3_T4_T5_T6_T7_T9_mT8_P12ihipStream_tbDpT10_ENKUlT_T0_E_clISt17integral_constantIbLb1EES1A_EEDaS15_S16_EUlS15_E_NS1_11comp_targetILNS1_3genE9ELNS1_11target_archE1100ELNS1_3gpuE3ELNS1_3repE0EEENS1_30default_config_static_selectorELNS0_4arch9wavefront6targetE0EEEvT1_,comdat
	.globl	_ZN7rocprim17ROCPRIM_400000_NS6detail17trampoline_kernelINS0_14default_configENS1_25partition_config_selectorILNS1_17partition_subalgoE9EllbEEZZNS1_14partition_implILS5_9ELb0ES3_jPlS8_PNS0_10empty_typeENS0_5tupleIJS8_S9_EEENSB_IJS8_SA_EEENS0_18inequality_wrapperIZN2at6native12_GLOBAL__N_124unique_dim_cuda_templateItEESt5tupleIJNSF_6TensorESK_SK_EERKSK_lbbbEUlllE0_EEPmJS9_EEE10hipError_tPvRmT3_T4_T5_T6_T7_T9_mT8_P12ihipStream_tbDpT10_ENKUlT_T0_E_clISt17integral_constantIbLb1EES1A_EEDaS15_S16_EUlS15_E_NS1_11comp_targetILNS1_3genE9ELNS1_11target_archE1100ELNS1_3gpuE3ELNS1_3repE0EEENS1_30default_config_static_selectorELNS0_4arch9wavefront6targetE0EEEvT1_ ; -- Begin function _ZN7rocprim17ROCPRIM_400000_NS6detail17trampoline_kernelINS0_14default_configENS1_25partition_config_selectorILNS1_17partition_subalgoE9EllbEEZZNS1_14partition_implILS5_9ELb0ES3_jPlS8_PNS0_10empty_typeENS0_5tupleIJS8_S9_EEENSB_IJS8_SA_EEENS0_18inequality_wrapperIZN2at6native12_GLOBAL__N_124unique_dim_cuda_templateItEESt5tupleIJNSF_6TensorESK_SK_EERKSK_lbbbEUlllE0_EEPmJS9_EEE10hipError_tPvRmT3_T4_T5_T6_T7_T9_mT8_P12ihipStream_tbDpT10_ENKUlT_T0_E_clISt17integral_constantIbLb1EES1A_EEDaS15_S16_EUlS15_E_NS1_11comp_targetILNS1_3genE9ELNS1_11target_archE1100ELNS1_3gpuE3ELNS1_3repE0EEENS1_30default_config_static_selectorELNS0_4arch9wavefront6targetE0EEEvT1_
	.p2align	8
	.type	_ZN7rocprim17ROCPRIM_400000_NS6detail17trampoline_kernelINS0_14default_configENS1_25partition_config_selectorILNS1_17partition_subalgoE9EllbEEZZNS1_14partition_implILS5_9ELb0ES3_jPlS8_PNS0_10empty_typeENS0_5tupleIJS8_S9_EEENSB_IJS8_SA_EEENS0_18inequality_wrapperIZN2at6native12_GLOBAL__N_124unique_dim_cuda_templateItEESt5tupleIJNSF_6TensorESK_SK_EERKSK_lbbbEUlllE0_EEPmJS9_EEE10hipError_tPvRmT3_T4_T5_T6_T7_T9_mT8_P12ihipStream_tbDpT10_ENKUlT_T0_E_clISt17integral_constantIbLb1EES1A_EEDaS15_S16_EUlS15_E_NS1_11comp_targetILNS1_3genE9ELNS1_11target_archE1100ELNS1_3gpuE3ELNS1_3repE0EEENS1_30default_config_static_selectorELNS0_4arch9wavefront6targetE0EEEvT1_,@function
_ZN7rocprim17ROCPRIM_400000_NS6detail17trampoline_kernelINS0_14default_configENS1_25partition_config_selectorILNS1_17partition_subalgoE9EllbEEZZNS1_14partition_implILS5_9ELb0ES3_jPlS8_PNS0_10empty_typeENS0_5tupleIJS8_S9_EEENSB_IJS8_SA_EEENS0_18inequality_wrapperIZN2at6native12_GLOBAL__N_124unique_dim_cuda_templateItEESt5tupleIJNSF_6TensorESK_SK_EERKSK_lbbbEUlllE0_EEPmJS9_EEE10hipError_tPvRmT3_T4_T5_T6_T7_T9_mT8_P12ihipStream_tbDpT10_ENKUlT_T0_E_clISt17integral_constantIbLb1EES1A_EEDaS15_S16_EUlS15_E_NS1_11comp_targetILNS1_3genE9ELNS1_11target_archE1100ELNS1_3gpuE3ELNS1_3repE0EEENS1_30default_config_static_selectorELNS0_4arch9wavefront6targetE0EEEvT1_: ; @_ZN7rocprim17ROCPRIM_400000_NS6detail17trampoline_kernelINS0_14default_configENS1_25partition_config_selectorILNS1_17partition_subalgoE9EllbEEZZNS1_14partition_implILS5_9ELb0ES3_jPlS8_PNS0_10empty_typeENS0_5tupleIJS8_S9_EEENSB_IJS8_SA_EEENS0_18inequality_wrapperIZN2at6native12_GLOBAL__N_124unique_dim_cuda_templateItEESt5tupleIJNSF_6TensorESK_SK_EERKSK_lbbbEUlllE0_EEPmJS9_EEE10hipError_tPvRmT3_T4_T5_T6_T7_T9_mT8_P12ihipStream_tbDpT10_ENKUlT_T0_E_clISt17integral_constantIbLb1EES1A_EEDaS15_S16_EUlS15_E_NS1_11comp_targetILNS1_3genE9ELNS1_11target_archE1100ELNS1_3gpuE3ELNS1_3repE0EEENS1_30default_config_static_selectorELNS0_4arch9wavefront6targetE0EEEvT1_
; %bb.0:
	.section	.rodata,"a",@progbits
	.p2align	6, 0x0
	.amdhsa_kernel _ZN7rocprim17ROCPRIM_400000_NS6detail17trampoline_kernelINS0_14default_configENS1_25partition_config_selectorILNS1_17partition_subalgoE9EllbEEZZNS1_14partition_implILS5_9ELb0ES3_jPlS8_PNS0_10empty_typeENS0_5tupleIJS8_S9_EEENSB_IJS8_SA_EEENS0_18inequality_wrapperIZN2at6native12_GLOBAL__N_124unique_dim_cuda_templateItEESt5tupleIJNSF_6TensorESK_SK_EERKSK_lbbbEUlllE0_EEPmJS9_EEE10hipError_tPvRmT3_T4_T5_T6_T7_T9_mT8_P12ihipStream_tbDpT10_ENKUlT_T0_E_clISt17integral_constantIbLb1EES1A_EEDaS15_S16_EUlS15_E_NS1_11comp_targetILNS1_3genE9ELNS1_11target_archE1100ELNS1_3gpuE3ELNS1_3repE0EEENS1_30default_config_static_selectorELNS0_4arch9wavefront6targetE0EEEvT1_
		.amdhsa_group_segment_fixed_size 0
		.amdhsa_private_segment_fixed_size 0
		.amdhsa_kernarg_size 136
		.amdhsa_user_sgpr_count 2
		.amdhsa_user_sgpr_dispatch_ptr 0
		.amdhsa_user_sgpr_queue_ptr 0
		.amdhsa_user_sgpr_kernarg_segment_ptr 1
		.amdhsa_user_sgpr_dispatch_id 0
		.amdhsa_user_sgpr_kernarg_preload_length 0
		.amdhsa_user_sgpr_kernarg_preload_offset 0
		.amdhsa_user_sgpr_private_segment_size 0
		.amdhsa_wavefront_size32 1
		.amdhsa_uses_dynamic_stack 0
		.amdhsa_enable_private_segment 0
		.amdhsa_system_sgpr_workgroup_id_x 1
		.amdhsa_system_sgpr_workgroup_id_y 0
		.amdhsa_system_sgpr_workgroup_id_z 0
		.amdhsa_system_sgpr_workgroup_info 0
		.amdhsa_system_vgpr_workitem_id 0
		.amdhsa_next_free_vgpr 1
		.amdhsa_next_free_sgpr 1
		.amdhsa_named_barrier_count 0
		.amdhsa_reserve_vcc 0
		.amdhsa_float_round_mode_32 0
		.amdhsa_float_round_mode_16_64 0
		.amdhsa_float_denorm_mode_32 3
		.amdhsa_float_denorm_mode_16_64 3
		.amdhsa_fp16_overflow 0
		.amdhsa_memory_ordered 1
		.amdhsa_forward_progress 1
		.amdhsa_inst_pref_size 0
		.amdhsa_round_robin_scheduling 0
		.amdhsa_exception_fp_ieee_invalid_op 0
		.amdhsa_exception_fp_denorm_src 0
		.amdhsa_exception_fp_ieee_div_zero 0
		.amdhsa_exception_fp_ieee_overflow 0
		.amdhsa_exception_fp_ieee_underflow 0
		.amdhsa_exception_fp_ieee_inexact 0
		.amdhsa_exception_int_div_zero 0
	.end_amdhsa_kernel
	.section	.text._ZN7rocprim17ROCPRIM_400000_NS6detail17trampoline_kernelINS0_14default_configENS1_25partition_config_selectorILNS1_17partition_subalgoE9EllbEEZZNS1_14partition_implILS5_9ELb0ES3_jPlS8_PNS0_10empty_typeENS0_5tupleIJS8_S9_EEENSB_IJS8_SA_EEENS0_18inequality_wrapperIZN2at6native12_GLOBAL__N_124unique_dim_cuda_templateItEESt5tupleIJNSF_6TensorESK_SK_EERKSK_lbbbEUlllE0_EEPmJS9_EEE10hipError_tPvRmT3_T4_T5_T6_T7_T9_mT8_P12ihipStream_tbDpT10_ENKUlT_T0_E_clISt17integral_constantIbLb1EES1A_EEDaS15_S16_EUlS15_E_NS1_11comp_targetILNS1_3genE9ELNS1_11target_archE1100ELNS1_3gpuE3ELNS1_3repE0EEENS1_30default_config_static_selectorELNS0_4arch9wavefront6targetE0EEEvT1_,"axG",@progbits,_ZN7rocprim17ROCPRIM_400000_NS6detail17trampoline_kernelINS0_14default_configENS1_25partition_config_selectorILNS1_17partition_subalgoE9EllbEEZZNS1_14partition_implILS5_9ELb0ES3_jPlS8_PNS0_10empty_typeENS0_5tupleIJS8_S9_EEENSB_IJS8_SA_EEENS0_18inequality_wrapperIZN2at6native12_GLOBAL__N_124unique_dim_cuda_templateItEESt5tupleIJNSF_6TensorESK_SK_EERKSK_lbbbEUlllE0_EEPmJS9_EEE10hipError_tPvRmT3_T4_T5_T6_T7_T9_mT8_P12ihipStream_tbDpT10_ENKUlT_T0_E_clISt17integral_constantIbLb1EES1A_EEDaS15_S16_EUlS15_E_NS1_11comp_targetILNS1_3genE9ELNS1_11target_archE1100ELNS1_3gpuE3ELNS1_3repE0EEENS1_30default_config_static_selectorELNS0_4arch9wavefront6targetE0EEEvT1_,comdat
.Lfunc_end1465:
	.size	_ZN7rocprim17ROCPRIM_400000_NS6detail17trampoline_kernelINS0_14default_configENS1_25partition_config_selectorILNS1_17partition_subalgoE9EllbEEZZNS1_14partition_implILS5_9ELb0ES3_jPlS8_PNS0_10empty_typeENS0_5tupleIJS8_S9_EEENSB_IJS8_SA_EEENS0_18inequality_wrapperIZN2at6native12_GLOBAL__N_124unique_dim_cuda_templateItEESt5tupleIJNSF_6TensorESK_SK_EERKSK_lbbbEUlllE0_EEPmJS9_EEE10hipError_tPvRmT3_T4_T5_T6_T7_T9_mT8_P12ihipStream_tbDpT10_ENKUlT_T0_E_clISt17integral_constantIbLb1EES1A_EEDaS15_S16_EUlS15_E_NS1_11comp_targetILNS1_3genE9ELNS1_11target_archE1100ELNS1_3gpuE3ELNS1_3repE0EEENS1_30default_config_static_selectorELNS0_4arch9wavefront6targetE0EEEvT1_, .Lfunc_end1465-_ZN7rocprim17ROCPRIM_400000_NS6detail17trampoline_kernelINS0_14default_configENS1_25partition_config_selectorILNS1_17partition_subalgoE9EllbEEZZNS1_14partition_implILS5_9ELb0ES3_jPlS8_PNS0_10empty_typeENS0_5tupleIJS8_S9_EEENSB_IJS8_SA_EEENS0_18inequality_wrapperIZN2at6native12_GLOBAL__N_124unique_dim_cuda_templateItEESt5tupleIJNSF_6TensorESK_SK_EERKSK_lbbbEUlllE0_EEPmJS9_EEE10hipError_tPvRmT3_T4_T5_T6_T7_T9_mT8_P12ihipStream_tbDpT10_ENKUlT_T0_E_clISt17integral_constantIbLb1EES1A_EEDaS15_S16_EUlS15_E_NS1_11comp_targetILNS1_3genE9ELNS1_11target_archE1100ELNS1_3gpuE3ELNS1_3repE0EEENS1_30default_config_static_selectorELNS0_4arch9wavefront6targetE0EEEvT1_
                                        ; -- End function
	.set _ZN7rocprim17ROCPRIM_400000_NS6detail17trampoline_kernelINS0_14default_configENS1_25partition_config_selectorILNS1_17partition_subalgoE9EllbEEZZNS1_14partition_implILS5_9ELb0ES3_jPlS8_PNS0_10empty_typeENS0_5tupleIJS8_S9_EEENSB_IJS8_SA_EEENS0_18inequality_wrapperIZN2at6native12_GLOBAL__N_124unique_dim_cuda_templateItEESt5tupleIJNSF_6TensorESK_SK_EERKSK_lbbbEUlllE0_EEPmJS9_EEE10hipError_tPvRmT3_T4_T5_T6_T7_T9_mT8_P12ihipStream_tbDpT10_ENKUlT_T0_E_clISt17integral_constantIbLb1EES1A_EEDaS15_S16_EUlS15_E_NS1_11comp_targetILNS1_3genE9ELNS1_11target_archE1100ELNS1_3gpuE3ELNS1_3repE0EEENS1_30default_config_static_selectorELNS0_4arch9wavefront6targetE0EEEvT1_.num_vgpr, 0
	.set _ZN7rocprim17ROCPRIM_400000_NS6detail17trampoline_kernelINS0_14default_configENS1_25partition_config_selectorILNS1_17partition_subalgoE9EllbEEZZNS1_14partition_implILS5_9ELb0ES3_jPlS8_PNS0_10empty_typeENS0_5tupleIJS8_S9_EEENSB_IJS8_SA_EEENS0_18inequality_wrapperIZN2at6native12_GLOBAL__N_124unique_dim_cuda_templateItEESt5tupleIJNSF_6TensorESK_SK_EERKSK_lbbbEUlllE0_EEPmJS9_EEE10hipError_tPvRmT3_T4_T5_T6_T7_T9_mT8_P12ihipStream_tbDpT10_ENKUlT_T0_E_clISt17integral_constantIbLb1EES1A_EEDaS15_S16_EUlS15_E_NS1_11comp_targetILNS1_3genE9ELNS1_11target_archE1100ELNS1_3gpuE3ELNS1_3repE0EEENS1_30default_config_static_selectorELNS0_4arch9wavefront6targetE0EEEvT1_.num_agpr, 0
	.set _ZN7rocprim17ROCPRIM_400000_NS6detail17trampoline_kernelINS0_14default_configENS1_25partition_config_selectorILNS1_17partition_subalgoE9EllbEEZZNS1_14partition_implILS5_9ELb0ES3_jPlS8_PNS0_10empty_typeENS0_5tupleIJS8_S9_EEENSB_IJS8_SA_EEENS0_18inequality_wrapperIZN2at6native12_GLOBAL__N_124unique_dim_cuda_templateItEESt5tupleIJNSF_6TensorESK_SK_EERKSK_lbbbEUlllE0_EEPmJS9_EEE10hipError_tPvRmT3_T4_T5_T6_T7_T9_mT8_P12ihipStream_tbDpT10_ENKUlT_T0_E_clISt17integral_constantIbLb1EES1A_EEDaS15_S16_EUlS15_E_NS1_11comp_targetILNS1_3genE9ELNS1_11target_archE1100ELNS1_3gpuE3ELNS1_3repE0EEENS1_30default_config_static_selectorELNS0_4arch9wavefront6targetE0EEEvT1_.numbered_sgpr, 0
	.set _ZN7rocprim17ROCPRIM_400000_NS6detail17trampoline_kernelINS0_14default_configENS1_25partition_config_selectorILNS1_17partition_subalgoE9EllbEEZZNS1_14partition_implILS5_9ELb0ES3_jPlS8_PNS0_10empty_typeENS0_5tupleIJS8_S9_EEENSB_IJS8_SA_EEENS0_18inequality_wrapperIZN2at6native12_GLOBAL__N_124unique_dim_cuda_templateItEESt5tupleIJNSF_6TensorESK_SK_EERKSK_lbbbEUlllE0_EEPmJS9_EEE10hipError_tPvRmT3_T4_T5_T6_T7_T9_mT8_P12ihipStream_tbDpT10_ENKUlT_T0_E_clISt17integral_constantIbLb1EES1A_EEDaS15_S16_EUlS15_E_NS1_11comp_targetILNS1_3genE9ELNS1_11target_archE1100ELNS1_3gpuE3ELNS1_3repE0EEENS1_30default_config_static_selectorELNS0_4arch9wavefront6targetE0EEEvT1_.num_named_barrier, 0
	.set _ZN7rocprim17ROCPRIM_400000_NS6detail17trampoline_kernelINS0_14default_configENS1_25partition_config_selectorILNS1_17partition_subalgoE9EllbEEZZNS1_14partition_implILS5_9ELb0ES3_jPlS8_PNS0_10empty_typeENS0_5tupleIJS8_S9_EEENSB_IJS8_SA_EEENS0_18inequality_wrapperIZN2at6native12_GLOBAL__N_124unique_dim_cuda_templateItEESt5tupleIJNSF_6TensorESK_SK_EERKSK_lbbbEUlllE0_EEPmJS9_EEE10hipError_tPvRmT3_T4_T5_T6_T7_T9_mT8_P12ihipStream_tbDpT10_ENKUlT_T0_E_clISt17integral_constantIbLb1EES1A_EEDaS15_S16_EUlS15_E_NS1_11comp_targetILNS1_3genE9ELNS1_11target_archE1100ELNS1_3gpuE3ELNS1_3repE0EEENS1_30default_config_static_selectorELNS0_4arch9wavefront6targetE0EEEvT1_.private_seg_size, 0
	.set _ZN7rocprim17ROCPRIM_400000_NS6detail17trampoline_kernelINS0_14default_configENS1_25partition_config_selectorILNS1_17partition_subalgoE9EllbEEZZNS1_14partition_implILS5_9ELb0ES3_jPlS8_PNS0_10empty_typeENS0_5tupleIJS8_S9_EEENSB_IJS8_SA_EEENS0_18inequality_wrapperIZN2at6native12_GLOBAL__N_124unique_dim_cuda_templateItEESt5tupleIJNSF_6TensorESK_SK_EERKSK_lbbbEUlllE0_EEPmJS9_EEE10hipError_tPvRmT3_T4_T5_T6_T7_T9_mT8_P12ihipStream_tbDpT10_ENKUlT_T0_E_clISt17integral_constantIbLb1EES1A_EEDaS15_S16_EUlS15_E_NS1_11comp_targetILNS1_3genE9ELNS1_11target_archE1100ELNS1_3gpuE3ELNS1_3repE0EEENS1_30default_config_static_selectorELNS0_4arch9wavefront6targetE0EEEvT1_.uses_vcc, 0
	.set _ZN7rocprim17ROCPRIM_400000_NS6detail17trampoline_kernelINS0_14default_configENS1_25partition_config_selectorILNS1_17partition_subalgoE9EllbEEZZNS1_14partition_implILS5_9ELb0ES3_jPlS8_PNS0_10empty_typeENS0_5tupleIJS8_S9_EEENSB_IJS8_SA_EEENS0_18inequality_wrapperIZN2at6native12_GLOBAL__N_124unique_dim_cuda_templateItEESt5tupleIJNSF_6TensorESK_SK_EERKSK_lbbbEUlllE0_EEPmJS9_EEE10hipError_tPvRmT3_T4_T5_T6_T7_T9_mT8_P12ihipStream_tbDpT10_ENKUlT_T0_E_clISt17integral_constantIbLb1EES1A_EEDaS15_S16_EUlS15_E_NS1_11comp_targetILNS1_3genE9ELNS1_11target_archE1100ELNS1_3gpuE3ELNS1_3repE0EEENS1_30default_config_static_selectorELNS0_4arch9wavefront6targetE0EEEvT1_.uses_flat_scratch, 0
	.set _ZN7rocprim17ROCPRIM_400000_NS6detail17trampoline_kernelINS0_14default_configENS1_25partition_config_selectorILNS1_17partition_subalgoE9EllbEEZZNS1_14partition_implILS5_9ELb0ES3_jPlS8_PNS0_10empty_typeENS0_5tupleIJS8_S9_EEENSB_IJS8_SA_EEENS0_18inequality_wrapperIZN2at6native12_GLOBAL__N_124unique_dim_cuda_templateItEESt5tupleIJNSF_6TensorESK_SK_EERKSK_lbbbEUlllE0_EEPmJS9_EEE10hipError_tPvRmT3_T4_T5_T6_T7_T9_mT8_P12ihipStream_tbDpT10_ENKUlT_T0_E_clISt17integral_constantIbLb1EES1A_EEDaS15_S16_EUlS15_E_NS1_11comp_targetILNS1_3genE9ELNS1_11target_archE1100ELNS1_3gpuE3ELNS1_3repE0EEENS1_30default_config_static_selectorELNS0_4arch9wavefront6targetE0EEEvT1_.has_dyn_sized_stack, 0
	.set _ZN7rocprim17ROCPRIM_400000_NS6detail17trampoline_kernelINS0_14default_configENS1_25partition_config_selectorILNS1_17partition_subalgoE9EllbEEZZNS1_14partition_implILS5_9ELb0ES3_jPlS8_PNS0_10empty_typeENS0_5tupleIJS8_S9_EEENSB_IJS8_SA_EEENS0_18inequality_wrapperIZN2at6native12_GLOBAL__N_124unique_dim_cuda_templateItEESt5tupleIJNSF_6TensorESK_SK_EERKSK_lbbbEUlllE0_EEPmJS9_EEE10hipError_tPvRmT3_T4_T5_T6_T7_T9_mT8_P12ihipStream_tbDpT10_ENKUlT_T0_E_clISt17integral_constantIbLb1EES1A_EEDaS15_S16_EUlS15_E_NS1_11comp_targetILNS1_3genE9ELNS1_11target_archE1100ELNS1_3gpuE3ELNS1_3repE0EEENS1_30default_config_static_selectorELNS0_4arch9wavefront6targetE0EEEvT1_.has_recursion, 0
	.set _ZN7rocprim17ROCPRIM_400000_NS6detail17trampoline_kernelINS0_14default_configENS1_25partition_config_selectorILNS1_17partition_subalgoE9EllbEEZZNS1_14partition_implILS5_9ELb0ES3_jPlS8_PNS0_10empty_typeENS0_5tupleIJS8_S9_EEENSB_IJS8_SA_EEENS0_18inequality_wrapperIZN2at6native12_GLOBAL__N_124unique_dim_cuda_templateItEESt5tupleIJNSF_6TensorESK_SK_EERKSK_lbbbEUlllE0_EEPmJS9_EEE10hipError_tPvRmT3_T4_T5_T6_T7_T9_mT8_P12ihipStream_tbDpT10_ENKUlT_T0_E_clISt17integral_constantIbLb1EES1A_EEDaS15_S16_EUlS15_E_NS1_11comp_targetILNS1_3genE9ELNS1_11target_archE1100ELNS1_3gpuE3ELNS1_3repE0EEENS1_30default_config_static_selectorELNS0_4arch9wavefront6targetE0EEEvT1_.has_indirect_call, 0
	.section	.AMDGPU.csdata,"",@progbits
; Kernel info:
; codeLenInByte = 0
; TotalNumSgprs: 0
; NumVgprs: 0
; ScratchSize: 0
; MemoryBound: 0
; FloatMode: 240
; IeeeMode: 1
; LDSByteSize: 0 bytes/workgroup (compile time only)
; SGPRBlocks: 0
; VGPRBlocks: 0
; NumSGPRsForWavesPerEU: 1
; NumVGPRsForWavesPerEU: 1
; NamedBarCnt: 0
; Occupancy: 16
; WaveLimiterHint : 0
; COMPUTE_PGM_RSRC2:SCRATCH_EN: 0
; COMPUTE_PGM_RSRC2:USER_SGPR: 2
; COMPUTE_PGM_RSRC2:TRAP_HANDLER: 0
; COMPUTE_PGM_RSRC2:TGID_X_EN: 1
; COMPUTE_PGM_RSRC2:TGID_Y_EN: 0
; COMPUTE_PGM_RSRC2:TGID_Z_EN: 0
; COMPUTE_PGM_RSRC2:TIDIG_COMP_CNT: 0
	.section	.text._ZN7rocprim17ROCPRIM_400000_NS6detail17trampoline_kernelINS0_14default_configENS1_25partition_config_selectorILNS1_17partition_subalgoE9EllbEEZZNS1_14partition_implILS5_9ELb0ES3_jPlS8_PNS0_10empty_typeENS0_5tupleIJS8_S9_EEENSB_IJS8_SA_EEENS0_18inequality_wrapperIZN2at6native12_GLOBAL__N_124unique_dim_cuda_templateItEESt5tupleIJNSF_6TensorESK_SK_EERKSK_lbbbEUlllE0_EEPmJS9_EEE10hipError_tPvRmT3_T4_T5_T6_T7_T9_mT8_P12ihipStream_tbDpT10_ENKUlT_T0_E_clISt17integral_constantIbLb1EES1A_EEDaS15_S16_EUlS15_E_NS1_11comp_targetILNS1_3genE8ELNS1_11target_archE1030ELNS1_3gpuE2ELNS1_3repE0EEENS1_30default_config_static_selectorELNS0_4arch9wavefront6targetE0EEEvT1_,"axG",@progbits,_ZN7rocprim17ROCPRIM_400000_NS6detail17trampoline_kernelINS0_14default_configENS1_25partition_config_selectorILNS1_17partition_subalgoE9EllbEEZZNS1_14partition_implILS5_9ELb0ES3_jPlS8_PNS0_10empty_typeENS0_5tupleIJS8_S9_EEENSB_IJS8_SA_EEENS0_18inequality_wrapperIZN2at6native12_GLOBAL__N_124unique_dim_cuda_templateItEESt5tupleIJNSF_6TensorESK_SK_EERKSK_lbbbEUlllE0_EEPmJS9_EEE10hipError_tPvRmT3_T4_T5_T6_T7_T9_mT8_P12ihipStream_tbDpT10_ENKUlT_T0_E_clISt17integral_constantIbLb1EES1A_EEDaS15_S16_EUlS15_E_NS1_11comp_targetILNS1_3genE8ELNS1_11target_archE1030ELNS1_3gpuE2ELNS1_3repE0EEENS1_30default_config_static_selectorELNS0_4arch9wavefront6targetE0EEEvT1_,comdat
	.globl	_ZN7rocprim17ROCPRIM_400000_NS6detail17trampoline_kernelINS0_14default_configENS1_25partition_config_selectorILNS1_17partition_subalgoE9EllbEEZZNS1_14partition_implILS5_9ELb0ES3_jPlS8_PNS0_10empty_typeENS0_5tupleIJS8_S9_EEENSB_IJS8_SA_EEENS0_18inequality_wrapperIZN2at6native12_GLOBAL__N_124unique_dim_cuda_templateItEESt5tupleIJNSF_6TensorESK_SK_EERKSK_lbbbEUlllE0_EEPmJS9_EEE10hipError_tPvRmT3_T4_T5_T6_T7_T9_mT8_P12ihipStream_tbDpT10_ENKUlT_T0_E_clISt17integral_constantIbLb1EES1A_EEDaS15_S16_EUlS15_E_NS1_11comp_targetILNS1_3genE8ELNS1_11target_archE1030ELNS1_3gpuE2ELNS1_3repE0EEENS1_30default_config_static_selectorELNS0_4arch9wavefront6targetE0EEEvT1_ ; -- Begin function _ZN7rocprim17ROCPRIM_400000_NS6detail17trampoline_kernelINS0_14default_configENS1_25partition_config_selectorILNS1_17partition_subalgoE9EllbEEZZNS1_14partition_implILS5_9ELb0ES3_jPlS8_PNS0_10empty_typeENS0_5tupleIJS8_S9_EEENSB_IJS8_SA_EEENS0_18inequality_wrapperIZN2at6native12_GLOBAL__N_124unique_dim_cuda_templateItEESt5tupleIJNSF_6TensorESK_SK_EERKSK_lbbbEUlllE0_EEPmJS9_EEE10hipError_tPvRmT3_T4_T5_T6_T7_T9_mT8_P12ihipStream_tbDpT10_ENKUlT_T0_E_clISt17integral_constantIbLb1EES1A_EEDaS15_S16_EUlS15_E_NS1_11comp_targetILNS1_3genE8ELNS1_11target_archE1030ELNS1_3gpuE2ELNS1_3repE0EEENS1_30default_config_static_selectorELNS0_4arch9wavefront6targetE0EEEvT1_
	.p2align	8
	.type	_ZN7rocprim17ROCPRIM_400000_NS6detail17trampoline_kernelINS0_14default_configENS1_25partition_config_selectorILNS1_17partition_subalgoE9EllbEEZZNS1_14partition_implILS5_9ELb0ES3_jPlS8_PNS0_10empty_typeENS0_5tupleIJS8_S9_EEENSB_IJS8_SA_EEENS0_18inequality_wrapperIZN2at6native12_GLOBAL__N_124unique_dim_cuda_templateItEESt5tupleIJNSF_6TensorESK_SK_EERKSK_lbbbEUlllE0_EEPmJS9_EEE10hipError_tPvRmT3_T4_T5_T6_T7_T9_mT8_P12ihipStream_tbDpT10_ENKUlT_T0_E_clISt17integral_constantIbLb1EES1A_EEDaS15_S16_EUlS15_E_NS1_11comp_targetILNS1_3genE8ELNS1_11target_archE1030ELNS1_3gpuE2ELNS1_3repE0EEENS1_30default_config_static_selectorELNS0_4arch9wavefront6targetE0EEEvT1_,@function
_ZN7rocprim17ROCPRIM_400000_NS6detail17trampoline_kernelINS0_14default_configENS1_25partition_config_selectorILNS1_17partition_subalgoE9EllbEEZZNS1_14partition_implILS5_9ELb0ES3_jPlS8_PNS0_10empty_typeENS0_5tupleIJS8_S9_EEENSB_IJS8_SA_EEENS0_18inequality_wrapperIZN2at6native12_GLOBAL__N_124unique_dim_cuda_templateItEESt5tupleIJNSF_6TensorESK_SK_EERKSK_lbbbEUlllE0_EEPmJS9_EEE10hipError_tPvRmT3_T4_T5_T6_T7_T9_mT8_P12ihipStream_tbDpT10_ENKUlT_T0_E_clISt17integral_constantIbLb1EES1A_EEDaS15_S16_EUlS15_E_NS1_11comp_targetILNS1_3genE8ELNS1_11target_archE1030ELNS1_3gpuE2ELNS1_3repE0EEENS1_30default_config_static_selectorELNS0_4arch9wavefront6targetE0EEEvT1_: ; @_ZN7rocprim17ROCPRIM_400000_NS6detail17trampoline_kernelINS0_14default_configENS1_25partition_config_selectorILNS1_17partition_subalgoE9EllbEEZZNS1_14partition_implILS5_9ELb0ES3_jPlS8_PNS0_10empty_typeENS0_5tupleIJS8_S9_EEENSB_IJS8_SA_EEENS0_18inequality_wrapperIZN2at6native12_GLOBAL__N_124unique_dim_cuda_templateItEESt5tupleIJNSF_6TensorESK_SK_EERKSK_lbbbEUlllE0_EEPmJS9_EEE10hipError_tPvRmT3_T4_T5_T6_T7_T9_mT8_P12ihipStream_tbDpT10_ENKUlT_T0_E_clISt17integral_constantIbLb1EES1A_EEDaS15_S16_EUlS15_E_NS1_11comp_targetILNS1_3genE8ELNS1_11target_archE1030ELNS1_3gpuE2ELNS1_3repE0EEENS1_30default_config_static_selectorELNS0_4arch9wavefront6targetE0EEEvT1_
; %bb.0:
	.section	.rodata,"a",@progbits
	.p2align	6, 0x0
	.amdhsa_kernel _ZN7rocprim17ROCPRIM_400000_NS6detail17trampoline_kernelINS0_14default_configENS1_25partition_config_selectorILNS1_17partition_subalgoE9EllbEEZZNS1_14partition_implILS5_9ELb0ES3_jPlS8_PNS0_10empty_typeENS0_5tupleIJS8_S9_EEENSB_IJS8_SA_EEENS0_18inequality_wrapperIZN2at6native12_GLOBAL__N_124unique_dim_cuda_templateItEESt5tupleIJNSF_6TensorESK_SK_EERKSK_lbbbEUlllE0_EEPmJS9_EEE10hipError_tPvRmT3_T4_T5_T6_T7_T9_mT8_P12ihipStream_tbDpT10_ENKUlT_T0_E_clISt17integral_constantIbLb1EES1A_EEDaS15_S16_EUlS15_E_NS1_11comp_targetILNS1_3genE8ELNS1_11target_archE1030ELNS1_3gpuE2ELNS1_3repE0EEENS1_30default_config_static_selectorELNS0_4arch9wavefront6targetE0EEEvT1_
		.amdhsa_group_segment_fixed_size 0
		.amdhsa_private_segment_fixed_size 0
		.amdhsa_kernarg_size 136
		.amdhsa_user_sgpr_count 2
		.amdhsa_user_sgpr_dispatch_ptr 0
		.amdhsa_user_sgpr_queue_ptr 0
		.amdhsa_user_sgpr_kernarg_segment_ptr 1
		.amdhsa_user_sgpr_dispatch_id 0
		.amdhsa_user_sgpr_kernarg_preload_length 0
		.amdhsa_user_sgpr_kernarg_preload_offset 0
		.amdhsa_user_sgpr_private_segment_size 0
		.amdhsa_wavefront_size32 1
		.amdhsa_uses_dynamic_stack 0
		.amdhsa_enable_private_segment 0
		.amdhsa_system_sgpr_workgroup_id_x 1
		.amdhsa_system_sgpr_workgroup_id_y 0
		.amdhsa_system_sgpr_workgroup_id_z 0
		.amdhsa_system_sgpr_workgroup_info 0
		.amdhsa_system_vgpr_workitem_id 0
		.amdhsa_next_free_vgpr 1
		.amdhsa_next_free_sgpr 1
		.amdhsa_named_barrier_count 0
		.amdhsa_reserve_vcc 0
		.amdhsa_float_round_mode_32 0
		.amdhsa_float_round_mode_16_64 0
		.amdhsa_float_denorm_mode_32 3
		.amdhsa_float_denorm_mode_16_64 3
		.amdhsa_fp16_overflow 0
		.amdhsa_memory_ordered 1
		.amdhsa_forward_progress 1
		.amdhsa_inst_pref_size 0
		.amdhsa_round_robin_scheduling 0
		.amdhsa_exception_fp_ieee_invalid_op 0
		.amdhsa_exception_fp_denorm_src 0
		.amdhsa_exception_fp_ieee_div_zero 0
		.amdhsa_exception_fp_ieee_overflow 0
		.amdhsa_exception_fp_ieee_underflow 0
		.amdhsa_exception_fp_ieee_inexact 0
		.amdhsa_exception_int_div_zero 0
	.end_amdhsa_kernel
	.section	.text._ZN7rocprim17ROCPRIM_400000_NS6detail17trampoline_kernelINS0_14default_configENS1_25partition_config_selectorILNS1_17partition_subalgoE9EllbEEZZNS1_14partition_implILS5_9ELb0ES3_jPlS8_PNS0_10empty_typeENS0_5tupleIJS8_S9_EEENSB_IJS8_SA_EEENS0_18inequality_wrapperIZN2at6native12_GLOBAL__N_124unique_dim_cuda_templateItEESt5tupleIJNSF_6TensorESK_SK_EERKSK_lbbbEUlllE0_EEPmJS9_EEE10hipError_tPvRmT3_T4_T5_T6_T7_T9_mT8_P12ihipStream_tbDpT10_ENKUlT_T0_E_clISt17integral_constantIbLb1EES1A_EEDaS15_S16_EUlS15_E_NS1_11comp_targetILNS1_3genE8ELNS1_11target_archE1030ELNS1_3gpuE2ELNS1_3repE0EEENS1_30default_config_static_selectorELNS0_4arch9wavefront6targetE0EEEvT1_,"axG",@progbits,_ZN7rocprim17ROCPRIM_400000_NS6detail17trampoline_kernelINS0_14default_configENS1_25partition_config_selectorILNS1_17partition_subalgoE9EllbEEZZNS1_14partition_implILS5_9ELb0ES3_jPlS8_PNS0_10empty_typeENS0_5tupleIJS8_S9_EEENSB_IJS8_SA_EEENS0_18inequality_wrapperIZN2at6native12_GLOBAL__N_124unique_dim_cuda_templateItEESt5tupleIJNSF_6TensorESK_SK_EERKSK_lbbbEUlllE0_EEPmJS9_EEE10hipError_tPvRmT3_T4_T5_T6_T7_T9_mT8_P12ihipStream_tbDpT10_ENKUlT_T0_E_clISt17integral_constantIbLb1EES1A_EEDaS15_S16_EUlS15_E_NS1_11comp_targetILNS1_3genE8ELNS1_11target_archE1030ELNS1_3gpuE2ELNS1_3repE0EEENS1_30default_config_static_selectorELNS0_4arch9wavefront6targetE0EEEvT1_,comdat
.Lfunc_end1466:
	.size	_ZN7rocprim17ROCPRIM_400000_NS6detail17trampoline_kernelINS0_14default_configENS1_25partition_config_selectorILNS1_17partition_subalgoE9EllbEEZZNS1_14partition_implILS5_9ELb0ES3_jPlS8_PNS0_10empty_typeENS0_5tupleIJS8_S9_EEENSB_IJS8_SA_EEENS0_18inequality_wrapperIZN2at6native12_GLOBAL__N_124unique_dim_cuda_templateItEESt5tupleIJNSF_6TensorESK_SK_EERKSK_lbbbEUlllE0_EEPmJS9_EEE10hipError_tPvRmT3_T4_T5_T6_T7_T9_mT8_P12ihipStream_tbDpT10_ENKUlT_T0_E_clISt17integral_constantIbLb1EES1A_EEDaS15_S16_EUlS15_E_NS1_11comp_targetILNS1_3genE8ELNS1_11target_archE1030ELNS1_3gpuE2ELNS1_3repE0EEENS1_30default_config_static_selectorELNS0_4arch9wavefront6targetE0EEEvT1_, .Lfunc_end1466-_ZN7rocprim17ROCPRIM_400000_NS6detail17trampoline_kernelINS0_14default_configENS1_25partition_config_selectorILNS1_17partition_subalgoE9EllbEEZZNS1_14partition_implILS5_9ELb0ES3_jPlS8_PNS0_10empty_typeENS0_5tupleIJS8_S9_EEENSB_IJS8_SA_EEENS0_18inequality_wrapperIZN2at6native12_GLOBAL__N_124unique_dim_cuda_templateItEESt5tupleIJNSF_6TensorESK_SK_EERKSK_lbbbEUlllE0_EEPmJS9_EEE10hipError_tPvRmT3_T4_T5_T6_T7_T9_mT8_P12ihipStream_tbDpT10_ENKUlT_T0_E_clISt17integral_constantIbLb1EES1A_EEDaS15_S16_EUlS15_E_NS1_11comp_targetILNS1_3genE8ELNS1_11target_archE1030ELNS1_3gpuE2ELNS1_3repE0EEENS1_30default_config_static_selectorELNS0_4arch9wavefront6targetE0EEEvT1_
                                        ; -- End function
	.set _ZN7rocprim17ROCPRIM_400000_NS6detail17trampoline_kernelINS0_14default_configENS1_25partition_config_selectorILNS1_17partition_subalgoE9EllbEEZZNS1_14partition_implILS5_9ELb0ES3_jPlS8_PNS0_10empty_typeENS0_5tupleIJS8_S9_EEENSB_IJS8_SA_EEENS0_18inequality_wrapperIZN2at6native12_GLOBAL__N_124unique_dim_cuda_templateItEESt5tupleIJNSF_6TensorESK_SK_EERKSK_lbbbEUlllE0_EEPmJS9_EEE10hipError_tPvRmT3_T4_T5_T6_T7_T9_mT8_P12ihipStream_tbDpT10_ENKUlT_T0_E_clISt17integral_constantIbLb1EES1A_EEDaS15_S16_EUlS15_E_NS1_11comp_targetILNS1_3genE8ELNS1_11target_archE1030ELNS1_3gpuE2ELNS1_3repE0EEENS1_30default_config_static_selectorELNS0_4arch9wavefront6targetE0EEEvT1_.num_vgpr, 0
	.set _ZN7rocprim17ROCPRIM_400000_NS6detail17trampoline_kernelINS0_14default_configENS1_25partition_config_selectorILNS1_17partition_subalgoE9EllbEEZZNS1_14partition_implILS5_9ELb0ES3_jPlS8_PNS0_10empty_typeENS0_5tupleIJS8_S9_EEENSB_IJS8_SA_EEENS0_18inequality_wrapperIZN2at6native12_GLOBAL__N_124unique_dim_cuda_templateItEESt5tupleIJNSF_6TensorESK_SK_EERKSK_lbbbEUlllE0_EEPmJS9_EEE10hipError_tPvRmT3_T4_T5_T6_T7_T9_mT8_P12ihipStream_tbDpT10_ENKUlT_T0_E_clISt17integral_constantIbLb1EES1A_EEDaS15_S16_EUlS15_E_NS1_11comp_targetILNS1_3genE8ELNS1_11target_archE1030ELNS1_3gpuE2ELNS1_3repE0EEENS1_30default_config_static_selectorELNS0_4arch9wavefront6targetE0EEEvT1_.num_agpr, 0
	.set _ZN7rocprim17ROCPRIM_400000_NS6detail17trampoline_kernelINS0_14default_configENS1_25partition_config_selectorILNS1_17partition_subalgoE9EllbEEZZNS1_14partition_implILS5_9ELb0ES3_jPlS8_PNS0_10empty_typeENS0_5tupleIJS8_S9_EEENSB_IJS8_SA_EEENS0_18inequality_wrapperIZN2at6native12_GLOBAL__N_124unique_dim_cuda_templateItEESt5tupleIJNSF_6TensorESK_SK_EERKSK_lbbbEUlllE0_EEPmJS9_EEE10hipError_tPvRmT3_T4_T5_T6_T7_T9_mT8_P12ihipStream_tbDpT10_ENKUlT_T0_E_clISt17integral_constantIbLb1EES1A_EEDaS15_S16_EUlS15_E_NS1_11comp_targetILNS1_3genE8ELNS1_11target_archE1030ELNS1_3gpuE2ELNS1_3repE0EEENS1_30default_config_static_selectorELNS0_4arch9wavefront6targetE0EEEvT1_.numbered_sgpr, 0
	.set _ZN7rocprim17ROCPRIM_400000_NS6detail17trampoline_kernelINS0_14default_configENS1_25partition_config_selectorILNS1_17partition_subalgoE9EllbEEZZNS1_14partition_implILS5_9ELb0ES3_jPlS8_PNS0_10empty_typeENS0_5tupleIJS8_S9_EEENSB_IJS8_SA_EEENS0_18inequality_wrapperIZN2at6native12_GLOBAL__N_124unique_dim_cuda_templateItEESt5tupleIJNSF_6TensorESK_SK_EERKSK_lbbbEUlllE0_EEPmJS9_EEE10hipError_tPvRmT3_T4_T5_T6_T7_T9_mT8_P12ihipStream_tbDpT10_ENKUlT_T0_E_clISt17integral_constantIbLb1EES1A_EEDaS15_S16_EUlS15_E_NS1_11comp_targetILNS1_3genE8ELNS1_11target_archE1030ELNS1_3gpuE2ELNS1_3repE0EEENS1_30default_config_static_selectorELNS0_4arch9wavefront6targetE0EEEvT1_.num_named_barrier, 0
	.set _ZN7rocprim17ROCPRIM_400000_NS6detail17trampoline_kernelINS0_14default_configENS1_25partition_config_selectorILNS1_17partition_subalgoE9EllbEEZZNS1_14partition_implILS5_9ELb0ES3_jPlS8_PNS0_10empty_typeENS0_5tupleIJS8_S9_EEENSB_IJS8_SA_EEENS0_18inequality_wrapperIZN2at6native12_GLOBAL__N_124unique_dim_cuda_templateItEESt5tupleIJNSF_6TensorESK_SK_EERKSK_lbbbEUlllE0_EEPmJS9_EEE10hipError_tPvRmT3_T4_T5_T6_T7_T9_mT8_P12ihipStream_tbDpT10_ENKUlT_T0_E_clISt17integral_constantIbLb1EES1A_EEDaS15_S16_EUlS15_E_NS1_11comp_targetILNS1_3genE8ELNS1_11target_archE1030ELNS1_3gpuE2ELNS1_3repE0EEENS1_30default_config_static_selectorELNS0_4arch9wavefront6targetE0EEEvT1_.private_seg_size, 0
	.set _ZN7rocprim17ROCPRIM_400000_NS6detail17trampoline_kernelINS0_14default_configENS1_25partition_config_selectorILNS1_17partition_subalgoE9EllbEEZZNS1_14partition_implILS5_9ELb0ES3_jPlS8_PNS0_10empty_typeENS0_5tupleIJS8_S9_EEENSB_IJS8_SA_EEENS0_18inequality_wrapperIZN2at6native12_GLOBAL__N_124unique_dim_cuda_templateItEESt5tupleIJNSF_6TensorESK_SK_EERKSK_lbbbEUlllE0_EEPmJS9_EEE10hipError_tPvRmT3_T4_T5_T6_T7_T9_mT8_P12ihipStream_tbDpT10_ENKUlT_T0_E_clISt17integral_constantIbLb1EES1A_EEDaS15_S16_EUlS15_E_NS1_11comp_targetILNS1_3genE8ELNS1_11target_archE1030ELNS1_3gpuE2ELNS1_3repE0EEENS1_30default_config_static_selectorELNS0_4arch9wavefront6targetE0EEEvT1_.uses_vcc, 0
	.set _ZN7rocprim17ROCPRIM_400000_NS6detail17trampoline_kernelINS0_14default_configENS1_25partition_config_selectorILNS1_17partition_subalgoE9EllbEEZZNS1_14partition_implILS5_9ELb0ES3_jPlS8_PNS0_10empty_typeENS0_5tupleIJS8_S9_EEENSB_IJS8_SA_EEENS0_18inequality_wrapperIZN2at6native12_GLOBAL__N_124unique_dim_cuda_templateItEESt5tupleIJNSF_6TensorESK_SK_EERKSK_lbbbEUlllE0_EEPmJS9_EEE10hipError_tPvRmT3_T4_T5_T6_T7_T9_mT8_P12ihipStream_tbDpT10_ENKUlT_T0_E_clISt17integral_constantIbLb1EES1A_EEDaS15_S16_EUlS15_E_NS1_11comp_targetILNS1_3genE8ELNS1_11target_archE1030ELNS1_3gpuE2ELNS1_3repE0EEENS1_30default_config_static_selectorELNS0_4arch9wavefront6targetE0EEEvT1_.uses_flat_scratch, 0
	.set _ZN7rocprim17ROCPRIM_400000_NS6detail17trampoline_kernelINS0_14default_configENS1_25partition_config_selectorILNS1_17partition_subalgoE9EllbEEZZNS1_14partition_implILS5_9ELb0ES3_jPlS8_PNS0_10empty_typeENS0_5tupleIJS8_S9_EEENSB_IJS8_SA_EEENS0_18inequality_wrapperIZN2at6native12_GLOBAL__N_124unique_dim_cuda_templateItEESt5tupleIJNSF_6TensorESK_SK_EERKSK_lbbbEUlllE0_EEPmJS9_EEE10hipError_tPvRmT3_T4_T5_T6_T7_T9_mT8_P12ihipStream_tbDpT10_ENKUlT_T0_E_clISt17integral_constantIbLb1EES1A_EEDaS15_S16_EUlS15_E_NS1_11comp_targetILNS1_3genE8ELNS1_11target_archE1030ELNS1_3gpuE2ELNS1_3repE0EEENS1_30default_config_static_selectorELNS0_4arch9wavefront6targetE0EEEvT1_.has_dyn_sized_stack, 0
	.set _ZN7rocprim17ROCPRIM_400000_NS6detail17trampoline_kernelINS0_14default_configENS1_25partition_config_selectorILNS1_17partition_subalgoE9EllbEEZZNS1_14partition_implILS5_9ELb0ES3_jPlS8_PNS0_10empty_typeENS0_5tupleIJS8_S9_EEENSB_IJS8_SA_EEENS0_18inequality_wrapperIZN2at6native12_GLOBAL__N_124unique_dim_cuda_templateItEESt5tupleIJNSF_6TensorESK_SK_EERKSK_lbbbEUlllE0_EEPmJS9_EEE10hipError_tPvRmT3_T4_T5_T6_T7_T9_mT8_P12ihipStream_tbDpT10_ENKUlT_T0_E_clISt17integral_constantIbLb1EES1A_EEDaS15_S16_EUlS15_E_NS1_11comp_targetILNS1_3genE8ELNS1_11target_archE1030ELNS1_3gpuE2ELNS1_3repE0EEENS1_30default_config_static_selectorELNS0_4arch9wavefront6targetE0EEEvT1_.has_recursion, 0
	.set _ZN7rocprim17ROCPRIM_400000_NS6detail17trampoline_kernelINS0_14default_configENS1_25partition_config_selectorILNS1_17partition_subalgoE9EllbEEZZNS1_14partition_implILS5_9ELb0ES3_jPlS8_PNS0_10empty_typeENS0_5tupleIJS8_S9_EEENSB_IJS8_SA_EEENS0_18inequality_wrapperIZN2at6native12_GLOBAL__N_124unique_dim_cuda_templateItEESt5tupleIJNSF_6TensorESK_SK_EERKSK_lbbbEUlllE0_EEPmJS9_EEE10hipError_tPvRmT3_T4_T5_T6_T7_T9_mT8_P12ihipStream_tbDpT10_ENKUlT_T0_E_clISt17integral_constantIbLb1EES1A_EEDaS15_S16_EUlS15_E_NS1_11comp_targetILNS1_3genE8ELNS1_11target_archE1030ELNS1_3gpuE2ELNS1_3repE0EEENS1_30default_config_static_selectorELNS0_4arch9wavefront6targetE0EEEvT1_.has_indirect_call, 0
	.section	.AMDGPU.csdata,"",@progbits
; Kernel info:
; codeLenInByte = 0
; TotalNumSgprs: 0
; NumVgprs: 0
; ScratchSize: 0
; MemoryBound: 0
; FloatMode: 240
; IeeeMode: 1
; LDSByteSize: 0 bytes/workgroup (compile time only)
; SGPRBlocks: 0
; VGPRBlocks: 0
; NumSGPRsForWavesPerEU: 1
; NumVGPRsForWavesPerEU: 1
; NamedBarCnt: 0
; Occupancy: 16
; WaveLimiterHint : 0
; COMPUTE_PGM_RSRC2:SCRATCH_EN: 0
; COMPUTE_PGM_RSRC2:USER_SGPR: 2
; COMPUTE_PGM_RSRC2:TRAP_HANDLER: 0
; COMPUTE_PGM_RSRC2:TGID_X_EN: 1
; COMPUTE_PGM_RSRC2:TGID_Y_EN: 0
; COMPUTE_PGM_RSRC2:TGID_Z_EN: 0
; COMPUTE_PGM_RSRC2:TIDIG_COMP_CNT: 0
	.section	.text._ZN7rocprim17ROCPRIM_400000_NS6detail17trampoline_kernelINS0_14default_configENS1_25partition_config_selectorILNS1_17partition_subalgoE9EllbEEZZNS1_14partition_implILS5_9ELb0ES3_jPlS8_PNS0_10empty_typeENS0_5tupleIJS8_S9_EEENSB_IJS8_SA_EEENS0_18inequality_wrapperIZN2at6native12_GLOBAL__N_124unique_dim_cuda_templateItEESt5tupleIJNSF_6TensorESK_SK_EERKSK_lbbbEUlllE0_EEPmJS9_EEE10hipError_tPvRmT3_T4_T5_T6_T7_T9_mT8_P12ihipStream_tbDpT10_ENKUlT_T0_E_clISt17integral_constantIbLb1EES19_IbLb0EEEEDaS15_S16_EUlS15_E_NS1_11comp_targetILNS1_3genE0ELNS1_11target_archE4294967295ELNS1_3gpuE0ELNS1_3repE0EEENS1_30default_config_static_selectorELNS0_4arch9wavefront6targetE0EEEvT1_,"axG",@progbits,_ZN7rocprim17ROCPRIM_400000_NS6detail17trampoline_kernelINS0_14default_configENS1_25partition_config_selectorILNS1_17partition_subalgoE9EllbEEZZNS1_14partition_implILS5_9ELb0ES3_jPlS8_PNS0_10empty_typeENS0_5tupleIJS8_S9_EEENSB_IJS8_SA_EEENS0_18inequality_wrapperIZN2at6native12_GLOBAL__N_124unique_dim_cuda_templateItEESt5tupleIJNSF_6TensorESK_SK_EERKSK_lbbbEUlllE0_EEPmJS9_EEE10hipError_tPvRmT3_T4_T5_T6_T7_T9_mT8_P12ihipStream_tbDpT10_ENKUlT_T0_E_clISt17integral_constantIbLb1EES19_IbLb0EEEEDaS15_S16_EUlS15_E_NS1_11comp_targetILNS1_3genE0ELNS1_11target_archE4294967295ELNS1_3gpuE0ELNS1_3repE0EEENS1_30default_config_static_selectorELNS0_4arch9wavefront6targetE0EEEvT1_,comdat
	.globl	_ZN7rocprim17ROCPRIM_400000_NS6detail17trampoline_kernelINS0_14default_configENS1_25partition_config_selectorILNS1_17partition_subalgoE9EllbEEZZNS1_14partition_implILS5_9ELb0ES3_jPlS8_PNS0_10empty_typeENS0_5tupleIJS8_S9_EEENSB_IJS8_SA_EEENS0_18inequality_wrapperIZN2at6native12_GLOBAL__N_124unique_dim_cuda_templateItEESt5tupleIJNSF_6TensorESK_SK_EERKSK_lbbbEUlllE0_EEPmJS9_EEE10hipError_tPvRmT3_T4_T5_T6_T7_T9_mT8_P12ihipStream_tbDpT10_ENKUlT_T0_E_clISt17integral_constantIbLb1EES19_IbLb0EEEEDaS15_S16_EUlS15_E_NS1_11comp_targetILNS1_3genE0ELNS1_11target_archE4294967295ELNS1_3gpuE0ELNS1_3repE0EEENS1_30default_config_static_selectorELNS0_4arch9wavefront6targetE0EEEvT1_ ; -- Begin function _ZN7rocprim17ROCPRIM_400000_NS6detail17trampoline_kernelINS0_14default_configENS1_25partition_config_selectorILNS1_17partition_subalgoE9EllbEEZZNS1_14partition_implILS5_9ELb0ES3_jPlS8_PNS0_10empty_typeENS0_5tupleIJS8_S9_EEENSB_IJS8_SA_EEENS0_18inequality_wrapperIZN2at6native12_GLOBAL__N_124unique_dim_cuda_templateItEESt5tupleIJNSF_6TensorESK_SK_EERKSK_lbbbEUlllE0_EEPmJS9_EEE10hipError_tPvRmT3_T4_T5_T6_T7_T9_mT8_P12ihipStream_tbDpT10_ENKUlT_T0_E_clISt17integral_constantIbLb1EES19_IbLb0EEEEDaS15_S16_EUlS15_E_NS1_11comp_targetILNS1_3genE0ELNS1_11target_archE4294967295ELNS1_3gpuE0ELNS1_3repE0EEENS1_30default_config_static_selectorELNS0_4arch9wavefront6targetE0EEEvT1_
	.p2align	8
	.type	_ZN7rocprim17ROCPRIM_400000_NS6detail17trampoline_kernelINS0_14default_configENS1_25partition_config_selectorILNS1_17partition_subalgoE9EllbEEZZNS1_14partition_implILS5_9ELb0ES3_jPlS8_PNS0_10empty_typeENS0_5tupleIJS8_S9_EEENSB_IJS8_SA_EEENS0_18inequality_wrapperIZN2at6native12_GLOBAL__N_124unique_dim_cuda_templateItEESt5tupleIJNSF_6TensorESK_SK_EERKSK_lbbbEUlllE0_EEPmJS9_EEE10hipError_tPvRmT3_T4_T5_T6_T7_T9_mT8_P12ihipStream_tbDpT10_ENKUlT_T0_E_clISt17integral_constantIbLb1EES19_IbLb0EEEEDaS15_S16_EUlS15_E_NS1_11comp_targetILNS1_3genE0ELNS1_11target_archE4294967295ELNS1_3gpuE0ELNS1_3repE0EEENS1_30default_config_static_selectorELNS0_4arch9wavefront6targetE0EEEvT1_,@function
_ZN7rocprim17ROCPRIM_400000_NS6detail17trampoline_kernelINS0_14default_configENS1_25partition_config_selectorILNS1_17partition_subalgoE9EllbEEZZNS1_14partition_implILS5_9ELb0ES3_jPlS8_PNS0_10empty_typeENS0_5tupleIJS8_S9_EEENSB_IJS8_SA_EEENS0_18inequality_wrapperIZN2at6native12_GLOBAL__N_124unique_dim_cuda_templateItEESt5tupleIJNSF_6TensorESK_SK_EERKSK_lbbbEUlllE0_EEPmJS9_EEE10hipError_tPvRmT3_T4_T5_T6_T7_T9_mT8_P12ihipStream_tbDpT10_ENKUlT_T0_E_clISt17integral_constantIbLb1EES19_IbLb0EEEEDaS15_S16_EUlS15_E_NS1_11comp_targetILNS1_3genE0ELNS1_11target_archE4294967295ELNS1_3gpuE0ELNS1_3repE0EEENS1_30default_config_static_selectorELNS0_4arch9wavefront6targetE0EEEvT1_: ; @_ZN7rocprim17ROCPRIM_400000_NS6detail17trampoline_kernelINS0_14default_configENS1_25partition_config_selectorILNS1_17partition_subalgoE9EllbEEZZNS1_14partition_implILS5_9ELb0ES3_jPlS8_PNS0_10empty_typeENS0_5tupleIJS8_S9_EEENSB_IJS8_SA_EEENS0_18inequality_wrapperIZN2at6native12_GLOBAL__N_124unique_dim_cuda_templateItEESt5tupleIJNSF_6TensorESK_SK_EERKSK_lbbbEUlllE0_EEPmJS9_EEE10hipError_tPvRmT3_T4_T5_T6_T7_T9_mT8_P12ihipStream_tbDpT10_ENKUlT_T0_E_clISt17integral_constantIbLb1EES19_IbLb0EEEEDaS15_S16_EUlS15_E_NS1_11comp_targetILNS1_3genE0ELNS1_11target_archE4294967295ELNS1_3gpuE0ELNS1_3repE0EEENS1_30default_config_static_selectorELNS0_4arch9wavefront6targetE0EEEvT1_
; %bb.0:
	s_endpgm
	.section	.rodata,"a",@progbits
	.p2align	6, 0x0
	.amdhsa_kernel _ZN7rocprim17ROCPRIM_400000_NS6detail17trampoline_kernelINS0_14default_configENS1_25partition_config_selectorILNS1_17partition_subalgoE9EllbEEZZNS1_14partition_implILS5_9ELb0ES3_jPlS8_PNS0_10empty_typeENS0_5tupleIJS8_S9_EEENSB_IJS8_SA_EEENS0_18inequality_wrapperIZN2at6native12_GLOBAL__N_124unique_dim_cuda_templateItEESt5tupleIJNSF_6TensorESK_SK_EERKSK_lbbbEUlllE0_EEPmJS9_EEE10hipError_tPvRmT3_T4_T5_T6_T7_T9_mT8_P12ihipStream_tbDpT10_ENKUlT_T0_E_clISt17integral_constantIbLb1EES19_IbLb0EEEEDaS15_S16_EUlS15_E_NS1_11comp_targetILNS1_3genE0ELNS1_11target_archE4294967295ELNS1_3gpuE0ELNS1_3repE0EEENS1_30default_config_static_selectorELNS0_4arch9wavefront6targetE0EEEvT1_
		.amdhsa_group_segment_fixed_size 0
		.amdhsa_private_segment_fixed_size 0
		.amdhsa_kernarg_size 120
		.amdhsa_user_sgpr_count 2
		.amdhsa_user_sgpr_dispatch_ptr 0
		.amdhsa_user_sgpr_queue_ptr 0
		.amdhsa_user_sgpr_kernarg_segment_ptr 1
		.amdhsa_user_sgpr_dispatch_id 0
		.amdhsa_user_sgpr_kernarg_preload_length 0
		.amdhsa_user_sgpr_kernarg_preload_offset 0
		.amdhsa_user_sgpr_private_segment_size 0
		.amdhsa_wavefront_size32 1
		.amdhsa_uses_dynamic_stack 0
		.amdhsa_enable_private_segment 0
		.amdhsa_system_sgpr_workgroup_id_x 1
		.amdhsa_system_sgpr_workgroup_id_y 0
		.amdhsa_system_sgpr_workgroup_id_z 0
		.amdhsa_system_sgpr_workgroup_info 0
		.amdhsa_system_vgpr_workitem_id 0
		.amdhsa_next_free_vgpr 1
		.amdhsa_next_free_sgpr 1
		.amdhsa_named_barrier_count 0
		.amdhsa_reserve_vcc 0
		.amdhsa_float_round_mode_32 0
		.amdhsa_float_round_mode_16_64 0
		.amdhsa_float_denorm_mode_32 3
		.amdhsa_float_denorm_mode_16_64 3
		.amdhsa_fp16_overflow 0
		.amdhsa_memory_ordered 1
		.amdhsa_forward_progress 1
		.amdhsa_inst_pref_size 1
		.amdhsa_round_robin_scheduling 0
		.amdhsa_exception_fp_ieee_invalid_op 0
		.amdhsa_exception_fp_denorm_src 0
		.amdhsa_exception_fp_ieee_div_zero 0
		.amdhsa_exception_fp_ieee_overflow 0
		.amdhsa_exception_fp_ieee_underflow 0
		.amdhsa_exception_fp_ieee_inexact 0
		.amdhsa_exception_int_div_zero 0
	.end_amdhsa_kernel
	.section	.text._ZN7rocprim17ROCPRIM_400000_NS6detail17trampoline_kernelINS0_14default_configENS1_25partition_config_selectorILNS1_17partition_subalgoE9EllbEEZZNS1_14partition_implILS5_9ELb0ES3_jPlS8_PNS0_10empty_typeENS0_5tupleIJS8_S9_EEENSB_IJS8_SA_EEENS0_18inequality_wrapperIZN2at6native12_GLOBAL__N_124unique_dim_cuda_templateItEESt5tupleIJNSF_6TensorESK_SK_EERKSK_lbbbEUlllE0_EEPmJS9_EEE10hipError_tPvRmT3_T4_T5_T6_T7_T9_mT8_P12ihipStream_tbDpT10_ENKUlT_T0_E_clISt17integral_constantIbLb1EES19_IbLb0EEEEDaS15_S16_EUlS15_E_NS1_11comp_targetILNS1_3genE0ELNS1_11target_archE4294967295ELNS1_3gpuE0ELNS1_3repE0EEENS1_30default_config_static_selectorELNS0_4arch9wavefront6targetE0EEEvT1_,"axG",@progbits,_ZN7rocprim17ROCPRIM_400000_NS6detail17trampoline_kernelINS0_14default_configENS1_25partition_config_selectorILNS1_17partition_subalgoE9EllbEEZZNS1_14partition_implILS5_9ELb0ES3_jPlS8_PNS0_10empty_typeENS0_5tupleIJS8_S9_EEENSB_IJS8_SA_EEENS0_18inequality_wrapperIZN2at6native12_GLOBAL__N_124unique_dim_cuda_templateItEESt5tupleIJNSF_6TensorESK_SK_EERKSK_lbbbEUlllE0_EEPmJS9_EEE10hipError_tPvRmT3_T4_T5_T6_T7_T9_mT8_P12ihipStream_tbDpT10_ENKUlT_T0_E_clISt17integral_constantIbLb1EES19_IbLb0EEEEDaS15_S16_EUlS15_E_NS1_11comp_targetILNS1_3genE0ELNS1_11target_archE4294967295ELNS1_3gpuE0ELNS1_3repE0EEENS1_30default_config_static_selectorELNS0_4arch9wavefront6targetE0EEEvT1_,comdat
.Lfunc_end1467:
	.size	_ZN7rocprim17ROCPRIM_400000_NS6detail17trampoline_kernelINS0_14default_configENS1_25partition_config_selectorILNS1_17partition_subalgoE9EllbEEZZNS1_14partition_implILS5_9ELb0ES3_jPlS8_PNS0_10empty_typeENS0_5tupleIJS8_S9_EEENSB_IJS8_SA_EEENS0_18inequality_wrapperIZN2at6native12_GLOBAL__N_124unique_dim_cuda_templateItEESt5tupleIJNSF_6TensorESK_SK_EERKSK_lbbbEUlllE0_EEPmJS9_EEE10hipError_tPvRmT3_T4_T5_T6_T7_T9_mT8_P12ihipStream_tbDpT10_ENKUlT_T0_E_clISt17integral_constantIbLb1EES19_IbLb0EEEEDaS15_S16_EUlS15_E_NS1_11comp_targetILNS1_3genE0ELNS1_11target_archE4294967295ELNS1_3gpuE0ELNS1_3repE0EEENS1_30default_config_static_selectorELNS0_4arch9wavefront6targetE0EEEvT1_, .Lfunc_end1467-_ZN7rocprim17ROCPRIM_400000_NS6detail17trampoline_kernelINS0_14default_configENS1_25partition_config_selectorILNS1_17partition_subalgoE9EllbEEZZNS1_14partition_implILS5_9ELb0ES3_jPlS8_PNS0_10empty_typeENS0_5tupleIJS8_S9_EEENSB_IJS8_SA_EEENS0_18inequality_wrapperIZN2at6native12_GLOBAL__N_124unique_dim_cuda_templateItEESt5tupleIJNSF_6TensorESK_SK_EERKSK_lbbbEUlllE0_EEPmJS9_EEE10hipError_tPvRmT3_T4_T5_T6_T7_T9_mT8_P12ihipStream_tbDpT10_ENKUlT_T0_E_clISt17integral_constantIbLb1EES19_IbLb0EEEEDaS15_S16_EUlS15_E_NS1_11comp_targetILNS1_3genE0ELNS1_11target_archE4294967295ELNS1_3gpuE0ELNS1_3repE0EEENS1_30default_config_static_selectorELNS0_4arch9wavefront6targetE0EEEvT1_
                                        ; -- End function
	.set _ZN7rocprim17ROCPRIM_400000_NS6detail17trampoline_kernelINS0_14default_configENS1_25partition_config_selectorILNS1_17partition_subalgoE9EllbEEZZNS1_14partition_implILS5_9ELb0ES3_jPlS8_PNS0_10empty_typeENS0_5tupleIJS8_S9_EEENSB_IJS8_SA_EEENS0_18inequality_wrapperIZN2at6native12_GLOBAL__N_124unique_dim_cuda_templateItEESt5tupleIJNSF_6TensorESK_SK_EERKSK_lbbbEUlllE0_EEPmJS9_EEE10hipError_tPvRmT3_T4_T5_T6_T7_T9_mT8_P12ihipStream_tbDpT10_ENKUlT_T0_E_clISt17integral_constantIbLb1EES19_IbLb0EEEEDaS15_S16_EUlS15_E_NS1_11comp_targetILNS1_3genE0ELNS1_11target_archE4294967295ELNS1_3gpuE0ELNS1_3repE0EEENS1_30default_config_static_selectorELNS0_4arch9wavefront6targetE0EEEvT1_.num_vgpr, 0
	.set _ZN7rocprim17ROCPRIM_400000_NS6detail17trampoline_kernelINS0_14default_configENS1_25partition_config_selectorILNS1_17partition_subalgoE9EllbEEZZNS1_14partition_implILS5_9ELb0ES3_jPlS8_PNS0_10empty_typeENS0_5tupleIJS8_S9_EEENSB_IJS8_SA_EEENS0_18inequality_wrapperIZN2at6native12_GLOBAL__N_124unique_dim_cuda_templateItEESt5tupleIJNSF_6TensorESK_SK_EERKSK_lbbbEUlllE0_EEPmJS9_EEE10hipError_tPvRmT3_T4_T5_T6_T7_T9_mT8_P12ihipStream_tbDpT10_ENKUlT_T0_E_clISt17integral_constantIbLb1EES19_IbLb0EEEEDaS15_S16_EUlS15_E_NS1_11comp_targetILNS1_3genE0ELNS1_11target_archE4294967295ELNS1_3gpuE0ELNS1_3repE0EEENS1_30default_config_static_selectorELNS0_4arch9wavefront6targetE0EEEvT1_.num_agpr, 0
	.set _ZN7rocprim17ROCPRIM_400000_NS6detail17trampoline_kernelINS0_14default_configENS1_25partition_config_selectorILNS1_17partition_subalgoE9EllbEEZZNS1_14partition_implILS5_9ELb0ES3_jPlS8_PNS0_10empty_typeENS0_5tupleIJS8_S9_EEENSB_IJS8_SA_EEENS0_18inequality_wrapperIZN2at6native12_GLOBAL__N_124unique_dim_cuda_templateItEESt5tupleIJNSF_6TensorESK_SK_EERKSK_lbbbEUlllE0_EEPmJS9_EEE10hipError_tPvRmT3_T4_T5_T6_T7_T9_mT8_P12ihipStream_tbDpT10_ENKUlT_T0_E_clISt17integral_constantIbLb1EES19_IbLb0EEEEDaS15_S16_EUlS15_E_NS1_11comp_targetILNS1_3genE0ELNS1_11target_archE4294967295ELNS1_3gpuE0ELNS1_3repE0EEENS1_30default_config_static_selectorELNS0_4arch9wavefront6targetE0EEEvT1_.numbered_sgpr, 0
	.set _ZN7rocprim17ROCPRIM_400000_NS6detail17trampoline_kernelINS0_14default_configENS1_25partition_config_selectorILNS1_17partition_subalgoE9EllbEEZZNS1_14partition_implILS5_9ELb0ES3_jPlS8_PNS0_10empty_typeENS0_5tupleIJS8_S9_EEENSB_IJS8_SA_EEENS0_18inequality_wrapperIZN2at6native12_GLOBAL__N_124unique_dim_cuda_templateItEESt5tupleIJNSF_6TensorESK_SK_EERKSK_lbbbEUlllE0_EEPmJS9_EEE10hipError_tPvRmT3_T4_T5_T6_T7_T9_mT8_P12ihipStream_tbDpT10_ENKUlT_T0_E_clISt17integral_constantIbLb1EES19_IbLb0EEEEDaS15_S16_EUlS15_E_NS1_11comp_targetILNS1_3genE0ELNS1_11target_archE4294967295ELNS1_3gpuE0ELNS1_3repE0EEENS1_30default_config_static_selectorELNS0_4arch9wavefront6targetE0EEEvT1_.num_named_barrier, 0
	.set _ZN7rocprim17ROCPRIM_400000_NS6detail17trampoline_kernelINS0_14default_configENS1_25partition_config_selectorILNS1_17partition_subalgoE9EllbEEZZNS1_14partition_implILS5_9ELb0ES3_jPlS8_PNS0_10empty_typeENS0_5tupleIJS8_S9_EEENSB_IJS8_SA_EEENS0_18inequality_wrapperIZN2at6native12_GLOBAL__N_124unique_dim_cuda_templateItEESt5tupleIJNSF_6TensorESK_SK_EERKSK_lbbbEUlllE0_EEPmJS9_EEE10hipError_tPvRmT3_T4_T5_T6_T7_T9_mT8_P12ihipStream_tbDpT10_ENKUlT_T0_E_clISt17integral_constantIbLb1EES19_IbLb0EEEEDaS15_S16_EUlS15_E_NS1_11comp_targetILNS1_3genE0ELNS1_11target_archE4294967295ELNS1_3gpuE0ELNS1_3repE0EEENS1_30default_config_static_selectorELNS0_4arch9wavefront6targetE0EEEvT1_.private_seg_size, 0
	.set _ZN7rocprim17ROCPRIM_400000_NS6detail17trampoline_kernelINS0_14default_configENS1_25partition_config_selectorILNS1_17partition_subalgoE9EllbEEZZNS1_14partition_implILS5_9ELb0ES3_jPlS8_PNS0_10empty_typeENS0_5tupleIJS8_S9_EEENSB_IJS8_SA_EEENS0_18inequality_wrapperIZN2at6native12_GLOBAL__N_124unique_dim_cuda_templateItEESt5tupleIJNSF_6TensorESK_SK_EERKSK_lbbbEUlllE0_EEPmJS9_EEE10hipError_tPvRmT3_T4_T5_T6_T7_T9_mT8_P12ihipStream_tbDpT10_ENKUlT_T0_E_clISt17integral_constantIbLb1EES19_IbLb0EEEEDaS15_S16_EUlS15_E_NS1_11comp_targetILNS1_3genE0ELNS1_11target_archE4294967295ELNS1_3gpuE0ELNS1_3repE0EEENS1_30default_config_static_selectorELNS0_4arch9wavefront6targetE0EEEvT1_.uses_vcc, 0
	.set _ZN7rocprim17ROCPRIM_400000_NS6detail17trampoline_kernelINS0_14default_configENS1_25partition_config_selectorILNS1_17partition_subalgoE9EllbEEZZNS1_14partition_implILS5_9ELb0ES3_jPlS8_PNS0_10empty_typeENS0_5tupleIJS8_S9_EEENSB_IJS8_SA_EEENS0_18inequality_wrapperIZN2at6native12_GLOBAL__N_124unique_dim_cuda_templateItEESt5tupleIJNSF_6TensorESK_SK_EERKSK_lbbbEUlllE0_EEPmJS9_EEE10hipError_tPvRmT3_T4_T5_T6_T7_T9_mT8_P12ihipStream_tbDpT10_ENKUlT_T0_E_clISt17integral_constantIbLb1EES19_IbLb0EEEEDaS15_S16_EUlS15_E_NS1_11comp_targetILNS1_3genE0ELNS1_11target_archE4294967295ELNS1_3gpuE0ELNS1_3repE0EEENS1_30default_config_static_selectorELNS0_4arch9wavefront6targetE0EEEvT1_.uses_flat_scratch, 0
	.set _ZN7rocprim17ROCPRIM_400000_NS6detail17trampoline_kernelINS0_14default_configENS1_25partition_config_selectorILNS1_17partition_subalgoE9EllbEEZZNS1_14partition_implILS5_9ELb0ES3_jPlS8_PNS0_10empty_typeENS0_5tupleIJS8_S9_EEENSB_IJS8_SA_EEENS0_18inequality_wrapperIZN2at6native12_GLOBAL__N_124unique_dim_cuda_templateItEESt5tupleIJNSF_6TensorESK_SK_EERKSK_lbbbEUlllE0_EEPmJS9_EEE10hipError_tPvRmT3_T4_T5_T6_T7_T9_mT8_P12ihipStream_tbDpT10_ENKUlT_T0_E_clISt17integral_constantIbLb1EES19_IbLb0EEEEDaS15_S16_EUlS15_E_NS1_11comp_targetILNS1_3genE0ELNS1_11target_archE4294967295ELNS1_3gpuE0ELNS1_3repE0EEENS1_30default_config_static_selectorELNS0_4arch9wavefront6targetE0EEEvT1_.has_dyn_sized_stack, 0
	.set _ZN7rocprim17ROCPRIM_400000_NS6detail17trampoline_kernelINS0_14default_configENS1_25partition_config_selectorILNS1_17partition_subalgoE9EllbEEZZNS1_14partition_implILS5_9ELb0ES3_jPlS8_PNS0_10empty_typeENS0_5tupleIJS8_S9_EEENSB_IJS8_SA_EEENS0_18inequality_wrapperIZN2at6native12_GLOBAL__N_124unique_dim_cuda_templateItEESt5tupleIJNSF_6TensorESK_SK_EERKSK_lbbbEUlllE0_EEPmJS9_EEE10hipError_tPvRmT3_T4_T5_T6_T7_T9_mT8_P12ihipStream_tbDpT10_ENKUlT_T0_E_clISt17integral_constantIbLb1EES19_IbLb0EEEEDaS15_S16_EUlS15_E_NS1_11comp_targetILNS1_3genE0ELNS1_11target_archE4294967295ELNS1_3gpuE0ELNS1_3repE0EEENS1_30default_config_static_selectorELNS0_4arch9wavefront6targetE0EEEvT1_.has_recursion, 0
	.set _ZN7rocprim17ROCPRIM_400000_NS6detail17trampoline_kernelINS0_14default_configENS1_25partition_config_selectorILNS1_17partition_subalgoE9EllbEEZZNS1_14partition_implILS5_9ELb0ES3_jPlS8_PNS0_10empty_typeENS0_5tupleIJS8_S9_EEENSB_IJS8_SA_EEENS0_18inequality_wrapperIZN2at6native12_GLOBAL__N_124unique_dim_cuda_templateItEESt5tupleIJNSF_6TensorESK_SK_EERKSK_lbbbEUlllE0_EEPmJS9_EEE10hipError_tPvRmT3_T4_T5_T6_T7_T9_mT8_P12ihipStream_tbDpT10_ENKUlT_T0_E_clISt17integral_constantIbLb1EES19_IbLb0EEEEDaS15_S16_EUlS15_E_NS1_11comp_targetILNS1_3genE0ELNS1_11target_archE4294967295ELNS1_3gpuE0ELNS1_3repE0EEENS1_30default_config_static_selectorELNS0_4arch9wavefront6targetE0EEEvT1_.has_indirect_call, 0
	.section	.AMDGPU.csdata,"",@progbits
; Kernel info:
; codeLenInByte = 4
; TotalNumSgprs: 0
; NumVgprs: 0
; ScratchSize: 0
; MemoryBound: 0
; FloatMode: 240
; IeeeMode: 1
; LDSByteSize: 0 bytes/workgroup (compile time only)
; SGPRBlocks: 0
; VGPRBlocks: 0
; NumSGPRsForWavesPerEU: 1
; NumVGPRsForWavesPerEU: 1
; NamedBarCnt: 0
; Occupancy: 16
; WaveLimiterHint : 0
; COMPUTE_PGM_RSRC2:SCRATCH_EN: 0
; COMPUTE_PGM_RSRC2:USER_SGPR: 2
; COMPUTE_PGM_RSRC2:TRAP_HANDLER: 0
; COMPUTE_PGM_RSRC2:TGID_X_EN: 1
; COMPUTE_PGM_RSRC2:TGID_Y_EN: 0
; COMPUTE_PGM_RSRC2:TGID_Z_EN: 0
; COMPUTE_PGM_RSRC2:TIDIG_COMP_CNT: 0
	.section	.text._ZN7rocprim17ROCPRIM_400000_NS6detail17trampoline_kernelINS0_14default_configENS1_25partition_config_selectorILNS1_17partition_subalgoE9EllbEEZZNS1_14partition_implILS5_9ELb0ES3_jPlS8_PNS0_10empty_typeENS0_5tupleIJS8_S9_EEENSB_IJS8_SA_EEENS0_18inequality_wrapperIZN2at6native12_GLOBAL__N_124unique_dim_cuda_templateItEESt5tupleIJNSF_6TensorESK_SK_EERKSK_lbbbEUlllE0_EEPmJS9_EEE10hipError_tPvRmT3_T4_T5_T6_T7_T9_mT8_P12ihipStream_tbDpT10_ENKUlT_T0_E_clISt17integral_constantIbLb1EES19_IbLb0EEEEDaS15_S16_EUlS15_E_NS1_11comp_targetILNS1_3genE5ELNS1_11target_archE942ELNS1_3gpuE9ELNS1_3repE0EEENS1_30default_config_static_selectorELNS0_4arch9wavefront6targetE0EEEvT1_,"axG",@progbits,_ZN7rocprim17ROCPRIM_400000_NS6detail17trampoline_kernelINS0_14default_configENS1_25partition_config_selectorILNS1_17partition_subalgoE9EllbEEZZNS1_14partition_implILS5_9ELb0ES3_jPlS8_PNS0_10empty_typeENS0_5tupleIJS8_S9_EEENSB_IJS8_SA_EEENS0_18inequality_wrapperIZN2at6native12_GLOBAL__N_124unique_dim_cuda_templateItEESt5tupleIJNSF_6TensorESK_SK_EERKSK_lbbbEUlllE0_EEPmJS9_EEE10hipError_tPvRmT3_T4_T5_T6_T7_T9_mT8_P12ihipStream_tbDpT10_ENKUlT_T0_E_clISt17integral_constantIbLb1EES19_IbLb0EEEEDaS15_S16_EUlS15_E_NS1_11comp_targetILNS1_3genE5ELNS1_11target_archE942ELNS1_3gpuE9ELNS1_3repE0EEENS1_30default_config_static_selectorELNS0_4arch9wavefront6targetE0EEEvT1_,comdat
	.globl	_ZN7rocprim17ROCPRIM_400000_NS6detail17trampoline_kernelINS0_14default_configENS1_25partition_config_selectorILNS1_17partition_subalgoE9EllbEEZZNS1_14partition_implILS5_9ELb0ES3_jPlS8_PNS0_10empty_typeENS0_5tupleIJS8_S9_EEENSB_IJS8_SA_EEENS0_18inequality_wrapperIZN2at6native12_GLOBAL__N_124unique_dim_cuda_templateItEESt5tupleIJNSF_6TensorESK_SK_EERKSK_lbbbEUlllE0_EEPmJS9_EEE10hipError_tPvRmT3_T4_T5_T6_T7_T9_mT8_P12ihipStream_tbDpT10_ENKUlT_T0_E_clISt17integral_constantIbLb1EES19_IbLb0EEEEDaS15_S16_EUlS15_E_NS1_11comp_targetILNS1_3genE5ELNS1_11target_archE942ELNS1_3gpuE9ELNS1_3repE0EEENS1_30default_config_static_selectorELNS0_4arch9wavefront6targetE0EEEvT1_ ; -- Begin function _ZN7rocprim17ROCPRIM_400000_NS6detail17trampoline_kernelINS0_14default_configENS1_25partition_config_selectorILNS1_17partition_subalgoE9EllbEEZZNS1_14partition_implILS5_9ELb0ES3_jPlS8_PNS0_10empty_typeENS0_5tupleIJS8_S9_EEENSB_IJS8_SA_EEENS0_18inequality_wrapperIZN2at6native12_GLOBAL__N_124unique_dim_cuda_templateItEESt5tupleIJNSF_6TensorESK_SK_EERKSK_lbbbEUlllE0_EEPmJS9_EEE10hipError_tPvRmT3_T4_T5_T6_T7_T9_mT8_P12ihipStream_tbDpT10_ENKUlT_T0_E_clISt17integral_constantIbLb1EES19_IbLb0EEEEDaS15_S16_EUlS15_E_NS1_11comp_targetILNS1_3genE5ELNS1_11target_archE942ELNS1_3gpuE9ELNS1_3repE0EEENS1_30default_config_static_selectorELNS0_4arch9wavefront6targetE0EEEvT1_
	.p2align	8
	.type	_ZN7rocprim17ROCPRIM_400000_NS6detail17trampoline_kernelINS0_14default_configENS1_25partition_config_selectorILNS1_17partition_subalgoE9EllbEEZZNS1_14partition_implILS5_9ELb0ES3_jPlS8_PNS0_10empty_typeENS0_5tupleIJS8_S9_EEENSB_IJS8_SA_EEENS0_18inequality_wrapperIZN2at6native12_GLOBAL__N_124unique_dim_cuda_templateItEESt5tupleIJNSF_6TensorESK_SK_EERKSK_lbbbEUlllE0_EEPmJS9_EEE10hipError_tPvRmT3_T4_T5_T6_T7_T9_mT8_P12ihipStream_tbDpT10_ENKUlT_T0_E_clISt17integral_constantIbLb1EES19_IbLb0EEEEDaS15_S16_EUlS15_E_NS1_11comp_targetILNS1_3genE5ELNS1_11target_archE942ELNS1_3gpuE9ELNS1_3repE0EEENS1_30default_config_static_selectorELNS0_4arch9wavefront6targetE0EEEvT1_,@function
_ZN7rocprim17ROCPRIM_400000_NS6detail17trampoline_kernelINS0_14default_configENS1_25partition_config_selectorILNS1_17partition_subalgoE9EllbEEZZNS1_14partition_implILS5_9ELb0ES3_jPlS8_PNS0_10empty_typeENS0_5tupleIJS8_S9_EEENSB_IJS8_SA_EEENS0_18inequality_wrapperIZN2at6native12_GLOBAL__N_124unique_dim_cuda_templateItEESt5tupleIJNSF_6TensorESK_SK_EERKSK_lbbbEUlllE0_EEPmJS9_EEE10hipError_tPvRmT3_T4_T5_T6_T7_T9_mT8_P12ihipStream_tbDpT10_ENKUlT_T0_E_clISt17integral_constantIbLb1EES19_IbLb0EEEEDaS15_S16_EUlS15_E_NS1_11comp_targetILNS1_3genE5ELNS1_11target_archE942ELNS1_3gpuE9ELNS1_3repE0EEENS1_30default_config_static_selectorELNS0_4arch9wavefront6targetE0EEEvT1_: ; @_ZN7rocprim17ROCPRIM_400000_NS6detail17trampoline_kernelINS0_14default_configENS1_25partition_config_selectorILNS1_17partition_subalgoE9EllbEEZZNS1_14partition_implILS5_9ELb0ES3_jPlS8_PNS0_10empty_typeENS0_5tupleIJS8_S9_EEENSB_IJS8_SA_EEENS0_18inequality_wrapperIZN2at6native12_GLOBAL__N_124unique_dim_cuda_templateItEESt5tupleIJNSF_6TensorESK_SK_EERKSK_lbbbEUlllE0_EEPmJS9_EEE10hipError_tPvRmT3_T4_T5_T6_T7_T9_mT8_P12ihipStream_tbDpT10_ENKUlT_T0_E_clISt17integral_constantIbLb1EES19_IbLb0EEEEDaS15_S16_EUlS15_E_NS1_11comp_targetILNS1_3genE5ELNS1_11target_archE942ELNS1_3gpuE9ELNS1_3repE0EEENS1_30default_config_static_selectorELNS0_4arch9wavefront6targetE0EEEvT1_
; %bb.0:
	.section	.rodata,"a",@progbits
	.p2align	6, 0x0
	.amdhsa_kernel _ZN7rocprim17ROCPRIM_400000_NS6detail17trampoline_kernelINS0_14default_configENS1_25partition_config_selectorILNS1_17partition_subalgoE9EllbEEZZNS1_14partition_implILS5_9ELb0ES3_jPlS8_PNS0_10empty_typeENS0_5tupleIJS8_S9_EEENSB_IJS8_SA_EEENS0_18inequality_wrapperIZN2at6native12_GLOBAL__N_124unique_dim_cuda_templateItEESt5tupleIJNSF_6TensorESK_SK_EERKSK_lbbbEUlllE0_EEPmJS9_EEE10hipError_tPvRmT3_T4_T5_T6_T7_T9_mT8_P12ihipStream_tbDpT10_ENKUlT_T0_E_clISt17integral_constantIbLb1EES19_IbLb0EEEEDaS15_S16_EUlS15_E_NS1_11comp_targetILNS1_3genE5ELNS1_11target_archE942ELNS1_3gpuE9ELNS1_3repE0EEENS1_30default_config_static_selectorELNS0_4arch9wavefront6targetE0EEEvT1_
		.amdhsa_group_segment_fixed_size 0
		.amdhsa_private_segment_fixed_size 0
		.amdhsa_kernarg_size 120
		.amdhsa_user_sgpr_count 2
		.amdhsa_user_sgpr_dispatch_ptr 0
		.amdhsa_user_sgpr_queue_ptr 0
		.amdhsa_user_sgpr_kernarg_segment_ptr 1
		.amdhsa_user_sgpr_dispatch_id 0
		.amdhsa_user_sgpr_kernarg_preload_length 0
		.amdhsa_user_sgpr_kernarg_preload_offset 0
		.amdhsa_user_sgpr_private_segment_size 0
		.amdhsa_wavefront_size32 1
		.amdhsa_uses_dynamic_stack 0
		.amdhsa_enable_private_segment 0
		.amdhsa_system_sgpr_workgroup_id_x 1
		.amdhsa_system_sgpr_workgroup_id_y 0
		.amdhsa_system_sgpr_workgroup_id_z 0
		.amdhsa_system_sgpr_workgroup_info 0
		.amdhsa_system_vgpr_workitem_id 0
		.amdhsa_next_free_vgpr 1
		.amdhsa_next_free_sgpr 1
		.amdhsa_named_barrier_count 0
		.amdhsa_reserve_vcc 0
		.amdhsa_float_round_mode_32 0
		.amdhsa_float_round_mode_16_64 0
		.amdhsa_float_denorm_mode_32 3
		.amdhsa_float_denorm_mode_16_64 3
		.amdhsa_fp16_overflow 0
		.amdhsa_memory_ordered 1
		.amdhsa_forward_progress 1
		.amdhsa_inst_pref_size 0
		.amdhsa_round_robin_scheduling 0
		.amdhsa_exception_fp_ieee_invalid_op 0
		.amdhsa_exception_fp_denorm_src 0
		.amdhsa_exception_fp_ieee_div_zero 0
		.amdhsa_exception_fp_ieee_overflow 0
		.amdhsa_exception_fp_ieee_underflow 0
		.amdhsa_exception_fp_ieee_inexact 0
		.amdhsa_exception_int_div_zero 0
	.end_amdhsa_kernel
	.section	.text._ZN7rocprim17ROCPRIM_400000_NS6detail17trampoline_kernelINS0_14default_configENS1_25partition_config_selectorILNS1_17partition_subalgoE9EllbEEZZNS1_14partition_implILS5_9ELb0ES3_jPlS8_PNS0_10empty_typeENS0_5tupleIJS8_S9_EEENSB_IJS8_SA_EEENS0_18inequality_wrapperIZN2at6native12_GLOBAL__N_124unique_dim_cuda_templateItEESt5tupleIJNSF_6TensorESK_SK_EERKSK_lbbbEUlllE0_EEPmJS9_EEE10hipError_tPvRmT3_T4_T5_T6_T7_T9_mT8_P12ihipStream_tbDpT10_ENKUlT_T0_E_clISt17integral_constantIbLb1EES19_IbLb0EEEEDaS15_S16_EUlS15_E_NS1_11comp_targetILNS1_3genE5ELNS1_11target_archE942ELNS1_3gpuE9ELNS1_3repE0EEENS1_30default_config_static_selectorELNS0_4arch9wavefront6targetE0EEEvT1_,"axG",@progbits,_ZN7rocprim17ROCPRIM_400000_NS6detail17trampoline_kernelINS0_14default_configENS1_25partition_config_selectorILNS1_17partition_subalgoE9EllbEEZZNS1_14partition_implILS5_9ELb0ES3_jPlS8_PNS0_10empty_typeENS0_5tupleIJS8_S9_EEENSB_IJS8_SA_EEENS0_18inequality_wrapperIZN2at6native12_GLOBAL__N_124unique_dim_cuda_templateItEESt5tupleIJNSF_6TensorESK_SK_EERKSK_lbbbEUlllE0_EEPmJS9_EEE10hipError_tPvRmT3_T4_T5_T6_T7_T9_mT8_P12ihipStream_tbDpT10_ENKUlT_T0_E_clISt17integral_constantIbLb1EES19_IbLb0EEEEDaS15_S16_EUlS15_E_NS1_11comp_targetILNS1_3genE5ELNS1_11target_archE942ELNS1_3gpuE9ELNS1_3repE0EEENS1_30default_config_static_selectorELNS0_4arch9wavefront6targetE0EEEvT1_,comdat
.Lfunc_end1468:
	.size	_ZN7rocprim17ROCPRIM_400000_NS6detail17trampoline_kernelINS0_14default_configENS1_25partition_config_selectorILNS1_17partition_subalgoE9EllbEEZZNS1_14partition_implILS5_9ELb0ES3_jPlS8_PNS0_10empty_typeENS0_5tupleIJS8_S9_EEENSB_IJS8_SA_EEENS0_18inequality_wrapperIZN2at6native12_GLOBAL__N_124unique_dim_cuda_templateItEESt5tupleIJNSF_6TensorESK_SK_EERKSK_lbbbEUlllE0_EEPmJS9_EEE10hipError_tPvRmT3_T4_T5_T6_T7_T9_mT8_P12ihipStream_tbDpT10_ENKUlT_T0_E_clISt17integral_constantIbLb1EES19_IbLb0EEEEDaS15_S16_EUlS15_E_NS1_11comp_targetILNS1_3genE5ELNS1_11target_archE942ELNS1_3gpuE9ELNS1_3repE0EEENS1_30default_config_static_selectorELNS0_4arch9wavefront6targetE0EEEvT1_, .Lfunc_end1468-_ZN7rocprim17ROCPRIM_400000_NS6detail17trampoline_kernelINS0_14default_configENS1_25partition_config_selectorILNS1_17partition_subalgoE9EllbEEZZNS1_14partition_implILS5_9ELb0ES3_jPlS8_PNS0_10empty_typeENS0_5tupleIJS8_S9_EEENSB_IJS8_SA_EEENS0_18inequality_wrapperIZN2at6native12_GLOBAL__N_124unique_dim_cuda_templateItEESt5tupleIJNSF_6TensorESK_SK_EERKSK_lbbbEUlllE0_EEPmJS9_EEE10hipError_tPvRmT3_T4_T5_T6_T7_T9_mT8_P12ihipStream_tbDpT10_ENKUlT_T0_E_clISt17integral_constantIbLb1EES19_IbLb0EEEEDaS15_S16_EUlS15_E_NS1_11comp_targetILNS1_3genE5ELNS1_11target_archE942ELNS1_3gpuE9ELNS1_3repE0EEENS1_30default_config_static_selectorELNS0_4arch9wavefront6targetE0EEEvT1_
                                        ; -- End function
	.set _ZN7rocprim17ROCPRIM_400000_NS6detail17trampoline_kernelINS0_14default_configENS1_25partition_config_selectorILNS1_17partition_subalgoE9EllbEEZZNS1_14partition_implILS5_9ELb0ES3_jPlS8_PNS0_10empty_typeENS0_5tupleIJS8_S9_EEENSB_IJS8_SA_EEENS0_18inequality_wrapperIZN2at6native12_GLOBAL__N_124unique_dim_cuda_templateItEESt5tupleIJNSF_6TensorESK_SK_EERKSK_lbbbEUlllE0_EEPmJS9_EEE10hipError_tPvRmT3_T4_T5_T6_T7_T9_mT8_P12ihipStream_tbDpT10_ENKUlT_T0_E_clISt17integral_constantIbLb1EES19_IbLb0EEEEDaS15_S16_EUlS15_E_NS1_11comp_targetILNS1_3genE5ELNS1_11target_archE942ELNS1_3gpuE9ELNS1_3repE0EEENS1_30default_config_static_selectorELNS0_4arch9wavefront6targetE0EEEvT1_.num_vgpr, 0
	.set _ZN7rocprim17ROCPRIM_400000_NS6detail17trampoline_kernelINS0_14default_configENS1_25partition_config_selectorILNS1_17partition_subalgoE9EllbEEZZNS1_14partition_implILS5_9ELb0ES3_jPlS8_PNS0_10empty_typeENS0_5tupleIJS8_S9_EEENSB_IJS8_SA_EEENS0_18inequality_wrapperIZN2at6native12_GLOBAL__N_124unique_dim_cuda_templateItEESt5tupleIJNSF_6TensorESK_SK_EERKSK_lbbbEUlllE0_EEPmJS9_EEE10hipError_tPvRmT3_T4_T5_T6_T7_T9_mT8_P12ihipStream_tbDpT10_ENKUlT_T0_E_clISt17integral_constantIbLb1EES19_IbLb0EEEEDaS15_S16_EUlS15_E_NS1_11comp_targetILNS1_3genE5ELNS1_11target_archE942ELNS1_3gpuE9ELNS1_3repE0EEENS1_30default_config_static_selectorELNS0_4arch9wavefront6targetE0EEEvT1_.num_agpr, 0
	.set _ZN7rocprim17ROCPRIM_400000_NS6detail17trampoline_kernelINS0_14default_configENS1_25partition_config_selectorILNS1_17partition_subalgoE9EllbEEZZNS1_14partition_implILS5_9ELb0ES3_jPlS8_PNS0_10empty_typeENS0_5tupleIJS8_S9_EEENSB_IJS8_SA_EEENS0_18inequality_wrapperIZN2at6native12_GLOBAL__N_124unique_dim_cuda_templateItEESt5tupleIJNSF_6TensorESK_SK_EERKSK_lbbbEUlllE0_EEPmJS9_EEE10hipError_tPvRmT3_T4_T5_T6_T7_T9_mT8_P12ihipStream_tbDpT10_ENKUlT_T0_E_clISt17integral_constantIbLb1EES19_IbLb0EEEEDaS15_S16_EUlS15_E_NS1_11comp_targetILNS1_3genE5ELNS1_11target_archE942ELNS1_3gpuE9ELNS1_3repE0EEENS1_30default_config_static_selectorELNS0_4arch9wavefront6targetE0EEEvT1_.numbered_sgpr, 0
	.set _ZN7rocprim17ROCPRIM_400000_NS6detail17trampoline_kernelINS0_14default_configENS1_25partition_config_selectorILNS1_17partition_subalgoE9EllbEEZZNS1_14partition_implILS5_9ELb0ES3_jPlS8_PNS0_10empty_typeENS0_5tupleIJS8_S9_EEENSB_IJS8_SA_EEENS0_18inequality_wrapperIZN2at6native12_GLOBAL__N_124unique_dim_cuda_templateItEESt5tupleIJNSF_6TensorESK_SK_EERKSK_lbbbEUlllE0_EEPmJS9_EEE10hipError_tPvRmT3_T4_T5_T6_T7_T9_mT8_P12ihipStream_tbDpT10_ENKUlT_T0_E_clISt17integral_constantIbLb1EES19_IbLb0EEEEDaS15_S16_EUlS15_E_NS1_11comp_targetILNS1_3genE5ELNS1_11target_archE942ELNS1_3gpuE9ELNS1_3repE0EEENS1_30default_config_static_selectorELNS0_4arch9wavefront6targetE0EEEvT1_.num_named_barrier, 0
	.set _ZN7rocprim17ROCPRIM_400000_NS6detail17trampoline_kernelINS0_14default_configENS1_25partition_config_selectorILNS1_17partition_subalgoE9EllbEEZZNS1_14partition_implILS5_9ELb0ES3_jPlS8_PNS0_10empty_typeENS0_5tupleIJS8_S9_EEENSB_IJS8_SA_EEENS0_18inequality_wrapperIZN2at6native12_GLOBAL__N_124unique_dim_cuda_templateItEESt5tupleIJNSF_6TensorESK_SK_EERKSK_lbbbEUlllE0_EEPmJS9_EEE10hipError_tPvRmT3_T4_T5_T6_T7_T9_mT8_P12ihipStream_tbDpT10_ENKUlT_T0_E_clISt17integral_constantIbLb1EES19_IbLb0EEEEDaS15_S16_EUlS15_E_NS1_11comp_targetILNS1_3genE5ELNS1_11target_archE942ELNS1_3gpuE9ELNS1_3repE0EEENS1_30default_config_static_selectorELNS0_4arch9wavefront6targetE0EEEvT1_.private_seg_size, 0
	.set _ZN7rocprim17ROCPRIM_400000_NS6detail17trampoline_kernelINS0_14default_configENS1_25partition_config_selectorILNS1_17partition_subalgoE9EllbEEZZNS1_14partition_implILS5_9ELb0ES3_jPlS8_PNS0_10empty_typeENS0_5tupleIJS8_S9_EEENSB_IJS8_SA_EEENS0_18inequality_wrapperIZN2at6native12_GLOBAL__N_124unique_dim_cuda_templateItEESt5tupleIJNSF_6TensorESK_SK_EERKSK_lbbbEUlllE0_EEPmJS9_EEE10hipError_tPvRmT3_T4_T5_T6_T7_T9_mT8_P12ihipStream_tbDpT10_ENKUlT_T0_E_clISt17integral_constantIbLb1EES19_IbLb0EEEEDaS15_S16_EUlS15_E_NS1_11comp_targetILNS1_3genE5ELNS1_11target_archE942ELNS1_3gpuE9ELNS1_3repE0EEENS1_30default_config_static_selectorELNS0_4arch9wavefront6targetE0EEEvT1_.uses_vcc, 0
	.set _ZN7rocprim17ROCPRIM_400000_NS6detail17trampoline_kernelINS0_14default_configENS1_25partition_config_selectorILNS1_17partition_subalgoE9EllbEEZZNS1_14partition_implILS5_9ELb0ES3_jPlS8_PNS0_10empty_typeENS0_5tupleIJS8_S9_EEENSB_IJS8_SA_EEENS0_18inequality_wrapperIZN2at6native12_GLOBAL__N_124unique_dim_cuda_templateItEESt5tupleIJNSF_6TensorESK_SK_EERKSK_lbbbEUlllE0_EEPmJS9_EEE10hipError_tPvRmT3_T4_T5_T6_T7_T9_mT8_P12ihipStream_tbDpT10_ENKUlT_T0_E_clISt17integral_constantIbLb1EES19_IbLb0EEEEDaS15_S16_EUlS15_E_NS1_11comp_targetILNS1_3genE5ELNS1_11target_archE942ELNS1_3gpuE9ELNS1_3repE0EEENS1_30default_config_static_selectorELNS0_4arch9wavefront6targetE0EEEvT1_.uses_flat_scratch, 0
	.set _ZN7rocprim17ROCPRIM_400000_NS6detail17trampoline_kernelINS0_14default_configENS1_25partition_config_selectorILNS1_17partition_subalgoE9EllbEEZZNS1_14partition_implILS5_9ELb0ES3_jPlS8_PNS0_10empty_typeENS0_5tupleIJS8_S9_EEENSB_IJS8_SA_EEENS0_18inequality_wrapperIZN2at6native12_GLOBAL__N_124unique_dim_cuda_templateItEESt5tupleIJNSF_6TensorESK_SK_EERKSK_lbbbEUlllE0_EEPmJS9_EEE10hipError_tPvRmT3_T4_T5_T6_T7_T9_mT8_P12ihipStream_tbDpT10_ENKUlT_T0_E_clISt17integral_constantIbLb1EES19_IbLb0EEEEDaS15_S16_EUlS15_E_NS1_11comp_targetILNS1_3genE5ELNS1_11target_archE942ELNS1_3gpuE9ELNS1_3repE0EEENS1_30default_config_static_selectorELNS0_4arch9wavefront6targetE0EEEvT1_.has_dyn_sized_stack, 0
	.set _ZN7rocprim17ROCPRIM_400000_NS6detail17trampoline_kernelINS0_14default_configENS1_25partition_config_selectorILNS1_17partition_subalgoE9EllbEEZZNS1_14partition_implILS5_9ELb0ES3_jPlS8_PNS0_10empty_typeENS0_5tupleIJS8_S9_EEENSB_IJS8_SA_EEENS0_18inequality_wrapperIZN2at6native12_GLOBAL__N_124unique_dim_cuda_templateItEESt5tupleIJNSF_6TensorESK_SK_EERKSK_lbbbEUlllE0_EEPmJS9_EEE10hipError_tPvRmT3_T4_T5_T6_T7_T9_mT8_P12ihipStream_tbDpT10_ENKUlT_T0_E_clISt17integral_constantIbLb1EES19_IbLb0EEEEDaS15_S16_EUlS15_E_NS1_11comp_targetILNS1_3genE5ELNS1_11target_archE942ELNS1_3gpuE9ELNS1_3repE0EEENS1_30default_config_static_selectorELNS0_4arch9wavefront6targetE0EEEvT1_.has_recursion, 0
	.set _ZN7rocprim17ROCPRIM_400000_NS6detail17trampoline_kernelINS0_14default_configENS1_25partition_config_selectorILNS1_17partition_subalgoE9EllbEEZZNS1_14partition_implILS5_9ELb0ES3_jPlS8_PNS0_10empty_typeENS0_5tupleIJS8_S9_EEENSB_IJS8_SA_EEENS0_18inequality_wrapperIZN2at6native12_GLOBAL__N_124unique_dim_cuda_templateItEESt5tupleIJNSF_6TensorESK_SK_EERKSK_lbbbEUlllE0_EEPmJS9_EEE10hipError_tPvRmT3_T4_T5_T6_T7_T9_mT8_P12ihipStream_tbDpT10_ENKUlT_T0_E_clISt17integral_constantIbLb1EES19_IbLb0EEEEDaS15_S16_EUlS15_E_NS1_11comp_targetILNS1_3genE5ELNS1_11target_archE942ELNS1_3gpuE9ELNS1_3repE0EEENS1_30default_config_static_selectorELNS0_4arch9wavefront6targetE0EEEvT1_.has_indirect_call, 0
	.section	.AMDGPU.csdata,"",@progbits
; Kernel info:
; codeLenInByte = 0
; TotalNumSgprs: 0
; NumVgprs: 0
; ScratchSize: 0
; MemoryBound: 0
; FloatMode: 240
; IeeeMode: 1
; LDSByteSize: 0 bytes/workgroup (compile time only)
; SGPRBlocks: 0
; VGPRBlocks: 0
; NumSGPRsForWavesPerEU: 1
; NumVGPRsForWavesPerEU: 1
; NamedBarCnt: 0
; Occupancy: 16
; WaveLimiterHint : 0
; COMPUTE_PGM_RSRC2:SCRATCH_EN: 0
; COMPUTE_PGM_RSRC2:USER_SGPR: 2
; COMPUTE_PGM_RSRC2:TRAP_HANDLER: 0
; COMPUTE_PGM_RSRC2:TGID_X_EN: 1
; COMPUTE_PGM_RSRC2:TGID_Y_EN: 0
; COMPUTE_PGM_RSRC2:TGID_Z_EN: 0
; COMPUTE_PGM_RSRC2:TIDIG_COMP_CNT: 0
	.section	.text._ZN7rocprim17ROCPRIM_400000_NS6detail17trampoline_kernelINS0_14default_configENS1_25partition_config_selectorILNS1_17partition_subalgoE9EllbEEZZNS1_14partition_implILS5_9ELb0ES3_jPlS8_PNS0_10empty_typeENS0_5tupleIJS8_S9_EEENSB_IJS8_SA_EEENS0_18inequality_wrapperIZN2at6native12_GLOBAL__N_124unique_dim_cuda_templateItEESt5tupleIJNSF_6TensorESK_SK_EERKSK_lbbbEUlllE0_EEPmJS9_EEE10hipError_tPvRmT3_T4_T5_T6_T7_T9_mT8_P12ihipStream_tbDpT10_ENKUlT_T0_E_clISt17integral_constantIbLb1EES19_IbLb0EEEEDaS15_S16_EUlS15_E_NS1_11comp_targetILNS1_3genE4ELNS1_11target_archE910ELNS1_3gpuE8ELNS1_3repE0EEENS1_30default_config_static_selectorELNS0_4arch9wavefront6targetE0EEEvT1_,"axG",@progbits,_ZN7rocprim17ROCPRIM_400000_NS6detail17trampoline_kernelINS0_14default_configENS1_25partition_config_selectorILNS1_17partition_subalgoE9EllbEEZZNS1_14partition_implILS5_9ELb0ES3_jPlS8_PNS0_10empty_typeENS0_5tupleIJS8_S9_EEENSB_IJS8_SA_EEENS0_18inequality_wrapperIZN2at6native12_GLOBAL__N_124unique_dim_cuda_templateItEESt5tupleIJNSF_6TensorESK_SK_EERKSK_lbbbEUlllE0_EEPmJS9_EEE10hipError_tPvRmT3_T4_T5_T6_T7_T9_mT8_P12ihipStream_tbDpT10_ENKUlT_T0_E_clISt17integral_constantIbLb1EES19_IbLb0EEEEDaS15_S16_EUlS15_E_NS1_11comp_targetILNS1_3genE4ELNS1_11target_archE910ELNS1_3gpuE8ELNS1_3repE0EEENS1_30default_config_static_selectorELNS0_4arch9wavefront6targetE0EEEvT1_,comdat
	.globl	_ZN7rocprim17ROCPRIM_400000_NS6detail17trampoline_kernelINS0_14default_configENS1_25partition_config_selectorILNS1_17partition_subalgoE9EllbEEZZNS1_14partition_implILS5_9ELb0ES3_jPlS8_PNS0_10empty_typeENS0_5tupleIJS8_S9_EEENSB_IJS8_SA_EEENS0_18inequality_wrapperIZN2at6native12_GLOBAL__N_124unique_dim_cuda_templateItEESt5tupleIJNSF_6TensorESK_SK_EERKSK_lbbbEUlllE0_EEPmJS9_EEE10hipError_tPvRmT3_T4_T5_T6_T7_T9_mT8_P12ihipStream_tbDpT10_ENKUlT_T0_E_clISt17integral_constantIbLb1EES19_IbLb0EEEEDaS15_S16_EUlS15_E_NS1_11comp_targetILNS1_3genE4ELNS1_11target_archE910ELNS1_3gpuE8ELNS1_3repE0EEENS1_30default_config_static_selectorELNS0_4arch9wavefront6targetE0EEEvT1_ ; -- Begin function _ZN7rocprim17ROCPRIM_400000_NS6detail17trampoline_kernelINS0_14default_configENS1_25partition_config_selectorILNS1_17partition_subalgoE9EllbEEZZNS1_14partition_implILS5_9ELb0ES3_jPlS8_PNS0_10empty_typeENS0_5tupleIJS8_S9_EEENSB_IJS8_SA_EEENS0_18inequality_wrapperIZN2at6native12_GLOBAL__N_124unique_dim_cuda_templateItEESt5tupleIJNSF_6TensorESK_SK_EERKSK_lbbbEUlllE0_EEPmJS9_EEE10hipError_tPvRmT3_T4_T5_T6_T7_T9_mT8_P12ihipStream_tbDpT10_ENKUlT_T0_E_clISt17integral_constantIbLb1EES19_IbLb0EEEEDaS15_S16_EUlS15_E_NS1_11comp_targetILNS1_3genE4ELNS1_11target_archE910ELNS1_3gpuE8ELNS1_3repE0EEENS1_30default_config_static_selectorELNS0_4arch9wavefront6targetE0EEEvT1_
	.p2align	8
	.type	_ZN7rocprim17ROCPRIM_400000_NS6detail17trampoline_kernelINS0_14default_configENS1_25partition_config_selectorILNS1_17partition_subalgoE9EllbEEZZNS1_14partition_implILS5_9ELb0ES3_jPlS8_PNS0_10empty_typeENS0_5tupleIJS8_S9_EEENSB_IJS8_SA_EEENS0_18inequality_wrapperIZN2at6native12_GLOBAL__N_124unique_dim_cuda_templateItEESt5tupleIJNSF_6TensorESK_SK_EERKSK_lbbbEUlllE0_EEPmJS9_EEE10hipError_tPvRmT3_T4_T5_T6_T7_T9_mT8_P12ihipStream_tbDpT10_ENKUlT_T0_E_clISt17integral_constantIbLb1EES19_IbLb0EEEEDaS15_S16_EUlS15_E_NS1_11comp_targetILNS1_3genE4ELNS1_11target_archE910ELNS1_3gpuE8ELNS1_3repE0EEENS1_30default_config_static_selectorELNS0_4arch9wavefront6targetE0EEEvT1_,@function
_ZN7rocprim17ROCPRIM_400000_NS6detail17trampoline_kernelINS0_14default_configENS1_25partition_config_selectorILNS1_17partition_subalgoE9EllbEEZZNS1_14partition_implILS5_9ELb0ES3_jPlS8_PNS0_10empty_typeENS0_5tupleIJS8_S9_EEENSB_IJS8_SA_EEENS0_18inequality_wrapperIZN2at6native12_GLOBAL__N_124unique_dim_cuda_templateItEESt5tupleIJNSF_6TensorESK_SK_EERKSK_lbbbEUlllE0_EEPmJS9_EEE10hipError_tPvRmT3_T4_T5_T6_T7_T9_mT8_P12ihipStream_tbDpT10_ENKUlT_T0_E_clISt17integral_constantIbLb1EES19_IbLb0EEEEDaS15_S16_EUlS15_E_NS1_11comp_targetILNS1_3genE4ELNS1_11target_archE910ELNS1_3gpuE8ELNS1_3repE0EEENS1_30default_config_static_selectorELNS0_4arch9wavefront6targetE0EEEvT1_: ; @_ZN7rocprim17ROCPRIM_400000_NS6detail17trampoline_kernelINS0_14default_configENS1_25partition_config_selectorILNS1_17partition_subalgoE9EllbEEZZNS1_14partition_implILS5_9ELb0ES3_jPlS8_PNS0_10empty_typeENS0_5tupleIJS8_S9_EEENSB_IJS8_SA_EEENS0_18inequality_wrapperIZN2at6native12_GLOBAL__N_124unique_dim_cuda_templateItEESt5tupleIJNSF_6TensorESK_SK_EERKSK_lbbbEUlllE0_EEPmJS9_EEE10hipError_tPvRmT3_T4_T5_T6_T7_T9_mT8_P12ihipStream_tbDpT10_ENKUlT_T0_E_clISt17integral_constantIbLb1EES19_IbLb0EEEEDaS15_S16_EUlS15_E_NS1_11comp_targetILNS1_3genE4ELNS1_11target_archE910ELNS1_3gpuE8ELNS1_3repE0EEENS1_30default_config_static_selectorELNS0_4arch9wavefront6targetE0EEEvT1_
; %bb.0:
	.section	.rodata,"a",@progbits
	.p2align	6, 0x0
	.amdhsa_kernel _ZN7rocprim17ROCPRIM_400000_NS6detail17trampoline_kernelINS0_14default_configENS1_25partition_config_selectorILNS1_17partition_subalgoE9EllbEEZZNS1_14partition_implILS5_9ELb0ES3_jPlS8_PNS0_10empty_typeENS0_5tupleIJS8_S9_EEENSB_IJS8_SA_EEENS0_18inequality_wrapperIZN2at6native12_GLOBAL__N_124unique_dim_cuda_templateItEESt5tupleIJNSF_6TensorESK_SK_EERKSK_lbbbEUlllE0_EEPmJS9_EEE10hipError_tPvRmT3_T4_T5_T6_T7_T9_mT8_P12ihipStream_tbDpT10_ENKUlT_T0_E_clISt17integral_constantIbLb1EES19_IbLb0EEEEDaS15_S16_EUlS15_E_NS1_11comp_targetILNS1_3genE4ELNS1_11target_archE910ELNS1_3gpuE8ELNS1_3repE0EEENS1_30default_config_static_selectorELNS0_4arch9wavefront6targetE0EEEvT1_
		.amdhsa_group_segment_fixed_size 0
		.amdhsa_private_segment_fixed_size 0
		.amdhsa_kernarg_size 120
		.amdhsa_user_sgpr_count 2
		.amdhsa_user_sgpr_dispatch_ptr 0
		.amdhsa_user_sgpr_queue_ptr 0
		.amdhsa_user_sgpr_kernarg_segment_ptr 1
		.amdhsa_user_sgpr_dispatch_id 0
		.amdhsa_user_sgpr_kernarg_preload_length 0
		.amdhsa_user_sgpr_kernarg_preload_offset 0
		.amdhsa_user_sgpr_private_segment_size 0
		.amdhsa_wavefront_size32 1
		.amdhsa_uses_dynamic_stack 0
		.amdhsa_enable_private_segment 0
		.amdhsa_system_sgpr_workgroup_id_x 1
		.amdhsa_system_sgpr_workgroup_id_y 0
		.amdhsa_system_sgpr_workgroup_id_z 0
		.amdhsa_system_sgpr_workgroup_info 0
		.amdhsa_system_vgpr_workitem_id 0
		.amdhsa_next_free_vgpr 1
		.amdhsa_next_free_sgpr 1
		.amdhsa_named_barrier_count 0
		.amdhsa_reserve_vcc 0
		.amdhsa_float_round_mode_32 0
		.amdhsa_float_round_mode_16_64 0
		.amdhsa_float_denorm_mode_32 3
		.amdhsa_float_denorm_mode_16_64 3
		.amdhsa_fp16_overflow 0
		.amdhsa_memory_ordered 1
		.amdhsa_forward_progress 1
		.amdhsa_inst_pref_size 0
		.amdhsa_round_robin_scheduling 0
		.amdhsa_exception_fp_ieee_invalid_op 0
		.amdhsa_exception_fp_denorm_src 0
		.amdhsa_exception_fp_ieee_div_zero 0
		.amdhsa_exception_fp_ieee_overflow 0
		.amdhsa_exception_fp_ieee_underflow 0
		.amdhsa_exception_fp_ieee_inexact 0
		.amdhsa_exception_int_div_zero 0
	.end_amdhsa_kernel
	.section	.text._ZN7rocprim17ROCPRIM_400000_NS6detail17trampoline_kernelINS0_14default_configENS1_25partition_config_selectorILNS1_17partition_subalgoE9EllbEEZZNS1_14partition_implILS5_9ELb0ES3_jPlS8_PNS0_10empty_typeENS0_5tupleIJS8_S9_EEENSB_IJS8_SA_EEENS0_18inequality_wrapperIZN2at6native12_GLOBAL__N_124unique_dim_cuda_templateItEESt5tupleIJNSF_6TensorESK_SK_EERKSK_lbbbEUlllE0_EEPmJS9_EEE10hipError_tPvRmT3_T4_T5_T6_T7_T9_mT8_P12ihipStream_tbDpT10_ENKUlT_T0_E_clISt17integral_constantIbLb1EES19_IbLb0EEEEDaS15_S16_EUlS15_E_NS1_11comp_targetILNS1_3genE4ELNS1_11target_archE910ELNS1_3gpuE8ELNS1_3repE0EEENS1_30default_config_static_selectorELNS0_4arch9wavefront6targetE0EEEvT1_,"axG",@progbits,_ZN7rocprim17ROCPRIM_400000_NS6detail17trampoline_kernelINS0_14default_configENS1_25partition_config_selectorILNS1_17partition_subalgoE9EllbEEZZNS1_14partition_implILS5_9ELb0ES3_jPlS8_PNS0_10empty_typeENS0_5tupleIJS8_S9_EEENSB_IJS8_SA_EEENS0_18inequality_wrapperIZN2at6native12_GLOBAL__N_124unique_dim_cuda_templateItEESt5tupleIJNSF_6TensorESK_SK_EERKSK_lbbbEUlllE0_EEPmJS9_EEE10hipError_tPvRmT3_T4_T5_T6_T7_T9_mT8_P12ihipStream_tbDpT10_ENKUlT_T0_E_clISt17integral_constantIbLb1EES19_IbLb0EEEEDaS15_S16_EUlS15_E_NS1_11comp_targetILNS1_3genE4ELNS1_11target_archE910ELNS1_3gpuE8ELNS1_3repE0EEENS1_30default_config_static_selectorELNS0_4arch9wavefront6targetE0EEEvT1_,comdat
.Lfunc_end1469:
	.size	_ZN7rocprim17ROCPRIM_400000_NS6detail17trampoline_kernelINS0_14default_configENS1_25partition_config_selectorILNS1_17partition_subalgoE9EllbEEZZNS1_14partition_implILS5_9ELb0ES3_jPlS8_PNS0_10empty_typeENS0_5tupleIJS8_S9_EEENSB_IJS8_SA_EEENS0_18inequality_wrapperIZN2at6native12_GLOBAL__N_124unique_dim_cuda_templateItEESt5tupleIJNSF_6TensorESK_SK_EERKSK_lbbbEUlllE0_EEPmJS9_EEE10hipError_tPvRmT3_T4_T5_T6_T7_T9_mT8_P12ihipStream_tbDpT10_ENKUlT_T0_E_clISt17integral_constantIbLb1EES19_IbLb0EEEEDaS15_S16_EUlS15_E_NS1_11comp_targetILNS1_3genE4ELNS1_11target_archE910ELNS1_3gpuE8ELNS1_3repE0EEENS1_30default_config_static_selectorELNS0_4arch9wavefront6targetE0EEEvT1_, .Lfunc_end1469-_ZN7rocprim17ROCPRIM_400000_NS6detail17trampoline_kernelINS0_14default_configENS1_25partition_config_selectorILNS1_17partition_subalgoE9EllbEEZZNS1_14partition_implILS5_9ELb0ES3_jPlS8_PNS0_10empty_typeENS0_5tupleIJS8_S9_EEENSB_IJS8_SA_EEENS0_18inequality_wrapperIZN2at6native12_GLOBAL__N_124unique_dim_cuda_templateItEESt5tupleIJNSF_6TensorESK_SK_EERKSK_lbbbEUlllE0_EEPmJS9_EEE10hipError_tPvRmT3_T4_T5_T6_T7_T9_mT8_P12ihipStream_tbDpT10_ENKUlT_T0_E_clISt17integral_constantIbLb1EES19_IbLb0EEEEDaS15_S16_EUlS15_E_NS1_11comp_targetILNS1_3genE4ELNS1_11target_archE910ELNS1_3gpuE8ELNS1_3repE0EEENS1_30default_config_static_selectorELNS0_4arch9wavefront6targetE0EEEvT1_
                                        ; -- End function
	.set _ZN7rocprim17ROCPRIM_400000_NS6detail17trampoline_kernelINS0_14default_configENS1_25partition_config_selectorILNS1_17partition_subalgoE9EllbEEZZNS1_14partition_implILS5_9ELb0ES3_jPlS8_PNS0_10empty_typeENS0_5tupleIJS8_S9_EEENSB_IJS8_SA_EEENS0_18inequality_wrapperIZN2at6native12_GLOBAL__N_124unique_dim_cuda_templateItEESt5tupleIJNSF_6TensorESK_SK_EERKSK_lbbbEUlllE0_EEPmJS9_EEE10hipError_tPvRmT3_T4_T5_T6_T7_T9_mT8_P12ihipStream_tbDpT10_ENKUlT_T0_E_clISt17integral_constantIbLb1EES19_IbLb0EEEEDaS15_S16_EUlS15_E_NS1_11comp_targetILNS1_3genE4ELNS1_11target_archE910ELNS1_3gpuE8ELNS1_3repE0EEENS1_30default_config_static_selectorELNS0_4arch9wavefront6targetE0EEEvT1_.num_vgpr, 0
	.set _ZN7rocprim17ROCPRIM_400000_NS6detail17trampoline_kernelINS0_14default_configENS1_25partition_config_selectorILNS1_17partition_subalgoE9EllbEEZZNS1_14partition_implILS5_9ELb0ES3_jPlS8_PNS0_10empty_typeENS0_5tupleIJS8_S9_EEENSB_IJS8_SA_EEENS0_18inequality_wrapperIZN2at6native12_GLOBAL__N_124unique_dim_cuda_templateItEESt5tupleIJNSF_6TensorESK_SK_EERKSK_lbbbEUlllE0_EEPmJS9_EEE10hipError_tPvRmT3_T4_T5_T6_T7_T9_mT8_P12ihipStream_tbDpT10_ENKUlT_T0_E_clISt17integral_constantIbLb1EES19_IbLb0EEEEDaS15_S16_EUlS15_E_NS1_11comp_targetILNS1_3genE4ELNS1_11target_archE910ELNS1_3gpuE8ELNS1_3repE0EEENS1_30default_config_static_selectorELNS0_4arch9wavefront6targetE0EEEvT1_.num_agpr, 0
	.set _ZN7rocprim17ROCPRIM_400000_NS6detail17trampoline_kernelINS0_14default_configENS1_25partition_config_selectorILNS1_17partition_subalgoE9EllbEEZZNS1_14partition_implILS5_9ELb0ES3_jPlS8_PNS0_10empty_typeENS0_5tupleIJS8_S9_EEENSB_IJS8_SA_EEENS0_18inequality_wrapperIZN2at6native12_GLOBAL__N_124unique_dim_cuda_templateItEESt5tupleIJNSF_6TensorESK_SK_EERKSK_lbbbEUlllE0_EEPmJS9_EEE10hipError_tPvRmT3_T4_T5_T6_T7_T9_mT8_P12ihipStream_tbDpT10_ENKUlT_T0_E_clISt17integral_constantIbLb1EES19_IbLb0EEEEDaS15_S16_EUlS15_E_NS1_11comp_targetILNS1_3genE4ELNS1_11target_archE910ELNS1_3gpuE8ELNS1_3repE0EEENS1_30default_config_static_selectorELNS0_4arch9wavefront6targetE0EEEvT1_.numbered_sgpr, 0
	.set _ZN7rocprim17ROCPRIM_400000_NS6detail17trampoline_kernelINS0_14default_configENS1_25partition_config_selectorILNS1_17partition_subalgoE9EllbEEZZNS1_14partition_implILS5_9ELb0ES3_jPlS8_PNS0_10empty_typeENS0_5tupleIJS8_S9_EEENSB_IJS8_SA_EEENS0_18inequality_wrapperIZN2at6native12_GLOBAL__N_124unique_dim_cuda_templateItEESt5tupleIJNSF_6TensorESK_SK_EERKSK_lbbbEUlllE0_EEPmJS9_EEE10hipError_tPvRmT3_T4_T5_T6_T7_T9_mT8_P12ihipStream_tbDpT10_ENKUlT_T0_E_clISt17integral_constantIbLb1EES19_IbLb0EEEEDaS15_S16_EUlS15_E_NS1_11comp_targetILNS1_3genE4ELNS1_11target_archE910ELNS1_3gpuE8ELNS1_3repE0EEENS1_30default_config_static_selectorELNS0_4arch9wavefront6targetE0EEEvT1_.num_named_barrier, 0
	.set _ZN7rocprim17ROCPRIM_400000_NS6detail17trampoline_kernelINS0_14default_configENS1_25partition_config_selectorILNS1_17partition_subalgoE9EllbEEZZNS1_14partition_implILS5_9ELb0ES3_jPlS8_PNS0_10empty_typeENS0_5tupleIJS8_S9_EEENSB_IJS8_SA_EEENS0_18inequality_wrapperIZN2at6native12_GLOBAL__N_124unique_dim_cuda_templateItEESt5tupleIJNSF_6TensorESK_SK_EERKSK_lbbbEUlllE0_EEPmJS9_EEE10hipError_tPvRmT3_T4_T5_T6_T7_T9_mT8_P12ihipStream_tbDpT10_ENKUlT_T0_E_clISt17integral_constantIbLb1EES19_IbLb0EEEEDaS15_S16_EUlS15_E_NS1_11comp_targetILNS1_3genE4ELNS1_11target_archE910ELNS1_3gpuE8ELNS1_3repE0EEENS1_30default_config_static_selectorELNS0_4arch9wavefront6targetE0EEEvT1_.private_seg_size, 0
	.set _ZN7rocprim17ROCPRIM_400000_NS6detail17trampoline_kernelINS0_14default_configENS1_25partition_config_selectorILNS1_17partition_subalgoE9EllbEEZZNS1_14partition_implILS5_9ELb0ES3_jPlS8_PNS0_10empty_typeENS0_5tupleIJS8_S9_EEENSB_IJS8_SA_EEENS0_18inequality_wrapperIZN2at6native12_GLOBAL__N_124unique_dim_cuda_templateItEESt5tupleIJNSF_6TensorESK_SK_EERKSK_lbbbEUlllE0_EEPmJS9_EEE10hipError_tPvRmT3_T4_T5_T6_T7_T9_mT8_P12ihipStream_tbDpT10_ENKUlT_T0_E_clISt17integral_constantIbLb1EES19_IbLb0EEEEDaS15_S16_EUlS15_E_NS1_11comp_targetILNS1_3genE4ELNS1_11target_archE910ELNS1_3gpuE8ELNS1_3repE0EEENS1_30default_config_static_selectorELNS0_4arch9wavefront6targetE0EEEvT1_.uses_vcc, 0
	.set _ZN7rocprim17ROCPRIM_400000_NS6detail17trampoline_kernelINS0_14default_configENS1_25partition_config_selectorILNS1_17partition_subalgoE9EllbEEZZNS1_14partition_implILS5_9ELb0ES3_jPlS8_PNS0_10empty_typeENS0_5tupleIJS8_S9_EEENSB_IJS8_SA_EEENS0_18inequality_wrapperIZN2at6native12_GLOBAL__N_124unique_dim_cuda_templateItEESt5tupleIJNSF_6TensorESK_SK_EERKSK_lbbbEUlllE0_EEPmJS9_EEE10hipError_tPvRmT3_T4_T5_T6_T7_T9_mT8_P12ihipStream_tbDpT10_ENKUlT_T0_E_clISt17integral_constantIbLb1EES19_IbLb0EEEEDaS15_S16_EUlS15_E_NS1_11comp_targetILNS1_3genE4ELNS1_11target_archE910ELNS1_3gpuE8ELNS1_3repE0EEENS1_30default_config_static_selectorELNS0_4arch9wavefront6targetE0EEEvT1_.uses_flat_scratch, 0
	.set _ZN7rocprim17ROCPRIM_400000_NS6detail17trampoline_kernelINS0_14default_configENS1_25partition_config_selectorILNS1_17partition_subalgoE9EllbEEZZNS1_14partition_implILS5_9ELb0ES3_jPlS8_PNS0_10empty_typeENS0_5tupleIJS8_S9_EEENSB_IJS8_SA_EEENS0_18inequality_wrapperIZN2at6native12_GLOBAL__N_124unique_dim_cuda_templateItEESt5tupleIJNSF_6TensorESK_SK_EERKSK_lbbbEUlllE0_EEPmJS9_EEE10hipError_tPvRmT3_T4_T5_T6_T7_T9_mT8_P12ihipStream_tbDpT10_ENKUlT_T0_E_clISt17integral_constantIbLb1EES19_IbLb0EEEEDaS15_S16_EUlS15_E_NS1_11comp_targetILNS1_3genE4ELNS1_11target_archE910ELNS1_3gpuE8ELNS1_3repE0EEENS1_30default_config_static_selectorELNS0_4arch9wavefront6targetE0EEEvT1_.has_dyn_sized_stack, 0
	.set _ZN7rocprim17ROCPRIM_400000_NS6detail17trampoline_kernelINS0_14default_configENS1_25partition_config_selectorILNS1_17partition_subalgoE9EllbEEZZNS1_14partition_implILS5_9ELb0ES3_jPlS8_PNS0_10empty_typeENS0_5tupleIJS8_S9_EEENSB_IJS8_SA_EEENS0_18inequality_wrapperIZN2at6native12_GLOBAL__N_124unique_dim_cuda_templateItEESt5tupleIJNSF_6TensorESK_SK_EERKSK_lbbbEUlllE0_EEPmJS9_EEE10hipError_tPvRmT3_T4_T5_T6_T7_T9_mT8_P12ihipStream_tbDpT10_ENKUlT_T0_E_clISt17integral_constantIbLb1EES19_IbLb0EEEEDaS15_S16_EUlS15_E_NS1_11comp_targetILNS1_3genE4ELNS1_11target_archE910ELNS1_3gpuE8ELNS1_3repE0EEENS1_30default_config_static_selectorELNS0_4arch9wavefront6targetE0EEEvT1_.has_recursion, 0
	.set _ZN7rocprim17ROCPRIM_400000_NS6detail17trampoline_kernelINS0_14default_configENS1_25partition_config_selectorILNS1_17partition_subalgoE9EllbEEZZNS1_14partition_implILS5_9ELb0ES3_jPlS8_PNS0_10empty_typeENS0_5tupleIJS8_S9_EEENSB_IJS8_SA_EEENS0_18inequality_wrapperIZN2at6native12_GLOBAL__N_124unique_dim_cuda_templateItEESt5tupleIJNSF_6TensorESK_SK_EERKSK_lbbbEUlllE0_EEPmJS9_EEE10hipError_tPvRmT3_T4_T5_T6_T7_T9_mT8_P12ihipStream_tbDpT10_ENKUlT_T0_E_clISt17integral_constantIbLb1EES19_IbLb0EEEEDaS15_S16_EUlS15_E_NS1_11comp_targetILNS1_3genE4ELNS1_11target_archE910ELNS1_3gpuE8ELNS1_3repE0EEENS1_30default_config_static_selectorELNS0_4arch9wavefront6targetE0EEEvT1_.has_indirect_call, 0
	.section	.AMDGPU.csdata,"",@progbits
; Kernel info:
; codeLenInByte = 0
; TotalNumSgprs: 0
; NumVgprs: 0
; ScratchSize: 0
; MemoryBound: 0
; FloatMode: 240
; IeeeMode: 1
; LDSByteSize: 0 bytes/workgroup (compile time only)
; SGPRBlocks: 0
; VGPRBlocks: 0
; NumSGPRsForWavesPerEU: 1
; NumVGPRsForWavesPerEU: 1
; NamedBarCnt: 0
; Occupancy: 16
; WaveLimiterHint : 0
; COMPUTE_PGM_RSRC2:SCRATCH_EN: 0
; COMPUTE_PGM_RSRC2:USER_SGPR: 2
; COMPUTE_PGM_RSRC2:TRAP_HANDLER: 0
; COMPUTE_PGM_RSRC2:TGID_X_EN: 1
; COMPUTE_PGM_RSRC2:TGID_Y_EN: 0
; COMPUTE_PGM_RSRC2:TGID_Z_EN: 0
; COMPUTE_PGM_RSRC2:TIDIG_COMP_CNT: 0
	.section	.text._ZN7rocprim17ROCPRIM_400000_NS6detail17trampoline_kernelINS0_14default_configENS1_25partition_config_selectorILNS1_17partition_subalgoE9EllbEEZZNS1_14partition_implILS5_9ELb0ES3_jPlS8_PNS0_10empty_typeENS0_5tupleIJS8_S9_EEENSB_IJS8_SA_EEENS0_18inequality_wrapperIZN2at6native12_GLOBAL__N_124unique_dim_cuda_templateItEESt5tupleIJNSF_6TensorESK_SK_EERKSK_lbbbEUlllE0_EEPmJS9_EEE10hipError_tPvRmT3_T4_T5_T6_T7_T9_mT8_P12ihipStream_tbDpT10_ENKUlT_T0_E_clISt17integral_constantIbLb1EES19_IbLb0EEEEDaS15_S16_EUlS15_E_NS1_11comp_targetILNS1_3genE3ELNS1_11target_archE908ELNS1_3gpuE7ELNS1_3repE0EEENS1_30default_config_static_selectorELNS0_4arch9wavefront6targetE0EEEvT1_,"axG",@progbits,_ZN7rocprim17ROCPRIM_400000_NS6detail17trampoline_kernelINS0_14default_configENS1_25partition_config_selectorILNS1_17partition_subalgoE9EllbEEZZNS1_14partition_implILS5_9ELb0ES3_jPlS8_PNS0_10empty_typeENS0_5tupleIJS8_S9_EEENSB_IJS8_SA_EEENS0_18inequality_wrapperIZN2at6native12_GLOBAL__N_124unique_dim_cuda_templateItEESt5tupleIJNSF_6TensorESK_SK_EERKSK_lbbbEUlllE0_EEPmJS9_EEE10hipError_tPvRmT3_T4_T5_T6_T7_T9_mT8_P12ihipStream_tbDpT10_ENKUlT_T0_E_clISt17integral_constantIbLb1EES19_IbLb0EEEEDaS15_S16_EUlS15_E_NS1_11comp_targetILNS1_3genE3ELNS1_11target_archE908ELNS1_3gpuE7ELNS1_3repE0EEENS1_30default_config_static_selectorELNS0_4arch9wavefront6targetE0EEEvT1_,comdat
	.globl	_ZN7rocprim17ROCPRIM_400000_NS6detail17trampoline_kernelINS0_14default_configENS1_25partition_config_selectorILNS1_17partition_subalgoE9EllbEEZZNS1_14partition_implILS5_9ELb0ES3_jPlS8_PNS0_10empty_typeENS0_5tupleIJS8_S9_EEENSB_IJS8_SA_EEENS0_18inequality_wrapperIZN2at6native12_GLOBAL__N_124unique_dim_cuda_templateItEESt5tupleIJNSF_6TensorESK_SK_EERKSK_lbbbEUlllE0_EEPmJS9_EEE10hipError_tPvRmT3_T4_T5_T6_T7_T9_mT8_P12ihipStream_tbDpT10_ENKUlT_T0_E_clISt17integral_constantIbLb1EES19_IbLb0EEEEDaS15_S16_EUlS15_E_NS1_11comp_targetILNS1_3genE3ELNS1_11target_archE908ELNS1_3gpuE7ELNS1_3repE0EEENS1_30default_config_static_selectorELNS0_4arch9wavefront6targetE0EEEvT1_ ; -- Begin function _ZN7rocprim17ROCPRIM_400000_NS6detail17trampoline_kernelINS0_14default_configENS1_25partition_config_selectorILNS1_17partition_subalgoE9EllbEEZZNS1_14partition_implILS5_9ELb0ES3_jPlS8_PNS0_10empty_typeENS0_5tupleIJS8_S9_EEENSB_IJS8_SA_EEENS0_18inequality_wrapperIZN2at6native12_GLOBAL__N_124unique_dim_cuda_templateItEESt5tupleIJNSF_6TensorESK_SK_EERKSK_lbbbEUlllE0_EEPmJS9_EEE10hipError_tPvRmT3_T4_T5_T6_T7_T9_mT8_P12ihipStream_tbDpT10_ENKUlT_T0_E_clISt17integral_constantIbLb1EES19_IbLb0EEEEDaS15_S16_EUlS15_E_NS1_11comp_targetILNS1_3genE3ELNS1_11target_archE908ELNS1_3gpuE7ELNS1_3repE0EEENS1_30default_config_static_selectorELNS0_4arch9wavefront6targetE0EEEvT1_
	.p2align	8
	.type	_ZN7rocprim17ROCPRIM_400000_NS6detail17trampoline_kernelINS0_14default_configENS1_25partition_config_selectorILNS1_17partition_subalgoE9EllbEEZZNS1_14partition_implILS5_9ELb0ES3_jPlS8_PNS0_10empty_typeENS0_5tupleIJS8_S9_EEENSB_IJS8_SA_EEENS0_18inequality_wrapperIZN2at6native12_GLOBAL__N_124unique_dim_cuda_templateItEESt5tupleIJNSF_6TensorESK_SK_EERKSK_lbbbEUlllE0_EEPmJS9_EEE10hipError_tPvRmT3_T4_T5_T6_T7_T9_mT8_P12ihipStream_tbDpT10_ENKUlT_T0_E_clISt17integral_constantIbLb1EES19_IbLb0EEEEDaS15_S16_EUlS15_E_NS1_11comp_targetILNS1_3genE3ELNS1_11target_archE908ELNS1_3gpuE7ELNS1_3repE0EEENS1_30default_config_static_selectorELNS0_4arch9wavefront6targetE0EEEvT1_,@function
_ZN7rocprim17ROCPRIM_400000_NS6detail17trampoline_kernelINS0_14default_configENS1_25partition_config_selectorILNS1_17partition_subalgoE9EllbEEZZNS1_14partition_implILS5_9ELb0ES3_jPlS8_PNS0_10empty_typeENS0_5tupleIJS8_S9_EEENSB_IJS8_SA_EEENS0_18inequality_wrapperIZN2at6native12_GLOBAL__N_124unique_dim_cuda_templateItEESt5tupleIJNSF_6TensorESK_SK_EERKSK_lbbbEUlllE0_EEPmJS9_EEE10hipError_tPvRmT3_T4_T5_T6_T7_T9_mT8_P12ihipStream_tbDpT10_ENKUlT_T0_E_clISt17integral_constantIbLb1EES19_IbLb0EEEEDaS15_S16_EUlS15_E_NS1_11comp_targetILNS1_3genE3ELNS1_11target_archE908ELNS1_3gpuE7ELNS1_3repE0EEENS1_30default_config_static_selectorELNS0_4arch9wavefront6targetE0EEEvT1_: ; @_ZN7rocprim17ROCPRIM_400000_NS6detail17trampoline_kernelINS0_14default_configENS1_25partition_config_selectorILNS1_17partition_subalgoE9EllbEEZZNS1_14partition_implILS5_9ELb0ES3_jPlS8_PNS0_10empty_typeENS0_5tupleIJS8_S9_EEENSB_IJS8_SA_EEENS0_18inequality_wrapperIZN2at6native12_GLOBAL__N_124unique_dim_cuda_templateItEESt5tupleIJNSF_6TensorESK_SK_EERKSK_lbbbEUlllE0_EEPmJS9_EEE10hipError_tPvRmT3_T4_T5_T6_T7_T9_mT8_P12ihipStream_tbDpT10_ENKUlT_T0_E_clISt17integral_constantIbLb1EES19_IbLb0EEEEDaS15_S16_EUlS15_E_NS1_11comp_targetILNS1_3genE3ELNS1_11target_archE908ELNS1_3gpuE7ELNS1_3repE0EEENS1_30default_config_static_selectorELNS0_4arch9wavefront6targetE0EEEvT1_
; %bb.0:
	.section	.rodata,"a",@progbits
	.p2align	6, 0x0
	.amdhsa_kernel _ZN7rocprim17ROCPRIM_400000_NS6detail17trampoline_kernelINS0_14default_configENS1_25partition_config_selectorILNS1_17partition_subalgoE9EllbEEZZNS1_14partition_implILS5_9ELb0ES3_jPlS8_PNS0_10empty_typeENS0_5tupleIJS8_S9_EEENSB_IJS8_SA_EEENS0_18inequality_wrapperIZN2at6native12_GLOBAL__N_124unique_dim_cuda_templateItEESt5tupleIJNSF_6TensorESK_SK_EERKSK_lbbbEUlllE0_EEPmJS9_EEE10hipError_tPvRmT3_T4_T5_T6_T7_T9_mT8_P12ihipStream_tbDpT10_ENKUlT_T0_E_clISt17integral_constantIbLb1EES19_IbLb0EEEEDaS15_S16_EUlS15_E_NS1_11comp_targetILNS1_3genE3ELNS1_11target_archE908ELNS1_3gpuE7ELNS1_3repE0EEENS1_30default_config_static_selectorELNS0_4arch9wavefront6targetE0EEEvT1_
		.amdhsa_group_segment_fixed_size 0
		.amdhsa_private_segment_fixed_size 0
		.amdhsa_kernarg_size 120
		.amdhsa_user_sgpr_count 2
		.amdhsa_user_sgpr_dispatch_ptr 0
		.amdhsa_user_sgpr_queue_ptr 0
		.amdhsa_user_sgpr_kernarg_segment_ptr 1
		.amdhsa_user_sgpr_dispatch_id 0
		.amdhsa_user_sgpr_kernarg_preload_length 0
		.amdhsa_user_sgpr_kernarg_preload_offset 0
		.amdhsa_user_sgpr_private_segment_size 0
		.amdhsa_wavefront_size32 1
		.amdhsa_uses_dynamic_stack 0
		.amdhsa_enable_private_segment 0
		.amdhsa_system_sgpr_workgroup_id_x 1
		.amdhsa_system_sgpr_workgroup_id_y 0
		.amdhsa_system_sgpr_workgroup_id_z 0
		.amdhsa_system_sgpr_workgroup_info 0
		.amdhsa_system_vgpr_workitem_id 0
		.amdhsa_next_free_vgpr 1
		.amdhsa_next_free_sgpr 1
		.amdhsa_named_barrier_count 0
		.amdhsa_reserve_vcc 0
		.amdhsa_float_round_mode_32 0
		.amdhsa_float_round_mode_16_64 0
		.amdhsa_float_denorm_mode_32 3
		.amdhsa_float_denorm_mode_16_64 3
		.amdhsa_fp16_overflow 0
		.amdhsa_memory_ordered 1
		.amdhsa_forward_progress 1
		.amdhsa_inst_pref_size 0
		.amdhsa_round_robin_scheduling 0
		.amdhsa_exception_fp_ieee_invalid_op 0
		.amdhsa_exception_fp_denorm_src 0
		.amdhsa_exception_fp_ieee_div_zero 0
		.amdhsa_exception_fp_ieee_overflow 0
		.amdhsa_exception_fp_ieee_underflow 0
		.amdhsa_exception_fp_ieee_inexact 0
		.amdhsa_exception_int_div_zero 0
	.end_amdhsa_kernel
	.section	.text._ZN7rocprim17ROCPRIM_400000_NS6detail17trampoline_kernelINS0_14default_configENS1_25partition_config_selectorILNS1_17partition_subalgoE9EllbEEZZNS1_14partition_implILS5_9ELb0ES3_jPlS8_PNS0_10empty_typeENS0_5tupleIJS8_S9_EEENSB_IJS8_SA_EEENS0_18inequality_wrapperIZN2at6native12_GLOBAL__N_124unique_dim_cuda_templateItEESt5tupleIJNSF_6TensorESK_SK_EERKSK_lbbbEUlllE0_EEPmJS9_EEE10hipError_tPvRmT3_T4_T5_T6_T7_T9_mT8_P12ihipStream_tbDpT10_ENKUlT_T0_E_clISt17integral_constantIbLb1EES19_IbLb0EEEEDaS15_S16_EUlS15_E_NS1_11comp_targetILNS1_3genE3ELNS1_11target_archE908ELNS1_3gpuE7ELNS1_3repE0EEENS1_30default_config_static_selectorELNS0_4arch9wavefront6targetE0EEEvT1_,"axG",@progbits,_ZN7rocprim17ROCPRIM_400000_NS6detail17trampoline_kernelINS0_14default_configENS1_25partition_config_selectorILNS1_17partition_subalgoE9EllbEEZZNS1_14partition_implILS5_9ELb0ES3_jPlS8_PNS0_10empty_typeENS0_5tupleIJS8_S9_EEENSB_IJS8_SA_EEENS0_18inequality_wrapperIZN2at6native12_GLOBAL__N_124unique_dim_cuda_templateItEESt5tupleIJNSF_6TensorESK_SK_EERKSK_lbbbEUlllE0_EEPmJS9_EEE10hipError_tPvRmT3_T4_T5_T6_T7_T9_mT8_P12ihipStream_tbDpT10_ENKUlT_T0_E_clISt17integral_constantIbLb1EES19_IbLb0EEEEDaS15_S16_EUlS15_E_NS1_11comp_targetILNS1_3genE3ELNS1_11target_archE908ELNS1_3gpuE7ELNS1_3repE0EEENS1_30default_config_static_selectorELNS0_4arch9wavefront6targetE0EEEvT1_,comdat
.Lfunc_end1470:
	.size	_ZN7rocprim17ROCPRIM_400000_NS6detail17trampoline_kernelINS0_14default_configENS1_25partition_config_selectorILNS1_17partition_subalgoE9EllbEEZZNS1_14partition_implILS5_9ELb0ES3_jPlS8_PNS0_10empty_typeENS0_5tupleIJS8_S9_EEENSB_IJS8_SA_EEENS0_18inequality_wrapperIZN2at6native12_GLOBAL__N_124unique_dim_cuda_templateItEESt5tupleIJNSF_6TensorESK_SK_EERKSK_lbbbEUlllE0_EEPmJS9_EEE10hipError_tPvRmT3_T4_T5_T6_T7_T9_mT8_P12ihipStream_tbDpT10_ENKUlT_T0_E_clISt17integral_constantIbLb1EES19_IbLb0EEEEDaS15_S16_EUlS15_E_NS1_11comp_targetILNS1_3genE3ELNS1_11target_archE908ELNS1_3gpuE7ELNS1_3repE0EEENS1_30default_config_static_selectorELNS0_4arch9wavefront6targetE0EEEvT1_, .Lfunc_end1470-_ZN7rocprim17ROCPRIM_400000_NS6detail17trampoline_kernelINS0_14default_configENS1_25partition_config_selectorILNS1_17partition_subalgoE9EllbEEZZNS1_14partition_implILS5_9ELb0ES3_jPlS8_PNS0_10empty_typeENS0_5tupleIJS8_S9_EEENSB_IJS8_SA_EEENS0_18inequality_wrapperIZN2at6native12_GLOBAL__N_124unique_dim_cuda_templateItEESt5tupleIJNSF_6TensorESK_SK_EERKSK_lbbbEUlllE0_EEPmJS9_EEE10hipError_tPvRmT3_T4_T5_T6_T7_T9_mT8_P12ihipStream_tbDpT10_ENKUlT_T0_E_clISt17integral_constantIbLb1EES19_IbLb0EEEEDaS15_S16_EUlS15_E_NS1_11comp_targetILNS1_3genE3ELNS1_11target_archE908ELNS1_3gpuE7ELNS1_3repE0EEENS1_30default_config_static_selectorELNS0_4arch9wavefront6targetE0EEEvT1_
                                        ; -- End function
	.set _ZN7rocprim17ROCPRIM_400000_NS6detail17trampoline_kernelINS0_14default_configENS1_25partition_config_selectorILNS1_17partition_subalgoE9EllbEEZZNS1_14partition_implILS5_9ELb0ES3_jPlS8_PNS0_10empty_typeENS0_5tupleIJS8_S9_EEENSB_IJS8_SA_EEENS0_18inequality_wrapperIZN2at6native12_GLOBAL__N_124unique_dim_cuda_templateItEESt5tupleIJNSF_6TensorESK_SK_EERKSK_lbbbEUlllE0_EEPmJS9_EEE10hipError_tPvRmT3_T4_T5_T6_T7_T9_mT8_P12ihipStream_tbDpT10_ENKUlT_T0_E_clISt17integral_constantIbLb1EES19_IbLb0EEEEDaS15_S16_EUlS15_E_NS1_11comp_targetILNS1_3genE3ELNS1_11target_archE908ELNS1_3gpuE7ELNS1_3repE0EEENS1_30default_config_static_selectorELNS0_4arch9wavefront6targetE0EEEvT1_.num_vgpr, 0
	.set _ZN7rocprim17ROCPRIM_400000_NS6detail17trampoline_kernelINS0_14default_configENS1_25partition_config_selectorILNS1_17partition_subalgoE9EllbEEZZNS1_14partition_implILS5_9ELb0ES3_jPlS8_PNS0_10empty_typeENS0_5tupleIJS8_S9_EEENSB_IJS8_SA_EEENS0_18inequality_wrapperIZN2at6native12_GLOBAL__N_124unique_dim_cuda_templateItEESt5tupleIJNSF_6TensorESK_SK_EERKSK_lbbbEUlllE0_EEPmJS9_EEE10hipError_tPvRmT3_T4_T5_T6_T7_T9_mT8_P12ihipStream_tbDpT10_ENKUlT_T0_E_clISt17integral_constantIbLb1EES19_IbLb0EEEEDaS15_S16_EUlS15_E_NS1_11comp_targetILNS1_3genE3ELNS1_11target_archE908ELNS1_3gpuE7ELNS1_3repE0EEENS1_30default_config_static_selectorELNS0_4arch9wavefront6targetE0EEEvT1_.num_agpr, 0
	.set _ZN7rocprim17ROCPRIM_400000_NS6detail17trampoline_kernelINS0_14default_configENS1_25partition_config_selectorILNS1_17partition_subalgoE9EllbEEZZNS1_14partition_implILS5_9ELb0ES3_jPlS8_PNS0_10empty_typeENS0_5tupleIJS8_S9_EEENSB_IJS8_SA_EEENS0_18inequality_wrapperIZN2at6native12_GLOBAL__N_124unique_dim_cuda_templateItEESt5tupleIJNSF_6TensorESK_SK_EERKSK_lbbbEUlllE0_EEPmJS9_EEE10hipError_tPvRmT3_T4_T5_T6_T7_T9_mT8_P12ihipStream_tbDpT10_ENKUlT_T0_E_clISt17integral_constantIbLb1EES19_IbLb0EEEEDaS15_S16_EUlS15_E_NS1_11comp_targetILNS1_3genE3ELNS1_11target_archE908ELNS1_3gpuE7ELNS1_3repE0EEENS1_30default_config_static_selectorELNS0_4arch9wavefront6targetE0EEEvT1_.numbered_sgpr, 0
	.set _ZN7rocprim17ROCPRIM_400000_NS6detail17trampoline_kernelINS0_14default_configENS1_25partition_config_selectorILNS1_17partition_subalgoE9EllbEEZZNS1_14partition_implILS5_9ELb0ES3_jPlS8_PNS0_10empty_typeENS0_5tupleIJS8_S9_EEENSB_IJS8_SA_EEENS0_18inequality_wrapperIZN2at6native12_GLOBAL__N_124unique_dim_cuda_templateItEESt5tupleIJNSF_6TensorESK_SK_EERKSK_lbbbEUlllE0_EEPmJS9_EEE10hipError_tPvRmT3_T4_T5_T6_T7_T9_mT8_P12ihipStream_tbDpT10_ENKUlT_T0_E_clISt17integral_constantIbLb1EES19_IbLb0EEEEDaS15_S16_EUlS15_E_NS1_11comp_targetILNS1_3genE3ELNS1_11target_archE908ELNS1_3gpuE7ELNS1_3repE0EEENS1_30default_config_static_selectorELNS0_4arch9wavefront6targetE0EEEvT1_.num_named_barrier, 0
	.set _ZN7rocprim17ROCPRIM_400000_NS6detail17trampoline_kernelINS0_14default_configENS1_25partition_config_selectorILNS1_17partition_subalgoE9EllbEEZZNS1_14partition_implILS5_9ELb0ES3_jPlS8_PNS0_10empty_typeENS0_5tupleIJS8_S9_EEENSB_IJS8_SA_EEENS0_18inequality_wrapperIZN2at6native12_GLOBAL__N_124unique_dim_cuda_templateItEESt5tupleIJNSF_6TensorESK_SK_EERKSK_lbbbEUlllE0_EEPmJS9_EEE10hipError_tPvRmT3_T4_T5_T6_T7_T9_mT8_P12ihipStream_tbDpT10_ENKUlT_T0_E_clISt17integral_constantIbLb1EES19_IbLb0EEEEDaS15_S16_EUlS15_E_NS1_11comp_targetILNS1_3genE3ELNS1_11target_archE908ELNS1_3gpuE7ELNS1_3repE0EEENS1_30default_config_static_selectorELNS0_4arch9wavefront6targetE0EEEvT1_.private_seg_size, 0
	.set _ZN7rocprim17ROCPRIM_400000_NS6detail17trampoline_kernelINS0_14default_configENS1_25partition_config_selectorILNS1_17partition_subalgoE9EllbEEZZNS1_14partition_implILS5_9ELb0ES3_jPlS8_PNS0_10empty_typeENS0_5tupleIJS8_S9_EEENSB_IJS8_SA_EEENS0_18inequality_wrapperIZN2at6native12_GLOBAL__N_124unique_dim_cuda_templateItEESt5tupleIJNSF_6TensorESK_SK_EERKSK_lbbbEUlllE0_EEPmJS9_EEE10hipError_tPvRmT3_T4_T5_T6_T7_T9_mT8_P12ihipStream_tbDpT10_ENKUlT_T0_E_clISt17integral_constantIbLb1EES19_IbLb0EEEEDaS15_S16_EUlS15_E_NS1_11comp_targetILNS1_3genE3ELNS1_11target_archE908ELNS1_3gpuE7ELNS1_3repE0EEENS1_30default_config_static_selectorELNS0_4arch9wavefront6targetE0EEEvT1_.uses_vcc, 0
	.set _ZN7rocprim17ROCPRIM_400000_NS6detail17trampoline_kernelINS0_14default_configENS1_25partition_config_selectorILNS1_17partition_subalgoE9EllbEEZZNS1_14partition_implILS5_9ELb0ES3_jPlS8_PNS0_10empty_typeENS0_5tupleIJS8_S9_EEENSB_IJS8_SA_EEENS0_18inequality_wrapperIZN2at6native12_GLOBAL__N_124unique_dim_cuda_templateItEESt5tupleIJNSF_6TensorESK_SK_EERKSK_lbbbEUlllE0_EEPmJS9_EEE10hipError_tPvRmT3_T4_T5_T6_T7_T9_mT8_P12ihipStream_tbDpT10_ENKUlT_T0_E_clISt17integral_constantIbLb1EES19_IbLb0EEEEDaS15_S16_EUlS15_E_NS1_11comp_targetILNS1_3genE3ELNS1_11target_archE908ELNS1_3gpuE7ELNS1_3repE0EEENS1_30default_config_static_selectorELNS0_4arch9wavefront6targetE0EEEvT1_.uses_flat_scratch, 0
	.set _ZN7rocprim17ROCPRIM_400000_NS6detail17trampoline_kernelINS0_14default_configENS1_25partition_config_selectorILNS1_17partition_subalgoE9EllbEEZZNS1_14partition_implILS5_9ELb0ES3_jPlS8_PNS0_10empty_typeENS0_5tupleIJS8_S9_EEENSB_IJS8_SA_EEENS0_18inequality_wrapperIZN2at6native12_GLOBAL__N_124unique_dim_cuda_templateItEESt5tupleIJNSF_6TensorESK_SK_EERKSK_lbbbEUlllE0_EEPmJS9_EEE10hipError_tPvRmT3_T4_T5_T6_T7_T9_mT8_P12ihipStream_tbDpT10_ENKUlT_T0_E_clISt17integral_constantIbLb1EES19_IbLb0EEEEDaS15_S16_EUlS15_E_NS1_11comp_targetILNS1_3genE3ELNS1_11target_archE908ELNS1_3gpuE7ELNS1_3repE0EEENS1_30default_config_static_selectorELNS0_4arch9wavefront6targetE0EEEvT1_.has_dyn_sized_stack, 0
	.set _ZN7rocprim17ROCPRIM_400000_NS6detail17trampoline_kernelINS0_14default_configENS1_25partition_config_selectorILNS1_17partition_subalgoE9EllbEEZZNS1_14partition_implILS5_9ELb0ES3_jPlS8_PNS0_10empty_typeENS0_5tupleIJS8_S9_EEENSB_IJS8_SA_EEENS0_18inequality_wrapperIZN2at6native12_GLOBAL__N_124unique_dim_cuda_templateItEESt5tupleIJNSF_6TensorESK_SK_EERKSK_lbbbEUlllE0_EEPmJS9_EEE10hipError_tPvRmT3_T4_T5_T6_T7_T9_mT8_P12ihipStream_tbDpT10_ENKUlT_T0_E_clISt17integral_constantIbLb1EES19_IbLb0EEEEDaS15_S16_EUlS15_E_NS1_11comp_targetILNS1_3genE3ELNS1_11target_archE908ELNS1_3gpuE7ELNS1_3repE0EEENS1_30default_config_static_selectorELNS0_4arch9wavefront6targetE0EEEvT1_.has_recursion, 0
	.set _ZN7rocprim17ROCPRIM_400000_NS6detail17trampoline_kernelINS0_14default_configENS1_25partition_config_selectorILNS1_17partition_subalgoE9EllbEEZZNS1_14partition_implILS5_9ELb0ES3_jPlS8_PNS0_10empty_typeENS0_5tupleIJS8_S9_EEENSB_IJS8_SA_EEENS0_18inequality_wrapperIZN2at6native12_GLOBAL__N_124unique_dim_cuda_templateItEESt5tupleIJNSF_6TensorESK_SK_EERKSK_lbbbEUlllE0_EEPmJS9_EEE10hipError_tPvRmT3_T4_T5_T6_T7_T9_mT8_P12ihipStream_tbDpT10_ENKUlT_T0_E_clISt17integral_constantIbLb1EES19_IbLb0EEEEDaS15_S16_EUlS15_E_NS1_11comp_targetILNS1_3genE3ELNS1_11target_archE908ELNS1_3gpuE7ELNS1_3repE0EEENS1_30default_config_static_selectorELNS0_4arch9wavefront6targetE0EEEvT1_.has_indirect_call, 0
	.section	.AMDGPU.csdata,"",@progbits
; Kernel info:
; codeLenInByte = 0
; TotalNumSgprs: 0
; NumVgprs: 0
; ScratchSize: 0
; MemoryBound: 0
; FloatMode: 240
; IeeeMode: 1
; LDSByteSize: 0 bytes/workgroup (compile time only)
; SGPRBlocks: 0
; VGPRBlocks: 0
; NumSGPRsForWavesPerEU: 1
; NumVGPRsForWavesPerEU: 1
; NamedBarCnt: 0
; Occupancy: 16
; WaveLimiterHint : 0
; COMPUTE_PGM_RSRC2:SCRATCH_EN: 0
; COMPUTE_PGM_RSRC2:USER_SGPR: 2
; COMPUTE_PGM_RSRC2:TRAP_HANDLER: 0
; COMPUTE_PGM_RSRC2:TGID_X_EN: 1
; COMPUTE_PGM_RSRC2:TGID_Y_EN: 0
; COMPUTE_PGM_RSRC2:TGID_Z_EN: 0
; COMPUTE_PGM_RSRC2:TIDIG_COMP_CNT: 0
	.section	.text._ZN7rocprim17ROCPRIM_400000_NS6detail17trampoline_kernelINS0_14default_configENS1_25partition_config_selectorILNS1_17partition_subalgoE9EllbEEZZNS1_14partition_implILS5_9ELb0ES3_jPlS8_PNS0_10empty_typeENS0_5tupleIJS8_S9_EEENSB_IJS8_SA_EEENS0_18inequality_wrapperIZN2at6native12_GLOBAL__N_124unique_dim_cuda_templateItEESt5tupleIJNSF_6TensorESK_SK_EERKSK_lbbbEUlllE0_EEPmJS9_EEE10hipError_tPvRmT3_T4_T5_T6_T7_T9_mT8_P12ihipStream_tbDpT10_ENKUlT_T0_E_clISt17integral_constantIbLb1EES19_IbLb0EEEEDaS15_S16_EUlS15_E_NS1_11comp_targetILNS1_3genE2ELNS1_11target_archE906ELNS1_3gpuE6ELNS1_3repE0EEENS1_30default_config_static_selectorELNS0_4arch9wavefront6targetE0EEEvT1_,"axG",@progbits,_ZN7rocprim17ROCPRIM_400000_NS6detail17trampoline_kernelINS0_14default_configENS1_25partition_config_selectorILNS1_17partition_subalgoE9EllbEEZZNS1_14partition_implILS5_9ELb0ES3_jPlS8_PNS0_10empty_typeENS0_5tupleIJS8_S9_EEENSB_IJS8_SA_EEENS0_18inequality_wrapperIZN2at6native12_GLOBAL__N_124unique_dim_cuda_templateItEESt5tupleIJNSF_6TensorESK_SK_EERKSK_lbbbEUlllE0_EEPmJS9_EEE10hipError_tPvRmT3_T4_T5_T6_T7_T9_mT8_P12ihipStream_tbDpT10_ENKUlT_T0_E_clISt17integral_constantIbLb1EES19_IbLb0EEEEDaS15_S16_EUlS15_E_NS1_11comp_targetILNS1_3genE2ELNS1_11target_archE906ELNS1_3gpuE6ELNS1_3repE0EEENS1_30default_config_static_selectorELNS0_4arch9wavefront6targetE0EEEvT1_,comdat
	.globl	_ZN7rocprim17ROCPRIM_400000_NS6detail17trampoline_kernelINS0_14default_configENS1_25partition_config_selectorILNS1_17partition_subalgoE9EllbEEZZNS1_14partition_implILS5_9ELb0ES3_jPlS8_PNS0_10empty_typeENS0_5tupleIJS8_S9_EEENSB_IJS8_SA_EEENS0_18inequality_wrapperIZN2at6native12_GLOBAL__N_124unique_dim_cuda_templateItEESt5tupleIJNSF_6TensorESK_SK_EERKSK_lbbbEUlllE0_EEPmJS9_EEE10hipError_tPvRmT3_T4_T5_T6_T7_T9_mT8_P12ihipStream_tbDpT10_ENKUlT_T0_E_clISt17integral_constantIbLb1EES19_IbLb0EEEEDaS15_S16_EUlS15_E_NS1_11comp_targetILNS1_3genE2ELNS1_11target_archE906ELNS1_3gpuE6ELNS1_3repE0EEENS1_30default_config_static_selectorELNS0_4arch9wavefront6targetE0EEEvT1_ ; -- Begin function _ZN7rocprim17ROCPRIM_400000_NS6detail17trampoline_kernelINS0_14default_configENS1_25partition_config_selectorILNS1_17partition_subalgoE9EllbEEZZNS1_14partition_implILS5_9ELb0ES3_jPlS8_PNS0_10empty_typeENS0_5tupleIJS8_S9_EEENSB_IJS8_SA_EEENS0_18inequality_wrapperIZN2at6native12_GLOBAL__N_124unique_dim_cuda_templateItEESt5tupleIJNSF_6TensorESK_SK_EERKSK_lbbbEUlllE0_EEPmJS9_EEE10hipError_tPvRmT3_T4_T5_T6_T7_T9_mT8_P12ihipStream_tbDpT10_ENKUlT_T0_E_clISt17integral_constantIbLb1EES19_IbLb0EEEEDaS15_S16_EUlS15_E_NS1_11comp_targetILNS1_3genE2ELNS1_11target_archE906ELNS1_3gpuE6ELNS1_3repE0EEENS1_30default_config_static_selectorELNS0_4arch9wavefront6targetE0EEEvT1_
	.p2align	8
	.type	_ZN7rocprim17ROCPRIM_400000_NS6detail17trampoline_kernelINS0_14default_configENS1_25partition_config_selectorILNS1_17partition_subalgoE9EllbEEZZNS1_14partition_implILS5_9ELb0ES3_jPlS8_PNS0_10empty_typeENS0_5tupleIJS8_S9_EEENSB_IJS8_SA_EEENS0_18inequality_wrapperIZN2at6native12_GLOBAL__N_124unique_dim_cuda_templateItEESt5tupleIJNSF_6TensorESK_SK_EERKSK_lbbbEUlllE0_EEPmJS9_EEE10hipError_tPvRmT3_T4_T5_T6_T7_T9_mT8_P12ihipStream_tbDpT10_ENKUlT_T0_E_clISt17integral_constantIbLb1EES19_IbLb0EEEEDaS15_S16_EUlS15_E_NS1_11comp_targetILNS1_3genE2ELNS1_11target_archE906ELNS1_3gpuE6ELNS1_3repE0EEENS1_30default_config_static_selectorELNS0_4arch9wavefront6targetE0EEEvT1_,@function
_ZN7rocprim17ROCPRIM_400000_NS6detail17trampoline_kernelINS0_14default_configENS1_25partition_config_selectorILNS1_17partition_subalgoE9EllbEEZZNS1_14partition_implILS5_9ELb0ES3_jPlS8_PNS0_10empty_typeENS0_5tupleIJS8_S9_EEENSB_IJS8_SA_EEENS0_18inequality_wrapperIZN2at6native12_GLOBAL__N_124unique_dim_cuda_templateItEESt5tupleIJNSF_6TensorESK_SK_EERKSK_lbbbEUlllE0_EEPmJS9_EEE10hipError_tPvRmT3_T4_T5_T6_T7_T9_mT8_P12ihipStream_tbDpT10_ENKUlT_T0_E_clISt17integral_constantIbLb1EES19_IbLb0EEEEDaS15_S16_EUlS15_E_NS1_11comp_targetILNS1_3genE2ELNS1_11target_archE906ELNS1_3gpuE6ELNS1_3repE0EEENS1_30default_config_static_selectorELNS0_4arch9wavefront6targetE0EEEvT1_: ; @_ZN7rocprim17ROCPRIM_400000_NS6detail17trampoline_kernelINS0_14default_configENS1_25partition_config_selectorILNS1_17partition_subalgoE9EllbEEZZNS1_14partition_implILS5_9ELb0ES3_jPlS8_PNS0_10empty_typeENS0_5tupleIJS8_S9_EEENSB_IJS8_SA_EEENS0_18inequality_wrapperIZN2at6native12_GLOBAL__N_124unique_dim_cuda_templateItEESt5tupleIJNSF_6TensorESK_SK_EERKSK_lbbbEUlllE0_EEPmJS9_EEE10hipError_tPvRmT3_T4_T5_T6_T7_T9_mT8_P12ihipStream_tbDpT10_ENKUlT_T0_E_clISt17integral_constantIbLb1EES19_IbLb0EEEEDaS15_S16_EUlS15_E_NS1_11comp_targetILNS1_3genE2ELNS1_11target_archE906ELNS1_3gpuE6ELNS1_3repE0EEENS1_30default_config_static_selectorELNS0_4arch9wavefront6targetE0EEEvT1_
; %bb.0:
	.section	.rodata,"a",@progbits
	.p2align	6, 0x0
	.amdhsa_kernel _ZN7rocprim17ROCPRIM_400000_NS6detail17trampoline_kernelINS0_14default_configENS1_25partition_config_selectorILNS1_17partition_subalgoE9EllbEEZZNS1_14partition_implILS5_9ELb0ES3_jPlS8_PNS0_10empty_typeENS0_5tupleIJS8_S9_EEENSB_IJS8_SA_EEENS0_18inequality_wrapperIZN2at6native12_GLOBAL__N_124unique_dim_cuda_templateItEESt5tupleIJNSF_6TensorESK_SK_EERKSK_lbbbEUlllE0_EEPmJS9_EEE10hipError_tPvRmT3_T4_T5_T6_T7_T9_mT8_P12ihipStream_tbDpT10_ENKUlT_T0_E_clISt17integral_constantIbLb1EES19_IbLb0EEEEDaS15_S16_EUlS15_E_NS1_11comp_targetILNS1_3genE2ELNS1_11target_archE906ELNS1_3gpuE6ELNS1_3repE0EEENS1_30default_config_static_selectorELNS0_4arch9wavefront6targetE0EEEvT1_
		.amdhsa_group_segment_fixed_size 0
		.amdhsa_private_segment_fixed_size 0
		.amdhsa_kernarg_size 120
		.amdhsa_user_sgpr_count 2
		.amdhsa_user_sgpr_dispatch_ptr 0
		.amdhsa_user_sgpr_queue_ptr 0
		.amdhsa_user_sgpr_kernarg_segment_ptr 1
		.amdhsa_user_sgpr_dispatch_id 0
		.amdhsa_user_sgpr_kernarg_preload_length 0
		.amdhsa_user_sgpr_kernarg_preload_offset 0
		.amdhsa_user_sgpr_private_segment_size 0
		.amdhsa_wavefront_size32 1
		.amdhsa_uses_dynamic_stack 0
		.amdhsa_enable_private_segment 0
		.amdhsa_system_sgpr_workgroup_id_x 1
		.amdhsa_system_sgpr_workgroup_id_y 0
		.amdhsa_system_sgpr_workgroup_id_z 0
		.amdhsa_system_sgpr_workgroup_info 0
		.amdhsa_system_vgpr_workitem_id 0
		.amdhsa_next_free_vgpr 1
		.amdhsa_next_free_sgpr 1
		.amdhsa_named_barrier_count 0
		.amdhsa_reserve_vcc 0
		.amdhsa_float_round_mode_32 0
		.amdhsa_float_round_mode_16_64 0
		.amdhsa_float_denorm_mode_32 3
		.amdhsa_float_denorm_mode_16_64 3
		.amdhsa_fp16_overflow 0
		.amdhsa_memory_ordered 1
		.amdhsa_forward_progress 1
		.amdhsa_inst_pref_size 0
		.amdhsa_round_robin_scheduling 0
		.amdhsa_exception_fp_ieee_invalid_op 0
		.amdhsa_exception_fp_denorm_src 0
		.amdhsa_exception_fp_ieee_div_zero 0
		.amdhsa_exception_fp_ieee_overflow 0
		.amdhsa_exception_fp_ieee_underflow 0
		.amdhsa_exception_fp_ieee_inexact 0
		.amdhsa_exception_int_div_zero 0
	.end_amdhsa_kernel
	.section	.text._ZN7rocprim17ROCPRIM_400000_NS6detail17trampoline_kernelINS0_14default_configENS1_25partition_config_selectorILNS1_17partition_subalgoE9EllbEEZZNS1_14partition_implILS5_9ELb0ES3_jPlS8_PNS0_10empty_typeENS0_5tupleIJS8_S9_EEENSB_IJS8_SA_EEENS0_18inequality_wrapperIZN2at6native12_GLOBAL__N_124unique_dim_cuda_templateItEESt5tupleIJNSF_6TensorESK_SK_EERKSK_lbbbEUlllE0_EEPmJS9_EEE10hipError_tPvRmT3_T4_T5_T6_T7_T9_mT8_P12ihipStream_tbDpT10_ENKUlT_T0_E_clISt17integral_constantIbLb1EES19_IbLb0EEEEDaS15_S16_EUlS15_E_NS1_11comp_targetILNS1_3genE2ELNS1_11target_archE906ELNS1_3gpuE6ELNS1_3repE0EEENS1_30default_config_static_selectorELNS0_4arch9wavefront6targetE0EEEvT1_,"axG",@progbits,_ZN7rocprim17ROCPRIM_400000_NS6detail17trampoline_kernelINS0_14default_configENS1_25partition_config_selectorILNS1_17partition_subalgoE9EllbEEZZNS1_14partition_implILS5_9ELb0ES3_jPlS8_PNS0_10empty_typeENS0_5tupleIJS8_S9_EEENSB_IJS8_SA_EEENS0_18inequality_wrapperIZN2at6native12_GLOBAL__N_124unique_dim_cuda_templateItEESt5tupleIJNSF_6TensorESK_SK_EERKSK_lbbbEUlllE0_EEPmJS9_EEE10hipError_tPvRmT3_T4_T5_T6_T7_T9_mT8_P12ihipStream_tbDpT10_ENKUlT_T0_E_clISt17integral_constantIbLb1EES19_IbLb0EEEEDaS15_S16_EUlS15_E_NS1_11comp_targetILNS1_3genE2ELNS1_11target_archE906ELNS1_3gpuE6ELNS1_3repE0EEENS1_30default_config_static_selectorELNS0_4arch9wavefront6targetE0EEEvT1_,comdat
.Lfunc_end1471:
	.size	_ZN7rocprim17ROCPRIM_400000_NS6detail17trampoline_kernelINS0_14default_configENS1_25partition_config_selectorILNS1_17partition_subalgoE9EllbEEZZNS1_14partition_implILS5_9ELb0ES3_jPlS8_PNS0_10empty_typeENS0_5tupleIJS8_S9_EEENSB_IJS8_SA_EEENS0_18inequality_wrapperIZN2at6native12_GLOBAL__N_124unique_dim_cuda_templateItEESt5tupleIJNSF_6TensorESK_SK_EERKSK_lbbbEUlllE0_EEPmJS9_EEE10hipError_tPvRmT3_T4_T5_T6_T7_T9_mT8_P12ihipStream_tbDpT10_ENKUlT_T0_E_clISt17integral_constantIbLb1EES19_IbLb0EEEEDaS15_S16_EUlS15_E_NS1_11comp_targetILNS1_3genE2ELNS1_11target_archE906ELNS1_3gpuE6ELNS1_3repE0EEENS1_30default_config_static_selectorELNS0_4arch9wavefront6targetE0EEEvT1_, .Lfunc_end1471-_ZN7rocprim17ROCPRIM_400000_NS6detail17trampoline_kernelINS0_14default_configENS1_25partition_config_selectorILNS1_17partition_subalgoE9EllbEEZZNS1_14partition_implILS5_9ELb0ES3_jPlS8_PNS0_10empty_typeENS0_5tupleIJS8_S9_EEENSB_IJS8_SA_EEENS0_18inequality_wrapperIZN2at6native12_GLOBAL__N_124unique_dim_cuda_templateItEESt5tupleIJNSF_6TensorESK_SK_EERKSK_lbbbEUlllE0_EEPmJS9_EEE10hipError_tPvRmT3_T4_T5_T6_T7_T9_mT8_P12ihipStream_tbDpT10_ENKUlT_T0_E_clISt17integral_constantIbLb1EES19_IbLb0EEEEDaS15_S16_EUlS15_E_NS1_11comp_targetILNS1_3genE2ELNS1_11target_archE906ELNS1_3gpuE6ELNS1_3repE0EEENS1_30default_config_static_selectorELNS0_4arch9wavefront6targetE0EEEvT1_
                                        ; -- End function
	.set _ZN7rocprim17ROCPRIM_400000_NS6detail17trampoline_kernelINS0_14default_configENS1_25partition_config_selectorILNS1_17partition_subalgoE9EllbEEZZNS1_14partition_implILS5_9ELb0ES3_jPlS8_PNS0_10empty_typeENS0_5tupleIJS8_S9_EEENSB_IJS8_SA_EEENS0_18inequality_wrapperIZN2at6native12_GLOBAL__N_124unique_dim_cuda_templateItEESt5tupleIJNSF_6TensorESK_SK_EERKSK_lbbbEUlllE0_EEPmJS9_EEE10hipError_tPvRmT3_T4_T5_T6_T7_T9_mT8_P12ihipStream_tbDpT10_ENKUlT_T0_E_clISt17integral_constantIbLb1EES19_IbLb0EEEEDaS15_S16_EUlS15_E_NS1_11comp_targetILNS1_3genE2ELNS1_11target_archE906ELNS1_3gpuE6ELNS1_3repE0EEENS1_30default_config_static_selectorELNS0_4arch9wavefront6targetE0EEEvT1_.num_vgpr, 0
	.set _ZN7rocprim17ROCPRIM_400000_NS6detail17trampoline_kernelINS0_14default_configENS1_25partition_config_selectorILNS1_17partition_subalgoE9EllbEEZZNS1_14partition_implILS5_9ELb0ES3_jPlS8_PNS0_10empty_typeENS0_5tupleIJS8_S9_EEENSB_IJS8_SA_EEENS0_18inequality_wrapperIZN2at6native12_GLOBAL__N_124unique_dim_cuda_templateItEESt5tupleIJNSF_6TensorESK_SK_EERKSK_lbbbEUlllE0_EEPmJS9_EEE10hipError_tPvRmT3_T4_T5_T6_T7_T9_mT8_P12ihipStream_tbDpT10_ENKUlT_T0_E_clISt17integral_constantIbLb1EES19_IbLb0EEEEDaS15_S16_EUlS15_E_NS1_11comp_targetILNS1_3genE2ELNS1_11target_archE906ELNS1_3gpuE6ELNS1_3repE0EEENS1_30default_config_static_selectorELNS0_4arch9wavefront6targetE0EEEvT1_.num_agpr, 0
	.set _ZN7rocprim17ROCPRIM_400000_NS6detail17trampoline_kernelINS0_14default_configENS1_25partition_config_selectorILNS1_17partition_subalgoE9EllbEEZZNS1_14partition_implILS5_9ELb0ES3_jPlS8_PNS0_10empty_typeENS0_5tupleIJS8_S9_EEENSB_IJS8_SA_EEENS0_18inequality_wrapperIZN2at6native12_GLOBAL__N_124unique_dim_cuda_templateItEESt5tupleIJNSF_6TensorESK_SK_EERKSK_lbbbEUlllE0_EEPmJS9_EEE10hipError_tPvRmT3_T4_T5_T6_T7_T9_mT8_P12ihipStream_tbDpT10_ENKUlT_T0_E_clISt17integral_constantIbLb1EES19_IbLb0EEEEDaS15_S16_EUlS15_E_NS1_11comp_targetILNS1_3genE2ELNS1_11target_archE906ELNS1_3gpuE6ELNS1_3repE0EEENS1_30default_config_static_selectorELNS0_4arch9wavefront6targetE0EEEvT1_.numbered_sgpr, 0
	.set _ZN7rocprim17ROCPRIM_400000_NS6detail17trampoline_kernelINS0_14default_configENS1_25partition_config_selectorILNS1_17partition_subalgoE9EllbEEZZNS1_14partition_implILS5_9ELb0ES3_jPlS8_PNS0_10empty_typeENS0_5tupleIJS8_S9_EEENSB_IJS8_SA_EEENS0_18inequality_wrapperIZN2at6native12_GLOBAL__N_124unique_dim_cuda_templateItEESt5tupleIJNSF_6TensorESK_SK_EERKSK_lbbbEUlllE0_EEPmJS9_EEE10hipError_tPvRmT3_T4_T5_T6_T7_T9_mT8_P12ihipStream_tbDpT10_ENKUlT_T0_E_clISt17integral_constantIbLb1EES19_IbLb0EEEEDaS15_S16_EUlS15_E_NS1_11comp_targetILNS1_3genE2ELNS1_11target_archE906ELNS1_3gpuE6ELNS1_3repE0EEENS1_30default_config_static_selectorELNS0_4arch9wavefront6targetE0EEEvT1_.num_named_barrier, 0
	.set _ZN7rocprim17ROCPRIM_400000_NS6detail17trampoline_kernelINS0_14default_configENS1_25partition_config_selectorILNS1_17partition_subalgoE9EllbEEZZNS1_14partition_implILS5_9ELb0ES3_jPlS8_PNS0_10empty_typeENS0_5tupleIJS8_S9_EEENSB_IJS8_SA_EEENS0_18inequality_wrapperIZN2at6native12_GLOBAL__N_124unique_dim_cuda_templateItEESt5tupleIJNSF_6TensorESK_SK_EERKSK_lbbbEUlllE0_EEPmJS9_EEE10hipError_tPvRmT3_T4_T5_T6_T7_T9_mT8_P12ihipStream_tbDpT10_ENKUlT_T0_E_clISt17integral_constantIbLb1EES19_IbLb0EEEEDaS15_S16_EUlS15_E_NS1_11comp_targetILNS1_3genE2ELNS1_11target_archE906ELNS1_3gpuE6ELNS1_3repE0EEENS1_30default_config_static_selectorELNS0_4arch9wavefront6targetE0EEEvT1_.private_seg_size, 0
	.set _ZN7rocprim17ROCPRIM_400000_NS6detail17trampoline_kernelINS0_14default_configENS1_25partition_config_selectorILNS1_17partition_subalgoE9EllbEEZZNS1_14partition_implILS5_9ELb0ES3_jPlS8_PNS0_10empty_typeENS0_5tupleIJS8_S9_EEENSB_IJS8_SA_EEENS0_18inequality_wrapperIZN2at6native12_GLOBAL__N_124unique_dim_cuda_templateItEESt5tupleIJNSF_6TensorESK_SK_EERKSK_lbbbEUlllE0_EEPmJS9_EEE10hipError_tPvRmT3_T4_T5_T6_T7_T9_mT8_P12ihipStream_tbDpT10_ENKUlT_T0_E_clISt17integral_constantIbLb1EES19_IbLb0EEEEDaS15_S16_EUlS15_E_NS1_11comp_targetILNS1_3genE2ELNS1_11target_archE906ELNS1_3gpuE6ELNS1_3repE0EEENS1_30default_config_static_selectorELNS0_4arch9wavefront6targetE0EEEvT1_.uses_vcc, 0
	.set _ZN7rocprim17ROCPRIM_400000_NS6detail17trampoline_kernelINS0_14default_configENS1_25partition_config_selectorILNS1_17partition_subalgoE9EllbEEZZNS1_14partition_implILS5_9ELb0ES3_jPlS8_PNS0_10empty_typeENS0_5tupleIJS8_S9_EEENSB_IJS8_SA_EEENS0_18inequality_wrapperIZN2at6native12_GLOBAL__N_124unique_dim_cuda_templateItEESt5tupleIJNSF_6TensorESK_SK_EERKSK_lbbbEUlllE0_EEPmJS9_EEE10hipError_tPvRmT3_T4_T5_T6_T7_T9_mT8_P12ihipStream_tbDpT10_ENKUlT_T0_E_clISt17integral_constantIbLb1EES19_IbLb0EEEEDaS15_S16_EUlS15_E_NS1_11comp_targetILNS1_3genE2ELNS1_11target_archE906ELNS1_3gpuE6ELNS1_3repE0EEENS1_30default_config_static_selectorELNS0_4arch9wavefront6targetE0EEEvT1_.uses_flat_scratch, 0
	.set _ZN7rocprim17ROCPRIM_400000_NS6detail17trampoline_kernelINS0_14default_configENS1_25partition_config_selectorILNS1_17partition_subalgoE9EllbEEZZNS1_14partition_implILS5_9ELb0ES3_jPlS8_PNS0_10empty_typeENS0_5tupleIJS8_S9_EEENSB_IJS8_SA_EEENS0_18inequality_wrapperIZN2at6native12_GLOBAL__N_124unique_dim_cuda_templateItEESt5tupleIJNSF_6TensorESK_SK_EERKSK_lbbbEUlllE0_EEPmJS9_EEE10hipError_tPvRmT3_T4_T5_T6_T7_T9_mT8_P12ihipStream_tbDpT10_ENKUlT_T0_E_clISt17integral_constantIbLb1EES19_IbLb0EEEEDaS15_S16_EUlS15_E_NS1_11comp_targetILNS1_3genE2ELNS1_11target_archE906ELNS1_3gpuE6ELNS1_3repE0EEENS1_30default_config_static_selectorELNS0_4arch9wavefront6targetE0EEEvT1_.has_dyn_sized_stack, 0
	.set _ZN7rocprim17ROCPRIM_400000_NS6detail17trampoline_kernelINS0_14default_configENS1_25partition_config_selectorILNS1_17partition_subalgoE9EllbEEZZNS1_14partition_implILS5_9ELb0ES3_jPlS8_PNS0_10empty_typeENS0_5tupleIJS8_S9_EEENSB_IJS8_SA_EEENS0_18inequality_wrapperIZN2at6native12_GLOBAL__N_124unique_dim_cuda_templateItEESt5tupleIJNSF_6TensorESK_SK_EERKSK_lbbbEUlllE0_EEPmJS9_EEE10hipError_tPvRmT3_T4_T5_T6_T7_T9_mT8_P12ihipStream_tbDpT10_ENKUlT_T0_E_clISt17integral_constantIbLb1EES19_IbLb0EEEEDaS15_S16_EUlS15_E_NS1_11comp_targetILNS1_3genE2ELNS1_11target_archE906ELNS1_3gpuE6ELNS1_3repE0EEENS1_30default_config_static_selectorELNS0_4arch9wavefront6targetE0EEEvT1_.has_recursion, 0
	.set _ZN7rocprim17ROCPRIM_400000_NS6detail17trampoline_kernelINS0_14default_configENS1_25partition_config_selectorILNS1_17partition_subalgoE9EllbEEZZNS1_14partition_implILS5_9ELb0ES3_jPlS8_PNS0_10empty_typeENS0_5tupleIJS8_S9_EEENSB_IJS8_SA_EEENS0_18inequality_wrapperIZN2at6native12_GLOBAL__N_124unique_dim_cuda_templateItEESt5tupleIJNSF_6TensorESK_SK_EERKSK_lbbbEUlllE0_EEPmJS9_EEE10hipError_tPvRmT3_T4_T5_T6_T7_T9_mT8_P12ihipStream_tbDpT10_ENKUlT_T0_E_clISt17integral_constantIbLb1EES19_IbLb0EEEEDaS15_S16_EUlS15_E_NS1_11comp_targetILNS1_3genE2ELNS1_11target_archE906ELNS1_3gpuE6ELNS1_3repE0EEENS1_30default_config_static_selectorELNS0_4arch9wavefront6targetE0EEEvT1_.has_indirect_call, 0
	.section	.AMDGPU.csdata,"",@progbits
; Kernel info:
; codeLenInByte = 0
; TotalNumSgprs: 0
; NumVgprs: 0
; ScratchSize: 0
; MemoryBound: 0
; FloatMode: 240
; IeeeMode: 1
; LDSByteSize: 0 bytes/workgroup (compile time only)
; SGPRBlocks: 0
; VGPRBlocks: 0
; NumSGPRsForWavesPerEU: 1
; NumVGPRsForWavesPerEU: 1
; NamedBarCnt: 0
; Occupancy: 16
; WaveLimiterHint : 0
; COMPUTE_PGM_RSRC2:SCRATCH_EN: 0
; COMPUTE_PGM_RSRC2:USER_SGPR: 2
; COMPUTE_PGM_RSRC2:TRAP_HANDLER: 0
; COMPUTE_PGM_RSRC2:TGID_X_EN: 1
; COMPUTE_PGM_RSRC2:TGID_Y_EN: 0
; COMPUTE_PGM_RSRC2:TGID_Z_EN: 0
; COMPUTE_PGM_RSRC2:TIDIG_COMP_CNT: 0
	.section	.text._ZN7rocprim17ROCPRIM_400000_NS6detail17trampoline_kernelINS0_14default_configENS1_25partition_config_selectorILNS1_17partition_subalgoE9EllbEEZZNS1_14partition_implILS5_9ELb0ES3_jPlS8_PNS0_10empty_typeENS0_5tupleIJS8_S9_EEENSB_IJS8_SA_EEENS0_18inequality_wrapperIZN2at6native12_GLOBAL__N_124unique_dim_cuda_templateItEESt5tupleIJNSF_6TensorESK_SK_EERKSK_lbbbEUlllE0_EEPmJS9_EEE10hipError_tPvRmT3_T4_T5_T6_T7_T9_mT8_P12ihipStream_tbDpT10_ENKUlT_T0_E_clISt17integral_constantIbLb1EES19_IbLb0EEEEDaS15_S16_EUlS15_E_NS1_11comp_targetILNS1_3genE10ELNS1_11target_archE1200ELNS1_3gpuE4ELNS1_3repE0EEENS1_30default_config_static_selectorELNS0_4arch9wavefront6targetE0EEEvT1_,"axG",@progbits,_ZN7rocprim17ROCPRIM_400000_NS6detail17trampoline_kernelINS0_14default_configENS1_25partition_config_selectorILNS1_17partition_subalgoE9EllbEEZZNS1_14partition_implILS5_9ELb0ES3_jPlS8_PNS0_10empty_typeENS0_5tupleIJS8_S9_EEENSB_IJS8_SA_EEENS0_18inequality_wrapperIZN2at6native12_GLOBAL__N_124unique_dim_cuda_templateItEESt5tupleIJNSF_6TensorESK_SK_EERKSK_lbbbEUlllE0_EEPmJS9_EEE10hipError_tPvRmT3_T4_T5_T6_T7_T9_mT8_P12ihipStream_tbDpT10_ENKUlT_T0_E_clISt17integral_constantIbLb1EES19_IbLb0EEEEDaS15_S16_EUlS15_E_NS1_11comp_targetILNS1_3genE10ELNS1_11target_archE1200ELNS1_3gpuE4ELNS1_3repE0EEENS1_30default_config_static_selectorELNS0_4arch9wavefront6targetE0EEEvT1_,comdat
	.globl	_ZN7rocprim17ROCPRIM_400000_NS6detail17trampoline_kernelINS0_14default_configENS1_25partition_config_selectorILNS1_17partition_subalgoE9EllbEEZZNS1_14partition_implILS5_9ELb0ES3_jPlS8_PNS0_10empty_typeENS0_5tupleIJS8_S9_EEENSB_IJS8_SA_EEENS0_18inequality_wrapperIZN2at6native12_GLOBAL__N_124unique_dim_cuda_templateItEESt5tupleIJNSF_6TensorESK_SK_EERKSK_lbbbEUlllE0_EEPmJS9_EEE10hipError_tPvRmT3_T4_T5_T6_T7_T9_mT8_P12ihipStream_tbDpT10_ENKUlT_T0_E_clISt17integral_constantIbLb1EES19_IbLb0EEEEDaS15_S16_EUlS15_E_NS1_11comp_targetILNS1_3genE10ELNS1_11target_archE1200ELNS1_3gpuE4ELNS1_3repE0EEENS1_30default_config_static_selectorELNS0_4arch9wavefront6targetE0EEEvT1_ ; -- Begin function _ZN7rocprim17ROCPRIM_400000_NS6detail17trampoline_kernelINS0_14default_configENS1_25partition_config_selectorILNS1_17partition_subalgoE9EllbEEZZNS1_14partition_implILS5_9ELb0ES3_jPlS8_PNS0_10empty_typeENS0_5tupleIJS8_S9_EEENSB_IJS8_SA_EEENS0_18inequality_wrapperIZN2at6native12_GLOBAL__N_124unique_dim_cuda_templateItEESt5tupleIJNSF_6TensorESK_SK_EERKSK_lbbbEUlllE0_EEPmJS9_EEE10hipError_tPvRmT3_T4_T5_T6_T7_T9_mT8_P12ihipStream_tbDpT10_ENKUlT_T0_E_clISt17integral_constantIbLb1EES19_IbLb0EEEEDaS15_S16_EUlS15_E_NS1_11comp_targetILNS1_3genE10ELNS1_11target_archE1200ELNS1_3gpuE4ELNS1_3repE0EEENS1_30default_config_static_selectorELNS0_4arch9wavefront6targetE0EEEvT1_
	.p2align	8
	.type	_ZN7rocprim17ROCPRIM_400000_NS6detail17trampoline_kernelINS0_14default_configENS1_25partition_config_selectorILNS1_17partition_subalgoE9EllbEEZZNS1_14partition_implILS5_9ELb0ES3_jPlS8_PNS0_10empty_typeENS0_5tupleIJS8_S9_EEENSB_IJS8_SA_EEENS0_18inequality_wrapperIZN2at6native12_GLOBAL__N_124unique_dim_cuda_templateItEESt5tupleIJNSF_6TensorESK_SK_EERKSK_lbbbEUlllE0_EEPmJS9_EEE10hipError_tPvRmT3_T4_T5_T6_T7_T9_mT8_P12ihipStream_tbDpT10_ENKUlT_T0_E_clISt17integral_constantIbLb1EES19_IbLb0EEEEDaS15_S16_EUlS15_E_NS1_11comp_targetILNS1_3genE10ELNS1_11target_archE1200ELNS1_3gpuE4ELNS1_3repE0EEENS1_30default_config_static_selectorELNS0_4arch9wavefront6targetE0EEEvT1_,@function
_ZN7rocprim17ROCPRIM_400000_NS6detail17trampoline_kernelINS0_14default_configENS1_25partition_config_selectorILNS1_17partition_subalgoE9EllbEEZZNS1_14partition_implILS5_9ELb0ES3_jPlS8_PNS0_10empty_typeENS0_5tupleIJS8_S9_EEENSB_IJS8_SA_EEENS0_18inequality_wrapperIZN2at6native12_GLOBAL__N_124unique_dim_cuda_templateItEESt5tupleIJNSF_6TensorESK_SK_EERKSK_lbbbEUlllE0_EEPmJS9_EEE10hipError_tPvRmT3_T4_T5_T6_T7_T9_mT8_P12ihipStream_tbDpT10_ENKUlT_T0_E_clISt17integral_constantIbLb1EES19_IbLb0EEEEDaS15_S16_EUlS15_E_NS1_11comp_targetILNS1_3genE10ELNS1_11target_archE1200ELNS1_3gpuE4ELNS1_3repE0EEENS1_30default_config_static_selectorELNS0_4arch9wavefront6targetE0EEEvT1_: ; @_ZN7rocprim17ROCPRIM_400000_NS6detail17trampoline_kernelINS0_14default_configENS1_25partition_config_selectorILNS1_17partition_subalgoE9EllbEEZZNS1_14partition_implILS5_9ELb0ES3_jPlS8_PNS0_10empty_typeENS0_5tupleIJS8_S9_EEENSB_IJS8_SA_EEENS0_18inequality_wrapperIZN2at6native12_GLOBAL__N_124unique_dim_cuda_templateItEESt5tupleIJNSF_6TensorESK_SK_EERKSK_lbbbEUlllE0_EEPmJS9_EEE10hipError_tPvRmT3_T4_T5_T6_T7_T9_mT8_P12ihipStream_tbDpT10_ENKUlT_T0_E_clISt17integral_constantIbLb1EES19_IbLb0EEEEDaS15_S16_EUlS15_E_NS1_11comp_targetILNS1_3genE10ELNS1_11target_archE1200ELNS1_3gpuE4ELNS1_3repE0EEENS1_30default_config_static_selectorELNS0_4arch9wavefront6targetE0EEEvT1_
; %bb.0:
	.section	.rodata,"a",@progbits
	.p2align	6, 0x0
	.amdhsa_kernel _ZN7rocprim17ROCPRIM_400000_NS6detail17trampoline_kernelINS0_14default_configENS1_25partition_config_selectorILNS1_17partition_subalgoE9EllbEEZZNS1_14partition_implILS5_9ELb0ES3_jPlS8_PNS0_10empty_typeENS0_5tupleIJS8_S9_EEENSB_IJS8_SA_EEENS0_18inequality_wrapperIZN2at6native12_GLOBAL__N_124unique_dim_cuda_templateItEESt5tupleIJNSF_6TensorESK_SK_EERKSK_lbbbEUlllE0_EEPmJS9_EEE10hipError_tPvRmT3_T4_T5_T6_T7_T9_mT8_P12ihipStream_tbDpT10_ENKUlT_T0_E_clISt17integral_constantIbLb1EES19_IbLb0EEEEDaS15_S16_EUlS15_E_NS1_11comp_targetILNS1_3genE10ELNS1_11target_archE1200ELNS1_3gpuE4ELNS1_3repE0EEENS1_30default_config_static_selectorELNS0_4arch9wavefront6targetE0EEEvT1_
		.amdhsa_group_segment_fixed_size 0
		.amdhsa_private_segment_fixed_size 0
		.amdhsa_kernarg_size 120
		.amdhsa_user_sgpr_count 2
		.amdhsa_user_sgpr_dispatch_ptr 0
		.amdhsa_user_sgpr_queue_ptr 0
		.amdhsa_user_sgpr_kernarg_segment_ptr 1
		.amdhsa_user_sgpr_dispatch_id 0
		.amdhsa_user_sgpr_kernarg_preload_length 0
		.amdhsa_user_sgpr_kernarg_preload_offset 0
		.amdhsa_user_sgpr_private_segment_size 0
		.amdhsa_wavefront_size32 1
		.amdhsa_uses_dynamic_stack 0
		.amdhsa_enable_private_segment 0
		.amdhsa_system_sgpr_workgroup_id_x 1
		.amdhsa_system_sgpr_workgroup_id_y 0
		.amdhsa_system_sgpr_workgroup_id_z 0
		.amdhsa_system_sgpr_workgroup_info 0
		.amdhsa_system_vgpr_workitem_id 0
		.amdhsa_next_free_vgpr 1
		.amdhsa_next_free_sgpr 1
		.amdhsa_named_barrier_count 0
		.amdhsa_reserve_vcc 0
		.amdhsa_float_round_mode_32 0
		.amdhsa_float_round_mode_16_64 0
		.amdhsa_float_denorm_mode_32 3
		.amdhsa_float_denorm_mode_16_64 3
		.amdhsa_fp16_overflow 0
		.amdhsa_memory_ordered 1
		.amdhsa_forward_progress 1
		.amdhsa_inst_pref_size 0
		.amdhsa_round_robin_scheduling 0
		.amdhsa_exception_fp_ieee_invalid_op 0
		.amdhsa_exception_fp_denorm_src 0
		.amdhsa_exception_fp_ieee_div_zero 0
		.amdhsa_exception_fp_ieee_overflow 0
		.amdhsa_exception_fp_ieee_underflow 0
		.amdhsa_exception_fp_ieee_inexact 0
		.amdhsa_exception_int_div_zero 0
	.end_amdhsa_kernel
	.section	.text._ZN7rocprim17ROCPRIM_400000_NS6detail17trampoline_kernelINS0_14default_configENS1_25partition_config_selectorILNS1_17partition_subalgoE9EllbEEZZNS1_14partition_implILS5_9ELb0ES3_jPlS8_PNS0_10empty_typeENS0_5tupleIJS8_S9_EEENSB_IJS8_SA_EEENS0_18inequality_wrapperIZN2at6native12_GLOBAL__N_124unique_dim_cuda_templateItEESt5tupleIJNSF_6TensorESK_SK_EERKSK_lbbbEUlllE0_EEPmJS9_EEE10hipError_tPvRmT3_T4_T5_T6_T7_T9_mT8_P12ihipStream_tbDpT10_ENKUlT_T0_E_clISt17integral_constantIbLb1EES19_IbLb0EEEEDaS15_S16_EUlS15_E_NS1_11comp_targetILNS1_3genE10ELNS1_11target_archE1200ELNS1_3gpuE4ELNS1_3repE0EEENS1_30default_config_static_selectorELNS0_4arch9wavefront6targetE0EEEvT1_,"axG",@progbits,_ZN7rocprim17ROCPRIM_400000_NS6detail17trampoline_kernelINS0_14default_configENS1_25partition_config_selectorILNS1_17partition_subalgoE9EllbEEZZNS1_14partition_implILS5_9ELb0ES3_jPlS8_PNS0_10empty_typeENS0_5tupleIJS8_S9_EEENSB_IJS8_SA_EEENS0_18inequality_wrapperIZN2at6native12_GLOBAL__N_124unique_dim_cuda_templateItEESt5tupleIJNSF_6TensorESK_SK_EERKSK_lbbbEUlllE0_EEPmJS9_EEE10hipError_tPvRmT3_T4_T5_T6_T7_T9_mT8_P12ihipStream_tbDpT10_ENKUlT_T0_E_clISt17integral_constantIbLb1EES19_IbLb0EEEEDaS15_S16_EUlS15_E_NS1_11comp_targetILNS1_3genE10ELNS1_11target_archE1200ELNS1_3gpuE4ELNS1_3repE0EEENS1_30default_config_static_selectorELNS0_4arch9wavefront6targetE0EEEvT1_,comdat
.Lfunc_end1472:
	.size	_ZN7rocprim17ROCPRIM_400000_NS6detail17trampoline_kernelINS0_14default_configENS1_25partition_config_selectorILNS1_17partition_subalgoE9EllbEEZZNS1_14partition_implILS5_9ELb0ES3_jPlS8_PNS0_10empty_typeENS0_5tupleIJS8_S9_EEENSB_IJS8_SA_EEENS0_18inequality_wrapperIZN2at6native12_GLOBAL__N_124unique_dim_cuda_templateItEESt5tupleIJNSF_6TensorESK_SK_EERKSK_lbbbEUlllE0_EEPmJS9_EEE10hipError_tPvRmT3_T4_T5_T6_T7_T9_mT8_P12ihipStream_tbDpT10_ENKUlT_T0_E_clISt17integral_constantIbLb1EES19_IbLb0EEEEDaS15_S16_EUlS15_E_NS1_11comp_targetILNS1_3genE10ELNS1_11target_archE1200ELNS1_3gpuE4ELNS1_3repE0EEENS1_30default_config_static_selectorELNS0_4arch9wavefront6targetE0EEEvT1_, .Lfunc_end1472-_ZN7rocprim17ROCPRIM_400000_NS6detail17trampoline_kernelINS0_14default_configENS1_25partition_config_selectorILNS1_17partition_subalgoE9EllbEEZZNS1_14partition_implILS5_9ELb0ES3_jPlS8_PNS0_10empty_typeENS0_5tupleIJS8_S9_EEENSB_IJS8_SA_EEENS0_18inequality_wrapperIZN2at6native12_GLOBAL__N_124unique_dim_cuda_templateItEESt5tupleIJNSF_6TensorESK_SK_EERKSK_lbbbEUlllE0_EEPmJS9_EEE10hipError_tPvRmT3_T4_T5_T6_T7_T9_mT8_P12ihipStream_tbDpT10_ENKUlT_T0_E_clISt17integral_constantIbLb1EES19_IbLb0EEEEDaS15_S16_EUlS15_E_NS1_11comp_targetILNS1_3genE10ELNS1_11target_archE1200ELNS1_3gpuE4ELNS1_3repE0EEENS1_30default_config_static_selectorELNS0_4arch9wavefront6targetE0EEEvT1_
                                        ; -- End function
	.set _ZN7rocprim17ROCPRIM_400000_NS6detail17trampoline_kernelINS0_14default_configENS1_25partition_config_selectorILNS1_17partition_subalgoE9EllbEEZZNS1_14partition_implILS5_9ELb0ES3_jPlS8_PNS0_10empty_typeENS0_5tupleIJS8_S9_EEENSB_IJS8_SA_EEENS0_18inequality_wrapperIZN2at6native12_GLOBAL__N_124unique_dim_cuda_templateItEESt5tupleIJNSF_6TensorESK_SK_EERKSK_lbbbEUlllE0_EEPmJS9_EEE10hipError_tPvRmT3_T4_T5_T6_T7_T9_mT8_P12ihipStream_tbDpT10_ENKUlT_T0_E_clISt17integral_constantIbLb1EES19_IbLb0EEEEDaS15_S16_EUlS15_E_NS1_11comp_targetILNS1_3genE10ELNS1_11target_archE1200ELNS1_3gpuE4ELNS1_3repE0EEENS1_30default_config_static_selectorELNS0_4arch9wavefront6targetE0EEEvT1_.num_vgpr, 0
	.set _ZN7rocprim17ROCPRIM_400000_NS6detail17trampoline_kernelINS0_14default_configENS1_25partition_config_selectorILNS1_17partition_subalgoE9EllbEEZZNS1_14partition_implILS5_9ELb0ES3_jPlS8_PNS0_10empty_typeENS0_5tupleIJS8_S9_EEENSB_IJS8_SA_EEENS0_18inequality_wrapperIZN2at6native12_GLOBAL__N_124unique_dim_cuda_templateItEESt5tupleIJNSF_6TensorESK_SK_EERKSK_lbbbEUlllE0_EEPmJS9_EEE10hipError_tPvRmT3_T4_T5_T6_T7_T9_mT8_P12ihipStream_tbDpT10_ENKUlT_T0_E_clISt17integral_constantIbLb1EES19_IbLb0EEEEDaS15_S16_EUlS15_E_NS1_11comp_targetILNS1_3genE10ELNS1_11target_archE1200ELNS1_3gpuE4ELNS1_3repE0EEENS1_30default_config_static_selectorELNS0_4arch9wavefront6targetE0EEEvT1_.num_agpr, 0
	.set _ZN7rocprim17ROCPRIM_400000_NS6detail17trampoline_kernelINS0_14default_configENS1_25partition_config_selectorILNS1_17partition_subalgoE9EllbEEZZNS1_14partition_implILS5_9ELb0ES3_jPlS8_PNS0_10empty_typeENS0_5tupleIJS8_S9_EEENSB_IJS8_SA_EEENS0_18inequality_wrapperIZN2at6native12_GLOBAL__N_124unique_dim_cuda_templateItEESt5tupleIJNSF_6TensorESK_SK_EERKSK_lbbbEUlllE0_EEPmJS9_EEE10hipError_tPvRmT3_T4_T5_T6_T7_T9_mT8_P12ihipStream_tbDpT10_ENKUlT_T0_E_clISt17integral_constantIbLb1EES19_IbLb0EEEEDaS15_S16_EUlS15_E_NS1_11comp_targetILNS1_3genE10ELNS1_11target_archE1200ELNS1_3gpuE4ELNS1_3repE0EEENS1_30default_config_static_selectorELNS0_4arch9wavefront6targetE0EEEvT1_.numbered_sgpr, 0
	.set _ZN7rocprim17ROCPRIM_400000_NS6detail17trampoline_kernelINS0_14default_configENS1_25partition_config_selectorILNS1_17partition_subalgoE9EllbEEZZNS1_14partition_implILS5_9ELb0ES3_jPlS8_PNS0_10empty_typeENS0_5tupleIJS8_S9_EEENSB_IJS8_SA_EEENS0_18inequality_wrapperIZN2at6native12_GLOBAL__N_124unique_dim_cuda_templateItEESt5tupleIJNSF_6TensorESK_SK_EERKSK_lbbbEUlllE0_EEPmJS9_EEE10hipError_tPvRmT3_T4_T5_T6_T7_T9_mT8_P12ihipStream_tbDpT10_ENKUlT_T0_E_clISt17integral_constantIbLb1EES19_IbLb0EEEEDaS15_S16_EUlS15_E_NS1_11comp_targetILNS1_3genE10ELNS1_11target_archE1200ELNS1_3gpuE4ELNS1_3repE0EEENS1_30default_config_static_selectorELNS0_4arch9wavefront6targetE0EEEvT1_.num_named_barrier, 0
	.set _ZN7rocprim17ROCPRIM_400000_NS6detail17trampoline_kernelINS0_14default_configENS1_25partition_config_selectorILNS1_17partition_subalgoE9EllbEEZZNS1_14partition_implILS5_9ELb0ES3_jPlS8_PNS0_10empty_typeENS0_5tupleIJS8_S9_EEENSB_IJS8_SA_EEENS0_18inequality_wrapperIZN2at6native12_GLOBAL__N_124unique_dim_cuda_templateItEESt5tupleIJNSF_6TensorESK_SK_EERKSK_lbbbEUlllE0_EEPmJS9_EEE10hipError_tPvRmT3_T4_T5_T6_T7_T9_mT8_P12ihipStream_tbDpT10_ENKUlT_T0_E_clISt17integral_constantIbLb1EES19_IbLb0EEEEDaS15_S16_EUlS15_E_NS1_11comp_targetILNS1_3genE10ELNS1_11target_archE1200ELNS1_3gpuE4ELNS1_3repE0EEENS1_30default_config_static_selectorELNS0_4arch9wavefront6targetE0EEEvT1_.private_seg_size, 0
	.set _ZN7rocprim17ROCPRIM_400000_NS6detail17trampoline_kernelINS0_14default_configENS1_25partition_config_selectorILNS1_17partition_subalgoE9EllbEEZZNS1_14partition_implILS5_9ELb0ES3_jPlS8_PNS0_10empty_typeENS0_5tupleIJS8_S9_EEENSB_IJS8_SA_EEENS0_18inequality_wrapperIZN2at6native12_GLOBAL__N_124unique_dim_cuda_templateItEESt5tupleIJNSF_6TensorESK_SK_EERKSK_lbbbEUlllE0_EEPmJS9_EEE10hipError_tPvRmT3_T4_T5_T6_T7_T9_mT8_P12ihipStream_tbDpT10_ENKUlT_T0_E_clISt17integral_constantIbLb1EES19_IbLb0EEEEDaS15_S16_EUlS15_E_NS1_11comp_targetILNS1_3genE10ELNS1_11target_archE1200ELNS1_3gpuE4ELNS1_3repE0EEENS1_30default_config_static_selectorELNS0_4arch9wavefront6targetE0EEEvT1_.uses_vcc, 0
	.set _ZN7rocprim17ROCPRIM_400000_NS6detail17trampoline_kernelINS0_14default_configENS1_25partition_config_selectorILNS1_17partition_subalgoE9EllbEEZZNS1_14partition_implILS5_9ELb0ES3_jPlS8_PNS0_10empty_typeENS0_5tupleIJS8_S9_EEENSB_IJS8_SA_EEENS0_18inequality_wrapperIZN2at6native12_GLOBAL__N_124unique_dim_cuda_templateItEESt5tupleIJNSF_6TensorESK_SK_EERKSK_lbbbEUlllE0_EEPmJS9_EEE10hipError_tPvRmT3_T4_T5_T6_T7_T9_mT8_P12ihipStream_tbDpT10_ENKUlT_T0_E_clISt17integral_constantIbLb1EES19_IbLb0EEEEDaS15_S16_EUlS15_E_NS1_11comp_targetILNS1_3genE10ELNS1_11target_archE1200ELNS1_3gpuE4ELNS1_3repE0EEENS1_30default_config_static_selectorELNS0_4arch9wavefront6targetE0EEEvT1_.uses_flat_scratch, 0
	.set _ZN7rocprim17ROCPRIM_400000_NS6detail17trampoline_kernelINS0_14default_configENS1_25partition_config_selectorILNS1_17partition_subalgoE9EllbEEZZNS1_14partition_implILS5_9ELb0ES3_jPlS8_PNS0_10empty_typeENS0_5tupleIJS8_S9_EEENSB_IJS8_SA_EEENS0_18inequality_wrapperIZN2at6native12_GLOBAL__N_124unique_dim_cuda_templateItEESt5tupleIJNSF_6TensorESK_SK_EERKSK_lbbbEUlllE0_EEPmJS9_EEE10hipError_tPvRmT3_T4_T5_T6_T7_T9_mT8_P12ihipStream_tbDpT10_ENKUlT_T0_E_clISt17integral_constantIbLb1EES19_IbLb0EEEEDaS15_S16_EUlS15_E_NS1_11comp_targetILNS1_3genE10ELNS1_11target_archE1200ELNS1_3gpuE4ELNS1_3repE0EEENS1_30default_config_static_selectorELNS0_4arch9wavefront6targetE0EEEvT1_.has_dyn_sized_stack, 0
	.set _ZN7rocprim17ROCPRIM_400000_NS6detail17trampoline_kernelINS0_14default_configENS1_25partition_config_selectorILNS1_17partition_subalgoE9EllbEEZZNS1_14partition_implILS5_9ELb0ES3_jPlS8_PNS0_10empty_typeENS0_5tupleIJS8_S9_EEENSB_IJS8_SA_EEENS0_18inequality_wrapperIZN2at6native12_GLOBAL__N_124unique_dim_cuda_templateItEESt5tupleIJNSF_6TensorESK_SK_EERKSK_lbbbEUlllE0_EEPmJS9_EEE10hipError_tPvRmT3_T4_T5_T6_T7_T9_mT8_P12ihipStream_tbDpT10_ENKUlT_T0_E_clISt17integral_constantIbLb1EES19_IbLb0EEEEDaS15_S16_EUlS15_E_NS1_11comp_targetILNS1_3genE10ELNS1_11target_archE1200ELNS1_3gpuE4ELNS1_3repE0EEENS1_30default_config_static_selectorELNS0_4arch9wavefront6targetE0EEEvT1_.has_recursion, 0
	.set _ZN7rocprim17ROCPRIM_400000_NS6detail17trampoline_kernelINS0_14default_configENS1_25partition_config_selectorILNS1_17partition_subalgoE9EllbEEZZNS1_14partition_implILS5_9ELb0ES3_jPlS8_PNS0_10empty_typeENS0_5tupleIJS8_S9_EEENSB_IJS8_SA_EEENS0_18inequality_wrapperIZN2at6native12_GLOBAL__N_124unique_dim_cuda_templateItEESt5tupleIJNSF_6TensorESK_SK_EERKSK_lbbbEUlllE0_EEPmJS9_EEE10hipError_tPvRmT3_T4_T5_T6_T7_T9_mT8_P12ihipStream_tbDpT10_ENKUlT_T0_E_clISt17integral_constantIbLb1EES19_IbLb0EEEEDaS15_S16_EUlS15_E_NS1_11comp_targetILNS1_3genE10ELNS1_11target_archE1200ELNS1_3gpuE4ELNS1_3repE0EEENS1_30default_config_static_selectorELNS0_4arch9wavefront6targetE0EEEvT1_.has_indirect_call, 0
	.section	.AMDGPU.csdata,"",@progbits
; Kernel info:
; codeLenInByte = 0
; TotalNumSgprs: 0
; NumVgprs: 0
; ScratchSize: 0
; MemoryBound: 0
; FloatMode: 240
; IeeeMode: 1
; LDSByteSize: 0 bytes/workgroup (compile time only)
; SGPRBlocks: 0
; VGPRBlocks: 0
; NumSGPRsForWavesPerEU: 1
; NumVGPRsForWavesPerEU: 1
; NamedBarCnt: 0
; Occupancy: 16
; WaveLimiterHint : 0
; COMPUTE_PGM_RSRC2:SCRATCH_EN: 0
; COMPUTE_PGM_RSRC2:USER_SGPR: 2
; COMPUTE_PGM_RSRC2:TRAP_HANDLER: 0
; COMPUTE_PGM_RSRC2:TGID_X_EN: 1
; COMPUTE_PGM_RSRC2:TGID_Y_EN: 0
; COMPUTE_PGM_RSRC2:TGID_Z_EN: 0
; COMPUTE_PGM_RSRC2:TIDIG_COMP_CNT: 0
	.section	.text._ZN7rocprim17ROCPRIM_400000_NS6detail17trampoline_kernelINS0_14default_configENS1_25partition_config_selectorILNS1_17partition_subalgoE9EllbEEZZNS1_14partition_implILS5_9ELb0ES3_jPlS8_PNS0_10empty_typeENS0_5tupleIJS8_S9_EEENSB_IJS8_SA_EEENS0_18inequality_wrapperIZN2at6native12_GLOBAL__N_124unique_dim_cuda_templateItEESt5tupleIJNSF_6TensorESK_SK_EERKSK_lbbbEUlllE0_EEPmJS9_EEE10hipError_tPvRmT3_T4_T5_T6_T7_T9_mT8_P12ihipStream_tbDpT10_ENKUlT_T0_E_clISt17integral_constantIbLb1EES19_IbLb0EEEEDaS15_S16_EUlS15_E_NS1_11comp_targetILNS1_3genE9ELNS1_11target_archE1100ELNS1_3gpuE3ELNS1_3repE0EEENS1_30default_config_static_selectorELNS0_4arch9wavefront6targetE0EEEvT1_,"axG",@progbits,_ZN7rocprim17ROCPRIM_400000_NS6detail17trampoline_kernelINS0_14default_configENS1_25partition_config_selectorILNS1_17partition_subalgoE9EllbEEZZNS1_14partition_implILS5_9ELb0ES3_jPlS8_PNS0_10empty_typeENS0_5tupleIJS8_S9_EEENSB_IJS8_SA_EEENS0_18inequality_wrapperIZN2at6native12_GLOBAL__N_124unique_dim_cuda_templateItEESt5tupleIJNSF_6TensorESK_SK_EERKSK_lbbbEUlllE0_EEPmJS9_EEE10hipError_tPvRmT3_T4_T5_T6_T7_T9_mT8_P12ihipStream_tbDpT10_ENKUlT_T0_E_clISt17integral_constantIbLb1EES19_IbLb0EEEEDaS15_S16_EUlS15_E_NS1_11comp_targetILNS1_3genE9ELNS1_11target_archE1100ELNS1_3gpuE3ELNS1_3repE0EEENS1_30default_config_static_selectorELNS0_4arch9wavefront6targetE0EEEvT1_,comdat
	.globl	_ZN7rocprim17ROCPRIM_400000_NS6detail17trampoline_kernelINS0_14default_configENS1_25partition_config_selectorILNS1_17partition_subalgoE9EllbEEZZNS1_14partition_implILS5_9ELb0ES3_jPlS8_PNS0_10empty_typeENS0_5tupleIJS8_S9_EEENSB_IJS8_SA_EEENS0_18inequality_wrapperIZN2at6native12_GLOBAL__N_124unique_dim_cuda_templateItEESt5tupleIJNSF_6TensorESK_SK_EERKSK_lbbbEUlllE0_EEPmJS9_EEE10hipError_tPvRmT3_T4_T5_T6_T7_T9_mT8_P12ihipStream_tbDpT10_ENKUlT_T0_E_clISt17integral_constantIbLb1EES19_IbLb0EEEEDaS15_S16_EUlS15_E_NS1_11comp_targetILNS1_3genE9ELNS1_11target_archE1100ELNS1_3gpuE3ELNS1_3repE0EEENS1_30default_config_static_selectorELNS0_4arch9wavefront6targetE0EEEvT1_ ; -- Begin function _ZN7rocprim17ROCPRIM_400000_NS6detail17trampoline_kernelINS0_14default_configENS1_25partition_config_selectorILNS1_17partition_subalgoE9EllbEEZZNS1_14partition_implILS5_9ELb0ES3_jPlS8_PNS0_10empty_typeENS0_5tupleIJS8_S9_EEENSB_IJS8_SA_EEENS0_18inequality_wrapperIZN2at6native12_GLOBAL__N_124unique_dim_cuda_templateItEESt5tupleIJNSF_6TensorESK_SK_EERKSK_lbbbEUlllE0_EEPmJS9_EEE10hipError_tPvRmT3_T4_T5_T6_T7_T9_mT8_P12ihipStream_tbDpT10_ENKUlT_T0_E_clISt17integral_constantIbLb1EES19_IbLb0EEEEDaS15_S16_EUlS15_E_NS1_11comp_targetILNS1_3genE9ELNS1_11target_archE1100ELNS1_3gpuE3ELNS1_3repE0EEENS1_30default_config_static_selectorELNS0_4arch9wavefront6targetE0EEEvT1_
	.p2align	8
	.type	_ZN7rocprim17ROCPRIM_400000_NS6detail17trampoline_kernelINS0_14default_configENS1_25partition_config_selectorILNS1_17partition_subalgoE9EllbEEZZNS1_14partition_implILS5_9ELb0ES3_jPlS8_PNS0_10empty_typeENS0_5tupleIJS8_S9_EEENSB_IJS8_SA_EEENS0_18inequality_wrapperIZN2at6native12_GLOBAL__N_124unique_dim_cuda_templateItEESt5tupleIJNSF_6TensorESK_SK_EERKSK_lbbbEUlllE0_EEPmJS9_EEE10hipError_tPvRmT3_T4_T5_T6_T7_T9_mT8_P12ihipStream_tbDpT10_ENKUlT_T0_E_clISt17integral_constantIbLb1EES19_IbLb0EEEEDaS15_S16_EUlS15_E_NS1_11comp_targetILNS1_3genE9ELNS1_11target_archE1100ELNS1_3gpuE3ELNS1_3repE0EEENS1_30default_config_static_selectorELNS0_4arch9wavefront6targetE0EEEvT1_,@function
_ZN7rocprim17ROCPRIM_400000_NS6detail17trampoline_kernelINS0_14default_configENS1_25partition_config_selectorILNS1_17partition_subalgoE9EllbEEZZNS1_14partition_implILS5_9ELb0ES3_jPlS8_PNS0_10empty_typeENS0_5tupleIJS8_S9_EEENSB_IJS8_SA_EEENS0_18inequality_wrapperIZN2at6native12_GLOBAL__N_124unique_dim_cuda_templateItEESt5tupleIJNSF_6TensorESK_SK_EERKSK_lbbbEUlllE0_EEPmJS9_EEE10hipError_tPvRmT3_T4_T5_T6_T7_T9_mT8_P12ihipStream_tbDpT10_ENKUlT_T0_E_clISt17integral_constantIbLb1EES19_IbLb0EEEEDaS15_S16_EUlS15_E_NS1_11comp_targetILNS1_3genE9ELNS1_11target_archE1100ELNS1_3gpuE3ELNS1_3repE0EEENS1_30default_config_static_selectorELNS0_4arch9wavefront6targetE0EEEvT1_: ; @_ZN7rocprim17ROCPRIM_400000_NS6detail17trampoline_kernelINS0_14default_configENS1_25partition_config_selectorILNS1_17partition_subalgoE9EllbEEZZNS1_14partition_implILS5_9ELb0ES3_jPlS8_PNS0_10empty_typeENS0_5tupleIJS8_S9_EEENSB_IJS8_SA_EEENS0_18inequality_wrapperIZN2at6native12_GLOBAL__N_124unique_dim_cuda_templateItEESt5tupleIJNSF_6TensorESK_SK_EERKSK_lbbbEUlllE0_EEPmJS9_EEE10hipError_tPvRmT3_T4_T5_T6_T7_T9_mT8_P12ihipStream_tbDpT10_ENKUlT_T0_E_clISt17integral_constantIbLb1EES19_IbLb0EEEEDaS15_S16_EUlS15_E_NS1_11comp_targetILNS1_3genE9ELNS1_11target_archE1100ELNS1_3gpuE3ELNS1_3repE0EEENS1_30default_config_static_selectorELNS0_4arch9wavefront6targetE0EEEvT1_
; %bb.0:
	.section	.rodata,"a",@progbits
	.p2align	6, 0x0
	.amdhsa_kernel _ZN7rocprim17ROCPRIM_400000_NS6detail17trampoline_kernelINS0_14default_configENS1_25partition_config_selectorILNS1_17partition_subalgoE9EllbEEZZNS1_14partition_implILS5_9ELb0ES3_jPlS8_PNS0_10empty_typeENS0_5tupleIJS8_S9_EEENSB_IJS8_SA_EEENS0_18inequality_wrapperIZN2at6native12_GLOBAL__N_124unique_dim_cuda_templateItEESt5tupleIJNSF_6TensorESK_SK_EERKSK_lbbbEUlllE0_EEPmJS9_EEE10hipError_tPvRmT3_T4_T5_T6_T7_T9_mT8_P12ihipStream_tbDpT10_ENKUlT_T0_E_clISt17integral_constantIbLb1EES19_IbLb0EEEEDaS15_S16_EUlS15_E_NS1_11comp_targetILNS1_3genE9ELNS1_11target_archE1100ELNS1_3gpuE3ELNS1_3repE0EEENS1_30default_config_static_selectorELNS0_4arch9wavefront6targetE0EEEvT1_
		.amdhsa_group_segment_fixed_size 0
		.amdhsa_private_segment_fixed_size 0
		.amdhsa_kernarg_size 120
		.amdhsa_user_sgpr_count 2
		.amdhsa_user_sgpr_dispatch_ptr 0
		.amdhsa_user_sgpr_queue_ptr 0
		.amdhsa_user_sgpr_kernarg_segment_ptr 1
		.amdhsa_user_sgpr_dispatch_id 0
		.amdhsa_user_sgpr_kernarg_preload_length 0
		.amdhsa_user_sgpr_kernarg_preload_offset 0
		.amdhsa_user_sgpr_private_segment_size 0
		.amdhsa_wavefront_size32 1
		.amdhsa_uses_dynamic_stack 0
		.amdhsa_enable_private_segment 0
		.amdhsa_system_sgpr_workgroup_id_x 1
		.amdhsa_system_sgpr_workgroup_id_y 0
		.amdhsa_system_sgpr_workgroup_id_z 0
		.amdhsa_system_sgpr_workgroup_info 0
		.amdhsa_system_vgpr_workitem_id 0
		.amdhsa_next_free_vgpr 1
		.amdhsa_next_free_sgpr 1
		.amdhsa_named_barrier_count 0
		.amdhsa_reserve_vcc 0
		.amdhsa_float_round_mode_32 0
		.amdhsa_float_round_mode_16_64 0
		.amdhsa_float_denorm_mode_32 3
		.amdhsa_float_denorm_mode_16_64 3
		.amdhsa_fp16_overflow 0
		.amdhsa_memory_ordered 1
		.amdhsa_forward_progress 1
		.amdhsa_inst_pref_size 0
		.amdhsa_round_robin_scheduling 0
		.amdhsa_exception_fp_ieee_invalid_op 0
		.amdhsa_exception_fp_denorm_src 0
		.amdhsa_exception_fp_ieee_div_zero 0
		.amdhsa_exception_fp_ieee_overflow 0
		.amdhsa_exception_fp_ieee_underflow 0
		.amdhsa_exception_fp_ieee_inexact 0
		.amdhsa_exception_int_div_zero 0
	.end_amdhsa_kernel
	.section	.text._ZN7rocprim17ROCPRIM_400000_NS6detail17trampoline_kernelINS0_14default_configENS1_25partition_config_selectorILNS1_17partition_subalgoE9EllbEEZZNS1_14partition_implILS5_9ELb0ES3_jPlS8_PNS0_10empty_typeENS0_5tupleIJS8_S9_EEENSB_IJS8_SA_EEENS0_18inequality_wrapperIZN2at6native12_GLOBAL__N_124unique_dim_cuda_templateItEESt5tupleIJNSF_6TensorESK_SK_EERKSK_lbbbEUlllE0_EEPmJS9_EEE10hipError_tPvRmT3_T4_T5_T6_T7_T9_mT8_P12ihipStream_tbDpT10_ENKUlT_T0_E_clISt17integral_constantIbLb1EES19_IbLb0EEEEDaS15_S16_EUlS15_E_NS1_11comp_targetILNS1_3genE9ELNS1_11target_archE1100ELNS1_3gpuE3ELNS1_3repE0EEENS1_30default_config_static_selectorELNS0_4arch9wavefront6targetE0EEEvT1_,"axG",@progbits,_ZN7rocprim17ROCPRIM_400000_NS6detail17trampoline_kernelINS0_14default_configENS1_25partition_config_selectorILNS1_17partition_subalgoE9EllbEEZZNS1_14partition_implILS5_9ELb0ES3_jPlS8_PNS0_10empty_typeENS0_5tupleIJS8_S9_EEENSB_IJS8_SA_EEENS0_18inequality_wrapperIZN2at6native12_GLOBAL__N_124unique_dim_cuda_templateItEESt5tupleIJNSF_6TensorESK_SK_EERKSK_lbbbEUlllE0_EEPmJS9_EEE10hipError_tPvRmT3_T4_T5_T6_T7_T9_mT8_P12ihipStream_tbDpT10_ENKUlT_T0_E_clISt17integral_constantIbLb1EES19_IbLb0EEEEDaS15_S16_EUlS15_E_NS1_11comp_targetILNS1_3genE9ELNS1_11target_archE1100ELNS1_3gpuE3ELNS1_3repE0EEENS1_30default_config_static_selectorELNS0_4arch9wavefront6targetE0EEEvT1_,comdat
.Lfunc_end1473:
	.size	_ZN7rocprim17ROCPRIM_400000_NS6detail17trampoline_kernelINS0_14default_configENS1_25partition_config_selectorILNS1_17partition_subalgoE9EllbEEZZNS1_14partition_implILS5_9ELb0ES3_jPlS8_PNS0_10empty_typeENS0_5tupleIJS8_S9_EEENSB_IJS8_SA_EEENS0_18inequality_wrapperIZN2at6native12_GLOBAL__N_124unique_dim_cuda_templateItEESt5tupleIJNSF_6TensorESK_SK_EERKSK_lbbbEUlllE0_EEPmJS9_EEE10hipError_tPvRmT3_T4_T5_T6_T7_T9_mT8_P12ihipStream_tbDpT10_ENKUlT_T0_E_clISt17integral_constantIbLb1EES19_IbLb0EEEEDaS15_S16_EUlS15_E_NS1_11comp_targetILNS1_3genE9ELNS1_11target_archE1100ELNS1_3gpuE3ELNS1_3repE0EEENS1_30default_config_static_selectorELNS0_4arch9wavefront6targetE0EEEvT1_, .Lfunc_end1473-_ZN7rocprim17ROCPRIM_400000_NS6detail17trampoline_kernelINS0_14default_configENS1_25partition_config_selectorILNS1_17partition_subalgoE9EllbEEZZNS1_14partition_implILS5_9ELb0ES3_jPlS8_PNS0_10empty_typeENS0_5tupleIJS8_S9_EEENSB_IJS8_SA_EEENS0_18inequality_wrapperIZN2at6native12_GLOBAL__N_124unique_dim_cuda_templateItEESt5tupleIJNSF_6TensorESK_SK_EERKSK_lbbbEUlllE0_EEPmJS9_EEE10hipError_tPvRmT3_T4_T5_T6_T7_T9_mT8_P12ihipStream_tbDpT10_ENKUlT_T0_E_clISt17integral_constantIbLb1EES19_IbLb0EEEEDaS15_S16_EUlS15_E_NS1_11comp_targetILNS1_3genE9ELNS1_11target_archE1100ELNS1_3gpuE3ELNS1_3repE0EEENS1_30default_config_static_selectorELNS0_4arch9wavefront6targetE0EEEvT1_
                                        ; -- End function
	.set _ZN7rocprim17ROCPRIM_400000_NS6detail17trampoline_kernelINS0_14default_configENS1_25partition_config_selectorILNS1_17partition_subalgoE9EllbEEZZNS1_14partition_implILS5_9ELb0ES3_jPlS8_PNS0_10empty_typeENS0_5tupleIJS8_S9_EEENSB_IJS8_SA_EEENS0_18inequality_wrapperIZN2at6native12_GLOBAL__N_124unique_dim_cuda_templateItEESt5tupleIJNSF_6TensorESK_SK_EERKSK_lbbbEUlllE0_EEPmJS9_EEE10hipError_tPvRmT3_T4_T5_T6_T7_T9_mT8_P12ihipStream_tbDpT10_ENKUlT_T0_E_clISt17integral_constantIbLb1EES19_IbLb0EEEEDaS15_S16_EUlS15_E_NS1_11comp_targetILNS1_3genE9ELNS1_11target_archE1100ELNS1_3gpuE3ELNS1_3repE0EEENS1_30default_config_static_selectorELNS0_4arch9wavefront6targetE0EEEvT1_.num_vgpr, 0
	.set _ZN7rocprim17ROCPRIM_400000_NS6detail17trampoline_kernelINS0_14default_configENS1_25partition_config_selectorILNS1_17partition_subalgoE9EllbEEZZNS1_14partition_implILS5_9ELb0ES3_jPlS8_PNS0_10empty_typeENS0_5tupleIJS8_S9_EEENSB_IJS8_SA_EEENS0_18inequality_wrapperIZN2at6native12_GLOBAL__N_124unique_dim_cuda_templateItEESt5tupleIJNSF_6TensorESK_SK_EERKSK_lbbbEUlllE0_EEPmJS9_EEE10hipError_tPvRmT3_T4_T5_T6_T7_T9_mT8_P12ihipStream_tbDpT10_ENKUlT_T0_E_clISt17integral_constantIbLb1EES19_IbLb0EEEEDaS15_S16_EUlS15_E_NS1_11comp_targetILNS1_3genE9ELNS1_11target_archE1100ELNS1_3gpuE3ELNS1_3repE0EEENS1_30default_config_static_selectorELNS0_4arch9wavefront6targetE0EEEvT1_.num_agpr, 0
	.set _ZN7rocprim17ROCPRIM_400000_NS6detail17trampoline_kernelINS0_14default_configENS1_25partition_config_selectorILNS1_17partition_subalgoE9EllbEEZZNS1_14partition_implILS5_9ELb0ES3_jPlS8_PNS0_10empty_typeENS0_5tupleIJS8_S9_EEENSB_IJS8_SA_EEENS0_18inequality_wrapperIZN2at6native12_GLOBAL__N_124unique_dim_cuda_templateItEESt5tupleIJNSF_6TensorESK_SK_EERKSK_lbbbEUlllE0_EEPmJS9_EEE10hipError_tPvRmT3_T4_T5_T6_T7_T9_mT8_P12ihipStream_tbDpT10_ENKUlT_T0_E_clISt17integral_constantIbLb1EES19_IbLb0EEEEDaS15_S16_EUlS15_E_NS1_11comp_targetILNS1_3genE9ELNS1_11target_archE1100ELNS1_3gpuE3ELNS1_3repE0EEENS1_30default_config_static_selectorELNS0_4arch9wavefront6targetE0EEEvT1_.numbered_sgpr, 0
	.set _ZN7rocprim17ROCPRIM_400000_NS6detail17trampoline_kernelINS0_14default_configENS1_25partition_config_selectorILNS1_17partition_subalgoE9EllbEEZZNS1_14partition_implILS5_9ELb0ES3_jPlS8_PNS0_10empty_typeENS0_5tupleIJS8_S9_EEENSB_IJS8_SA_EEENS0_18inequality_wrapperIZN2at6native12_GLOBAL__N_124unique_dim_cuda_templateItEESt5tupleIJNSF_6TensorESK_SK_EERKSK_lbbbEUlllE0_EEPmJS9_EEE10hipError_tPvRmT3_T4_T5_T6_T7_T9_mT8_P12ihipStream_tbDpT10_ENKUlT_T0_E_clISt17integral_constantIbLb1EES19_IbLb0EEEEDaS15_S16_EUlS15_E_NS1_11comp_targetILNS1_3genE9ELNS1_11target_archE1100ELNS1_3gpuE3ELNS1_3repE0EEENS1_30default_config_static_selectorELNS0_4arch9wavefront6targetE0EEEvT1_.num_named_barrier, 0
	.set _ZN7rocprim17ROCPRIM_400000_NS6detail17trampoline_kernelINS0_14default_configENS1_25partition_config_selectorILNS1_17partition_subalgoE9EllbEEZZNS1_14partition_implILS5_9ELb0ES3_jPlS8_PNS0_10empty_typeENS0_5tupleIJS8_S9_EEENSB_IJS8_SA_EEENS0_18inequality_wrapperIZN2at6native12_GLOBAL__N_124unique_dim_cuda_templateItEESt5tupleIJNSF_6TensorESK_SK_EERKSK_lbbbEUlllE0_EEPmJS9_EEE10hipError_tPvRmT3_T4_T5_T6_T7_T9_mT8_P12ihipStream_tbDpT10_ENKUlT_T0_E_clISt17integral_constantIbLb1EES19_IbLb0EEEEDaS15_S16_EUlS15_E_NS1_11comp_targetILNS1_3genE9ELNS1_11target_archE1100ELNS1_3gpuE3ELNS1_3repE0EEENS1_30default_config_static_selectorELNS0_4arch9wavefront6targetE0EEEvT1_.private_seg_size, 0
	.set _ZN7rocprim17ROCPRIM_400000_NS6detail17trampoline_kernelINS0_14default_configENS1_25partition_config_selectorILNS1_17partition_subalgoE9EllbEEZZNS1_14partition_implILS5_9ELb0ES3_jPlS8_PNS0_10empty_typeENS0_5tupleIJS8_S9_EEENSB_IJS8_SA_EEENS0_18inequality_wrapperIZN2at6native12_GLOBAL__N_124unique_dim_cuda_templateItEESt5tupleIJNSF_6TensorESK_SK_EERKSK_lbbbEUlllE0_EEPmJS9_EEE10hipError_tPvRmT3_T4_T5_T6_T7_T9_mT8_P12ihipStream_tbDpT10_ENKUlT_T0_E_clISt17integral_constantIbLb1EES19_IbLb0EEEEDaS15_S16_EUlS15_E_NS1_11comp_targetILNS1_3genE9ELNS1_11target_archE1100ELNS1_3gpuE3ELNS1_3repE0EEENS1_30default_config_static_selectorELNS0_4arch9wavefront6targetE0EEEvT1_.uses_vcc, 0
	.set _ZN7rocprim17ROCPRIM_400000_NS6detail17trampoline_kernelINS0_14default_configENS1_25partition_config_selectorILNS1_17partition_subalgoE9EllbEEZZNS1_14partition_implILS5_9ELb0ES3_jPlS8_PNS0_10empty_typeENS0_5tupleIJS8_S9_EEENSB_IJS8_SA_EEENS0_18inequality_wrapperIZN2at6native12_GLOBAL__N_124unique_dim_cuda_templateItEESt5tupleIJNSF_6TensorESK_SK_EERKSK_lbbbEUlllE0_EEPmJS9_EEE10hipError_tPvRmT3_T4_T5_T6_T7_T9_mT8_P12ihipStream_tbDpT10_ENKUlT_T0_E_clISt17integral_constantIbLb1EES19_IbLb0EEEEDaS15_S16_EUlS15_E_NS1_11comp_targetILNS1_3genE9ELNS1_11target_archE1100ELNS1_3gpuE3ELNS1_3repE0EEENS1_30default_config_static_selectorELNS0_4arch9wavefront6targetE0EEEvT1_.uses_flat_scratch, 0
	.set _ZN7rocprim17ROCPRIM_400000_NS6detail17trampoline_kernelINS0_14default_configENS1_25partition_config_selectorILNS1_17partition_subalgoE9EllbEEZZNS1_14partition_implILS5_9ELb0ES3_jPlS8_PNS0_10empty_typeENS0_5tupleIJS8_S9_EEENSB_IJS8_SA_EEENS0_18inequality_wrapperIZN2at6native12_GLOBAL__N_124unique_dim_cuda_templateItEESt5tupleIJNSF_6TensorESK_SK_EERKSK_lbbbEUlllE0_EEPmJS9_EEE10hipError_tPvRmT3_T4_T5_T6_T7_T9_mT8_P12ihipStream_tbDpT10_ENKUlT_T0_E_clISt17integral_constantIbLb1EES19_IbLb0EEEEDaS15_S16_EUlS15_E_NS1_11comp_targetILNS1_3genE9ELNS1_11target_archE1100ELNS1_3gpuE3ELNS1_3repE0EEENS1_30default_config_static_selectorELNS0_4arch9wavefront6targetE0EEEvT1_.has_dyn_sized_stack, 0
	.set _ZN7rocprim17ROCPRIM_400000_NS6detail17trampoline_kernelINS0_14default_configENS1_25partition_config_selectorILNS1_17partition_subalgoE9EllbEEZZNS1_14partition_implILS5_9ELb0ES3_jPlS8_PNS0_10empty_typeENS0_5tupleIJS8_S9_EEENSB_IJS8_SA_EEENS0_18inequality_wrapperIZN2at6native12_GLOBAL__N_124unique_dim_cuda_templateItEESt5tupleIJNSF_6TensorESK_SK_EERKSK_lbbbEUlllE0_EEPmJS9_EEE10hipError_tPvRmT3_T4_T5_T6_T7_T9_mT8_P12ihipStream_tbDpT10_ENKUlT_T0_E_clISt17integral_constantIbLb1EES19_IbLb0EEEEDaS15_S16_EUlS15_E_NS1_11comp_targetILNS1_3genE9ELNS1_11target_archE1100ELNS1_3gpuE3ELNS1_3repE0EEENS1_30default_config_static_selectorELNS0_4arch9wavefront6targetE0EEEvT1_.has_recursion, 0
	.set _ZN7rocprim17ROCPRIM_400000_NS6detail17trampoline_kernelINS0_14default_configENS1_25partition_config_selectorILNS1_17partition_subalgoE9EllbEEZZNS1_14partition_implILS5_9ELb0ES3_jPlS8_PNS0_10empty_typeENS0_5tupleIJS8_S9_EEENSB_IJS8_SA_EEENS0_18inequality_wrapperIZN2at6native12_GLOBAL__N_124unique_dim_cuda_templateItEESt5tupleIJNSF_6TensorESK_SK_EERKSK_lbbbEUlllE0_EEPmJS9_EEE10hipError_tPvRmT3_T4_T5_T6_T7_T9_mT8_P12ihipStream_tbDpT10_ENKUlT_T0_E_clISt17integral_constantIbLb1EES19_IbLb0EEEEDaS15_S16_EUlS15_E_NS1_11comp_targetILNS1_3genE9ELNS1_11target_archE1100ELNS1_3gpuE3ELNS1_3repE0EEENS1_30default_config_static_selectorELNS0_4arch9wavefront6targetE0EEEvT1_.has_indirect_call, 0
	.section	.AMDGPU.csdata,"",@progbits
; Kernel info:
; codeLenInByte = 0
; TotalNumSgprs: 0
; NumVgprs: 0
; ScratchSize: 0
; MemoryBound: 0
; FloatMode: 240
; IeeeMode: 1
; LDSByteSize: 0 bytes/workgroup (compile time only)
; SGPRBlocks: 0
; VGPRBlocks: 0
; NumSGPRsForWavesPerEU: 1
; NumVGPRsForWavesPerEU: 1
; NamedBarCnt: 0
; Occupancy: 16
; WaveLimiterHint : 0
; COMPUTE_PGM_RSRC2:SCRATCH_EN: 0
; COMPUTE_PGM_RSRC2:USER_SGPR: 2
; COMPUTE_PGM_RSRC2:TRAP_HANDLER: 0
; COMPUTE_PGM_RSRC2:TGID_X_EN: 1
; COMPUTE_PGM_RSRC2:TGID_Y_EN: 0
; COMPUTE_PGM_RSRC2:TGID_Z_EN: 0
; COMPUTE_PGM_RSRC2:TIDIG_COMP_CNT: 0
	.section	.text._ZN7rocprim17ROCPRIM_400000_NS6detail17trampoline_kernelINS0_14default_configENS1_25partition_config_selectorILNS1_17partition_subalgoE9EllbEEZZNS1_14partition_implILS5_9ELb0ES3_jPlS8_PNS0_10empty_typeENS0_5tupleIJS8_S9_EEENSB_IJS8_SA_EEENS0_18inequality_wrapperIZN2at6native12_GLOBAL__N_124unique_dim_cuda_templateItEESt5tupleIJNSF_6TensorESK_SK_EERKSK_lbbbEUlllE0_EEPmJS9_EEE10hipError_tPvRmT3_T4_T5_T6_T7_T9_mT8_P12ihipStream_tbDpT10_ENKUlT_T0_E_clISt17integral_constantIbLb1EES19_IbLb0EEEEDaS15_S16_EUlS15_E_NS1_11comp_targetILNS1_3genE8ELNS1_11target_archE1030ELNS1_3gpuE2ELNS1_3repE0EEENS1_30default_config_static_selectorELNS0_4arch9wavefront6targetE0EEEvT1_,"axG",@progbits,_ZN7rocprim17ROCPRIM_400000_NS6detail17trampoline_kernelINS0_14default_configENS1_25partition_config_selectorILNS1_17partition_subalgoE9EllbEEZZNS1_14partition_implILS5_9ELb0ES3_jPlS8_PNS0_10empty_typeENS0_5tupleIJS8_S9_EEENSB_IJS8_SA_EEENS0_18inequality_wrapperIZN2at6native12_GLOBAL__N_124unique_dim_cuda_templateItEESt5tupleIJNSF_6TensorESK_SK_EERKSK_lbbbEUlllE0_EEPmJS9_EEE10hipError_tPvRmT3_T4_T5_T6_T7_T9_mT8_P12ihipStream_tbDpT10_ENKUlT_T0_E_clISt17integral_constantIbLb1EES19_IbLb0EEEEDaS15_S16_EUlS15_E_NS1_11comp_targetILNS1_3genE8ELNS1_11target_archE1030ELNS1_3gpuE2ELNS1_3repE0EEENS1_30default_config_static_selectorELNS0_4arch9wavefront6targetE0EEEvT1_,comdat
	.globl	_ZN7rocprim17ROCPRIM_400000_NS6detail17trampoline_kernelINS0_14default_configENS1_25partition_config_selectorILNS1_17partition_subalgoE9EllbEEZZNS1_14partition_implILS5_9ELb0ES3_jPlS8_PNS0_10empty_typeENS0_5tupleIJS8_S9_EEENSB_IJS8_SA_EEENS0_18inequality_wrapperIZN2at6native12_GLOBAL__N_124unique_dim_cuda_templateItEESt5tupleIJNSF_6TensorESK_SK_EERKSK_lbbbEUlllE0_EEPmJS9_EEE10hipError_tPvRmT3_T4_T5_T6_T7_T9_mT8_P12ihipStream_tbDpT10_ENKUlT_T0_E_clISt17integral_constantIbLb1EES19_IbLb0EEEEDaS15_S16_EUlS15_E_NS1_11comp_targetILNS1_3genE8ELNS1_11target_archE1030ELNS1_3gpuE2ELNS1_3repE0EEENS1_30default_config_static_selectorELNS0_4arch9wavefront6targetE0EEEvT1_ ; -- Begin function _ZN7rocprim17ROCPRIM_400000_NS6detail17trampoline_kernelINS0_14default_configENS1_25partition_config_selectorILNS1_17partition_subalgoE9EllbEEZZNS1_14partition_implILS5_9ELb0ES3_jPlS8_PNS0_10empty_typeENS0_5tupleIJS8_S9_EEENSB_IJS8_SA_EEENS0_18inequality_wrapperIZN2at6native12_GLOBAL__N_124unique_dim_cuda_templateItEESt5tupleIJNSF_6TensorESK_SK_EERKSK_lbbbEUlllE0_EEPmJS9_EEE10hipError_tPvRmT3_T4_T5_T6_T7_T9_mT8_P12ihipStream_tbDpT10_ENKUlT_T0_E_clISt17integral_constantIbLb1EES19_IbLb0EEEEDaS15_S16_EUlS15_E_NS1_11comp_targetILNS1_3genE8ELNS1_11target_archE1030ELNS1_3gpuE2ELNS1_3repE0EEENS1_30default_config_static_selectorELNS0_4arch9wavefront6targetE0EEEvT1_
	.p2align	8
	.type	_ZN7rocprim17ROCPRIM_400000_NS6detail17trampoline_kernelINS0_14default_configENS1_25partition_config_selectorILNS1_17partition_subalgoE9EllbEEZZNS1_14partition_implILS5_9ELb0ES3_jPlS8_PNS0_10empty_typeENS0_5tupleIJS8_S9_EEENSB_IJS8_SA_EEENS0_18inequality_wrapperIZN2at6native12_GLOBAL__N_124unique_dim_cuda_templateItEESt5tupleIJNSF_6TensorESK_SK_EERKSK_lbbbEUlllE0_EEPmJS9_EEE10hipError_tPvRmT3_T4_T5_T6_T7_T9_mT8_P12ihipStream_tbDpT10_ENKUlT_T0_E_clISt17integral_constantIbLb1EES19_IbLb0EEEEDaS15_S16_EUlS15_E_NS1_11comp_targetILNS1_3genE8ELNS1_11target_archE1030ELNS1_3gpuE2ELNS1_3repE0EEENS1_30default_config_static_selectorELNS0_4arch9wavefront6targetE0EEEvT1_,@function
_ZN7rocprim17ROCPRIM_400000_NS6detail17trampoline_kernelINS0_14default_configENS1_25partition_config_selectorILNS1_17partition_subalgoE9EllbEEZZNS1_14partition_implILS5_9ELb0ES3_jPlS8_PNS0_10empty_typeENS0_5tupleIJS8_S9_EEENSB_IJS8_SA_EEENS0_18inequality_wrapperIZN2at6native12_GLOBAL__N_124unique_dim_cuda_templateItEESt5tupleIJNSF_6TensorESK_SK_EERKSK_lbbbEUlllE0_EEPmJS9_EEE10hipError_tPvRmT3_T4_T5_T6_T7_T9_mT8_P12ihipStream_tbDpT10_ENKUlT_T0_E_clISt17integral_constantIbLb1EES19_IbLb0EEEEDaS15_S16_EUlS15_E_NS1_11comp_targetILNS1_3genE8ELNS1_11target_archE1030ELNS1_3gpuE2ELNS1_3repE0EEENS1_30default_config_static_selectorELNS0_4arch9wavefront6targetE0EEEvT1_: ; @_ZN7rocprim17ROCPRIM_400000_NS6detail17trampoline_kernelINS0_14default_configENS1_25partition_config_selectorILNS1_17partition_subalgoE9EllbEEZZNS1_14partition_implILS5_9ELb0ES3_jPlS8_PNS0_10empty_typeENS0_5tupleIJS8_S9_EEENSB_IJS8_SA_EEENS0_18inequality_wrapperIZN2at6native12_GLOBAL__N_124unique_dim_cuda_templateItEESt5tupleIJNSF_6TensorESK_SK_EERKSK_lbbbEUlllE0_EEPmJS9_EEE10hipError_tPvRmT3_T4_T5_T6_T7_T9_mT8_P12ihipStream_tbDpT10_ENKUlT_T0_E_clISt17integral_constantIbLb1EES19_IbLb0EEEEDaS15_S16_EUlS15_E_NS1_11comp_targetILNS1_3genE8ELNS1_11target_archE1030ELNS1_3gpuE2ELNS1_3repE0EEENS1_30default_config_static_selectorELNS0_4arch9wavefront6targetE0EEEvT1_
; %bb.0:
	.section	.rodata,"a",@progbits
	.p2align	6, 0x0
	.amdhsa_kernel _ZN7rocprim17ROCPRIM_400000_NS6detail17trampoline_kernelINS0_14default_configENS1_25partition_config_selectorILNS1_17partition_subalgoE9EllbEEZZNS1_14partition_implILS5_9ELb0ES3_jPlS8_PNS0_10empty_typeENS0_5tupleIJS8_S9_EEENSB_IJS8_SA_EEENS0_18inequality_wrapperIZN2at6native12_GLOBAL__N_124unique_dim_cuda_templateItEESt5tupleIJNSF_6TensorESK_SK_EERKSK_lbbbEUlllE0_EEPmJS9_EEE10hipError_tPvRmT3_T4_T5_T6_T7_T9_mT8_P12ihipStream_tbDpT10_ENKUlT_T0_E_clISt17integral_constantIbLb1EES19_IbLb0EEEEDaS15_S16_EUlS15_E_NS1_11comp_targetILNS1_3genE8ELNS1_11target_archE1030ELNS1_3gpuE2ELNS1_3repE0EEENS1_30default_config_static_selectorELNS0_4arch9wavefront6targetE0EEEvT1_
		.amdhsa_group_segment_fixed_size 0
		.amdhsa_private_segment_fixed_size 0
		.amdhsa_kernarg_size 120
		.amdhsa_user_sgpr_count 2
		.amdhsa_user_sgpr_dispatch_ptr 0
		.amdhsa_user_sgpr_queue_ptr 0
		.amdhsa_user_sgpr_kernarg_segment_ptr 1
		.amdhsa_user_sgpr_dispatch_id 0
		.amdhsa_user_sgpr_kernarg_preload_length 0
		.amdhsa_user_sgpr_kernarg_preload_offset 0
		.amdhsa_user_sgpr_private_segment_size 0
		.amdhsa_wavefront_size32 1
		.amdhsa_uses_dynamic_stack 0
		.amdhsa_enable_private_segment 0
		.amdhsa_system_sgpr_workgroup_id_x 1
		.amdhsa_system_sgpr_workgroup_id_y 0
		.amdhsa_system_sgpr_workgroup_id_z 0
		.amdhsa_system_sgpr_workgroup_info 0
		.amdhsa_system_vgpr_workitem_id 0
		.amdhsa_next_free_vgpr 1
		.amdhsa_next_free_sgpr 1
		.amdhsa_named_barrier_count 0
		.amdhsa_reserve_vcc 0
		.amdhsa_float_round_mode_32 0
		.amdhsa_float_round_mode_16_64 0
		.amdhsa_float_denorm_mode_32 3
		.amdhsa_float_denorm_mode_16_64 3
		.amdhsa_fp16_overflow 0
		.amdhsa_memory_ordered 1
		.amdhsa_forward_progress 1
		.amdhsa_inst_pref_size 0
		.amdhsa_round_robin_scheduling 0
		.amdhsa_exception_fp_ieee_invalid_op 0
		.amdhsa_exception_fp_denorm_src 0
		.amdhsa_exception_fp_ieee_div_zero 0
		.amdhsa_exception_fp_ieee_overflow 0
		.amdhsa_exception_fp_ieee_underflow 0
		.amdhsa_exception_fp_ieee_inexact 0
		.amdhsa_exception_int_div_zero 0
	.end_amdhsa_kernel
	.section	.text._ZN7rocprim17ROCPRIM_400000_NS6detail17trampoline_kernelINS0_14default_configENS1_25partition_config_selectorILNS1_17partition_subalgoE9EllbEEZZNS1_14partition_implILS5_9ELb0ES3_jPlS8_PNS0_10empty_typeENS0_5tupleIJS8_S9_EEENSB_IJS8_SA_EEENS0_18inequality_wrapperIZN2at6native12_GLOBAL__N_124unique_dim_cuda_templateItEESt5tupleIJNSF_6TensorESK_SK_EERKSK_lbbbEUlllE0_EEPmJS9_EEE10hipError_tPvRmT3_T4_T5_T6_T7_T9_mT8_P12ihipStream_tbDpT10_ENKUlT_T0_E_clISt17integral_constantIbLb1EES19_IbLb0EEEEDaS15_S16_EUlS15_E_NS1_11comp_targetILNS1_3genE8ELNS1_11target_archE1030ELNS1_3gpuE2ELNS1_3repE0EEENS1_30default_config_static_selectorELNS0_4arch9wavefront6targetE0EEEvT1_,"axG",@progbits,_ZN7rocprim17ROCPRIM_400000_NS6detail17trampoline_kernelINS0_14default_configENS1_25partition_config_selectorILNS1_17partition_subalgoE9EllbEEZZNS1_14partition_implILS5_9ELb0ES3_jPlS8_PNS0_10empty_typeENS0_5tupleIJS8_S9_EEENSB_IJS8_SA_EEENS0_18inequality_wrapperIZN2at6native12_GLOBAL__N_124unique_dim_cuda_templateItEESt5tupleIJNSF_6TensorESK_SK_EERKSK_lbbbEUlllE0_EEPmJS9_EEE10hipError_tPvRmT3_T4_T5_T6_T7_T9_mT8_P12ihipStream_tbDpT10_ENKUlT_T0_E_clISt17integral_constantIbLb1EES19_IbLb0EEEEDaS15_S16_EUlS15_E_NS1_11comp_targetILNS1_3genE8ELNS1_11target_archE1030ELNS1_3gpuE2ELNS1_3repE0EEENS1_30default_config_static_selectorELNS0_4arch9wavefront6targetE0EEEvT1_,comdat
.Lfunc_end1474:
	.size	_ZN7rocprim17ROCPRIM_400000_NS6detail17trampoline_kernelINS0_14default_configENS1_25partition_config_selectorILNS1_17partition_subalgoE9EllbEEZZNS1_14partition_implILS5_9ELb0ES3_jPlS8_PNS0_10empty_typeENS0_5tupleIJS8_S9_EEENSB_IJS8_SA_EEENS0_18inequality_wrapperIZN2at6native12_GLOBAL__N_124unique_dim_cuda_templateItEESt5tupleIJNSF_6TensorESK_SK_EERKSK_lbbbEUlllE0_EEPmJS9_EEE10hipError_tPvRmT3_T4_T5_T6_T7_T9_mT8_P12ihipStream_tbDpT10_ENKUlT_T0_E_clISt17integral_constantIbLb1EES19_IbLb0EEEEDaS15_S16_EUlS15_E_NS1_11comp_targetILNS1_3genE8ELNS1_11target_archE1030ELNS1_3gpuE2ELNS1_3repE0EEENS1_30default_config_static_selectorELNS0_4arch9wavefront6targetE0EEEvT1_, .Lfunc_end1474-_ZN7rocprim17ROCPRIM_400000_NS6detail17trampoline_kernelINS0_14default_configENS1_25partition_config_selectorILNS1_17partition_subalgoE9EllbEEZZNS1_14partition_implILS5_9ELb0ES3_jPlS8_PNS0_10empty_typeENS0_5tupleIJS8_S9_EEENSB_IJS8_SA_EEENS0_18inequality_wrapperIZN2at6native12_GLOBAL__N_124unique_dim_cuda_templateItEESt5tupleIJNSF_6TensorESK_SK_EERKSK_lbbbEUlllE0_EEPmJS9_EEE10hipError_tPvRmT3_T4_T5_T6_T7_T9_mT8_P12ihipStream_tbDpT10_ENKUlT_T0_E_clISt17integral_constantIbLb1EES19_IbLb0EEEEDaS15_S16_EUlS15_E_NS1_11comp_targetILNS1_3genE8ELNS1_11target_archE1030ELNS1_3gpuE2ELNS1_3repE0EEENS1_30default_config_static_selectorELNS0_4arch9wavefront6targetE0EEEvT1_
                                        ; -- End function
	.set _ZN7rocprim17ROCPRIM_400000_NS6detail17trampoline_kernelINS0_14default_configENS1_25partition_config_selectorILNS1_17partition_subalgoE9EllbEEZZNS1_14partition_implILS5_9ELb0ES3_jPlS8_PNS0_10empty_typeENS0_5tupleIJS8_S9_EEENSB_IJS8_SA_EEENS0_18inequality_wrapperIZN2at6native12_GLOBAL__N_124unique_dim_cuda_templateItEESt5tupleIJNSF_6TensorESK_SK_EERKSK_lbbbEUlllE0_EEPmJS9_EEE10hipError_tPvRmT3_T4_T5_T6_T7_T9_mT8_P12ihipStream_tbDpT10_ENKUlT_T0_E_clISt17integral_constantIbLb1EES19_IbLb0EEEEDaS15_S16_EUlS15_E_NS1_11comp_targetILNS1_3genE8ELNS1_11target_archE1030ELNS1_3gpuE2ELNS1_3repE0EEENS1_30default_config_static_selectorELNS0_4arch9wavefront6targetE0EEEvT1_.num_vgpr, 0
	.set _ZN7rocprim17ROCPRIM_400000_NS6detail17trampoline_kernelINS0_14default_configENS1_25partition_config_selectorILNS1_17partition_subalgoE9EllbEEZZNS1_14partition_implILS5_9ELb0ES3_jPlS8_PNS0_10empty_typeENS0_5tupleIJS8_S9_EEENSB_IJS8_SA_EEENS0_18inequality_wrapperIZN2at6native12_GLOBAL__N_124unique_dim_cuda_templateItEESt5tupleIJNSF_6TensorESK_SK_EERKSK_lbbbEUlllE0_EEPmJS9_EEE10hipError_tPvRmT3_T4_T5_T6_T7_T9_mT8_P12ihipStream_tbDpT10_ENKUlT_T0_E_clISt17integral_constantIbLb1EES19_IbLb0EEEEDaS15_S16_EUlS15_E_NS1_11comp_targetILNS1_3genE8ELNS1_11target_archE1030ELNS1_3gpuE2ELNS1_3repE0EEENS1_30default_config_static_selectorELNS0_4arch9wavefront6targetE0EEEvT1_.num_agpr, 0
	.set _ZN7rocprim17ROCPRIM_400000_NS6detail17trampoline_kernelINS0_14default_configENS1_25partition_config_selectorILNS1_17partition_subalgoE9EllbEEZZNS1_14partition_implILS5_9ELb0ES3_jPlS8_PNS0_10empty_typeENS0_5tupleIJS8_S9_EEENSB_IJS8_SA_EEENS0_18inequality_wrapperIZN2at6native12_GLOBAL__N_124unique_dim_cuda_templateItEESt5tupleIJNSF_6TensorESK_SK_EERKSK_lbbbEUlllE0_EEPmJS9_EEE10hipError_tPvRmT3_T4_T5_T6_T7_T9_mT8_P12ihipStream_tbDpT10_ENKUlT_T0_E_clISt17integral_constantIbLb1EES19_IbLb0EEEEDaS15_S16_EUlS15_E_NS1_11comp_targetILNS1_3genE8ELNS1_11target_archE1030ELNS1_3gpuE2ELNS1_3repE0EEENS1_30default_config_static_selectorELNS0_4arch9wavefront6targetE0EEEvT1_.numbered_sgpr, 0
	.set _ZN7rocprim17ROCPRIM_400000_NS6detail17trampoline_kernelINS0_14default_configENS1_25partition_config_selectorILNS1_17partition_subalgoE9EllbEEZZNS1_14partition_implILS5_9ELb0ES3_jPlS8_PNS0_10empty_typeENS0_5tupleIJS8_S9_EEENSB_IJS8_SA_EEENS0_18inequality_wrapperIZN2at6native12_GLOBAL__N_124unique_dim_cuda_templateItEESt5tupleIJNSF_6TensorESK_SK_EERKSK_lbbbEUlllE0_EEPmJS9_EEE10hipError_tPvRmT3_T4_T5_T6_T7_T9_mT8_P12ihipStream_tbDpT10_ENKUlT_T0_E_clISt17integral_constantIbLb1EES19_IbLb0EEEEDaS15_S16_EUlS15_E_NS1_11comp_targetILNS1_3genE8ELNS1_11target_archE1030ELNS1_3gpuE2ELNS1_3repE0EEENS1_30default_config_static_selectorELNS0_4arch9wavefront6targetE0EEEvT1_.num_named_barrier, 0
	.set _ZN7rocprim17ROCPRIM_400000_NS6detail17trampoline_kernelINS0_14default_configENS1_25partition_config_selectorILNS1_17partition_subalgoE9EllbEEZZNS1_14partition_implILS5_9ELb0ES3_jPlS8_PNS0_10empty_typeENS0_5tupleIJS8_S9_EEENSB_IJS8_SA_EEENS0_18inequality_wrapperIZN2at6native12_GLOBAL__N_124unique_dim_cuda_templateItEESt5tupleIJNSF_6TensorESK_SK_EERKSK_lbbbEUlllE0_EEPmJS9_EEE10hipError_tPvRmT3_T4_T5_T6_T7_T9_mT8_P12ihipStream_tbDpT10_ENKUlT_T0_E_clISt17integral_constantIbLb1EES19_IbLb0EEEEDaS15_S16_EUlS15_E_NS1_11comp_targetILNS1_3genE8ELNS1_11target_archE1030ELNS1_3gpuE2ELNS1_3repE0EEENS1_30default_config_static_selectorELNS0_4arch9wavefront6targetE0EEEvT1_.private_seg_size, 0
	.set _ZN7rocprim17ROCPRIM_400000_NS6detail17trampoline_kernelINS0_14default_configENS1_25partition_config_selectorILNS1_17partition_subalgoE9EllbEEZZNS1_14partition_implILS5_9ELb0ES3_jPlS8_PNS0_10empty_typeENS0_5tupleIJS8_S9_EEENSB_IJS8_SA_EEENS0_18inequality_wrapperIZN2at6native12_GLOBAL__N_124unique_dim_cuda_templateItEESt5tupleIJNSF_6TensorESK_SK_EERKSK_lbbbEUlllE0_EEPmJS9_EEE10hipError_tPvRmT3_T4_T5_T6_T7_T9_mT8_P12ihipStream_tbDpT10_ENKUlT_T0_E_clISt17integral_constantIbLb1EES19_IbLb0EEEEDaS15_S16_EUlS15_E_NS1_11comp_targetILNS1_3genE8ELNS1_11target_archE1030ELNS1_3gpuE2ELNS1_3repE0EEENS1_30default_config_static_selectorELNS0_4arch9wavefront6targetE0EEEvT1_.uses_vcc, 0
	.set _ZN7rocprim17ROCPRIM_400000_NS6detail17trampoline_kernelINS0_14default_configENS1_25partition_config_selectorILNS1_17partition_subalgoE9EllbEEZZNS1_14partition_implILS5_9ELb0ES3_jPlS8_PNS0_10empty_typeENS0_5tupleIJS8_S9_EEENSB_IJS8_SA_EEENS0_18inequality_wrapperIZN2at6native12_GLOBAL__N_124unique_dim_cuda_templateItEESt5tupleIJNSF_6TensorESK_SK_EERKSK_lbbbEUlllE0_EEPmJS9_EEE10hipError_tPvRmT3_T4_T5_T6_T7_T9_mT8_P12ihipStream_tbDpT10_ENKUlT_T0_E_clISt17integral_constantIbLb1EES19_IbLb0EEEEDaS15_S16_EUlS15_E_NS1_11comp_targetILNS1_3genE8ELNS1_11target_archE1030ELNS1_3gpuE2ELNS1_3repE0EEENS1_30default_config_static_selectorELNS0_4arch9wavefront6targetE0EEEvT1_.uses_flat_scratch, 0
	.set _ZN7rocprim17ROCPRIM_400000_NS6detail17trampoline_kernelINS0_14default_configENS1_25partition_config_selectorILNS1_17partition_subalgoE9EllbEEZZNS1_14partition_implILS5_9ELb0ES3_jPlS8_PNS0_10empty_typeENS0_5tupleIJS8_S9_EEENSB_IJS8_SA_EEENS0_18inequality_wrapperIZN2at6native12_GLOBAL__N_124unique_dim_cuda_templateItEESt5tupleIJNSF_6TensorESK_SK_EERKSK_lbbbEUlllE0_EEPmJS9_EEE10hipError_tPvRmT3_T4_T5_T6_T7_T9_mT8_P12ihipStream_tbDpT10_ENKUlT_T0_E_clISt17integral_constantIbLb1EES19_IbLb0EEEEDaS15_S16_EUlS15_E_NS1_11comp_targetILNS1_3genE8ELNS1_11target_archE1030ELNS1_3gpuE2ELNS1_3repE0EEENS1_30default_config_static_selectorELNS0_4arch9wavefront6targetE0EEEvT1_.has_dyn_sized_stack, 0
	.set _ZN7rocprim17ROCPRIM_400000_NS6detail17trampoline_kernelINS0_14default_configENS1_25partition_config_selectorILNS1_17partition_subalgoE9EllbEEZZNS1_14partition_implILS5_9ELb0ES3_jPlS8_PNS0_10empty_typeENS0_5tupleIJS8_S9_EEENSB_IJS8_SA_EEENS0_18inequality_wrapperIZN2at6native12_GLOBAL__N_124unique_dim_cuda_templateItEESt5tupleIJNSF_6TensorESK_SK_EERKSK_lbbbEUlllE0_EEPmJS9_EEE10hipError_tPvRmT3_T4_T5_T6_T7_T9_mT8_P12ihipStream_tbDpT10_ENKUlT_T0_E_clISt17integral_constantIbLb1EES19_IbLb0EEEEDaS15_S16_EUlS15_E_NS1_11comp_targetILNS1_3genE8ELNS1_11target_archE1030ELNS1_3gpuE2ELNS1_3repE0EEENS1_30default_config_static_selectorELNS0_4arch9wavefront6targetE0EEEvT1_.has_recursion, 0
	.set _ZN7rocprim17ROCPRIM_400000_NS6detail17trampoline_kernelINS0_14default_configENS1_25partition_config_selectorILNS1_17partition_subalgoE9EllbEEZZNS1_14partition_implILS5_9ELb0ES3_jPlS8_PNS0_10empty_typeENS0_5tupleIJS8_S9_EEENSB_IJS8_SA_EEENS0_18inequality_wrapperIZN2at6native12_GLOBAL__N_124unique_dim_cuda_templateItEESt5tupleIJNSF_6TensorESK_SK_EERKSK_lbbbEUlllE0_EEPmJS9_EEE10hipError_tPvRmT3_T4_T5_T6_T7_T9_mT8_P12ihipStream_tbDpT10_ENKUlT_T0_E_clISt17integral_constantIbLb1EES19_IbLb0EEEEDaS15_S16_EUlS15_E_NS1_11comp_targetILNS1_3genE8ELNS1_11target_archE1030ELNS1_3gpuE2ELNS1_3repE0EEENS1_30default_config_static_selectorELNS0_4arch9wavefront6targetE0EEEvT1_.has_indirect_call, 0
	.section	.AMDGPU.csdata,"",@progbits
; Kernel info:
; codeLenInByte = 0
; TotalNumSgprs: 0
; NumVgprs: 0
; ScratchSize: 0
; MemoryBound: 0
; FloatMode: 240
; IeeeMode: 1
; LDSByteSize: 0 bytes/workgroup (compile time only)
; SGPRBlocks: 0
; VGPRBlocks: 0
; NumSGPRsForWavesPerEU: 1
; NumVGPRsForWavesPerEU: 1
; NamedBarCnt: 0
; Occupancy: 16
; WaveLimiterHint : 0
; COMPUTE_PGM_RSRC2:SCRATCH_EN: 0
; COMPUTE_PGM_RSRC2:USER_SGPR: 2
; COMPUTE_PGM_RSRC2:TRAP_HANDLER: 0
; COMPUTE_PGM_RSRC2:TGID_X_EN: 1
; COMPUTE_PGM_RSRC2:TGID_Y_EN: 0
; COMPUTE_PGM_RSRC2:TGID_Z_EN: 0
; COMPUTE_PGM_RSRC2:TIDIG_COMP_CNT: 0
	.section	.text._ZN7rocprim17ROCPRIM_400000_NS6detail17trampoline_kernelINS0_14default_configENS1_25partition_config_selectorILNS1_17partition_subalgoE9EllbEEZZNS1_14partition_implILS5_9ELb0ES3_jPlS8_PNS0_10empty_typeENS0_5tupleIJS8_S9_EEENSB_IJS8_SA_EEENS0_18inequality_wrapperIZN2at6native12_GLOBAL__N_124unique_dim_cuda_templateItEESt5tupleIJNSF_6TensorESK_SK_EERKSK_lbbbEUlllE0_EEPmJS9_EEE10hipError_tPvRmT3_T4_T5_T6_T7_T9_mT8_P12ihipStream_tbDpT10_ENKUlT_T0_E_clISt17integral_constantIbLb0EES19_IbLb1EEEEDaS15_S16_EUlS15_E_NS1_11comp_targetILNS1_3genE0ELNS1_11target_archE4294967295ELNS1_3gpuE0ELNS1_3repE0EEENS1_30default_config_static_selectorELNS0_4arch9wavefront6targetE0EEEvT1_,"axG",@progbits,_ZN7rocprim17ROCPRIM_400000_NS6detail17trampoline_kernelINS0_14default_configENS1_25partition_config_selectorILNS1_17partition_subalgoE9EllbEEZZNS1_14partition_implILS5_9ELb0ES3_jPlS8_PNS0_10empty_typeENS0_5tupleIJS8_S9_EEENSB_IJS8_SA_EEENS0_18inequality_wrapperIZN2at6native12_GLOBAL__N_124unique_dim_cuda_templateItEESt5tupleIJNSF_6TensorESK_SK_EERKSK_lbbbEUlllE0_EEPmJS9_EEE10hipError_tPvRmT3_T4_T5_T6_T7_T9_mT8_P12ihipStream_tbDpT10_ENKUlT_T0_E_clISt17integral_constantIbLb0EES19_IbLb1EEEEDaS15_S16_EUlS15_E_NS1_11comp_targetILNS1_3genE0ELNS1_11target_archE4294967295ELNS1_3gpuE0ELNS1_3repE0EEENS1_30default_config_static_selectorELNS0_4arch9wavefront6targetE0EEEvT1_,comdat
	.globl	_ZN7rocprim17ROCPRIM_400000_NS6detail17trampoline_kernelINS0_14default_configENS1_25partition_config_selectorILNS1_17partition_subalgoE9EllbEEZZNS1_14partition_implILS5_9ELb0ES3_jPlS8_PNS0_10empty_typeENS0_5tupleIJS8_S9_EEENSB_IJS8_SA_EEENS0_18inequality_wrapperIZN2at6native12_GLOBAL__N_124unique_dim_cuda_templateItEESt5tupleIJNSF_6TensorESK_SK_EERKSK_lbbbEUlllE0_EEPmJS9_EEE10hipError_tPvRmT3_T4_T5_T6_T7_T9_mT8_P12ihipStream_tbDpT10_ENKUlT_T0_E_clISt17integral_constantIbLb0EES19_IbLb1EEEEDaS15_S16_EUlS15_E_NS1_11comp_targetILNS1_3genE0ELNS1_11target_archE4294967295ELNS1_3gpuE0ELNS1_3repE0EEENS1_30default_config_static_selectorELNS0_4arch9wavefront6targetE0EEEvT1_ ; -- Begin function _ZN7rocprim17ROCPRIM_400000_NS6detail17trampoline_kernelINS0_14default_configENS1_25partition_config_selectorILNS1_17partition_subalgoE9EllbEEZZNS1_14partition_implILS5_9ELb0ES3_jPlS8_PNS0_10empty_typeENS0_5tupleIJS8_S9_EEENSB_IJS8_SA_EEENS0_18inequality_wrapperIZN2at6native12_GLOBAL__N_124unique_dim_cuda_templateItEESt5tupleIJNSF_6TensorESK_SK_EERKSK_lbbbEUlllE0_EEPmJS9_EEE10hipError_tPvRmT3_T4_T5_T6_T7_T9_mT8_P12ihipStream_tbDpT10_ENKUlT_T0_E_clISt17integral_constantIbLb0EES19_IbLb1EEEEDaS15_S16_EUlS15_E_NS1_11comp_targetILNS1_3genE0ELNS1_11target_archE4294967295ELNS1_3gpuE0ELNS1_3repE0EEENS1_30default_config_static_selectorELNS0_4arch9wavefront6targetE0EEEvT1_
	.p2align	8
	.type	_ZN7rocprim17ROCPRIM_400000_NS6detail17trampoline_kernelINS0_14default_configENS1_25partition_config_selectorILNS1_17partition_subalgoE9EllbEEZZNS1_14partition_implILS5_9ELb0ES3_jPlS8_PNS0_10empty_typeENS0_5tupleIJS8_S9_EEENSB_IJS8_SA_EEENS0_18inequality_wrapperIZN2at6native12_GLOBAL__N_124unique_dim_cuda_templateItEESt5tupleIJNSF_6TensorESK_SK_EERKSK_lbbbEUlllE0_EEPmJS9_EEE10hipError_tPvRmT3_T4_T5_T6_T7_T9_mT8_P12ihipStream_tbDpT10_ENKUlT_T0_E_clISt17integral_constantIbLb0EES19_IbLb1EEEEDaS15_S16_EUlS15_E_NS1_11comp_targetILNS1_3genE0ELNS1_11target_archE4294967295ELNS1_3gpuE0ELNS1_3repE0EEENS1_30default_config_static_selectorELNS0_4arch9wavefront6targetE0EEEvT1_,@function
_ZN7rocprim17ROCPRIM_400000_NS6detail17trampoline_kernelINS0_14default_configENS1_25partition_config_selectorILNS1_17partition_subalgoE9EllbEEZZNS1_14partition_implILS5_9ELb0ES3_jPlS8_PNS0_10empty_typeENS0_5tupleIJS8_S9_EEENSB_IJS8_SA_EEENS0_18inequality_wrapperIZN2at6native12_GLOBAL__N_124unique_dim_cuda_templateItEESt5tupleIJNSF_6TensorESK_SK_EERKSK_lbbbEUlllE0_EEPmJS9_EEE10hipError_tPvRmT3_T4_T5_T6_T7_T9_mT8_P12ihipStream_tbDpT10_ENKUlT_T0_E_clISt17integral_constantIbLb0EES19_IbLb1EEEEDaS15_S16_EUlS15_E_NS1_11comp_targetILNS1_3genE0ELNS1_11target_archE4294967295ELNS1_3gpuE0ELNS1_3repE0EEENS1_30default_config_static_selectorELNS0_4arch9wavefront6targetE0EEEvT1_: ; @_ZN7rocprim17ROCPRIM_400000_NS6detail17trampoline_kernelINS0_14default_configENS1_25partition_config_selectorILNS1_17partition_subalgoE9EllbEEZZNS1_14partition_implILS5_9ELb0ES3_jPlS8_PNS0_10empty_typeENS0_5tupleIJS8_S9_EEENSB_IJS8_SA_EEENS0_18inequality_wrapperIZN2at6native12_GLOBAL__N_124unique_dim_cuda_templateItEESt5tupleIJNSF_6TensorESK_SK_EERKSK_lbbbEUlllE0_EEPmJS9_EEE10hipError_tPvRmT3_T4_T5_T6_T7_T9_mT8_P12ihipStream_tbDpT10_ENKUlT_T0_E_clISt17integral_constantIbLb0EES19_IbLb1EEEEDaS15_S16_EUlS15_E_NS1_11comp_targetILNS1_3genE0ELNS1_11target_archE4294967295ELNS1_3gpuE0ELNS1_3repE0EEENS1_30default_config_static_selectorELNS0_4arch9wavefront6targetE0EEEvT1_
; %bb.0:
	s_clause 0x3
	s_load_b128 s[4:7], s[0:1], 0x8
	s_load_b64 s[24:25], s[0:1], 0x18
	s_load_b256 s[12:19], s[0:1], 0x40
	s_load_b128 s[8:11], s[0:1], 0x60
	v_cmp_ne_u32_e64 s3, 0, v0
	v_cmp_eq_u32_e64 s2, 0, v0
	s_and_saveexec_b32 s20, s2
	s_cbranch_execz .LBB1475_4
; %bb.1:
	s_mov_b32 s22, exec_lo
	s_mov_b32 s21, exec_lo
	v_mbcnt_lo_u32_b32 v1, s22, 0
                                        ; implicit-def: $vgpr2
	s_delay_alu instid0(VALU_DEP_1)
	v_cmpx_eq_u32_e32 0, v1
	s_cbranch_execz .LBB1475_3
; %bb.2:
	s_load_b64 s[26:27], s[0:1], 0x78
	s_bcnt1_i32_b32 s22, s22
	s_delay_alu instid0(SALU_CYCLE_1)
	v_dual_mov_b32 v2, 0 :: v_dual_mov_b32 v3, s22
	s_wait_xcnt 0x0
	s_wait_kmcnt 0x0
	global_atomic_add_u32 v2, v2, v3, s[26:27] th:TH_ATOMIC_RETURN scope:SCOPE_DEV
.LBB1475_3:
	s_wait_xcnt 0x0
	s_or_b32 exec_lo, exec_lo, s21
	s_wait_loadcnt 0x0
	v_readfirstlane_b32 s21, v2
	s_delay_alu instid0(VALU_DEP_1)
	v_dual_mov_b32 v2, 0 :: v_dual_add_nc_u32 v1, s21, v1
	ds_store_b32 v2, v1
.LBB1475_4:
	s_or_b32 exec_lo, exec_lo, s20
	v_mov_b32_e32 v1, 0
	s_clause 0x1
	s_load_b128 s[20:23], s[0:1], 0x28
	s_load_b32 s28, s[0:1], 0x70
	s_wait_dscnt 0x0
	s_barrier_signal -1
	s_barrier_wait -1
	ds_load_b32 v4, v1
	s_wait_dscnt 0x0
	s_barrier_signal -1
	s_barrier_wait -1
	s_wait_kmcnt 0x0
	global_load_b64 v[2:3], v1, s[14:15]
	s_wait_xcnt 0x0
	s_mov_b32 s15, 0
	s_lshl_b64 s[26:27], s[6:7], 3
	v_lshlrev_b32_e32 v1, 3, v0
	s_add_nc_u64 s[4:5], s[4:5], s[26:27]
	s_mov_b32 s1, -1
	s_mul_i32 s14, s28, 0x280
	s_add_co_i32 s28, s28, -1
	s_add_co_i32 s0, s14, s6
	s_add_nc_u64 s[34:35], s[6:7], s[14:15]
	s_sub_co_i32 s31, s16, s0
	v_readfirstlane_b32 s30, v4
	v_cmp_le_u64_e64 s0, s[16:17], s[34:35]
	s_addk_co_i32 s31, 0x280
	s_cmp_eq_u32 s30, s28
	s_mul_i32 s14, s30, 0x280
	s_cselect_b32 s28, -1, 0
	s_lshl_b64 s[16:17], s[14:15], 3
	s_and_b32 s33, s0, s28
	s_add_nc_u64 s[4:5], s[4:5], s[16:17]
	s_xor_b32 s29, s33, -1
	s_delay_alu instid0(SALU_CYCLE_1)
	s_and_b32 vcc_lo, exec_lo, s29
	s_wait_loadcnt 0x0
	v_readfirstlane_b32 s14, v2
	v_readfirstlane_b32 s15, v3
	s_cbranch_vccz .LBB1475_6
; %bb.5:
	s_clause 0x4
	global_load_b64 v[2:3], v0, s[4:5] scale_offset
	global_load_b64 v[4:5], v0, s[4:5] offset:1024 scale_offset
	global_load_b64 v[6:7], v0, s[4:5] offset:2048 scale_offset
	;; [unrolled: 1-line block ×4, first 2 shown]
	v_lshlrev_b32_e32 v12, 3, v0
	s_mov_b32 s1, 0
	s_wait_loadcnt 0x3
	ds_store_2addr_stride64_b64 v12, v[2:3], v[4:5] offset1:2
	s_wait_loadcnt 0x1
	ds_store_2addr_stride64_b64 v12, v[6:7], v[8:9] offset0:4 offset1:6
	s_wait_loadcnt 0x0
	ds_store_b64 v12, v[10:11] offset:4096
	s_wait_dscnt 0x0
	s_barrier_signal -1
	s_barrier_wait -1
.LBB1475_6:
	v_cmp_gt_u32_e64 s0, s31, v0
	s_and_not1_b32 vcc_lo, exec_lo, s1
	s_cbranch_vccnz .LBB1475_18
; %bb.7:
	v_mov_b32_e32 v2, 0
	s_delay_alu instid0(VALU_DEP_1)
	v_dual_mov_b32 v3, v2 :: v_dual_mov_b32 v4, v2
	v_dual_mov_b32 v5, v2 :: v_dual_mov_b32 v6, v2
	;; [unrolled: 1-line block ×4, first 2 shown]
	v_mov_b32_e32 v11, v2
	s_and_saveexec_b32 s1, s0
	s_cbranch_execz .LBB1475_9
; %bb.8:
	global_load_b64 v[4:5], v0, s[4:5] scale_offset
	v_dual_mov_b32 v6, v2 :: v_dual_mov_b32 v7, v2
	v_dual_mov_b32 v8, v2 :: v_dual_mov_b32 v9, v2
	;; [unrolled: 1-line block ×4, first 2 shown]
	s_wait_loadcnt 0x0
	v_mov_b64_e32 v[2:3], v[4:5]
	v_mov_b64_e32 v[4:5], v[6:7]
	;; [unrolled: 1-line block ×8, first 2 shown]
.LBB1475_9:
	s_or_b32 exec_lo, exec_lo, s1
	v_or_b32_e32 v12, 0x80, v0
	s_mov_b32 s0, exec_lo
	s_delay_alu instid0(VALU_DEP_1)
	v_cmpx_gt_u32_e64 s31, v12
	s_cbranch_execz .LBB1475_11
; %bb.10:
	global_load_b64 v[4:5], v0, s[4:5] offset:1024 scale_offset
.LBB1475_11:
	s_wait_xcnt 0x0
	s_or_b32 exec_lo, exec_lo, s0
	v_or_b32_e32 v12, 0x100, v0
	s_mov_b32 s0, exec_lo
	s_delay_alu instid0(VALU_DEP_1)
	v_cmpx_gt_u32_e64 s31, v12
	s_cbranch_execz .LBB1475_13
; %bb.12:
	global_load_b64 v[6:7], v0, s[4:5] offset:2048 scale_offset
.LBB1475_13:
	s_wait_xcnt 0x0
	;; [unrolled: 10-line block ×4, first 2 shown]
	s_or_b32 exec_lo, exec_lo, s0
	v_lshlrev_b32_e32 v12, 3, v0
	s_wait_loadcnt 0x0
	ds_store_2addr_stride64_b64 v12, v[2:3], v[4:5] offset1:2
	ds_store_2addr_stride64_b64 v12, v[6:7], v[8:9] offset0:4 offset1:6
	ds_store_b64 v12, v[10:11] offset:4096
	s_wait_dscnt 0x0
	s_barrier_signal -1
	s_barrier_wait -1
.LBB1475_18:
	v_mul_u32_u24_e32 v30, 5, v0
	s_add_nc_u64 s[0:1], s[24:25], s[26:27]
	s_and_b32 vcc_lo, exec_lo, s29
	s_add_nc_u64 s[0:1], s[0:1], s[16:17]
	s_delay_alu instid0(VALU_DEP_1)
	v_lshlrev_b32_e32 v31, 3, v30
	s_mov_b32 s16, -1
	ds_load_2addr_b64 v[14:17], v31 offset1:1
	ds_load_2addr_b64 v[10:13], v31 offset0:2 offset1:3
	ds_load_b64 v[20:21], v31 offset:32
	s_wait_dscnt 0x0
	s_barrier_signal -1
	s_barrier_wait -1
	s_cbranch_vccz .LBB1475_20
; %bb.19:
	s_clause 0x4
	global_load_b64 v[2:3], v0, s[0:1] scale_offset
	global_load_b64 v[4:5], v0, s[0:1] offset:1024 scale_offset
	global_load_b64 v[6:7], v0, s[0:1] offset:2048 scale_offset
	;; [unrolled: 1-line block ×4, first 2 shown]
	v_lshlrev_b32_e32 v22, 3, v0
	s_mov_b32 s16, 0
	s_wait_loadcnt 0x3
	ds_store_2addr_stride64_b64 v22, v[2:3], v[4:5] offset1:2
	s_wait_loadcnt 0x1
	ds_store_2addr_stride64_b64 v22, v[6:7], v[8:9] offset0:4 offset1:6
	s_wait_loadcnt 0x0
	ds_store_b64 v22, v[18:19] offset:4096
	s_wait_dscnt 0x0
	s_barrier_signal -1
	s_barrier_wait -1
.LBB1475_20:
	s_and_not1_b32 vcc_lo, exec_lo, s16
	s_cbranch_vccnz .LBB1475_32
; %bb.21:
	s_mov_b32 s16, exec_lo
                                        ; implicit-def: $vgpr2_vgpr3
	v_cmpx_gt_u32_e64 s31, v0
	s_cbranch_execz .LBB1475_23
; %bb.22:
	global_load_b64 v[2:3], v0, s[0:1] scale_offset
.LBB1475_23:
	s_wait_xcnt 0x0
	s_or_b32 exec_lo, exec_lo, s16
	v_or_b32_e32 v4, 0x80, v0
	s_delay_alu instid0(VALU_DEP_1)
	v_cmp_gt_u32_e32 vcc_lo, s31, v4
                                        ; implicit-def: $vgpr4_vgpr5
	s_and_saveexec_b32 s16, vcc_lo
	s_cbranch_execz .LBB1475_25
; %bb.24:
	global_load_b64 v[4:5], v0, s[0:1] offset:1024 scale_offset
.LBB1475_25:
	s_wait_xcnt 0x0
	s_or_b32 exec_lo, exec_lo, s16
	v_or_b32_e32 v6, 0x100, v0
	s_delay_alu instid0(VALU_DEP_1)
	v_cmp_gt_u32_e32 vcc_lo, s31, v6
                                        ; implicit-def: $vgpr6_vgpr7
	s_and_saveexec_b32 s16, vcc_lo
	s_cbranch_execz .LBB1475_27
; %bb.26:
	global_load_b64 v[6:7], v0, s[0:1] offset:2048 scale_offset
.LBB1475_27:
	s_wait_xcnt 0x0
	s_or_b32 exec_lo, exec_lo, s16
	v_or_b32_e32 v8, 0x180, v0
	s_delay_alu instid0(VALU_DEP_1)
	v_cmp_gt_u32_e32 vcc_lo, s31, v8
                                        ; implicit-def: $vgpr8_vgpr9
	s_and_saveexec_b32 s16, vcc_lo
	s_cbranch_execz .LBB1475_29
; %bb.28:
	global_load_b64 v[8:9], v0, s[0:1] offset:3072 scale_offset
.LBB1475_29:
	s_wait_xcnt 0x0
	s_or_b32 exec_lo, exec_lo, s16
	v_or_b32_e32 v18, 0x200, v0
	s_delay_alu instid0(VALU_DEP_1)
	v_cmp_gt_u32_e32 vcc_lo, s31, v18
                                        ; implicit-def: $vgpr18_vgpr19
	s_and_saveexec_b32 s16, vcc_lo
	s_cbranch_execz .LBB1475_31
; %bb.30:
	global_load_b64 v[18:19], v0, s[0:1] offset:4096 scale_offset
.LBB1475_31:
	s_wait_xcnt 0x0
	s_or_b32 exec_lo, exec_lo, s16
	v_lshlrev_b32_e32 v22, 5, v0
	s_delay_alu instid0(VALU_DEP_1)
	v_sub_nc_u32_e32 v22, v31, v22
	s_wait_loadcnt 0x0
	ds_store_2addr_stride64_b64 v22, v[2:3], v[4:5] offset1:2
	ds_store_2addr_stride64_b64 v22, v[6:7], v[8:9] offset0:4 offset1:6
	ds_store_b64 v22, v[18:19] offset:4096
	s_wait_dscnt 0x0
	s_barrier_signal -1
	s_barrier_wait -1
.LBB1475_32:
	ds_load_b64 v[18:19], v31 offset:32
	ds_load_2addr_b64 v[2:5], v31 offset0:2 offset1:3
	ds_load_2addr_b64 v[6:9], v31 offset1:1
	s_cmp_lg_u32 s30, 0
	s_wait_dscnt 0x0
	s_cselect_b32 s16, -1, 0
	s_cmp_lg_u64 s[6:7], 0
	v_cmp_gt_i64_e64 s7, s[18:19], 0
	s_cselect_b32 s0, -1, 0
	s_mov_b32 s6, 0
	s_or_b32 s0, s0, s16
	s_barrier_signal -1
	s_and_b32 vcc_lo, exec_lo, s0
	s_barrier_wait -1
	s_cbranch_vccz .LBB1475_44
; %bb.33:
	v_dual_mov_b32 v26, 0 :: v_dual_lshlrev_b32 v33, 3, v0
	v_cndmask_b32_e64 v32, 0, 1, s7
	s_and_b32 vcc_lo, exec_lo, s29
	global_load_b64 v[22:23], v26, s[4:5] offset:-8
	ds_store_b64 v33, v[20:21]
	v_cmp_ne_u32_e64 s0, 1, v32
	s_cbranch_vccz .LBB1475_46
; %bb.34:
	s_and_b32 vcc_lo, exec_lo, s0
	s_cbranch_vccnz .LBB1475_47
; %bb.35:
	v_mul_u64_e32 v[24:25], s[18:19], v[12:13]
	s_wait_xcnt 0x0
	v_mul_u64_e32 v[26:27], s[18:19], v[20:21]
	s_add_nc_u64 s[4:5], s[18:19], -1
	s_mov_b32 s17, 0
	s_mov_b64 s[0:1], s[4:5]
                                        ; implicit-def: $sgpr6
	s_delay_alu instid0(VALU_DEP_2) | instskip(NEXT) | instid1(VALU_DEP_2)
	v_lshl_add_u64 v[24:25], v[24:25], 1, s[8:9]
	v_lshl_add_u64 v[26:27], v[26:27], 1, s[8:9]
	s_delay_alu instid0(VALU_DEP_2)
	v_mov_b64_e32 v[28:29], v[24:25]
.LBB1475_36:                            ; =>This Inner Loop Header: Depth=1
	global_load_u16 v34, v[28:29], off
	global_load_u16 v35, v[26:27], off
	s_cmp_eq_u64 s[0:1], 0
	s_add_nc_u64 s[24:25], s[0:1], -1
	s_cselect_b32 s1, -1, 0
	s_wait_xcnt 0x1
	v_add_nc_u64_e32 v[28:29], 2, v[28:29]
	s_wait_xcnt 0x0
	v_add_nc_u64_e32 v[26:27], 2, v[26:27]
	s_wait_loadcnt 0x0
	v_cmp_ne_u16_e32 vcc_lo, v34, v35
	v_cmp_eq_u16_e64 s0, v34, v35
	s_or_b32 s1, vcc_lo, s1
	s_delay_alu instid0(SALU_CYCLE_1) | instskip(NEXT) | instid1(SALU_CYCLE_1)
	s_and_b32 s1, exec_lo, s1
	s_or_b32 s17, s1, s17
	s_and_not1_b32 s6, s6, exec_lo
	s_and_b32 s26, s0, exec_lo
	s_mov_b64 s[0:1], s[24:25]
	s_or_b32 s6, s6, s26
	s_and_not1_b32 exec_lo, exec_lo, s17
	s_cbranch_execnz .LBB1475_36
; %bb.37:
	s_or_b32 exec_lo, exec_lo, s17
	v_mul_u64_e32 v[26:27], s[18:19], v[10:11]
	s_mov_b32 s24, 0
	s_mov_b64 s[0:1], s[4:5]
                                        ; implicit-def: $sgpr17
	s_delay_alu instid0(VALU_DEP_1) | instskip(NEXT) | instid1(VALU_DEP_1)
	v_lshl_add_u64 v[26:27], v[26:27], 1, s[8:9]
	v_mov_b64_e32 v[28:29], v[26:27]
.LBB1475_38:                            ; =>This Inner Loop Header: Depth=1
	global_load_u16 v34, v[28:29], off
	global_load_u16 v35, v[24:25], off
	s_cmp_eq_u64 s[0:1], 0
	s_add_nc_u64 s[26:27], s[0:1], -1
	s_cselect_b32 s1, -1, 0
	s_wait_xcnt 0x1
	v_add_nc_u64_e32 v[28:29], 2, v[28:29]
	s_wait_xcnt 0x0
	v_add_nc_u64_e32 v[24:25], 2, v[24:25]
	s_wait_loadcnt 0x0
	v_cmp_ne_u16_e32 vcc_lo, v34, v35
	v_cmp_eq_u16_e64 s0, v34, v35
	s_or_b32 s1, vcc_lo, s1
	s_delay_alu instid0(SALU_CYCLE_1) | instskip(NEXT) | instid1(SALU_CYCLE_1)
	s_and_b32 s1, exec_lo, s1
	s_or_b32 s24, s1, s24
	s_and_not1_b32 s17, s17, exec_lo
	s_and_b32 s25, s0, exec_lo
	s_mov_b64 s[0:1], s[26:27]
	s_or_b32 s17, s17, s25
	s_and_not1_b32 exec_lo, exec_lo, s24
	s_cbranch_execnz .LBB1475_38
; %bb.39:
	s_or_b32 exec_lo, exec_lo, s24
	v_mul_u64_e32 v[24:25], s[18:19], v[16:17]
	s_mov_b32 s25, 0
	s_mov_b64 s[0:1], s[4:5]
                                        ; implicit-def: $sgpr24
	s_delay_alu instid0(VALU_DEP_1) | instskip(NEXT) | instid1(VALU_DEP_1)
	v_lshl_add_u64 v[24:25], v[24:25], 1, s[8:9]
	v_mov_b64_e32 v[28:29], v[24:25]
.LBB1475_40:                            ; =>This Inner Loop Header: Depth=1
	global_load_u16 v34, v[28:29], off
	global_load_u16 v35, v[26:27], off
	s_cmp_eq_u64 s[0:1], 0
	s_add_nc_u64 s[26:27], s[0:1], -1
	s_cselect_b32 s1, -1, 0
	s_wait_xcnt 0x1
	v_add_nc_u64_e32 v[28:29], 2, v[28:29]
	s_wait_xcnt 0x0
	v_add_nc_u64_e32 v[26:27], 2, v[26:27]
	s_wait_loadcnt 0x0
	v_cmp_ne_u16_e32 vcc_lo, v34, v35
	v_cmp_eq_u16_e64 s0, v34, v35
	s_or_b32 s1, vcc_lo, s1
	s_delay_alu instid0(SALU_CYCLE_1) | instskip(NEXT) | instid1(SALU_CYCLE_1)
	s_and_b32 s1, exec_lo, s1
	s_or_b32 s25, s1, s25
	s_and_not1_b32 s24, s24, exec_lo
	s_and_b32 s34, s0, exec_lo
	s_mov_b64 s[0:1], s[26:27]
	s_or_b32 s24, s24, s34
	s_and_not1_b32 exec_lo, exec_lo, s25
	s_cbranch_execnz .LBB1475_40
; %bb.41:
	s_or_b32 exec_lo, exec_lo, s25
	v_mul_u64_e32 v[26:27], s[18:19], v[14:15]
	s_mov_b32 s25, 0
                                        ; implicit-def: $sgpr1
	s_delay_alu instid0(VALU_DEP_1)
	v_lshl_add_u64 v[26:27], v[26:27], 1, s[8:9]
.LBB1475_42:                            ; =>This Inner Loop Header: Depth=1
	global_load_u16 v28, v[26:27], off
	global_load_u16 v29, v[24:25], off
	s_cmp_eq_u64 s[4:5], 0
	s_add_nc_u64 s[26:27], s[4:5], -1
	s_cselect_b32 s4, -1, 0
	s_wait_xcnt 0x1
	v_add_nc_u64_e32 v[26:27], 2, v[26:27]
	s_wait_xcnt 0x0
	v_add_nc_u64_e32 v[24:25], 2, v[24:25]
	s_wait_loadcnt 0x0
	v_cmp_ne_u16_e32 vcc_lo, v28, v29
	v_cmp_eq_u16_e64 s0, v28, v29
	s_or_b32 s4, vcc_lo, s4
	s_delay_alu instid0(SALU_CYCLE_1) | instskip(NEXT) | instid1(SALU_CYCLE_1)
	s_and_b32 s4, exec_lo, s4
	s_or_b32 s25, s4, s25
	s_and_not1_b32 s1, s1, exec_lo
	s_and_b32 s0, s0, exec_lo
	s_mov_b64 s[4:5], s[26:27]
	s_or_b32 s1, s1, s0
	s_and_not1_b32 exec_lo, exec_lo, s25
	s_cbranch_execnz .LBB1475_42
; %bb.43:
	s_or_b32 exec_lo, exec_lo, s25
	s_xor_b32 s0, s17, -1
	s_delay_alu instid0(SALU_CYCLE_1) | instskip(SKIP_1) | instid1(SALU_CYCLE_1)
	v_cndmask_b32_e64 v24, 0, 1, s0
	s_xor_b32 s0, s24, -1
	v_cndmask_b32_e64 v25, 0, 1, s0
	s_xor_b32 s0, s6, -1
	s_delay_alu instid0(VALU_DEP_2) | instskip(SKIP_2) | instid1(VALU_DEP_2)
	v_lshlrev_b16 v24, 8, v24
	v_cndmask_b32_e64 v34, 0, 1, s0
	s_xor_b32 s0, s1, -1
	v_lshrrev_b32_e32 v24, 8, v24
	s_delay_alu instid0(VALU_DEP_1) | instskip(NEXT) | instid1(VALU_DEP_1)
	v_lshlrev_b16 v24, 8, v24
	v_or_b32_e32 v24, v25, v24
	s_delay_alu instid0(VALU_DEP_1)
	v_lshlrev_b32_e32 v26, 16, v24
	s_branch .LBB1475_48
.LBB1475_44:
                                        ; implicit-def: $sgpr0
                                        ; implicit-def: $vgpr34
                                        ; implicit-def: $vgpr25
	s_branch .LBB1475_89
.LBB1475_45:
                                        ; implicit-def: $vgpr24
                                        ; implicit-def: $vgpr23
                                        ; implicit-def: $vgpr35
                                        ; implicit-def: $vgpr22
	s_branch .LBB1475_142
.LBB1475_46:
	s_wait_xcnt 0x0
                                        ; implicit-def: $sgpr0
                                        ; implicit-def: $vgpr34
                                        ; implicit-def: $vgpr25
	s_cbranch_execnz .LBB1475_55
	s_branch .LBB1475_88
.LBB1475_47:
	v_mov_b32_e32 v34, 0
	s_mov_b32 s0, 0
.LBB1475_48:
	s_wait_loadcnt 0x0
	v_mov_b64_e32 v[24:25], v[22:23]
	s_wait_dscnt 0x0
	s_barrier_signal -1
	s_barrier_wait -1
	s_and_saveexec_b32 s1, s3
; %bb.49:
	v_add_nc_u32_e32 v24, -8, v33
	ds_load_b64 v[24:25], v24
; %bb.50:
	s_or_b32 exec_lo, exec_lo, s1
	v_cndmask_b32_e64 v27, 0, 1, s0
	v_lshrrev_b32_e32 v28, 16, v26
	s_mov_b32 s4, 0
	s_and_not1_b32 vcc_lo, exec_lo, s7
	s_mov_b32 s0, 0
	v_lshlrev_b16 v27, 8, v27
	v_perm_b32 v28, v28, v26, 0xc0c0304
	s_delay_alu instid0(VALU_DEP_2) | instskip(NEXT) | instid1(VALU_DEP_1)
	v_bitop3_b16 v27, v26, v27, 0xff bitop3:0xec
	v_and_b32_e32 v29, 0xffff, v27
	s_cbranch_vccnz .LBB1475_54
; %bb.51:
	s_wait_dscnt 0x0
	v_mul_u64_e32 v[24:25], s[18:19], v[24:25]
	v_mul_u64_e32 v[26:27], s[18:19], v[14:15]
	s_add_nc_u64 s[0:1], s[18:19], -1
	s_mov_b32 s5, 0
                                        ; implicit-def: $sgpr6
	s_delay_alu instid0(VALU_DEP_2) | instskip(NEXT) | instid1(VALU_DEP_2)
	v_lshl_add_u64 v[24:25], v[24:25], 1, s[8:9]
	v_lshl_add_u64 v[26:27], v[26:27], 1, s[8:9]
.LBB1475_52:                            ; =>This Inner Loop Header: Depth=1
	global_load_u16 v35, v[24:25], off
	global_load_u16 v36, v[26:27], off
	s_cmp_eq_u64 s[0:1], 0
	s_add_nc_u64 s[24:25], s[0:1], -1
	s_cselect_b32 s1, -1, 0
	s_wait_xcnt 0x1
	v_add_nc_u64_e32 v[24:25], 2, v[24:25]
	s_wait_xcnt 0x0
	v_add_nc_u64_e32 v[26:27], 2, v[26:27]
	s_wait_loadcnt 0x0
	v_cmp_ne_u16_e32 vcc_lo, v35, v36
	v_cmp_eq_u16_e64 s0, v35, v36
	s_or_b32 s1, vcc_lo, s1
	s_delay_alu instid0(SALU_CYCLE_1) | instskip(NEXT) | instid1(SALU_CYCLE_1)
	s_and_b32 s1, exec_lo, s1
	s_or_b32 s5, s1, s5
	s_and_not1_b32 s6, s6, exec_lo
	s_and_b32 s17, s0, exec_lo
	s_mov_b64 s[0:1], s[24:25]
	s_or_b32 s6, s6, s17
	s_and_not1_b32 exec_lo, exec_lo, s5
	s_cbranch_execnz .LBB1475_52
; %bb.53:
	s_or_b32 exec_lo, exec_lo, s5
	s_xor_b32 s0, s6, -1
.LBB1475_54:
	s_wait_dscnt 0x0
	s_delay_alu instid0(VALU_DEP_1)
	v_lshl_or_b32 v25, v28, 16, v29
	s_and_b32 vcc_lo, exec_lo, s4
	s_cbranch_vccz .LBB1475_88
.LBB1475_55:
	v_add_nc_u32_e32 v24, 4, v30
	s_mov_b32 s5, 0
	s_mov_b32 s4, 0
	s_mov_b32 s6, exec_lo
	s_delay_alu instid0(VALU_DEP_1)
	v_cmpx_gt_u32_e64 s31, v24
	s_cbranch_execz .LBB1475_61
; %bb.56:
	s_and_not1_b32 vcc_lo, exec_lo, s7
	s_mov_b32 s0, 0
	s_cbranch_vccnz .LBB1475_60
; %bb.57:
	v_mul_u64_e32 v[24:25], s[18:19], v[12:13]
	v_mul_u64_e32 v[26:27], s[18:19], v[20:21]
	s_add_nc_u64 s[0:1], s[18:19], -1
                                        ; implicit-def: $sgpr7
	s_delay_alu instid0(VALU_DEP_2) | instskip(NEXT) | instid1(VALU_DEP_2)
	v_lshl_add_u64 v[24:25], v[24:25], 1, s[8:9]
	v_lshl_add_u64 v[26:27], v[26:27], 1, s[8:9]
.LBB1475_58:                            ; =>This Inner Loop Header: Depth=1
	global_load_u16 v28, v[24:25], off
	global_load_u16 v29, v[26:27], off
	s_cmp_eq_u64 s[0:1], 0
	s_add_nc_u64 s[24:25], s[0:1], -1
	s_cselect_b32 s1, -1, 0
	s_wait_xcnt 0x1
	v_add_nc_u64_e32 v[24:25], 2, v[24:25]
	s_wait_xcnt 0x0
	v_add_nc_u64_e32 v[26:27], 2, v[26:27]
	s_wait_loadcnt 0x0
	v_cmp_ne_u16_e32 vcc_lo, v28, v29
	v_cmp_eq_u16_e64 s0, v28, v29
	s_or_b32 s1, vcc_lo, s1
	s_delay_alu instid0(SALU_CYCLE_1) | instskip(NEXT) | instid1(SALU_CYCLE_1)
	s_and_b32 s1, exec_lo, s1
	s_or_b32 s4, s1, s4
	s_and_not1_b32 s7, s7, exec_lo
	s_and_b32 s17, s0, exec_lo
	s_mov_b64 s[0:1], s[24:25]
	s_or_b32 s7, s7, s17
	s_and_not1_b32 exec_lo, exec_lo, s4
	s_cbranch_execnz .LBB1475_58
; %bb.59:
	s_or_b32 exec_lo, exec_lo, s4
	s_xor_b32 s0, s7, -1
.LBB1475_60:
	s_delay_alu instid0(SALU_CYCLE_1)
	s_and_b32 s4, s0, exec_lo
.LBB1475_61:
	s_or_b32 exec_lo, exec_lo, s6
	v_add_nc_u32_e32 v24, 3, v30
	s_mov_b32 s6, exec_lo
	s_delay_alu instid0(VALU_DEP_1)
	v_cmpx_gt_u32_e64 s31, v24
	s_cbranch_execz .LBB1475_67
; %bb.62:
	v_cmp_ne_u32_e32 vcc_lo, 1, v32
	s_mov_b32 s0, 0
	s_cbranch_vccnz .LBB1475_66
; %bb.63:
	v_mul_u64_e32 v[24:25], s[18:19], v[10:11]
	v_mul_u64_e32 v[26:27], s[18:19], v[12:13]
	s_add_nc_u64 s[0:1], s[18:19], -1
	s_mov_b32 s5, 0
                                        ; implicit-def: $sgpr7
	s_delay_alu instid0(VALU_DEP_2) | instskip(NEXT) | instid1(VALU_DEP_2)
	v_lshl_add_u64 v[24:25], v[24:25], 1, s[8:9]
	v_lshl_add_u64 v[26:27], v[26:27], 1, s[8:9]
.LBB1475_64:                            ; =>This Inner Loop Header: Depth=1
	global_load_u16 v28, v[24:25], off
	global_load_u16 v29, v[26:27], off
	s_cmp_eq_u64 s[0:1], 0
	s_add_nc_u64 s[24:25], s[0:1], -1
	s_cselect_b32 s1, -1, 0
	s_wait_xcnt 0x1
	v_add_nc_u64_e32 v[24:25], 2, v[24:25]
	s_wait_xcnt 0x0
	v_add_nc_u64_e32 v[26:27], 2, v[26:27]
	s_wait_loadcnt 0x0
	v_cmp_ne_u16_e32 vcc_lo, v28, v29
	v_cmp_eq_u16_e64 s0, v28, v29
	s_or_b32 s1, vcc_lo, s1
	s_delay_alu instid0(SALU_CYCLE_1) | instskip(NEXT) | instid1(SALU_CYCLE_1)
	s_and_b32 s1, exec_lo, s1
	s_or_b32 s5, s1, s5
	s_and_not1_b32 s7, s7, exec_lo
	s_and_b32 s17, s0, exec_lo
	s_mov_b64 s[0:1], s[24:25]
	s_or_b32 s7, s7, s17
	s_and_not1_b32 exec_lo, exec_lo, s5
	s_cbranch_execnz .LBB1475_64
; %bb.65:
	s_or_b32 exec_lo, exec_lo, s5
	s_xor_b32 s0, s7, -1
.LBB1475_66:
	s_delay_alu instid0(SALU_CYCLE_1)
	s_and_b32 s5, s0, exec_lo
.LBB1475_67:
	s_or_b32 exec_lo, exec_lo, s6
	v_add_nc_u32_e32 v24, 2, v30
	s_mov_b32 s6, 0
	s_mov_b32 s7, 0
	s_mov_b32 s17, exec_lo
	s_delay_alu instid0(VALU_DEP_1)
	v_cmpx_gt_u32_e64 s31, v24
	s_cbranch_execz .LBB1475_73
; %bb.68:
	v_cmp_ne_u32_e32 vcc_lo, 1, v32
	s_mov_b32 s0, 0
	s_cbranch_vccnz .LBB1475_72
; %bb.69:
	v_mul_u64_e32 v[24:25], s[18:19], v[16:17]
	v_mul_u64_e32 v[26:27], s[18:19], v[10:11]
	s_add_nc_u64 s[0:1], s[18:19], -1
                                        ; implicit-def: $sgpr24
	s_delay_alu instid0(VALU_DEP_2) | instskip(NEXT) | instid1(VALU_DEP_2)
	v_lshl_add_u64 v[24:25], v[24:25], 1, s[8:9]
	v_lshl_add_u64 v[26:27], v[26:27], 1, s[8:9]
.LBB1475_70:                            ; =>This Inner Loop Header: Depth=1
	global_load_u16 v28, v[24:25], off
	global_load_u16 v29, v[26:27], off
	s_cmp_eq_u64 s[0:1], 0
	s_add_nc_u64 s[26:27], s[0:1], -1
	s_cselect_b32 s1, -1, 0
	s_wait_xcnt 0x1
	v_add_nc_u64_e32 v[24:25], 2, v[24:25]
	s_wait_xcnt 0x0
	v_add_nc_u64_e32 v[26:27], 2, v[26:27]
	s_wait_loadcnt 0x0
	v_cmp_ne_u16_e32 vcc_lo, v28, v29
	v_cmp_eq_u16_e64 s0, v28, v29
	s_or_b32 s1, vcc_lo, s1
	s_delay_alu instid0(SALU_CYCLE_1) | instskip(NEXT) | instid1(SALU_CYCLE_1)
	s_and_b32 s1, exec_lo, s1
	s_or_b32 s7, s1, s7
	s_and_not1_b32 s24, s24, exec_lo
	s_and_b32 s25, s0, exec_lo
	s_mov_b64 s[0:1], s[26:27]
	s_or_b32 s24, s24, s25
	s_and_not1_b32 exec_lo, exec_lo, s7
	s_cbranch_execnz .LBB1475_70
; %bb.71:
	s_or_b32 exec_lo, exec_lo, s7
	s_xor_b32 s0, s24, -1
.LBB1475_72:
	s_delay_alu instid0(SALU_CYCLE_1)
	s_and_b32 s7, s0, exec_lo
.LBB1475_73:
	s_or_b32 exec_lo, exec_lo, s17
	v_add_nc_u32_e32 v24, 1, v30
	s_mov_b32 s17, exec_lo
	s_delay_alu instid0(VALU_DEP_1)
	v_cmpx_gt_u32_e64 s31, v24
	s_cbranch_execz .LBB1475_79
; %bb.74:
	v_cmp_ne_u32_e32 vcc_lo, 1, v32
	s_mov_b32 s0, 0
	s_cbranch_vccnz .LBB1475_78
; %bb.75:
	v_mul_u64_e32 v[24:25], s[18:19], v[14:15]
	v_mul_u64_e32 v[26:27], s[18:19], v[16:17]
	s_add_nc_u64 s[0:1], s[18:19], -1
	s_mov_b32 s6, 0
                                        ; implicit-def: $sgpr24
	s_delay_alu instid0(VALU_DEP_2) | instskip(NEXT) | instid1(VALU_DEP_2)
	v_lshl_add_u64 v[24:25], v[24:25], 1, s[8:9]
	v_lshl_add_u64 v[26:27], v[26:27], 1, s[8:9]
.LBB1475_76:                            ; =>This Inner Loop Header: Depth=1
	global_load_u16 v28, v[24:25], off
	global_load_u16 v29, v[26:27], off
	s_cmp_eq_u64 s[0:1], 0
	s_add_nc_u64 s[26:27], s[0:1], -1
	s_cselect_b32 s1, -1, 0
	s_wait_xcnt 0x1
	v_add_nc_u64_e32 v[24:25], 2, v[24:25]
	s_wait_xcnt 0x0
	v_add_nc_u64_e32 v[26:27], 2, v[26:27]
	s_wait_loadcnt 0x0
	v_cmp_ne_u16_e32 vcc_lo, v28, v29
	v_cmp_eq_u16_e64 s0, v28, v29
	s_or_b32 s1, vcc_lo, s1
	s_delay_alu instid0(SALU_CYCLE_1) | instskip(NEXT) | instid1(SALU_CYCLE_1)
	s_and_b32 s1, exec_lo, s1
	s_or_b32 s6, s1, s6
	s_and_not1_b32 s24, s24, exec_lo
	s_and_b32 s25, s0, exec_lo
	s_mov_b64 s[0:1], s[26:27]
	s_or_b32 s24, s24, s25
	s_and_not1_b32 exec_lo, exec_lo, s6
	s_cbranch_execnz .LBB1475_76
; %bb.77:
	s_or_b32 exec_lo, exec_lo, s6
	s_xor_b32 s0, s24, -1
.LBB1475_78:
	s_delay_alu instid0(SALU_CYCLE_1)
	s_and_b32 s6, s0, exec_lo
.LBB1475_79:
	s_or_b32 exec_lo, exec_lo, s17
	s_wait_loadcnt_dscnt 0x0
	s_barrier_signal -1
	s_barrier_wait -1
	s_and_saveexec_b32 s0, s3
; %bb.80:
	v_add_nc_u32_e32 v22, -8, v33
	ds_load_b64 v[22:23], v22
; %bb.81:
	s_or_b32 exec_lo, exec_lo, s0
	v_cndmask_b32_e64 v24, 0, 1, s5
	v_cndmask_b32_e64 v25, 0, 1, s7
	;; [unrolled: 1-line block ×3, first 2 shown]
	s_mov_b32 s0, 0
	s_mov_b32 s5, exec_lo
	v_lshlrev_b16 v24, 8, v24
	s_delay_alu instid0(VALU_DEP_2) | instskip(NEXT) | instid1(VALU_DEP_2)
	v_lshlrev_b16 v26, 8, v26
	v_or_b32_e32 v24, v25, v24
	s_delay_alu instid0(VALU_DEP_2) | instskip(NEXT) | instid1(VALU_DEP_2)
	v_and_b32_e32 v26, 0xffff, v26
	v_lshlrev_b32_e32 v27, 16, v24
	v_cmpx_gt_u32_e64 s31, v30
	s_cbranch_execz .LBB1475_87
; %bb.82:
	v_cmp_ne_u32_e32 vcc_lo, 1, v32
	s_cbranch_vccnz .LBB1475_86
; %bb.83:
	s_wait_dscnt 0x0
	v_mul_u64_e32 v[22:23], s[18:19], v[22:23]
	v_mul_u64_e32 v[24:25], s[18:19], v[14:15]
	s_add_nc_u64 s[0:1], s[18:19], -1
	s_mov_b32 s6, 0
                                        ; implicit-def: $sgpr7
	s_delay_alu instid0(VALU_DEP_2) | instskip(NEXT) | instid1(VALU_DEP_2)
	v_lshl_add_u64 v[22:23], v[22:23], 1, s[8:9]
	v_lshl_add_u64 v[24:25], v[24:25], 1, s[8:9]
.LBB1475_84:                            ; =>This Inner Loop Header: Depth=1
	global_load_u16 v28, v[22:23], off
	global_load_u16 v29, v[24:25], off
	s_cmp_eq_u64 s[0:1], 0
	s_add_nc_u64 s[24:25], s[0:1], -1
	s_cselect_b32 s1, -1, 0
	s_wait_xcnt 0x1
	v_add_nc_u64_e32 v[22:23], 2, v[22:23]
	s_wait_xcnt 0x0
	v_add_nc_u64_e32 v[24:25], 2, v[24:25]
	s_wait_loadcnt 0x0
	v_cmp_ne_u16_e32 vcc_lo, v28, v29
	v_cmp_eq_u16_e64 s0, v28, v29
	s_or_b32 s1, vcc_lo, s1
	s_delay_alu instid0(SALU_CYCLE_1) | instskip(NEXT) | instid1(SALU_CYCLE_1)
	s_and_b32 s1, exec_lo, s1
	s_or_b32 s6, s1, s6
	s_and_not1_b32 s7, s7, exec_lo
	s_and_b32 s17, s0, exec_lo
	s_mov_b64 s[0:1], s[24:25]
	s_or_b32 s7, s7, s17
	s_and_not1_b32 exec_lo, exec_lo, s6
	s_cbranch_execnz .LBB1475_84
; %bb.85:
	s_or_b32 exec_lo, exec_lo, s6
	s_xor_b32 s0, s7, -1
.LBB1475_86:
	s_delay_alu instid0(SALU_CYCLE_1)
	s_and_b32 s0, s0, exec_lo
.LBB1475_87:
	s_or_b32 exec_lo, exec_lo, s5
	v_cndmask_b32_e64 v34, 0, 1, s4
	v_or_b32_e32 v25, v26, v27
.LBB1475_88:
	s_mov_b32 s6, -1
	s_cbranch_execnz .LBB1475_45
.LBB1475_89:
	s_wait_loadcnt_dscnt 0x0
	v_lshlrev_b32_e32 v22, 5, v0
	v_cmp_gt_i64_e64 s7, s[18:19], 0
	s_and_b32 vcc_lo, exec_lo, s29
	v_sub_nc_u32_e32 v31, v31, v22
	ds_store_b64 v31, v[20:21]
	s_cbranch_vccz .LBB1475_100
; %bb.90:
	s_and_not1_b32 vcc_lo, exec_lo, s7
	s_cbranch_vccnz .LBB1475_101
; %bb.91:
	v_mul_u64_e32 v[22:23], s[18:19], v[12:13]
	v_mul_u64_e32 v[24:25], s[18:19], v[20:21]
	s_add_nc_u64 s[4:5], s[18:19], -1
	s_mov_b32 s24, 0
	s_mov_b64 s[0:1], s[4:5]
                                        ; implicit-def: $sgpr17
	s_delay_alu instid0(VALU_DEP_2) | instskip(NEXT) | instid1(VALU_DEP_2)
	v_lshl_add_u64 v[22:23], v[22:23], 1, s[8:9]
	v_lshl_add_u64 v[24:25], v[24:25], 1, s[8:9]
	s_delay_alu instid0(VALU_DEP_2)
	v_mov_b64_e32 v[26:27], v[22:23]
.LBB1475_92:                            ; =>This Inner Loop Header: Depth=1
	global_load_u16 v28, v[26:27], off
	global_load_u16 v29, v[24:25], off
	s_cmp_eq_u64 s[0:1], 0
	s_add_nc_u64 s[26:27], s[0:1], -1
	s_cselect_b32 s1, -1, 0
	s_wait_xcnt 0x1
	v_add_nc_u64_e32 v[26:27], 2, v[26:27]
	s_wait_xcnt 0x0
	v_add_nc_u64_e32 v[24:25], 2, v[24:25]
	s_wait_loadcnt 0x0
	v_cmp_ne_u16_e32 vcc_lo, v28, v29
	v_cmp_eq_u16_e64 s0, v28, v29
	s_or_b32 s1, vcc_lo, s1
	s_delay_alu instid0(SALU_CYCLE_1) | instskip(NEXT) | instid1(SALU_CYCLE_1)
	s_and_b32 s1, exec_lo, s1
	s_or_b32 s24, s1, s24
	s_and_not1_b32 s17, s17, exec_lo
	s_and_b32 s25, s0, exec_lo
	s_mov_b64 s[0:1], s[26:27]
	s_or_b32 s17, s17, s25
	s_and_not1_b32 exec_lo, exec_lo, s24
	s_cbranch_execnz .LBB1475_92
; %bb.93:
	s_or_b32 exec_lo, exec_lo, s24
	v_mul_u64_e32 v[24:25], s[18:19], v[10:11]
	s_mov_b32 s25, 0
	s_mov_b64 s[0:1], s[4:5]
                                        ; implicit-def: $sgpr24
	s_delay_alu instid0(VALU_DEP_1) | instskip(NEXT) | instid1(VALU_DEP_1)
	v_lshl_add_u64 v[24:25], v[24:25], 1, s[8:9]
	v_mov_b64_e32 v[26:27], v[24:25]
.LBB1475_94:                            ; =>This Inner Loop Header: Depth=1
	global_load_u16 v28, v[26:27], off
	global_load_u16 v29, v[22:23], off
	s_cmp_eq_u64 s[0:1], 0
	s_add_nc_u64 s[26:27], s[0:1], -1
	s_cselect_b32 s1, -1, 0
	s_wait_xcnt 0x1
	v_add_nc_u64_e32 v[26:27], 2, v[26:27]
	s_wait_xcnt 0x0
	v_add_nc_u64_e32 v[22:23], 2, v[22:23]
	s_wait_loadcnt 0x0
	v_cmp_ne_u16_e32 vcc_lo, v28, v29
	v_cmp_eq_u16_e64 s0, v28, v29
	s_or_b32 s1, vcc_lo, s1
	s_delay_alu instid0(SALU_CYCLE_1) | instskip(NEXT) | instid1(SALU_CYCLE_1)
	s_and_b32 s1, exec_lo, s1
	s_or_b32 s25, s1, s25
	s_and_not1_b32 s24, s24, exec_lo
	s_and_b32 s34, s0, exec_lo
	s_mov_b64 s[0:1], s[26:27]
	s_or_b32 s24, s24, s34
	s_and_not1_b32 exec_lo, exec_lo, s25
	s_cbranch_execnz .LBB1475_94
; %bb.95:
	s_or_b32 exec_lo, exec_lo, s25
	v_mul_u64_e32 v[22:23], s[18:19], v[16:17]
	s_mov_b32 s26, 0
	s_mov_b64 s[0:1], s[4:5]
                                        ; implicit-def: $sgpr25
	s_delay_alu instid0(VALU_DEP_1) | instskip(NEXT) | instid1(VALU_DEP_1)
	v_lshl_add_u64 v[22:23], v[22:23], 1, s[8:9]
	v_mov_b64_e32 v[26:27], v[22:23]
.LBB1475_96:                            ; =>This Inner Loop Header: Depth=1
	global_load_u16 v28, v[26:27], off
	global_load_u16 v29, v[24:25], off
	s_cmp_eq_u64 s[0:1], 0
	s_add_nc_u64 s[34:35], s[0:1], -1
	s_cselect_b32 s1, -1, 0
	s_wait_xcnt 0x1
	v_add_nc_u64_e32 v[26:27], 2, v[26:27]
	s_wait_xcnt 0x0
	v_add_nc_u64_e32 v[24:25], 2, v[24:25]
	s_wait_loadcnt 0x0
	v_cmp_ne_u16_e32 vcc_lo, v28, v29
	v_cmp_eq_u16_e64 s0, v28, v29
	s_or_b32 s1, vcc_lo, s1
	s_delay_alu instid0(SALU_CYCLE_1) | instskip(NEXT) | instid1(SALU_CYCLE_1)
	s_and_b32 s1, exec_lo, s1
	s_or_b32 s26, s1, s26
	s_and_not1_b32 s25, s25, exec_lo
	s_and_b32 s27, s0, exec_lo
	s_mov_b64 s[0:1], s[34:35]
	s_or_b32 s25, s25, s27
	s_and_not1_b32 exec_lo, exec_lo, s26
	s_cbranch_execnz .LBB1475_96
; %bb.97:
	s_or_b32 exec_lo, exec_lo, s26
	v_mul_u64_e32 v[24:25], s[18:19], v[14:15]
	s_mov_b32 s26, 0
                                        ; implicit-def: $sgpr1
	s_delay_alu instid0(VALU_DEP_1)
	v_lshl_add_u64 v[24:25], v[24:25], 1, s[8:9]
.LBB1475_98:                            ; =>This Inner Loop Header: Depth=1
	global_load_u16 v26, v[24:25], off
	global_load_u16 v27, v[22:23], off
	s_cmp_eq_u64 s[4:5], 0
	s_add_nc_u64 s[34:35], s[4:5], -1
	s_cselect_b32 s4, -1, 0
	s_wait_xcnt 0x1
	v_add_nc_u64_e32 v[24:25], 2, v[24:25]
	s_wait_xcnt 0x0
	v_add_nc_u64_e32 v[22:23], 2, v[22:23]
	s_wait_loadcnt 0x0
	v_cmp_ne_u16_e32 vcc_lo, v26, v27
	v_cmp_eq_u16_e64 s0, v26, v27
	s_or_b32 s4, vcc_lo, s4
	s_delay_alu instid0(SALU_CYCLE_1) | instskip(NEXT) | instid1(SALU_CYCLE_1)
	s_and_b32 s4, exec_lo, s4
	s_or_b32 s26, s4, s26
	s_and_not1_b32 s1, s1, exec_lo
	s_and_b32 s0, s0, exec_lo
	s_mov_b64 s[4:5], s[34:35]
	s_or_b32 s1, s1, s0
	s_and_not1_b32 exec_lo, exec_lo, s26
	s_cbranch_execnz .LBB1475_98
; %bb.99:
	s_or_b32 exec_lo, exec_lo, s26
	s_xor_b32 s0, s24, -1
	s_delay_alu instid0(SALU_CYCLE_1) | instskip(SKIP_1) | instid1(SALU_CYCLE_1)
	v_cndmask_b32_e64 v22, 0, 1, s0
	s_xor_b32 s0, s25, -1
	v_cndmask_b32_e64 v23, 0, 1, s0
	s_xor_b32 s0, s17, -1
	s_delay_alu instid0(VALU_DEP_2) | instskip(SKIP_2) | instid1(VALU_DEP_2)
	v_lshlrev_b16 v22, 8, v22
	v_cndmask_b32_e64 v34, 0, 1, s0
	s_xor_b32 s0, s1, -1
	v_lshrrev_b32_e32 v22, 8, v22
	s_delay_alu instid0(VALU_DEP_1) | instskip(NEXT) | instid1(VALU_DEP_1)
	v_lshlrev_b16 v22, 8, v22
	v_or_b32_e32 v22, v23, v22
	s_delay_alu instid0(VALU_DEP_1)
	v_lshlrev_b32_e32 v22, 16, v22
	s_branch .LBB1475_102
.LBB1475_100:
                                        ; implicit-def: $sgpr0
                                        ; implicit-def: $vgpr34
                                        ; implicit-def: $vgpr25
                                        ; implicit-def: $vgpr24
                                        ; implicit-def: $vgpr23
                                        ; implicit-def: $vgpr35
                                        ; implicit-def: $vgpr22
	s_cbranch_execnz .LBB1475_109
	s_branch .LBB1475_142
.LBB1475_101:
	v_dual_mov_b32 v22, 0 :: v_dual_mov_b32 v34, 0
	s_mov_b32 s0, 0
.LBB1475_102:
	s_delay_alu instid0(VALU_DEP_1)
	v_dual_lshrrev_b32 v35, 16, v22 :: v_dual_lshrrev_b32 v22, 24, v22
	v_cndmask_b32_e64 v23, 0, 1, s0
	v_mov_b32_e32 v24, 1
	s_wait_dscnt 0x0
	s_barrier_signal -1
	s_barrier_wait -1
                                        ; implicit-def: $sgpr0
                                        ; implicit-def: $vgpr25
	s_and_saveexec_b32 s1, s3
	s_delay_alu instid0(SALU_CYCLE_1)
	s_xor_b32 s4, exec_lo, s1
	s_cbranch_execz .LBB1475_108
; %bb.103:
	v_lshlrev_b16 v25, 8, v22
	v_lshlrev_b16 v26, 8, v23
	s_and_not1_b32 vcc_lo, exec_lo, s7
	s_mov_b32 s0, 0
	s_delay_alu instid0(VALU_DEP_2) | instskip(NEXT) | instid1(VALU_DEP_1)
	v_bitop3_b16 v25, v35, v25, 0xff bitop3:0xec
	v_dual_lshlrev_b32 v25, 16, v25 :: v_dual_bitop2_b32 v26, 1, v26 bitop3:0x54
	s_delay_alu instid0(VALU_DEP_1) | instskip(NEXT) | instid1(VALU_DEP_1)
	v_and_b32_e32 v26, 0xffff, v26
	v_or_b32_e32 v25, v26, v25
	s_cbranch_vccnz .LBB1475_107
; %bb.104:
	v_add_nc_u32_e32 v26, -8, v31
	v_mul_u64_e32 v[28:29], s[18:19], v[14:15]
	s_add_nc_u64 s[0:1], s[18:19], -1
	s_mov_b32 s5, 0
                                        ; implicit-def: $sgpr17
	ds_load_b64 v[26:27], v26
	s_wait_dscnt 0x0
	v_mul_u64_e32 v[26:27], s[18:19], v[26:27]
	v_lshl_add_u64 v[28:29], v[28:29], 1, s[8:9]
	s_delay_alu instid0(VALU_DEP_2)
	v_lshl_add_u64 v[26:27], v[26:27], 1, s[8:9]
.LBB1475_105:                           ; =>This Inner Loop Header: Depth=1
	global_load_u16 v32, v[26:27], off
	global_load_u16 v33, v[28:29], off
	s_cmp_eq_u64 s[0:1], 0
	s_add_nc_u64 s[24:25], s[0:1], -1
	s_cselect_b32 s1, -1, 0
	s_wait_xcnt 0x1
	v_add_nc_u64_e32 v[26:27], 2, v[26:27]
	s_wait_xcnt 0x0
	v_add_nc_u64_e32 v[28:29], 2, v[28:29]
	s_wait_loadcnt 0x0
	v_cmp_ne_u16_e32 vcc_lo, v32, v33
	v_cmp_eq_u16_e64 s0, v32, v33
	s_or_b32 s1, vcc_lo, s1
	s_delay_alu instid0(SALU_CYCLE_1) | instskip(NEXT) | instid1(SALU_CYCLE_1)
	s_and_b32 s1, exec_lo, s1
	s_or_b32 s5, s1, s5
	s_and_not1_b32 s17, s17, exec_lo
	s_and_b32 s26, s0, exec_lo
	s_mov_b64 s[0:1], s[24:25]
	s_or_b32 s17, s17, s26
	s_and_not1_b32 exec_lo, exec_lo, s5
	s_cbranch_execnz .LBB1475_105
; %bb.106:
	s_or_b32 exec_lo, exec_lo, s5
	s_xor_b32 s0, s17, -1
.LBB1475_107:
	s_delay_alu instid0(VALU_DEP_1)
	v_perm_b32 v25, v25, v25, 0x3020104
	s_or_b32 s6, s6, exec_lo
.LBB1475_108:
	s_or_b32 exec_lo, exec_lo, s4
	s_branch .LBB1475_142
.LBB1475_109:
	v_add_nc_u32_e32 v22, 4, v30
	s_mov_b32 s4, 0
	s_mov_b32 s5, 0
	s_mov_b32 s17, exec_lo
	s_delay_alu instid0(VALU_DEP_1)
	v_cmpx_gt_u32_e64 s31, v22
	s_cbranch_execz .LBB1475_115
; %bb.110:
	s_and_not1_b32 vcc_lo, exec_lo, s7
	s_mov_b32 s0, 0
	s_cbranch_vccnz .LBB1475_114
; %bb.111:
	v_mul_u64_e32 v[22:23], s[18:19], v[12:13]
	v_mul_u64_e32 v[24:25], s[18:19], v[20:21]
	s_add_nc_u64 s[0:1], s[18:19], -1
                                        ; implicit-def: $sgpr24
	s_delay_alu instid0(VALU_DEP_2) | instskip(NEXT) | instid1(VALU_DEP_2)
	v_lshl_add_u64 v[22:23], v[22:23], 1, s[8:9]
	v_lshl_add_u64 v[24:25], v[24:25], 1, s[8:9]
.LBB1475_112:                           ; =>This Inner Loop Header: Depth=1
	global_load_u16 v26, v[22:23], off
	global_load_u16 v27, v[24:25], off
	s_cmp_eq_u64 s[0:1], 0
	s_add_nc_u64 s[26:27], s[0:1], -1
	s_cselect_b32 s1, -1, 0
	s_wait_xcnt 0x1
	v_add_nc_u64_e32 v[22:23], 2, v[22:23]
	s_wait_xcnt 0x0
	v_add_nc_u64_e32 v[24:25], 2, v[24:25]
	s_wait_loadcnt 0x0
	v_cmp_ne_u16_e32 vcc_lo, v26, v27
	v_cmp_eq_u16_e64 s0, v26, v27
	s_or_b32 s1, vcc_lo, s1
	s_delay_alu instid0(SALU_CYCLE_1) | instskip(NEXT) | instid1(SALU_CYCLE_1)
	s_and_b32 s1, exec_lo, s1
	s_or_b32 s5, s1, s5
	s_and_not1_b32 s24, s24, exec_lo
	s_and_b32 s25, s0, exec_lo
	s_mov_b64 s[0:1], s[26:27]
	s_or_b32 s24, s24, s25
	s_and_not1_b32 exec_lo, exec_lo, s5
	s_cbranch_execnz .LBB1475_112
; %bb.113:
	s_or_b32 exec_lo, exec_lo, s5
	s_xor_b32 s0, s24, -1
.LBB1475_114:
	s_delay_alu instid0(SALU_CYCLE_1)
	s_and_b32 s5, s0, exec_lo
.LBB1475_115:
	s_or_b32 exec_lo, exec_lo, s17
	v_add_nc_u32_e32 v22, 3, v30
	s_mov_b32 s17, exec_lo
	s_delay_alu instid0(VALU_DEP_1)
	v_cmpx_gt_u32_e64 s31, v22
	s_cbranch_execz .LBB1475_121
; %bb.116:
	s_and_not1_b32 vcc_lo, exec_lo, s7
	s_mov_b32 s0, 0
	s_cbranch_vccnz .LBB1475_120
; %bb.117:
	v_mul_u64_e32 v[22:23], s[18:19], v[10:11]
	v_mul_u64_e32 v[24:25], s[18:19], v[12:13]
	s_add_nc_u64 s[0:1], s[18:19], -1
	s_mov_b32 s4, 0
                                        ; implicit-def: $sgpr24
	s_delay_alu instid0(VALU_DEP_2) | instskip(NEXT) | instid1(VALU_DEP_2)
	v_lshl_add_u64 v[22:23], v[22:23], 1, s[8:9]
	v_lshl_add_u64 v[24:25], v[24:25], 1, s[8:9]
.LBB1475_118:                           ; =>This Inner Loop Header: Depth=1
	global_load_u16 v26, v[22:23], off
	global_load_u16 v27, v[24:25], off
	s_cmp_eq_u64 s[0:1], 0
	s_add_nc_u64 s[26:27], s[0:1], -1
	s_cselect_b32 s1, -1, 0
	s_wait_xcnt 0x1
	v_add_nc_u64_e32 v[22:23], 2, v[22:23]
	s_wait_xcnt 0x0
	v_add_nc_u64_e32 v[24:25], 2, v[24:25]
	s_wait_loadcnt 0x0
	v_cmp_ne_u16_e32 vcc_lo, v26, v27
	v_cmp_eq_u16_e64 s0, v26, v27
	s_or_b32 s1, vcc_lo, s1
	s_delay_alu instid0(SALU_CYCLE_1) | instskip(NEXT) | instid1(SALU_CYCLE_1)
	s_and_b32 s1, exec_lo, s1
	s_or_b32 s4, s1, s4
	s_and_not1_b32 s24, s24, exec_lo
	s_and_b32 s25, s0, exec_lo
	s_mov_b64 s[0:1], s[26:27]
	s_or_b32 s24, s24, s25
	s_and_not1_b32 exec_lo, exec_lo, s4
	s_cbranch_execnz .LBB1475_118
; %bb.119:
	s_or_b32 exec_lo, exec_lo, s4
	s_xor_b32 s0, s24, -1
.LBB1475_120:
	s_delay_alu instid0(SALU_CYCLE_1)
	s_and_b32 s4, s0, exec_lo
.LBB1475_121:
	s_or_b32 exec_lo, exec_lo, s17
	v_add_nc_u32_e32 v22, 2, v30
	s_mov_b32 s17, 0
	s_mov_b32 s24, 0
	s_mov_b32 s25, exec_lo
	s_delay_alu instid0(VALU_DEP_1)
	v_cmpx_gt_u32_e64 s31, v22
	s_cbranch_execz .LBB1475_127
; %bb.122:
	s_and_not1_b32 vcc_lo, exec_lo, s7
	s_mov_b32 s0, 0
	s_cbranch_vccnz .LBB1475_126
; %bb.123:
	v_mul_u64_e32 v[22:23], s[18:19], v[16:17]
	v_mul_u64_e32 v[24:25], s[18:19], v[10:11]
	s_add_nc_u64 s[0:1], s[18:19], -1
                                        ; implicit-def: $sgpr26
	s_delay_alu instid0(VALU_DEP_2) | instskip(NEXT) | instid1(VALU_DEP_2)
	v_lshl_add_u64 v[22:23], v[22:23], 1, s[8:9]
	v_lshl_add_u64 v[24:25], v[24:25], 1, s[8:9]
.LBB1475_124:                           ; =>This Inner Loop Header: Depth=1
	global_load_u16 v26, v[22:23], off
	global_load_u16 v27, v[24:25], off
	s_cmp_eq_u64 s[0:1], 0
	s_add_nc_u64 s[34:35], s[0:1], -1
	s_cselect_b32 s1, -1, 0
	s_wait_xcnt 0x1
	v_add_nc_u64_e32 v[22:23], 2, v[22:23]
	s_wait_xcnt 0x0
	v_add_nc_u64_e32 v[24:25], 2, v[24:25]
	s_wait_loadcnt 0x0
	v_cmp_ne_u16_e32 vcc_lo, v26, v27
	v_cmp_eq_u16_e64 s0, v26, v27
	s_or_b32 s1, vcc_lo, s1
	s_delay_alu instid0(SALU_CYCLE_1) | instskip(NEXT) | instid1(SALU_CYCLE_1)
	s_and_b32 s1, exec_lo, s1
	s_or_b32 s24, s1, s24
	s_and_not1_b32 s26, s26, exec_lo
	s_and_b32 s27, s0, exec_lo
	s_mov_b64 s[0:1], s[34:35]
	s_or_b32 s26, s26, s27
	s_and_not1_b32 exec_lo, exec_lo, s24
	s_cbranch_execnz .LBB1475_124
; %bb.125:
	s_or_b32 exec_lo, exec_lo, s24
	s_xor_b32 s0, s26, -1
.LBB1475_126:
	s_delay_alu instid0(SALU_CYCLE_1)
	s_and_b32 s24, s0, exec_lo
.LBB1475_127:
	s_or_b32 exec_lo, exec_lo, s25
	v_add_nc_u32_e32 v22, 1, v30
	s_mov_b32 s25, exec_lo
	s_delay_alu instid0(VALU_DEP_1)
	v_cmpx_gt_u32_e64 s31, v22
	s_cbranch_execz .LBB1475_133
; %bb.128:
	s_and_not1_b32 vcc_lo, exec_lo, s7
	s_mov_b32 s0, 0
	s_cbranch_vccnz .LBB1475_132
; %bb.129:
	v_mul_u64_e32 v[22:23], s[18:19], v[14:15]
	v_mul_u64_e32 v[24:25], s[18:19], v[16:17]
	s_add_nc_u64 s[0:1], s[18:19], -1
	s_mov_b32 s17, 0
                                        ; implicit-def: $sgpr26
	s_delay_alu instid0(VALU_DEP_2) | instskip(NEXT) | instid1(VALU_DEP_2)
	v_lshl_add_u64 v[22:23], v[22:23], 1, s[8:9]
	v_lshl_add_u64 v[24:25], v[24:25], 1, s[8:9]
.LBB1475_130:                           ; =>This Inner Loop Header: Depth=1
	global_load_u16 v26, v[22:23], off
	global_load_u16 v27, v[24:25], off
	s_cmp_eq_u64 s[0:1], 0
	s_add_nc_u64 s[34:35], s[0:1], -1
	s_cselect_b32 s1, -1, 0
	s_wait_xcnt 0x1
	v_add_nc_u64_e32 v[22:23], 2, v[22:23]
	s_wait_xcnt 0x0
	v_add_nc_u64_e32 v[24:25], 2, v[24:25]
	s_wait_loadcnt 0x0
	v_cmp_ne_u16_e32 vcc_lo, v26, v27
	v_cmp_eq_u16_e64 s0, v26, v27
	s_or_b32 s1, vcc_lo, s1
	s_delay_alu instid0(SALU_CYCLE_1) | instskip(NEXT) | instid1(SALU_CYCLE_1)
	s_and_b32 s1, exec_lo, s1
	s_or_b32 s17, s1, s17
	s_and_not1_b32 s26, s26, exec_lo
	s_and_b32 s27, s0, exec_lo
	s_mov_b64 s[0:1], s[34:35]
	s_or_b32 s26, s26, s27
	s_and_not1_b32 exec_lo, exec_lo, s17
	s_cbranch_execnz .LBB1475_130
; %bb.131:
	s_or_b32 exec_lo, exec_lo, s17
	s_xor_b32 s0, s26, -1
.LBB1475_132:
	s_delay_alu instid0(SALU_CYCLE_1)
	s_and_b32 s17, s0, exec_lo
.LBB1475_133:
	s_or_b32 exec_lo, exec_lo, s25
	v_cndmask_b32_e64 v34, 0, 1, s5
	v_cndmask_b32_e64 v35, 0, 1, s24
	;; [unrolled: 1-line block ×4, first 2 shown]
	v_mov_b32_e32 v24, 1
	s_wait_dscnt 0x0
	s_barrier_signal -1
	s_barrier_wait -1
                                        ; implicit-def: $sgpr0
                                        ; implicit-def: $vgpr25
	s_and_saveexec_b32 s4, s3
	s_cbranch_execz .LBB1475_141
; %bb.134:
	v_lshlrev_b16 v25, 8, v23
	v_lshlrev_b16 v26, 8, v22
	s_mov_b32 s0, 0
	s_mov_b32 s3, exec_lo
	s_delay_alu instid0(VALU_DEP_1) | instskip(NEXT) | instid1(VALU_DEP_1)
	v_or_b32_e32 v26, v35, v26
	v_dual_lshlrev_b32 v26, 16, v26 :: v_dual_bitop2_b32 v25, 1, v25 bitop3:0x54
	s_delay_alu instid0(VALU_DEP_1) | instskip(NEXT) | instid1(VALU_DEP_1)
	v_and_b32_e32 v25, 0xffff, v25
	v_or_b32_e32 v25, v25, v26
	v_cmpx_gt_u32_e64 s31, v30
	s_cbranch_execz .LBB1475_140
; %bb.135:
	s_and_not1_b32 vcc_lo, exec_lo, s7
	s_cbranch_vccnz .LBB1475_139
; %bb.136:
	v_add_nc_u32_e32 v26, -8, v31
	v_mul_u64_e32 v[28:29], s[18:19], v[14:15]
	s_add_nc_u64 s[0:1], s[18:19], -1
	s_mov_b32 s5, 0
                                        ; implicit-def: $sgpr7
	ds_load_b64 v[26:27], v26
	s_wait_dscnt 0x0
	v_mul_u64_e32 v[26:27], s[18:19], v[26:27]
	v_lshl_add_u64 v[28:29], v[28:29], 1, s[8:9]
	s_delay_alu instid0(VALU_DEP_2)
	v_lshl_add_u64 v[26:27], v[26:27], 1, s[8:9]
.LBB1475_137:                           ; =>This Inner Loop Header: Depth=1
	global_load_u16 v31, v[26:27], off
	global_load_u16 v32, v[28:29], off
	s_cmp_eq_u64 s[0:1], 0
	s_add_nc_u64 s[8:9], s[0:1], -1
	s_cselect_b32 s1, -1, 0
	s_wait_xcnt 0x1
	v_add_nc_u64_e32 v[26:27], 2, v[26:27]
	s_wait_xcnt 0x0
	v_add_nc_u64_e32 v[28:29], 2, v[28:29]
	s_wait_loadcnt 0x0
	v_cmp_ne_u16_e32 vcc_lo, v31, v32
	v_cmp_eq_u16_e64 s0, v31, v32
	s_or_b32 s1, vcc_lo, s1
	s_delay_alu instid0(SALU_CYCLE_1) | instskip(NEXT) | instid1(SALU_CYCLE_1)
	s_and_b32 s1, exec_lo, s1
	s_or_b32 s5, s1, s5
	s_and_not1_b32 s7, s7, exec_lo
	s_and_b32 s17, s0, exec_lo
	s_mov_b64 s[0:1], s[8:9]
	s_or_b32 s7, s7, s17
	s_and_not1_b32 exec_lo, exec_lo, s5
	s_cbranch_execnz .LBB1475_137
; %bb.138:
	s_or_b32 exec_lo, exec_lo, s5
	s_xor_b32 s0, s7, -1
.LBB1475_139:
	s_delay_alu instid0(SALU_CYCLE_1)
	s_and_b32 s0, s0, exec_lo
.LBB1475_140:
	s_or_b32 exec_lo, exec_lo, s3
	s_delay_alu instid0(VALU_DEP_2)
	v_perm_b32 v25, v25, v25, 0x3020104
	s_or_b32 s6, s6, exec_lo
.LBB1475_141:
	s_or_b32 exec_lo, exec_lo, s4
.LBB1475_142:
	s_and_saveexec_b32 s1, s6
	s_cbranch_execz .LBB1475_144
; %bb.143:
	s_wait_loadcnt_dscnt 0x0
	v_dual_lshrrev_b32 v22, 24, v25 :: v_dual_lshrrev_b32 v35, 16, v25
	v_lshrrev_b32_e32 v23, 8, v25
	v_cndmask_b32_e64 v24, 0, 1, s0
.LBB1475_144:
	s_or_b32 exec_lo, exec_lo, s1
	s_delay_alu instid0(SALU_CYCLE_1)
	s_and_not1_b32 vcc_lo, exec_lo, s33
	s_cbranch_vccnz .LBB1475_148
; %bb.145:
	s_wait_loadcnt_dscnt 0x0
	v_perm_b32 v23, v24, v23, 0xc0c0004
	v_perm_b32 v22, v35, v22, 0xc0c0004
	v_cmp_gt_u32_e32 vcc_lo, s31, v30
	v_dual_add_nc_u32 v24, 1, v30 :: v_dual_add_nc_u32 v26, 4, v30
	v_and_b32_e32 v34, 0xff, v34
	s_delay_alu instid0(VALU_DEP_4) | instskip(SKIP_1) | instid1(VALU_DEP_2)
	v_lshl_or_b32 v22, v22, 16, v23
	s_mov_b32 s0, exec_lo
	v_and_b32_e32 v25, 0xffff, v34
	s_delay_alu instid0(VALU_DEP_2) | instskip(SKIP_2) | instid1(VALU_DEP_3)
	v_cndmask_b32_e32 v23, 0, v22, vcc_lo
	v_cmp_gt_u32_e32 vcc_lo, s31, v24
	v_add_nc_u32_e32 v24, 2, v30
	v_and_b32_e32 v23, 0xff, v23
	s_delay_alu instid0(VALU_DEP_1) | instskip(NEXT) | instid1(VALU_DEP_3)
	v_cndmask_b32_e32 v23, v23, v22, vcc_lo
	v_cmp_gt_u32_e32 vcc_lo, s31, v24
	v_add_nc_u32_e32 v24, 3, v30
	s_delay_alu instid0(VALU_DEP_3) | instskip(NEXT) | instid1(VALU_DEP_1)
	v_and_b32_e32 v23, 0xffff, v23
	v_cndmask_b32_e32 v23, v23, v22, vcc_lo
	s_delay_alu instid0(VALU_DEP_3) | instskip(NEXT) | instid1(VALU_DEP_2)
	v_cmp_gt_u32_e32 vcc_lo, s31, v24
	v_and_b32_e32 v23, 0xffffff, v23
	s_delay_alu instid0(VALU_DEP_1) | instskip(NEXT) | instid1(VALU_DEP_1)
	v_cndmask_b32_e32 v24, v23, v22, vcc_lo
	v_lshrrev_b64 v[22:23], 24, v[24:25]
	v_dual_lshrrev_b32 v35, 16, v24 :: v_dual_lshrrev_b32 v23, 8, v24
	v_cmpx_le_u32_e64 s31, v26
; %bb.146:
	v_mov_b32_e32 v34, 0
; %bb.147:
	s_or_b32 exec_lo, exec_lo, s0
.LBB1475_148:
	s_delay_alu instid0(VALU_DEP_1)
	v_and_b32_e32 v25, 0xff, v24
	s_wait_loadcnt_dscnt 0x0
	v_and_b32_e32 v36, 0xff, v23
	v_and_b32_e32 v37, 0xff, v35
	v_mbcnt_lo_u32_b32 v39, -1, 0
	v_and_b32_e32 v38, 0xff, v22
	v_and_b32_e32 v26, 0xff, v34
	v_lshrrev_b32_e32 v40, 5, v0
	v_add3_u32 v27, v36, v25, v37
	v_and_b32_e32 v28, 15, v39
	s_and_b32 vcc_lo, exec_lo, s16
	s_mov_b32 s7, -1
	s_delay_alu instid0(VALU_DEP_2)
	v_add3_u32 v41, v27, v38, v26
	v_and_b32_e32 v26, 16, v39
	v_or_b32_e32 v27, 31, v0
	v_cmp_eq_u32_e64 s3, 0, v28
	v_cmp_lt_u32_e64 s5, 1, v28
	v_cmp_lt_u32_e64 s6, 3, v28
	;; [unrolled: 1-line block ×3, first 2 shown]
	v_cmp_eq_u32_e64 s1, 0, v26
	v_cmp_eq_u32_e64 s0, v0, v27
	s_barrier_signal -1
	s_barrier_wait -1
                                        ; implicit-def: $vgpr30
                                        ; implicit-def: $vgpr31
                                        ; implicit-def: $vgpr32
                                        ; implicit-def: $vgpr33
                                        ; implicit-def: $vgpr42
                                        ; implicit-def: $vgpr28
                                        ; implicit-def: $vgpr26
	s_cbranch_vccz .LBB1475_175
; %bb.149:
	v_mov_b32_dpp v26, v41 row_shr:1 row_mask:0xf bank_mask:0xf
	s_delay_alu instid0(VALU_DEP_1) | instskip(NEXT) | instid1(VALU_DEP_1)
	v_cndmask_b32_e64 v26, v26, 0, s3
	v_add_nc_u32_e32 v26, v26, v41
	s_delay_alu instid0(VALU_DEP_1) | instskip(NEXT) | instid1(VALU_DEP_1)
	v_mov_b32_dpp v27, v26 row_shr:2 row_mask:0xf bank_mask:0xf
	v_cndmask_b32_e64 v27, 0, v27, s5
	s_delay_alu instid0(VALU_DEP_1) | instskip(NEXT) | instid1(VALU_DEP_1)
	v_add_nc_u32_e32 v26, v26, v27
	v_mov_b32_dpp v27, v26 row_shr:4 row_mask:0xf bank_mask:0xf
	s_delay_alu instid0(VALU_DEP_1) | instskip(NEXT) | instid1(VALU_DEP_1)
	v_cndmask_b32_e64 v27, 0, v27, s6
	v_add_nc_u32_e32 v26, v26, v27
	s_delay_alu instid0(VALU_DEP_1) | instskip(NEXT) | instid1(VALU_DEP_1)
	v_mov_b32_dpp v27, v26 row_shr:8 row_mask:0xf bank_mask:0xf
	v_cndmask_b32_e64 v27, 0, v27, s4
	s_delay_alu instid0(VALU_DEP_1) | instskip(SKIP_3) | instid1(VALU_DEP_1)
	v_add_nc_u32_e32 v26, v26, v27
	ds_swizzle_b32 v27, v26 offset:swizzle(BROADCAST,32,15)
	s_wait_dscnt 0x0
	v_cndmask_b32_e64 v27, v27, 0, s1
	v_add_nc_u32_e32 v26, v26, v27
	s_and_saveexec_b32 s7, s0
; %bb.150:
	v_lshlrev_b32_e32 v27, 2, v40
	ds_store_b32 v27, v26
; %bb.151:
	s_or_b32 exec_lo, exec_lo, s7
	s_delay_alu instid0(SALU_CYCLE_1)
	s_mov_b32 s7, exec_lo
	s_wait_dscnt 0x0
	s_barrier_signal -1
	s_barrier_wait -1
	v_cmpx_gt_u32_e32 4, v0
	s_cbranch_execz .LBB1475_153
; %bb.152:
	v_dual_lshlrev_b32 v27, 2, v0 :: v_dual_bitop2_b32 v29, 3, v39 bitop3:0x40
	ds_load_b32 v28, v27
	v_cmp_ne_u32_e32 vcc_lo, 0, v29
	s_wait_dscnt 0x0
	v_mov_b32_dpp v30, v28 row_shr:1 row_mask:0xf bank_mask:0xf
	s_delay_alu instid0(VALU_DEP_1) | instskip(SKIP_1) | instid1(VALU_DEP_2)
	v_cndmask_b32_e32 v30, 0, v30, vcc_lo
	v_cmp_lt_u32_e32 vcc_lo, 1, v29
	v_add_nc_u32_e32 v28, v30, v28
	s_delay_alu instid0(VALU_DEP_1) | instskip(NEXT) | instid1(VALU_DEP_1)
	v_mov_b32_dpp v30, v28 row_shr:2 row_mask:0xf bank_mask:0xf
	v_cndmask_b32_e32 v29, 0, v30, vcc_lo
	s_delay_alu instid0(VALU_DEP_1)
	v_add_nc_u32_e32 v28, v28, v29
	ds_store_b32 v27, v28
.LBB1475_153:
	s_or_b32 exec_lo, exec_lo, s7
	s_delay_alu instid0(SALU_CYCLE_1)
	s_mov_b32 s8, exec_lo
	v_cmp_gt_u32_e32 vcc_lo, 32, v0
	s_wait_dscnt 0x0
	s_barrier_signal -1
	s_barrier_wait -1
                                        ; implicit-def: $vgpr42
	v_cmpx_lt_u32_e32 31, v0
	s_cbranch_execz .LBB1475_155
; %bb.154:
	v_lshl_add_u32 v27, v40, 2, -4
	ds_load_b32 v42, v27
	s_wait_dscnt 0x0
	v_add_nc_u32_e32 v26, v42, v26
.LBB1475_155:
	s_or_b32 exec_lo, exec_lo, s8
	v_sub_co_u32 v27, s7, v39, 1
	s_delay_alu instid0(VALU_DEP_1) | instskip(NEXT) | instid1(VALU_DEP_1)
	v_cmp_gt_i32_e64 s8, 0, v27
	v_cndmask_b32_e64 v27, v27, v39, s8
	s_delay_alu instid0(VALU_DEP_1)
	v_lshlrev_b32_e32 v27, 2, v27
	ds_bpermute_b32 v43, v27, v26
	s_and_saveexec_b32 s8, vcc_lo
	s_cbranch_execz .LBB1475_174
; %bb.156:
	v_mov_b32_e32 v33, 0
	ds_load_b32 v26, v33 offset:12
	s_and_saveexec_b32 s9, s7
	s_cbranch_execz .LBB1475_158
; %bb.157:
	s_add_co_i32 s16, s30, 32
	s_delay_alu instid0(SALU_CYCLE_1)
	v_dual_mov_b32 v27, 1 :: v_dual_mov_b32 v28, s16
	s_wait_dscnt 0x0
	global_store_b64 v28, v[26:27], s[10:11] scale_offset scope:SCOPE_DEV
.LBB1475_158:
	s_wait_xcnt 0x0
	s_or_b32 exec_lo, exec_lo, s9
	v_xad_u32 v28, v39, -1, s30
	s_mov_b32 s16, 0
	s_mov_b32 s9, exec_lo
	s_delay_alu instid0(VALU_DEP_1) | instskip(SKIP_4) | instid1(VALU_DEP_1)
	v_add_nc_u32_e32 v32, 32, v28
	global_load_b64 v[30:31], v32, s[10:11] scale_offset scope:SCOPE_DEV
	s_wait_loadcnt 0x0
	v_and_b32_e32 v27, 0xff, v31
	s_wait_xcnt 0x0
	v_cmpx_eq_u16_e32 0, v27
	s_cbranch_execz .LBB1475_162
; %bb.159:
	v_lshl_add_u64 v[32:33], v[32:33], 3, s[10:11]
.LBB1475_160:                           ; =>This Inner Loop Header: Depth=1
	global_load_b64 v[30:31], v[32:33], off scope:SCOPE_DEV
	s_wait_loadcnt 0x0
	v_and_b32_e32 v27, 0xff, v31
	s_delay_alu instid0(VALU_DEP_1)
	v_cmp_ne_u16_e32 vcc_lo, 0, v27
	s_or_b32 s16, vcc_lo, s16
	s_wait_xcnt 0x0
	s_and_not1_b32 exec_lo, exec_lo, s16
	s_cbranch_execnz .LBB1475_160
; %bb.161:
	s_or_b32 exec_lo, exec_lo, s16
.LBB1475_162:
	s_delay_alu instid0(SALU_CYCLE_1)
	s_or_b32 exec_lo, exec_lo, s9
	v_cmp_ne_u32_e32 vcc_lo, 31, v39
	v_lshlrev_b32_e64 v45, v39, -1
	v_lshl_or_b32 v52, v39, 2, 64
	v_dual_add_nc_u32 v47, 2, v39 :: v_dual_add_nc_u32 v49, 4, v39
	v_add_co_ci_u32_e64 v27, null, 0, v39, vcc_lo
	v_dual_add_nc_u32 v51, 8, v39 :: v_dual_add_nc_u32 v53, 16, v39
	s_delay_alu instid0(VALU_DEP_2)
	v_lshlrev_b32_e32 v44, 2, v27
	v_and_b32_e32 v27, 0xff, v31
	ds_bpermute_b32 v29, v44, v30
	v_cmp_eq_u16_e32 vcc_lo, 2, v27
	v_and_or_b32 v27, vcc_lo, v45, 0x80000000
	v_cmp_gt_u32_e32 vcc_lo, 30, v39
	s_delay_alu instid0(VALU_DEP_2) | instskip(SKIP_1) | instid1(VALU_DEP_2)
	v_ctz_i32_b32_e32 v27, v27
	v_cndmask_b32_e64 v32, 0, 2, vcc_lo
	v_cmp_lt_u32_e32 vcc_lo, v39, v27
	s_delay_alu instid0(VALU_DEP_2) | instskip(SKIP_3) | instid1(VALU_DEP_2)
	v_add_lshl_u32 v46, v32, v39, 2
	s_wait_dscnt 0x0
	v_cndmask_b32_e32 v29, 0, v29, vcc_lo
	v_cmp_gt_u32_e32 vcc_lo, 28, v39
	v_add_nc_u32_e32 v29, v29, v30
	v_cndmask_b32_e64 v32, 0, 4, vcc_lo
	v_cmp_le_u32_e32 vcc_lo, v47, v27
	ds_bpermute_b32 v30, v46, v29
	v_add_lshl_u32 v48, v32, v39, 2
	s_wait_dscnt 0x0
	v_cndmask_b32_e32 v30, 0, v30, vcc_lo
	v_cmp_gt_u32_e32 vcc_lo, 24, v39
	v_cndmask_b32_e64 v32, 0, 8, vcc_lo
	v_cmp_le_u32_e32 vcc_lo, v49, v27
	s_delay_alu instid0(VALU_DEP_4) | instskip(NEXT) | instid1(VALU_DEP_3)
	v_add_nc_u32_e32 v29, v29, v30
	v_add_lshl_u32 v50, v32, v39, 2
	ds_bpermute_b32 v30, v48, v29
	s_wait_dscnt 0x0
	v_cndmask_b32_e32 v30, 0, v30, vcc_lo
	v_cmp_le_u32_e32 vcc_lo, v51, v27
	s_delay_alu instid0(VALU_DEP_2) | instskip(SKIP_4) | instid1(VALU_DEP_2)
	v_add_nc_u32_e32 v29, v29, v30
	ds_bpermute_b32 v30, v50, v29
	s_wait_dscnt 0x0
	v_cndmask_b32_e32 v30, 0, v30, vcc_lo
	v_cmp_le_u32_e32 vcc_lo, v53, v27
	v_add_nc_u32_e32 v29, v29, v30
	ds_bpermute_b32 v30, v52, v29
	s_wait_dscnt 0x0
	v_cndmask_b32_e32 v27, 0, v30, vcc_lo
	s_delay_alu instid0(VALU_DEP_1)
	v_dual_mov_b32 v29, 0 :: v_dual_add_nc_u32 v30, v29, v27
	s_branch .LBB1475_165
.LBB1475_163:                           ;   in Loop: Header=BB1475_165 Depth=1
	s_or_b32 exec_lo, exec_lo, s9
	v_and_b32_e32 v32, 0xff, v31
	ds_bpermute_b32 v33, v44, v30
	v_subrev_nc_u32_e32 v28, 32, v28
	s_mov_b32 s9, 0
	v_cmp_eq_u16_e32 vcc_lo, 2, v32
	v_and_or_b32 v32, vcc_lo, v45, 0x80000000
	s_delay_alu instid0(VALU_DEP_1) | instskip(NEXT) | instid1(VALU_DEP_1)
	v_ctz_i32_b32_e32 v32, v32
	v_cmp_lt_u32_e32 vcc_lo, v39, v32
	s_wait_dscnt 0x0
	v_cndmask_b32_e32 v33, 0, v33, vcc_lo
	v_cmp_le_u32_e32 vcc_lo, v47, v32
	s_delay_alu instid0(VALU_DEP_2) | instskip(SKIP_4) | instid1(VALU_DEP_2)
	v_add_nc_u32_e32 v30, v33, v30
	ds_bpermute_b32 v33, v46, v30
	s_wait_dscnt 0x0
	v_cndmask_b32_e32 v33, 0, v33, vcc_lo
	v_cmp_le_u32_e32 vcc_lo, v49, v32
	v_add_nc_u32_e32 v30, v30, v33
	ds_bpermute_b32 v33, v48, v30
	s_wait_dscnt 0x0
	v_cndmask_b32_e32 v33, 0, v33, vcc_lo
	v_cmp_le_u32_e32 vcc_lo, v51, v32
	s_delay_alu instid0(VALU_DEP_2) | instskip(SKIP_4) | instid1(VALU_DEP_2)
	v_add_nc_u32_e32 v30, v30, v33
	ds_bpermute_b32 v33, v50, v30
	s_wait_dscnt 0x0
	v_cndmask_b32_e32 v33, 0, v33, vcc_lo
	v_cmp_le_u32_e32 vcc_lo, v53, v32
	v_add_nc_u32_e32 v30, v30, v33
	ds_bpermute_b32 v33, v52, v30
	s_wait_dscnt 0x0
	v_cndmask_b32_e32 v32, 0, v33, vcc_lo
	s_delay_alu instid0(VALU_DEP_1)
	v_add3_u32 v30, v32, v27, v30
.LBB1475_164:                           ;   in Loop: Header=BB1475_165 Depth=1
	s_and_b32 vcc_lo, exec_lo, s9
	s_cbranch_vccnz .LBB1475_170
.LBB1475_165:                           ; =>This Loop Header: Depth=1
                                        ;     Child Loop BB1475_168 Depth 2
	v_and_b32_e32 v27, 0xff, v31
	s_mov_b32 s9, -1
                                        ; implicit-def: $vgpr31
	s_delay_alu instid0(VALU_DEP_1)
	v_cmp_ne_u16_e32 vcc_lo, 2, v27
	v_mov_b32_e32 v27, v30
                                        ; implicit-def: $vgpr30
	s_cmp_lg_u32 vcc_lo, exec_lo
	s_cbranch_scc1 .LBB1475_164
; %bb.166:                              ;   in Loop: Header=BB1475_165 Depth=1
	global_load_b64 v[30:31], v28, s[10:11] scale_offset scope:SCOPE_DEV
	s_mov_b32 s9, exec_lo
	s_wait_loadcnt 0x0
	v_and_b32_e32 v32, 0xff, v31
	s_wait_xcnt 0x0
	s_delay_alu instid0(VALU_DEP_1)
	v_cmpx_eq_u16_e32 0, v32
	s_cbranch_execz .LBB1475_163
; %bb.167:                              ;   in Loop: Header=BB1475_165 Depth=1
	v_lshl_add_u64 v[32:33], v[28:29], 3, s[10:11]
	s_mov_b32 s16, 0
.LBB1475_168:                           ;   Parent Loop BB1475_165 Depth=1
                                        ; =>  This Inner Loop Header: Depth=2
	global_load_b64 v[30:31], v[32:33], off scope:SCOPE_DEV
	s_wait_loadcnt 0x0
	v_and_b32_e32 v54, 0xff, v31
	s_delay_alu instid0(VALU_DEP_1)
	v_cmp_ne_u16_e32 vcc_lo, 0, v54
	s_or_b32 s16, vcc_lo, s16
	s_wait_xcnt 0x0
	s_and_not1_b32 exec_lo, exec_lo, s16
	s_cbranch_execnz .LBB1475_168
; %bb.169:                              ;   in Loop: Header=BB1475_165 Depth=1
	s_or_b32 exec_lo, exec_lo, s16
	s_branch .LBB1475_163
.LBB1475_170:
	s_and_saveexec_b32 s9, s7
	s_cbranch_execz .LBB1475_172
; %bb.171:
	s_add_co_i32 s16, s30, 32
	v_dual_mov_b32 v29, 2 :: v_dual_add_nc_u32 v28, v27, v26
	v_dual_mov_b32 v30, s16 :: v_dual_mov_b32 v31, 0
	global_store_b64 v30, v[28:29], s[10:11] scale_offset scope:SCOPE_DEV
	ds_store_b64 v31, v[26:27] offset:5120
.LBB1475_172:
	s_wait_xcnt 0x0
	s_or_b32 exec_lo, exec_lo, s9
	s_delay_alu instid0(SALU_CYCLE_1)
	s_and_b32 exec_lo, exec_lo, s2
; %bb.173:
	v_mov_b32_e32 v26, 0
	ds_store_b32 v26, v27 offset:12
.LBB1475_174:
	s_or_b32 exec_lo, exec_lo, s8
	s_wait_dscnt 0x0
	v_dual_mov_b32 v26, 0 :: v_dual_cndmask_b32 v28, v43, v42, s7
	s_wait_storecnt 0x0
	s_barrier_signal -1
	s_barrier_wait -1
	ds_load_b32 v27, v26 offset:12
	v_cndmask_b32_e64 v28, v28, 0, s2
	s_wait_dscnt 0x0
	s_barrier_signal -1
	s_barrier_wait -1
	s_mov_b32 s7, 0
	v_add_nc_u32_e32 v42, v27, v28
	ds_load_b64 v[26:27], v26 offset:5120
	v_add_nc_u32_e32 v33, v42, v25
	s_wait_dscnt 0x0
	s_delay_alu instid0(VALU_DEP_1) | instskip(NEXT) | instid1(VALU_DEP_1)
	v_dual_add_nc_u32 v32, v33, v36 :: v_dual_mov_b32 v28, v27
	v_add_nc_u32_e32 v31, v32, v37
	s_delay_alu instid0(VALU_DEP_1)
	v_add_nc_u32_e32 v30, v31, v38
.LBB1475_175:
	s_and_b32 vcc_lo, exec_lo, s7
	s_cbranch_vccz .LBB1475_185
; %bb.176:
	v_mov_b32_dpp v26, v41 row_shr:1 row_mask:0xf bank_mask:0xf
	s_delay_alu instid0(VALU_DEP_1) | instskip(NEXT) | instid1(VALU_DEP_1)
	v_cndmask_b32_e64 v26, v26, 0, s3
	v_add_nc_u32_e32 v26, v26, v41
	s_delay_alu instid0(VALU_DEP_1) | instskip(NEXT) | instid1(VALU_DEP_1)
	v_mov_b32_dpp v27, v26 row_shr:2 row_mask:0xf bank_mask:0xf
	v_cndmask_b32_e64 v27, 0, v27, s5
	s_delay_alu instid0(VALU_DEP_1) | instskip(NEXT) | instid1(VALU_DEP_1)
	v_add_nc_u32_e32 v26, v26, v27
	v_mov_b32_dpp v27, v26 row_shr:4 row_mask:0xf bank_mask:0xf
	s_delay_alu instid0(VALU_DEP_1) | instskip(NEXT) | instid1(VALU_DEP_1)
	v_cndmask_b32_e64 v27, 0, v27, s6
	v_add_nc_u32_e32 v26, v26, v27
	s_delay_alu instid0(VALU_DEP_1) | instskip(NEXT) | instid1(VALU_DEP_1)
	v_mov_b32_dpp v27, v26 row_shr:8 row_mask:0xf bank_mask:0xf
	v_cndmask_b32_e64 v27, 0, v27, s4
	s_delay_alu instid0(VALU_DEP_1) | instskip(SKIP_3) | instid1(VALU_DEP_1)
	v_add_nc_u32_e32 v26, v26, v27
	ds_swizzle_b32 v27, v26 offset:swizzle(BROADCAST,32,15)
	s_wait_dscnt 0x0
	v_cndmask_b32_e64 v27, v27, 0, s1
	v_add_nc_u32_e32 v26, v26, v27
	s_and_saveexec_b32 s1, s0
; %bb.177:
	v_lshlrev_b32_e32 v27, 2, v40
	ds_store_b32 v27, v26
; %bb.178:
	s_or_b32 exec_lo, exec_lo, s1
	s_delay_alu instid0(SALU_CYCLE_1)
	s_mov_b32 s0, exec_lo
	s_wait_dscnt 0x0
	s_barrier_signal -1
	s_barrier_wait -1
	v_cmpx_gt_u32_e32 4, v0
	s_cbranch_execz .LBB1475_180
; %bb.179:
	v_dual_lshlrev_b32 v27, 2, v0 :: v_dual_bitop2_b32 v29, 3, v39 bitop3:0x40
	ds_load_b32 v28, v27
	v_cmp_ne_u32_e32 vcc_lo, 0, v29
	s_wait_dscnt 0x0
	v_mov_b32_dpp v30, v28 row_shr:1 row_mask:0xf bank_mask:0xf
	s_delay_alu instid0(VALU_DEP_1) | instskip(SKIP_1) | instid1(VALU_DEP_2)
	v_cndmask_b32_e32 v30, 0, v30, vcc_lo
	v_cmp_lt_u32_e32 vcc_lo, 1, v29
	v_add_nc_u32_e32 v28, v30, v28
	s_delay_alu instid0(VALU_DEP_1) | instskip(NEXT) | instid1(VALU_DEP_1)
	v_mov_b32_dpp v30, v28 row_shr:2 row_mask:0xf bank_mask:0xf
	v_cndmask_b32_e32 v29, 0, v30, vcc_lo
	s_delay_alu instid0(VALU_DEP_1)
	v_add_nc_u32_e32 v28, v28, v29
	ds_store_b32 v27, v28
.LBB1475_180:
	s_or_b32 exec_lo, exec_lo, s0
	v_dual_mov_b32 v27, 0 :: v_dual_mov_b32 v28, 0
	s_mov_b32 s0, exec_lo
	s_wait_dscnt 0x0
	s_barrier_signal -1
	s_barrier_wait -1
	v_cmpx_lt_u32_e32 31, v0
; %bb.181:
	v_lshl_add_u32 v28, v40, 2, -4
	ds_load_b32 v28, v28
; %bb.182:
	s_or_b32 exec_lo, exec_lo, s0
	v_sub_co_u32 v29, vcc_lo, v39, 1
	s_wait_dscnt 0x0
	v_add_nc_u32_e32 v26, v28, v26
	s_delay_alu instid0(VALU_DEP_2) | instskip(NEXT) | instid1(VALU_DEP_1)
	v_cmp_gt_i32_e64 s0, 0, v29
	v_cndmask_b32_e64 v29, v29, v39, s0
	s_delay_alu instid0(VALU_DEP_1)
	v_lshlrev_b32_e32 v29, 2, v29
	ds_bpermute_b32 v29, v29, v26
	ds_load_b32 v26, v27 offset:12
	s_and_saveexec_b32 s0, s2
	s_cbranch_execz .LBB1475_184
; %bb.183:
	v_dual_mov_b32 v30, 0 :: v_dual_mov_b32 v27, 2
	s_wait_dscnt 0x0
	global_store_b64 v30, v[26:27], s[10:11] offset:256 scope:SCOPE_DEV
.LBB1475_184:
	s_wait_xcnt 0x0
	s_or_b32 exec_lo, exec_lo, s0
	s_wait_dscnt 0x1
	v_cndmask_b32_e32 v27, v29, v28, vcc_lo
	s_wait_storecnt_dscnt 0x0
	s_barrier_signal -1
	s_barrier_wait -1
	s_delay_alu instid0(VALU_DEP_1) | instskip(NEXT) | instid1(VALU_DEP_1)
	v_cndmask_b32_e64 v42, v27, 0, s2
	v_dual_mov_b32 v28, 0 :: v_dual_add_nc_u32 v33, v42, v25
	s_delay_alu instid0(VALU_DEP_1) | instskip(NEXT) | instid1(VALU_DEP_1)
	v_add_nc_u32_e32 v32, v33, v36
	v_add_nc_u32_e32 v31, v32, v37
	s_delay_alu instid0(VALU_DEP_1)
	v_add_nc_u32_e32 v30, v31, v38
.LBB1475_185:
	s_delay_alu instid0(VALU_DEP_4)
	v_dual_add_nc_u32 v25, v28, v26 :: v_dual_bitop2_b32 v24, 1, v24 bitop3:0x40
	v_cmp_gt_u32_e64 s0, 0x81, v26
	s_mov_b32 s4, -1
	v_cmp_lt_u32_e64 s1, v42, v25
	v_cmp_eq_u32_e64 s3, 1, v24
	s_and_b32 vcc_lo, exec_lo, s0
	s_cbranch_vccz .LBB1475_197
; %bb.186:
	s_or_b32 s1, s29, s1
	s_delay_alu instid0(SALU_CYCLE_1) | instskip(NEXT) | instid1(SALU_CYCLE_1)
	s_and_b32 s3, s1, s3
	s_and_saveexec_b32 s1, s3
	s_cbranch_execz .LBB1475_188
; %bb.187:
	s_lshl_b64 s[4:5], s[14:15], 3
	s_delay_alu instid0(SALU_CYCLE_1)
	s_add_nc_u64 s[4:5], s[20:21], s[4:5]
	global_store_b64 v42, v[14:15], s[4:5] scale_offset
.LBB1475_188:
	s_wait_xcnt 0x0
	s_or_b32 exec_lo, exec_lo, s1
	v_and_b32_e32 v27, 1, v23
	v_cmp_lt_u32_e32 vcc_lo, v33, v25
	s_delay_alu instid0(VALU_DEP_2) | instskip(SKIP_1) | instid1(SALU_CYCLE_1)
	v_cmp_eq_u32_e64 s1, 1, v27
	s_or_b32 s3, s29, vcc_lo
	s_and_b32 s3, s3, s1
	s_delay_alu instid0(SALU_CYCLE_1)
	s_and_saveexec_b32 s1, s3
	s_cbranch_execz .LBB1475_190
; %bb.189:
	s_lshl_b64 s[4:5], s[14:15], 3
	s_delay_alu instid0(SALU_CYCLE_1)
	s_add_nc_u64 s[4:5], s[20:21], s[4:5]
	global_store_b64 v33, v[16:17], s[4:5] scale_offset
.LBB1475_190:
	s_wait_xcnt 0x0
	s_or_b32 exec_lo, exec_lo, s1
	v_and_b32_e32 v27, 1, v35
	v_cmp_lt_u32_e32 vcc_lo, v32, v25
	s_delay_alu instid0(VALU_DEP_2) | instskip(SKIP_1) | instid1(SALU_CYCLE_1)
	v_cmp_eq_u32_e64 s1, 1, v27
	s_or_b32 s3, s29, vcc_lo
	s_and_b32 s3, s3, s1
	s_delay_alu instid0(SALU_CYCLE_1)
	;; [unrolled: 17-line block ×4, first 2 shown]
	s_and_saveexec_b32 s1, s3
	s_cbranch_execz .LBB1475_196
; %bb.195:
	s_lshl_b64 s[4:5], s[14:15], 3
	s_delay_alu instid0(SALU_CYCLE_1)
	s_add_nc_u64 s[4:5], s[20:21], s[4:5]
	global_store_b64 v30, v[20:21], s[4:5] scale_offset
.LBB1475_196:
	s_wait_xcnt 0x0
	s_or_b32 exec_lo, exec_lo, s1
	s_mov_b32 s4, 0
.LBB1475_197:
	s_delay_alu instid0(SALU_CYCLE_1)
	s_and_b32 vcc_lo, exec_lo, s4
	s_cbranch_vccz .LBB1475_211
; %bb.198:
	s_mov_b32 s1, exec_lo
	v_cmpx_eq_u32_e32 1, v24
; %bb.199:
	v_sub_nc_u32_e32 v27, v42, v28
	s_delay_alu instid0(VALU_DEP_1)
	v_lshlrev_b32_e32 v27, 3, v27
	ds_store_b64 v27, v[14:15]
; %bb.200:
	s_or_b32 exec_lo, exec_lo, s1
	v_and_b32_e32 v14, 1, v23
	s_mov_b32 s1, exec_lo
	s_delay_alu instid0(VALU_DEP_1)
	v_cmpx_eq_u32_e32 1, v14
; %bb.201:
	v_sub_nc_u32_e32 v14, v33, v28
	s_delay_alu instid0(VALU_DEP_1)
	v_lshlrev_b32_e32 v14, 3, v14
	ds_store_b64 v14, v[16:17]
; %bb.202:
	s_or_b32 exec_lo, exec_lo, s1
	v_and_b32_e32 v14, 1, v35
	s_mov_b32 s1, exec_lo
	s_delay_alu instid0(VALU_DEP_1)
	;; [unrolled: 11-line block ×4, first 2 shown]
	v_cmpx_eq_u32_e32 1, v10
; %bb.207:
	v_sub_nc_u32_e32 v10, v30, v28
	s_delay_alu instid0(VALU_DEP_1)
	v_lshlrev_b32_e32 v10, 3, v10
	ds_store_b64 v10, v[20:21]
; %bb.208:
	s_or_b32 exec_lo, exec_lo, s1
	v_dual_mov_b32 v29, 0 :: v_dual_lshlrev_b32 v12, 3, v0
	s_lshl_b64 s[4:5], s[14:15], 3
	v_mov_b32_e32 v13, v0
	s_mov_b32 s1, 0
	s_delay_alu instid0(VALU_DEP_2) | instskip(SKIP_3) | instid1(VALU_DEP_1)
	v_lshlrev_b64_e32 v[10:11], 3, v[28:29]
	s_wait_storecnt_dscnt 0x0
	s_barrier_signal -1
	s_barrier_wait -1
	v_add_nc_u64_e32 v[10:11], s[20:21], v[10:11]
	s_delay_alu instid0(VALU_DEP_1)
	v_add_nc_u64_e32 v[10:11], s[4:5], v[10:11]
.LBB1475_209:                           ; =>This Inner Loop Header: Depth=1
	ds_load_b64 v[14:15], v12
	v_readfirstlane_b32 s4, v10
	v_readfirstlane_b32 s5, v11
	v_add_nc_u32_e32 v12, 0x400, v12
	s_wait_dscnt 0x0
	global_store_b64 v13, v[14:15], s[4:5] scale_offset
	s_wait_xcnt 0x0
	v_add_nc_u32_e32 v13, 0x80, v13
	s_delay_alu instid0(VALU_DEP_1) | instskip(SKIP_1) | instid1(SALU_CYCLE_1)
	v_cmp_ge_u32_e32 vcc_lo, v13, v26
	s_or_b32 s1, vcc_lo, s1
	s_and_not1_b32 exec_lo, exec_lo, s1
	s_cbranch_execnz .LBB1475_209
; %bb.210:
	s_or_b32 exec_lo, exec_lo, s1
.LBB1475_211:
	s_delay_alu instid0(SALU_CYCLE_1)
	s_and_b32 vcc_lo, exec_lo, s0
	s_mov_b32 s0, -1
	s_wait_storecnt 0x0
	s_barrier_signal -1
	s_barrier_wait -1
	s_cbranch_vccnz .LBB1475_215
; %bb.212:
	s_and_b32 vcc_lo, exec_lo, s0
	s_cbranch_vccnz .LBB1475_226
.LBB1475_213:
	s_and_b32 s0, s2, s28
	s_delay_alu instid0(SALU_CYCLE_1)
	s_and_saveexec_b32 s1, s0
	s_cbranch_execnz .LBB1475_239
.LBB1475_214:
	s_endpgm
.LBB1475_215:
	v_cmp_lt_u32_e32 vcc_lo, v42, v25
	v_cmp_eq_u32_e64 s0, 1, v24
	s_or_b32 s1, s29, vcc_lo
	s_delay_alu instid0(SALU_CYCLE_1) | instskip(NEXT) | instid1(SALU_CYCLE_1)
	s_and_b32 s1, s1, s0
	s_and_saveexec_b32 s0, s1
	s_cbranch_execz .LBB1475_217
; %bb.216:
	s_lshl_b64 s[4:5], s[14:15], 3
	s_delay_alu instid0(SALU_CYCLE_1)
	s_add_nc_u64 s[4:5], s[22:23], s[4:5]
	global_store_b64 v42, v[6:7], s[4:5] scale_offset
.LBB1475_217:
	s_wait_xcnt 0x0
	s_or_b32 exec_lo, exec_lo, s0
	v_and_b32_e32 v10, 1, v23
	v_cmp_lt_u32_e32 vcc_lo, v33, v25
	s_delay_alu instid0(VALU_DEP_2) | instskip(SKIP_1) | instid1(SALU_CYCLE_1)
	v_cmp_eq_u32_e64 s0, 1, v10
	s_or_b32 s1, s29, vcc_lo
	s_and_b32 s1, s1, s0
	s_delay_alu instid0(SALU_CYCLE_1)
	s_and_saveexec_b32 s0, s1
	s_cbranch_execz .LBB1475_219
; %bb.218:
	s_lshl_b64 s[4:5], s[14:15], 3
	s_delay_alu instid0(SALU_CYCLE_1)
	s_add_nc_u64 s[4:5], s[22:23], s[4:5]
	global_store_b64 v33, v[8:9], s[4:5] scale_offset
.LBB1475_219:
	s_wait_xcnt 0x0
	s_or_b32 exec_lo, exec_lo, s0
	v_and_b32_e32 v10, 1, v35
	v_cmp_lt_u32_e32 vcc_lo, v32, v25
	s_delay_alu instid0(VALU_DEP_2) | instskip(SKIP_1) | instid1(SALU_CYCLE_1)
	v_cmp_eq_u32_e64 s0, 1, v10
	s_or_b32 s1, s29, vcc_lo
	s_and_b32 s1, s1, s0
	s_delay_alu instid0(SALU_CYCLE_1)
	;; [unrolled: 17-line block ×4, first 2 shown]
	s_and_saveexec_b32 s0, s1
	s_cbranch_execz .LBB1475_225
; %bb.224:
	s_lshl_b64 s[4:5], s[14:15], 3
	s_delay_alu instid0(SALU_CYCLE_1)
	s_add_nc_u64 s[4:5], s[22:23], s[4:5]
	global_store_b64 v30, v[18:19], s[4:5] scale_offset
.LBB1475_225:
	s_wait_xcnt 0x0
	s_or_b32 exec_lo, exec_lo, s0
	s_branch .LBB1475_213
.LBB1475_226:
	s_mov_b32 s0, exec_lo
	v_cmpx_eq_u32_e32 1, v24
; %bb.227:
	v_sub_nc_u32_e32 v10, v42, v28
	s_delay_alu instid0(VALU_DEP_1)
	v_lshlrev_b32_e32 v10, 3, v10
	ds_store_b64 v10, v[6:7]
; %bb.228:
	s_or_b32 exec_lo, exec_lo, s0
	v_and_b32_e32 v6, 1, v23
	s_mov_b32 s0, exec_lo
	s_delay_alu instid0(VALU_DEP_1)
	v_cmpx_eq_u32_e32 1, v6
; %bb.229:
	v_sub_nc_u32_e32 v6, v33, v28
	s_delay_alu instid0(VALU_DEP_1)
	v_lshlrev_b32_e32 v6, 3, v6
	ds_store_b64 v6, v[8:9]
; %bb.230:
	s_or_b32 exec_lo, exec_lo, s0
	v_and_b32_e32 v6, 1, v35
	s_mov_b32 s0, exec_lo
	s_delay_alu instid0(VALU_DEP_1)
	;; [unrolled: 11-line block ×4, first 2 shown]
	v_cmpx_eq_u32_e32 1, v2
; %bb.235:
	v_sub_nc_u32_e32 v2, v30, v28
	s_delay_alu instid0(VALU_DEP_1)
	v_lshlrev_b32_e32 v2, 3, v2
	ds_store_b64 v2, v[18:19]
; %bb.236:
	s_or_b32 exec_lo, exec_lo, s0
	v_mov_b32_e32 v29, 0
	s_lshl_b64 s[0:1], s[14:15], 3
	s_wait_storecnt_dscnt 0x0
	s_barrier_signal -1
	s_barrier_wait -1
	v_lshlrev_b64_e32 v[2:3], 3, v[28:29]
	s_delay_alu instid0(VALU_DEP_1) | instskip(NEXT) | instid1(VALU_DEP_1)
	v_add_nc_u64_e32 v[2:3], s[22:23], v[2:3]
	v_add_nc_u64_e32 v[2:3], s[0:1], v[2:3]
	s_mov_b32 s0, 0
.LBB1475_237:                           ; =>This Inner Loop Header: Depth=1
	ds_load_b64 v[4:5], v1
	v_readfirstlane_b32 s4, v2
	v_readfirstlane_b32 s5, v3
	v_add_nc_u32_e32 v1, 0x400, v1
	s_wait_dscnt 0x0
	global_store_b64 v0, v[4:5], s[4:5] scale_offset
	s_wait_xcnt 0x0
	v_add_nc_u32_e32 v0, 0x80, v0
	s_delay_alu instid0(VALU_DEP_1) | instskip(SKIP_1) | instid1(SALU_CYCLE_1)
	v_cmp_ge_u32_e32 vcc_lo, v0, v26
	s_or_b32 s0, vcc_lo, s0
	s_and_not1_b32 exec_lo, exec_lo, s0
	s_cbranch_execnz .LBB1475_237
; %bb.238:
	s_or_b32 exec_lo, exec_lo, s0
	s_and_b32 s0, s2, s28
	s_delay_alu instid0(SALU_CYCLE_1)
	s_and_saveexec_b32 s1, s0
	s_cbranch_execz .LBB1475_214
.LBB1475_239:
	v_mov_b32_e32 v27, 0
	s_delay_alu instid0(VALU_DEP_1) | instskip(SKIP_1) | instid1(VALU_DEP_1)
	v_add_nc_u64_e32 v[0:1], s[14:15], v[26:27]
	v_mov_b32_e32 v29, v27
	v_add_nc_u64_e32 v[0:1], v[0:1], v[28:29]
	global_store_b64 v27, v[0:1], s[12:13]
	s_endpgm
	.section	.rodata,"a",@progbits
	.p2align	6, 0x0
	.amdhsa_kernel _ZN7rocprim17ROCPRIM_400000_NS6detail17trampoline_kernelINS0_14default_configENS1_25partition_config_selectorILNS1_17partition_subalgoE9EllbEEZZNS1_14partition_implILS5_9ELb0ES3_jPlS8_PNS0_10empty_typeENS0_5tupleIJS8_S9_EEENSB_IJS8_SA_EEENS0_18inequality_wrapperIZN2at6native12_GLOBAL__N_124unique_dim_cuda_templateItEESt5tupleIJNSF_6TensorESK_SK_EERKSK_lbbbEUlllE0_EEPmJS9_EEE10hipError_tPvRmT3_T4_T5_T6_T7_T9_mT8_P12ihipStream_tbDpT10_ENKUlT_T0_E_clISt17integral_constantIbLb0EES19_IbLb1EEEEDaS15_S16_EUlS15_E_NS1_11comp_targetILNS1_3genE0ELNS1_11target_archE4294967295ELNS1_3gpuE0ELNS1_3repE0EEENS1_30default_config_static_selectorELNS0_4arch9wavefront6targetE0EEEvT1_
		.amdhsa_group_segment_fixed_size 5128
		.amdhsa_private_segment_fixed_size 0
		.amdhsa_kernarg_size 136
		.amdhsa_user_sgpr_count 2
		.amdhsa_user_sgpr_dispatch_ptr 0
		.amdhsa_user_sgpr_queue_ptr 0
		.amdhsa_user_sgpr_kernarg_segment_ptr 1
		.amdhsa_user_sgpr_dispatch_id 0
		.amdhsa_user_sgpr_kernarg_preload_length 0
		.amdhsa_user_sgpr_kernarg_preload_offset 0
		.amdhsa_user_sgpr_private_segment_size 0
		.amdhsa_wavefront_size32 1
		.amdhsa_uses_dynamic_stack 0
		.amdhsa_enable_private_segment 0
		.amdhsa_system_sgpr_workgroup_id_x 1
		.amdhsa_system_sgpr_workgroup_id_y 0
		.amdhsa_system_sgpr_workgroup_id_z 0
		.amdhsa_system_sgpr_workgroup_info 0
		.amdhsa_system_vgpr_workitem_id 0
		.amdhsa_next_free_vgpr 55
		.amdhsa_next_free_sgpr 36
		.amdhsa_named_barrier_count 0
		.amdhsa_reserve_vcc 1
		.amdhsa_float_round_mode_32 0
		.amdhsa_float_round_mode_16_64 0
		.amdhsa_float_denorm_mode_32 3
		.amdhsa_float_denorm_mode_16_64 3
		.amdhsa_fp16_overflow 0
		.amdhsa_memory_ordered 1
		.amdhsa_forward_progress 1
		.amdhsa_inst_pref_size 75
		.amdhsa_round_robin_scheduling 0
		.amdhsa_exception_fp_ieee_invalid_op 0
		.amdhsa_exception_fp_denorm_src 0
		.amdhsa_exception_fp_ieee_div_zero 0
		.amdhsa_exception_fp_ieee_overflow 0
		.amdhsa_exception_fp_ieee_underflow 0
		.amdhsa_exception_fp_ieee_inexact 0
		.amdhsa_exception_int_div_zero 0
	.end_amdhsa_kernel
	.section	.text._ZN7rocprim17ROCPRIM_400000_NS6detail17trampoline_kernelINS0_14default_configENS1_25partition_config_selectorILNS1_17partition_subalgoE9EllbEEZZNS1_14partition_implILS5_9ELb0ES3_jPlS8_PNS0_10empty_typeENS0_5tupleIJS8_S9_EEENSB_IJS8_SA_EEENS0_18inequality_wrapperIZN2at6native12_GLOBAL__N_124unique_dim_cuda_templateItEESt5tupleIJNSF_6TensorESK_SK_EERKSK_lbbbEUlllE0_EEPmJS9_EEE10hipError_tPvRmT3_T4_T5_T6_T7_T9_mT8_P12ihipStream_tbDpT10_ENKUlT_T0_E_clISt17integral_constantIbLb0EES19_IbLb1EEEEDaS15_S16_EUlS15_E_NS1_11comp_targetILNS1_3genE0ELNS1_11target_archE4294967295ELNS1_3gpuE0ELNS1_3repE0EEENS1_30default_config_static_selectorELNS0_4arch9wavefront6targetE0EEEvT1_,"axG",@progbits,_ZN7rocprim17ROCPRIM_400000_NS6detail17trampoline_kernelINS0_14default_configENS1_25partition_config_selectorILNS1_17partition_subalgoE9EllbEEZZNS1_14partition_implILS5_9ELb0ES3_jPlS8_PNS0_10empty_typeENS0_5tupleIJS8_S9_EEENSB_IJS8_SA_EEENS0_18inequality_wrapperIZN2at6native12_GLOBAL__N_124unique_dim_cuda_templateItEESt5tupleIJNSF_6TensorESK_SK_EERKSK_lbbbEUlllE0_EEPmJS9_EEE10hipError_tPvRmT3_T4_T5_T6_T7_T9_mT8_P12ihipStream_tbDpT10_ENKUlT_T0_E_clISt17integral_constantIbLb0EES19_IbLb1EEEEDaS15_S16_EUlS15_E_NS1_11comp_targetILNS1_3genE0ELNS1_11target_archE4294967295ELNS1_3gpuE0ELNS1_3repE0EEENS1_30default_config_static_selectorELNS0_4arch9wavefront6targetE0EEEvT1_,comdat
.Lfunc_end1475:
	.size	_ZN7rocprim17ROCPRIM_400000_NS6detail17trampoline_kernelINS0_14default_configENS1_25partition_config_selectorILNS1_17partition_subalgoE9EllbEEZZNS1_14partition_implILS5_9ELb0ES3_jPlS8_PNS0_10empty_typeENS0_5tupleIJS8_S9_EEENSB_IJS8_SA_EEENS0_18inequality_wrapperIZN2at6native12_GLOBAL__N_124unique_dim_cuda_templateItEESt5tupleIJNSF_6TensorESK_SK_EERKSK_lbbbEUlllE0_EEPmJS9_EEE10hipError_tPvRmT3_T4_T5_T6_T7_T9_mT8_P12ihipStream_tbDpT10_ENKUlT_T0_E_clISt17integral_constantIbLb0EES19_IbLb1EEEEDaS15_S16_EUlS15_E_NS1_11comp_targetILNS1_3genE0ELNS1_11target_archE4294967295ELNS1_3gpuE0ELNS1_3repE0EEENS1_30default_config_static_selectorELNS0_4arch9wavefront6targetE0EEEvT1_, .Lfunc_end1475-_ZN7rocprim17ROCPRIM_400000_NS6detail17trampoline_kernelINS0_14default_configENS1_25partition_config_selectorILNS1_17partition_subalgoE9EllbEEZZNS1_14partition_implILS5_9ELb0ES3_jPlS8_PNS0_10empty_typeENS0_5tupleIJS8_S9_EEENSB_IJS8_SA_EEENS0_18inequality_wrapperIZN2at6native12_GLOBAL__N_124unique_dim_cuda_templateItEESt5tupleIJNSF_6TensorESK_SK_EERKSK_lbbbEUlllE0_EEPmJS9_EEE10hipError_tPvRmT3_T4_T5_T6_T7_T9_mT8_P12ihipStream_tbDpT10_ENKUlT_T0_E_clISt17integral_constantIbLb0EES19_IbLb1EEEEDaS15_S16_EUlS15_E_NS1_11comp_targetILNS1_3genE0ELNS1_11target_archE4294967295ELNS1_3gpuE0ELNS1_3repE0EEENS1_30default_config_static_selectorELNS0_4arch9wavefront6targetE0EEEvT1_
                                        ; -- End function
	.set _ZN7rocprim17ROCPRIM_400000_NS6detail17trampoline_kernelINS0_14default_configENS1_25partition_config_selectorILNS1_17partition_subalgoE9EllbEEZZNS1_14partition_implILS5_9ELb0ES3_jPlS8_PNS0_10empty_typeENS0_5tupleIJS8_S9_EEENSB_IJS8_SA_EEENS0_18inequality_wrapperIZN2at6native12_GLOBAL__N_124unique_dim_cuda_templateItEESt5tupleIJNSF_6TensorESK_SK_EERKSK_lbbbEUlllE0_EEPmJS9_EEE10hipError_tPvRmT3_T4_T5_T6_T7_T9_mT8_P12ihipStream_tbDpT10_ENKUlT_T0_E_clISt17integral_constantIbLb0EES19_IbLb1EEEEDaS15_S16_EUlS15_E_NS1_11comp_targetILNS1_3genE0ELNS1_11target_archE4294967295ELNS1_3gpuE0ELNS1_3repE0EEENS1_30default_config_static_selectorELNS0_4arch9wavefront6targetE0EEEvT1_.num_vgpr, 55
	.set _ZN7rocprim17ROCPRIM_400000_NS6detail17trampoline_kernelINS0_14default_configENS1_25partition_config_selectorILNS1_17partition_subalgoE9EllbEEZZNS1_14partition_implILS5_9ELb0ES3_jPlS8_PNS0_10empty_typeENS0_5tupleIJS8_S9_EEENSB_IJS8_SA_EEENS0_18inequality_wrapperIZN2at6native12_GLOBAL__N_124unique_dim_cuda_templateItEESt5tupleIJNSF_6TensorESK_SK_EERKSK_lbbbEUlllE0_EEPmJS9_EEE10hipError_tPvRmT3_T4_T5_T6_T7_T9_mT8_P12ihipStream_tbDpT10_ENKUlT_T0_E_clISt17integral_constantIbLb0EES19_IbLb1EEEEDaS15_S16_EUlS15_E_NS1_11comp_targetILNS1_3genE0ELNS1_11target_archE4294967295ELNS1_3gpuE0ELNS1_3repE0EEENS1_30default_config_static_selectorELNS0_4arch9wavefront6targetE0EEEvT1_.num_agpr, 0
	.set _ZN7rocprim17ROCPRIM_400000_NS6detail17trampoline_kernelINS0_14default_configENS1_25partition_config_selectorILNS1_17partition_subalgoE9EllbEEZZNS1_14partition_implILS5_9ELb0ES3_jPlS8_PNS0_10empty_typeENS0_5tupleIJS8_S9_EEENSB_IJS8_SA_EEENS0_18inequality_wrapperIZN2at6native12_GLOBAL__N_124unique_dim_cuda_templateItEESt5tupleIJNSF_6TensorESK_SK_EERKSK_lbbbEUlllE0_EEPmJS9_EEE10hipError_tPvRmT3_T4_T5_T6_T7_T9_mT8_P12ihipStream_tbDpT10_ENKUlT_T0_E_clISt17integral_constantIbLb0EES19_IbLb1EEEEDaS15_S16_EUlS15_E_NS1_11comp_targetILNS1_3genE0ELNS1_11target_archE4294967295ELNS1_3gpuE0ELNS1_3repE0EEENS1_30default_config_static_selectorELNS0_4arch9wavefront6targetE0EEEvT1_.numbered_sgpr, 36
	.set _ZN7rocprim17ROCPRIM_400000_NS6detail17trampoline_kernelINS0_14default_configENS1_25partition_config_selectorILNS1_17partition_subalgoE9EllbEEZZNS1_14partition_implILS5_9ELb0ES3_jPlS8_PNS0_10empty_typeENS0_5tupleIJS8_S9_EEENSB_IJS8_SA_EEENS0_18inequality_wrapperIZN2at6native12_GLOBAL__N_124unique_dim_cuda_templateItEESt5tupleIJNSF_6TensorESK_SK_EERKSK_lbbbEUlllE0_EEPmJS9_EEE10hipError_tPvRmT3_T4_T5_T6_T7_T9_mT8_P12ihipStream_tbDpT10_ENKUlT_T0_E_clISt17integral_constantIbLb0EES19_IbLb1EEEEDaS15_S16_EUlS15_E_NS1_11comp_targetILNS1_3genE0ELNS1_11target_archE4294967295ELNS1_3gpuE0ELNS1_3repE0EEENS1_30default_config_static_selectorELNS0_4arch9wavefront6targetE0EEEvT1_.num_named_barrier, 0
	.set _ZN7rocprim17ROCPRIM_400000_NS6detail17trampoline_kernelINS0_14default_configENS1_25partition_config_selectorILNS1_17partition_subalgoE9EllbEEZZNS1_14partition_implILS5_9ELb0ES3_jPlS8_PNS0_10empty_typeENS0_5tupleIJS8_S9_EEENSB_IJS8_SA_EEENS0_18inequality_wrapperIZN2at6native12_GLOBAL__N_124unique_dim_cuda_templateItEESt5tupleIJNSF_6TensorESK_SK_EERKSK_lbbbEUlllE0_EEPmJS9_EEE10hipError_tPvRmT3_T4_T5_T6_T7_T9_mT8_P12ihipStream_tbDpT10_ENKUlT_T0_E_clISt17integral_constantIbLb0EES19_IbLb1EEEEDaS15_S16_EUlS15_E_NS1_11comp_targetILNS1_3genE0ELNS1_11target_archE4294967295ELNS1_3gpuE0ELNS1_3repE0EEENS1_30default_config_static_selectorELNS0_4arch9wavefront6targetE0EEEvT1_.private_seg_size, 0
	.set _ZN7rocprim17ROCPRIM_400000_NS6detail17trampoline_kernelINS0_14default_configENS1_25partition_config_selectorILNS1_17partition_subalgoE9EllbEEZZNS1_14partition_implILS5_9ELb0ES3_jPlS8_PNS0_10empty_typeENS0_5tupleIJS8_S9_EEENSB_IJS8_SA_EEENS0_18inequality_wrapperIZN2at6native12_GLOBAL__N_124unique_dim_cuda_templateItEESt5tupleIJNSF_6TensorESK_SK_EERKSK_lbbbEUlllE0_EEPmJS9_EEE10hipError_tPvRmT3_T4_T5_T6_T7_T9_mT8_P12ihipStream_tbDpT10_ENKUlT_T0_E_clISt17integral_constantIbLb0EES19_IbLb1EEEEDaS15_S16_EUlS15_E_NS1_11comp_targetILNS1_3genE0ELNS1_11target_archE4294967295ELNS1_3gpuE0ELNS1_3repE0EEENS1_30default_config_static_selectorELNS0_4arch9wavefront6targetE0EEEvT1_.uses_vcc, 1
	.set _ZN7rocprim17ROCPRIM_400000_NS6detail17trampoline_kernelINS0_14default_configENS1_25partition_config_selectorILNS1_17partition_subalgoE9EllbEEZZNS1_14partition_implILS5_9ELb0ES3_jPlS8_PNS0_10empty_typeENS0_5tupleIJS8_S9_EEENSB_IJS8_SA_EEENS0_18inequality_wrapperIZN2at6native12_GLOBAL__N_124unique_dim_cuda_templateItEESt5tupleIJNSF_6TensorESK_SK_EERKSK_lbbbEUlllE0_EEPmJS9_EEE10hipError_tPvRmT3_T4_T5_T6_T7_T9_mT8_P12ihipStream_tbDpT10_ENKUlT_T0_E_clISt17integral_constantIbLb0EES19_IbLb1EEEEDaS15_S16_EUlS15_E_NS1_11comp_targetILNS1_3genE0ELNS1_11target_archE4294967295ELNS1_3gpuE0ELNS1_3repE0EEENS1_30default_config_static_selectorELNS0_4arch9wavefront6targetE0EEEvT1_.uses_flat_scratch, 0
	.set _ZN7rocprim17ROCPRIM_400000_NS6detail17trampoline_kernelINS0_14default_configENS1_25partition_config_selectorILNS1_17partition_subalgoE9EllbEEZZNS1_14partition_implILS5_9ELb0ES3_jPlS8_PNS0_10empty_typeENS0_5tupleIJS8_S9_EEENSB_IJS8_SA_EEENS0_18inequality_wrapperIZN2at6native12_GLOBAL__N_124unique_dim_cuda_templateItEESt5tupleIJNSF_6TensorESK_SK_EERKSK_lbbbEUlllE0_EEPmJS9_EEE10hipError_tPvRmT3_T4_T5_T6_T7_T9_mT8_P12ihipStream_tbDpT10_ENKUlT_T0_E_clISt17integral_constantIbLb0EES19_IbLb1EEEEDaS15_S16_EUlS15_E_NS1_11comp_targetILNS1_3genE0ELNS1_11target_archE4294967295ELNS1_3gpuE0ELNS1_3repE0EEENS1_30default_config_static_selectorELNS0_4arch9wavefront6targetE0EEEvT1_.has_dyn_sized_stack, 0
	.set _ZN7rocprim17ROCPRIM_400000_NS6detail17trampoline_kernelINS0_14default_configENS1_25partition_config_selectorILNS1_17partition_subalgoE9EllbEEZZNS1_14partition_implILS5_9ELb0ES3_jPlS8_PNS0_10empty_typeENS0_5tupleIJS8_S9_EEENSB_IJS8_SA_EEENS0_18inequality_wrapperIZN2at6native12_GLOBAL__N_124unique_dim_cuda_templateItEESt5tupleIJNSF_6TensorESK_SK_EERKSK_lbbbEUlllE0_EEPmJS9_EEE10hipError_tPvRmT3_T4_T5_T6_T7_T9_mT8_P12ihipStream_tbDpT10_ENKUlT_T0_E_clISt17integral_constantIbLb0EES19_IbLb1EEEEDaS15_S16_EUlS15_E_NS1_11comp_targetILNS1_3genE0ELNS1_11target_archE4294967295ELNS1_3gpuE0ELNS1_3repE0EEENS1_30default_config_static_selectorELNS0_4arch9wavefront6targetE0EEEvT1_.has_recursion, 0
	.set _ZN7rocprim17ROCPRIM_400000_NS6detail17trampoline_kernelINS0_14default_configENS1_25partition_config_selectorILNS1_17partition_subalgoE9EllbEEZZNS1_14partition_implILS5_9ELb0ES3_jPlS8_PNS0_10empty_typeENS0_5tupleIJS8_S9_EEENSB_IJS8_SA_EEENS0_18inequality_wrapperIZN2at6native12_GLOBAL__N_124unique_dim_cuda_templateItEESt5tupleIJNSF_6TensorESK_SK_EERKSK_lbbbEUlllE0_EEPmJS9_EEE10hipError_tPvRmT3_T4_T5_T6_T7_T9_mT8_P12ihipStream_tbDpT10_ENKUlT_T0_E_clISt17integral_constantIbLb0EES19_IbLb1EEEEDaS15_S16_EUlS15_E_NS1_11comp_targetILNS1_3genE0ELNS1_11target_archE4294967295ELNS1_3gpuE0ELNS1_3repE0EEENS1_30default_config_static_selectorELNS0_4arch9wavefront6targetE0EEEvT1_.has_indirect_call, 0
	.section	.AMDGPU.csdata,"",@progbits
; Kernel info:
; codeLenInByte = 9540
; TotalNumSgprs: 38
; NumVgprs: 55
; ScratchSize: 0
; MemoryBound: 0
; FloatMode: 240
; IeeeMode: 1
; LDSByteSize: 5128 bytes/workgroup (compile time only)
; SGPRBlocks: 0
; VGPRBlocks: 3
; NumSGPRsForWavesPerEU: 38
; NumVGPRsForWavesPerEU: 55
; NamedBarCnt: 0
; Occupancy: 16
; WaveLimiterHint : 1
; COMPUTE_PGM_RSRC2:SCRATCH_EN: 0
; COMPUTE_PGM_RSRC2:USER_SGPR: 2
; COMPUTE_PGM_RSRC2:TRAP_HANDLER: 0
; COMPUTE_PGM_RSRC2:TGID_X_EN: 1
; COMPUTE_PGM_RSRC2:TGID_Y_EN: 0
; COMPUTE_PGM_RSRC2:TGID_Z_EN: 0
; COMPUTE_PGM_RSRC2:TIDIG_COMP_CNT: 0
	.section	.text._ZN7rocprim17ROCPRIM_400000_NS6detail17trampoline_kernelINS0_14default_configENS1_25partition_config_selectorILNS1_17partition_subalgoE9EllbEEZZNS1_14partition_implILS5_9ELb0ES3_jPlS8_PNS0_10empty_typeENS0_5tupleIJS8_S9_EEENSB_IJS8_SA_EEENS0_18inequality_wrapperIZN2at6native12_GLOBAL__N_124unique_dim_cuda_templateItEESt5tupleIJNSF_6TensorESK_SK_EERKSK_lbbbEUlllE0_EEPmJS9_EEE10hipError_tPvRmT3_T4_T5_T6_T7_T9_mT8_P12ihipStream_tbDpT10_ENKUlT_T0_E_clISt17integral_constantIbLb0EES19_IbLb1EEEEDaS15_S16_EUlS15_E_NS1_11comp_targetILNS1_3genE5ELNS1_11target_archE942ELNS1_3gpuE9ELNS1_3repE0EEENS1_30default_config_static_selectorELNS0_4arch9wavefront6targetE0EEEvT1_,"axG",@progbits,_ZN7rocprim17ROCPRIM_400000_NS6detail17trampoline_kernelINS0_14default_configENS1_25partition_config_selectorILNS1_17partition_subalgoE9EllbEEZZNS1_14partition_implILS5_9ELb0ES3_jPlS8_PNS0_10empty_typeENS0_5tupleIJS8_S9_EEENSB_IJS8_SA_EEENS0_18inequality_wrapperIZN2at6native12_GLOBAL__N_124unique_dim_cuda_templateItEESt5tupleIJNSF_6TensorESK_SK_EERKSK_lbbbEUlllE0_EEPmJS9_EEE10hipError_tPvRmT3_T4_T5_T6_T7_T9_mT8_P12ihipStream_tbDpT10_ENKUlT_T0_E_clISt17integral_constantIbLb0EES19_IbLb1EEEEDaS15_S16_EUlS15_E_NS1_11comp_targetILNS1_3genE5ELNS1_11target_archE942ELNS1_3gpuE9ELNS1_3repE0EEENS1_30default_config_static_selectorELNS0_4arch9wavefront6targetE0EEEvT1_,comdat
	.globl	_ZN7rocprim17ROCPRIM_400000_NS6detail17trampoline_kernelINS0_14default_configENS1_25partition_config_selectorILNS1_17partition_subalgoE9EllbEEZZNS1_14partition_implILS5_9ELb0ES3_jPlS8_PNS0_10empty_typeENS0_5tupleIJS8_S9_EEENSB_IJS8_SA_EEENS0_18inequality_wrapperIZN2at6native12_GLOBAL__N_124unique_dim_cuda_templateItEESt5tupleIJNSF_6TensorESK_SK_EERKSK_lbbbEUlllE0_EEPmJS9_EEE10hipError_tPvRmT3_T4_T5_T6_T7_T9_mT8_P12ihipStream_tbDpT10_ENKUlT_T0_E_clISt17integral_constantIbLb0EES19_IbLb1EEEEDaS15_S16_EUlS15_E_NS1_11comp_targetILNS1_3genE5ELNS1_11target_archE942ELNS1_3gpuE9ELNS1_3repE0EEENS1_30default_config_static_selectorELNS0_4arch9wavefront6targetE0EEEvT1_ ; -- Begin function _ZN7rocprim17ROCPRIM_400000_NS6detail17trampoline_kernelINS0_14default_configENS1_25partition_config_selectorILNS1_17partition_subalgoE9EllbEEZZNS1_14partition_implILS5_9ELb0ES3_jPlS8_PNS0_10empty_typeENS0_5tupleIJS8_S9_EEENSB_IJS8_SA_EEENS0_18inequality_wrapperIZN2at6native12_GLOBAL__N_124unique_dim_cuda_templateItEESt5tupleIJNSF_6TensorESK_SK_EERKSK_lbbbEUlllE0_EEPmJS9_EEE10hipError_tPvRmT3_T4_T5_T6_T7_T9_mT8_P12ihipStream_tbDpT10_ENKUlT_T0_E_clISt17integral_constantIbLb0EES19_IbLb1EEEEDaS15_S16_EUlS15_E_NS1_11comp_targetILNS1_3genE5ELNS1_11target_archE942ELNS1_3gpuE9ELNS1_3repE0EEENS1_30default_config_static_selectorELNS0_4arch9wavefront6targetE0EEEvT1_
	.p2align	8
	.type	_ZN7rocprim17ROCPRIM_400000_NS6detail17trampoline_kernelINS0_14default_configENS1_25partition_config_selectorILNS1_17partition_subalgoE9EllbEEZZNS1_14partition_implILS5_9ELb0ES3_jPlS8_PNS0_10empty_typeENS0_5tupleIJS8_S9_EEENSB_IJS8_SA_EEENS0_18inequality_wrapperIZN2at6native12_GLOBAL__N_124unique_dim_cuda_templateItEESt5tupleIJNSF_6TensorESK_SK_EERKSK_lbbbEUlllE0_EEPmJS9_EEE10hipError_tPvRmT3_T4_T5_T6_T7_T9_mT8_P12ihipStream_tbDpT10_ENKUlT_T0_E_clISt17integral_constantIbLb0EES19_IbLb1EEEEDaS15_S16_EUlS15_E_NS1_11comp_targetILNS1_3genE5ELNS1_11target_archE942ELNS1_3gpuE9ELNS1_3repE0EEENS1_30default_config_static_selectorELNS0_4arch9wavefront6targetE0EEEvT1_,@function
_ZN7rocprim17ROCPRIM_400000_NS6detail17trampoline_kernelINS0_14default_configENS1_25partition_config_selectorILNS1_17partition_subalgoE9EllbEEZZNS1_14partition_implILS5_9ELb0ES3_jPlS8_PNS0_10empty_typeENS0_5tupleIJS8_S9_EEENSB_IJS8_SA_EEENS0_18inequality_wrapperIZN2at6native12_GLOBAL__N_124unique_dim_cuda_templateItEESt5tupleIJNSF_6TensorESK_SK_EERKSK_lbbbEUlllE0_EEPmJS9_EEE10hipError_tPvRmT3_T4_T5_T6_T7_T9_mT8_P12ihipStream_tbDpT10_ENKUlT_T0_E_clISt17integral_constantIbLb0EES19_IbLb1EEEEDaS15_S16_EUlS15_E_NS1_11comp_targetILNS1_3genE5ELNS1_11target_archE942ELNS1_3gpuE9ELNS1_3repE0EEENS1_30default_config_static_selectorELNS0_4arch9wavefront6targetE0EEEvT1_: ; @_ZN7rocprim17ROCPRIM_400000_NS6detail17trampoline_kernelINS0_14default_configENS1_25partition_config_selectorILNS1_17partition_subalgoE9EllbEEZZNS1_14partition_implILS5_9ELb0ES3_jPlS8_PNS0_10empty_typeENS0_5tupleIJS8_S9_EEENSB_IJS8_SA_EEENS0_18inequality_wrapperIZN2at6native12_GLOBAL__N_124unique_dim_cuda_templateItEESt5tupleIJNSF_6TensorESK_SK_EERKSK_lbbbEUlllE0_EEPmJS9_EEE10hipError_tPvRmT3_T4_T5_T6_T7_T9_mT8_P12ihipStream_tbDpT10_ENKUlT_T0_E_clISt17integral_constantIbLb0EES19_IbLb1EEEEDaS15_S16_EUlS15_E_NS1_11comp_targetILNS1_3genE5ELNS1_11target_archE942ELNS1_3gpuE9ELNS1_3repE0EEENS1_30default_config_static_selectorELNS0_4arch9wavefront6targetE0EEEvT1_
; %bb.0:
	.section	.rodata,"a",@progbits
	.p2align	6, 0x0
	.amdhsa_kernel _ZN7rocprim17ROCPRIM_400000_NS6detail17trampoline_kernelINS0_14default_configENS1_25partition_config_selectorILNS1_17partition_subalgoE9EllbEEZZNS1_14partition_implILS5_9ELb0ES3_jPlS8_PNS0_10empty_typeENS0_5tupleIJS8_S9_EEENSB_IJS8_SA_EEENS0_18inequality_wrapperIZN2at6native12_GLOBAL__N_124unique_dim_cuda_templateItEESt5tupleIJNSF_6TensorESK_SK_EERKSK_lbbbEUlllE0_EEPmJS9_EEE10hipError_tPvRmT3_T4_T5_T6_T7_T9_mT8_P12ihipStream_tbDpT10_ENKUlT_T0_E_clISt17integral_constantIbLb0EES19_IbLb1EEEEDaS15_S16_EUlS15_E_NS1_11comp_targetILNS1_3genE5ELNS1_11target_archE942ELNS1_3gpuE9ELNS1_3repE0EEENS1_30default_config_static_selectorELNS0_4arch9wavefront6targetE0EEEvT1_
		.amdhsa_group_segment_fixed_size 0
		.amdhsa_private_segment_fixed_size 0
		.amdhsa_kernarg_size 136
		.amdhsa_user_sgpr_count 2
		.amdhsa_user_sgpr_dispatch_ptr 0
		.amdhsa_user_sgpr_queue_ptr 0
		.amdhsa_user_sgpr_kernarg_segment_ptr 1
		.amdhsa_user_sgpr_dispatch_id 0
		.amdhsa_user_sgpr_kernarg_preload_length 0
		.amdhsa_user_sgpr_kernarg_preload_offset 0
		.amdhsa_user_sgpr_private_segment_size 0
		.amdhsa_wavefront_size32 1
		.amdhsa_uses_dynamic_stack 0
		.amdhsa_enable_private_segment 0
		.amdhsa_system_sgpr_workgroup_id_x 1
		.amdhsa_system_sgpr_workgroup_id_y 0
		.amdhsa_system_sgpr_workgroup_id_z 0
		.amdhsa_system_sgpr_workgroup_info 0
		.amdhsa_system_vgpr_workitem_id 0
		.amdhsa_next_free_vgpr 1
		.amdhsa_next_free_sgpr 1
		.amdhsa_named_barrier_count 0
		.amdhsa_reserve_vcc 0
		.amdhsa_float_round_mode_32 0
		.amdhsa_float_round_mode_16_64 0
		.amdhsa_float_denorm_mode_32 3
		.amdhsa_float_denorm_mode_16_64 3
		.amdhsa_fp16_overflow 0
		.amdhsa_memory_ordered 1
		.amdhsa_forward_progress 1
		.amdhsa_inst_pref_size 0
		.amdhsa_round_robin_scheduling 0
		.amdhsa_exception_fp_ieee_invalid_op 0
		.amdhsa_exception_fp_denorm_src 0
		.amdhsa_exception_fp_ieee_div_zero 0
		.amdhsa_exception_fp_ieee_overflow 0
		.amdhsa_exception_fp_ieee_underflow 0
		.amdhsa_exception_fp_ieee_inexact 0
		.amdhsa_exception_int_div_zero 0
	.end_amdhsa_kernel
	.section	.text._ZN7rocprim17ROCPRIM_400000_NS6detail17trampoline_kernelINS0_14default_configENS1_25partition_config_selectorILNS1_17partition_subalgoE9EllbEEZZNS1_14partition_implILS5_9ELb0ES3_jPlS8_PNS0_10empty_typeENS0_5tupleIJS8_S9_EEENSB_IJS8_SA_EEENS0_18inequality_wrapperIZN2at6native12_GLOBAL__N_124unique_dim_cuda_templateItEESt5tupleIJNSF_6TensorESK_SK_EERKSK_lbbbEUlllE0_EEPmJS9_EEE10hipError_tPvRmT3_T4_T5_T6_T7_T9_mT8_P12ihipStream_tbDpT10_ENKUlT_T0_E_clISt17integral_constantIbLb0EES19_IbLb1EEEEDaS15_S16_EUlS15_E_NS1_11comp_targetILNS1_3genE5ELNS1_11target_archE942ELNS1_3gpuE9ELNS1_3repE0EEENS1_30default_config_static_selectorELNS0_4arch9wavefront6targetE0EEEvT1_,"axG",@progbits,_ZN7rocprim17ROCPRIM_400000_NS6detail17trampoline_kernelINS0_14default_configENS1_25partition_config_selectorILNS1_17partition_subalgoE9EllbEEZZNS1_14partition_implILS5_9ELb0ES3_jPlS8_PNS0_10empty_typeENS0_5tupleIJS8_S9_EEENSB_IJS8_SA_EEENS0_18inequality_wrapperIZN2at6native12_GLOBAL__N_124unique_dim_cuda_templateItEESt5tupleIJNSF_6TensorESK_SK_EERKSK_lbbbEUlllE0_EEPmJS9_EEE10hipError_tPvRmT3_T4_T5_T6_T7_T9_mT8_P12ihipStream_tbDpT10_ENKUlT_T0_E_clISt17integral_constantIbLb0EES19_IbLb1EEEEDaS15_S16_EUlS15_E_NS1_11comp_targetILNS1_3genE5ELNS1_11target_archE942ELNS1_3gpuE9ELNS1_3repE0EEENS1_30default_config_static_selectorELNS0_4arch9wavefront6targetE0EEEvT1_,comdat
.Lfunc_end1476:
	.size	_ZN7rocprim17ROCPRIM_400000_NS6detail17trampoline_kernelINS0_14default_configENS1_25partition_config_selectorILNS1_17partition_subalgoE9EllbEEZZNS1_14partition_implILS5_9ELb0ES3_jPlS8_PNS0_10empty_typeENS0_5tupleIJS8_S9_EEENSB_IJS8_SA_EEENS0_18inequality_wrapperIZN2at6native12_GLOBAL__N_124unique_dim_cuda_templateItEESt5tupleIJNSF_6TensorESK_SK_EERKSK_lbbbEUlllE0_EEPmJS9_EEE10hipError_tPvRmT3_T4_T5_T6_T7_T9_mT8_P12ihipStream_tbDpT10_ENKUlT_T0_E_clISt17integral_constantIbLb0EES19_IbLb1EEEEDaS15_S16_EUlS15_E_NS1_11comp_targetILNS1_3genE5ELNS1_11target_archE942ELNS1_3gpuE9ELNS1_3repE0EEENS1_30default_config_static_selectorELNS0_4arch9wavefront6targetE0EEEvT1_, .Lfunc_end1476-_ZN7rocprim17ROCPRIM_400000_NS6detail17trampoline_kernelINS0_14default_configENS1_25partition_config_selectorILNS1_17partition_subalgoE9EllbEEZZNS1_14partition_implILS5_9ELb0ES3_jPlS8_PNS0_10empty_typeENS0_5tupleIJS8_S9_EEENSB_IJS8_SA_EEENS0_18inequality_wrapperIZN2at6native12_GLOBAL__N_124unique_dim_cuda_templateItEESt5tupleIJNSF_6TensorESK_SK_EERKSK_lbbbEUlllE0_EEPmJS9_EEE10hipError_tPvRmT3_T4_T5_T6_T7_T9_mT8_P12ihipStream_tbDpT10_ENKUlT_T0_E_clISt17integral_constantIbLb0EES19_IbLb1EEEEDaS15_S16_EUlS15_E_NS1_11comp_targetILNS1_3genE5ELNS1_11target_archE942ELNS1_3gpuE9ELNS1_3repE0EEENS1_30default_config_static_selectorELNS0_4arch9wavefront6targetE0EEEvT1_
                                        ; -- End function
	.set _ZN7rocprim17ROCPRIM_400000_NS6detail17trampoline_kernelINS0_14default_configENS1_25partition_config_selectorILNS1_17partition_subalgoE9EllbEEZZNS1_14partition_implILS5_9ELb0ES3_jPlS8_PNS0_10empty_typeENS0_5tupleIJS8_S9_EEENSB_IJS8_SA_EEENS0_18inequality_wrapperIZN2at6native12_GLOBAL__N_124unique_dim_cuda_templateItEESt5tupleIJNSF_6TensorESK_SK_EERKSK_lbbbEUlllE0_EEPmJS9_EEE10hipError_tPvRmT3_T4_T5_T6_T7_T9_mT8_P12ihipStream_tbDpT10_ENKUlT_T0_E_clISt17integral_constantIbLb0EES19_IbLb1EEEEDaS15_S16_EUlS15_E_NS1_11comp_targetILNS1_3genE5ELNS1_11target_archE942ELNS1_3gpuE9ELNS1_3repE0EEENS1_30default_config_static_selectorELNS0_4arch9wavefront6targetE0EEEvT1_.num_vgpr, 0
	.set _ZN7rocprim17ROCPRIM_400000_NS6detail17trampoline_kernelINS0_14default_configENS1_25partition_config_selectorILNS1_17partition_subalgoE9EllbEEZZNS1_14partition_implILS5_9ELb0ES3_jPlS8_PNS0_10empty_typeENS0_5tupleIJS8_S9_EEENSB_IJS8_SA_EEENS0_18inequality_wrapperIZN2at6native12_GLOBAL__N_124unique_dim_cuda_templateItEESt5tupleIJNSF_6TensorESK_SK_EERKSK_lbbbEUlllE0_EEPmJS9_EEE10hipError_tPvRmT3_T4_T5_T6_T7_T9_mT8_P12ihipStream_tbDpT10_ENKUlT_T0_E_clISt17integral_constantIbLb0EES19_IbLb1EEEEDaS15_S16_EUlS15_E_NS1_11comp_targetILNS1_3genE5ELNS1_11target_archE942ELNS1_3gpuE9ELNS1_3repE0EEENS1_30default_config_static_selectorELNS0_4arch9wavefront6targetE0EEEvT1_.num_agpr, 0
	.set _ZN7rocprim17ROCPRIM_400000_NS6detail17trampoline_kernelINS0_14default_configENS1_25partition_config_selectorILNS1_17partition_subalgoE9EllbEEZZNS1_14partition_implILS5_9ELb0ES3_jPlS8_PNS0_10empty_typeENS0_5tupleIJS8_S9_EEENSB_IJS8_SA_EEENS0_18inequality_wrapperIZN2at6native12_GLOBAL__N_124unique_dim_cuda_templateItEESt5tupleIJNSF_6TensorESK_SK_EERKSK_lbbbEUlllE0_EEPmJS9_EEE10hipError_tPvRmT3_T4_T5_T6_T7_T9_mT8_P12ihipStream_tbDpT10_ENKUlT_T0_E_clISt17integral_constantIbLb0EES19_IbLb1EEEEDaS15_S16_EUlS15_E_NS1_11comp_targetILNS1_3genE5ELNS1_11target_archE942ELNS1_3gpuE9ELNS1_3repE0EEENS1_30default_config_static_selectorELNS0_4arch9wavefront6targetE0EEEvT1_.numbered_sgpr, 0
	.set _ZN7rocprim17ROCPRIM_400000_NS6detail17trampoline_kernelINS0_14default_configENS1_25partition_config_selectorILNS1_17partition_subalgoE9EllbEEZZNS1_14partition_implILS5_9ELb0ES3_jPlS8_PNS0_10empty_typeENS0_5tupleIJS8_S9_EEENSB_IJS8_SA_EEENS0_18inequality_wrapperIZN2at6native12_GLOBAL__N_124unique_dim_cuda_templateItEESt5tupleIJNSF_6TensorESK_SK_EERKSK_lbbbEUlllE0_EEPmJS9_EEE10hipError_tPvRmT3_T4_T5_T6_T7_T9_mT8_P12ihipStream_tbDpT10_ENKUlT_T0_E_clISt17integral_constantIbLb0EES19_IbLb1EEEEDaS15_S16_EUlS15_E_NS1_11comp_targetILNS1_3genE5ELNS1_11target_archE942ELNS1_3gpuE9ELNS1_3repE0EEENS1_30default_config_static_selectorELNS0_4arch9wavefront6targetE0EEEvT1_.num_named_barrier, 0
	.set _ZN7rocprim17ROCPRIM_400000_NS6detail17trampoline_kernelINS0_14default_configENS1_25partition_config_selectorILNS1_17partition_subalgoE9EllbEEZZNS1_14partition_implILS5_9ELb0ES3_jPlS8_PNS0_10empty_typeENS0_5tupleIJS8_S9_EEENSB_IJS8_SA_EEENS0_18inequality_wrapperIZN2at6native12_GLOBAL__N_124unique_dim_cuda_templateItEESt5tupleIJNSF_6TensorESK_SK_EERKSK_lbbbEUlllE0_EEPmJS9_EEE10hipError_tPvRmT3_T4_T5_T6_T7_T9_mT8_P12ihipStream_tbDpT10_ENKUlT_T0_E_clISt17integral_constantIbLb0EES19_IbLb1EEEEDaS15_S16_EUlS15_E_NS1_11comp_targetILNS1_3genE5ELNS1_11target_archE942ELNS1_3gpuE9ELNS1_3repE0EEENS1_30default_config_static_selectorELNS0_4arch9wavefront6targetE0EEEvT1_.private_seg_size, 0
	.set _ZN7rocprim17ROCPRIM_400000_NS6detail17trampoline_kernelINS0_14default_configENS1_25partition_config_selectorILNS1_17partition_subalgoE9EllbEEZZNS1_14partition_implILS5_9ELb0ES3_jPlS8_PNS0_10empty_typeENS0_5tupleIJS8_S9_EEENSB_IJS8_SA_EEENS0_18inequality_wrapperIZN2at6native12_GLOBAL__N_124unique_dim_cuda_templateItEESt5tupleIJNSF_6TensorESK_SK_EERKSK_lbbbEUlllE0_EEPmJS9_EEE10hipError_tPvRmT3_T4_T5_T6_T7_T9_mT8_P12ihipStream_tbDpT10_ENKUlT_T0_E_clISt17integral_constantIbLb0EES19_IbLb1EEEEDaS15_S16_EUlS15_E_NS1_11comp_targetILNS1_3genE5ELNS1_11target_archE942ELNS1_3gpuE9ELNS1_3repE0EEENS1_30default_config_static_selectorELNS0_4arch9wavefront6targetE0EEEvT1_.uses_vcc, 0
	.set _ZN7rocprim17ROCPRIM_400000_NS6detail17trampoline_kernelINS0_14default_configENS1_25partition_config_selectorILNS1_17partition_subalgoE9EllbEEZZNS1_14partition_implILS5_9ELb0ES3_jPlS8_PNS0_10empty_typeENS0_5tupleIJS8_S9_EEENSB_IJS8_SA_EEENS0_18inequality_wrapperIZN2at6native12_GLOBAL__N_124unique_dim_cuda_templateItEESt5tupleIJNSF_6TensorESK_SK_EERKSK_lbbbEUlllE0_EEPmJS9_EEE10hipError_tPvRmT3_T4_T5_T6_T7_T9_mT8_P12ihipStream_tbDpT10_ENKUlT_T0_E_clISt17integral_constantIbLb0EES19_IbLb1EEEEDaS15_S16_EUlS15_E_NS1_11comp_targetILNS1_3genE5ELNS1_11target_archE942ELNS1_3gpuE9ELNS1_3repE0EEENS1_30default_config_static_selectorELNS0_4arch9wavefront6targetE0EEEvT1_.uses_flat_scratch, 0
	.set _ZN7rocprim17ROCPRIM_400000_NS6detail17trampoline_kernelINS0_14default_configENS1_25partition_config_selectorILNS1_17partition_subalgoE9EllbEEZZNS1_14partition_implILS5_9ELb0ES3_jPlS8_PNS0_10empty_typeENS0_5tupleIJS8_S9_EEENSB_IJS8_SA_EEENS0_18inequality_wrapperIZN2at6native12_GLOBAL__N_124unique_dim_cuda_templateItEESt5tupleIJNSF_6TensorESK_SK_EERKSK_lbbbEUlllE0_EEPmJS9_EEE10hipError_tPvRmT3_T4_T5_T6_T7_T9_mT8_P12ihipStream_tbDpT10_ENKUlT_T0_E_clISt17integral_constantIbLb0EES19_IbLb1EEEEDaS15_S16_EUlS15_E_NS1_11comp_targetILNS1_3genE5ELNS1_11target_archE942ELNS1_3gpuE9ELNS1_3repE0EEENS1_30default_config_static_selectorELNS0_4arch9wavefront6targetE0EEEvT1_.has_dyn_sized_stack, 0
	.set _ZN7rocprim17ROCPRIM_400000_NS6detail17trampoline_kernelINS0_14default_configENS1_25partition_config_selectorILNS1_17partition_subalgoE9EllbEEZZNS1_14partition_implILS5_9ELb0ES3_jPlS8_PNS0_10empty_typeENS0_5tupleIJS8_S9_EEENSB_IJS8_SA_EEENS0_18inequality_wrapperIZN2at6native12_GLOBAL__N_124unique_dim_cuda_templateItEESt5tupleIJNSF_6TensorESK_SK_EERKSK_lbbbEUlllE0_EEPmJS9_EEE10hipError_tPvRmT3_T4_T5_T6_T7_T9_mT8_P12ihipStream_tbDpT10_ENKUlT_T0_E_clISt17integral_constantIbLb0EES19_IbLb1EEEEDaS15_S16_EUlS15_E_NS1_11comp_targetILNS1_3genE5ELNS1_11target_archE942ELNS1_3gpuE9ELNS1_3repE0EEENS1_30default_config_static_selectorELNS0_4arch9wavefront6targetE0EEEvT1_.has_recursion, 0
	.set _ZN7rocprim17ROCPRIM_400000_NS6detail17trampoline_kernelINS0_14default_configENS1_25partition_config_selectorILNS1_17partition_subalgoE9EllbEEZZNS1_14partition_implILS5_9ELb0ES3_jPlS8_PNS0_10empty_typeENS0_5tupleIJS8_S9_EEENSB_IJS8_SA_EEENS0_18inequality_wrapperIZN2at6native12_GLOBAL__N_124unique_dim_cuda_templateItEESt5tupleIJNSF_6TensorESK_SK_EERKSK_lbbbEUlllE0_EEPmJS9_EEE10hipError_tPvRmT3_T4_T5_T6_T7_T9_mT8_P12ihipStream_tbDpT10_ENKUlT_T0_E_clISt17integral_constantIbLb0EES19_IbLb1EEEEDaS15_S16_EUlS15_E_NS1_11comp_targetILNS1_3genE5ELNS1_11target_archE942ELNS1_3gpuE9ELNS1_3repE0EEENS1_30default_config_static_selectorELNS0_4arch9wavefront6targetE0EEEvT1_.has_indirect_call, 0
	.section	.AMDGPU.csdata,"",@progbits
; Kernel info:
; codeLenInByte = 0
; TotalNumSgprs: 0
; NumVgprs: 0
; ScratchSize: 0
; MemoryBound: 0
; FloatMode: 240
; IeeeMode: 1
; LDSByteSize: 0 bytes/workgroup (compile time only)
; SGPRBlocks: 0
; VGPRBlocks: 0
; NumSGPRsForWavesPerEU: 1
; NumVGPRsForWavesPerEU: 1
; NamedBarCnt: 0
; Occupancy: 16
; WaveLimiterHint : 0
; COMPUTE_PGM_RSRC2:SCRATCH_EN: 0
; COMPUTE_PGM_RSRC2:USER_SGPR: 2
; COMPUTE_PGM_RSRC2:TRAP_HANDLER: 0
; COMPUTE_PGM_RSRC2:TGID_X_EN: 1
; COMPUTE_PGM_RSRC2:TGID_Y_EN: 0
; COMPUTE_PGM_RSRC2:TGID_Z_EN: 0
; COMPUTE_PGM_RSRC2:TIDIG_COMP_CNT: 0
	.section	.text._ZN7rocprim17ROCPRIM_400000_NS6detail17trampoline_kernelINS0_14default_configENS1_25partition_config_selectorILNS1_17partition_subalgoE9EllbEEZZNS1_14partition_implILS5_9ELb0ES3_jPlS8_PNS0_10empty_typeENS0_5tupleIJS8_S9_EEENSB_IJS8_SA_EEENS0_18inequality_wrapperIZN2at6native12_GLOBAL__N_124unique_dim_cuda_templateItEESt5tupleIJNSF_6TensorESK_SK_EERKSK_lbbbEUlllE0_EEPmJS9_EEE10hipError_tPvRmT3_T4_T5_T6_T7_T9_mT8_P12ihipStream_tbDpT10_ENKUlT_T0_E_clISt17integral_constantIbLb0EES19_IbLb1EEEEDaS15_S16_EUlS15_E_NS1_11comp_targetILNS1_3genE4ELNS1_11target_archE910ELNS1_3gpuE8ELNS1_3repE0EEENS1_30default_config_static_selectorELNS0_4arch9wavefront6targetE0EEEvT1_,"axG",@progbits,_ZN7rocprim17ROCPRIM_400000_NS6detail17trampoline_kernelINS0_14default_configENS1_25partition_config_selectorILNS1_17partition_subalgoE9EllbEEZZNS1_14partition_implILS5_9ELb0ES3_jPlS8_PNS0_10empty_typeENS0_5tupleIJS8_S9_EEENSB_IJS8_SA_EEENS0_18inequality_wrapperIZN2at6native12_GLOBAL__N_124unique_dim_cuda_templateItEESt5tupleIJNSF_6TensorESK_SK_EERKSK_lbbbEUlllE0_EEPmJS9_EEE10hipError_tPvRmT3_T4_T5_T6_T7_T9_mT8_P12ihipStream_tbDpT10_ENKUlT_T0_E_clISt17integral_constantIbLb0EES19_IbLb1EEEEDaS15_S16_EUlS15_E_NS1_11comp_targetILNS1_3genE4ELNS1_11target_archE910ELNS1_3gpuE8ELNS1_3repE0EEENS1_30default_config_static_selectorELNS0_4arch9wavefront6targetE0EEEvT1_,comdat
	.globl	_ZN7rocprim17ROCPRIM_400000_NS6detail17trampoline_kernelINS0_14default_configENS1_25partition_config_selectorILNS1_17partition_subalgoE9EllbEEZZNS1_14partition_implILS5_9ELb0ES3_jPlS8_PNS0_10empty_typeENS0_5tupleIJS8_S9_EEENSB_IJS8_SA_EEENS0_18inequality_wrapperIZN2at6native12_GLOBAL__N_124unique_dim_cuda_templateItEESt5tupleIJNSF_6TensorESK_SK_EERKSK_lbbbEUlllE0_EEPmJS9_EEE10hipError_tPvRmT3_T4_T5_T6_T7_T9_mT8_P12ihipStream_tbDpT10_ENKUlT_T0_E_clISt17integral_constantIbLb0EES19_IbLb1EEEEDaS15_S16_EUlS15_E_NS1_11comp_targetILNS1_3genE4ELNS1_11target_archE910ELNS1_3gpuE8ELNS1_3repE0EEENS1_30default_config_static_selectorELNS0_4arch9wavefront6targetE0EEEvT1_ ; -- Begin function _ZN7rocprim17ROCPRIM_400000_NS6detail17trampoline_kernelINS0_14default_configENS1_25partition_config_selectorILNS1_17partition_subalgoE9EllbEEZZNS1_14partition_implILS5_9ELb0ES3_jPlS8_PNS0_10empty_typeENS0_5tupleIJS8_S9_EEENSB_IJS8_SA_EEENS0_18inequality_wrapperIZN2at6native12_GLOBAL__N_124unique_dim_cuda_templateItEESt5tupleIJNSF_6TensorESK_SK_EERKSK_lbbbEUlllE0_EEPmJS9_EEE10hipError_tPvRmT3_T4_T5_T6_T7_T9_mT8_P12ihipStream_tbDpT10_ENKUlT_T0_E_clISt17integral_constantIbLb0EES19_IbLb1EEEEDaS15_S16_EUlS15_E_NS1_11comp_targetILNS1_3genE4ELNS1_11target_archE910ELNS1_3gpuE8ELNS1_3repE0EEENS1_30default_config_static_selectorELNS0_4arch9wavefront6targetE0EEEvT1_
	.p2align	8
	.type	_ZN7rocprim17ROCPRIM_400000_NS6detail17trampoline_kernelINS0_14default_configENS1_25partition_config_selectorILNS1_17partition_subalgoE9EllbEEZZNS1_14partition_implILS5_9ELb0ES3_jPlS8_PNS0_10empty_typeENS0_5tupleIJS8_S9_EEENSB_IJS8_SA_EEENS0_18inequality_wrapperIZN2at6native12_GLOBAL__N_124unique_dim_cuda_templateItEESt5tupleIJNSF_6TensorESK_SK_EERKSK_lbbbEUlllE0_EEPmJS9_EEE10hipError_tPvRmT3_T4_T5_T6_T7_T9_mT8_P12ihipStream_tbDpT10_ENKUlT_T0_E_clISt17integral_constantIbLb0EES19_IbLb1EEEEDaS15_S16_EUlS15_E_NS1_11comp_targetILNS1_3genE4ELNS1_11target_archE910ELNS1_3gpuE8ELNS1_3repE0EEENS1_30default_config_static_selectorELNS0_4arch9wavefront6targetE0EEEvT1_,@function
_ZN7rocprim17ROCPRIM_400000_NS6detail17trampoline_kernelINS0_14default_configENS1_25partition_config_selectorILNS1_17partition_subalgoE9EllbEEZZNS1_14partition_implILS5_9ELb0ES3_jPlS8_PNS0_10empty_typeENS0_5tupleIJS8_S9_EEENSB_IJS8_SA_EEENS0_18inequality_wrapperIZN2at6native12_GLOBAL__N_124unique_dim_cuda_templateItEESt5tupleIJNSF_6TensorESK_SK_EERKSK_lbbbEUlllE0_EEPmJS9_EEE10hipError_tPvRmT3_T4_T5_T6_T7_T9_mT8_P12ihipStream_tbDpT10_ENKUlT_T0_E_clISt17integral_constantIbLb0EES19_IbLb1EEEEDaS15_S16_EUlS15_E_NS1_11comp_targetILNS1_3genE4ELNS1_11target_archE910ELNS1_3gpuE8ELNS1_3repE0EEENS1_30default_config_static_selectorELNS0_4arch9wavefront6targetE0EEEvT1_: ; @_ZN7rocprim17ROCPRIM_400000_NS6detail17trampoline_kernelINS0_14default_configENS1_25partition_config_selectorILNS1_17partition_subalgoE9EllbEEZZNS1_14partition_implILS5_9ELb0ES3_jPlS8_PNS0_10empty_typeENS0_5tupleIJS8_S9_EEENSB_IJS8_SA_EEENS0_18inequality_wrapperIZN2at6native12_GLOBAL__N_124unique_dim_cuda_templateItEESt5tupleIJNSF_6TensorESK_SK_EERKSK_lbbbEUlllE0_EEPmJS9_EEE10hipError_tPvRmT3_T4_T5_T6_T7_T9_mT8_P12ihipStream_tbDpT10_ENKUlT_T0_E_clISt17integral_constantIbLb0EES19_IbLb1EEEEDaS15_S16_EUlS15_E_NS1_11comp_targetILNS1_3genE4ELNS1_11target_archE910ELNS1_3gpuE8ELNS1_3repE0EEENS1_30default_config_static_selectorELNS0_4arch9wavefront6targetE0EEEvT1_
; %bb.0:
	.section	.rodata,"a",@progbits
	.p2align	6, 0x0
	.amdhsa_kernel _ZN7rocprim17ROCPRIM_400000_NS6detail17trampoline_kernelINS0_14default_configENS1_25partition_config_selectorILNS1_17partition_subalgoE9EllbEEZZNS1_14partition_implILS5_9ELb0ES3_jPlS8_PNS0_10empty_typeENS0_5tupleIJS8_S9_EEENSB_IJS8_SA_EEENS0_18inequality_wrapperIZN2at6native12_GLOBAL__N_124unique_dim_cuda_templateItEESt5tupleIJNSF_6TensorESK_SK_EERKSK_lbbbEUlllE0_EEPmJS9_EEE10hipError_tPvRmT3_T4_T5_T6_T7_T9_mT8_P12ihipStream_tbDpT10_ENKUlT_T0_E_clISt17integral_constantIbLb0EES19_IbLb1EEEEDaS15_S16_EUlS15_E_NS1_11comp_targetILNS1_3genE4ELNS1_11target_archE910ELNS1_3gpuE8ELNS1_3repE0EEENS1_30default_config_static_selectorELNS0_4arch9wavefront6targetE0EEEvT1_
		.amdhsa_group_segment_fixed_size 0
		.amdhsa_private_segment_fixed_size 0
		.amdhsa_kernarg_size 136
		.amdhsa_user_sgpr_count 2
		.amdhsa_user_sgpr_dispatch_ptr 0
		.amdhsa_user_sgpr_queue_ptr 0
		.amdhsa_user_sgpr_kernarg_segment_ptr 1
		.amdhsa_user_sgpr_dispatch_id 0
		.amdhsa_user_sgpr_kernarg_preload_length 0
		.amdhsa_user_sgpr_kernarg_preload_offset 0
		.amdhsa_user_sgpr_private_segment_size 0
		.amdhsa_wavefront_size32 1
		.amdhsa_uses_dynamic_stack 0
		.amdhsa_enable_private_segment 0
		.amdhsa_system_sgpr_workgroup_id_x 1
		.amdhsa_system_sgpr_workgroup_id_y 0
		.amdhsa_system_sgpr_workgroup_id_z 0
		.amdhsa_system_sgpr_workgroup_info 0
		.amdhsa_system_vgpr_workitem_id 0
		.amdhsa_next_free_vgpr 1
		.amdhsa_next_free_sgpr 1
		.amdhsa_named_barrier_count 0
		.amdhsa_reserve_vcc 0
		.amdhsa_float_round_mode_32 0
		.amdhsa_float_round_mode_16_64 0
		.amdhsa_float_denorm_mode_32 3
		.amdhsa_float_denorm_mode_16_64 3
		.amdhsa_fp16_overflow 0
		.amdhsa_memory_ordered 1
		.amdhsa_forward_progress 1
		.amdhsa_inst_pref_size 0
		.amdhsa_round_robin_scheduling 0
		.amdhsa_exception_fp_ieee_invalid_op 0
		.amdhsa_exception_fp_denorm_src 0
		.amdhsa_exception_fp_ieee_div_zero 0
		.amdhsa_exception_fp_ieee_overflow 0
		.amdhsa_exception_fp_ieee_underflow 0
		.amdhsa_exception_fp_ieee_inexact 0
		.amdhsa_exception_int_div_zero 0
	.end_amdhsa_kernel
	.section	.text._ZN7rocprim17ROCPRIM_400000_NS6detail17trampoline_kernelINS0_14default_configENS1_25partition_config_selectorILNS1_17partition_subalgoE9EllbEEZZNS1_14partition_implILS5_9ELb0ES3_jPlS8_PNS0_10empty_typeENS0_5tupleIJS8_S9_EEENSB_IJS8_SA_EEENS0_18inequality_wrapperIZN2at6native12_GLOBAL__N_124unique_dim_cuda_templateItEESt5tupleIJNSF_6TensorESK_SK_EERKSK_lbbbEUlllE0_EEPmJS9_EEE10hipError_tPvRmT3_T4_T5_T6_T7_T9_mT8_P12ihipStream_tbDpT10_ENKUlT_T0_E_clISt17integral_constantIbLb0EES19_IbLb1EEEEDaS15_S16_EUlS15_E_NS1_11comp_targetILNS1_3genE4ELNS1_11target_archE910ELNS1_3gpuE8ELNS1_3repE0EEENS1_30default_config_static_selectorELNS0_4arch9wavefront6targetE0EEEvT1_,"axG",@progbits,_ZN7rocprim17ROCPRIM_400000_NS6detail17trampoline_kernelINS0_14default_configENS1_25partition_config_selectorILNS1_17partition_subalgoE9EllbEEZZNS1_14partition_implILS5_9ELb0ES3_jPlS8_PNS0_10empty_typeENS0_5tupleIJS8_S9_EEENSB_IJS8_SA_EEENS0_18inequality_wrapperIZN2at6native12_GLOBAL__N_124unique_dim_cuda_templateItEESt5tupleIJNSF_6TensorESK_SK_EERKSK_lbbbEUlllE0_EEPmJS9_EEE10hipError_tPvRmT3_T4_T5_T6_T7_T9_mT8_P12ihipStream_tbDpT10_ENKUlT_T0_E_clISt17integral_constantIbLb0EES19_IbLb1EEEEDaS15_S16_EUlS15_E_NS1_11comp_targetILNS1_3genE4ELNS1_11target_archE910ELNS1_3gpuE8ELNS1_3repE0EEENS1_30default_config_static_selectorELNS0_4arch9wavefront6targetE0EEEvT1_,comdat
.Lfunc_end1477:
	.size	_ZN7rocprim17ROCPRIM_400000_NS6detail17trampoline_kernelINS0_14default_configENS1_25partition_config_selectorILNS1_17partition_subalgoE9EllbEEZZNS1_14partition_implILS5_9ELb0ES3_jPlS8_PNS0_10empty_typeENS0_5tupleIJS8_S9_EEENSB_IJS8_SA_EEENS0_18inequality_wrapperIZN2at6native12_GLOBAL__N_124unique_dim_cuda_templateItEESt5tupleIJNSF_6TensorESK_SK_EERKSK_lbbbEUlllE0_EEPmJS9_EEE10hipError_tPvRmT3_T4_T5_T6_T7_T9_mT8_P12ihipStream_tbDpT10_ENKUlT_T0_E_clISt17integral_constantIbLb0EES19_IbLb1EEEEDaS15_S16_EUlS15_E_NS1_11comp_targetILNS1_3genE4ELNS1_11target_archE910ELNS1_3gpuE8ELNS1_3repE0EEENS1_30default_config_static_selectorELNS0_4arch9wavefront6targetE0EEEvT1_, .Lfunc_end1477-_ZN7rocprim17ROCPRIM_400000_NS6detail17trampoline_kernelINS0_14default_configENS1_25partition_config_selectorILNS1_17partition_subalgoE9EllbEEZZNS1_14partition_implILS5_9ELb0ES3_jPlS8_PNS0_10empty_typeENS0_5tupleIJS8_S9_EEENSB_IJS8_SA_EEENS0_18inequality_wrapperIZN2at6native12_GLOBAL__N_124unique_dim_cuda_templateItEESt5tupleIJNSF_6TensorESK_SK_EERKSK_lbbbEUlllE0_EEPmJS9_EEE10hipError_tPvRmT3_T4_T5_T6_T7_T9_mT8_P12ihipStream_tbDpT10_ENKUlT_T0_E_clISt17integral_constantIbLb0EES19_IbLb1EEEEDaS15_S16_EUlS15_E_NS1_11comp_targetILNS1_3genE4ELNS1_11target_archE910ELNS1_3gpuE8ELNS1_3repE0EEENS1_30default_config_static_selectorELNS0_4arch9wavefront6targetE0EEEvT1_
                                        ; -- End function
	.set _ZN7rocprim17ROCPRIM_400000_NS6detail17trampoline_kernelINS0_14default_configENS1_25partition_config_selectorILNS1_17partition_subalgoE9EllbEEZZNS1_14partition_implILS5_9ELb0ES3_jPlS8_PNS0_10empty_typeENS0_5tupleIJS8_S9_EEENSB_IJS8_SA_EEENS0_18inequality_wrapperIZN2at6native12_GLOBAL__N_124unique_dim_cuda_templateItEESt5tupleIJNSF_6TensorESK_SK_EERKSK_lbbbEUlllE0_EEPmJS9_EEE10hipError_tPvRmT3_T4_T5_T6_T7_T9_mT8_P12ihipStream_tbDpT10_ENKUlT_T0_E_clISt17integral_constantIbLb0EES19_IbLb1EEEEDaS15_S16_EUlS15_E_NS1_11comp_targetILNS1_3genE4ELNS1_11target_archE910ELNS1_3gpuE8ELNS1_3repE0EEENS1_30default_config_static_selectorELNS0_4arch9wavefront6targetE0EEEvT1_.num_vgpr, 0
	.set _ZN7rocprim17ROCPRIM_400000_NS6detail17trampoline_kernelINS0_14default_configENS1_25partition_config_selectorILNS1_17partition_subalgoE9EllbEEZZNS1_14partition_implILS5_9ELb0ES3_jPlS8_PNS0_10empty_typeENS0_5tupleIJS8_S9_EEENSB_IJS8_SA_EEENS0_18inequality_wrapperIZN2at6native12_GLOBAL__N_124unique_dim_cuda_templateItEESt5tupleIJNSF_6TensorESK_SK_EERKSK_lbbbEUlllE0_EEPmJS9_EEE10hipError_tPvRmT3_T4_T5_T6_T7_T9_mT8_P12ihipStream_tbDpT10_ENKUlT_T0_E_clISt17integral_constantIbLb0EES19_IbLb1EEEEDaS15_S16_EUlS15_E_NS1_11comp_targetILNS1_3genE4ELNS1_11target_archE910ELNS1_3gpuE8ELNS1_3repE0EEENS1_30default_config_static_selectorELNS0_4arch9wavefront6targetE0EEEvT1_.num_agpr, 0
	.set _ZN7rocprim17ROCPRIM_400000_NS6detail17trampoline_kernelINS0_14default_configENS1_25partition_config_selectorILNS1_17partition_subalgoE9EllbEEZZNS1_14partition_implILS5_9ELb0ES3_jPlS8_PNS0_10empty_typeENS0_5tupleIJS8_S9_EEENSB_IJS8_SA_EEENS0_18inequality_wrapperIZN2at6native12_GLOBAL__N_124unique_dim_cuda_templateItEESt5tupleIJNSF_6TensorESK_SK_EERKSK_lbbbEUlllE0_EEPmJS9_EEE10hipError_tPvRmT3_T4_T5_T6_T7_T9_mT8_P12ihipStream_tbDpT10_ENKUlT_T0_E_clISt17integral_constantIbLb0EES19_IbLb1EEEEDaS15_S16_EUlS15_E_NS1_11comp_targetILNS1_3genE4ELNS1_11target_archE910ELNS1_3gpuE8ELNS1_3repE0EEENS1_30default_config_static_selectorELNS0_4arch9wavefront6targetE0EEEvT1_.numbered_sgpr, 0
	.set _ZN7rocprim17ROCPRIM_400000_NS6detail17trampoline_kernelINS0_14default_configENS1_25partition_config_selectorILNS1_17partition_subalgoE9EllbEEZZNS1_14partition_implILS5_9ELb0ES3_jPlS8_PNS0_10empty_typeENS0_5tupleIJS8_S9_EEENSB_IJS8_SA_EEENS0_18inequality_wrapperIZN2at6native12_GLOBAL__N_124unique_dim_cuda_templateItEESt5tupleIJNSF_6TensorESK_SK_EERKSK_lbbbEUlllE0_EEPmJS9_EEE10hipError_tPvRmT3_T4_T5_T6_T7_T9_mT8_P12ihipStream_tbDpT10_ENKUlT_T0_E_clISt17integral_constantIbLb0EES19_IbLb1EEEEDaS15_S16_EUlS15_E_NS1_11comp_targetILNS1_3genE4ELNS1_11target_archE910ELNS1_3gpuE8ELNS1_3repE0EEENS1_30default_config_static_selectorELNS0_4arch9wavefront6targetE0EEEvT1_.num_named_barrier, 0
	.set _ZN7rocprim17ROCPRIM_400000_NS6detail17trampoline_kernelINS0_14default_configENS1_25partition_config_selectorILNS1_17partition_subalgoE9EllbEEZZNS1_14partition_implILS5_9ELb0ES3_jPlS8_PNS0_10empty_typeENS0_5tupleIJS8_S9_EEENSB_IJS8_SA_EEENS0_18inequality_wrapperIZN2at6native12_GLOBAL__N_124unique_dim_cuda_templateItEESt5tupleIJNSF_6TensorESK_SK_EERKSK_lbbbEUlllE0_EEPmJS9_EEE10hipError_tPvRmT3_T4_T5_T6_T7_T9_mT8_P12ihipStream_tbDpT10_ENKUlT_T0_E_clISt17integral_constantIbLb0EES19_IbLb1EEEEDaS15_S16_EUlS15_E_NS1_11comp_targetILNS1_3genE4ELNS1_11target_archE910ELNS1_3gpuE8ELNS1_3repE0EEENS1_30default_config_static_selectorELNS0_4arch9wavefront6targetE0EEEvT1_.private_seg_size, 0
	.set _ZN7rocprim17ROCPRIM_400000_NS6detail17trampoline_kernelINS0_14default_configENS1_25partition_config_selectorILNS1_17partition_subalgoE9EllbEEZZNS1_14partition_implILS5_9ELb0ES3_jPlS8_PNS0_10empty_typeENS0_5tupleIJS8_S9_EEENSB_IJS8_SA_EEENS0_18inequality_wrapperIZN2at6native12_GLOBAL__N_124unique_dim_cuda_templateItEESt5tupleIJNSF_6TensorESK_SK_EERKSK_lbbbEUlllE0_EEPmJS9_EEE10hipError_tPvRmT3_T4_T5_T6_T7_T9_mT8_P12ihipStream_tbDpT10_ENKUlT_T0_E_clISt17integral_constantIbLb0EES19_IbLb1EEEEDaS15_S16_EUlS15_E_NS1_11comp_targetILNS1_3genE4ELNS1_11target_archE910ELNS1_3gpuE8ELNS1_3repE0EEENS1_30default_config_static_selectorELNS0_4arch9wavefront6targetE0EEEvT1_.uses_vcc, 0
	.set _ZN7rocprim17ROCPRIM_400000_NS6detail17trampoline_kernelINS0_14default_configENS1_25partition_config_selectorILNS1_17partition_subalgoE9EllbEEZZNS1_14partition_implILS5_9ELb0ES3_jPlS8_PNS0_10empty_typeENS0_5tupleIJS8_S9_EEENSB_IJS8_SA_EEENS0_18inequality_wrapperIZN2at6native12_GLOBAL__N_124unique_dim_cuda_templateItEESt5tupleIJNSF_6TensorESK_SK_EERKSK_lbbbEUlllE0_EEPmJS9_EEE10hipError_tPvRmT3_T4_T5_T6_T7_T9_mT8_P12ihipStream_tbDpT10_ENKUlT_T0_E_clISt17integral_constantIbLb0EES19_IbLb1EEEEDaS15_S16_EUlS15_E_NS1_11comp_targetILNS1_3genE4ELNS1_11target_archE910ELNS1_3gpuE8ELNS1_3repE0EEENS1_30default_config_static_selectorELNS0_4arch9wavefront6targetE0EEEvT1_.uses_flat_scratch, 0
	.set _ZN7rocprim17ROCPRIM_400000_NS6detail17trampoline_kernelINS0_14default_configENS1_25partition_config_selectorILNS1_17partition_subalgoE9EllbEEZZNS1_14partition_implILS5_9ELb0ES3_jPlS8_PNS0_10empty_typeENS0_5tupleIJS8_S9_EEENSB_IJS8_SA_EEENS0_18inequality_wrapperIZN2at6native12_GLOBAL__N_124unique_dim_cuda_templateItEESt5tupleIJNSF_6TensorESK_SK_EERKSK_lbbbEUlllE0_EEPmJS9_EEE10hipError_tPvRmT3_T4_T5_T6_T7_T9_mT8_P12ihipStream_tbDpT10_ENKUlT_T0_E_clISt17integral_constantIbLb0EES19_IbLb1EEEEDaS15_S16_EUlS15_E_NS1_11comp_targetILNS1_3genE4ELNS1_11target_archE910ELNS1_3gpuE8ELNS1_3repE0EEENS1_30default_config_static_selectorELNS0_4arch9wavefront6targetE0EEEvT1_.has_dyn_sized_stack, 0
	.set _ZN7rocprim17ROCPRIM_400000_NS6detail17trampoline_kernelINS0_14default_configENS1_25partition_config_selectorILNS1_17partition_subalgoE9EllbEEZZNS1_14partition_implILS5_9ELb0ES3_jPlS8_PNS0_10empty_typeENS0_5tupleIJS8_S9_EEENSB_IJS8_SA_EEENS0_18inequality_wrapperIZN2at6native12_GLOBAL__N_124unique_dim_cuda_templateItEESt5tupleIJNSF_6TensorESK_SK_EERKSK_lbbbEUlllE0_EEPmJS9_EEE10hipError_tPvRmT3_T4_T5_T6_T7_T9_mT8_P12ihipStream_tbDpT10_ENKUlT_T0_E_clISt17integral_constantIbLb0EES19_IbLb1EEEEDaS15_S16_EUlS15_E_NS1_11comp_targetILNS1_3genE4ELNS1_11target_archE910ELNS1_3gpuE8ELNS1_3repE0EEENS1_30default_config_static_selectorELNS0_4arch9wavefront6targetE0EEEvT1_.has_recursion, 0
	.set _ZN7rocprim17ROCPRIM_400000_NS6detail17trampoline_kernelINS0_14default_configENS1_25partition_config_selectorILNS1_17partition_subalgoE9EllbEEZZNS1_14partition_implILS5_9ELb0ES3_jPlS8_PNS0_10empty_typeENS0_5tupleIJS8_S9_EEENSB_IJS8_SA_EEENS0_18inequality_wrapperIZN2at6native12_GLOBAL__N_124unique_dim_cuda_templateItEESt5tupleIJNSF_6TensorESK_SK_EERKSK_lbbbEUlllE0_EEPmJS9_EEE10hipError_tPvRmT3_T4_T5_T6_T7_T9_mT8_P12ihipStream_tbDpT10_ENKUlT_T0_E_clISt17integral_constantIbLb0EES19_IbLb1EEEEDaS15_S16_EUlS15_E_NS1_11comp_targetILNS1_3genE4ELNS1_11target_archE910ELNS1_3gpuE8ELNS1_3repE0EEENS1_30default_config_static_selectorELNS0_4arch9wavefront6targetE0EEEvT1_.has_indirect_call, 0
	.section	.AMDGPU.csdata,"",@progbits
; Kernel info:
; codeLenInByte = 0
; TotalNumSgprs: 0
; NumVgprs: 0
; ScratchSize: 0
; MemoryBound: 0
; FloatMode: 240
; IeeeMode: 1
; LDSByteSize: 0 bytes/workgroup (compile time only)
; SGPRBlocks: 0
; VGPRBlocks: 0
; NumSGPRsForWavesPerEU: 1
; NumVGPRsForWavesPerEU: 1
; NamedBarCnt: 0
; Occupancy: 16
; WaveLimiterHint : 0
; COMPUTE_PGM_RSRC2:SCRATCH_EN: 0
; COMPUTE_PGM_RSRC2:USER_SGPR: 2
; COMPUTE_PGM_RSRC2:TRAP_HANDLER: 0
; COMPUTE_PGM_RSRC2:TGID_X_EN: 1
; COMPUTE_PGM_RSRC2:TGID_Y_EN: 0
; COMPUTE_PGM_RSRC2:TGID_Z_EN: 0
; COMPUTE_PGM_RSRC2:TIDIG_COMP_CNT: 0
	.section	.text._ZN7rocprim17ROCPRIM_400000_NS6detail17trampoline_kernelINS0_14default_configENS1_25partition_config_selectorILNS1_17partition_subalgoE9EllbEEZZNS1_14partition_implILS5_9ELb0ES3_jPlS8_PNS0_10empty_typeENS0_5tupleIJS8_S9_EEENSB_IJS8_SA_EEENS0_18inequality_wrapperIZN2at6native12_GLOBAL__N_124unique_dim_cuda_templateItEESt5tupleIJNSF_6TensorESK_SK_EERKSK_lbbbEUlllE0_EEPmJS9_EEE10hipError_tPvRmT3_T4_T5_T6_T7_T9_mT8_P12ihipStream_tbDpT10_ENKUlT_T0_E_clISt17integral_constantIbLb0EES19_IbLb1EEEEDaS15_S16_EUlS15_E_NS1_11comp_targetILNS1_3genE3ELNS1_11target_archE908ELNS1_3gpuE7ELNS1_3repE0EEENS1_30default_config_static_selectorELNS0_4arch9wavefront6targetE0EEEvT1_,"axG",@progbits,_ZN7rocprim17ROCPRIM_400000_NS6detail17trampoline_kernelINS0_14default_configENS1_25partition_config_selectorILNS1_17partition_subalgoE9EllbEEZZNS1_14partition_implILS5_9ELb0ES3_jPlS8_PNS0_10empty_typeENS0_5tupleIJS8_S9_EEENSB_IJS8_SA_EEENS0_18inequality_wrapperIZN2at6native12_GLOBAL__N_124unique_dim_cuda_templateItEESt5tupleIJNSF_6TensorESK_SK_EERKSK_lbbbEUlllE0_EEPmJS9_EEE10hipError_tPvRmT3_T4_T5_T6_T7_T9_mT8_P12ihipStream_tbDpT10_ENKUlT_T0_E_clISt17integral_constantIbLb0EES19_IbLb1EEEEDaS15_S16_EUlS15_E_NS1_11comp_targetILNS1_3genE3ELNS1_11target_archE908ELNS1_3gpuE7ELNS1_3repE0EEENS1_30default_config_static_selectorELNS0_4arch9wavefront6targetE0EEEvT1_,comdat
	.globl	_ZN7rocprim17ROCPRIM_400000_NS6detail17trampoline_kernelINS0_14default_configENS1_25partition_config_selectorILNS1_17partition_subalgoE9EllbEEZZNS1_14partition_implILS5_9ELb0ES3_jPlS8_PNS0_10empty_typeENS0_5tupleIJS8_S9_EEENSB_IJS8_SA_EEENS0_18inequality_wrapperIZN2at6native12_GLOBAL__N_124unique_dim_cuda_templateItEESt5tupleIJNSF_6TensorESK_SK_EERKSK_lbbbEUlllE0_EEPmJS9_EEE10hipError_tPvRmT3_T4_T5_T6_T7_T9_mT8_P12ihipStream_tbDpT10_ENKUlT_T0_E_clISt17integral_constantIbLb0EES19_IbLb1EEEEDaS15_S16_EUlS15_E_NS1_11comp_targetILNS1_3genE3ELNS1_11target_archE908ELNS1_3gpuE7ELNS1_3repE0EEENS1_30default_config_static_selectorELNS0_4arch9wavefront6targetE0EEEvT1_ ; -- Begin function _ZN7rocprim17ROCPRIM_400000_NS6detail17trampoline_kernelINS0_14default_configENS1_25partition_config_selectorILNS1_17partition_subalgoE9EllbEEZZNS1_14partition_implILS5_9ELb0ES3_jPlS8_PNS0_10empty_typeENS0_5tupleIJS8_S9_EEENSB_IJS8_SA_EEENS0_18inequality_wrapperIZN2at6native12_GLOBAL__N_124unique_dim_cuda_templateItEESt5tupleIJNSF_6TensorESK_SK_EERKSK_lbbbEUlllE0_EEPmJS9_EEE10hipError_tPvRmT3_T4_T5_T6_T7_T9_mT8_P12ihipStream_tbDpT10_ENKUlT_T0_E_clISt17integral_constantIbLb0EES19_IbLb1EEEEDaS15_S16_EUlS15_E_NS1_11comp_targetILNS1_3genE3ELNS1_11target_archE908ELNS1_3gpuE7ELNS1_3repE0EEENS1_30default_config_static_selectorELNS0_4arch9wavefront6targetE0EEEvT1_
	.p2align	8
	.type	_ZN7rocprim17ROCPRIM_400000_NS6detail17trampoline_kernelINS0_14default_configENS1_25partition_config_selectorILNS1_17partition_subalgoE9EllbEEZZNS1_14partition_implILS5_9ELb0ES3_jPlS8_PNS0_10empty_typeENS0_5tupleIJS8_S9_EEENSB_IJS8_SA_EEENS0_18inequality_wrapperIZN2at6native12_GLOBAL__N_124unique_dim_cuda_templateItEESt5tupleIJNSF_6TensorESK_SK_EERKSK_lbbbEUlllE0_EEPmJS9_EEE10hipError_tPvRmT3_T4_T5_T6_T7_T9_mT8_P12ihipStream_tbDpT10_ENKUlT_T0_E_clISt17integral_constantIbLb0EES19_IbLb1EEEEDaS15_S16_EUlS15_E_NS1_11comp_targetILNS1_3genE3ELNS1_11target_archE908ELNS1_3gpuE7ELNS1_3repE0EEENS1_30default_config_static_selectorELNS0_4arch9wavefront6targetE0EEEvT1_,@function
_ZN7rocprim17ROCPRIM_400000_NS6detail17trampoline_kernelINS0_14default_configENS1_25partition_config_selectorILNS1_17partition_subalgoE9EllbEEZZNS1_14partition_implILS5_9ELb0ES3_jPlS8_PNS0_10empty_typeENS0_5tupleIJS8_S9_EEENSB_IJS8_SA_EEENS0_18inequality_wrapperIZN2at6native12_GLOBAL__N_124unique_dim_cuda_templateItEESt5tupleIJNSF_6TensorESK_SK_EERKSK_lbbbEUlllE0_EEPmJS9_EEE10hipError_tPvRmT3_T4_T5_T6_T7_T9_mT8_P12ihipStream_tbDpT10_ENKUlT_T0_E_clISt17integral_constantIbLb0EES19_IbLb1EEEEDaS15_S16_EUlS15_E_NS1_11comp_targetILNS1_3genE3ELNS1_11target_archE908ELNS1_3gpuE7ELNS1_3repE0EEENS1_30default_config_static_selectorELNS0_4arch9wavefront6targetE0EEEvT1_: ; @_ZN7rocprim17ROCPRIM_400000_NS6detail17trampoline_kernelINS0_14default_configENS1_25partition_config_selectorILNS1_17partition_subalgoE9EllbEEZZNS1_14partition_implILS5_9ELb0ES3_jPlS8_PNS0_10empty_typeENS0_5tupleIJS8_S9_EEENSB_IJS8_SA_EEENS0_18inequality_wrapperIZN2at6native12_GLOBAL__N_124unique_dim_cuda_templateItEESt5tupleIJNSF_6TensorESK_SK_EERKSK_lbbbEUlllE0_EEPmJS9_EEE10hipError_tPvRmT3_T4_T5_T6_T7_T9_mT8_P12ihipStream_tbDpT10_ENKUlT_T0_E_clISt17integral_constantIbLb0EES19_IbLb1EEEEDaS15_S16_EUlS15_E_NS1_11comp_targetILNS1_3genE3ELNS1_11target_archE908ELNS1_3gpuE7ELNS1_3repE0EEENS1_30default_config_static_selectorELNS0_4arch9wavefront6targetE0EEEvT1_
; %bb.0:
	.section	.rodata,"a",@progbits
	.p2align	6, 0x0
	.amdhsa_kernel _ZN7rocprim17ROCPRIM_400000_NS6detail17trampoline_kernelINS0_14default_configENS1_25partition_config_selectorILNS1_17partition_subalgoE9EllbEEZZNS1_14partition_implILS5_9ELb0ES3_jPlS8_PNS0_10empty_typeENS0_5tupleIJS8_S9_EEENSB_IJS8_SA_EEENS0_18inequality_wrapperIZN2at6native12_GLOBAL__N_124unique_dim_cuda_templateItEESt5tupleIJNSF_6TensorESK_SK_EERKSK_lbbbEUlllE0_EEPmJS9_EEE10hipError_tPvRmT3_T4_T5_T6_T7_T9_mT8_P12ihipStream_tbDpT10_ENKUlT_T0_E_clISt17integral_constantIbLb0EES19_IbLb1EEEEDaS15_S16_EUlS15_E_NS1_11comp_targetILNS1_3genE3ELNS1_11target_archE908ELNS1_3gpuE7ELNS1_3repE0EEENS1_30default_config_static_selectorELNS0_4arch9wavefront6targetE0EEEvT1_
		.amdhsa_group_segment_fixed_size 0
		.amdhsa_private_segment_fixed_size 0
		.amdhsa_kernarg_size 136
		.amdhsa_user_sgpr_count 2
		.amdhsa_user_sgpr_dispatch_ptr 0
		.amdhsa_user_sgpr_queue_ptr 0
		.amdhsa_user_sgpr_kernarg_segment_ptr 1
		.amdhsa_user_sgpr_dispatch_id 0
		.amdhsa_user_sgpr_kernarg_preload_length 0
		.amdhsa_user_sgpr_kernarg_preload_offset 0
		.amdhsa_user_sgpr_private_segment_size 0
		.amdhsa_wavefront_size32 1
		.amdhsa_uses_dynamic_stack 0
		.amdhsa_enable_private_segment 0
		.amdhsa_system_sgpr_workgroup_id_x 1
		.amdhsa_system_sgpr_workgroup_id_y 0
		.amdhsa_system_sgpr_workgroup_id_z 0
		.amdhsa_system_sgpr_workgroup_info 0
		.amdhsa_system_vgpr_workitem_id 0
		.amdhsa_next_free_vgpr 1
		.amdhsa_next_free_sgpr 1
		.amdhsa_named_barrier_count 0
		.amdhsa_reserve_vcc 0
		.amdhsa_float_round_mode_32 0
		.amdhsa_float_round_mode_16_64 0
		.amdhsa_float_denorm_mode_32 3
		.amdhsa_float_denorm_mode_16_64 3
		.amdhsa_fp16_overflow 0
		.amdhsa_memory_ordered 1
		.amdhsa_forward_progress 1
		.amdhsa_inst_pref_size 0
		.amdhsa_round_robin_scheduling 0
		.amdhsa_exception_fp_ieee_invalid_op 0
		.amdhsa_exception_fp_denorm_src 0
		.amdhsa_exception_fp_ieee_div_zero 0
		.amdhsa_exception_fp_ieee_overflow 0
		.amdhsa_exception_fp_ieee_underflow 0
		.amdhsa_exception_fp_ieee_inexact 0
		.amdhsa_exception_int_div_zero 0
	.end_amdhsa_kernel
	.section	.text._ZN7rocprim17ROCPRIM_400000_NS6detail17trampoline_kernelINS0_14default_configENS1_25partition_config_selectorILNS1_17partition_subalgoE9EllbEEZZNS1_14partition_implILS5_9ELb0ES3_jPlS8_PNS0_10empty_typeENS0_5tupleIJS8_S9_EEENSB_IJS8_SA_EEENS0_18inequality_wrapperIZN2at6native12_GLOBAL__N_124unique_dim_cuda_templateItEESt5tupleIJNSF_6TensorESK_SK_EERKSK_lbbbEUlllE0_EEPmJS9_EEE10hipError_tPvRmT3_T4_T5_T6_T7_T9_mT8_P12ihipStream_tbDpT10_ENKUlT_T0_E_clISt17integral_constantIbLb0EES19_IbLb1EEEEDaS15_S16_EUlS15_E_NS1_11comp_targetILNS1_3genE3ELNS1_11target_archE908ELNS1_3gpuE7ELNS1_3repE0EEENS1_30default_config_static_selectorELNS0_4arch9wavefront6targetE0EEEvT1_,"axG",@progbits,_ZN7rocprim17ROCPRIM_400000_NS6detail17trampoline_kernelINS0_14default_configENS1_25partition_config_selectorILNS1_17partition_subalgoE9EllbEEZZNS1_14partition_implILS5_9ELb0ES3_jPlS8_PNS0_10empty_typeENS0_5tupleIJS8_S9_EEENSB_IJS8_SA_EEENS0_18inequality_wrapperIZN2at6native12_GLOBAL__N_124unique_dim_cuda_templateItEESt5tupleIJNSF_6TensorESK_SK_EERKSK_lbbbEUlllE0_EEPmJS9_EEE10hipError_tPvRmT3_T4_T5_T6_T7_T9_mT8_P12ihipStream_tbDpT10_ENKUlT_T0_E_clISt17integral_constantIbLb0EES19_IbLb1EEEEDaS15_S16_EUlS15_E_NS1_11comp_targetILNS1_3genE3ELNS1_11target_archE908ELNS1_3gpuE7ELNS1_3repE0EEENS1_30default_config_static_selectorELNS0_4arch9wavefront6targetE0EEEvT1_,comdat
.Lfunc_end1478:
	.size	_ZN7rocprim17ROCPRIM_400000_NS6detail17trampoline_kernelINS0_14default_configENS1_25partition_config_selectorILNS1_17partition_subalgoE9EllbEEZZNS1_14partition_implILS5_9ELb0ES3_jPlS8_PNS0_10empty_typeENS0_5tupleIJS8_S9_EEENSB_IJS8_SA_EEENS0_18inequality_wrapperIZN2at6native12_GLOBAL__N_124unique_dim_cuda_templateItEESt5tupleIJNSF_6TensorESK_SK_EERKSK_lbbbEUlllE0_EEPmJS9_EEE10hipError_tPvRmT3_T4_T5_T6_T7_T9_mT8_P12ihipStream_tbDpT10_ENKUlT_T0_E_clISt17integral_constantIbLb0EES19_IbLb1EEEEDaS15_S16_EUlS15_E_NS1_11comp_targetILNS1_3genE3ELNS1_11target_archE908ELNS1_3gpuE7ELNS1_3repE0EEENS1_30default_config_static_selectorELNS0_4arch9wavefront6targetE0EEEvT1_, .Lfunc_end1478-_ZN7rocprim17ROCPRIM_400000_NS6detail17trampoline_kernelINS0_14default_configENS1_25partition_config_selectorILNS1_17partition_subalgoE9EllbEEZZNS1_14partition_implILS5_9ELb0ES3_jPlS8_PNS0_10empty_typeENS0_5tupleIJS8_S9_EEENSB_IJS8_SA_EEENS0_18inequality_wrapperIZN2at6native12_GLOBAL__N_124unique_dim_cuda_templateItEESt5tupleIJNSF_6TensorESK_SK_EERKSK_lbbbEUlllE0_EEPmJS9_EEE10hipError_tPvRmT3_T4_T5_T6_T7_T9_mT8_P12ihipStream_tbDpT10_ENKUlT_T0_E_clISt17integral_constantIbLb0EES19_IbLb1EEEEDaS15_S16_EUlS15_E_NS1_11comp_targetILNS1_3genE3ELNS1_11target_archE908ELNS1_3gpuE7ELNS1_3repE0EEENS1_30default_config_static_selectorELNS0_4arch9wavefront6targetE0EEEvT1_
                                        ; -- End function
	.set _ZN7rocprim17ROCPRIM_400000_NS6detail17trampoline_kernelINS0_14default_configENS1_25partition_config_selectorILNS1_17partition_subalgoE9EllbEEZZNS1_14partition_implILS5_9ELb0ES3_jPlS8_PNS0_10empty_typeENS0_5tupleIJS8_S9_EEENSB_IJS8_SA_EEENS0_18inequality_wrapperIZN2at6native12_GLOBAL__N_124unique_dim_cuda_templateItEESt5tupleIJNSF_6TensorESK_SK_EERKSK_lbbbEUlllE0_EEPmJS9_EEE10hipError_tPvRmT3_T4_T5_T6_T7_T9_mT8_P12ihipStream_tbDpT10_ENKUlT_T0_E_clISt17integral_constantIbLb0EES19_IbLb1EEEEDaS15_S16_EUlS15_E_NS1_11comp_targetILNS1_3genE3ELNS1_11target_archE908ELNS1_3gpuE7ELNS1_3repE0EEENS1_30default_config_static_selectorELNS0_4arch9wavefront6targetE0EEEvT1_.num_vgpr, 0
	.set _ZN7rocprim17ROCPRIM_400000_NS6detail17trampoline_kernelINS0_14default_configENS1_25partition_config_selectorILNS1_17partition_subalgoE9EllbEEZZNS1_14partition_implILS5_9ELb0ES3_jPlS8_PNS0_10empty_typeENS0_5tupleIJS8_S9_EEENSB_IJS8_SA_EEENS0_18inequality_wrapperIZN2at6native12_GLOBAL__N_124unique_dim_cuda_templateItEESt5tupleIJNSF_6TensorESK_SK_EERKSK_lbbbEUlllE0_EEPmJS9_EEE10hipError_tPvRmT3_T4_T5_T6_T7_T9_mT8_P12ihipStream_tbDpT10_ENKUlT_T0_E_clISt17integral_constantIbLb0EES19_IbLb1EEEEDaS15_S16_EUlS15_E_NS1_11comp_targetILNS1_3genE3ELNS1_11target_archE908ELNS1_3gpuE7ELNS1_3repE0EEENS1_30default_config_static_selectorELNS0_4arch9wavefront6targetE0EEEvT1_.num_agpr, 0
	.set _ZN7rocprim17ROCPRIM_400000_NS6detail17trampoline_kernelINS0_14default_configENS1_25partition_config_selectorILNS1_17partition_subalgoE9EllbEEZZNS1_14partition_implILS5_9ELb0ES3_jPlS8_PNS0_10empty_typeENS0_5tupleIJS8_S9_EEENSB_IJS8_SA_EEENS0_18inequality_wrapperIZN2at6native12_GLOBAL__N_124unique_dim_cuda_templateItEESt5tupleIJNSF_6TensorESK_SK_EERKSK_lbbbEUlllE0_EEPmJS9_EEE10hipError_tPvRmT3_T4_T5_T6_T7_T9_mT8_P12ihipStream_tbDpT10_ENKUlT_T0_E_clISt17integral_constantIbLb0EES19_IbLb1EEEEDaS15_S16_EUlS15_E_NS1_11comp_targetILNS1_3genE3ELNS1_11target_archE908ELNS1_3gpuE7ELNS1_3repE0EEENS1_30default_config_static_selectorELNS0_4arch9wavefront6targetE0EEEvT1_.numbered_sgpr, 0
	.set _ZN7rocprim17ROCPRIM_400000_NS6detail17trampoline_kernelINS0_14default_configENS1_25partition_config_selectorILNS1_17partition_subalgoE9EllbEEZZNS1_14partition_implILS5_9ELb0ES3_jPlS8_PNS0_10empty_typeENS0_5tupleIJS8_S9_EEENSB_IJS8_SA_EEENS0_18inequality_wrapperIZN2at6native12_GLOBAL__N_124unique_dim_cuda_templateItEESt5tupleIJNSF_6TensorESK_SK_EERKSK_lbbbEUlllE0_EEPmJS9_EEE10hipError_tPvRmT3_T4_T5_T6_T7_T9_mT8_P12ihipStream_tbDpT10_ENKUlT_T0_E_clISt17integral_constantIbLb0EES19_IbLb1EEEEDaS15_S16_EUlS15_E_NS1_11comp_targetILNS1_3genE3ELNS1_11target_archE908ELNS1_3gpuE7ELNS1_3repE0EEENS1_30default_config_static_selectorELNS0_4arch9wavefront6targetE0EEEvT1_.num_named_barrier, 0
	.set _ZN7rocprim17ROCPRIM_400000_NS6detail17trampoline_kernelINS0_14default_configENS1_25partition_config_selectorILNS1_17partition_subalgoE9EllbEEZZNS1_14partition_implILS5_9ELb0ES3_jPlS8_PNS0_10empty_typeENS0_5tupleIJS8_S9_EEENSB_IJS8_SA_EEENS0_18inequality_wrapperIZN2at6native12_GLOBAL__N_124unique_dim_cuda_templateItEESt5tupleIJNSF_6TensorESK_SK_EERKSK_lbbbEUlllE0_EEPmJS9_EEE10hipError_tPvRmT3_T4_T5_T6_T7_T9_mT8_P12ihipStream_tbDpT10_ENKUlT_T0_E_clISt17integral_constantIbLb0EES19_IbLb1EEEEDaS15_S16_EUlS15_E_NS1_11comp_targetILNS1_3genE3ELNS1_11target_archE908ELNS1_3gpuE7ELNS1_3repE0EEENS1_30default_config_static_selectorELNS0_4arch9wavefront6targetE0EEEvT1_.private_seg_size, 0
	.set _ZN7rocprim17ROCPRIM_400000_NS6detail17trampoline_kernelINS0_14default_configENS1_25partition_config_selectorILNS1_17partition_subalgoE9EllbEEZZNS1_14partition_implILS5_9ELb0ES3_jPlS8_PNS0_10empty_typeENS0_5tupleIJS8_S9_EEENSB_IJS8_SA_EEENS0_18inequality_wrapperIZN2at6native12_GLOBAL__N_124unique_dim_cuda_templateItEESt5tupleIJNSF_6TensorESK_SK_EERKSK_lbbbEUlllE0_EEPmJS9_EEE10hipError_tPvRmT3_T4_T5_T6_T7_T9_mT8_P12ihipStream_tbDpT10_ENKUlT_T0_E_clISt17integral_constantIbLb0EES19_IbLb1EEEEDaS15_S16_EUlS15_E_NS1_11comp_targetILNS1_3genE3ELNS1_11target_archE908ELNS1_3gpuE7ELNS1_3repE0EEENS1_30default_config_static_selectorELNS0_4arch9wavefront6targetE0EEEvT1_.uses_vcc, 0
	.set _ZN7rocprim17ROCPRIM_400000_NS6detail17trampoline_kernelINS0_14default_configENS1_25partition_config_selectorILNS1_17partition_subalgoE9EllbEEZZNS1_14partition_implILS5_9ELb0ES3_jPlS8_PNS0_10empty_typeENS0_5tupleIJS8_S9_EEENSB_IJS8_SA_EEENS0_18inequality_wrapperIZN2at6native12_GLOBAL__N_124unique_dim_cuda_templateItEESt5tupleIJNSF_6TensorESK_SK_EERKSK_lbbbEUlllE0_EEPmJS9_EEE10hipError_tPvRmT3_T4_T5_T6_T7_T9_mT8_P12ihipStream_tbDpT10_ENKUlT_T0_E_clISt17integral_constantIbLb0EES19_IbLb1EEEEDaS15_S16_EUlS15_E_NS1_11comp_targetILNS1_3genE3ELNS1_11target_archE908ELNS1_3gpuE7ELNS1_3repE0EEENS1_30default_config_static_selectorELNS0_4arch9wavefront6targetE0EEEvT1_.uses_flat_scratch, 0
	.set _ZN7rocprim17ROCPRIM_400000_NS6detail17trampoline_kernelINS0_14default_configENS1_25partition_config_selectorILNS1_17partition_subalgoE9EllbEEZZNS1_14partition_implILS5_9ELb0ES3_jPlS8_PNS0_10empty_typeENS0_5tupleIJS8_S9_EEENSB_IJS8_SA_EEENS0_18inequality_wrapperIZN2at6native12_GLOBAL__N_124unique_dim_cuda_templateItEESt5tupleIJNSF_6TensorESK_SK_EERKSK_lbbbEUlllE0_EEPmJS9_EEE10hipError_tPvRmT3_T4_T5_T6_T7_T9_mT8_P12ihipStream_tbDpT10_ENKUlT_T0_E_clISt17integral_constantIbLb0EES19_IbLb1EEEEDaS15_S16_EUlS15_E_NS1_11comp_targetILNS1_3genE3ELNS1_11target_archE908ELNS1_3gpuE7ELNS1_3repE0EEENS1_30default_config_static_selectorELNS0_4arch9wavefront6targetE0EEEvT1_.has_dyn_sized_stack, 0
	.set _ZN7rocprim17ROCPRIM_400000_NS6detail17trampoline_kernelINS0_14default_configENS1_25partition_config_selectorILNS1_17partition_subalgoE9EllbEEZZNS1_14partition_implILS5_9ELb0ES3_jPlS8_PNS0_10empty_typeENS0_5tupleIJS8_S9_EEENSB_IJS8_SA_EEENS0_18inequality_wrapperIZN2at6native12_GLOBAL__N_124unique_dim_cuda_templateItEESt5tupleIJNSF_6TensorESK_SK_EERKSK_lbbbEUlllE0_EEPmJS9_EEE10hipError_tPvRmT3_T4_T5_T6_T7_T9_mT8_P12ihipStream_tbDpT10_ENKUlT_T0_E_clISt17integral_constantIbLb0EES19_IbLb1EEEEDaS15_S16_EUlS15_E_NS1_11comp_targetILNS1_3genE3ELNS1_11target_archE908ELNS1_3gpuE7ELNS1_3repE0EEENS1_30default_config_static_selectorELNS0_4arch9wavefront6targetE0EEEvT1_.has_recursion, 0
	.set _ZN7rocprim17ROCPRIM_400000_NS6detail17trampoline_kernelINS0_14default_configENS1_25partition_config_selectorILNS1_17partition_subalgoE9EllbEEZZNS1_14partition_implILS5_9ELb0ES3_jPlS8_PNS0_10empty_typeENS0_5tupleIJS8_S9_EEENSB_IJS8_SA_EEENS0_18inequality_wrapperIZN2at6native12_GLOBAL__N_124unique_dim_cuda_templateItEESt5tupleIJNSF_6TensorESK_SK_EERKSK_lbbbEUlllE0_EEPmJS9_EEE10hipError_tPvRmT3_T4_T5_T6_T7_T9_mT8_P12ihipStream_tbDpT10_ENKUlT_T0_E_clISt17integral_constantIbLb0EES19_IbLb1EEEEDaS15_S16_EUlS15_E_NS1_11comp_targetILNS1_3genE3ELNS1_11target_archE908ELNS1_3gpuE7ELNS1_3repE0EEENS1_30default_config_static_selectorELNS0_4arch9wavefront6targetE0EEEvT1_.has_indirect_call, 0
	.section	.AMDGPU.csdata,"",@progbits
; Kernel info:
; codeLenInByte = 0
; TotalNumSgprs: 0
; NumVgprs: 0
; ScratchSize: 0
; MemoryBound: 0
; FloatMode: 240
; IeeeMode: 1
; LDSByteSize: 0 bytes/workgroup (compile time only)
; SGPRBlocks: 0
; VGPRBlocks: 0
; NumSGPRsForWavesPerEU: 1
; NumVGPRsForWavesPerEU: 1
; NamedBarCnt: 0
; Occupancy: 16
; WaveLimiterHint : 0
; COMPUTE_PGM_RSRC2:SCRATCH_EN: 0
; COMPUTE_PGM_RSRC2:USER_SGPR: 2
; COMPUTE_PGM_RSRC2:TRAP_HANDLER: 0
; COMPUTE_PGM_RSRC2:TGID_X_EN: 1
; COMPUTE_PGM_RSRC2:TGID_Y_EN: 0
; COMPUTE_PGM_RSRC2:TGID_Z_EN: 0
; COMPUTE_PGM_RSRC2:TIDIG_COMP_CNT: 0
	.section	.text._ZN7rocprim17ROCPRIM_400000_NS6detail17trampoline_kernelINS0_14default_configENS1_25partition_config_selectorILNS1_17partition_subalgoE9EllbEEZZNS1_14partition_implILS5_9ELb0ES3_jPlS8_PNS0_10empty_typeENS0_5tupleIJS8_S9_EEENSB_IJS8_SA_EEENS0_18inequality_wrapperIZN2at6native12_GLOBAL__N_124unique_dim_cuda_templateItEESt5tupleIJNSF_6TensorESK_SK_EERKSK_lbbbEUlllE0_EEPmJS9_EEE10hipError_tPvRmT3_T4_T5_T6_T7_T9_mT8_P12ihipStream_tbDpT10_ENKUlT_T0_E_clISt17integral_constantIbLb0EES19_IbLb1EEEEDaS15_S16_EUlS15_E_NS1_11comp_targetILNS1_3genE2ELNS1_11target_archE906ELNS1_3gpuE6ELNS1_3repE0EEENS1_30default_config_static_selectorELNS0_4arch9wavefront6targetE0EEEvT1_,"axG",@progbits,_ZN7rocprim17ROCPRIM_400000_NS6detail17trampoline_kernelINS0_14default_configENS1_25partition_config_selectorILNS1_17partition_subalgoE9EllbEEZZNS1_14partition_implILS5_9ELb0ES3_jPlS8_PNS0_10empty_typeENS0_5tupleIJS8_S9_EEENSB_IJS8_SA_EEENS0_18inequality_wrapperIZN2at6native12_GLOBAL__N_124unique_dim_cuda_templateItEESt5tupleIJNSF_6TensorESK_SK_EERKSK_lbbbEUlllE0_EEPmJS9_EEE10hipError_tPvRmT3_T4_T5_T6_T7_T9_mT8_P12ihipStream_tbDpT10_ENKUlT_T0_E_clISt17integral_constantIbLb0EES19_IbLb1EEEEDaS15_S16_EUlS15_E_NS1_11comp_targetILNS1_3genE2ELNS1_11target_archE906ELNS1_3gpuE6ELNS1_3repE0EEENS1_30default_config_static_selectorELNS0_4arch9wavefront6targetE0EEEvT1_,comdat
	.globl	_ZN7rocprim17ROCPRIM_400000_NS6detail17trampoline_kernelINS0_14default_configENS1_25partition_config_selectorILNS1_17partition_subalgoE9EllbEEZZNS1_14partition_implILS5_9ELb0ES3_jPlS8_PNS0_10empty_typeENS0_5tupleIJS8_S9_EEENSB_IJS8_SA_EEENS0_18inequality_wrapperIZN2at6native12_GLOBAL__N_124unique_dim_cuda_templateItEESt5tupleIJNSF_6TensorESK_SK_EERKSK_lbbbEUlllE0_EEPmJS9_EEE10hipError_tPvRmT3_T4_T5_T6_T7_T9_mT8_P12ihipStream_tbDpT10_ENKUlT_T0_E_clISt17integral_constantIbLb0EES19_IbLb1EEEEDaS15_S16_EUlS15_E_NS1_11comp_targetILNS1_3genE2ELNS1_11target_archE906ELNS1_3gpuE6ELNS1_3repE0EEENS1_30default_config_static_selectorELNS0_4arch9wavefront6targetE0EEEvT1_ ; -- Begin function _ZN7rocprim17ROCPRIM_400000_NS6detail17trampoline_kernelINS0_14default_configENS1_25partition_config_selectorILNS1_17partition_subalgoE9EllbEEZZNS1_14partition_implILS5_9ELb0ES3_jPlS8_PNS0_10empty_typeENS0_5tupleIJS8_S9_EEENSB_IJS8_SA_EEENS0_18inequality_wrapperIZN2at6native12_GLOBAL__N_124unique_dim_cuda_templateItEESt5tupleIJNSF_6TensorESK_SK_EERKSK_lbbbEUlllE0_EEPmJS9_EEE10hipError_tPvRmT3_T4_T5_T6_T7_T9_mT8_P12ihipStream_tbDpT10_ENKUlT_T0_E_clISt17integral_constantIbLb0EES19_IbLb1EEEEDaS15_S16_EUlS15_E_NS1_11comp_targetILNS1_3genE2ELNS1_11target_archE906ELNS1_3gpuE6ELNS1_3repE0EEENS1_30default_config_static_selectorELNS0_4arch9wavefront6targetE0EEEvT1_
	.p2align	8
	.type	_ZN7rocprim17ROCPRIM_400000_NS6detail17trampoline_kernelINS0_14default_configENS1_25partition_config_selectorILNS1_17partition_subalgoE9EllbEEZZNS1_14partition_implILS5_9ELb0ES3_jPlS8_PNS0_10empty_typeENS0_5tupleIJS8_S9_EEENSB_IJS8_SA_EEENS0_18inequality_wrapperIZN2at6native12_GLOBAL__N_124unique_dim_cuda_templateItEESt5tupleIJNSF_6TensorESK_SK_EERKSK_lbbbEUlllE0_EEPmJS9_EEE10hipError_tPvRmT3_T4_T5_T6_T7_T9_mT8_P12ihipStream_tbDpT10_ENKUlT_T0_E_clISt17integral_constantIbLb0EES19_IbLb1EEEEDaS15_S16_EUlS15_E_NS1_11comp_targetILNS1_3genE2ELNS1_11target_archE906ELNS1_3gpuE6ELNS1_3repE0EEENS1_30default_config_static_selectorELNS0_4arch9wavefront6targetE0EEEvT1_,@function
_ZN7rocprim17ROCPRIM_400000_NS6detail17trampoline_kernelINS0_14default_configENS1_25partition_config_selectorILNS1_17partition_subalgoE9EllbEEZZNS1_14partition_implILS5_9ELb0ES3_jPlS8_PNS0_10empty_typeENS0_5tupleIJS8_S9_EEENSB_IJS8_SA_EEENS0_18inequality_wrapperIZN2at6native12_GLOBAL__N_124unique_dim_cuda_templateItEESt5tupleIJNSF_6TensorESK_SK_EERKSK_lbbbEUlllE0_EEPmJS9_EEE10hipError_tPvRmT3_T4_T5_T6_T7_T9_mT8_P12ihipStream_tbDpT10_ENKUlT_T0_E_clISt17integral_constantIbLb0EES19_IbLb1EEEEDaS15_S16_EUlS15_E_NS1_11comp_targetILNS1_3genE2ELNS1_11target_archE906ELNS1_3gpuE6ELNS1_3repE0EEENS1_30default_config_static_selectorELNS0_4arch9wavefront6targetE0EEEvT1_: ; @_ZN7rocprim17ROCPRIM_400000_NS6detail17trampoline_kernelINS0_14default_configENS1_25partition_config_selectorILNS1_17partition_subalgoE9EllbEEZZNS1_14partition_implILS5_9ELb0ES3_jPlS8_PNS0_10empty_typeENS0_5tupleIJS8_S9_EEENSB_IJS8_SA_EEENS0_18inequality_wrapperIZN2at6native12_GLOBAL__N_124unique_dim_cuda_templateItEESt5tupleIJNSF_6TensorESK_SK_EERKSK_lbbbEUlllE0_EEPmJS9_EEE10hipError_tPvRmT3_T4_T5_T6_T7_T9_mT8_P12ihipStream_tbDpT10_ENKUlT_T0_E_clISt17integral_constantIbLb0EES19_IbLb1EEEEDaS15_S16_EUlS15_E_NS1_11comp_targetILNS1_3genE2ELNS1_11target_archE906ELNS1_3gpuE6ELNS1_3repE0EEENS1_30default_config_static_selectorELNS0_4arch9wavefront6targetE0EEEvT1_
; %bb.0:
	.section	.rodata,"a",@progbits
	.p2align	6, 0x0
	.amdhsa_kernel _ZN7rocprim17ROCPRIM_400000_NS6detail17trampoline_kernelINS0_14default_configENS1_25partition_config_selectorILNS1_17partition_subalgoE9EllbEEZZNS1_14partition_implILS5_9ELb0ES3_jPlS8_PNS0_10empty_typeENS0_5tupleIJS8_S9_EEENSB_IJS8_SA_EEENS0_18inequality_wrapperIZN2at6native12_GLOBAL__N_124unique_dim_cuda_templateItEESt5tupleIJNSF_6TensorESK_SK_EERKSK_lbbbEUlllE0_EEPmJS9_EEE10hipError_tPvRmT3_T4_T5_T6_T7_T9_mT8_P12ihipStream_tbDpT10_ENKUlT_T0_E_clISt17integral_constantIbLb0EES19_IbLb1EEEEDaS15_S16_EUlS15_E_NS1_11comp_targetILNS1_3genE2ELNS1_11target_archE906ELNS1_3gpuE6ELNS1_3repE0EEENS1_30default_config_static_selectorELNS0_4arch9wavefront6targetE0EEEvT1_
		.amdhsa_group_segment_fixed_size 0
		.amdhsa_private_segment_fixed_size 0
		.amdhsa_kernarg_size 136
		.amdhsa_user_sgpr_count 2
		.amdhsa_user_sgpr_dispatch_ptr 0
		.amdhsa_user_sgpr_queue_ptr 0
		.amdhsa_user_sgpr_kernarg_segment_ptr 1
		.amdhsa_user_sgpr_dispatch_id 0
		.amdhsa_user_sgpr_kernarg_preload_length 0
		.amdhsa_user_sgpr_kernarg_preload_offset 0
		.amdhsa_user_sgpr_private_segment_size 0
		.amdhsa_wavefront_size32 1
		.amdhsa_uses_dynamic_stack 0
		.amdhsa_enable_private_segment 0
		.amdhsa_system_sgpr_workgroup_id_x 1
		.amdhsa_system_sgpr_workgroup_id_y 0
		.amdhsa_system_sgpr_workgroup_id_z 0
		.amdhsa_system_sgpr_workgroup_info 0
		.amdhsa_system_vgpr_workitem_id 0
		.amdhsa_next_free_vgpr 1
		.amdhsa_next_free_sgpr 1
		.amdhsa_named_barrier_count 0
		.amdhsa_reserve_vcc 0
		.amdhsa_float_round_mode_32 0
		.amdhsa_float_round_mode_16_64 0
		.amdhsa_float_denorm_mode_32 3
		.amdhsa_float_denorm_mode_16_64 3
		.amdhsa_fp16_overflow 0
		.amdhsa_memory_ordered 1
		.amdhsa_forward_progress 1
		.amdhsa_inst_pref_size 0
		.amdhsa_round_robin_scheduling 0
		.amdhsa_exception_fp_ieee_invalid_op 0
		.amdhsa_exception_fp_denorm_src 0
		.amdhsa_exception_fp_ieee_div_zero 0
		.amdhsa_exception_fp_ieee_overflow 0
		.amdhsa_exception_fp_ieee_underflow 0
		.amdhsa_exception_fp_ieee_inexact 0
		.amdhsa_exception_int_div_zero 0
	.end_amdhsa_kernel
	.section	.text._ZN7rocprim17ROCPRIM_400000_NS6detail17trampoline_kernelINS0_14default_configENS1_25partition_config_selectorILNS1_17partition_subalgoE9EllbEEZZNS1_14partition_implILS5_9ELb0ES3_jPlS8_PNS0_10empty_typeENS0_5tupleIJS8_S9_EEENSB_IJS8_SA_EEENS0_18inequality_wrapperIZN2at6native12_GLOBAL__N_124unique_dim_cuda_templateItEESt5tupleIJNSF_6TensorESK_SK_EERKSK_lbbbEUlllE0_EEPmJS9_EEE10hipError_tPvRmT3_T4_T5_T6_T7_T9_mT8_P12ihipStream_tbDpT10_ENKUlT_T0_E_clISt17integral_constantIbLb0EES19_IbLb1EEEEDaS15_S16_EUlS15_E_NS1_11comp_targetILNS1_3genE2ELNS1_11target_archE906ELNS1_3gpuE6ELNS1_3repE0EEENS1_30default_config_static_selectorELNS0_4arch9wavefront6targetE0EEEvT1_,"axG",@progbits,_ZN7rocprim17ROCPRIM_400000_NS6detail17trampoline_kernelINS0_14default_configENS1_25partition_config_selectorILNS1_17partition_subalgoE9EllbEEZZNS1_14partition_implILS5_9ELb0ES3_jPlS8_PNS0_10empty_typeENS0_5tupleIJS8_S9_EEENSB_IJS8_SA_EEENS0_18inequality_wrapperIZN2at6native12_GLOBAL__N_124unique_dim_cuda_templateItEESt5tupleIJNSF_6TensorESK_SK_EERKSK_lbbbEUlllE0_EEPmJS9_EEE10hipError_tPvRmT3_T4_T5_T6_T7_T9_mT8_P12ihipStream_tbDpT10_ENKUlT_T0_E_clISt17integral_constantIbLb0EES19_IbLb1EEEEDaS15_S16_EUlS15_E_NS1_11comp_targetILNS1_3genE2ELNS1_11target_archE906ELNS1_3gpuE6ELNS1_3repE0EEENS1_30default_config_static_selectorELNS0_4arch9wavefront6targetE0EEEvT1_,comdat
.Lfunc_end1479:
	.size	_ZN7rocprim17ROCPRIM_400000_NS6detail17trampoline_kernelINS0_14default_configENS1_25partition_config_selectorILNS1_17partition_subalgoE9EllbEEZZNS1_14partition_implILS5_9ELb0ES3_jPlS8_PNS0_10empty_typeENS0_5tupleIJS8_S9_EEENSB_IJS8_SA_EEENS0_18inequality_wrapperIZN2at6native12_GLOBAL__N_124unique_dim_cuda_templateItEESt5tupleIJNSF_6TensorESK_SK_EERKSK_lbbbEUlllE0_EEPmJS9_EEE10hipError_tPvRmT3_T4_T5_T6_T7_T9_mT8_P12ihipStream_tbDpT10_ENKUlT_T0_E_clISt17integral_constantIbLb0EES19_IbLb1EEEEDaS15_S16_EUlS15_E_NS1_11comp_targetILNS1_3genE2ELNS1_11target_archE906ELNS1_3gpuE6ELNS1_3repE0EEENS1_30default_config_static_selectorELNS0_4arch9wavefront6targetE0EEEvT1_, .Lfunc_end1479-_ZN7rocprim17ROCPRIM_400000_NS6detail17trampoline_kernelINS0_14default_configENS1_25partition_config_selectorILNS1_17partition_subalgoE9EllbEEZZNS1_14partition_implILS5_9ELb0ES3_jPlS8_PNS0_10empty_typeENS0_5tupleIJS8_S9_EEENSB_IJS8_SA_EEENS0_18inequality_wrapperIZN2at6native12_GLOBAL__N_124unique_dim_cuda_templateItEESt5tupleIJNSF_6TensorESK_SK_EERKSK_lbbbEUlllE0_EEPmJS9_EEE10hipError_tPvRmT3_T4_T5_T6_T7_T9_mT8_P12ihipStream_tbDpT10_ENKUlT_T0_E_clISt17integral_constantIbLb0EES19_IbLb1EEEEDaS15_S16_EUlS15_E_NS1_11comp_targetILNS1_3genE2ELNS1_11target_archE906ELNS1_3gpuE6ELNS1_3repE0EEENS1_30default_config_static_selectorELNS0_4arch9wavefront6targetE0EEEvT1_
                                        ; -- End function
	.set _ZN7rocprim17ROCPRIM_400000_NS6detail17trampoline_kernelINS0_14default_configENS1_25partition_config_selectorILNS1_17partition_subalgoE9EllbEEZZNS1_14partition_implILS5_9ELb0ES3_jPlS8_PNS0_10empty_typeENS0_5tupleIJS8_S9_EEENSB_IJS8_SA_EEENS0_18inequality_wrapperIZN2at6native12_GLOBAL__N_124unique_dim_cuda_templateItEESt5tupleIJNSF_6TensorESK_SK_EERKSK_lbbbEUlllE0_EEPmJS9_EEE10hipError_tPvRmT3_T4_T5_T6_T7_T9_mT8_P12ihipStream_tbDpT10_ENKUlT_T0_E_clISt17integral_constantIbLb0EES19_IbLb1EEEEDaS15_S16_EUlS15_E_NS1_11comp_targetILNS1_3genE2ELNS1_11target_archE906ELNS1_3gpuE6ELNS1_3repE0EEENS1_30default_config_static_selectorELNS0_4arch9wavefront6targetE0EEEvT1_.num_vgpr, 0
	.set _ZN7rocprim17ROCPRIM_400000_NS6detail17trampoline_kernelINS0_14default_configENS1_25partition_config_selectorILNS1_17partition_subalgoE9EllbEEZZNS1_14partition_implILS5_9ELb0ES3_jPlS8_PNS0_10empty_typeENS0_5tupleIJS8_S9_EEENSB_IJS8_SA_EEENS0_18inequality_wrapperIZN2at6native12_GLOBAL__N_124unique_dim_cuda_templateItEESt5tupleIJNSF_6TensorESK_SK_EERKSK_lbbbEUlllE0_EEPmJS9_EEE10hipError_tPvRmT3_T4_T5_T6_T7_T9_mT8_P12ihipStream_tbDpT10_ENKUlT_T0_E_clISt17integral_constantIbLb0EES19_IbLb1EEEEDaS15_S16_EUlS15_E_NS1_11comp_targetILNS1_3genE2ELNS1_11target_archE906ELNS1_3gpuE6ELNS1_3repE0EEENS1_30default_config_static_selectorELNS0_4arch9wavefront6targetE0EEEvT1_.num_agpr, 0
	.set _ZN7rocprim17ROCPRIM_400000_NS6detail17trampoline_kernelINS0_14default_configENS1_25partition_config_selectorILNS1_17partition_subalgoE9EllbEEZZNS1_14partition_implILS5_9ELb0ES3_jPlS8_PNS0_10empty_typeENS0_5tupleIJS8_S9_EEENSB_IJS8_SA_EEENS0_18inequality_wrapperIZN2at6native12_GLOBAL__N_124unique_dim_cuda_templateItEESt5tupleIJNSF_6TensorESK_SK_EERKSK_lbbbEUlllE0_EEPmJS9_EEE10hipError_tPvRmT3_T4_T5_T6_T7_T9_mT8_P12ihipStream_tbDpT10_ENKUlT_T0_E_clISt17integral_constantIbLb0EES19_IbLb1EEEEDaS15_S16_EUlS15_E_NS1_11comp_targetILNS1_3genE2ELNS1_11target_archE906ELNS1_3gpuE6ELNS1_3repE0EEENS1_30default_config_static_selectorELNS0_4arch9wavefront6targetE0EEEvT1_.numbered_sgpr, 0
	.set _ZN7rocprim17ROCPRIM_400000_NS6detail17trampoline_kernelINS0_14default_configENS1_25partition_config_selectorILNS1_17partition_subalgoE9EllbEEZZNS1_14partition_implILS5_9ELb0ES3_jPlS8_PNS0_10empty_typeENS0_5tupleIJS8_S9_EEENSB_IJS8_SA_EEENS0_18inequality_wrapperIZN2at6native12_GLOBAL__N_124unique_dim_cuda_templateItEESt5tupleIJNSF_6TensorESK_SK_EERKSK_lbbbEUlllE0_EEPmJS9_EEE10hipError_tPvRmT3_T4_T5_T6_T7_T9_mT8_P12ihipStream_tbDpT10_ENKUlT_T0_E_clISt17integral_constantIbLb0EES19_IbLb1EEEEDaS15_S16_EUlS15_E_NS1_11comp_targetILNS1_3genE2ELNS1_11target_archE906ELNS1_3gpuE6ELNS1_3repE0EEENS1_30default_config_static_selectorELNS0_4arch9wavefront6targetE0EEEvT1_.num_named_barrier, 0
	.set _ZN7rocprim17ROCPRIM_400000_NS6detail17trampoline_kernelINS0_14default_configENS1_25partition_config_selectorILNS1_17partition_subalgoE9EllbEEZZNS1_14partition_implILS5_9ELb0ES3_jPlS8_PNS0_10empty_typeENS0_5tupleIJS8_S9_EEENSB_IJS8_SA_EEENS0_18inequality_wrapperIZN2at6native12_GLOBAL__N_124unique_dim_cuda_templateItEESt5tupleIJNSF_6TensorESK_SK_EERKSK_lbbbEUlllE0_EEPmJS9_EEE10hipError_tPvRmT3_T4_T5_T6_T7_T9_mT8_P12ihipStream_tbDpT10_ENKUlT_T0_E_clISt17integral_constantIbLb0EES19_IbLb1EEEEDaS15_S16_EUlS15_E_NS1_11comp_targetILNS1_3genE2ELNS1_11target_archE906ELNS1_3gpuE6ELNS1_3repE0EEENS1_30default_config_static_selectorELNS0_4arch9wavefront6targetE0EEEvT1_.private_seg_size, 0
	.set _ZN7rocprim17ROCPRIM_400000_NS6detail17trampoline_kernelINS0_14default_configENS1_25partition_config_selectorILNS1_17partition_subalgoE9EllbEEZZNS1_14partition_implILS5_9ELb0ES3_jPlS8_PNS0_10empty_typeENS0_5tupleIJS8_S9_EEENSB_IJS8_SA_EEENS0_18inequality_wrapperIZN2at6native12_GLOBAL__N_124unique_dim_cuda_templateItEESt5tupleIJNSF_6TensorESK_SK_EERKSK_lbbbEUlllE0_EEPmJS9_EEE10hipError_tPvRmT3_T4_T5_T6_T7_T9_mT8_P12ihipStream_tbDpT10_ENKUlT_T0_E_clISt17integral_constantIbLb0EES19_IbLb1EEEEDaS15_S16_EUlS15_E_NS1_11comp_targetILNS1_3genE2ELNS1_11target_archE906ELNS1_3gpuE6ELNS1_3repE0EEENS1_30default_config_static_selectorELNS0_4arch9wavefront6targetE0EEEvT1_.uses_vcc, 0
	.set _ZN7rocprim17ROCPRIM_400000_NS6detail17trampoline_kernelINS0_14default_configENS1_25partition_config_selectorILNS1_17partition_subalgoE9EllbEEZZNS1_14partition_implILS5_9ELb0ES3_jPlS8_PNS0_10empty_typeENS0_5tupleIJS8_S9_EEENSB_IJS8_SA_EEENS0_18inequality_wrapperIZN2at6native12_GLOBAL__N_124unique_dim_cuda_templateItEESt5tupleIJNSF_6TensorESK_SK_EERKSK_lbbbEUlllE0_EEPmJS9_EEE10hipError_tPvRmT3_T4_T5_T6_T7_T9_mT8_P12ihipStream_tbDpT10_ENKUlT_T0_E_clISt17integral_constantIbLb0EES19_IbLb1EEEEDaS15_S16_EUlS15_E_NS1_11comp_targetILNS1_3genE2ELNS1_11target_archE906ELNS1_3gpuE6ELNS1_3repE0EEENS1_30default_config_static_selectorELNS0_4arch9wavefront6targetE0EEEvT1_.uses_flat_scratch, 0
	.set _ZN7rocprim17ROCPRIM_400000_NS6detail17trampoline_kernelINS0_14default_configENS1_25partition_config_selectorILNS1_17partition_subalgoE9EllbEEZZNS1_14partition_implILS5_9ELb0ES3_jPlS8_PNS0_10empty_typeENS0_5tupleIJS8_S9_EEENSB_IJS8_SA_EEENS0_18inequality_wrapperIZN2at6native12_GLOBAL__N_124unique_dim_cuda_templateItEESt5tupleIJNSF_6TensorESK_SK_EERKSK_lbbbEUlllE0_EEPmJS9_EEE10hipError_tPvRmT3_T4_T5_T6_T7_T9_mT8_P12ihipStream_tbDpT10_ENKUlT_T0_E_clISt17integral_constantIbLb0EES19_IbLb1EEEEDaS15_S16_EUlS15_E_NS1_11comp_targetILNS1_3genE2ELNS1_11target_archE906ELNS1_3gpuE6ELNS1_3repE0EEENS1_30default_config_static_selectorELNS0_4arch9wavefront6targetE0EEEvT1_.has_dyn_sized_stack, 0
	.set _ZN7rocprim17ROCPRIM_400000_NS6detail17trampoline_kernelINS0_14default_configENS1_25partition_config_selectorILNS1_17partition_subalgoE9EllbEEZZNS1_14partition_implILS5_9ELb0ES3_jPlS8_PNS0_10empty_typeENS0_5tupleIJS8_S9_EEENSB_IJS8_SA_EEENS0_18inequality_wrapperIZN2at6native12_GLOBAL__N_124unique_dim_cuda_templateItEESt5tupleIJNSF_6TensorESK_SK_EERKSK_lbbbEUlllE0_EEPmJS9_EEE10hipError_tPvRmT3_T4_T5_T6_T7_T9_mT8_P12ihipStream_tbDpT10_ENKUlT_T0_E_clISt17integral_constantIbLb0EES19_IbLb1EEEEDaS15_S16_EUlS15_E_NS1_11comp_targetILNS1_3genE2ELNS1_11target_archE906ELNS1_3gpuE6ELNS1_3repE0EEENS1_30default_config_static_selectorELNS0_4arch9wavefront6targetE0EEEvT1_.has_recursion, 0
	.set _ZN7rocprim17ROCPRIM_400000_NS6detail17trampoline_kernelINS0_14default_configENS1_25partition_config_selectorILNS1_17partition_subalgoE9EllbEEZZNS1_14partition_implILS5_9ELb0ES3_jPlS8_PNS0_10empty_typeENS0_5tupleIJS8_S9_EEENSB_IJS8_SA_EEENS0_18inequality_wrapperIZN2at6native12_GLOBAL__N_124unique_dim_cuda_templateItEESt5tupleIJNSF_6TensorESK_SK_EERKSK_lbbbEUlllE0_EEPmJS9_EEE10hipError_tPvRmT3_T4_T5_T6_T7_T9_mT8_P12ihipStream_tbDpT10_ENKUlT_T0_E_clISt17integral_constantIbLb0EES19_IbLb1EEEEDaS15_S16_EUlS15_E_NS1_11comp_targetILNS1_3genE2ELNS1_11target_archE906ELNS1_3gpuE6ELNS1_3repE0EEENS1_30default_config_static_selectorELNS0_4arch9wavefront6targetE0EEEvT1_.has_indirect_call, 0
	.section	.AMDGPU.csdata,"",@progbits
; Kernel info:
; codeLenInByte = 0
; TotalNumSgprs: 0
; NumVgprs: 0
; ScratchSize: 0
; MemoryBound: 0
; FloatMode: 240
; IeeeMode: 1
; LDSByteSize: 0 bytes/workgroup (compile time only)
; SGPRBlocks: 0
; VGPRBlocks: 0
; NumSGPRsForWavesPerEU: 1
; NumVGPRsForWavesPerEU: 1
; NamedBarCnt: 0
; Occupancy: 16
; WaveLimiterHint : 0
; COMPUTE_PGM_RSRC2:SCRATCH_EN: 0
; COMPUTE_PGM_RSRC2:USER_SGPR: 2
; COMPUTE_PGM_RSRC2:TRAP_HANDLER: 0
; COMPUTE_PGM_RSRC2:TGID_X_EN: 1
; COMPUTE_PGM_RSRC2:TGID_Y_EN: 0
; COMPUTE_PGM_RSRC2:TGID_Z_EN: 0
; COMPUTE_PGM_RSRC2:TIDIG_COMP_CNT: 0
	.section	.text._ZN7rocprim17ROCPRIM_400000_NS6detail17trampoline_kernelINS0_14default_configENS1_25partition_config_selectorILNS1_17partition_subalgoE9EllbEEZZNS1_14partition_implILS5_9ELb0ES3_jPlS8_PNS0_10empty_typeENS0_5tupleIJS8_S9_EEENSB_IJS8_SA_EEENS0_18inequality_wrapperIZN2at6native12_GLOBAL__N_124unique_dim_cuda_templateItEESt5tupleIJNSF_6TensorESK_SK_EERKSK_lbbbEUlllE0_EEPmJS9_EEE10hipError_tPvRmT3_T4_T5_T6_T7_T9_mT8_P12ihipStream_tbDpT10_ENKUlT_T0_E_clISt17integral_constantIbLb0EES19_IbLb1EEEEDaS15_S16_EUlS15_E_NS1_11comp_targetILNS1_3genE10ELNS1_11target_archE1200ELNS1_3gpuE4ELNS1_3repE0EEENS1_30default_config_static_selectorELNS0_4arch9wavefront6targetE0EEEvT1_,"axG",@progbits,_ZN7rocprim17ROCPRIM_400000_NS6detail17trampoline_kernelINS0_14default_configENS1_25partition_config_selectorILNS1_17partition_subalgoE9EllbEEZZNS1_14partition_implILS5_9ELb0ES3_jPlS8_PNS0_10empty_typeENS0_5tupleIJS8_S9_EEENSB_IJS8_SA_EEENS0_18inequality_wrapperIZN2at6native12_GLOBAL__N_124unique_dim_cuda_templateItEESt5tupleIJNSF_6TensorESK_SK_EERKSK_lbbbEUlllE0_EEPmJS9_EEE10hipError_tPvRmT3_T4_T5_T6_T7_T9_mT8_P12ihipStream_tbDpT10_ENKUlT_T0_E_clISt17integral_constantIbLb0EES19_IbLb1EEEEDaS15_S16_EUlS15_E_NS1_11comp_targetILNS1_3genE10ELNS1_11target_archE1200ELNS1_3gpuE4ELNS1_3repE0EEENS1_30default_config_static_selectorELNS0_4arch9wavefront6targetE0EEEvT1_,comdat
	.globl	_ZN7rocprim17ROCPRIM_400000_NS6detail17trampoline_kernelINS0_14default_configENS1_25partition_config_selectorILNS1_17partition_subalgoE9EllbEEZZNS1_14partition_implILS5_9ELb0ES3_jPlS8_PNS0_10empty_typeENS0_5tupleIJS8_S9_EEENSB_IJS8_SA_EEENS0_18inequality_wrapperIZN2at6native12_GLOBAL__N_124unique_dim_cuda_templateItEESt5tupleIJNSF_6TensorESK_SK_EERKSK_lbbbEUlllE0_EEPmJS9_EEE10hipError_tPvRmT3_T4_T5_T6_T7_T9_mT8_P12ihipStream_tbDpT10_ENKUlT_T0_E_clISt17integral_constantIbLb0EES19_IbLb1EEEEDaS15_S16_EUlS15_E_NS1_11comp_targetILNS1_3genE10ELNS1_11target_archE1200ELNS1_3gpuE4ELNS1_3repE0EEENS1_30default_config_static_selectorELNS0_4arch9wavefront6targetE0EEEvT1_ ; -- Begin function _ZN7rocprim17ROCPRIM_400000_NS6detail17trampoline_kernelINS0_14default_configENS1_25partition_config_selectorILNS1_17partition_subalgoE9EllbEEZZNS1_14partition_implILS5_9ELb0ES3_jPlS8_PNS0_10empty_typeENS0_5tupleIJS8_S9_EEENSB_IJS8_SA_EEENS0_18inequality_wrapperIZN2at6native12_GLOBAL__N_124unique_dim_cuda_templateItEESt5tupleIJNSF_6TensorESK_SK_EERKSK_lbbbEUlllE0_EEPmJS9_EEE10hipError_tPvRmT3_T4_T5_T6_T7_T9_mT8_P12ihipStream_tbDpT10_ENKUlT_T0_E_clISt17integral_constantIbLb0EES19_IbLb1EEEEDaS15_S16_EUlS15_E_NS1_11comp_targetILNS1_3genE10ELNS1_11target_archE1200ELNS1_3gpuE4ELNS1_3repE0EEENS1_30default_config_static_selectorELNS0_4arch9wavefront6targetE0EEEvT1_
	.p2align	8
	.type	_ZN7rocprim17ROCPRIM_400000_NS6detail17trampoline_kernelINS0_14default_configENS1_25partition_config_selectorILNS1_17partition_subalgoE9EllbEEZZNS1_14partition_implILS5_9ELb0ES3_jPlS8_PNS0_10empty_typeENS0_5tupleIJS8_S9_EEENSB_IJS8_SA_EEENS0_18inequality_wrapperIZN2at6native12_GLOBAL__N_124unique_dim_cuda_templateItEESt5tupleIJNSF_6TensorESK_SK_EERKSK_lbbbEUlllE0_EEPmJS9_EEE10hipError_tPvRmT3_T4_T5_T6_T7_T9_mT8_P12ihipStream_tbDpT10_ENKUlT_T0_E_clISt17integral_constantIbLb0EES19_IbLb1EEEEDaS15_S16_EUlS15_E_NS1_11comp_targetILNS1_3genE10ELNS1_11target_archE1200ELNS1_3gpuE4ELNS1_3repE0EEENS1_30default_config_static_selectorELNS0_4arch9wavefront6targetE0EEEvT1_,@function
_ZN7rocprim17ROCPRIM_400000_NS6detail17trampoline_kernelINS0_14default_configENS1_25partition_config_selectorILNS1_17partition_subalgoE9EllbEEZZNS1_14partition_implILS5_9ELb0ES3_jPlS8_PNS0_10empty_typeENS0_5tupleIJS8_S9_EEENSB_IJS8_SA_EEENS0_18inequality_wrapperIZN2at6native12_GLOBAL__N_124unique_dim_cuda_templateItEESt5tupleIJNSF_6TensorESK_SK_EERKSK_lbbbEUlllE0_EEPmJS9_EEE10hipError_tPvRmT3_T4_T5_T6_T7_T9_mT8_P12ihipStream_tbDpT10_ENKUlT_T0_E_clISt17integral_constantIbLb0EES19_IbLb1EEEEDaS15_S16_EUlS15_E_NS1_11comp_targetILNS1_3genE10ELNS1_11target_archE1200ELNS1_3gpuE4ELNS1_3repE0EEENS1_30default_config_static_selectorELNS0_4arch9wavefront6targetE0EEEvT1_: ; @_ZN7rocprim17ROCPRIM_400000_NS6detail17trampoline_kernelINS0_14default_configENS1_25partition_config_selectorILNS1_17partition_subalgoE9EllbEEZZNS1_14partition_implILS5_9ELb0ES3_jPlS8_PNS0_10empty_typeENS0_5tupleIJS8_S9_EEENSB_IJS8_SA_EEENS0_18inequality_wrapperIZN2at6native12_GLOBAL__N_124unique_dim_cuda_templateItEESt5tupleIJNSF_6TensorESK_SK_EERKSK_lbbbEUlllE0_EEPmJS9_EEE10hipError_tPvRmT3_T4_T5_T6_T7_T9_mT8_P12ihipStream_tbDpT10_ENKUlT_T0_E_clISt17integral_constantIbLb0EES19_IbLb1EEEEDaS15_S16_EUlS15_E_NS1_11comp_targetILNS1_3genE10ELNS1_11target_archE1200ELNS1_3gpuE4ELNS1_3repE0EEENS1_30default_config_static_selectorELNS0_4arch9wavefront6targetE0EEEvT1_
; %bb.0:
	.section	.rodata,"a",@progbits
	.p2align	6, 0x0
	.amdhsa_kernel _ZN7rocprim17ROCPRIM_400000_NS6detail17trampoline_kernelINS0_14default_configENS1_25partition_config_selectorILNS1_17partition_subalgoE9EllbEEZZNS1_14partition_implILS5_9ELb0ES3_jPlS8_PNS0_10empty_typeENS0_5tupleIJS8_S9_EEENSB_IJS8_SA_EEENS0_18inequality_wrapperIZN2at6native12_GLOBAL__N_124unique_dim_cuda_templateItEESt5tupleIJNSF_6TensorESK_SK_EERKSK_lbbbEUlllE0_EEPmJS9_EEE10hipError_tPvRmT3_T4_T5_T6_T7_T9_mT8_P12ihipStream_tbDpT10_ENKUlT_T0_E_clISt17integral_constantIbLb0EES19_IbLb1EEEEDaS15_S16_EUlS15_E_NS1_11comp_targetILNS1_3genE10ELNS1_11target_archE1200ELNS1_3gpuE4ELNS1_3repE0EEENS1_30default_config_static_selectorELNS0_4arch9wavefront6targetE0EEEvT1_
		.amdhsa_group_segment_fixed_size 0
		.amdhsa_private_segment_fixed_size 0
		.amdhsa_kernarg_size 136
		.amdhsa_user_sgpr_count 2
		.amdhsa_user_sgpr_dispatch_ptr 0
		.amdhsa_user_sgpr_queue_ptr 0
		.amdhsa_user_sgpr_kernarg_segment_ptr 1
		.amdhsa_user_sgpr_dispatch_id 0
		.amdhsa_user_sgpr_kernarg_preload_length 0
		.amdhsa_user_sgpr_kernarg_preload_offset 0
		.amdhsa_user_sgpr_private_segment_size 0
		.amdhsa_wavefront_size32 1
		.amdhsa_uses_dynamic_stack 0
		.amdhsa_enable_private_segment 0
		.amdhsa_system_sgpr_workgroup_id_x 1
		.amdhsa_system_sgpr_workgroup_id_y 0
		.amdhsa_system_sgpr_workgroup_id_z 0
		.amdhsa_system_sgpr_workgroup_info 0
		.amdhsa_system_vgpr_workitem_id 0
		.amdhsa_next_free_vgpr 1
		.amdhsa_next_free_sgpr 1
		.amdhsa_named_barrier_count 0
		.amdhsa_reserve_vcc 0
		.amdhsa_float_round_mode_32 0
		.amdhsa_float_round_mode_16_64 0
		.amdhsa_float_denorm_mode_32 3
		.amdhsa_float_denorm_mode_16_64 3
		.amdhsa_fp16_overflow 0
		.amdhsa_memory_ordered 1
		.amdhsa_forward_progress 1
		.amdhsa_inst_pref_size 0
		.amdhsa_round_robin_scheduling 0
		.amdhsa_exception_fp_ieee_invalid_op 0
		.amdhsa_exception_fp_denorm_src 0
		.amdhsa_exception_fp_ieee_div_zero 0
		.amdhsa_exception_fp_ieee_overflow 0
		.amdhsa_exception_fp_ieee_underflow 0
		.amdhsa_exception_fp_ieee_inexact 0
		.amdhsa_exception_int_div_zero 0
	.end_amdhsa_kernel
	.section	.text._ZN7rocprim17ROCPRIM_400000_NS6detail17trampoline_kernelINS0_14default_configENS1_25partition_config_selectorILNS1_17partition_subalgoE9EllbEEZZNS1_14partition_implILS5_9ELb0ES3_jPlS8_PNS0_10empty_typeENS0_5tupleIJS8_S9_EEENSB_IJS8_SA_EEENS0_18inequality_wrapperIZN2at6native12_GLOBAL__N_124unique_dim_cuda_templateItEESt5tupleIJNSF_6TensorESK_SK_EERKSK_lbbbEUlllE0_EEPmJS9_EEE10hipError_tPvRmT3_T4_T5_T6_T7_T9_mT8_P12ihipStream_tbDpT10_ENKUlT_T0_E_clISt17integral_constantIbLb0EES19_IbLb1EEEEDaS15_S16_EUlS15_E_NS1_11comp_targetILNS1_3genE10ELNS1_11target_archE1200ELNS1_3gpuE4ELNS1_3repE0EEENS1_30default_config_static_selectorELNS0_4arch9wavefront6targetE0EEEvT1_,"axG",@progbits,_ZN7rocprim17ROCPRIM_400000_NS6detail17trampoline_kernelINS0_14default_configENS1_25partition_config_selectorILNS1_17partition_subalgoE9EllbEEZZNS1_14partition_implILS5_9ELb0ES3_jPlS8_PNS0_10empty_typeENS0_5tupleIJS8_S9_EEENSB_IJS8_SA_EEENS0_18inequality_wrapperIZN2at6native12_GLOBAL__N_124unique_dim_cuda_templateItEESt5tupleIJNSF_6TensorESK_SK_EERKSK_lbbbEUlllE0_EEPmJS9_EEE10hipError_tPvRmT3_T4_T5_T6_T7_T9_mT8_P12ihipStream_tbDpT10_ENKUlT_T0_E_clISt17integral_constantIbLb0EES19_IbLb1EEEEDaS15_S16_EUlS15_E_NS1_11comp_targetILNS1_3genE10ELNS1_11target_archE1200ELNS1_3gpuE4ELNS1_3repE0EEENS1_30default_config_static_selectorELNS0_4arch9wavefront6targetE0EEEvT1_,comdat
.Lfunc_end1480:
	.size	_ZN7rocprim17ROCPRIM_400000_NS6detail17trampoline_kernelINS0_14default_configENS1_25partition_config_selectorILNS1_17partition_subalgoE9EllbEEZZNS1_14partition_implILS5_9ELb0ES3_jPlS8_PNS0_10empty_typeENS0_5tupleIJS8_S9_EEENSB_IJS8_SA_EEENS0_18inequality_wrapperIZN2at6native12_GLOBAL__N_124unique_dim_cuda_templateItEESt5tupleIJNSF_6TensorESK_SK_EERKSK_lbbbEUlllE0_EEPmJS9_EEE10hipError_tPvRmT3_T4_T5_T6_T7_T9_mT8_P12ihipStream_tbDpT10_ENKUlT_T0_E_clISt17integral_constantIbLb0EES19_IbLb1EEEEDaS15_S16_EUlS15_E_NS1_11comp_targetILNS1_3genE10ELNS1_11target_archE1200ELNS1_3gpuE4ELNS1_3repE0EEENS1_30default_config_static_selectorELNS0_4arch9wavefront6targetE0EEEvT1_, .Lfunc_end1480-_ZN7rocprim17ROCPRIM_400000_NS6detail17trampoline_kernelINS0_14default_configENS1_25partition_config_selectorILNS1_17partition_subalgoE9EllbEEZZNS1_14partition_implILS5_9ELb0ES3_jPlS8_PNS0_10empty_typeENS0_5tupleIJS8_S9_EEENSB_IJS8_SA_EEENS0_18inequality_wrapperIZN2at6native12_GLOBAL__N_124unique_dim_cuda_templateItEESt5tupleIJNSF_6TensorESK_SK_EERKSK_lbbbEUlllE0_EEPmJS9_EEE10hipError_tPvRmT3_T4_T5_T6_T7_T9_mT8_P12ihipStream_tbDpT10_ENKUlT_T0_E_clISt17integral_constantIbLb0EES19_IbLb1EEEEDaS15_S16_EUlS15_E_NS1_11comp_targetILNS1_3genE10ELNS1_11target_archE1200ELNS1_3gpuE4ELNS1_3repE0EEENS1_30default_config_static_selectorELNS0_4arch9wavefront6targetE0EEEvT1_
                                        ; -- End function
	.set _ZN7rocprim17ROCPRIM_400000_NS6detail17trampoline_kernelINS0_14default_configENS1_25partition_config_selectorILNS1_17partition_subalgoE9EllbEEZZNS1_14partition_implILS5_9ELb0ES3_jPlS8_PNS0_10empty_typeENS0_5tupleIJS8_S9_EEENSB_IJS8_SA_EEENS0_18inequality_wrapperIZN2at6native12_GLOBAL__N_124unique_dim_cuda_templateItEESt5tupleIJNSF_6TensorESK_SK_EERKSK_lbbbEUlllE0_EEPmJS9_EEE10hipError_tPvRmT3_T4_T5_T6_T7_T9_mT8_P12ihipStream_tbDpT10_ENKUlT_T0_E_clISt17integral_constantIbLb0EES19_IbLb1EEEEDaS15_S16_EUlS15_E_NS1_11comp_targetILNS1_3genE10ELNS1_11target_archE1200ELNS1_3gpuE4ELNS1_3repE0EEENS1_30default_config_static_selectorELNS0_4arch9wavefront6targetE0EEEvT1_.num_vgpr, 0
	.set _ZN7rocprim17ROCPRIM_400000_NS6detail17trampoline_kernelINS0_14default_configENS1_25partition_config_selectorILNS1_17partition_subalgoE9EllbEEZZNS1_14partition_implILS5_9ELb0ES3_jPlS8_PNS0_10empty_typeENS0_5tupleIJS8_S9_EEENSB_IJS8_SA_EEENS0_18inequality_wrapperIZN2at6native12_GLOBAL__N_124unique_dim_cuda_templateItEESt5tupleIJNSF_6TensorESK_SK_EERKSK_lbbbEUlllE0_EEPmJS9_EEE10hipError_tPvRmT3_T4_T5_T6_T7_T9_mT8_P12ihipStream_tbDpT10_ENKUlT_T0_E_clISt17integral_constantIbLb0EES19_IbLb1EEEEDaS15_S16_EUlS15_E_NS1_11comp_targetILNS1_3genE10ELNS1_11target_archE1200ELNS1_3gpuE4ELNS1_3repE0EEENS1_30default_config_static_selectorELNS0_4arch9wavefront6targetE0EEEvT1_.num_agpr, 0
	.set _ZN7rocprim17ROCPRIM_400000_NS6detail17trampoline_kernelINS0_14default_configENS1_25partition_config_selectorILNS1_17partition_subalgoE9EllbEEZZNS1_14partition_implILS5_9ELb0ES3_jPlS8_PNS0_10empty_typeENS0_5tupleIJS8_S9_EEENSB_IJS8_SA_EEENS0_18inequality_wrapperIZN2at6native12_GLOBAL__N_124unique_dim_cuda_templateItEESt5tupleIJNSF_6TensorESK_SK_EERKSK_lbbbEUlllE0_EEPmJS9_EEE10hipError_tPvRmT3_T4_T5_T6_T7_T9_mT8_P12ihipStream_tbDpT10_ENKUlT_T0_E_clISt17integral_constantIbLb0EES19_IbLb1EEEEDaS15_S16_EUlS15_E_NS1_11comp_targetILNS1_3genE10ELNS1_11target_archE1200ELNS1_3gpuE4ELNS1_3repE0EEENS1_30default_config_static_selectorELNS0_4arch9wavefront6targetE0EEEvT1_.numbered_sgpr, 0
	.set _ZN7rocprim17ROCPRIM_400000_NS6detail17trampoline_kernelINS0_14default_configENS1_25partition_config_selectorILNS1_17partition_subalgoE9EllbEEZZNS1_14partition_implILS5_9ELb0ES3_jPlS8_PNS0_10empty_typeENS0_5tupleIJS8_S9_EEENSB_IJS8_SA_EEENS0_18inequality_wrapperIZN2at6native12_GLOBAL__N_124unique_dim_cuda_templateItEESt5tupleIJNSF_6TensorESK_SK_EERKSK_lbbbEUlllE0_EEPmJS9_EEE10hipError_tPvRmT3_T4_T5_T6_T7_T9_mT8_P12ihipStream_tbDpT10_ENKUlT_T0_E_clISt17integral_constantIbLb0EES19_IbLb1EEEEDaS15_S16_EUlS15_E_NS1_11comp_targetILNS1_3genE10ELNS1_11target_archE1200ELNS1_3gpuE4ELNS1_3repE0EEENS1_30default_config_static_selectorELNS0_4arch9wavefront6targetE0EEEvT1_.num_named_barrier, 0
	.set _ZN7rocprim17ROCPRIM_400000_NS6detail17trampoline_kernelINS0_14default_configENS1_25partition_config_selectorILNS1_17partition_subalgoE9EllbEEZZNS1_14partition_implILS5_9ELb0ES3_jPlS8_PNS0_10empty_typeENS0_5tupleIJS8_S9_EEENSB_IJS8_SA_EEENS0_18inequality_wrapperIZN2at6native12_GLOBAL__N_124unique_dim_cuda_templateItEESt5tupleIJNSF_6TensorESK_SK_EERKSK_lbbbEUlllE0_EEPmJS9_EEE10hipError_tPvRmT3_T4_T5_T6_T7_T9_mT8_P12ihipStream_tbDpT10_ENKUlT_T0_E_clISt17integral_constantIbLb0EES19_IbLb1EEEEDaS15_S16_EUlS15_E_NS1_11comp_targetILNS1_3genE10ELNS1_11target_archE1200ELNS1_3gpuE4ELNS1_3repE0EEENS1_30default_config_static_selectorELNS0_4arch9wavefront6targetE0EEEvT1_.private_seg_size, 0
	.set _ZN7rocprim17ROCPRIM_400000_NS6detail17trampoline_kernelINS0_14default_configENS1_25partition_config_selectorILNS1_17partition_subalgoE9EllbEEZZNS1_14partition_implILS5_9ELb0ES3_jPlS8_PNS0_10empty_typeENS0_5tupleIJS8_S9_EEENSB_IJS8_SA_EEENS0_18inequality_wrapperIZN2at6native12_GLOBAL__N_124unique_dim_cuda_templateItEESt5tupleIJNSF_6TensorESK_SK_EERKSK_lbbbEUlllE0_EEPmJS9_EEE10hipError_tPvRmT3_T4_T5_T6_T7_T9_mT8_P12ihipStream_tbDpT10_ENKUlT_T0_E_clISt17integral_constantIbLb0EES19_IbLb1EEEEDaS15_S16_EUlS15_E_NS1_11comp_targetILNS1_3genE10ELNS1_11target_archE1200ELNS1_3gpuE4ELNS1_3repE0EEENS1_30default_config_static_selectorELNS0_4arch9wavefront6targetE0EEEvT1_.uses_vcc, 0
	.set _ZN7rocprim17ROCPRIM_400000_NS6detail17trampoline_kernelINS0_14default_configENS1_25partition_config_selectorILNS1_17partition_subalgoE9EllbEEZZNS1_14partition_implILS5_9ELb0ES3_jPlS8_PNS0_10empty_typeENS0_5tupleIJS8_S9_EEENSB_IJS8_SA_EEENS0_18inequality_wrapperIZN2at6native12_GLOBAL__N_124unique_dim_cuda_templateItEESt5tupleIJNSF_6TensorESK_SK_EERKSK_lbbbEUlllE0_EEPmJS9_EEE10hipError_tPvRmT3_T4_T5_T6_T7_T9_mT8_P12ihipStream_tbDpT10_ENKUlT_T0_E_clISt17integral_constantIbLb0EES19_IbLb1EEEEDaS15_S16_EUlS15_E_NS1_11comp_targetILNS1_3genE10ELNS1_11target_archE1200ELNS1_3gpuE4ELNS1_3repE0EEENS1_30default_config_static_selectorELNS0_4arch9wavefront6targetE0EEEvT1_.uses_flat_scratch, 0
	.set _ZN7rocprim17ROCPRIM_400000_NS6detail17trampoline_kernelINS0_14default_configENS1_25partition_config_selectorILNS1_17partition_subalgoE9EllbEEZZNS1_14partition_implILS5_9ELb0ES3_jPlS8_PNS0_10empty_typeENS0_5tupleIJS8_S9_EEENSB_IJS8_SA_EEENS0_18inequality_wrapperIZN2at6native12_GLOBAL__N_124unique_dim_cuda_templateItEESt5tupleIJNSF_6TensorESK_SK_EERKSK_lbbbEUlllE0_EEPmJS9_EEE10hipError_tPvRmT3_T4_T5_T6_T7_T9_mT8_P12ihipStream_tbDpT10_ENKUlT_T0_E_clISt17integral_constantIbLb0EES19_IbLb1EEEEDaS15_S16_EUlS15_E_NS1_11comp_targetILNS1_3genE10ELNS1_11target_archE1200ELNS1_3gpuE4ELNS1_3repE0EEENS1_30default_config_static_selectorELNS0_4arch9wavefront6targetE0EEEvT1_.has_dyn_sized_stack, 0
	.set _ZN7rocprim17ROCPRIM_400000_NS6detail17trampoline_kernelINS0_14default_configENS1_25partition_config_selectorILNS1_17partition_subalgoE9EllbEEZZNS1_14partition_implILS5_9ELb0ES3_jPlS8_PNS0_10empty_typeENS0_5tupleIJS8_S9_EEENSB_IJS8_SA_EEENS0_18inequality_wrapperIZN2at6native12_GLOBAL__N_124unique_dim_cuda_templateItEESt5tupleIJNSF_6TensorESK_SK_EERKSK_lbbbEUlllE0_EEPmJS9_EEE10hipError_tPvRmT3_T4_T5_T6_T7_T9_mT8_P12ihipStream_tbDpT10_ENKUlT_T0_E_clISt17integral_constantIbLb0EES19_IbLb1EEEEDaS15_S16_EUlS15_E_NS1_11comp_targetILNS1_3genE10ELNS1_11target_archE1200ELNS1_3gpuE4ELNS1_3repE0EEENS1_30default_config_static_selectorELNS0_4arch9wavefront6targetE0EEEvT1_.has_recursion, 0
	.set _ZN7rocprim17ROCPRIM_400000_NS6detail17trampoline_kernelINS0_14default_configENS1_25partition_config_selectorILNS1_17partition_subalgoE9EllbEEZZNS1_14partition_implILS5_9ELb0ES3_jPlS8_PNS0_10empty_typeENS0_5tupleIJS8_S9_EEENSB_IJS8_SA_EEENS0_18inequality_wrapperIZN2at6native12_GLOBAL__N_124unique_dim_cuda_templateItEESt5tupleIJNSF_6TensorESK_SK_EERKSK_lbbbEUlllE0_EEPmJS9_EEE10hipError_tPvRmT3_T4_T5_T6_T7_T9_mT8_P12ihipStream_tbDpT10_ENKUlT_T0_E_clISt17integral_constantIbLb0EES19_IbLb1EEEEDaS15_S16_EUlS15_E_NS1_11comp_targetILNS1_3genE10ELNS1_11target_archE1200ELNS1_3gpuE4ELNS1_3repE0EEENS1_30default_config_static_selectorELNS0_4arch9wavefront6targetE0EEEvT1_.has_indirect_call, 0
	.section	.AMDGPU.csdata,"",@progbits
; Kernel info:
; codeLenInByte = 0
; TotalNumSgprs: 0
; NumVgprs: 0
; ScratchSize: 0
; MemoryBound: 0
; FloatMode: 240
; IeeeMode: 1
; LDSByteSize: 0 bytes/workgroup (compile time only)
; SGPRBlocks: 0
; VGPRBlocks: 0
; NumSGPRsForWavesPerEU: 1
; NumVGPRsForWavesPerEU: 1
; NamedBarCnt: 0
; Occupancy: 16
; WaveLimiterHint : 0
; COMPUTE_PGM_RSRC2:SCRATCH_EN: 0
; COMPUTE_PGM_RSRC2:USER_SGPR: 2
; COMPUTE_PGM_RSRC2:TRAP_HANDLER: 0
; COMPUTE_PGM_RSRC2:TGID_X_EN: 1
; COMPUTE_PGM_RSRC2:TGID_Y_EN: 0
; COMPUTE_PGM_RSRC2:TGID_Z_EN: 0
; COMPUTE_PGM_RSRC2:TIDIG_COMP_CNT: 0
	.section	.text._ZN7rocprim17ROCPRIM_400000_NS6detail17trampoline_kernelINS0_14default_configENS1_25partition_config_selectorILNS1_17partition_subalgoE9EllbEEZZNS1_14partition_implILS5_9ELb0ES3_jPlS8_PNS0_10empty_typeENS0_5tupleIJS8_S9_EEENSB_IJS8_SA_EEENS0_18inequality_wrapperIZN2at6native12_GLOBAL__N_124unique_dim_cuda_templateItEESt5tupleIJNSF_6TensorESK_SK_EERKSK_lbbbEUlllE0_EEPmJS9_EEE10hipError_tPvRmT3_T4_T5_T6_T7_T9_mT8_P12ihipStream_tbDpT10_ENKUlT_T0_E_clISt17integral_constantIbLb0EES19_IbLb1EEEEDaS15_S16_EUlS15_E_NS1_11comp_targetILNS1_3genE9ELNS1_11target_archE1100ELNS1_3gpuE3ELNS1_3repE0EEENS1_30default_config_static_selectorELNS0_4arch9wavefront6targetE0EEEvT1_,"axG",@progbits,_ZN7rocprim17ROCPRIM_400000_NS6detail17trampoline_kernelINS0_14default_configENS1_25partition_config_selectorILNS1_17partition_subalgoE9EllbEEZZNS1_14partition_implILS5_9ELb0ES3_jPlS8_PNS0_10empty_typeENS0_5tupleIJS8_S9_EEENSB_IJS8_SA_EEENS0_18inequality_wrapperIZN2at6native12_GLOBAL__N_124unique_dim_cuda_templateItEESt5tupleIJNSF_6TensorESK_SK_EERKSK_lbbbEUlllE0_EEPmJS9_EEE10hipError_tPvRmT3_T4_T5_T6_T7_T9_mT8_P12ihipStream_tbDpT10_ENKUlT_T0_E_clISt17integral_constantIbLb0EES19_IbLb1EEEEDaS15_S16_EUlS15_E_NS1_11comp_targetILNS1_3genE9ELNS1_11target_archE1100ELNS1_3gpuE3ELNS1_3repE0EEENS1_30default_config_static_selectorELNS0_4arch9wavefront6targetE0EEEvT1_,comdat
	.globl	_ZN7rocprim17ROCPRIM_400000_NS6detail17trampoline_kernelINS0_14default_configENS1_25partition_config_selectorILNS1_17partition_subalgoE9EllbEEZZNS1_14partition_implILS5_9ELb0ES3_jPlS8_PNS0_10empty_typeENS0_5tupleIJS8_S9_EEENSB_IJS8_SA_EEENS0_18inequality_wrapperIZN2at6native12_GLOBAL__N_124unique_dim_cuda_templateItEESt5tupleIJNSF_6TensorESK_SK_EERKSK_lbbbEUlllE0_EEPmJS9_EEE10hipError_tPvRmT3_T4_T5_T6_T7_T9_mT8_P12ihipStream_tbDpT10_ENKUlT_T0_E_clISt17integral_constantIbLb0EES19_IbLb1EEEEDaS15_S16_EUlS15_E_NS1_11comp_targetILNS1_3genE9ELNS1_11target_archE1100ELNS1_3gpuE3ELNS1_3repE0EEENS1_30default_config_static_selectorELNS0_4arch9wavefront6targetE0EEEvT1_ ; -- Begin function _ZN7rocprim17ROCPRIM_400000_NS6detail17trampoline_kernelINS0_14default_configENS1_25partition_config_selectorILNS1_17partition_subalgoE9EllbEEZZNS1_14partition_implILS5_9ELb0ES3_jPlS8_PNS0_10empty_typeENS0_5tupleIJS8_S9_EEENSB_IJS8_SA_EEENS0_18inequality_wrapperIZN2at6native12_GLOBAL__N_124unique_dim_cuda_templateItEESt5tupleIJNSF_6TensorESK_SK_EERKSK_lbbbEUlllE0_EEPmJS9_EEE10hipError_tPvRmT3_T4_T5_T6_T7_T9_mT8_P12ihipStream_tbDpT10_ENKUlT_T0_E_clISt17integral_constantIbLb0EES19_IbLb1EEEEDaS15_S16_EUlS15_E_NS1_11comp_targetILNS1_3genE9ELNS1_11target_archE1100ELNS1_3gpuE3ELNS1_3repE0EEENS1_30default_config_static_selectorELNS0_4arch9wavefront6targetE0EEEvT1_
	.p2align	8
	.type	_ZN7rocprim17ROCPRIM_400000_NS6detail17trampoline_kernelINS0_14default_configENS1_25partition_config_selectorILNS1_17partition_subalgoE9EllbEEZZNS1_14partition_implILS5_9ELb0ES3_jPlS8_PNS0_10empty_typeENS0_5tupleIJS8_S9_EEENSB_IJS8_SA_EEENS0_18inequality_wrapperIZN2at6native12_GLOBAL__N_124unique_dim_cuda_templateItEESt5tupleIJNSF_6TensorESK_SK_EERKSK_lbbbEUlllE0_EEPmJS9_EEE10hipError_tPvRmT3_T4_T5_T6_T7_T9_mT8_P12ihipStream_tbDpT10_ENKUlT_T0_E_clISt17integral_constantIbLb0EES19_IbLb1EEEEDaS15_S16_EUlS15_E_NS1_11comp_targetILNS1_3genE9ELNS1_11target_archE1100ELNS1_3gpuE3ELNS1_3repE0EEENS1_30default_config_static_selectorELNS0_4arch9wavefront6targetE0EEEvT1_,@function
_ZN7rocprim17ROCPRIM_400000_NS6detail17trampoline_kernelINS0_14default_configENS1_25partition_config_selectorILNS1_17partition_subalgoE9EllbEEZZNS1_14partition_implILS5_9ELb0ES3_jPlS8_PNS0_10empty_typeENS0_5tupleIJS8_S9_EEENSB_IJS8_SA_EEENS0_18inequality_wrapperIZN2at6native12_GLOBAL__N_124unique_dim_cuda_templateItEESt5tupleIJNSF_6TensorESK_SK_EERKSK_lbbbEUlllE0_EEPmJS9_EEE10hipError_tPvRmT3_T4_T5_T6_T7_T9_mT8_P12ihipStream_tbDpT10_ENKUlT_T0_E_clISt17integral_constantIbLb0EES19_IbLb1EEEEDaS15_S16_EUlS15_E_NS1_11comp_targetILNS1_3genE9ELNS1_11target_archE1100ELNS1_3gpuE3ELNS1_3repE0EEENS1_30default_config_static_selectorELNS0_4arch9wavefront6targetE0EEEvT1_: ; @_ZN7rocprim17ROCPRIM_400000_NS6detail17trampoline_kernelINS0_14default_configENS1_25partition_config_selectorILNS1_17partition_subalgoE9EllbEEZZNS1_14partition_implILS5_9ELb0ES3_jPlS8_PNS0_10empty_typeENS0_5tupleIJS8_S9_EEENSB_IJS8_SA_EEENS0_18inequality_wrapperIZN2at6native12_GLOBAL__N_124unique_dim_cuda_templateItEESt5tupleIJNSF_6TensorESK_SK_EERKSK_lbbbEUlllE0_EEPmJS9_EEE10hipError_tPvRmT3_T4_T5_T6_T7_T9_mT8_P12ihipStream_tbDpT10_ENKUlT_T0_E_clISt17integral_constantIbLb0EES19_IbLb1EEEEDaS15_S16_EUlS15_E_NS1_11comp_targetILNS1_3genE9ELNS1_11target_archE1100ELNS1_3gpuE3ELNS1_3repE0EEENS1_30default_config_static_selectorELNS0_4arch9wavefront6targetE0EEEvT1_
; %bb.0:
	.section	.rodata,"a",@progbits
	.p2align	6, 0x0
	.amdhsa_kernel _ZN7rocprim17ROCPRIM_400000_NS6detail17trampoline_kernelINS0_14default_configENS1_25partition_config_selectorILNS1_17partition_subalgoE9EllbEEZZNS1_14partition_implILS5_9ELb0ES3_jPlS8_PNS0_10empty_typeENS0_5tupleIJS8_S9_EEENSB_IJS8_SA_EEENS0_18inequality_wrapperIZN2at6native12_GLOBAL__N_124unique_dim_cuda_templateItEESt5tupleIJNSF_6TensorESK_SK_EERKSK_lbbbEUlllE0_EEPmJS9_EEE10hipError_tPvRmT3_T4_T5_T6_T7_T9_mT8_P12ihipStream_tbDpT10_ENKUlT_T0_E_clISt17integral_constantIbLb0EES19_IbLb1EEEEDaS15_S16_EUlS15_E_NS1_11comp_targetILNS1_3genE9ELNS1_11target_archE1100ELNS1_3gpuE3ELNS1_3repE0EEENS1_30default_config_static_selectorELNS0_4arch9wavefront6targetE0EEEvT1_
		.amdhsa_group_segment_fixed_size 0
		.amdhsa_private_segment_fixed_size 0
		.amdhsa_kernarg_size 136
		.amdhsa_user_sgpr_count 2
		.amdhsa_user_sgpr_dispatch_ptr 0
		.amdhsa_user_sgpr_queue_ptr 0
		.amdhsa_user_sgpr_kernarg_segment_ptr 1
		.amdhsa_user_sgpr_dispatch_id 0
		.amdhsa_user_sgpr_kernarg_preload_length 0
		.amdhsa_user_sgpr_kernarg_preload_offset 0
		.amdhsa_user_sgpr_private_segment_size 0
		.amdhsa_wavefront_size32 1
		.amdhsa_uses_dynamic_stack 0
		.amdhsa_enable_private_segment 0
		.amdhsa_system_sgpr_workgroup_id_x 1
		.amdhsa_system_sgpr_workgroup_id_y 0
		.amdhsa_system_sgpr_workgroup_id_z 0
		.amdhsa_system_sgpr_workgroup_info 0
		.amdhsa_system_vgpr_workitem_id 0
		.amdhsa_next_free_vgpr 1
		.amdhsa_next_free_sgpr 1
		.amdhsa_named_barrier_count 0
		.amdhsa_reserve_vcc 0
		.amdhsa_float_round_mode_32 0
		.amdhsa_float_round_mode_16_64 0
		.amdhsa_float_denorm_mode_32 3
		.amdhsa_float_denorm_mode_16_64 3
		.amdhsa_fp16_overflow 0
		.amdhsa_memory_ordered 1
		.amdhsa_forward_progress 1
		.amdhsa_inst_pref_size 0
		.amdhsa_round_robin_scheduling 0
		.amdhsa_exception_fp_ieee_invalid_op 0
		.amdhsa_exception_fp_denorm_src 0
		.amdhsa_exception_fp_ieee_div_zero 0
		.amdhsa_exception_fp_ieee_overflow 0
		.amdhsa_exception_fp_ieee_underflow 0
		.amdhsa_exception_fp_ieee_inexact 0
		.amdhsa_exception_int_div_zero 0
	.end_amdhsa_kernel
	.section	.text._ZN7rocprim17ROCPRIM_400000_NS6detail17trampoline_kernelINS0_14default_configENS1_25partition_config_selectorILNS1_17partition_subalgoE9EllbEEZZNS1_14partition_implILS5_9ELb0ES3_jPlS8_PNS0_10empty_typeENS0_5tupleIJS8_S9_EEENSB_IJS8_SA_EEENS0_18inequality_wrapperIZN2at6native12_GLOBAL__N_124unique_dim_cuda_templateItEESt5tupleIJNSF_6TensorESK_SK_EERKSK_lbbbEUlllE0_EEPmJS9_EEE10hipError_tPvRmT3_T4_T5_T6_T7_T9_mT8_P12ihipStream_tbDpT10_ENKUlT_T0_E_clISt17integral_constantIbLb0EES19_IbLb1EEEEDaS15_S16_EUlS15_E_NS1_11comp_targetILNS1_3genE9ELNS1_11target_archE1100ELNS1_3gpuE3ELNS1_3repE0EEENS1_30default_config_static_selectorELNS0_4arch9wavefront6targetE0EEEvT1_,"axG",@progbits,_ZN7rocprim17ROCPRIM_400000_NS6detail17trampoline_kernelINS0_14default_configENS1_25partition_config_selectorILNS1_17partition_subalgoE9EllbEEZZNS1_14partition_implILS5_9ELb0ES3_jPlS8_PNS0_10empty_typeENS0_5tupleIJS8_S9_EEENSB_IJS8_SA_EEENS0_18inequality_wrapperIZN2at6native12_GLOBAL__N_124unique_dim_cuda_templateItEESt5tupleIJNSF_6TensorESK_SK_EERKSK_lbbbEUlllE0_EEPmJS9_EEE10hipError_tPvRmT3_T4_T5_T6_T7_T9_mT8_P12ihipStream_tbDpT10_ENKUlT_T0_E_clISt17integral_constantIbLb0EES19_IbLb1EEEEDaS15_S16_EUlS15_E_NS1_11comp_targetILNS1_3genE9ELNS1_11target_archE1100ELNS1_3gpuE3ELNS1_3repE0EEENS1_30default_config_static_selectorELNS0_4arch9wavefront6targetE0EEEvT1_,comdat
.Lfunc_end1481:
	.size	_ZN7rocprim17ROCPRIM_400000_NS6detail17trampoline_kernelINS0_14default_configENS1_25partition_config_selectorILNS1_17partition_subalgoE9EllbEEZZNS1_14partition_implILS5_9ELb0ES3_jPlS8_PNS0_10empty_typeENS0_5tupleIJS8_S9_EEENSB_IJS8_SA_EEENS0_18inequality_wrapperIZN2at6native12_GLOBAL__N_124unique_dim_cuda_templateItEESt5tupleIJNSF_6TensorESK_SK_EERKSK_lbbbEUlllE0_EEPmJS9_EEE10hipError_tPvRmT3_T4_T5_T6_T7_T9_mT8_P12ihipStream_tbDpT10_ENKUlT_T0_E_clISt17integral_constantIbLb0EES19_IbLb1EEEEDaS15_S16_EUlS15_E_NS1_11comp_targetILNS1_3genE9ELNS1_11target_archE1100ELNS1_3gpuE3ELNS1_3repE0EEENS1_30default_config_static_selectorELNS0_4arch9wavefront6targetE0EEEvT1_, .Lfunc_end1481-_ZN7rocprim17ROCPRIM_400000_NS6detail17trampoline_kernelINS0_14default_configENS1_25partition_config_selectorILNS1_17partition_subalgoE9EllbEEZZNS1_14partition_implILS5_9ELb0ES3_jPlS8_PNS0_10empty_typeENS0_5tupleIJS8_S9_EEENSB_IJS8_SA_EEENS0_18inequality_wrapperIZN2at6native12_GLOBAL__N_124unique_dim_cuda_templateItEESt5tupleIJNSF_6TensorESK_SK_EERKSK_lbbbEUlllE0_EEPmJS9_EEE10hipError_tPvRmT3_T4_T5_T6_T7_T9_mT8_P12ihipStream_tbDpT10_ENKUlT_T0_E_clISt17integral_constantIbLb0EES19_IbLb1EEEEDaS15_S16_EUlS15_E_NS1_11comp_targetILNS1_3genE9ELNS1_11target_archE1100ELNS1_3gpuE3ELNS1_3repE0EEENS1_30default_config_static_selectorELNS0_4arch9wavefront6targetE0EEEvT1_
                                        ; -- End function
	.set _ZN7rocprim17ROCPRIM_400000_NS6detail17trampoline_kernelINS0_14default_configENS1_25partition_config_selectorILNS1_17partition_subalgoE9EllbEEZZNS1_14partition_implILS5_9ELb0ES3_jPlS8_PNS0_10empty_typeENS0_5tupleIJS8_S9_EEENSB_IJS8_SA_EEENS0_18inequality_wrapperIZN2at6native12_GLOBAL__N_124unique_dim_cuda_templateItEESt5tupleIJNSF_6TensorESK_SK_EERKSK_lbbbEUlllE0_EEPmJS9_EEE10hipError_tPvRmT3_T4_T5_T6_T7_T9_mT8_P12ihipStream_tbDpT10_ENKUlT_T0_E_clISt17integral_constantIbLb0EES19_IbLb1EEEEDaS15_S16_EUlS15_E_NS1_11comp_targetILNS1_3genE9ELNS1_11target_archE1100ELNS1_3gpuE3ELNS1_3repE0EEENS1_30default_config_static_selectorELNS0_4arch9wavefront6targetE0EEEvT1_.num_vgpr, 0
	.set _ZN7rocprim17ROCPRIM_400000_NS6detail17trampoline_kernelINS0_14default_configENS1_25partition_config_selectorILNS1_17partition_subalgoE9EllbEEZZNS1_14partition_implILS5_9ELb0ES3_jPlS8_PNS0_10empty_typeENS0_5tupleIJS8_S9_EEENSB_IJS8_SA_EEENS0_18inequality_wrapperIZN2at6native12_GLOBAL__N_124unique_dim_cuda_templateItEESt5tupleIJNSF_6TensorESK_SK_EERKSK_lbbbEUlllE0_EEPmJS9_EEE10hipError_tPvRmT3_T4_T5_T6_T7_T9_mT8_P12ihipStream_tbDpT10_ENKUlT_T0_E_clISt17integral_constantIbLb0EES19_IbLb1EEEEDaS15_S16_EUlS15_E_NS1_11comp_targetILNS1_3genE9ELNS1_11target_archE1100ELNS1_3gpuE3ELNS1_3repE0EEENS1_30default_config_static_selectorELNS0_4arch9wavefront6targetE0EEEvT1_.num_agpr, 0
	.set _ZN7rocprim17ROCPRIM_400000_NS6detail17trampoline_kernelINS0_14default_configENS1_25partition_config_selectorILNS1_17partition_subalgoE9EllbEEZZNS1_14partition_implILS5_9ELb0ES3_jPlS8_PNS0_10empty_typeENS0_5tupleIJS8_S9_EEENSB_IJS8_SA_EEENS0_18inequality_wrapperIZN2at6native12_GLOBAL__N_124unique_dim_cuda_templateItEESt5tupleIJNSF_6TensorESK_SK_EERKSK_lbbbEUlllE0_EEPmJS9_EEE10hipError_tPvRmT3_T4_T5_T6_T7_T9_mT8_P12ihipStream_tbDpT10_ENKUlT_T0_E_clISt17integral_constantIbLb0EES19_IbLb1EEEEDaS15_S16_EUlS15_E_NS1_11comp_targetILNS1_3genE9ELNS1_11target_archE1100ELNS1_3gpuE3ELNS1_3repE0EEENS1_30default_config_static_selectorELNS0_4arch9wavefront6targetE0EEEvT1_.numbered_sgpr, 0
	.set _ZN7rocprim17ROCPRIM_400000_NS6detail17trampoline_kernelINS0_14default_configENS1_25partition_config_selectorILNS1_17partition_subalgoE9EllbEEZZNS1_14partition_implILS5_9ELb0ES3_jPlS8_PNS0_10empty_typeENS0_5tupleIJS8_S9_EEENSB_IJS8_SA_EEENS0_18inequality_wrapperIZN2at6native12_GLOBAL__N_124unique_dim_cuda_templateItEESt5tupleIJNSF_6TensorESK_SK_EERKSK_lbbbEUlllE0_EEPmJS9_EEE10hipError_tPvRmT3_T4_T5_T6_T7_T9_mT8_P12ihipStream_tbDpT10_ENKUlT_T0_E_clISt17integral_constantIbLb0EES19_IbLb1EEEEDaS15_S16_EUlS15_E_NS1_11comp_targetILNS1_3genE9ELNS1_11target_archE1100ELNS1_3gpuE3ELNS1_3repE0EEENS1_30default_config_static_selectorELNS0_4arch9wavefront6targetE0EEEvT1_.num_named_barrier, 0
	.set _ZN7rocprim17ROCPRIM_400000_NS6detail17trampoline_kernelINS0_14default_configENS1_25partition_config_selectorILNS1_17partition_subalgoE9EllbEEZZNS1_14partition_implILS5_9ELb0ES3_jPlS8_PNS0_10empty_typeENS0_5tupleIJS8_S9_EEENSB_IJS8_SA_EEENS0_18inequality_wrapperIZN2at6native12_GLOBAL__N_124unique_dim_cuda_templateItEESt5tupleIJNSF_6TensorESK_SK_EERKSK_lbbbEUlllE0_EEPmJS9_EEE10hipError_tPvRmT3_T4_T5_T6_T7_T9_mT8_P12ihipStream_tbDpT10_ENKUlT_T0_E_clISt17integral_constantIbLb0EES19_IbLb1EEEEDaS15_S16_EUlS15_E_NS1_11comp_targetILNS1_3genE9ELNS1_11target_archE1100ELNS1_3gpuE3ELNS1_3repE0EEENS1_30default_config_static_selectorELNS0_4arch9wavefront6targetE0EEEvT1_.private_seg_size, 0
	.set _ZN7rocprim17ROCPRIM_400000_NS6detail17trampoline_kernelINS0_14default_configENS1_25partition_config_selectorILNS1_17partition_subalgoE9EllbEEZZNS1_14partition_implILS5_9ELb0ES3_jPlS8_PNS0_10empty_typeENS0_5tupleIJS8_S9_EEENSB_IJS8_SA_EEENS0_18inequality_wrapperIZN2at6native12_GLOBAL__N_124unique_dim_cuda_templateItEESt5tupleIJNSF_6TensorESK_SK_EERKSK_lbbbEUlllE0_EEPmJS9_EEE10hipError_tPvRmT3_T4_T5_T6_T7_T9_mT8_P12ihipStream_tbDpT10_ENKUlT_T0_E_clISt17integral_constantIbLb0EES19_IbLb1EEEEDaS15_S16_EUlS15_E_NS1_11comp_targetILNS1_3genE9ELNS1_11target_archE1100ELNS1_3gpuE3ELNS1_3repE0EEENS1_30default_config_static_selectorELNS0_4arch9wavefront6targetE0EEEvT1_.uses_vcc, 0
	.set _ZN7rocprim17ROCPRIM_400000_NS6detail17trampoline_kernelINS0_14default_configENS1_25partition_config_selectorILNS1_17partition_subalgoE9EllbEEZZNS1_14partition_implILS5_9ELb0ES3_jPlS8_PNS0_10empty_typeENS0_5tupleIJS8_S9_EEENSB_IJS8_SA_EEENS0_18inequality_wrapperIZN2at6native12_GLOBAL__N_124unique_dim_cuda_templateItEESt5tupleIJNSF_6TensorESK_SK_EERKSK_lbbbEUlllE0_EEPmJS9_EEE10hipError_tPvRmT3_T4_T5_T6_T7_T9_mT8_P12ihipStream_tbDpT10_ENKUlT_T0_E_clISt17integral_constantIbLb0EES19_IbLb1EEEEDaS15_S16_EUlS15_E_NS1_11comp_targetILNS1_3genE9ELNS1_11target_archE1100ELNS1_3gpuE3ELNS1_3repE0EEENS1_30default_config_static_selectorELNS0_4arch9wavefront6targetE0EEEvT1_.uses_flat_scratch, 0
	.set _ZN7rocprim17ROCPRIM_400000_NS6detail17trampoline_kernelINS0_14default_configENS1_25partition_config_selectorILNS1_17partition_subalgoE9EllbEEZZNS1_14partition_implILS5_9ELb0ES3_jPlS8_PNS0_10empty_typeENS0_5tupleIJS8_S9_EEENSB_IJS8_SA_EEENS0_18inequality_wrapperIZN2at6native12_GLOBAL__N_124unique_dim_cuda_templateItEESt5tupleIJNSF_6TensorESK_SK_EERKSK_lbbbEUlllE0_EEPmJS9_EEE10hipError_tPvRmT3_T4_T5_T6_T7_T9_mT8_P12ihipStream_tbDpT10_ENKUlT_T0_E_clISt17integral_constantIbLb0EES19_IbLb1EEEEDaS15_S16_EUlS15_E_NS1_11comp_targetILNS1_3genE9ELNS1_11target_archE1100ELNS1_3gpuE3ELNS1_3repE0EEENS1_30default_config_static_selectorELNS0_4arch9wavefront6targetE0EEEvT1_.has_dyn_sized_stack, 0
	.set _ZN7rocprim17ROCPRIM_400000_NS6detail17trampoline_kernelINS0_14default_configENS1_25partition_config_selectorILNS1_17partition_subalgoE9EllbEEZZNS1_14partition_implILS5_9ELb0ES3_jPlS8_PNS0_10empty_typeENS0_5tupleIJS8_S9_EEENSB_IJS8_SA_EEENS0_18inequality_wrapperIZN2at6native12_GLOBAL__N_124unique_dim_cuda_templateItEESt5tupleIJNSF_6TensorESK_SK_EERKSK_lbbbEUlllE0_EEPmJS9_EEE10hipError_tPvRmT3_T4_T5_T6_T7_T9_mT8_P12ihipStream_tbDpT10_ENKUlT_T0_E_clISt17integral_constantIbLb0EES19_IbLb1EEEEDaS15_S16_EUlS15_E_NS1_11comp_targetILNS1_3genE9ELNS1_11target_archE1100ELNS1_3gpuE3ELNS1_3repE0EEENS1_30default_config_static_selectorELNS0_4arch9wavefront6targetE0EEEvT1_.has_recursion, 0
	.set _ZN7rocprim17ROCPRIM_400000_NS6detail17trampoline_kernelINS0_14default_configENS1_25partition_config_selectorILNS1_17partition_subalgoE9EllbEEZZNS1_14partition_implILS5_9ELb0ES3_jPlS8_PNS0_10empty_typeENS0_5tupleIJS8_S9_EEENSB_IJS8_SA_EEENS0_18inequality_wrapperIZN2at6native12_GLOBAL__N_124unique_dim_cuda_templateItEESt5tupleIJNSF_6TensorESK_SK_EERKSK_lbbbEUlllE0_EEPmJS9_EEE10hipError_tPvRmT3_T4_T5_T6_T7_T9_mT8_P12ihipStream_tbDpT10_ENKUlT_T0_E_clISt17integral_constantIbLb0EES19_IbLb1EEEEDaS15_S16_EUlS15_E_NS1_11comp_targetILNS1_3genE9ELNS1_11target_archE1100ELNS1_3gpuE3ELNS1_3repE0EEENS1_30default_config_static_selectorELNS0_4arch9wavefront6targetE0EEEvT1_.has_indirect_call, 0
	.section	.AMDGPU.csdata,"",@progbits
; Kernel info:
; codeLenInByte = 0
; TotalNumSgprs: 0
; NumVgprs: 0
; ScratchSize: 0
; MemoryBound: 0
; FloatMode: 240
; IeeeMode: 1
; LDSByteSize: 0 bytes/workgroup (compile time only)
; SGPRBlocks: 0
; VGPRBlocks: 0
; NumSGPRsForWavesPerEU: 1
; NumVGPRsForWavesPerEU: 1
; NamedBarCnt: 0
; Occupancy: 16
; WaveLimiterHint : 0
; COMPUTE_PGM_RSRC2:SCRATCH_EN: 0
; COMPUTE_PGM_RSRC2:USER_SGPR: 2
; COMPUTE_PGM_RSRC2:TRAP_HANDLER: 0
; COMPUTE_PGM_RSRC2:TGID_X_EN: 1
; COMPUTE_PGM_RSRC2:TGID_Y_EN: 0
; COMPUTE_PGM_RSRC2:TGID_Z_EN: 0
; COMPUTE_PGM_RSRC2:TIDIG_COMP_CNT: 0
	.section	.text._ZN7rocprim17ROCPRIM_400000_NS6detail17trampoline_kernelINS0_14default_configENS1_25partition_config_selectorILNS1_17partition_subalgoE9EllbEEZZNS1_14partition_implILS5_9ELb0ES3_jPlS8_PNS0_10empty_typeENS0_5tupleIJS8_S9_EEENSB_IJS8_SA_EEENS0_18inequality_wrapperIZN2at6native12_GLOBAL__N_124unique_dim_cuda_templateItEESt5tupleIJNSF_6TensorESK_SK_EERKSK_lbbbEUlllE0_EEPmJS9_EEE10hipError_tPvRmT3_T4_T5_T6_T7_T9_mT8_P12ihipStream_tbDpT10_ENKUlT_T0_E_clISt17integral_constantIbLb0EES19_IbLb1EEEEDaS15_S16_EUlS15_E_NS1_11comp_targetILNS1_3genE8ELNS1_11target_archE1030ELNS1_3gpuE2ELNS1_3repE0EEENS1_30default_config_static_selectorELNS0_4arch9wavefront6targetE0EEEvT1_,"axG",@progbits,_ZN7rocprim17ROCPRIM_400000_NS6detail17trampoline_kernelINS0_14default_configENS1_25partition_config_selectorILNS1_17partition_subalgoE9EllbEEZZNS1_14partition_implILS5_9ELb0ES3_jPlS8_PNS0_10empty_typeENS0_5tupleIJS8_S9_EEENSB_IJS8_SA_EEENS0_18inequality_wrapperIZN2at6native12_GLOBAL__N_124unique_dim_cuda_templateItEESt5tupleIJNSF_6TensorESK_SK_EERKSK_lbbbEUlllE0_EEPmJS9_EEE10hipError_tPvRmT3_T4_T5_T6_T7_T9_mT8_P12ihipStream_tbDpT10_ENKUlT_T0_E_clISt17integral_constantIbLb0EES19_IbLb1EEEEDaS15_S16_EUlS15_E_NS1_11comp_targetILNS1_3genE8ELNS1_11target_archE1030ELNS1_3gpuE2ELNS1_3repE0EEENS1_30default_config_static_selectorELNS0_4arch9wavefront6targetE0EEEvT1_,comdat
	.globl	_ZN7rocprim17ROCPRIM_400000_NS6detail17trampoline_kernelINS0_14default_configENS1_25partition_config_selectorILNS1_17partition_subalgoE9EllbEEZZNS1_14partition_implILS5_9ELb0ES3_jPlS8_PNS0_10empty_typeENS0_5tupleIJS8_S9_EEENSB_IJS8_SA_EEENS0_18inequality_wrapperIZN2at6native12_GLOBAL__N_124unique_dim_cuda_templateItEESt5tupleIJNSF_6TensorESK_SK_EERKSK_lbbbEUlllE0_EEPmJS9_EEE10hipError_tPvRmT3_T4_T5_T6_T7_T9_mT8_P12ihipStream_tbDpT10_ENKUlT_T0_E_clISt17integral_constantIbLb0EES19_IbLb1EEEEDaS15_S16_EUlS15_E_NS1_11comp_targetILNS1_3genE8ELNS1_11target_archE1030ELNS1_3gpuE2ELNS1_3repE0EEENS1_30default_config_static_selectorELNS0_4arch9wavefront6targetE0EEEvT1_ ; -- Begin function _ZN7rocprim17ROCPRIM_400000_NS6detail17trampoline_kernelINS0_14default_configENS1_25partition_config_selectorILNS1_17partition_subalgoE9EllbEEZZNS1_14partition_implILS5_9ELb0ES3_jPlS8_PNS0_10empty_typeENS0_5tupleIJS8_S9_EEENSB_IJS8_SA_EEENS0_18inequality_wrapperIZN2at6native12_GLOBAL__N_124unique_dim_cuda_templateItEESt5tupleIJNSF_6TensorESK_SK_EERKSK_lbbbEUlllE0_EEPmJS9_EEE10hipError_tPvRmT3_T4_T5_T6_T7_T9_mT8_P12ihipStream_tbDpT10_ENKUlT_T0_E_clISt17integral_constantIbLb0EES19_IbLb1EEEEDaS15_S16_EUlS15_E_NS1_11comp_targetILNS1_3genE8ELNS1_11target_archE1030ELNS1_3gpuE2ELNS1_3repE0EEENS1_30default_config_static_selectorELNS0_4arch9wavefront6targetE0EEEvT1_
	.p2align	8
	.type	_ZN7rocprim17ROCPRIM_400000_NS6detail17trampoline_kernelINS0_14default_configENS1_25partition_config_selectorILNS1_17partition_subalgoE9EllbEEZZNS1_14partition_implILS5_9ELb0ES3_jPlS8_PNS0_10empty_typeENS0_5tupleIJS8_S9_EEENSB_IJS8_SA_EEENS0_18inequality_wrapperIZN2at6native12_GLOBAL__N_124unique_dim_cuda_templateItEESt5tupleIJNSF_6TensorESK_SK_EERKSK_lbbbEUlllE0_EEPmJS9_EEE10hipError_tPvRmT3_T4_T5_T6_T7_T9_mT8_P12ihipStream_tbDpT10_ENKUlT_T0_E_clISt17integral_constantIbLb0EES19_IbLb1EEEEDaS15_S16_EUlS15_E_NS1_11comp_targetILNS1_3genE8ELNS1_11target_archE1030ELNS1_3gpuE2ELNS1_3repE0EEENS1_30default_config_static_selectorELNS0_4arch9wavefront6targetE0EEEvT1_,@function
_ZN7rocprim17ROCPRIM_400000_NS6detail17trampoline_kernelINS0_14default_configENS1_25partition_config_selectorILNS1_17partition_subalgoE9EllbEEZZNS1_14partition_implILS5_9ELb0ES3_jPlS8_PNS0_10empty_typeENS0_5tupleIJS8_S9_EEENSB_IJS8_SA_EEENS0_18inequality_wrapperIZN2at6native12_GLOBAL__N_124unique_dim_cuda_templateItEESt5tupleIJNSF_6TensorESK_SK_EERKSK_lbbbEUlllE0_EEPmJS9_EEE10hipError_tPvRmT3_T4_T5_T6_T7_T9_mT8_P12ihipStream_tbDpT10_ENKUlT_T0_E_clISt17integral_constantIbLb0EES19_IbLb1EEEEDaS15_S16_EUlS15_E_NS1_11comp_targetILNS1_3genE8ELNS1_11target_archE1030ELNS1_3gpuE2ELNS1_3repE0EEENS1_30default_config_static_selectorELNS0_4arch9wavefront6targetE0EEEvT1_: ; @_ZN7rocprim17ROCPRIM_400000_NS6detail17trampoline_kernelINS0_14default_configENS1_25partition_config_selectorILNS1_17partition_subalgoE9EllbEEZZNS1_14partition_implILS5_9ELb0ES3_jPlS8_PNS0_10empty_typeENS0_5tupleIJS8_S9_EEENSB_IJS8_SA_EEENS0_18inequality_wrapperIZN2at6native12_GLOBAL__N_124unique_dim_cuda_templateItEESt5tupleIJNSF_6TensorESK_SK_EERKSK_lbbbEUlllE0_EEPmJS9_EEE10hipError_tPvRmT3_T4_T5_T6_T7_T9_mT8_P12ihipStream_tbDpT10_ENKUlT_T0_E_clISt17integral_constantIbLb0EES19_IbLb1EEEEDaS15_S16_EUlS15_E_NS1_11comp_targetILNS1_3genE8ELNS1_11target_archE1030ELNS1_3gpuE2ELNS1_3repE0EEENS1_30default_config_static_selectorELNS0_4arch9wavefront6targetE0EEEvT1_
; %bb.0:
	.section	.rodata,"a",@progbits
	.p2align	6, 0x0
	.amdhsa_kernel _ZN7rocprim17ROCPRIM_400000_NS6detail17trampoline_kernelINS0_14default_configENS1_25partition_config_selectorILNS1_17partition_subalgoE9EllbEEZZNS1_14partition_implILS5_9ELb0ES3_jPlS8_PNS0_10empty_typeENS0_5tupleIJS8_S9_EEENSB_IJS8_SA_EEENS0_18inequality_wrapperIZN2at6native12_GLOBAL__N_124unique_dim_cuda_templateItEESt5tupleIJNSF_6TensorESK_SK_EERKSK_lbbbEUlllE0_EEPmJS9_EEE10hipError_tPvRmT3_T4_T5_T6_T7_T9_mT8_P12ihipStream_tbDpT10_ENKUlT_T0_E_clISt17integral_constantIbLb0EES19_IbLb1EEEEDaS15_S16_EUlS15_E_NS1_11comp_targetILNS1_3genE8ELNS1_11target_archE1030ELNS1_3gpuE2ELNS1_3repE0EEENS1_30default_config_static_selectorELNS0_4arch9wavefront6targetE0EEEvT1_
		.amdhsa_group_segment_fixed_size 0
		.amdhsa_private_segment_fixed_size 0
		.amdhsa_kernarg_size 136
		.amdhsa_user_sgpr_count 2
		.amdhsa_user_sgpr_dispatch_ptr 0
		.amdhsa_user_sgpr_queue_ptr 0
		.amdhsa_user_sgpr_kernarg_segment_ptr 1
		.amdhsa_user_sgpr_dispatch_id 0
		.amdhsa_user_sgpr_kernarg_preload_length 0
		.amdhsa_user_sgpr_kernarg_preload_offset 0
		.amdhsa_user_sgpr_private_segment_size 0
		.amdhsa_wavefront_size32 1
		.amdhsa_uses_dynamic_stack 0
		.amdhsa_enable_private_segment 0
		.amdhsa_system_sgpr_workgroup_id_x 1
		.amdhsa_system_sgpr_workgroup_id_y 0
		.amdhsa_system_sgpr_workgroup_id_z 0
		.amdhsa_system_sgpr_workgroup_info 0
		.amdhsa_system_vgpr_workitem_id 0
		.amdhsa_next_free_vgpr 1
		.amdhsa_next_free_sgpr 1
		.amdhsa_named_barrier_count 0
		.amdhsa_reserve_vcc 0
		.amdhsa_float_round_mode_32 0
		.amdhsa_float_round_mode_16_64 0
		.amdhsa_float_denorm_mode_32 3
		.amdhsa_float_denorm_mode_16_64 3
		.amdhsa_fp16_overflow 0
		.amdhsa_memory_ordered 1
		.amdhsa_forward_progress 1
		.amdhsa_inst_pref_size 0
		.amdhsa_round_robin_scheduling 0
		.amdhsa_exception_fp_ieee_invalid_op 0
		.amdhsa_exception_fp_denorm_src 0
		.amdhsa_exception_fp_ieee_div_zero 0
		.amdhsa_exception_fp_ieee_overflow 0
		.amdhsa_exception_fp_ieee_underflow 0
		.amdhsa_exception_fp_ieee_inexact 0
		.amdhsa_exception_int_div_zero 0
	.end_amdhsa_kernel
	.section	.text._ZN7rocprim17ROCPRIM_400000_NS6detail17trampoline_kernelINS0_14default_configENS1_25partition_config_selectorILNS1_17partition_subalgoE9EllbEEZZNS1_14partition_implILS5_9ELb0ES3_jPlS8_PNS0_10empty_typeENS0_5tupleIJS8_S9_EEENSB_IJS8_SA_EEENS0_18inequality_wrapperIZN2at6native12_GLOBAL__N_124unique_dim_cuda_templateItEESt5tupleIJNSF_6TensorESK_SK_EERKSK_lbbbEUlllE0_EEPmJS9_EEE10hipError_tPvRmT3_T4_T5_T6_T7_T9_mT8_P12ihipStream_tbDpT10_ENKUlT_T0_E_clISt17integral_constantIbLb0EES19_IbLb1EEEEDaS15_S16_EUlS15_E_NS1_11comp_targetILNS1_3genE8ELNS1_11target_archE1030ELNS1_3gpuE2ELNS1_3repE0EEENS1_30default_config_static_selectorELNS0_4arch9wavefront6targetE0EEEvT1_,"axG",@progbits,_ZN7rocprim17ROCPRIM_400000_NS6detail17trampoline_kernelINS0_14default_configENS1_25partition_config_selectorILNS1_17partition_subalgoE9EllbEEZZNS1_14partition_implILS5_9ELb0ES3_jPlS8_PNS0_10empty_typeENS0_5tupleIJS8_S9_EEENSB_IJS8_SA_EEENS0_18inequality_wrapperIZN2at6native12_GLOBAL__N_124unique_dim_cuda_templateItEESt5tupleIJNSF_6TensorESK_SK_EERKSK_lbbbEUlllE0_EEPmJS9_EEE10hipError_tPvRmT3_T4_T5_T6_T7_T9_mT8_P12ihipStream_tbDpT10_ENKUlT_T0_E_clISt17integral_constantIbLb0EES19_IbLb1EEEEDaS15_S16_EUlS15_E_NS1_11comp_targetILNS1_3genE8ELNS1_11target_archE1030ELNS1_3gpuE2ELNS1_3repE0EEENS1_30default_config_static_selectorELNS0_4arch9wavefront6targetE0EEEvT1_,comdat
.Lfunc_end1482:
	.size	_ZN7rocprim17ROCPRIM_400000_NS6detail17trampoline_kernelINS0_14default_configENS1_25partition_config_selectorILNS1_17partition_subalgoE9EllbEEZZNS1_14partition_implILS5_9ELb0ES3_jPlS8_PNS0_10empty_typeENS0_5tupleIJS8_S9_EEENSB_IJS8_SA_EEENS0_18inequality_wrapperIZN2at6native12_GLOBAL__N_124unique_dim_cuda_templateItEESt5tupleIJNSF_6TensorESK_SK_EERKSK_lbbbEUlllE0_EEPmJS9_EEE10hipError_tPvRmT3_T4_T5_T6_T7_T9_mT8_P12ihipStream_tbDpT10_ENKUlT_T0_E_clISt17integral_constantIbLb0EES19_IbLb1EEEEDaS15_S16_EUlS15_E_NS1_11comp_targetILNS1_3genE8ELNS1_11target_archE1030ELNS1_3gpuE2ELNS1_3repE0EEENS1_30default_config_static_selectorELNS0_4arch9wavefront6targetE0EEEvT1_, .Lfunc_end1482-_ZN7rocprim17ROCPRIM_400000_NS6detail17trampoline_kernelINS0_14default_configENS1_25partition_config_selectorILNS1_17partition_subalgoE9EllbEEZZNS1_14partition_implILS5_9ELb0ES3_jPlS8_PNS0_10empty_typeENS0_5tupleIJS8_S9_EEENSB_IJS8_SA_EEENS0_18inequality_wrapperIZN2at6native12_GLOBAL__N_124unique_dim_cuda_templateItEESt5tupleIJNSF_6TensorESK_SK_EERKSK_lbbbEUlllE0_EEPmJS9_EEE10hipError_tPvRmT3_T4_T5_T6_T7_T9_mT8_P12ihipStream_tbDpT10_ENKUlT_T0_E_clISt17integral_constantIbLb0EES19_IbLb1EEEEDaS15_S16_EUlS15_E_NS1_11comp_targetILNS1_3genE8ELNS1_11target_archE1030ELNS1_3gpuE2ELNS1_3repE0EEENS1_30default_config_static_selectorELNS0_4arch9wavefront6targetE0EEEvT1_
                                        ; -- End function
	.set _ZN7rocprim17ROCPRIM_400000_NS6detail17trampoline_kernelINS0_14default_configENS1_25partition_config_selectorILNS1_17partition_subalgoE9EllbEEZZNS1_14partition_implILS5_9ELb0ES3_jPlS8_PNS0_10empty_typeENS0_5tupleIJS8_S9_EEENSB_IJS8_SA_EEENS0_18inequality_wrapperIZN2at6native12_GLOBAL__N_124unique_dim_cuda_templateItEESt5tupleIJNSF_6TensorESK_SK_EERKSK_lbbbEUlllE0_EEPmJS9_EEE10hipError_tPvRmT3_T4_T5_T6_T7_T9_mT8_P12ihipStream_tbDpT10_ENKUlT_T0_E_clISt17integral_constantIbLb0EES19_IbLb1EEEEDaS15_S16_EUlS15_E_NS1_11comp_targetILNS1_3genE8ELNS1_11target_archE1030ELNS1_3gpuE2ELNS1_3repE0EEENS1_30default_config_static_selectorELNS0_4arch9wavefront6targetE0EEEvT1_.num_vgpr, 0
	.set _ZN7rocprim17ROCPRIM_400000_NS6detail17trampoline_kernelINS0_14default_configENS1_25partition_config_selectorILNS1_17partition_subalgoE9EllbEEZZNS1_14partition_implILS5_9ELb0ES3_jPlS8_PNS0_10empty_typeENS0_5tupleIJS8_S9_EEENSB_IJS8_SA_EEENS0_18inequality_wrapperIZN2at6native12_GLOBAL__N_124unique_dim_cuda_templateItEESt5tupleIJNSF_6TensorESK_SK_EERKSK_lbbbEUlllE0_EEPmJS9_EEE10hipError_tPvRmT3_T4_T5_T6_T7_T9_mT8_P12ihipStream_tbDpT10_ENKUlT_T0_E_clISt17integral_constantIbLb0EES19_IbLb1EEEEDaS15_S16_EUlS15_E_NS1_11comp_targetILNS1_3genE8ELNS1_11target_archE1030ELNS1_3gpuE2ELNS1_3repE0EEENS1_30default_config_static_selectorELNS0_4arch9wavefront6targetE0EEEvT1_.num_agpr, 0
	.set _ZN7rocprim17ROCPRIM_400000_NS6detail17trampoline_kernelINS0_14default_configENS1_25partition_config_selectorILNS1_17partition_subalgoE9EllbEEZZNS1_14partition_implILS5_9ELb0ES3_jPlS8_PNS0_10empty_typeENS0_5tupleIJS8_S9_EEENSB_IJS8_SA_EEENS0_18inequality_wrapperIZN2at6native12_GLOBAL__N_124unique_dim_cuda_templateItEESt5tupleIJNSF_6TensorESK_SK_EERKSK_lbbbEUlllE0_EEPmJS9_EEE10hipError_tPvRmT3_T4_T5_T6_T7_T9_mT8_P12ihipStream_tbDpT10_ENKUlT_T0_E_clISt17integral_constantIbLb0EES19_IbLb1EEEEDaS15_S16_EUlS15_E_NS1_11comp_targetILNS1_3genE8ELNS1_11target_archE1030ELNS1_3gpuE2ELNS1_3repE0EEENS1_30default_config_static_selectorELNS0_4arch9wavefront6targetE0EEEvT1_.numbered_sgpr, 0
	.set _ZN7rocprim17ROCPRIM_400000_NS6detail17trampoline_kernelINS0_14default_configENS1_25partition_config_selectorILNS1_17partition_subalgoE9EllbEEZZNS1_14partition_implILS5_9ELb0ES3_jPlS8_PNS0_10empty_typeENS0_5tupleIJS8_S9_EEENSB_IJS8_SA_EEENS0_18inequality_wrapperIZN2at6native12_GLOBAL__N_124unique_dim_cuda_templateItEESt5tupleIJNSF_6TensorESK_SK_EERKSK_lbbbEUlllE0_EEPmJS9_EEE10hipError_tPvRmT3_T4_T5_T6_T7_T9_mT8_P12ihipStream_tbDpT10_ENKUlT_T0_E_clISt17integral_constantIbLb0EES19_IbLb1EEEEDaS15_S16_EUlS15_E_NS1_11comp_targetILNS1_3genE8ELNS1_11target_archE1030ELNS1_3gpuE2ELNS1_3repE0EEENS1_30default_config_static_selectorELNS0_4arch9wavefront6targetE0EEEvT1_.num_named_barrier, 0
	.set _ZN7rocprim17ROCPRIM_400000_NS6detail17trampoline_kernelINS0_14default_configENS1_25partition_config_selectorILNS1_17partition_subalgoE9EllbEEZZNS1_14partition_implILS5_9ELb0ES3_jPlS8_PNS0_10empty_typeENS0_5tupleIJS8_S9_EEENSB_IJS8_SA_EEENS0_18inequality_wrapperIZN2at6native12_GLOBAL__N_124unique_dim_cuda_templateItEESt5tupleIJNSF_6TensorESK_SK_EERKSK_lbbbEUlllE0_EEPmJS9_EEE10hipError_tPvRmT3_T4_T5_T6_T7_T9_mT8_P12ihipStream_tbDpT10_ENKUlT_T0_E_clISt17integral_constantIbLb0EES19_IbLb1EEEEDaS15_S16_EUlS15_E_NS1_11comp_targetILNS1_3genE8ELNS1_11target_archE1030ELNS1_3gpuE2ELNS1_3repE0EEENS1_30default_config_static_selectorELNS0_4arch9wavefront6targetE0EEEvT1_.private_seg_size, 0
	.set _ZN7rocprim17ROCPRIM_400000_NS6detail17trampoline_kernelINS0_14default_configENS1_25partition_config_selectorILNS1_17partition_subalgoE9EllbEEZZNS1_14partition_implILS5_9ELb0ES3_jPlS8_PNS0_10empty_typeENS0_5tupleIJS8_S9_EEENSB_IJS8_SA_EEENS0_18inequality_wrapperIZN2at6native12_GLOBAL__N_124unique_dim_cuda_templateItEESt5tupleIJNSF_6TensorESK_SK_EERKSK_lbbbEUlllE0_EEPmJS9_EEE10hipError_tPvRmT3_T4_T5_T6_T7_T9_mT8_P12ihipStream_tbDpT10_ENKUlT_T0_E_clISt17integral_constantIbLb0EES19_IbLb1EEEEDaS15_S16_EUlS15_E_NS1_11comp_targetILNS1_3genE8ELNS1_11target_archE1030ELNS1_3gpuE2ELNS1_3repE0EEENS1_30default_config_static_selectorELNS0_4arch9wavefront6targetE0EEEvT1_.uses_vcc, 0
	.set _ZN7rocprim17ROCPRIM_400000_NS6detail17trampoline_kernelINS0_14default_configENS1_25partition_config_selectorILNS1_17partition_subalgoE9EllbEEZZNS1_14partition_implILS5_9ELb0ES3_jPlS8_PNS0_10empty_typeENS0_5tupleIJS8_S9_EEENSB_IJS8_SA_EEENS0_18inequality_wrapperIZN2at6native12_GLOBAL__N_124unique_dim_cuda_templateItEESt5tupleIJNSF_6TensorESK_SK_EERKSK_lbbbEUlllE0_EEPmJS9_EEE10hipError_tPvRmT3_T4_T5_T6_T7_T9_mT8_P12ihipStream_tbDpT10_ENKUlT_T0_E_clISt17integral_constantIbLb0EES19_IbLb1EEEEDaS15_S16_EUlS15_E_NS1_11comp_targetILNS1_3genE8ELNS1_11target_archE1030ELNS1_3gpuE2ELNS1_3repE0EEENS1_30default_config_static_selectorELNS0_4arch9wavefront6targetE0EEEvT1_.uses_flat_scratch, 0
	.set _ZN7rocprim17ROCPRIM_400000_NS6detail17trampoline_kernelINS0_14default_configENS1_25partition_config_selectorILNS1_17partition_subalgoE9EllbEEZZNS1_14partition_implILS5_9ELb0ES3_jPlS8_PNS0_10empty_typeENS0_5tupleIJS8_S9_EEENSB_IJS8_SA_EEENS0_18inequality_wrapperIZN2at6native12_GLOBAL__N_124unique_dim_cuda_templateItEESt5tupleIJNSF_6TensorESK_SK_EERKSK_lbbbEUlllE0_EEPmJS9_EEE10hipError_tPvRmT3_T4_T5_T6_T7_T9_mT8_P12ihipStream_tbDpT10_ENKUlT_T0_E_clISt17integral_constantIbLb0EES19_IbLb1EEEEDaS15_S16_EUlS15_E_NS1_11comp_targetILNS1_3genE8ELNS1_11target_archE1030ELNS1_3gpuE2ELNS1_3repE0EEENS1_30default_config_static_selectorELNS0_4arch9wavefront6targetE0EEEvT1_.has_dyn_sized_stack, 0
	.set _ZN7rocprim17ROCPRIM_400000_NS6detail17trampoline_kernelINS0_14default_configENS1_25partition_config_selectorILNS1_17partition_subalgoE9EllbEEZZNS1_14partition_implILS5_9ELb0ES3_jPlS8_PNS0_10empty_typeENS0_5tupleIJS8_S9_EEENSB_IJS8_SA_EEENS0_18inequality_wrapperIZN2at6native12_GLOBAL__N_124unique_dim_cuda_templateItEESt5tupleIJNSF_6TensorESK_SK_EERKSK_lbbbEUlllE0_EEPmJS9_EEE10hipError_tPvRmT3_T4_T5_T6_T7_T9_mT8_P12ihipStream_tbDpT10_ENKUlT_T0_E_clISt17integral_constantIbLb0EES19_IbLb1EEEEDaS15_S16_EUlS15_E_NS1_11comp_targetILNS1_3genE8ELNS1_11target_archE1030ELNS1_3gpuE2ELNS1_3repE0EEENS1_30default_config_static_selectorELNS0_4arch9wavefront6targetE0EEEvT1_.has_recursion, 0
	.set _ZN7rocprim17ROCPRIM_400000_NS6detail17trampoline_kernelINS0_14default_configENS1_25partition_config_selectorILNS1_17partition_subalgoE9EllbEEZZNS1_14partition_implILS5_9ELb0ES3_jPlS8_PNS0_10empty_typeENS0_5tupleIJS8_S9_EEENSB_IJS8_SA_EEENS0_18inequality_wrapperIZN2at6native12_GLOBAL__N_124unique_dim_cuda_templateItEESt5tupleIJNSF_6TensorESK_SK_EERKSK_lbbbEUlllE0_EEPmJS9_EEE10hipError_tPvRmT3_T4_T5_T6_T7_T9_mT8_P12ihipStream_tbDpT10_ENKUlT_T0_E_clISt17integral_constantIbLb0EES19_IbLb1EEEEDaS15_S16_EUlS15_E_NS1_11comp_targetILNS1_3genE8ELNS1_11target_archE1030ELNS1_3gpuE2ELNS1_3repE0EEENS1_30default_config_static_selectorELNS0_4arch9wavefront6targetE0EEEvT1_.has_indirect_call, 0
	.section	.AMDGPU.csdata,"",@progbits
; Kernel info:
; codeLenInByte = 0
; TotalNumSgprs: 0
; NumVgprs: 0
; ScratchSize: 0
; MemoryBound: 0
; FloatMode: 240
; IeeeMode: 1
; LDSByteSize: 0 bytes/workgroup (compile time only)
; SGPRBlocks: 0
; VGPRBlocks: 0
; NumSGPRsForWavesPerEU: 1
; NumVGPRsForWavesPerEU: 1
; NamedBarCnt: 0
; Occupancy: 16
; WaveLimiterHint : 0
; COMPUTE_PGM_RSRC2:SCRATCH_EN: 0
; COMPUTE_PGM_RSRC2:USER_SGPR: 2
; COMPUTE_PGM_RSRC2:TRAP_HANDLER: 0
; COMPUTE_PGM_RSRC2:TGID_X_EN: 1
; COMPUTE_PGM_RSRC2:TGID_Y_EN: 0
; COMPUTE_PGM_RSRC2:TGID_Z_EN: 0
; COMPUTE_PGM_RSRC2:TIDIG_COMP_CNT: 0
	.section	.text._ZN7rocprim17ROCPRIM_400000_NS6detail17trampoline_kernelINS0_14default_configENS1_37merge_sort_block_sort_config_selectorIlNS0_10empty_typeEEEZNS1_21merge_sort_block_sortIS3_PlS8_PS5_S9_ZN2at6native12_GLOBAL__N_124unique_dim_cuda_templateIjEESt5tupleIJNSA_6TensorESF_SF_EERKSF_lbbbEUlllE_EE10hipError_tT0_T1_T2_T3_mRjT4_P12ihipStream_tbNS1_7vsmem_tEEUlT_E_NS1_11comp_targetILNS1_3genE0ELNS1_11target_archE4294967295ELNS1_3gpuE0ELNS1_3repE0EEENS1_30default_config_static_selectorELNS0_4arch9wavefront6targetE0EEEvSM_,"axG",@progbits,_ZN7rocprim17ROCPRIM_400000_NS6detail17trampoline_kernelINS0_14default_configENS1_37merge_sort_block_sort_config_selectorIlNS0_10empty_typeEEEZNS1_21merge_sort_block_sortIS3_PlS8_PS5_S9_ZN2at6native12_GLOBAL__N_124unique_dim_cuda_templateIjEESt5tupleIJNSA_6TensorESF_SF_EERKSF_lbbbEUlllE_EE10hipError_tT0_T1_T2_T3_mRjT4_P12ihipStream_tbNS1_7vsmem_tEEUlT_E_NS1_11comp_targetILNS1_3genE0ELNS1_11target_archE4294967295ELNS1_3gpuE0ELNS1_3repE0EEENS1_30default_config_static_selectorELNS0_4arch9wavefront6targetE0EEEvSM_,comdat
	.globl	_ZN7rocprim17ROCPRIM_400000_NS6detail17trampoline_kernelINS0_14default_configENS1_37merge_sort_block_sort_config_selectorIlNS0_10empty_typeEEEZNS1_21merge_sort_block_sortIS3_PlS8_PS5_S9_ZN2at6native12_GLOBAL__N_124unique_dim_cuda_templateIjEESt5tupleIJNSA_6TensorESF_SF_EERKSF_lbbbEUlllE_EE10hipError_tT0_T1_T2_T3_mRjT4_P12ihipStream_tbNS1_7vsmem_tEEUlT_E_NS1_11comp_targetILNS1_3genE0ELNS1_11target_archE4294967295ELNS1_3gpuE0ELNS1_3repE0EEENS1_30default_config_static_selectorELNS0_4arch9wavefront6targetE0EEEvSM_ ; -- Begin function _ZN7rocprim17ROCPRIM_400000_NS6detail17trampoline_kernelINS0_14default_configENS1_37merge_sort_block_sort_config_selectorIlNS0_10empty_typeEEEZNS1_21merge_sort_block_sortIS3_PlS8_PS5_S9_ZN2at6native12_GLOBAL__N_124unique_dim_cuda_templateIjEESt5tupleIJNSA_6TensorESF_SF_EERKSF_lbbbEUlllE_EE10hipError_tT0_T1_T2_T3_mRjT4_P12ihipStream_tbNS1_7vsmem_tEEUlT_E_NS1_11comp_targetILNS1_3genE0ELNS1_11target_archE4294967295ELNS1_3gpuE0ELNS1_3repE0EEENS1_30default_config_static_selectorELNS0_4arch9wavefront6targetE0EEEvSM_
	.p2align	8
	.type	_ZN7rocprim17ROCPRIM_400000_NS6detail17trampoline_kernelINS0_14default_configENS1_37merge_sort_block_sort_config_selectorIlNS0_10empty_typeEEEZNS1_21merge_sort_block_sortIS3_PlS8_PS5_S9_ZN2at6native12_GLOBAL__N_124unique_dim_cuda_templateIjEESt5tupleIJNSA_6TensorESF_SF_EERKSF_lbbbEUlllE_EE10hipError_tT0_T1_T2_T3_mRjT4_P12ihipStream_tbNS1_7vsmem_tEEUlT_E_NS1_11comp_targetILNS1_3genE0ELNS1_11target_archE4294967295ELNS1_3gpuE0ELNS1_3repE0EEENS1_30default_config_static_selectorELNS0_4arch9wavefront6targetE0EEEvSM_,@function
_ZN7rocprim17ROCPRIM_400000_NS6detail17trampoline_kernelINS0_14default_configENS1_37merge_sort_block_sort_config_selectorIlNS0_10empty_typeEEEZNS1_21merge_sort_block_sortIS3_PlS8_PS5_S9_ZN2at6native12_GLOBAL__N_124unique_dim_cuda_templateIjEESt5tupleIJNSA_6TensorESF_SF_EERKSF_lbbbEUlllE_EE10hipError_tT0_T1_T2_T3_mRjT4_P12ihipStream_tbNS1_7vsmem_tEEUlT_E_NS1_11comp_targetILNS1_3genE0ELNS1_11target_archE4294967295ELNS1_3gpuE0ELNS1_3repE0EEENS1_30default_config_static_selectorELNS0_4arch9wavefront6targetE0EEEvSM_: ; @_ZN7rocprim17ROCPRIM_400000_NS6detail17trampoline_kernelINS0_14default_configENS1_37merge_sort_block_sort_config_selectorIlNS0_10empty_typeEEEZNS1_21merge_sort_block_sortIS3_PlS8_PS5_S9_ZN2at6native12_GLOBAL__N_124unique_dim_cuda_templateIjEESt5tupleIJNSA_6TensorESF_SF_EERKSF_lbbbEUlllE_EE10hipError_tT0_T1_T2_T3_mRjT4_P12ihipStream_tbNS1_7vsmem_tEEUlT_E_NS1_11comp_targetILNS1_3genE0ELNS1_11target_archE4294967295ELNS1_3gpuE0ELNS1_3repE0EEENS1_30default_config_static_selectorELNS0_4arch9wavefront6targetE0EEEvSM_
; %bb.0:
	s_clause 0x1
	s_load_b32 s4, s[0:1], 0x0
	s_load_b64 s[8:9], s[0:1], 0x48
	s_bfe_u32 s2, ttmp6, 0x40010
	s_and_b32 s3, ttmp7, 0xffff
	s_add_co_i32 s2, s2, 1
	s_bfe_u32 s6, ttmp6, 0x4000c
	s_mul_i32 s2, s3, s2
	s_bfe_u32 s5, ttmp6, 0x40004
	s_add_co_i32 s6, s6, 1
	s_bfe_u32 s7, ttmp6, 0x40014
	s_add_co_i32 s5, s5, s2
	s_and_b32 s2, ttmp6, 15
	s_mul_i32 s6, ttmp9, s6
	s_lshr_b32 s10, ttmp7, 16
	s_add_co_i32 s7, s7, 1
	s_add_co_i32 s2, s2, s6
	s_mul_i32 s6, s10, s7
	s_bfe_u32 s7, ttmp6, 0x40008
	s_getreg_b32 s11, hwreg(HW_REG_IB_STS2, 6, 4)
	s_add_co_i32 s7, s7, s6
	s_cmp_eq_u32 s11, 0
	s_cselect_b32 s6, s10, s7
	s_cselect_b32 s3, s3, s5
	s_wait_kmcnt 0x0
	s_mul_i32 s6, s9, s6
	s_cselect_b32 s9, ttmp9, s2
	s_add_co_i32 s2, s6, s3
	s_mov_b32 s3, 0
	s_mul_i32 s2, s2, s8
	s_delay_alu instid0(SALU_CYCLE_1) | instskip(NEXT) | instid1(SALU_CYCLE_1)
	s_add_co_i32 s2, s2, s9
	s_cmp_ge_u32 s2, s4
	s_cbranch_scc1 .LBB1483_1486
; %bb.1:
	s_clause 0x2
	s_load_b64 s[4:5], s[0:1], 0x8
	s_load_b128 s[12:15], s[0:1], 0x18
	s_load_b128 s[16:19], s[0:1], 0x38
	v_and_b32_e32 v18, 0x3ff, v0
	s_add_nc_u64 s[10:11], s[0:1], 0x48
	s_wait_xcnt 0x0
	s_lshl_b64 s[0:1], s[2:3], 14
	s_wait_kmcnt 0x0
	s_lshr_b64 s[6:7], s[4:5], 11
	s_add_nc_u64 s[12:13], s[12:13], s[0:1]
	s_cmp_lg_u64 s[6:7], s[2:3]
	s_add_nc_u64 s[20:21], s[14:15], s[0:1]
	s_cbranch_scc0 .LBB1483_8
; %bb.2:
	s_clause 0x7
	global_load_b64 v[2:3], v18, s[12:13] scale_offset
	global_load_b64 v[4:5], v18, s[12:13] offset:2048 scale_offset
	global_load_b64 v[6:7], v18, s[12:13] offset:4096 scale_offset
	;; [unrolled: 1-line block ×7, first 2 shown]
	v_dual_lshrrev_b32 v19, 2, v18 :: v_dual_lshlrev_b32 v1, 3, v18
	v_add_nc_u32_e32 v20, 0x100, v18
	v_add_nc_u32_e32 v21, 0x200, v18
	v_add_nc_u32_e32 v22, 0x300, v18
	v_or_b32_e32 v23, 0x400, v18
	v_add_nc_u32_e32 v24, 0x500, v18
	v_add_nc_u32_e32 v25, 0x600, v18
	;; [unrolled: 1-line block ×3, first 2 shown]
	v_dual_lshlrev_b32 v27, 1, v18 :: v_dual_lshrrev_b32 v20, 2, v20
	v_and_b32_e32 v19, 0xf8, v19
	v_dual_lshrrev_b32 v21, 2, v21 :: v_dual_lshrrev_b32 v22, 2, v22
	v_dual_lshrrev_b32 v23, 2, v23 :: v_dual_lshrrev_b32 v24, 2, v24
	;; [unrolled: 1-line block ×3, first 2 shown]
	v_and_b32_e32 v27, 0x7f8, v27
	v_add_nc_u32_e32 v36, v19, v1
	v_and_b32_e32 v19, 0x1f8, v20
	v_and_b32_e32 v20, 0x1f8, v21
	v_and_b32_e32 v21, 0x1f8, v22
	v_and_b32_e32 v22, 0x1f8, v23
	v_and_b32_e32 v23, 0x3f8, v24
	v_and_b32_e32 v24, 0x3f8, v25
	v_and_b32_e32 v25, 0x3f8, v26
	v_lshl_add_u32 v44, v18, 6, v27
	v_dual_add_nc_u32 v37, v19, v1 :: v_dual_add_nc_u32 v38, v20, v1
	v_add_nc_u32_e32 v39, v21, v1
	s_cmp_lt_u32 s9, s8
	v_dual_add_nc_u32 v40, v22, v1 :: v_dual_add_nc_u32 v41, v23, v1
	v_dual_add_nc_u32 v42, v24, v1 :: v_dual_add_nc_u32 v43, v25, v1
	s_mov_b32 s1, 0
	s_cselect_b32 s0, 12, 18
	v_bfe_u32 v19, v0, 10, 10
	s_add_nc_u64 s[0:1], s[10:11], s[0:1]
	v_bfe_u32 v20, v0, 20, 10
	v_cmp_gt_i64_e64 s14, s[16:17], 0
	s_wait_loadcnt 0x7
	ds_store_b64 v36, v[2:3]
	s_wait_loadcnt 0x6
	ds_store_b64 v37, v[4:5] offset:2048
	s_wait_loadcnt 0x5
	ds_store_b64 v38, v[6:7] offset:4096
	;; [unrolled: 2-line block ×7, first 2 shown]
	s_wait_dscnt 0x0
	s_barrier_signal -1
	s_barrier_wait -1
	ds_load_2addr_b64 v[14:17], v44 offset1:1
	ds_load_2addr_b64 v[10:13], v44 offset0:2 offset1:3
	ds_load_2addr_b64 v[6:9], v44 offset0:4 offset1:5
	;; [unrolled: 1-line block ×3, first 2 shown]
	s_wait_dscnt 0x0
	s_barrier_signal -1
	s_barrier_wait -1
	s_load_u16 s5, s[10:11], 0xe
	v_cndmask_b32_e64 v45, 0, 1, s14
	s_load_u16 s0, s[0:1], 0x0
	s_wait_kmcnt 0x0
	v_mad_u32_u24 v19, v20, s5, v19
	s_mov_b32 s5, exec_lo
	s_delay_alu instid0(VALU_DEP_1) | instskip(NEXT) | instid1(VALU_DEP_1)
	v_mul_lo_u32 v19, v19, s0
	v_add_lshl_u32 v24, v19, v18, 3
	v_mov_b32_e32 v19, 0
	s_delay_alu instid0(VALU_DEP_2)
	v_cmpx_gt_u32_e32 0x800, v24
	s_cbranch_execz .LBB1483_188
; %bb.3:
	s_and_not1_b32 vcc_lo, exec_lo, s14
	s_cbranch_vccnz .LBB1483_18
; %bb.4:
	v_mul_u64_e32 v[20:21], s[16:17], v[16:17]
	v_mul_u64_e32 v[22:23], s[16:17], v[14:15]
	s_mov_b32 s22, 0
	s_mov_b64 s[6:7], s[16:17]
                                        ; implicit-def: $sgpr15
                                        ; implicit-def: $sgpr23
                                        ; implicit-def: $sgpr25
                                        ; implicit-def: $sgpr24
                                        ; implicit-def: $sgpr26
	s_delay_alu instid0(VALU_DEP_2) | instskip(NEXT) | instid1(VALU_DEP_2)
	v_lshl_add_u64 v[20:21], v[20:21], 2, s[18:19]
	v_lshl_add_u64 v[22:23], v[22:23], 2, s[18:19]
	s_branch .LBB1483_6
.LBB1483_5:                             ;   in Loop: Header=BB1483_6 Depth=1
	s_or_b32 exec_lo, exec_lo, s27
	s_and_b32 s0, s0, s26
	s_delay_alu instid0(SALU_CYCLE_1) | instskip(SKIP_1) | instid1(SALU_CYCLE_1)
	s_or_b32 s0, vcc_lo, s0
	s_and_b32 s1, exec_lo, s25
	s_or_b32 s22, s1, s22
	s_and_not1_b32 s1, s26, exec_lo
	s_and_b32 s0, s0, exec_lo
	s_and_not1_b32 s23, s23, exec_lo
	s_and_b32 s27, s24, exec_lo
	s_or_b32 s26, s1, s0
	s_and_not1_b32 s1, s15, exec_lo
	s_or_b32 s23, s23, s27
	s_or_b32 s15, s1, s0
	s_and_not1_b32 exec_lo, exec_lo, s22
	s_cbranch_execz .LBB1483_9
.LBB1483_6:                             ; =>This Inner Loop Header: Depth=1
	global_load_b32 v25, v[20:21], off
	global_load_b32 v26, v[22:23], off
	s_or_b32 s24, s24, exec_lo
	s_or_b32 s25, s25, exec_lo
	s_mov_b32 s27, exec_lo
	s_wait_loadcnt 0x0
	v_cmp_le_u32_e64 s0, v25, v26
	v_cmp_lt_u32_e32 vcc_lo, v25, v26
	v_cmpx_eq_u32_e64 v25, v26
	s_cbranch_execz .LBB1483_5
; %bb.7:                                ;   in Loop: Header=BB1483_6 Depth=1
	s_add_nc_u64 s[6:7], s[6:7], -1
	v_add_nc_u64_e32 v[20:21], 4, v[20:21]
	s_cmp_eq_u64 s[6:7], 0
	v_add_nc_u64_e32 v[22:23], 4, v[22:23]
	s_cselect_b32 s1, -1, 0
	s_and_not1_b32 s25, s25, exec_lo
	s_and_b32 s1, s1, exec_lo
	s_and_not1_b32 s24, s24, exec_lo
	s_or_b32 s25, s25, s1
	s_branch .LBB1483_5
.LBB1483_8:
	s_mov_b32 s24, s3
                                        ; implicit-def: $vgpr2_vgpr3
	s_cbranch_execnz .LBB1483_698
	s_branch .LBB1483_1484
.LBB1483_9:
	s_or_b32 exec_lo, exec_lo, s22
	s_and_saveexec_b32 s0, s23
	s_delay_alu instid0(SALU_CYCLE_1)
	s_xor_b32 s0, exec_lo, s0
; %bb.10:
	v_dual_cndmask_b32 v21, v17, v15, s15 :: v_dual_cndmask_b32 v20, v16, v14, s15
	v_dual_cndmask_b32 v15, v15, v17, s15 :: v_dual_cndmask_b32 v14, v14, v16, s15
	s_delay_alu instid0(VALU_DEP_2)
	v_mov_b64_e32 v[16:17], v[20:21]
; %bb.11:
	s_or_b32 exec_lo, exec_lo, s0
	v_mul_u64_e32 v[20:21], s[16:17], v[12:13]
	v_mul_u64_e32 v[22:23], s[16:17], v[10:11]
	s_mov_b32 s22, 0
	s_mov_b64 s[6:7], s[16:17]
                                        ; implicit-def: $sgpr15
                                        ; implicit-def: $sgpr23
                                        ; implicit-def: $sgpr25
                                        ; implicit-def: $sgpr24
                                        ; implicit-def: $sgpr26
	s_delay_alu instid0(VALU_DEP_2) | instskip(NEXT) | instid1(VALU_DEP_2)
	v_lshl_add_u64 v[20:21], v[20:21], 2, s[18:19]
	v_lshl_add_u64 v[22:23], v[22:23], 2, s[18:19]
	s_branch .LBB1483_13
.LBB1483_12:                            ;   in Loop: Header=BB1483_13 Depth=1
	s_or_b32 exec_lo, exec_lo, s27
	s_and_b32 s0, s0, s26
	s_delay_alu instid0(SALU_CYCLE_1) | instskip(SKIP_1) | instid1(SALU_CYCLE_1)
	s_or_b32 s0, vcc_lo, s0
	s_and_b32 s1, exec_lo, s25
	s_or_b32 s22, s1, s22
	s_and_not1_b32 s1, s26, exec_lo
	s_and_b32 s0, s0, exec_lo
	s_and_not1_b32 s23, s23, exec_lo
	s_and_b32 s27, s24, exec_lo
	s_or_b32 s26, s1, s0
	s_and_not1_b32 s1, s15, exec_lo
	s_or_b32 s23, s23, s27
	s_or_b32 s15, s1, s0
	s_and_not1_b32 exec_lo, exec_lo, s22
	s_cbranch_execz .LBB1483_15
.LBB1483_13:                            ; =>This Inner Loop Header: Depth=1
	global_load_b32 v25, v[20:21], off
	global_load_b32 v26, v[22:23], off
	s_or_b32 s24, s24, exec_lo
	s_or_b32 s25, s25, exec_lo
	s_mov_b32 s27, exec_lo
	s_wait_loadcnt 0x0
	v_cmp_le_u32_e64 s0, v25, v26
	v_cmp_lt_u32_e32 vcc_lo, v25, v26
	v_cmpx_eq_u32_e64 v25, v26
	s_cbranch_execz .LBB1483_12
; %bb.14:                               ;   in Loop: Header=BB1483_13 Depth=1
	s_add_nc_u64 s[6:7], s[6:7], -1
	v_add_nc_u64_e32 v[20:21], 4, v[20:21]
	s_cmp_eq_u64 s[6:7], 0
	v_add_nc_u64_e32 v[22:23], 4, v[22:23]
	s_cselect_b32 s1, -1, 0
	s_and_not1_b32 s25, s25, exec_lo
	s_and_b32 s1, s1, exec_lo
	s_and_not1_b32 s24, s24, exec_lo
	s_or_b32 s25, s25, s1
	s_branch .LBB1483_12
.LBB1483_15:
	s_or_b32 exec_lo, exec_lo, s22
	s_and_saveexec_b32 s0, s23
	s_delay_alu instid0(SALU_CYCLE_1)
	s_xor_b32 s0, exec_lo, s0
; %bb.16:
	v_dual_cndmask_b32 v21, v11, v13, s15 :: v_dual_cndmask_b32 v20, v10, v12, s15
	v_dual_cndmask_b32 v13, v13, v11, s15 :: v_dual_cndmask_b32 v12, v12, v10, s15
	s_delay_alu instid0(VALU_DEP_2)
	v_mov_b64_e32 v[10:11], v[20:21]
; %bb.17:
	s_or_b32 exec_lo, exec_lo, s0
.LBB1483_18:
	s_delay_alu instid0(SALU_CYCLE_1)
	s_and_not1_b32 vcc_lo, exec_lo, s14
	s_cbranch_vccnz .LBB1483_32
; %bb.19:
	v_mul_u64_e32 v[20:21], s[16:17], v[8:9]
	v_mul_u64_e32 v[22:23], s[16:17], v[6:7]
	s_mov_b32 s22, 0
	s_mov_b64 s[6:7], s[16:17]
                                        ; implicit-def: $sgpr15
                                        ; implicit-def: $sgpr23
                                        ; implicit-def: $sgpr25
                                        ; implicit-def: $sgpr24
                                        ; implicit-def: $sgpr26
	s_delay_alu instid0(VALU_DEP_2) | instskip(NEXT) | instid1(VALU_DEP_2)
	v_lshl_add_u64 v[20:21], v[20:21], 2, s[18:19]
	v_lshl_add_u64 v[22:23], v[22:23], 2, s[18:19]
	s_branch .LBB1483_21
.LBB1483_20:                            ;   in Loop: Header=BB1483_21 Depth=1
	s_or_b32 exec_lo, exec_lo, s27
	s_and_b32 s0, s0, s26
	s_delay_alu instid0(SALU_CYCLE_1) | instskip(SKIP_1) | instid1(SALU_CYCLE_1)
	s_or_b32 s0, vcc_lo, s0
	s_and_b32 s1, exec_lo, s25
	s_or_b32 s22, s1, s22
	s_and_not1_b32 s1, s26, exec_lo
	s_and_b32 s0, s0, exec_lo
	s_and_not1_b32 s23, s23, exec_lo
	s_and_b32 s27, s24, exec_lo
	s_or_b32 s26, s1, s0
	s_and_not1_b32 s1, s15, exec_lo
	s_or_b32 s23, s23, s27
	s_or_b32 s15, s1, s0
	s_and_not1_b32 exec_lo, exec_lo, s22
	s_cbranch_execz .LBB1483_23
.LBB1483_21:                            ; =>This Inner Loop Header: Depth=1
	global_load_b32 v25, v[20:21], off
	global_load_b32 v26, v[22:23], off
	s_or_b32 s24, s24, exec_lo
	s_or_b32 s25, s25, exec_lo
	s_mov_b32 s27, exec_lo
	s_wait_loadcnt 0x0
	v_cmp_le_u32_e64 s0, v25, v26
	v_cmp_lt_u32_e32 vcc_lo, v25, v26
	v_cmpx_eq_u32_e64 v25, v26
	s_cbranch_execz .LBB1483_20
; %bb.22:                               ;   in Loop: Header=BB1483_21 Depth=1
	s_add_nc_u64 s[6:7], s[6:7], -1
	v_add_nc_u64_e32 v[20:21], 4, v[20:21]
	s_cmp_eq_u64 s[6:7], 0
	v_add_nc_u64_e32 v[22:23], 4, v[22:23]
	s_cselect_b32 s1, -1, 0
	s_and_not1_b32 s25, s25, exec_lo
	s_and_b32 s1, s1, exec_lo
	s_and_not1_b32 s24, s24, exec_lo
	s_or_b32 s25, s25, s1
	s_branch .LBB1483_20
.LBB1483_23:
	s_or_b32 exec_lo, exec_lo, s22
	s_and_saveexec_b32 s0, s23
	s_delay_alu instid0(SALU_CYCLE_1)
	s_xor_b32 s0, exec_lo, s0
; %bb.24:
	v_dual_cndmask_b32 v21, v7, v9, s15 :: v_dual_cndmask_b32 v20, v6, v8, s15
	v_dual_cndmask_b32 v9, v9, v7, s15 :: v_dual_cndmask_b32 v8, v8, v6, s15
	s_delay_alu instid0(VALU_DEP_2)
	v_mov_b64_e32 v[6:7], v[20:21]
; %bb.25:
	s_or_b32 exec_lo, exec_lo, s0
	v_mul_u64_e32 v[20:21], s[16:17], v[4:5]
	v_mul_u64_e32 v[22:23], s[16:17], v[2:3]
	s_mov_b32 s22, 0
	s_mov_b64 s[6:7], s[16:17]
                                        ; implicit-def: $sgpr15
                                        ; implicit-def: $sgpr23
                                        ; implicit-def: $sgpr25
                                        ; implicit-def: $sgpr24
                                        ; implicit-def: $sgpr26
	s_delay_alu instid0(VALU_DEP_2) | instskip(NEXT) | instid1(VALU_DEP_2)
	v_lshl_add_u64 v[20:21], v[20:21], 2, s[18:19]
	v_lshl_add_u64 v[22:23], v[22:23], 2, s[18:19]
	s_branch .LBB1483_27
.LBB1483_26:                            ;   in Loop: Header=BB1483_27 Depth=1
	s_or_b32 exec_lo, exec_lo, s27
	s_and_b32 s0, s0, s26
	s_delay_alu instid0(SALU_CYCLE_1) | instskip(SKIP_1) | instid1(SALU_CYCLE_1)
	s_or_b32 s0, vcc_lo, s0
	s_and_b32 s1, exec_lo, s25
	s_or_b32 s22, s1, s22
	s_and_not1_b32 s1, s26, exec_lo
	s_and_b32 s0, s0, exec_lo
	s_and_not1_b32 s23, s23, exec_lo
	s_and_b32 s27, s24, exec_lo
	s_or_b32 s26, s1, s0
	s_and_not1_b32 s1, s15, exec_lo
	s_or_b32 s23, s23, s27
	s_or_b32 s15, s1, s0
	s_and_not1_b32 exec_lo, exec_lo, s22
	s_cbranch_execz .LBB1483_29
.LBB1483_27:                            ; =>This Inner Loop Header: Depth=1
	global_load_b32 v25, v[20:21], off
	global_load_b32 v26, v[22:23], off
	s_or_b32 s24, s24, exec_lo
	s_or_b32 s25, s25, exec_lo
	s_mov_b32 s27, exec_lo
	s_wait_loadcnt 0x0
	v_cmp_le_u32_e64 s0, v25, v26
	v_cmp_lt_u32_e32 vcc_lo, v25, v26
	v_cmpx_eq_u32_e64 v25, v26
	s_cbranch_execz .LBB1483_26
; %bb.28:                               ;   in Loop: Header=BB1483_27 Depth=1
	s_add_nc_u64 s[6:7], s[6:7], -1
	v_add_nc_u64_e32 v[20:21], 4, v[20:21]
	s_cmp_eq_u64 s[6:7], 0
	v_add_nc_u64_e32 v[22:23], 4, v[22:23]
	s_cselect_b32 s1, -1, 0
	s_and_not1_b32 s25, s25, exec_lo
	s_and_b32 s1, s1, exec_lo
	s_and_not1_b32 s24, s24, exec_lo
	s_or_b32 s25, s25, s1
	s_branch .LBB1483_26
.LBB1483_29:
	s_or_b32 exec_lo, exec_lo, s22
	s_and_saveexec_b32 s0, s23
	s_delay_alu instid0(SALU_CYCLE_1)
	s_xor_b32 s0, exec_lo, s0
; %bb.30:
	v_dual_cndmask_b32 v21, v3, v5, s15 :: v_dual_cndmask_b32 v20, v2, v4, s15
	v_dual_cndmask_b32 v5, v5, v3, s15 :: v_dual_cndmask_b32 v4, v4, v2, s15
	s_delay_alu instid0(VALU_DEP_2)
	v_mov_b64_e32 v[2:3], v[20:21]
; %bb.31:
	s_or_b32 exec_lo, exec_lo, s0
.LBB1483_32:
	s_delay_alu instid0(SALU_CYCLE_1)
	s_and_b32 vcc_lo, exec_lo, s14
	s_cbranch_vccz .LBB1483_46
; %bb.33:
	s_delay_alu instid0(VALU_DEP_1) | instskip(SKIP_3) | instid1(VALU_DEP_2)
	v_mul_u64_e32 v[20:21], s[16:17], v[10:11]
	v_mul_u64_e32 v[22:23], s[16:17], v[16:17]
	s_mov_b32 s15, 0
	s_mov_b64 s[6:7], s[16:17]
                                        ; implicit-def: $sgpr14
                                        ; implicit-def: $sgpr22
                                        ; implicit-def: $sgpr24
                                        ; implicit-def: $sgpr23
                                        ; implicit-def: $sgpr25
	v_lshl_add_u64 v[20:21], v[20:21], 2, s[18:19]
	s_delay_alu instid0(VALU_DEP_2)
	v_lshl_add_u64 v[22:23], v[22:23], 2, s[18:19]
	s_branch .LBB1483_35
.LBB1483_34:                            ;   in Loop: Header=BB1483_35 Depth=1
	s_or_b32 exec_lo, exec_lo, s26
	s_and_b32 s0, s0, s25
	s_delay_alu instid0(SALU_CYCLE_1) | instskip(SKIP_1) | instid1(SALU_CYCLE_1)
	s_or_b32 s0, vcc_lo, s0
	s_and_b32 s1, exec_lo, s24
	s_or_b32 s15, s1, s15
	s_and_not1_b32 s1, s25, exec_lo
	s_and_b32 s0, s0, exec_lo
	s_and_not1_b32 s22, s22, exec_lo
	s_and_b32 s26, s23, exec_lo
	s_or_b32 s25, s1, s0
	s_and_not1_b32 s1, s14, exec_lo
	s_or_b32 s22, s22, s26
	s_or_b32 s14, s1, s0
	s_and_not1_b32 exec_lo, exec_lo, s15
	s_cbranch_execz .LBB1483_37
.LBB1483_35:                            ; =>This Inner Loop Header: Depth=1
	global_load_b32 v25, v[20:21], off
	global_load_b32 v26, v[22:23], off
	s_or_b32 s23, s23, exec_lo
	s_or_b32 s24, s24, exec_lo
	s_mov_b32 s26, exec_lo
	s_wait_loadcnt 0x0
	v_cmp_le_u32_e64 s0, v25, v26
	v_cmp_lt_u32_e32 vcc_lo, v25, v26
	v_cmpx_eq_u32_e64 v25, v26
	s_cbranch_execz .LBB1483_34
; %bb.36:                               ;   in Loop: Header=BB1483_35 Depth=1
	s_add_nc_u64 s[6:7], s[6:7], -1
	v_add_nc_u64_e32 v[20:21], 4, v[20:21]
	s_cmp_eq_u64 s[6:7], 0
	v_add_nc_u64_e32 v[22:23], 4, v[22:23]
	s_cselect_b32 s1, -1, 0
	s_and_not1_b32 s24, s24, exec_lo
	s_and_b32 s1, s1, exec_lo
	s_and_not1_b32 s23, s23, exec_lo
	s_or_b32 s24, s24, s1
	s_branch .LBB1483_34
.LBB1483_37:
	s_or_b32 exec_lo, exec_lo, s15
	s_and_saveexec_b32 s0, s22
	s_delay_alu instid0(SALU_CYCLE_1)
	s_xor_b32 s0, exec_lo, s0
; %bb.38:
	v_dual_cndmask_b32 v21, v17, v11, s14 :: v_dual_cndmask_b32 v20, v16, v10, s14
	v_dual_cndmask_b32 v11, v11, v17, s14 :: v_dual_cndmask_b32 v10, v10, v16, s14
	s_delay_alu instid0(VALU_DEP_2)
	v_mov_b64_e32 v[16:17], v[20:21]
; %bb.39:
	s_or_b32 exec_lo, exec_lo, s0
	v_mul_u64_e32 v[20:21], s[16:17], v[6:7]
	v_mul_u64_e32 v[22:23], s[16:17], v[12:13]
	s_mov_b32 s15, 0
	s_mov_b64 s[6:7], s[16:17]
                                        ; implicit-def: $sgpr14
                                        ; implicit-def: $sgpr22
                                        ; implicit-def: $sgpr24
                                        ; implicit-def: $sgpr23
                                        ; implicit-def: $sgpr25
	s_delay_alu instid0(VALU_DEP_2) | instskip(NEXT) | instid1(VALU_DEP_2)
	v_lshl_add_u64 v[20:21], v[20:21], 2, s[18:19]
	v_lshl_add_u64 v[22:23], v[22:23], 2, s[18:19]
	s_branch .LBB1483_41
.LBB1483_40:                            ;   in Loop: Header=BB1483_41 Depth=1
	s_or_b32 exec_lo, exec_lo, s26
	s_and_b32 s0, s0, s25
	s_delay_alu instid0(SALU_CYCLE_1) | instskip(SKIP_1) | instid1(SALU_CYCLE_1)
	s_or_b32 s0, vcc_lo, s0
	s_and_b32 s1, exec_lo, s24
	s_or_b32 s15, s1, s15
	s_and_not1_b32 s1, s25, exec_lo
	s_and_b32 s0, s0, exec_lo
	s_and_not1_b32 s22, s22, exec_lo
	s_and_b32 s26, s23, exec_lo
	s_or_b32 s25, s1, s0
	s_and_not1_b32 s1, s14, exec_lo
	s_or_b32 s22, s22, s26
	s_or_b32 s14, s1, s0
	s_and_not1_b32 exec_lo, exec_lo, s15
	s_cbranch_execz .LBB1483_43
.LBB1483_41:                            ; =>This Inner Loop Header: Depth=1
	global_load_b32 v25, v[20:21], off
	global_load_b32 v26, v[22:23], off
	s_or_b32 s23, s23, exec_lo
	s_or_b32 s24, s24, exec_lo
	s_mov_b32 s26, exec_lo
	s_wait_loadcnt 0x0
	v_cmp_le_u32_e64 s0, v25, v26
	v_cmp_lt_u32_e32 vcc_lo, v25, v26
	v_cmpx_eq_u32_e64 v25, v26
	s_cbranch_execz .LBB1483_40
; %bb.42:                               ;   in Loop: Header=BB1483_41 Depth=1
	s_add_nc_u64 s[6:7], s[6:7], -1
	v_add_nc_u64_e32 v[20:21], 4, v[20:21]
	s_cmp_eq_u64 s[6:7], 0
	v_add_nc_u64_e32 v[22:23], 4, v[22:23]
	s_cselect_b32 s1, -1, 0
	s_and_not1_b32 s24, s24, exec_lo
	s_and_b32 s1, s1, exec_lo
	s_and_not1_b32 s23, s23, exec_lo
	s_or_b32 s24, s24, s1
	s_branch .LBB1483_40
.LBB1483_43:
	s_or_b32 exec_lo, exec_lo, s15
	s_and_saveexec_b32 s0, s22
	s_delay_alu instid0(SALU_CYCLE_1)
	s_xor_b32 s0, exec_lo, s0
; %bb.44:
	v_dual_cndmask_b32 v21, v13, v7, s14 :: v_dual_cndmask_b32 v20, v12, v6, s14
	v_dual_cndmask_b32 v7, v7, v13, s14 :: v_dual_cndmask_b32 v6, v6, v12, s14
	s_delay_alu instid0(VALU_DEP_2)
	v_mov_b64_e32 v[12:13], v[20:21]
; %bb.45:
	s_or_b32 exec_lo, exec_lo, s0
.LBB1483_46:
	v_cmp_ne_u32_e32 vcc_lo, 1, v45
	s_cbranch_vccnz .LBB1483_72
; %bb.47:
	s_delay_alu instid0(VALU_DEP_2) | instskip(SKIP_3) | instid1(VALU_DEP_2)
	v_mul_u64_e32 v[20:21], s[16:17], v[2:3]
	v_mul_u64_e32 v[22:23], s[16:17], v[8:9]
	s_mov_b32 s15, 0
	s_mov_b64 s[6:7], s[16:17]
                                        ; implicit-def: $sgpr14
                                        ; implicit-def: $sgpr22
                                        ; implicit-def: $sgpr24
                                        ; implicit-def: $sgpr23
                                        ; implicit-def: $sgpr25
	v_lshl_add_u64 v[20:21], v[20:21], 2, s[18:19]
	s_delay_alu instid0(VALU_DEP_2)
	v_lshl_add_u64 v[22:23], v[22:23], 2, s[18:19]
	s_branch .LBB1483_49
.LBB1483_48:                            ;   in Loop: Header=BB1483_49 Depth=1
	s_or_b32 exec_lo, exec_lo, s26
	s_and_b32 s0, s0, s25
	s_delay_alu instid0(SALU_CYCLE_1) | instskip(SKIP_1) | instid1(SALU_CYCLE_1)
	s_or_b32 s0, vcc_lo, s0
	s_and_b32 s1, exec_lo, s24
	s_or_b32 s15, s1, s15
	s_and_not1_b32 s1, s25, exec_lo
	s_and_b32 s0, s0, exec_lo
	s_and_not1_b32 s22, s22, exec_lo
	s_and_b32 s26, s23, exec_lo
	s_or_b32 s25, s1, s0
	s_and_not1_b32 s1, s14, exec_lo
	s_or_b32 s22, s22, s26
	s_or_b32 s14, s1, s0
	s_and_not1_b32 exec_lo, exec_lo, s15
	s_cbranch_execz .LBB1483_51
.LBB1483_49:                            ; =>This Inner Loop Header: Depth=1
	global_load_b32 v25, v[20:21], off
	global_load_b32 v26, v[22:23], off
	s_or_b32 s23, s23, exec_lo
	s_or_b32 s24, s24, exec_lo
	s_mov_b32 s26, exec_lo
	s_wait_loadcnt 0x0
	v_cmp_le_u32_e64 s0, v25, v26
	v_cmp_lt_u32_e32 vcc_lo, v25, v26
	v_cmpx_eq_u32_e64 v25, v26
	s_cbranch_execz .LBB1483_48
; %bb.50:                               ;   in Loop: Header=BB1483_49 Depth=1
	s_add_nc_u64 s[6:7], s[6:7], -1
	v_add_nc_u64_e32 v[20:21], 4, v[20:21]
	s_cmp_eq_u64 s[6:7], 0
	v_add_nc_u64_e32 v[22:23], 4, v[22:23]
	s_cselect_b32 s1, -1, 0
	s_and_not1_b32 s24, s24, exec_lo
	s_and_b32 s1, s1, exec_lo
	s_and_not1_b32 s23, s23, exec_lo
	s_or_b32 s24, s24, s1
	s_branch .LBB1483_48
.LBB1483_51:
	s_or_b32 exec_lo, exec_lo, s15
	s_and_saveexec_b32 s0, s22
	s_delay_alu instid0(SALU_CYCLE_1)
	s_xor_b32 s0, exec_lo, s0
; %bb.52:
	v_dual_cndmask_b32 v21, v9, v3, s14 :: v_dual_cndmask_b32 v20, v8, v2, s14
	v_dual_cndmask_b32 v3, v3, v9, s14 :: v_dual_cndmask_b32 v2, v2, v8, s14
	s_delay_alu instid0(VALU_DEP_2)
	v_mov_b64_e32 v[8:9], v[20:21]
; %bb.53:
	s_or_b32 exec_lo, exec_lo, s0
	v_mul_u64_e32 v[20:21], s[16:17], v[16:17]
	v_mul_u64_e32 v[22:23], s[16:17], v[14:15]
	s_mov_b32 s15, 0
	s_mov_b64 s[6:7], s[16:17]
                                        ; implicit-def: $sgpr14
                                        ; implicit-def: $sgpr22
                                        ; implicit-def: $sgpr24
                                        ; implicit-def: $sgpr23
                                        ; implicit-def: $sgpr25
	s_delay_alu instid0(VALU_DEP_2) | instskip(NEXT) | instid1(VALU_DEP_2)
	v_lshl_add_u64 v[20:21], v[20:21], 2, s[18:19]
	v_lshl_add_u64 v[22:23], v[22:23], 2, s[18:19]
	s_branch .LBB1483_55
.LBB1483_54:                            ;   in Loop: Header=BB1483_55 Depth=1
	s_or_b32 exec_lo, exec_lo, s26
	s_and_b32 s0, s0, s25
	s_delay_alu instid0(SALU_CYCLE_1) | instskip(SKIP_1) | instid1(SALU_CYCLE_1)
	s_or_b32 s0, vcc_lo, s0
	s_and_b32 s1, exec_lo, s24
	s_or_b32 s15, s1, s15
	s_and_not1_b32 s1, s25, exec_lo
	s_and_b32 s0, s0, exec_lo
	s_and_not1_b32 s22, s22, exec_lo
	s_and_b32 s26, s23, exec_lo
	s_or_b32 s25, s1, s0
	s_and_not1_b32 s1, s14, exec_lo
	s_or_b32 s22, s22, s26
	s_or_b32 s14, s1, s0
	s_and_not1_b32 exec_lo, exec_lo, s15
	s_cbranch_execz .LBB1483_57
.LBB1483_55:                            ; =>This Inner Loop Header: Depth=1
	global_load_b32 v25, v[20:21], off
	global_load_b32 v26, v[22:23], off
	s_or_b32 s23, s23, exec_lo
	s_or_b32 s24, s24, exec_lo
	s_mov_b32 s26, exec_lo
	s_wait_loadcnt 0x0
	v_cmp_le_u32_e64 s0, v25, v26
	v_cmp_lt_u32_e32 vcc_lo, v25, v26
	v_cmpx_eq_u32_e64 v25, v26
	s_cbranch_execz .LBB1483_54
; %bb.56:                               ;   in Loop: Header=BB1483_55 Depth=1
	s_add_nc_u64 s[6:7], s[6:7], -1
	v_add_nc_u64_e32 v[20:21], 4, v[20:21]
	s_cmp_eq_u64 s[6:7], 0
	v_add_nc_u64_e32 v[22:23], 4, v[22:23]
	s_cselect_b32 s1, -1, 0
	s_and_not1_b32 s24, s24, exec_lo
	s_and_b32 s1, s1, exec_lo
	s_and_not1_b32 s23, s23, exec_lo
	s_or_b32 s24, s24, s1
	s_branch .LBB1483_54
.LBB1483_57:
	s_or_b32 exec_lo, exec_lo, s15
	s_and_saveexec_b32 s0, s22
	s_delay_alu instid0(SALU_CYCLE_1)
	s_xor_b32 s0, exec_lo, s0
; %bb.58:
	v_dual_cndmask_b32 v21, v17, v15, s14 :: v_dual_cndmask_b32 v20, v16, v14, s14
	v_dual_cndmask_b32 v15, v15, v17, s14 :: v_dual_cndmask_b32 v14, v14, v16, s14
	s_delay_alu instid0(VALU_DEP_2)
	v_mov_b64_e32 v[16:17], v[20:21]
; %bb.59:
	s_or_b32 exec_lo, exec_lo, s0
	v_mul_u64_e32 v[20:21], s[16:17], v[12:13]
	v_mul_u64_e32 v[22:23], s[16:17], v[10:11]
	s_mov_b32 s15, 0
	s_mov_b64 s[6:7], s[16:17]
                                        ; implicit-def: $sgpr14
                                        ; implicit-def: $sgpr22
                                        ; implicit-def: $sgpr24
                                        ; implicit-def: $sgpr23
                                        ; implicit-def: $sgpr25
	s_delay_alu instid0(VALU_DEP_2) | instskip(NEXT) | instid1(VALU_DEP_2)
	v_lshl_add_u64 v[20:21], v[20:21], 2, s[18:19]
	;; [unrolled: 64-line block ×3, first 2 shown]
	v_lshl_add_u64 v[22:23], v[22:23], 2, s[18:19]
	s_branch .LBB1483_67
.LBB1483_66:                            ;   in Loop: Header=BB1483_67 Depth=1
	s_or_b32 exec_lo, exec_lo, s26
	s_and_b32 s0, s0, s25
	s_delay_alu instid0(SALU_CYCLE_1) | instskip(SKIP_1) | instid1(SALU_CYCLE_1)
	s_or_b32 s0, vcc_lo, s0
	s_and_b32 s1, exec_lo, s24
	s_or_b32 s15, s1, s15
	s_and_not1_b32 s1, s25, exec_lo
	s_and_b32 s0, s0, exec_lo
	s_and_not1_b32 s22, s22, exec_lo
	s_and_b32 s26, s23, exec_lo
	s_or_b32 s25, s1, s0
	s_and_not1_b32 s1, s14, exec_lo
	s_or_b32 s22, s22, s26
	s_or_b32 s14, s1, s0
	s_and_not1_b32 exec_lo, exec_lo, s15
	s_cbranch_execz .LBB1483_69
.LBB1483_67:                            ; =>This Inner Loop Header: Depth=1
	global_load_b32 v25, v[20:21], off
	global_load_b32 v26, v[22:23], off
	s_or_b32 s23, s23, exec_lo
	s_or_b32 s24, s24, exec_lo
	s_mov_b32 s26, exec_lo
	s_wait_loadcnt 0x0
	v_cmp_le_u32_e64 s0, v25, v26
	v_cmp_lt_u32_e32 vcc_lo, v25, v26
	v_cmpx_eq_u32_e64 v25, v26
	s_cbranch_execz .LBB1483_66
; %bb.68:                               ;   in Loop: Header=BB1483_67 Depth=1
	s_add_nc_u64 s[6:7], s[6:7], -1
	v_add_nc_u64_e32 v[20:21], 4, v[20:21]
	s_cmp_eq_u64 s[6:7], 0
	v_add_nc_u64_e32 v[22:23], 4, v[22:23]
	s_cselect_b32 s1, -1, 0
	s_and_not1_b32 s24, s24, exec_lo
	s_and_b32 s1, s1, exec_lo
	s_and_not1_b32 s23, s23, exec_lo
	s_or_b32 s24, s24, s1
	s_branch .LBB1483_66
.LBB1483_69:
	s_or_b32 exec_lo, exec_lo, s15
	s_and_saveexec_b32 s0, s22
	s_delay_alu instid0(SALU_CYCLE_1)
	s_xor_b32 s0, exec_lo, s0
; %bb.70:
	v_dual_cndmask_b32 v21, v7, v9, s14 :: v_dual_cndmask_b32 v20, v6, v8, s14
	v_dual_cndmask_b32 v9, v9, v7, s14 :: v_dual_cndmask_b32 v8, v8, v6, s14
	s_delay_alu instid0(VALU_DEP_2)
	v_mov_b64_e32 v[6:7], v[20:21]
; %bb.71:
	s_or_b32 exec_lo, exec_lo, s0
.LBB1483_72:
	v_cmp_ne_u32_e32 vcc_lo, 1, v45
	s_cbranch_vccnz .LBB1483_86
; %bb.73:
	v_mul_u64_e32 v[20:21], s[16:17], v[4:5]
	v_mul_u64_e32 v[22:23], s[16:17], v[2:3]
	s_mov_b32 s15, 0
	s_mov_b64 s[6:7], s[16:17]
                                        ; implicit-def: $sgpr14
                                        ; implicit-def: $sgpr22
                                        ; implicit-def: $sgpr24
                                        ; implicit-def: $sgpr23
                                        ; implicit-def: $sgpr25
	s_delay_alu instid0(VALU_DEP_2) | instskip(NEXT) | instid1(VALU_DEP_2)
	v_lshl_add_u64 v[20:21], v[20:21], 2, s[18:19]
	v_lshl_add_u64 v[22:23], v[22:23], 2, s[18:19]
	s_branch .LBB1483_75
.LBB1483_74:                            ;   in Loop: Header=BB1483_75 Depth=1
	s_or_b32 exec_lo, exec_lo, s26
	s_and_b32 s0, s0, s25
	s_delay_alu instid0(SALU_CYCLE_1) | instskip(SKIP_1) | instid1(SALU_CYCLE_1)
	s_or_b32 s0, vcc_lo, s0
	s_and_b32 s1, exec_lo, s24
	s_or_b32 s15, s1, s15
	s_and_not1_b32 s1, s25, exec_lo
	s_and_b32 s0, s0, exec_lo
	s_and_not1_b32 s22, s22, exec_lo
	s_and_b32 s26, s23, exec_lo
	s_or_b32 s25, s1, s0
	s_and_not1_b32 s1, s14, exec_lo
	s_or_b32 s22, s22, s26
	s_or_b32 s14, s1, s0
	s_and_not1_b32 exec_lo, exec_lo, s15
	s_cbranch_execz .LBB1483_77
.LBB1483_75:                            ; =>This Inner Loop Header: Depth=1
	global_load_b32 v25, v[20:21], off
	global_load_b32 v26, v[22:23], off
	s_or_b32 s23, s23, exec_lo
	s_or_b32 s24, s24, exec_lo
	s_mov_b32 s26, exec_lo
	s_wait_loadcnt 0x0
	v_cmp_le_u32_e64 s0, v25, v26
	v_cmp_lt_u32_e32 vcc_lo, v25, v26
	v_cmpx_eq_u32_e64 v25, v26
	s_cbranch_execz .LBB1483_74
; %bb.76:                               ;   in Loop: Header=BB1483_75 Depth=1
	s_add_nc_u64 s[6:7], s[6:7], -1
	v_add_nc_u64_e32 v[20:21], 4, v[20:21]
	s_cmp_eq_u64 s[6:7], 0
	v_add_nc_u64_e32 v[22:23], 4, v[22:23]
	s_cselect_b32 s1, -1, 0
	s_and_not1_b32 s24, s24, exec_lo
	s_and_b32 s1, s1, exec_lo
	s_and_not1_b32 s23, s23, exec_lo
	s_or_b32 s24, s24, s1
	s_branch .LBB1483_74
.LBB1483_77:
	s_or_b32 exec_lo, exec_lo, s15
	s_and_saveexec_b32 s0, s22
	s_delay_alu instid0(SALU_CYCLE_1)
	s_xor_b32 s0, exec_lo, s0
; %bb.78:
	v_dual_cndmask_b32 v21, v3, v5, s14 :: v_dual_cndmask_b32 v20, v2, v4, s14
	v_dual_cndmask_b32 v5, v5, v3, s14 :: v_dual_cndmask_b32 v4, v4, v2, s14
	s_delay_alu instid0(VALU_DEP_2)
	v_mov_b64_e32 v[2:3], v[20:21]
; %bb.79:
	s_or_b32 exec_lo, exec_lo, s0
	v_mul_u64_e32 v[20:21], s[16:17], v[10:11]
	v_mul_u64_e32 v[22:23], s[16:17], v[16:17]
	s_mov_b32 s15, 0
	s_mov_b64 s[6:7], s[16:17]
                                        ; implicit-def: $sgpr14
                                        ; implicit-def: $sgpr22
                                        ; implicit-def: $sgpr24
                                        ; implicit-def: $sgpr23
                                        ; implicit-def: $sgpr25
	s_delay_alu instid0(VALU_DEP_2) | instskip(NEXT) | instid1(VALU_DEP_2)
	v_lshl_add_u64 v[20:21], v[20:21], 2, s[18:19]
	v_lshl_add_u64 v[22:23], v[22:23], 2, s[18:19]
	s_branch .LBB1483_81
.LBB1483_80:                            ;   in Loop: Header=BB1483_81 Depth=1
	s_or_b32 exec_lo, exec_lo, s26
	s_and_b32 s0, s0, s25
	s_delay_alu instid0(SALU_CYCLE_1) | instskip(SKIP_1) | instid1(SALU_CYCLE_1)
	s_or_b32 s0, vcc_lo, s0
	s_and_b32 s1, exec_lo, s24
	s_or_b32 s15, s1, s15
	s_and_not1_b32 s1, s25, exec_lo
	s_and_b32 s0, s0, exec_lo
	s_and_not1_b32 s22, s22, exec_lo
	s_and_b32 s26, s23, exec_lo
	s_or_b32 s25, s1, s0
	s_and_not1_b32 s1, s14, exec_lo
	s_or_b32 s22, s22, s26
	s_or_b32 s14, s1, s0
	s_and_not1_b32 exec_lo, exec_lo, s15
	s_cbranch_execz .LBB1483_83
.LBB1483_81:                            ; =>This Inner Loop Header: Depth=1
	global_load_b32 v25, v[20:21], off
	global_load_b32 v26, v[22:23], off
	s_or_b32 s23, s23, exec_lo
	s_or_b32 s24, s24, exec_lo
	s_mov_b32 s26, exec_lo
	s_wait_loadcnt 0x0
	v_cmp_le_u32_e64 s0, v25, v26
	v_cmp_lt_u32_e32 vcc_lo, v25, v26
	v_cmpx_eq_u32_e64 v25, v26
	s_cbranch_execz .LBB1483_80
; %bb.82:                               ;   in Loop: Header=BB1483_81 Depth=1
	s_add_nc_u64 s[6:7], s[6:7], -1
	v_add_nc_u64_e32 v[20:21], 4, v[20:21]
	s_cmp_eq_u64 s[6:7], 0
	v_add_nc_u64_e32 v[22:23], 4, v[22:23]
	s_cselect_b32 s1, -1, 0
	s_and_not1_b32 s24, s24, exec_lo
	s_and_b32 s1, s1, exec_lo
	s_and_not1_b32 s23, s23, exec_lo
	s_or_b32 s24, s24, s1
	s_branch .LBB1483_80
.LBB1483_83:
	s_or_b32 exec_lo, exec_lo, s15
	s_and_saveexec_b32 s0, s22
	s_delay_alu instid0(SALU_CYCLE_1)
	s_xor_b32 s0, exec_lo, s0
; %bb.84:
	v_dual_cndmask_b32 v21, v17, v11, s14 :: v_dual_cndmask_b32 v20, v16, v10, s14
	v_dual_cndmask_b32 v11, v11, v17, s14 :: v_dual_cndmask_b32 v10, v10, v16, s14
	s_delay_alu instid0(VALU_DEP_2)
	v_mov_b64_e32 v[16:17], v[20:21]
; %bb.85:
	s_or_b32 exec_lo, exec_lo, s0
.LBB1483_86:
	v_cmp_ne_u32_e32 vcc_lo, 1, v45
	s_cbranch_vccnz .LBB1483_100
; %bb.87:
	s_delay_alu instid0(VALU_DEP_3) | instskip(SKIP_3) | instid1(VALU_DEP_2)
	v_mul_u64_e32 v[20:21], s[16:17], v[6:7]
	v_mul_u64_e32 v[22:23], s[16:17], v[12:13]
	s_mov_b32 s15, 0
	s_mov_b64 s[6:7], s[16:17]
                                        ; implicit-def: $sgpr14
                                        ; implicit-def: $sgpr22
                                        ; implicit-def: $sgpr24
                                        ; implicit-def: $sgpr23
                                        ; implicit-def: $sgpr25
	v_lshl_add_u64 v[20:21], v[20:21], 2, s[18:19]
	s_delay_alu instid0(VALU_DEP_2)
	v_lshl_add_u64 v[22:23], v[22:23], 2, s[18:19]
	s_branch .LBB1483_89
.LBB1483_88:                            ;   in Loop: Header=BB1483_89 Depth=1
	s_or_b32 exec_lo, exec_lo, s26
	s_and_b32 s0, s0, s25
	s_delay_alu instid0(SALU_CYCLE_1) | instskip(SKIP_1) | instid1(SALU_CYCLE_1)
	s_or_b32 s0, vcc_lo, s0
	s_and_b32 s1, exec_lo, s24
	s_or_b32 s15, s1, s15
	s_and_not1_b32 s1, s25, exec_lo
	s_and_b32 s0, s0, exec_lo
	s_and_not1_b32 s22, s22, exec_lo
	s_and_b32 s26, s23, exec_lo
	s_or_b32 s25, s1, s0
	s_and_not1_b32 s1, s14, exec_lo
	s_or_b32 s22, s22, s26
	s_or_b32 s14, s1, s0
	s_and_not1_b32 exec_lo, exec_lo, s15
	s_cbranch_execz .LBB1483_91
.LBB1483_89:                            ; =>This Inner Loop Header: Depth=1
	global_load_b32 v25, v[20:21], off
	global_load_b32 v26, v[22:23], off
	s_or_b32 s23, s23, exec_lo
	s_or_b32 s24, s24, exec_lo
	s_mov_b32 s26, exec_lo
	s_wait_loadcnt 0x0
	v_cmp_le_u32_e64 s0, v25, v26
	v_cmp_lt_u32_e32 vcc_lo, v25, v26
	v_cmpx_eq_u32_e64 v25, v26
	s_cbranch_execz .LBB1483_88
; %bb.90:                               ;   in Loop: Header=BB1483_89 Depth=1
	s_add_nc_u64 s[6:7], s[6:7], -1
	v_add_nc_u64_e32 v[20:21], 4, v[20:21]
	s_cmp_eq_u64 s[6:7], 0
	v_add_nc_u64_e32 v[22:23], 4, v[22:23]
	s_cselect_b32 s1, -1, 0
	s_and_not1_b32 s24, s24, exec_lo
	s_and_b32 s1, s1, exec_lo
	s_and_not1_b32 s23, s23, exec_lo
	s_or_b32 s24, s24, s1
	s_branch .LBB1483_88
.LBB1483_91:
	s_or_b32 exec_lo, exec_lo, s15
	s_and_saveexec_b32 s0, s22
	s_delay_alu instid0(SALU_CYCLE_1)
	s_xor_b32 s0, exec_lo, s0
; %bb.92:
	v_dual_cndmask_b32 v21, v13, v7, s14 :: v_dual_cndmask_b32 v20, v12, v6, s14
	v_dual_cndmask_b32 v7, v7, v13, s14 :: v_dual_cndmask_b32 v6, v6, v12, s14
	s_delay_alu instid0(VALU_DEP_2)
	v_mov_b64_e32 v[12:13], v[20:21]
; %bb.93:
	s_or_b32 exec_lo, exec_lo, s0
	v_mul_u64_e32 v[20:21], s[16:17], v[2:3]
	v_mul_u64_e32 v[22:23], s[16:17], v[8:9]
	s_mov_b32 s15, 0
	s_mov_b64 s[6:7], s[16:17]
                                        ; implicit-def: $sgpr14
                                        ; implicit-def: $sgpr22
                                        ; implicit-def: $sgpr24
                                        ; implicit-def: $sgpr23
                                        ; implicit-def: $sgpr25
	s_delay_alu instid0(VALU_DEP_2) | instskip(NEXT) | instid1(VALU_DEP_2)
	v_lshl_add_u64 v[20:21], v[20:21], 2, s[18:19]
	v_lshl_add_u64 v[22:23], v[22:23], 2, s[18:19]
	s_branch .LBB1483_95
.LBB1483_94:                            ;   in Loop: Header=BB1483_95 Depth=1
	s_or_b32 exec_lo, exec_lo, s26
	s_and_b32 s0, s0, s25
	s_delay_alu instid0(SALU_CYCLE_1) | instskip(SKIP_1) | instid1(SALU_CYCLE_1)
	s_or_b32 s0, vcc_lo, s0
	s_and_b32 s1, exec_lo, s24
	s_or_b32 s15, s1, s15
	s_and_not1_b32 s1, s25, exec_lo
	s_and_b32 s0, s0, exec_lo
	s_and_not1_b32 s22, s22, exec_lo
	s_and_b32 s26, s23, exec_lo
	s_or_b32 s25, s1, s0
	s_and_not1_b32 s1, s14, exec_lo
	s_or_b32 s22, s22, s26
	s_or_b32 s14, s1, s0
	s_and_not1_b32 exec_lo, exec_lo, s15
	s_cbranch_execz .LBB1483_97
.LBB1483_95:                            ; =>This Inner Loop Header: Depth=1
	global_load_b32 v25, v[20:21], off
	global_load_b32 v26, v[22:23], off
	s_or_b32 s23, s23, exec_lo
	s_or_b32 s24, s24, exec_lo
	s_mov_b32 s26, exec_lo
	s_wait_loadcnt 0x0
	v_cmp_le_u32_e64 s0, v25, v26
	v_cmp_lt_u32_e32 vcc_lo, v25, v26
	v_cmpx_eq_u32_e64 v25, v26
	s_cbranch_execz .LBB1483_94
; %bb.96:                               ;   in Loop: Header=BB1483_95 Depth=1
	s_add_nc_u64 s[6:7], s[6:7], -1
	v_add_nc_u64_e32 v[20:21], 4, v[20:21]
	s_cmp_eq_u64 s[6:7], 0
	v_add_nc_u64_e32 v[22:23], 4, v[22:23]
	s_cselect_b32 s1, -1, 0
	s_and_not1_b32 s24, s24, exec_lo
	s_and_b32 s1, s1, exec_lo
	s_and_not1_b32 s23, s23, exec_lo
	s_or_b32 s24, s24, s1
	s_branch .LBB1483_94
.LBB1483_97:
	s_or_b32 exec_lo, exec_lo, s15
	s_and_saveexec_b32 s0, s22
	s_delay_alu instid0(SALU_CYCLE_1)
	s_xor_b32 s0, exec_lo, s0
; %bb.98:
	v_dual_cndmask_b32 v21, v9, v3, s14 :: v_dual_cndmask_b32 v20, v8, v2, s14
	v_dual_cndmask_b32 v3, v3, v9, s14 :: v_dual_cndmask_b32 v2, v2, v8, s14
	s_delay_alu instid0(VALU_DEP_2)
	v_mov_b64_e32 v[8:9], v[20:21]
; %bb.99:
	s_or_b32 exec_lo, exec_lo, s0
.LBB1483_100:
	v_cmp_ne_u32_e32 vcc_lo, 1, v45
	s_cbranch_vccnz .LBB1483_114
; %bb.101:
	s_delay_alu instid0(VALU_DEP_3) | instskip(SKIP_3) | instid1(VALU_DEP_2)
	v_mul_u64_e32 v[20:21], s[16:17], v[16:17]
	v_mul_u64_e32 v[22:23], s[16:17], v[14:15]
	s_mov_b32 s15, 0
	s_mov_b64 s[6:7], s[16:17]
                                        ; implicit-def: $sgpr14
                                        ; implicit-def: $sgpr22
                                        ; implicit-def: $sgpr24
                                        ; implicit-def: $sgpr23
                                        ; implicit-def: $sgpr25
	v_lshl_add_u64 v[20:21], v[20:21], 2, s[18:19]
	s_delay_alu instid0(VALU_DEP_2)
	v_lshl_add_u64 v[22:23], v[22:23], 2, s[18:19]
	s_branch .LBB1483_103
.LBB1483_102:                           ;   in Loop: Header=BB1483_103 Depth=1
	s_or_b32 exec_lo, exec_lo, s26
	s_and_b32 s0, s0, s25
	s_delay_alu instid0(SALU_CYCLE_1) | instskip(SKIP_1) | instid1(SALU_CYCLE_1)
	s_or_b32 s0, vcc_lo, s0
	s_and_b32 s1, exec_lo, s24
	s_or_b32 s15, s1, s15
	s_and_not1_b32 s1, s25, exec_lo
	s_and_b32 s0, s0, exec_lo
	s_and_not1_b32 s22, s22, exec_lo
	s_and_b32 s26, s23, exec_lo
	s_or_b32 s25, s1, s0
	s_and_not1_b32 s1, s14, exec_lo
	s_or_b32 s22, s22, s26
	s_or_b32 s14, s1, s0
	s_and_not1_b32 exec_lo, exec_lo, s15
	s_cbranch_execz .LBB1483_105
.LBB1483_103:                           ; =>This Inner Loop Header: Depth=1
	global_load_b32 v25, v[20:21], off
	global_load_b32 v26, v[22:23], off
	s_or_b32 s23, s23, exec_lo
	s_or_b32 s24, s24, exec_lo
	s_mov_b32 s26, exec_lo
	s_wait_loadcnt 0x0
	v_cmp_le_u32_e64 s0, v25, v26
	v_cmp_lt_u32_e32 vcc_lo, v25, v26
	v_cmpx_eq_u32_e64 v25, v26
	s_cbranch_execz .LBB1483_102
; %bb.104:                              ;   in Loop: Header=BB1483_103 Depth=1
	s_add_nc_u64 s[6:7], s[6:7], -1
	v_add_nc_u64_e32 v[20:21], 4, v[20:21]
	s_cmp_eq_u64 s[6:7], 0
	v_add_nc_u64_e32 v[22:23], 4, v[22:23]
	s_cselect_b32 s1, -1, 0
	s_and_not1_b32 s24, s24, exec_lo
	s_and_b32 s1, s1, exec_lo
	s_and_not1_b32 s23, s23, exec_lo
	s_or_b32 s24, s24, s1
	s_branch .LBB1483_102
.LBB1483_105:
	s_or_b32 exec_lo, exec_lo, s15
	s_and_saveexec_b32 s0, s22
	s_delay_alu instid0(SALU_CYCLE_1)
	s_xor_b32 s0, exec_lo, s0
; %bb.106:
	v_dual_cndmask_b32 v21, v17, v15, s14 :: v_dual_cndmask_b32 v20, v16, v14, s14
	v_dual_cndmask_b32 v15, v15, v17, s14 :: v_dual_cndmask_b32 v14, v14, v16, s14
	s_delay_alu instid0(VALU_DEP_2)
	v_mov_b64_e32 v[16:17], v[20:21]
; %bb.107:
	s_or_b32 exec_lo, exec_lo, s0
	v_mul_u64_e32 v[20:21], s[16:17], v[12:13]
	v_mul_u64_e32 v[22:23], s[16:17], v[10:11]
	s_mov_b32 s15, 0
	s_mov_b64 s[6:7], s[16:17]
                                        ; implicit-def: $sgpr14
                                        ; implicit-def: $sgpr22
                                        ; implicit-def: $sgpr24
                                        ; implicit-def: $sgpr23
                                        ; implicit-def: $sgpr25
	s_delay_alu instid0(VALU_DEP_2) | instskip(NEXT) | instid1(VALU_DEP_2)
	v_lshl_add_u64 v[20:21], v[20:21], 2, s[18:19]
	v_lshl_add_u64 v[22:23], v[22:23], 2, s[18:19]
	s_branch .LBB1483_109
.LBB1483_108:                           ;   in Loop: Header=BB1483_109 Depth=1
	s_or_b32 exec_lo, exec_lo, s26
	s_and_b32 s0, s0, s25
	s_delay_alu instid0(SALU_CYCLE_1) | instskip(SKIP_1) | instid1(SALU_CYCLE_1)
	s_or_b32 s0, vcc_lo, s0
	s_and_b32 s1, exec_lo, s24
	s_or_b32 s15, s1, s15
	s_and_not1_b32 s1, s25, exec_lo
	s_and_b32 s0, s0, exec_lo
	s_and_not1_b32 s22, s22, exec_lo
	s_and_b32 s26, s23, exec_lo
	s_or_b32 s25, s1, s0
	s_and_not1_b32 s1, s14, exec_lo
	s_or_b32 s22, s22, s26
	s_or_b32 s14, s1, s0
	s_and_not1_b32 exec_lo, exec_lo, s15
	s_cbranch_execz .LBB1483_111
.LBB1483_109:                           ; =>This Inner Loop Header: Depth=1
	global_load_b32 v25, v[20:21], off
	global_load_b32 v26, v[22:23], off
	s_or_b32 s23, s23, exec_lo
	s_or_b32 s24, s24, exec_lo
	s_mov_b32 s26, exec_lo
	s_wait_loadcnt 0x0
	v_cmp_le_u32_e64 s0, v25, v26
	v_cmp_lt_u32_e32 vcc_lo, v25, v26
	v_cmpx_eq_u32_e64 v25, v26
	s_cbranch_execz .LBB1483_108
; %bb.110:                              ;   in Loop: Header=BB1483_109 Depth=1
	s_add_nc_u64 s[6:7], s[6:7], -1
	v_add_nc_u64_e32 v[20:21], 4, v[20:21]
	s_cmp_eq_u64 s[6:7], 0
	v_add_nc_u64_e32 v[22:23], 4, v[22:23]
	s_cselect_b32 s1, -1, 0
	s_and_not1_b32 s24, s24, exec_lo
	s_and_b32 s1, s1, exec_lo
	s_and_not1_b32 s23, s23, exec_lo
	s_or_b32 s24, s24, s1
	s_branch .LBB1483_108
.LBB1483_111:
	s_or_b32 exec_lo, exec_lo, s15
	s_and_saveexec_b32 s0, s22
	s_delay_alu instid0(SALU_CYCLE_1)
	s_xor_b32 s0, exec_lo, s0
; %bb.112:
	v_dual_cndmask_b32 v21, v11, v13, s14 :: v_dual_cndmask_b32 v20, v10, v12, s14
	v_dual_cndmask_b32 v13, v13, v11, s14 :: v_dual_cndmask_b32 v12, v12, v10, s14
	s_delay_alu instid0(VALU_DEP_2)
	v_mov_b64_e32 v[10:11], v[20:21]
; %bb.113:
	s_or_b32 exec_lo, exec_lo, s0
.LBB1483_114:
	v_cmp_ne_u32_e32 vcc_lo, 1, v45
	s_cbranch_vccnz .LBB1483_188
; %bb.115:
	s_delay_alu instid0(VALU_DEP_3) | instskip(SKIP_3) | instid1(VALU_DEP_2)
	v_mul_u64_e32 v[20:21], s[16:17], v[8:9]
	v_mul_u64_e32 v[22:23], s[16:17], v[6:7]
	s_mov_b32 s15, 0
	s_mov_b64 s[6:7], s[16:17]
                                        ; implicit-def: $sgpr14
                                        ; implicit-def: $sgpr22
                                        ; implicit-def: $sgpr24
                                        ; implicit-def: $sgpr23
                                        ; implicit-def: $sgpr25
	v_lshl_add_u64 v[20:21], v[20:21], 2, s[18:19]
	s_delay_alu instid0(VALU_DEP_2)
	v_lshl_add_u64 v[22:23], v[22:23], 2, s[18:19]
	s_branch .LBB1483_117
.LBB1483_116:                           ;   in Loop: Header=BB1483_117 Depth=1
	s_or_b32 exec_lo, exec_lo, s26
	s_and_b32 s0, s0, s25
	s_delay_alu instid0(SALU_CYCLE_1) | instskip(SKIP_1) | instid1(SALU_CYCLE_1)
	s_or_b32 s0, vcc_lo, s0
	s_and_b32 s1, exec_lo, s24
	s_or_b32 s15, s1, s15
	s_and_not1_b32 s1, s25, exec_lo
	s_and_b32 s0, s0, exec_lo
	s_and_not1_b32 s22, s22, exec_lo
	s_and_b32 s26, s23, exec_lo
	s_or_b32 s25, s1, s0
	s_and_not1_b32 s1, s14, exec_lo
	s_or_b32 s22, s22, s26
	s_or_b32 s14, s1, s0
	s_and_not1_b32 exec_lo, exec_lo, s15
	s_cbranch_execz .LBB1483_119
.LBB1483_117:                           ; =>This Inner Loop Header: Depth=1
	global_load_b32 v25, v[20:21], off
	global_load_b32 v26, v[22:23], off
	s_or_b32 s23, s23, exec_lo
	s_or_b32 s24, s24, exec_lo
	s_mov_b32 s26, exec_lo
	s_wait_loadcnt 0x0
	v_cmp_le_u32_e64 s0, v25, v26
	v_cmp_lt_u32_e32 vcc_lo, v25, v26
	v_cmpx_eq_u32_e64 v25, v26
	s_cbranch_execz .LBB1483_116
; %bb.118:                              ;   in Loop: Header=BB1483_117 Depth=1
	s_add_nc_u64 s[6:7], s[6:7], -1
	v_add_nc_u64_e32 v[20:21], 4, v[20:21]
	s_cmp_eq_u64 s[6:7], 0
	v_add_nc_u64_e32 v[22:23], 4, v[22:23]
	s_cselect_b32 s1, -1, 0
	s_and_not1_b32 s24, s24, exec_lo
	s_and_b32 s1, s1, exec_lo
	s_and_not1_b32 s23, s23, exec_lo
	s_or_b32 s24, s24, s1
	s_branch .LBB1483_116
.LBB1483_119:
	s_or_b32 exec_lo, exec_lo, s15
	s_and_saveexec_b32 s0, s22
	s_delay_alu instid0(SALU_CYCLE_1)
	s_xor_b32 s0, exec_lo, s0
; %bb.120:
	v_dual_cndmask_b32 v21, v7, v9, s14 :: v_dual_cndmask_b32 v20, v6, v8, s14
	v_dual_cndmask_b32 v9, v9, v7, s14 :: v_dual_cndmask_b32 v8, v8, v6, s14
	s_delay_alu instid0(VALU_DEP_2)
	v_mov_b64_e32 v[6:7], v[20:21]
; %bb.121:
	s_or_b32 exec_lo, exec_lo, s0
	v_mul_u64_e32 v[20:21], s[16:17], v[4:5]
	v_mul_u64_e32 v[22:23], s[16:17], v[2:3]
	s_mov_b32 s15, 0
	s_mov_b64 s[6:7], s[16:17]
                                        ; implicit-def: $sgpr14
                                        ; implicit-def: $sgpr22
                                        ; implicit-def: $sgpr24
                                        ; implicit-def: $sgpr23
                                        ; implicit-def: $sgpr25
	s_delay_alu instid0(VALU_DEP_2) | instskip(NEXT) | instid1(VALU_DEP_2)
	v_lshl_add_u64 v[20:21], v[20:21], 2, s[18:19]
	v_lshl_add_u64 v[22:23], v[22:23], 2, s[18:19]
	s_branch .LBB1483_123
.LBB1483_122:                           ;   in Loop: Header=BB1483_123 Depth=1
	s_or_b32 exec_lo, exec_lo, s26
	s_and_b32 s0, s0, s25
	s_delay_alu instid0(SALU_CYCLE_1) | instskip(SKIP_1) | instid1(SALU_CYCLE_1)
	s_or_b32 s0, vcc_lo, s0
	s_and_b32 s1, exec_lo, s24
	s_or_b32 s15, s1, s15
	s_and_not1_b32 s1, s25, exec_lo
	s_and_b32 s0, s0, exec_lo
	s_and_not1_b32 s22, s22, exec_lo
	s_and_b32 s26, s23, exec_lo
	s_or_b32 s25, s1, s0
	s_and_not1_b32 s1, s14, exec_lo
	s_or_b32 s22, s22, s26
	s_or_b32 s14, s1, s0
	s_and_not1_b32 exec_lo, exec_lo, s15
	s_cbranch_execz .LBB1483_125
.LBB1483_123:                           ; =>This Inner Loop Header: Depth=1
	global_load_b32 v25, v[20:21], off
	global_load_b32 v26, v[22:23], off
	s_or_b32 s23, s23, exec_lo
	s_or_b32 s24, s24, exec_lo
	s_mov_b32 s26, exec_lo
	s_wait_loadcnt 0x0
	v_cmp_le_u32_e64 s0, v25, v26
	v_cmp_lt_u32_e32 vcc_lo, v25, v26
	v_cmpx_eq_u32_e64 v25, v26
	s_cbranch_execz .LBB1483_122
; %bb.124:                              ;   in Loop: Header=BB1483_123 Depth=1
	s_add_nc_u64 s[6:7], s[6:7], -1
	v_add_nc_u64_e32 v[20:21], 4, v[20:21]
	s_cmp_eq_u64 s[6:7], 0
	v_add_nc_u64_e32 v[22:23], 4, v[22:23]
	s_cselect_b32 s1, -1, 0
	s_and_not1_b32 s24, s24, exec_lo
	s_and_b32 s1, s1, exec_lo
	s_and_not1_b32 s23, s23, exec_lo
	s_or_b32 s24, s24, s1
	s_branch .LBB1483_122
.LBB1483_125:
	s_or_b32 exec_lo, exec_lo, s15
	s_and_saveexec_b32 s0, s22
	s_delay_alu instid0(SALU_CYCLE_1)
	s_xor_b32 s0, exec_lo, s0
; %bb.126:
	v_dual_cndmask_b32 v21, v3, v5, s14 :: v_dual_cndmask_b32 v20, v2, v4, s14
	v_dual_cndmask_b32 v5, v5, v3, s14 :: v_dual_cndmask_b32 v4, v4, v2, s14
	s_delay_alu instid0(VALU_DEP_2)
	v_mov_b64_e32 v[2:3], v[20:21]
; %bb.127:
	s_or_b32 exec_lo, exec_lo, s0
	v_mul_u64_e32 v[20:21], s[16:17], v[10:11]
	v_mul_u64_e32 v[22:23], s[16:17], v[16:17]
	s_mov_b32 s15, 0
	s_mov_b64 s[6:7], s[16:17]
                                        ; implicit-def: $sgpr14
                                        ; implicit-def: $sgpr22
                                        ; implicit-def: $sgpr24
                                        ; implicit-def: $sgpr23
                                        ; implicit-def: $sgpr25
	s_delay_alu instid0(VALU_DEP_2) | instskip(NEXT) | instid1(VALU_DEP_2)
	v_lshl_add_u64 v[20:21], v[20:21], 2, s[18:19]
	;; [unrolled: 64-line block ×11, first 2 shown]
	v_lshl_add_u64 v[22:23], v[22:23], 2, s[18:19]
	s_branch .LBB1483_183
.LBB1483_182:                           ;   in Loop: Header=BB1483_183 Depth=1
	s_or_b32 exec_lo, exec_lo, s26
	s_and_b32 s0, s0, s25
	s_delay_alu instid0(SALU_CYCLE_1) | instskip(SKIP_1) | instid1(SALU_CYCLE_1)
	s_or_b32 s0, vcc_lo, s0
	s_and_b32 s1, exec_lo, s24
	s_or_b32 s15, s1, s15
	s_and_not1_b32 s1, s25, exec_lo
	s_and_b32 s0, s0, exec_lo
	s_and_not1_b32 s22, s22, exec_lo
	s_and_b32 s26, s23, exec_lo
	s_or_b32 s25, s1, s0
	s_and_not1_b32 s1, s14, exec_lo
	s_or_b32 s22, s22, s26
	s_or_b32 s14, s1, s0
	s_and_not1_b32 exec_lo, exec_lo, s15
	s_cbranch_execz .LBB1483_185
.LBB1483_183:                           ; =>This Inner Loop Header: Depth=1
	global_load_b32 v25, v[20:21], off
	global_load_b32 v26, v[22:23], off
	s_or_b32 s23, s23, exec_lo
	s_or_b32 s24, s24, exec_lo
	s_mov_b32 s26, exec_lo
	s_wait_loadcnt 0x0
	v_cmp_le_u32_e64 s0, v25, v26
	v_cmp_lt_u32_e32 vcc_lo, v25, v26
	v_cmpx_eq_u32_e64 v25, v26
	s_cbranch_execz .LBB1483_182
; %bb.184:                              ;   in Loop: Header=BB1483_183 Depth=1
	s_add_nc_u64 s[6:7], s[6:7], -1
	v_add_nc_u64_e32 v[20:21], 4, v[20:21]
	s_cmp_eq_u64 s[6:7], 0
	v_add_nc_u64_e32 v[22:23], 4, v[22:23]
	s_cselect_b32 s1, -1, 0
	s_and_not1_b32 s24, s24, exec_lo
	s_and_b32 s1, s1, exec_lo
	s_and_not1_b32 s23, s23, exec_lo
	s_or_b32 s24, s24, s1
	s_branch .LBB1483_182
.LBB1483_185:
	s_or_b32 exec_lo, exec_lo, s15
	s_and_saveexec_b32 s0, s22
	s_delay_alu instid0(SALU_CYCLE_1)
	s_xor_b32 s0, exec_lo, s0
; %bb.186:
	v_dual_cndmask_b32 v21, v9, v3, s14 :: v_dual_cndmask_b32 v20, v8, v2, s14
	v_dual_cndmask_b32 v3, v3, v9, s14 :: v_dual_cndmask_b32 v2, v2, v8, s14
	s_delay_alu instid0(VALU_DEP_2)
	v_mov_b64_e32 v[8:9], v[20:21]
; %bb.187:
	s_or_b32 exec_lo, exec_lo, s0
.LBB1483_188:
	s_delay_alu instid0(SALU_CYCLE_1) | instskip(SKIP_4) | instid1(VALU_DEP_1)
	s_or_b32 exec_lo, exec_lo, s5
	v_mbcnt_lo_u32_b32 v20, -1, 0
	v_and_b32_e32 v21, 0xffffff00, v24
	s_mov_b32 s1, 0
	s_mov_b32 s5, exec_lo
	v_dual_lshlrev_b32 v48, 3, v20 :: v_dual_lshlrev_b32 v46, 3, v21
	v_sub_nc_u32_e64 v47, 0x800, v21 clamp
	s_delay_alu instid0(VALU_DEP_2) | instskip(SKIP_1) | instid1(VALU_DEP_4)
	v_or_b32_e32 v22, 8, v48
	v_and_b32_e32 v26, 0xf0, v48
	v_lshl_or_b32 v49, v20, 6, v46
	ds_store_b128 v49, v[14:17]
	ds_store_b128 v49, v[10:13] offset:16
	v_min_u32_e32 v50, v47, v22
	v_and_b32_e32 v22, 8, v48
	v_lshl_or_b32 v25, v26, 3, v46
	ds_store_b128 v49, v[6:9] offset:32
	ds_store_b128 v49, v[2:5] offset:48
	v_add_min_u32_e64 v51, v50, 8, v47
	v_min_u32_e32 v27, v47, v22
	v_sub_nc_u32_e32 v22, v50, v26
	; wave barrier
	s_delay_alu instid0(VALU_DEP_3) | instskip(NEXT) | instid1(VALU_DEP_2)
	v_sub_nc_u32_e32 v21, v51, v50
	v_min_u32_e32 v28, v27, v22
	s_delay_alu instid0(VALU_DEP_2) | instskip(NEXT) | instid1(VALU_DEP_1)
	v_sub_nc_u32_e64 v24, v27, v21 clamp
	v_cmpx_lt_u32_e64 v24, v28
	s_cbranch_execz .LBB1483_199
; %bb.189:
	v_dual_lshlrev_b32 v20, 3, v50 :: v_dual_lshlrev_b32 v21, 3, v27
	s_lshl_b64 s[6:7], s[16:17], 2
	s_delay_alu instid0(VALU_DEP_1)
	v_add3_u32 v29, v46, v20, v21
	s_branch .LBB1483_192
.LBB1483_190:                           ;   in Loop: Header=BB1483_192 Depth=1
	s_or_b32 exec_lo, exec_lo, s23
.LBB1483_191:                           ;   in Loop: Header=BB1483_192 Depth=1
	s_delay_alu instid0(VALU_DEP_1) | instskip(NEXT) | instid1(VALU_DEP_1)
	v_dual_add_nc_u32 v20, 1, v30 :: v_dual_cndmask_b32 v28, v28, v30, s22
	v_cndmask_b32_e64 v24, v20, v24, s22
	s_delay_alu instid0(VALU_DEP_1) | instskip(SKIP_1) | instid1(SALU_CYCLE_1)
	v_cmp_ge_u32_e32 vcc_lo, v24, v28
	s_or_b32 s1, vcc_lo, s1
	s_and_not1_b32 exec_lo, exec_lo, s1
	s_cbranch_execz .LBB1483_198
.LBB1483_192:                           ; =>This Loop Header: Depth=1
                                        ;     Child Loop BB1483_195 Depth 2
	v_add_nc_u32_e32 v20, v28, v24
	v_cmp_ne_u32_e32 vcc_lo, 1, v45
	s_delay_alu instid0(VALU_DEP_2)
	v_lshrrev_b32_e32 v30, 1, v20
	s_cbranch_vccnz .LBB1483_197
; %bb.193:                              ;   in Loop: Header=BB1483_192 Depth=1
	s_delay_alu instid0(VALU_DEP_1) | instskip(SKIP_3) | instid1(VALU_DEP_2)
	v_not_b32_e32 v20, v30
	v_lshl_add_u32 v21, v30, 3, v25
	s_mov_b32 s23, 0
	s_mov_b64 s[14:15], s[16:17]
                                        ; implicit-def: $sgpr22
                                        ; implicit-def: $sgpr24
                                        ; implicit-def: $sgpr25
                                        ; implicit-def: $sgpr26
	v_lshl_add_u32 v20, v20, 3, v29
	ds_load_b64 v[32:33], v20
	ds_load_b64 v[34:35], v21
	s_wait_dscnt 0x1
	v_mad_nc_u64_u32 v[20:21], s6, v32, s[18:19]
	s_wait_dscnt 0x0
	v_mad_nc_u64_u32 v[22:23], s6, v34, s[18:19]
	s_delay_alu instid0(VALU_DEP_2) | instskip(NEXT) | instid1(VALU_DEP_2)
	v_mad_u32 v21, s7, v32, v21
	v_mad_u32 v23, s7, v34, v23
	s_delay_alu instid0(VALU_DEP_2) | instskip(NEXT) | instid1(VALU_DEP_2)
	v_mad_u32 v21, s6, v33, v21
	v_mad_u32 v23, s6, v35, v23
	s_branch .LBB1483_195
.LBB1483_194:                           ;   in Loop: Header=BB1483_195 Depth=2
	s_or_b32 exec_lo, exec_lo, s27
	s_delay_alu instid0(SALU_CYCLE_1) | instskip(NEXT) | instid1(SALU_CYCLE_1)
	s_and_b32 s27, exec_lo, s24
	s_or_b32 s23, s27, s23
	s_and_not1_b32 s26, s26, exec_lo
	s_and_b32 s0, s0, exec_lo
	s_and_not1_b32 s22, s22, exec_lo
	s_and_b32 s27, s25, exec_lo
	s_or_b32 s26, s26, s0
	s_or_b32 s22, s22, s27
	s_and_not1_b32 exec_lo, exec_lo, s23
	s_cbranch_execz .LBB1483_190
.LBB1483_195:                           ;   Parent Loop BB1483_192 Depth=1
                                        ; =>  This Inner Loop Header: Depth=2
	global_load_b32 v31, v[20:21], off
	global_load_b32 v32, v[22:23], off
	s_and_not1_b32 s25, s25, exec_lo
	s_or_b32 s24, s24, exec_lo
	s_wait_loadcnt 0x0
	v_cmp_le_u32_e32 vcc_lo, v31, v32
	v_cmp_lt_u32_e64 s0, v31, v32
	s_and_b32 s27, vcc_lo, s26
	s_delay_alu instid0(SALU_CYCLE_1) | instskip(NEXT) | instid1(SALU_CYCLE_1)
	s_or_b32 s0, s0, s27
	s_and_b32 s27, s0, exec_lo
	s_delay_alu instid0(SALU_CYCLE_1)
	s_or_b32 s25, s25, s27
	s_mov_b32 s27, exec_lo
	v_cmpx_eq_u32_e64 v31, v32
	s_cbranch_execz .LBB1483_194
; %bb.196:                              ;   in Loop: Header=BB1483_195 Depth=2
	s_add_nc_u64 s[14:15], s[14:15], -1
	v_add_nc_u64_e32 v[20:21], 4, v[20:21]
	s_cmp_eq_u64 s[14:15], 0
	v_add_nc_u64_e32 v[22:23], 4, v[22:23]
	s_cselect_b32 s26, -1, 0
	s_and_not1_b32 s24, s24, exec_lo
	s_and_b32 s26, s26, exec_lo
	s_and_not1_b32 s25, s25, exec_lo
	s_or_b32 s24, s24, s26
                                        ; implicit-def: $sgpr26
	s_branch .LBB1483_194
.LBB1483_197:                           ;   in Loop: Header=BB1483_192 Depth=1
	s_mov_b32 s22, 0
	s_branch .LBB1483_191
.LBB1483_198:
	s_or_b32 exec_lo, exec_lo, s1
.LBB1483_199:
	s_delay_alu instid0(SALU_CYCLE_1) | instskip(SKIP_1) | instid1(VALU_DEP_1)
	s_or_b32 exec_lo, exec_lo, s5
	v_dual_add_nc_u32 v21, v50, v27 :: v_dual_add_nc_u32 v20, v24, v26
	v_sub_nc_u32_e32 v21, v21, v24
	s_delay_alu instid0(VALU_DEP_2) | instskip(NEXT) | instid1(VALU_DEP_2)
	v_cmp_le_u32_e32 vcc_lo, v20, v50
	v_cmp_le_u32_e64 s0, v21, v51
	s_or_b32 s0, vcc_lo, s0
	s_delay_alu instid0(SALU_CYCLE_1)
	s_and_saveexec_b32 s1, s0
	s_cbranch_execz .LBB1483_290
; %bb.200:
	s_mov_b32 s5, exec_lo
	v_cmp_ge_u32_e32 vcc_lo, v20, v50
                                        ; implicit-def: $vgpr2_vgpr3
	v_cmpx_lt_u32_e64 v20, v50
; %bb.201:
	v_lshl_add_u32 v2, v24, 3, v25
	ds_load_b64 v[2:3], v2
; %bb.202:
	s_or_b32 exec_lo, exec_lo, s5
	v_cmp_ge_u32_e64 s5, v21, v51
	s_mov_b32 s6, exec_lo
                                        ; implicit-def: $vgpr4_vgpr5
	v_cmpx_lt_u32_e64 v21, v51
; %bb.203:
	v_lshl_add_u32 v4, v21, 3, v46
	ds_load_b64 v[4:5], v4
; %bb.204:
	s_or_b32 exec_lo, exec_lo, s6
	s_nor_b32 s0, vcc_lo, s5
	s_delay_alu instid0(SALU_CYCLE_1)
	s_and_saveexec_b32 s14, s0
	s_cbranch_execz .LBB1483_213
; %bb.205:
	v_cmp_ne_u32_e32 vcc_lo, 1, v45
	s_cbranch_vccnz .LBB1483_211
; %bb.206:
	s_wait_dscnt 0x0
	v_mul_u64_e32 v[6:7], s[16:17], v[4:5]
	v_mul_u64_e32 v[8:9], s[16:17], v[2:3]
	s_mov_b32 s15, 0
	s_mov_b64 s[6:7], s[16:17]
                                        ; implicit-def: $sgpr22
                                        ; implicit-def: $sgpr23
                                        ; implicit-def: $sgpr24
                                        ; implicit-def: $sgpr25
	s_delay_alu instid0(VALU_DEP_2) | instskip(NEXT) | instid1(VALU_DEP_2)
	v_lshl_add_u64 v[6:7], v[6:7], 2, s[18:19]
	v_lshl_add_u64 v[8:9], v[8:9], 2, s[18:19]
	s_branch .LBB1483_208
.LBB1483_207:                           ;   in Loop: Header=BB1483_208 Depth=1
	s_or_b32 exec_lo, exec_lo, s26
	s_delay_alu instid0(SALU_CYCLE_1) | instskip(NEXT) | instid1(SALU_CYCLE_1)
	s_and_b32 s26, exec_lo, s23
	s_or_b32 s15, s26, s15
	s_and_not1_b32 s25, s25, exec_lo
	s_and_b32 s0, s0, exec_lo
	s_and_not1_b32 s22, s22, exec_lo
	s_and_b32 s26, s24, exec_lo
	s_or_b32 s25, s25, s0
	s_or_b32 s22, s22, s26
	s_and_not1_b32 exec_lo, exec_lo, s15
	s_cbranch_execz .LBB1483_210
.LBB1483_208:                           ; =>This Inner Loop Header: Depth=1
	global_load_b32 v10, v[6:7], off
	global_load_b32 v11, v[8:9], off
	s_and_not1_b32 s24, s24, exec_lo
	s_or_b32 s23, s23, exec_lo
	s_wait_loadcnt 0x0
	v_cmp_le_u32_e32 vcc_lo, v10, v11
	v_cmp_lt_u32_e64 s0, v10, v11
	s_and_b32 s26, vcc_lo, s25
	s_delay_alu instid0(SALU_CYCLE_1) | instskip(NEXT) | instid1(SALU_CYCLE_1)
	s_or_b32 s0, s0, s26
	s_and_b32 s26, s0, exec_lo
	s_delay_alu instid0(SALU_CYCLE_1)
	s_or_b32 s24, s24, s26
	s_mov_b32 s26, exec_lo
	v_cmpx_eq_u32_e64 v10, v11
	s_cbranch_execz .LBB1483_207
; %bb.209:                              ;   in Loop: Header=BB1483_208 Depth=1
	s_add_nc_u64 s[6:7], s[6:7], -1
	v_add_nc_u64_e32 v[6:7], 4, v[6:7]
	s_cmp_eq_u64 s[6:7], 0
	v_add_nc_u64_e32 v[8:9], 4, v[8:9]
	s_cselect_b32 s25, -1, 0
	s_and_not1_b32 s23, s23, exec_lo
	s_and_b32 s25, s25, exec_lo
	s_and_not1_b32 s24, s24, exec_lo
	s_or_b32 s23, s23, s25
                                        ; implicit-def: $sgpr25
	s_branch .LBB1483_207
.LBB1483_210:
	s_or_b32 exec_lo, exec_lo, s15
	s_xor_b32 s0, s22, -1
	s_branch .LBB1483_212
.LBB1483_211:
	s_mov_b32 s0, -1
.LBB1483_212:
	s_and_not1_b32 s5, s5, exec_lo
	s_and_b32 s0, s0, exec_lo
	s_delay_alu instid0(SALU_CYCLE_1)
	s_or_b32 s5, s5, s0
.LBB1483_213:
	s_or_b32 exec_lo, exec_lo, s14
	v_dual_cndmask_b32 v6, v21, v20, s5 :: v_dual_cndmask_b32 v7, v51, v50, s5
	s_mov_b32 s15, -1
	s_mov_b32 s14, -1
	s_mov_b32 s22, exec_lo
	s_delay_alu instid0(VALU_DEP_1) | instskip(NEXT) | instid1(VALU_DEP_1)
	v_add_nc_u32_e32 v8, 1, v6
	v_add_min_u32_e64 v6, v7, -1, v8
	s_delay_alu instid0(VALU_DEP_1)
	v_lshl_add_u32 v6, v6, 3, v46
	ds_load_b64 v[6:7], v6
	s_wait_dscnt 0x0
	v_cndmask_b32_e64 v15, v7, v5, s5
	v_dual_cndmask_b32 v10, v8, v21, s5 :: v_dual_cndmask_b32 v14, v6, v4, s5
	v_dual_cndmask_b32 v11, v20, v8, s5 :: v_dual_cndmask_b32 v17, v3, v7, s5
	v_cndmask_b32_e64 v16, v2, v6, s5
	s_delay_alu instid0(VALU_DEP_3)
	v_cmpx_lt_u32_e64 v10, v51
	s_cbranch_execz .LBB1483_224
; %bb.214:
	s_mov_b32 s0, 0
	s_mov_b32 s14, exec_lo
	v_cmpx_lt_u32_e64 v11, v50
	s_cbranch_execz .LBB1483_223
; %bb.215:
	v_cmp_ne_u32_e32 vcc_lo, 1, v45
	s_cbranch_vccnz .LBB1483_221
; %bb.216:
	v_mul_u64_e32 v[6:7], s[16:17], v[14:15]
	v_mul_u64_e32 v[8:9], s[16:17], v[16:17]
	s_mov_b32 s23, 0
	s_mov_b64 s[6:7], s[16:17]
                                        ; implicit-def: $sgpr24
                                        ; implicit-def: $sgpr25
                                        ; implicit-def: $sgpr26
                                        ; implicit-def: $sgpr27
	s_delay_alu instid0(VALU_DEP_2) | instskip(NEXT) | instid1(VALU_DEP_2)
	v_lshl_add_u64 v[6:7], v[6:7], 2, s[18:19]
	v_lshl_add_u64 v[8:9], v[8:9], 2, s[18:19]
	s_branch .LBB1483_218
.LBB1483_217:                           ;   in Loop: Header=BB1483_218 Depth=1
	s_or_b32 exec_lo, exec_lo, s28
	s_delay_alu instid0(SALU_CYCLE_1) | instskip(NEXT) | instid1(SALU_CYCLE_1)
	s_and_b32 s28, exec_lo, s25
	s_or_b32 s23, s28, s23
	s_and_not1_b32 s27, s27, exec_lo
	s_and_b32 s0, s0, exec_lo
	s_and_not1_b32 s24, s24, exec_lo
	s_and_b32 s28, s26, exec_lo
	s_or_b32 s27, s27, s0
	s_or_b32 s24, s24, s28
	s_and_not1_b32 exec_lo, exec_lo, s23
	s_cbranch_execz .LBB1483_220
.LBB1483_218:                           ; =>This Inner Loop Header: Depth=1
	global_load_b32 v12, v[6:7], off
	global_load_b32 v13, v[8:9], off
	s_and_not1_b32 s26, s26, exec_lo
	s_or_b32 s25, s25, exec_lo
	s_wait_loadcnt 0x0
	v_cmp_le_u32_e32 vcc_lo, v12, v13
	v_cmp_lt_u32_e64 s0, v12, v13
	s_and_b32 s28, vcc_lo, s27
	s_delay_alu instid0(SALU_CYCLE_1) | instskip(NEXT) | instid1(SALU_CYCLE_1)
	s_or_b32 s0, s0, s28
	s_and_b32 s28, s0, exec_lo
	s_delay_alu instid0(SALU_CYCLE_1)
	s_or_b32 s26, s26, s28
	s_mov_b32 s28, exec_lo
	v_cmpx_eq_u32_e64 v12, v13
	s_cbranch_execz .LBB1483_217
; %bb.219:                              ;   in Loop: Header=BB1483_218 Depth=1
	s_add_nc_u64 s[6:7], s[6:7], -1
	v_add_nc_u64_e32 v[6:7], 4, v[6:7]
	s_cmp_eq_u64 s[6:7], 0
	v_add_nc_u64_e32 v[8:9], 4, v[8:9]
	s_cselect_b32 s27, -1, 0
	s_and_not1_b32 s25, s25, exec_lo
	s_and_b32 s27, s27, exec_lo
	s_and_not1_b32 s26, s26, exec_lo
	s_or_b32 s25, s25, s27
                                        ; implicit-def: $sgpr27
	s_branch .LBB1483_217
.LBB1483_220:
	s_or_b32 exec_lo, exec_lo, s23
	s_xor_b32 s0, s24, -1
	s_branch .LBB1483_222
.LBB1483_221:
	s_mov_b32 s0, -1
.LBB1483_222:
	s_delay_alu instid0(SALU_CYCLE_1)
	s_and_b32 s0, s0, exec_lo
.LBB1483_223:
	s_or_b32 exec_lo, exec_lo, s14
	s_delay_alu instid0(SALU_CYCLE_1)
	s_or_not1_b32 s14, s0, exec_lo
.LBB1483_224:
	s_or_b32 exec_lo, exec_lo, s22
	v_dual_cndmask_b32 v6, v10, v11, s14 :: v_dual_cndmask_b32 v7, v51, v50, s14
	s_mov_b32 s22, exec_lo
	s_delay_alu instid0(VALU_DEP_1) | instskip(NEXT) | instid1(VALU_DEP_1)
	v_add_nc_u32_e32 v8, 1, v6
	v_add_min_u32_e64 v6, v7, -1, v8
	s_delay_alu instid0(VALU_DEP_1)
	v_lshl_add_u32 v6, v6, 3, v46
	ds_load_b64 v[6:7], v6
	v_cndmask_b32_e64 v13, v11, v8, s14
	s_wait_dscnt 0x0
	v_dual_cndmask_b32 v11, v7, v15, s14 :: v_dual_cndmask_b32 v12, v8, v10, s14
	v_dual_cndmask_b32 v21, v17, v7, s14 :: v_dual_cndmask_b32 v10, v6, v14, s14
	v_cndmask_b32_e64 v20, v16, v6, s14
	s_delay_alu instid0(VALU_DEP_3)
	v_cmpx_lt_u32_e64 v12, v51
	s_cbranch_execz .LBB1483_235
; %bb.225:
	s_mov_b32 s0, 0
	s_mov_b32 s15, exec_lo
	v_cmpx_lt_u32_e64 v13, v50
	s_cbranch_execz .LBB1483_234
; %bb.226:
	v_cmp_ne_u32_e32 vcc_lo, 1, v45
	s_cbranch_vccnz .LBB1483_232
; %bb.227:
	v_mul_u64_e32 v[6:7], s[16:17], v[10:11]
	v_mul_u64_e32 v[8:9], s[16:17], v[20:21]
	s_mov_b32 s23, 0
	s_mov_b64 s[6:7], s[16:17]
                                        ; implicit-def: $sgpr24
                                        ; implicit-def: $sgpr25
                                        ; implicit-def: $sgpr26
                                        ; implicit-def: $sgpr27
	s_delay_alu instid0(VALU_DEP_2) | instskip(NEXT) | instid1(VALU_DEP_2)
	v_lshl_add_u64 v[6:7], v[6:7], 2, s[18:19]
	v_lshl_add_u64 v[8:9], v[8:9], 2, s[18:19]
	s_branch .LBB1483_229
.LBB1483_228:                           ;   in Loop: Header=BB1483_229 Depth=1
	s_or_b32 exec_lo, exec_lo, s28
	s_delay_alu instid0(SALU_CYCLE_1) | instskip(NEXT) | instid1(SALU_CYCLE_1)
	s_and_b32 s28, exec_lo, s25
	s_or_b32 s23, s28, s23
	s_and_not1_b32 s27, s27, exec_lo
	s_and_b32 s0, s0, exec_lo
	s_and_not1_b32 s24, s24, exec_lo
	s_and_b32 s28, s26, exec_lo
	s_or_b32 s27, s27, s0
	s_or_b32 s24, s24, s28
	s_and_not1_b32 exec_lo, exec_lo, s23
	s_cbranch_execz .LBB1483_231
.LBB1483_229:                           ; =>This Inner Loop Header: Depth=1
	global_load_b32 v22, v[6:7], off
	global_load_b32 v23, v[8:9], off
	s_and_not1_b32 s26, s26, exec_lo
	s_or_b32 s25, s25, exec_lo
	s_wait_loadcnt 0x0
	v_cmp_le_u32_e32 vcc_lo, v22, v23
	v_cmp_lt_u32_e64 s0, v22, v23
	s_and_b32 s28, vcc_lo, s27
	s_delay_alu instid0(SALU_CYCLE_1) | instskip(NEXT) | instid1(SALU_CYCLE_1)
	s_or_b32 s0, s0, s28
	s_and_b32 s28, s0, exec_lo
	s_delay_alu instid0(SALU_CYCLE_1)
	s_or_b32 s26, s26, s28
	s_mov_b32 s28, exec_lo
	v_cmpx_eq_u32_e64 v22, v23
	s_cbranch_execz .LBB1483_228
; %bb.230:                              ;   in Loop: Header=BB1483_229 Depth=1
	s_add_nc_u64 s[6:7], s[6:7], -1
	v_add_nc_u64_e32 v[6:7], 4, v[6:7]
	s_cmp_eq_u64 s[6:7], 0
	v_add_nc_u64_e32 v[8:9], 4, v[8:9]
	s_cselect_b32 s27, -1, 0
	s_and_not1_b32 s25, s25, exec_lo
	s_and_b32 s27, s27, exec_lo
	s_and_not1_b32 s26, s26, exec_lo
	s_or_b32 s25, s25, s27
                                        ; implicit-def: $sgpr27
	s_branch .LBB1483_228
.LBB1483_231:
	s_or_b32 exec_lo, exec_lo, s23
	s_xor_b32 s0, s24, -1
	s_branch .LBB1483_233
.LBB1483_232:
	s_mov_b32 s0, -1
.LBB1483_233:
	s_delay_alu instid0(SALU_CYCLE_1)
	s_and_b32 s0, s0, exec_lo
.LBB1483_234:
	s_or_b32 exec_lo, exec_lo, s15
	s_delay_alu instid0(SALU_CYCLE_1)
	s_or_not1_b32 s15, s0, exec_lo
.LBB1483_235:
	s_or_b32 exec_lo, exec_lo, s22
	v_dual_cndmask_b32 v6, v12, v13, s15 :: v_dual_cndmask_b32 v7, v51, v50, s15
	s_mov_b32 s23, -1
	s_mov_b32 s22, -1
	s_mov_b32 s24, exec_lo
	s_delay_alu instid0(VALU_DEP_1) | instskip(NEXT) | instid1(VALU_DEP_1)
	v_add_nc_u32_e32 v8, 1, v6
	v_add_min_u32_e64 v6, v7, -1, v8
	s_delay_alu instid0(VALU_DEP_1)
	v_lshl_add_u32 v6, v6, 3, v46
	ds_load_b64 v[6:7], v6
	s_wait_dscnt 0x0
	v_dual_cndmask_b32 v25, v13, v8, s15 :: v_dual_cndmask_b32 v22, v20, v6, s15
	v_dual_cndmask_b32 v13, v7, v11, s15 :: v_dual_cndmask_b32 v24, v8, v12, s15
	;; [unrolled: 1-line block ×3, first 2 shown]
	s_delay_alu instid0(VALU_DEP_2)
	v_cmpx_lt_u32_e64 v24, v51
	s_cbranch_execz .LBB1483_246
; %bb.236:
	s_mov_b32 s0, 0
	s_mov_b32 s22, exec_lo
	v_cmpx_lt_u32_e64 v25, v50
	s_cbranch_execz .LBB1483_245
; %bb.237:
	v_cmp_ne_u32_e32 vcc_lo, 1, v45
	s_cbranch_vccnz .LBB1483_243
; %bb.238:
	v_mul_u64_e32 v[6:7], s[16:17], v[12:13]
	v_mul_u64_e32 v[8:9], s[16:17], v[22:23]
	s_mov_b32 s25, 0
	s_mov_b64 s[6:7], s[16:17]
                                        ; implicit-def: $sgpr26
                                        ; implicit-def: $sgpr27
                                        ; implicit-def: $sgpr28
                                        ; implicit-def: $sgpr29
	s_delay_alu instid0(VALU_DEP_2) | instskip(NEXT) | instid1(VALU_DEP_2)
	v_lshl_add_u64 v[6:7], v[6:7], 2, s[18:19]
	v_lshl_add_u64 v[8:9], v[8:9], 2, s[18:19]
	s_branch .LBB1483_240
.LBB1483_239:                           ;   in Loop: Header=BB1483_240 Depth=1
	s_or_b32 exec_lo, exec_lo, s30
	s_delay_alu instid0(SALU_CYCLE_1) | instskip(NEXT) | instid1(SALU_CYCLE_1)
	s_and_b32 s30, exec_lo, s27
	s_or_b32 s25, s30, s25
	s_and_not1_b32 s29, s29, exec_lo
	s_and_b32 s0, s0, exec_lo
	s_and_not1_b32 s26, s26, exec_lo
	s_and_b32 s30, s28, exec_lo
	s_or_b32 s29, s29, s0
	s_or_b32 s26, s26, s30
	s_and_not1_b32 exec_lo, exec_lo, s25
	s_cbranch_execz .LBB1483_242
.LBB1483_240:                           ; =>This Inner Loop Header: Depth=1
	global_load_b32 v26, v[6:7], off
	global_load_b32 v27, v[8:9], off
	s_and_not1_b32 s28, s28, exec_lo
	s_or_b32 s27, s27, exec_lo
	s_wait_loadcnt 0x0
	v_cmp_le_u32_e32 vcc_lo, v26, v27
	v_cmp_lt_u32_e64 s0, v26, v27
	s_and_b32 s30, vcc_lo, s29
	s_delay_alu instid0(SALU_CYCLE_1) | instskip(NEXT) | instid1(SALU_CYCLE_1)
	s_or_b32 s0, s0, s30
	s_and_b32 s30, s0, exec_lo
	s_delay_alu instid0(SALU_CYCLE_1)
	s_or_b32 s28, s28, s30
	s_mov_b32 s30, exec_lo
	v_cmpx_eq_u32_e64 v26, v27
	s_cbranch_execz .LBB1483_239
; %bb.241:                              ;   in Loop: Header=BB1483_240 Depth=1
	s_add_nc_u64 s[6:7], s[6:7], -1
	v_add_nc_u64_e32 v[6:7], 4, v[6:7]
	s_cmp_eq_u64 s[6:7], 0
	v_add_nc_u64_e32 v[8:9], 4, v[8:9]
	s_cselect_b32 s29, -1, 0
	s_and_not1_b32 s27, s27, exec_lo
	s_and_b32 s29, s29, exec_lo
	s_and_not1_b32 s28, s28, exec_lo
	s_or_b32 s27, s27, s29
                                        ; implicit-def: $sgpr29
	s_branch .LBB1483_239
.LBB1483_242:
	s_or_b32 exec_lo, exec_lo, s25
	s_xor_b32 s0, s26, -1
	s_branch .LBB1483_244
.LBB1483_243:
	s_mov_b32 s0, -1
.LBB1483_244:
	s_delay_alu instid0(SALU_CYCLE_1)
	s_and_b32 s0, s0, exec_lo
.LBB1483_245:
	s_or_b32 exec_lo, exec_lo, s22
	s_delay_alu instid0(SALU_CYCLE_1)
	s_or_not1_b32 s22, s0, exec_lo
.LBB1483_246:
	s_or_b32 exec_lo, exec_lo, s24
	v_dual_cndmask_b32 v6, v24, v25, s22 :: v_dual_cndmask_b32 v7, v51, v50, s22
	s_mov_b32 s24, exec_lo
	s_delay_alu instid0(VALU_DEP_1) | instskip(NEXT) | instid1(VALU_DEP_1)
	v_add_nc_u32_e32 v6, 1, v6
	v_add_min_u32_e64 v7, v7, -1, v6
	s_delay_alu instid0(VALU_DEP_1)
	v_lshl_add_u32 v7, v7, 3, v46
	ds_load_b64 v[8:9], v7
	s_wait_dscnt 0x0
	v_dual_cndmask_b32 v7, v9, v13, s22 :: v_dual_cndmask_b32 v28, v6, v24, s22
	v_dual_cndmask_b32 v29, v25, v6, s22 :: v_dual_cndmask_b32 v6, v8, v12, s22
	;; [unrolled: 1-line block ×3, first 2 shown]
	s_delay_alu instid0(VALU_DEP_3)
	v_cmpx_lt_u32_e64 v28, v51
	s_cbranch_execz .LBB1483_257
; %bb.247:
	s_mov_b32 s0, 0
	s_mov_b32 s23, exec_lo
	v_cmpx_lt_u32_e64 v29, v50
	s_cbranch_execz .LBB1483_256
; %bb.248:
	v_cmp_ne_u32_e32 vcc_lo, 1, v45
	s_cbranch_vccnz .LBB1483_254
; %bb.249:
	v_mul_u64_e32 v[8:9], s[16:17], v[6:7]
	v_mul_u64_e32 v[26:27], s[16:17], v[24:25]
	s_mov_b32 s25, 0
	s_mov_b64 s[6:7], s[16:17]
                                        ; implicit-def: $sgpr26
                                        ; implicit-def: $sgpr27
                                        ; implicit-def: $sgpr28
                                        ; implicit-def: $sgpr29
	s_delay_alu instid0(VALU_DEP_2) | instskip(NEXT) | instid1(VALU_DEP_2)
	v_lshl_add_u64 v[8:9], v[8:9], 2, s[18:19]
	v_lshl_add_u64 v[26:27], v[26:27], 2, s[18:19]
	s_branch .LBB1483_251
.LBB1483_250:                           ;   in Loop: Header=BB1483_251 Depth=1
	s_or_b32 exec_lo, exec_lo, s30
	s_delay_alu instid0(SALU_CYCLE_1) | instskip(NEXT) | instid1(SALU_CYCLE_1)
	s_and_b32 s30, exec_lo, s27
	s_or_b32 s25, s30, s25
	s_and_not1_b32 s29, s29, exec_lo
	s_and_b32 s0, s0, exec_lo
	s_and_not1_b32 s26, s26, exec_lo
	s_and_b32 s30, s28, exec_lo
	s_or_b32 s29, s29, s0
	s_or_b32 s26, s26, s30
	s_and_not1_b32 exec_lo, exec_lo, s25
	s_cbranch_execz .LBB1483_253
.LBB1483_251:                           ; =>This Inner Loop Header: Depth=1
	global_load_b32 v30, v[8:9], off
	global_load_b32 v31, v[26:27], off
	s_and_not1_b32 s28, s28, exec_lo
	s_or_b32 s27, s27, exec_lo
	s_wait_loadcnt 0x0
	v_cmp_le_u32_e32 vcc_lo, v30, v31
	v_cmp_lt_u32_e64 s0, v30, v31
	s_and_b32 s30, vcc_lo, s29
	s_delay_alu instid0(SALU_CYCLE_1) | instskip(NEXT) | instid1(SALU_CYCLE_1)
	s_or_b32 s0, s0, s30
	s_and_b32 s30, s0, exec_lo
	s_delay_alu instid0(SALU_CYCLE_1)
	s_or_b32 s28, s28, s30
	s_mov_b32 s30, exec_lo
	v_cmpx_eq_u32_e64 v30, v31
	s_cbranch_execz .LBB1483_250
; %bb.252:                              ;   in Loop: Header=BB1483_251 Depth=1
	s_add_nc_u64 s[6:7], s[6:7], -1
	v_add_nc_u64_e32 v[8:9], 4, v[8:9]
	s_cmp_eq_u64 s[6:7], 0
	v_add_nc_u64_e32 v[26:27], 4, v[26:27]
	s_cselect_b32 s29, -1, 0
	s_and_not1_b32 s27, s27, exec_lo
	s_and_b32 s29, s29, exec_lo
	s_and_not1_b32 s28, s28, exec_lo
	s_or_b32 s27, s27, s29
                                        ; implicit-def: $sgpr29
	s_branch .LBB1483_250
.LBB1483_253:
	s_or_b32 exec_lo, exec_lo, s25
	s_xor_b32 s0, s26, -1
	s_branch .LBB1483_255
.LBB1483_254:
	s_mov_b32 s0, -1
.LBB1483_255:
	s_delay_alu instid0(SALU_CYCLE_1)
	s_and_b32 s0, s0, exec_lo
.LBB1483_256:
	s_or_b32 exec_lo, exec_lo, s23
	s_delay_alu instid0(SALU_CYCLE_1)
	s_or_not1_b32 s23, s0, exec_lo
.LBB1483_257:
	s_or_b32 exec_lo, exec_lo, s24
	v_dual_cndmask_b32 v8, v28, v29, s23 :: v_dual_cndmask_b32 v9, v51, v50, s23
	s_mov_b32 s24, -1
	s_mov_b32 s25, -1
	s_mov_b32 s26, exec_lo
	s_delay_alu instid0(VALU_DEP_1) | instskip(NEXT) | instid1(VALU_DEP_1)
	v_add_nc_u32_e32 v8, 1, v8
	v_add_min_u32_e64 v9, v9, -1, v8
	s_delay_alu instid0(VALU_DEP_1)
	v_lshl_add_u32 v9, v9, 3, v46
	ds_load_b64 v[26:27], v9
	s_wait_dscnt 0x0
	v_dual_cndmask_b32 v9, v27, v7, s23 :: v_dual_cndmask_b32 v32, v8, v28, s23
	v_dual_cndmask_b32 v33, v29, v8, s23 :: v_dual_cndmask_b32 v8, v26, v6, s23
	;; [unrolled: 1-line block ×3, first 2 shown]
	s_delay_alu instid0(VALU_DEP_3)
	v_cmpx_lt_u32_e64 v32, v51
	s_cbranch_execz .LBB1483_268
; %bb.258:
	s_mov_b32 s0, 0
	s_mov_b32 s25, exec_lo
	v_cmpx_lt_u32_e64 v33, v50
	s_cbranch_execz .LBB1483_267
; %bb.259:
	v_cmp_ne_u32_e32 vcc_lo, 1, v45
	s_cbranch_vccnz .LBB1483_265
; %bb.260:
	v_mul_u64_e32 v[28:29], s[16:17], v[8:9]
	v_mul_u64_e32 v[30:31], s[16:17], v[26:27]
	s_mov_b32 s27, 0
	s_mov_b64 s[6:7], s[16:17]
                                        ; implicit-def: $sgpr28
                                        ; implicit-def: $sgpr29
                                        ; implicit-def: $sgpr30
                                        ; implicit-def: $sgpr31
	s_delay_alu instid0(VALU_DEP_2) | instskip(NEXT) | instid1(VALU_DEP_2)
	v_lshl_add_u64 v[28:29], v[28:29], 2, s[18:19]
	v_lshl_add_u64 v[30:31], v[30:31], 2, s[18:19]
	s_branch .LBB1483_262
.LBB1483_261:                           ;   in Loop: Header=BB1483_262 Depth=1
	s_or_b32 exec_lo, exec_lo, s33
	s_delay_alu instid0(SALU_CYCLE_1) | instskip(NEXT) | instid1(SALU_CYCLE_1)
	s_and_b32 s33, exec_lo, s29
	s_or_b32 s27, s33, s27
	s_and_not1_b32 s31, s31, exec_lo
	s_and_b32 s0, s0, exec_lo
	s_and_not1_b32 s28, s28, exec_lo
	s_and_b32 s33, s30, exec_lo
	s_or_b32 s31, s31, s0
	s_or_b32 s28, s28, s33
	s_and_not1_b32 exec_lo, exec_lo, s27
	s_cbranch_execz .LBB1483_264
.LBB1483_262:                           ; =>This Inner Loop Header: Depth=1
	global_load_b32 v34, v[28:29], off
	global_load_b32 v35, v[30:31], off
	s_and_not1_b32 s30, s30, exec_lo
	s_or_b32 s29, s29, exec_lo
	s_wait_loadcnt 0x0
	v_cmp_le_u32_e32 vcc_lo, v34, v35
	v_cmp_lt_u32_e64 s0, v34, v35
	s_and_b32 s33, vcc_lo, s31
	s_delay_alu instid0(SALU_CYCLE_1) | instskip(NEXT) | instid1(SALU_CYCLE_1)
	s_or_b32 s0, s0, s33
	s_and_b32 s33, s0, exec_lo
	s_delay_alu instid0(SALU_CYCLE_1)
	s_or_b32 s30, s30, s33
	s_mov_b32 s33, exec_lo
	v_cmpx_eq_u32_e64 v34, v35
	s_cbranch_execz .LBB1483_261
; %bb.263:                              ;   in Loop: Header=BB1483_262 Depth=1
	s_add_nc_u64 s[6:7], s[6:7], -1
	v_add_nc_u64_e32 v[28:29], 4, v[28:29]
	s_cmp_eq_u64 s[6:7], 0
	v_add_nc_u64_e32 v[30:31], 4, v[30:31]
	s_cselect_b32 s31, -1, 0
	s_and_not1_b32 s29, s29, exec_lo
	s_and_b32 s31, s31, exec_lo
	s_and_not1_b32 s30, s30, exec_lo
	s_or_b32 s29, s29, s31
                                        ; implicit-def: $sgpr31
	s_branch .LBB1483_261
.LBB1483_264:
	s_or_b32 exec_lo, exec_lo, s27
	s_xor_b32 s0, s28, -1
	s_branch .LBB1483_266
.LBB1483_265:
	s_mov_b32 s0, -1
.LBB1483_266:
	s_delay_alu instid0(SALU_CYCLE_1)
	s_and_b32 s0, s0, exec_lo
.LBB1483_267:
	s_or_b32 exec_lo, exec_lo, s25
	s_delay_alu instid0(SALU_CYCLE_1)
	s_or_not1_b32 s25, s0, exec_lo
.LBB1483_268:
	s_or_b32 exec_lo, exec_lo, s26
	v_dual_cndmask_b32 v28, v32, v33, s25 :: v_dual_cndmask_b32 v29, v51, v50, s25
	s_mov_b32 s26, exec_lo
	s_delay_alu instid0(VALU_DEP_1) | instskip(NEXT) | instid1(VALU_DEP_1)
	v_add_nc_u32_e32 v28, 1, v28
	v_add_min_u32_e64 v29, v29, -1, v28
	s_delay_alu instid0(VALU_DEP_1)
	v_lshl_add_u32 v29, v29, 3, v46
	ds_load_b64 v[30:31], v29
	s_wait_dscnt 0x0
	v_dual_cndmask_b32 v29, v31, v9, s25 :: v_dual_cndmask_b32 v53, v28, v32, s25
	v_dual_cndmask_b32 v31, v27, v31, s25 :: v_dual_cndmask_b32 v52, v33, v28, s25
	v_cndmask_b32_e64 v28, v30, v8, s25
	v_cndmask_b32_e64 v30, v26, v30, s25
	s_delay_alu instid0(VALU_DEP_4)
	v_cmpx_lt_u32_e64 v53, v51
	s_cbranch_execz .LBB1483_279
; %bb.269:
	s_mov_b32 s0, 0
	s_mov_b32 s24, exec_lo
	v_cmpx_lt_u32_e64 v52, v50
	s_cbranch_execz .LBB1483_278
; %bb.270:
	v_cmp_ne_u32_e32 vcc_lo, 1, v45
	s_cbranch_vccnz .LBB1483_276
; %bb.271:
	v_mul_u64_e32 v[32:33], s[16:17], v[28:29]
	v_mul_u64_e32 v[34:35], s[16:17], v[30:31]
	s_mov_b32 s27, 0
	s_mov_b64 s[6:7], s[16:17]
                                        ; implicit-def: $sgpr28
                                        ; implicit-def: $sgpr29
                                        ; implicit-def: $sgpr30
                                        ; implicit-def: $sgpr31
	s_delay_alu instid0(VALU_DEP_2) | instskip(NEXT) | instid1(VALU_DEP_2)
	v_lshl_add_u64 v[32:33], v[32:33], 2, s[18:19]
	v_lshl_add_u64 v[34:35], v[34:35], 2, s[18:19]
	s_branch .LBB1483_273
.LBB1483_272:                           ;   in Loop: Header=BB1483_273 Depth=1
	s_or_b32 exec_lo, exec_lo, s33
	s_delay_alu instid0(SALU_CYCLE_1) | instskip(NEXT) | instid1(SALU_CYCLE_1)
	s_and_b32 s33, exec_lo, s29
	s_or_b32 s27, s33, s27
	s_and_not1_b32 s31, s31, exec_lo
	s_and_b32 s0, s0, exec_lo
	s_and_not1_b32 s28, s28, exec_lo
	s_and_b32 s33, s30, exec_lo
	s_or_b32 s31, s31, s0
	s_or_b32 s28, s28, s33
	s_and_not1_b32 exec_lo, exec_lo, s27
	s_cbranch_execz .LBB1483_275
.LBB1483_273:                           ; =>This Inner Loop Header: Depth=1
	global_load_b32 v54, v[32:33], off
	global_load_b32 v55, v[34:35], off
	s_and_not1_b32 s30, s30, exec_lo
	s_or_b32 s29, s29, exec_lo
	s_wait_loadcnt 0x0
	v_cmp_le_u32_e32 vcc_lo, v54, v55
	v_cmp_lt_u32_e64 s0, v54, v55
	s_and_b32 s33, vcc_lo, s31
	s_delay_alu instid0(SALU_CYCLE_1) | instskip(NEXT) | instid1(SALU_CYCLE_1)
	s_or_b32 s0, s0, s33
	s_and_b32 s33, s0, exec_lo
	s_delay_alu instid0(SALU_CYCLE_1)
	s_or_b32 s30, s30, s33
	s_mov_b32 s33, exec_lo
	v_cmpx_eq_u32_e64 v54, v55
	s_cbranch_execz .LBB1483_272
; %bb.274:                              ;   in Loop: Header=BB1483_273 Depth=1
	s_add_nc_u64 s[6:7], s[6:7], -1
	v_add_nc_u64_e32 v[32:33], 4, v[32:33]
	s_cmp_eq_u64 s[6:7], 0
	v_add_nc_u64_e32 v[34:35], 4, v[34:35]
	s_cselect_b32 s31, -1, 0
	s_and_not1_b32 s29, s29, exec_lo
	s_and_b32 s31, s31, exec_lo
	s_and_not1_b32 s30, s30, exec_lo
	s_or_b32 s29, s29, s31
                                        ; implicit-def: $sgpr31
	s_branch .LBB1483_272
.LBB1483_275:
	s_or_b32 exec_lo, exec_lo, s27
	s_xor_b32 s0, s28, -1
	s_branch .LBB1483_277
.LBB1483_276:
	s_mov_b32 s0, -1
.LBB1483_277:
	s_delay_alu instid0(SALU_CYCLE_1)
	s_and_b32 s0, s0, exec_lo
.LBB1483_278:
	s_or_b32 exec_lo, exec_lo, s24
	s_delay_alu instid0(SALU_CYCLE_1)
	s_or_not1_b32 s24, s0, exec_lo
.LBB1483_279:
	s_or_b32 exec_lo, exec_lo, s26
	v_dual_cndmask_b32 v32, v53, v52, s24 :: v_dual_cndmask_b32 v33, v51, v50, s24
	v_dual_cndmask_b32 v8, v8, v26, s25 :: v_dual_cndmask_b32 v7, v7, v25, s23
	;; [unrolled: 1-line block ×3, first 2 shown]
	s_delay_alu instid0(VALU_DEP_3) | instskip(SKIP_2) | instid1(VALU_DEP_3)
	v_dual_add_nc_u32 v34, 1, v32 :: v_dual_cndmask_b32 v9, v9, v27, s25
	v_dual_cndmask_b32 v12, v12, v22, s22 :: v_dual_cndmask_b32 v11, v11, v21, s15
	v_dual_cndmask_b32 v10, v10, v20, s15 :: v_dual_cndmask_b32 v17, v15, v17, s14
	v_add_min_u32_e64 v32, v33, -1, v34
	v_dual_cndmask_b32 v16, v14, v16, s14 :: v_dual_cndmask_b32 v15, v5, v3, s5
	v_dual_cndmask_b32 v14, v4, v2, s5 :: v_dual_cndmask_b32 v20, v34, v53, s24
	s_delay_alu instid0(VALU_DEP_3)
	v_lshl_add_u32 v32, v32, 3, v46
	v_dual_cndmask_b32 v3, v29, v31, s24 :: v_dual_cndmask_b32 v2, v28, v30, s24
	s_mov_b32 s5, exec_lo
	ds_load_b64 v[32:33], v32
	s_wait_dscnt 0x0
	v_dual_cndmask_b32 v5, v31, v33, s24 :: v_dual_cndmask_b32 v4, v30, v32, s24
	v_cmpx_lt_u32_e64 v20, v51
	s_cbranch_execz .LBB1483_289
; %bb.280:
	v_dual_cndmask_b32 v22, v52, v34, s24 :: v_dual_cndmask_b32 v21, v33, v29, s24
	v_cndmask_b32_e64 v20, v32, v28, s24
	s_mov_b32 s14, exec_lo
	s_delay_alu instid0(VALU_DEP_2)
	v_cmpx_lt_u32_e64 v22, v50
	s_cbranch_execz .LBB1483_288
; %bb.281:
	v_cmp_ne_u32_e32 vcc_lo, 1, v45
	s_cbranch_vccnz .LBB1483_287
; %bb.282:
	v_mul_u64_e32 v[22:23], s[16:17], v[20:21]
	v_mul_u64_e32 v[24:25], s[16:17], v[4:5]
	s_mov_b32 s15, 0
	s_mov_b64 s[6:7], s[16:17]
                                        ; implicit-def: $sgpr22
                                        ; implicit-def: $sgpr23
                                        ; implicit-def: $sgpr24
                                        ; implicit-def: $sgpr25
	s_delay_alu instid0(VALU_DEP_2) | instskip(NEXT) | instid1(VALU_DEP_2)
	v_lshl_add_u64 v[22:23], v[22:23], 2, s[18:19]
	v_lshl_add_u64 v[24:25], v[24:25], 2, s[18:19]
	s_branch .LBB1483_284
.LBB1483_283:                           ;   in Loop: Header=BB1483_284 Depth=1
	s_or_b32 exec_lo, exec_lo, s26
	s_delay_alu instid0(SALU_CYCLE_1) | instskip(NEXT) | instid1(SALU_CYCLE_1)
	s_and_b32 s26, exec_lo, s23
	s_or_b32 s15, s26, s15
	s_and_not1_b32 s25, s25, exec_lo
	s_and_b32 s0, s0, exec_lo
	s_and_not1_b32 s22, s22, exec_lo
	s_and_b32 s26, s24, exec_lo
	s_or_b32 s25, s25, s0
	s_or_b32 s22, s22, s26
	s_and_not1_b32 exec_lo, exec_lo, s15
	s_cbranch_execz .LBB1483_286
.LBB1483_284:                           ; =>This Inner Loop Header: Depth=1
	global_load_b32 v26, v[22:23], off
	global_load_b32 v27, v[24:25], off
	s_and_not1_b32 s24, s24, exec_lo
	s_or_b32 s23, s23, exec_lo
	s_wait_loadcnt 0x0
	v_cmp_le_u32_e32 vcc_lo, v26, v27
	v_cmp_lt_u32_e64 s0, v26, v27
	s_and_b32 s26, vcc_lo, s25
	s_delay_alu instid0(SALU_CYCLE_1) | instskip(NEXT) | instid1(SALU_CYCLE_1)
	s_or_b32 s0, s0, s26
	s_and_b32 s26, s0, exec_lo
	s_delay_alu instid0(SALU_CYCLE_1)
	s_or_b32 s24, s24, s26
	s_mov_b32 s26, exec_lo
	v_cmpx_eq_u32_e64 v26, v27
	s_cbranch_execz .LBB1483_283
; %bb.285:                              ;   in Loop: Header=BB1483_284 Depth=1
	s_add_nc_u64 s[6:7], s[6:7], -1
	v_add_nc_u64_e32 v[22:23], 4, v[22:23]
	s_cmp_eq_u64 s[6:7], 0
	v_add_nc_u64_e32 v[24:25], 4, v[24:25]
	s_cselect_b32 s25, -1, 0
	s_and_not1_b32 s23, s23, exec_lo
	s_and_b32 s25, s25, exec_lo
	s_and_not1_b32 s24, s24, exec_lo
	s_or_b32 s23, s23, s25
                                        ; implicit-def: $sgpr25
	s_branch .LBB1483_283
.LBB1483_286:
	s_or_b32 exec_lo, exec_lo, s15
	v_dual_cndmask_b32 v5, v5, v21, s22 :: v_dual_cndmask_b32 v4, v4, v20, s22
.LBB1483_287:
	s_delay_alu instid0(VALU_DEP_1)
	v_mov_b64_e32 v[20:21], v[4:5]
.LBB1483_288:
	s_or_b32 exec_lo, exec_lo, s14
	s_delay_alu instid0(VALU_DEP_1)
	v_mov_b64_e32 v[4:5], v[20:21]
.LBB1483_289:
	s_or_b32 exec_lo, exec_lo, s5
.LBB1483_290:
	s_delay_alu instid0(SALU_CYCLE_1)
	s_or_b32 exec_lo, exec_lo, s1
	v_and_b32_e32 v26, 0xe0, v48
	s_mov_b32 s1, exec_lo
	; wave barrier
	ds_store_b128 v49, v[14:17]
	ds_store_b128 v49, v[10:13] offset:16
	v_or_b32_e32 v20, 16, v26
	v_lshl_add_u32 v25, v26, 3, v46
	ds_store_b128 v49, v[6:9] offset:32
	ds_store_b128 v49, v[2:5] offset:48
	; wave barrier
	v_min_u32_e32 v50, v47, v20
	v_and_b32_e32 v20, 24, v48
	s_delay_alu instid0(VALU_DEP_2) | instskip(NEXT) | instid1(VALU_DEP_2)
	v_add_min_u32_e64 v51, v50, 16, v47
	v_min_u32_e32 v27, v47, v20
	v_sub_nc_u32_e32 v21, v50, v26
	s_delay_alu instid0(VALU_DEP_3) | instskip(NEXT) | instid1(VALU_DEP_2)
	v_sub_nc_u32_e32 v20, v51, v50
	v_min_u32_e32 v28, v27, v21
	s_delay_alu instid0(VALU_DEP_2) | instskip(NEXT) | instid1(VALU_DEP_1)
	v_sub_nc_u32_e64 v24, v27, v20 clamp
	v_cmpx_lt_u32_e64 v24, v28
	s_cbranch_execz .LBB1483_300
; %bb.291:
	v_dual_lshlrev_b32 v20, 3, v50 :: v_dual_lshlrev_b32 v21, 3, v27
	s_lshl_b64 s[6:7], s[16:17], 2
	s_mov_b32 s5, 0
	s_delay_alu instid0(VALU_DEP_1)
	v_add3_u32 v29, v46, v20, v21
	s_branch .LBB1483_294
.LBB1483_292:                           ;   in Loop: Header=BB1483_294 Depth=1
	s_or_b32 exec_lo, exec_lo, s23
.LBB1483_293:                           ;   in Loop: Header=BB1483_294 Depth=1
	s_delay_alu instid0(VALU_DEP_1) | instskip(NEXT) | instid1(VALU_DEP_1)
	v_dual_add_nc_u32 v20, 1, v30 :: v_dual_cndmask_b32 v28, v28, v30, s22
	v_cndmask_b32_e64 v24, v20, v24, s22
	s_delay_alu instid0(VALU_DEP_1) | instskip(SKIP_1) | instid1(SALU_CYCLE_1)
	v_cmp_ge_u32_e32 vcc_lo, v24, v28
	s_or_b32 s5, vcc_lo, s5
	s_and_not1_b32 exec_lo, exec_lo, s5
	s_cbranch_execz .LBB1483_299
.LBB1483_294:                           ; =>This Loop Header: Depth=1
                                        ;     Child Loop BB1483_297 Depth 2
	v_add_nc_u32_e32 v20, v28, v24
	v_cmp_ne_u32_e32 vcc_lo, 1, v45
	s_mov_b32 s22, 0
	s_delay_alu instid0(VALU_DEP_2)
	v_lshrrev_b32_e32 v30, 1, v20
	s_cbranch_vccnz .LBB1483_293
; %bb.295:                              ;   in Loop: Header=BB1483_294 Depth=1
	s_delay_alu instid0(VALU_DEP_1) | instskip(SKIP_3) | instid1(VALU_DEP_2)
	v_not_b32_e32 v20, v30
	v_lshl_add_u32 v21, v30, 3, v25
	s_mov_b32 s23, 0
	s_mov_b64 s[14:15], s[16:17]
                                        ; implicit-def: $sgpr22
                                        ; implicit-def: $sgpr24
                                        ; implicit-def: $sgpr25
                                        ; implicit-def: $sgpr26
	v_lshl_add_u32 v20, v20, 3, v29
	ds_load_b64 v[32:33], v20
	ds_load_b64 v[34:35], v21
	s_wait_dscnt 0x1
	v_mad_nc_u64_u32 v[20:21], s6, v32, s[18:19]
	s_wait_dscnt 0x0
	v_mad_nc_u64_u32 v[22:23], s6, v34, s[18:19]
	s_delay_alu instid0(VALU_DEP_2) | instskip(NEXT) | instid1(VALU_DEP_2)
	v_mad_u32 v21, s7, v32, v21
	v_mad_u32 v23, s7, v34, v23
	s_delay_alu instid0(VALU_DEP_2) | instskip(NEXT) | instid1(VALU_DEP_2)
	v_mad_u32 v21, s6, v33, v21
	v_mad_u32 v23, s6, v35, v23
	s_branch .LBB1483_297
.LBB1483_296:                           ;   in Loop: Header=BB1483_297 Depth=2
	s_or_b32 exec_lo, exec_lo, s27
	s_delay_alu instid0(SALU_CYCLE_1) | instskip(NEXT) | instid1(SALU_CYCLE_1)
	s_and_b32 s27, exec_lo, s24
	s_or_b32 s23, s27, s23
	s_and_not1_b32 s26, s26, exec_lo
	s_and_b32 s0, s0, exec_lo
	s_and_not1_b32 s22, s22, exec_lo
	s_and_b32 s27, s25, exec_lo
	s_or_b32 s26, s26, s0
	s_or_b32 s22, s22, s27
	s_and_not1_b32 exec_lo, exec_lo, s23
	s_cbranch_execz .LBB1483_292
.LBB1483_297:                           ;   Parent Loop BB1483_294 Depth=1
                                        ; =>  This Inner Loop Header: Depth=2
	global_load_b32 v31, v[20:21], off
	global_load_b32 v32, v[22:23], off
	s_and_not1_b32 s25, s25, exec_lo
	s_or_b32 s24, s24, exec_lo
	s_wait_loadcnt 0x0
	v_cmp_le_u32_e32 vcc_lo, v31, v32
	v_cmp_lt_u32_e64 s0, v31, v32
	s_and_b32 s27, vcc_lo, s26
	s_delay_alu instid0(SALU_CYCLE_1) | instskip(NEXT) | instid1(SALU_CYCLE_1)
	s_or_b32 s0, s0, s27
	s_and_b32 s27, s0, exec_lo
	s_delay_alu instid0(SALU_CYCLE_1)
	s_or_b32 s25, s25, s27
	s_mov_b32 s27, exec_lo
	v_cmpx_eq_u32_e64 v31, v32
	s_cbranch_execz .LBB1483_296
; %bb.298:                              ;   in Loop: Header=BB1483_297 Depth=2
	s_add_nc_u64 s[14:15], s[14:15], -1
	v_add_nc_u64_e32 v[20:21], 4, v[20:21]
	s_cmp_eq_u64 s[14:15], 0
	v_add_nc_u64_e32 v[22:23], 4, v[22:23]
	s_cselect_b32 s26, -1, 0
	s_and_not1_b32 s24, s24, exec_lo
	s_and_b32 s26, s26, exec_lo
	s_and_not1_b32 s25, s25, exec_lo
	s_or_b32 s24, s24, s26
                                        ; implicit-def: $sgpr26
	s_branch .LBB1483_296
.LBB1483_299:
	s_or_b32 exec_lo, exec_lo, s5
.LBB1483_300:
	s_delay_alu instid0(SALU_CYCLE_1) | instskip(SKIP_1) | instid1(VALU_DEP_1)
	s_or_b32 exec_lo, exec_lo, s1
	v_dual_add_nc_u32 v21, v50, v27 :: v_dual_add_nc_u32 v20, v24, v26
	v_sub_nc_u32_e32 v21, v21, v24
	s_delay_alu instid0(VALU_DEP_2) | instskip(NEXT) | instid1(VALU_DEP_2)
	v_cmp_le_u32_e32 vcc_lo, v20, v50
	v_cmp_le_u32_e64 s0, v21, v51
	s_or_b32 s0, vcc_lo, s0
	s_delay_alu instid0(SALU_CYCLE_1)
	s_and_saveexec_b32 s1, s0
	s_cbranch_execz .LBB1483_391
; %bb.301:
	s_mov_b32 s5, exec_lo
	v_cmp_ge_u32_e32 vcc_lo, v20, v50
                                        ; implicit-def: $vgpr2_vgpr3
	v_cmpx_lt_u32_e64 v20, v50
; %bb.302:
	v_lshl_add_u32 v2, v24, 3, v25
	ds_load_b64 v[2:3], v2
; %bb.303:
	s_or_b32 exec_lo, exec_lo, s5
	v_cmp_ge_u32_e64 s5, v21, v51
	s_mov_b32 s6, exec_lo
                                        ; implicit-def: $vgpr4_vgpr5
	v_cmpx_lt_u32_e64 v21, v51
; %bb.304:
	v_lshl_add_u32 v4, v21, 3, v46
	ds_load_b64 v[4:5], v4
; %bb.305:
	s_or_b32 exec_lo, exec_lo, s6
	s_nor_b32 s0, vcc_lo, s5
	s_delay_alu instid0(SALU_CYCLE_1)
	s_and_saveexec_b32 s14, s0
	s_cbranch_execz .LBB1483_314
; %bb.306:
	v_cmp_ne_u32_e32 vcc_lo, 1, v45
	s_cbranch_vccnz .LBB1483_312
; %bb.307:
	s_wait_dscnt 0x0
	v_mul_u64_e32 v[6:7], s[16:17], v[4:5]
	v_mul_u64_e32 v[8:9], s[16:17], v[2:3]
	s_mov_b32 s15, 0
	s_mov_b64 s[6:7], s[16:17]
                                        ; implicit-def: $sgpr22
                                        ; implicit-def: $sgpr23
                                        ; implicit-def: $sgpr24
                                        ; implicit-def: $sgpr25
	s_delay_alu instid0(VALU_DEP_2) | instskip(NEXT) | instid1(VALU_DEP_2)
	v_lshl_add_u64 v[6:7], v[6:7], 2, s[18:19]
	v_lshl_add_u64 v[8:9], v[8:9], 2, s[18:19]
	s_branch .LBB1483_309
.LBB1483_308:                           ;   in Loop: Header=BB1483_309 Depth=1
	s_or_b32 exec_lo, exec_lo, s26
	s_delay_alu instid0(SALU_CYCLE_1) | instskip(NEXT) | instid1(SALU_CYCLE_1)
	s_and_b32 s26, exec_lo, s23
	s_or_b32 s15, s26, s15
	s_and_not1_b32 s25, s25, exec_lo
	s_and_b32 s0, s0, exec_lo
	s_and_not1_b32 s22, s22, exec_lo
	s_and_b32 s26, s24, exec_lo
	s_or_b32 s25, s25, s0
	s_or_b32 s22, s22, s26
	s_and_not1_b32 exec_lo, exec_lo, s15
	s_cbranch_execz .LBB1483_311
.LBB1483_309:                           ; =>This Inner Loop Header: Depth=1
	global_load_b32 v10, v[6:7], off
	global_load_b32 v11, v[8:9], off
	s_and_not1_b32 s24, s24, exec_lo
	s_or_b32 s23, s23, exec_lo
	s_wait_loadcnt 0x0
	v_cmp_le_u32_e32 vcc_lo, v10, v11
	v_cmp_lt_u32_e64 s0, v10, v11
	s_and_b32 s26, vcc_lo, s25
	s_delay_alu instid0(SALU_CYCLE_1) | instskip(NEXT) | instid1(SALU_CYCLE_1)
	s_or_b32 s0, s0, s26
	s_and_b32 s26, s0, exec_lo
	s_delay_alu instid0(SALU_CYCLE_1)
	s_or_b32 s24, s24, s26
	s_mov_b32 s26, exec_lo
	v_cmpx_eq_u32_e64 v10, v11
	s_cbranch_execz .LBB1483_308
; %bb.310:                              ;   in Loop: Header=BB1483_309 Depth=1
	s_add_nc_u64 s[6:7], s[6:7], -1
	v_add_nc_u64_e32 v[6:7], 4, v[6:7]
	s_cmp_eq_u64 s[6:7], 0
	v_add_nc_u64_e32 v[8:9], 4, v[8:9]
	s_cselect_b32 s25, -1, 0
	s_and_not1_b32 s23, s23, exec_lo
	s_and_b32 s25, s25, exec_lo
	s_and_not1_b32 s24, s24, exec_lo
	s_or_b32 s23, s23, s25
                                        ; implicit-def: $sgpr25
	s_branch .LBB1483_308
.LBB1483_311:
	s_or_b32 exec_lo, exec_lo, s15
	s_xor_b32 s0, s22, -1
	s_branch .LBB1483_313
.LBB1483_312:
	s_mov_b32 s0, -1
.LBB1483_313:
	s_and_not1_b32 s5, s5, exec_lo
	s_and_b32 s0, s0, exec_lo
	s_delay_alu instid0(SALU_CYCLE_1)
	s_or_b32 s5, s5, s0
.LBB1483_314:
	s_or_b32 exec_lo, exec_lo, s14
	v_dual_cndmask_b32 v6, v21, v20, s5 :: v_dual_cndmask_b32 v7, v51, v50, s5
	s_mov_b32 s15, -1
	s_mov_b32 s14, -1
	s_mov_b32 s22, exec_lo
	s_delay_alu instid0(VALU_DEP_1) | instskip(NEXT) | instid1(VALU_DEP_1)
	v_add_nc_u32_e32 v8, 1, v6
	v_add_min_u32_e64 v6, v7, -1, v8
	s_delay_alu instid0(VALU_DEP_1)
	v_lshl_add_u32 v6, v6, 3, v46
	ds_load_b64 v[6:7], v6
	s_wait_dscnt 0x0
	v_cndmask_b32_e64 v15, v7, v5, s5
	v_dual_cndmask_b32 v10, v8, v21, s5 :: v_dual_cndmask_b32 v14, v6, v4, s5
	v_dual_cndmask_b32 v11, v20, v8, s5 :: v_dual_cndmask_b32 v17, v3, v7, s5
	v_cndmask_b32_e64 v16, v2, v6, s5
	s_delay_alu instid0(VALU_DEP_3)
	v_cmpx_lt_u32_e64 v10, v51
	s_cbranch_execz .LBB1483_325
; %bb.315:
	s_mov_b32 s0, 0
	s_mov_b32 s14, exec_lo
	v_cmpx_lt_u32_e64 v11, v50
	s_cbranch_execz .LBB1483_324
; %bb.316:
	v_cmp_ne_u32_e32 vcc_lo, 1, v45
	s_cbranch_vccnz .LBB1483_322
; %bb.317:
	v_mul_u64_e32 v[6:7], s[16:17], v[14:15]
	v_mul_u64_e32 v[8:9], s[16:17], v[16:17]
	s_mov_b32 s23, 0
	s_mov_b64 s[6:7], s[16:17]
                                        ; implicit-def: $sgpr24
                                        ; implicit-def: $sgpr25
                                        ; implicit-def: $sgpr26
                                        ; implicit-def: $sgpr27
	s_delay_alu instid0(VALU_DEP_2) | instskip(NEXT) | instid1(VALU_DEP_2)
	v_lshl_add_u64 v[6:7], v[6:7], 2, s[18:19]
	v_lshl_add_u64 v[8:9], v[8:9], 2, s[18:19]
	s_branch .LBB1483_319
.LBB1483_318:                           ;   in Loop: Header=BB1483_319 Depth=1
	s_or_b32 exec_lo, exec_lo, s28
	s_delay_alu instid0(SALU_CYCLE_1) | instskip(NEXT) | instid1(SALU_CYCLE_1)
	s_and_b32 s28, exec_lo, s25
	s_or_b32 s23, s28, s23
	s_and_not1_b32 s27, s27, exec_lo
	s_and_b32 s0, s0, exec_lo
	s_and_not1_b32 s24, s24, exec_lo
	s_and_b32 s28, s26, exec_lo
	s_or_b32 s27, s27, s0
	s_or_b32 s24, s24, s28
	s_and_not1_b32 exec_lo, exec_lo, s23
	s_cbranch_execz .LBB1483_321
.LBB1483_319:                           ; =>This Inner Loop Header: Depth=1
	global_load_b32 v12, v[6:7], off
	global_load_b32 v13, v[8:9], off
	s_and_not1_b32 s26, s26, exec_lo
	s_or_b32 s25, s25, exec_lo
	s_wait_loadcnt 0x0
	v_cmp_le_u32_e32 vcc_lo, v12, v13
	v_cmp_lt_u32_e64 s0, v12, v13
	s_and_b32 s28, vcc_lo, s27
	s_delay_alu instid0(SALU_CYCLE_1) | instskip(NEXT) | instid1(SALU_CYCLE_1)
	s_or_b32 s0, s0, s28
	s_and_b32 s28, s0, exec_lo
	s_delay_alu instid0(SALU_CYCLE_1)
	s_or_b32 s26, s26, s28
	s_mov_b32 s28, exec_lo
	v_cmpx_eq_u32_e64 v12, v13
	s_cbranch_execz .LBB1483_318
; %bb.320:                              ;   in Loop: Header=BB1483_319 Depth=1
	s_add_nc_u64 s[6:7], s[6:7], -1
	v_add_nc_u64_e32 v[6:7], 4, v[6:7]
	s_cmp_eq_u64 s[6:7], 0
	v_add_nc_u64_e32 v[8:9], 4, v[8:9]
	s_cselect_b32 s27, -1, 0
	s_and_not1_b32 s25, s25, exec_lo
	s_and_b32 s27, s27, exec_lo
	s_and_not1_b32 s26, s26, exec_lo
	s_or_b32 s25, s25, s27
                                        ; implicit-def: $sgpr27
	s_branch .LBB1483_318
.LBB1483_321:
	s_or_b32 exec_lo, exec_lo, s23
	s_xor_b32 s0, s24, -1
	s_branch .LBB1483_323
.LBB1483_322:
	s_mov_b32 s0, -1
.LBB1483_323:
	s_delay_alu instid0(SALU_CYCLE_1)
	s_and_b32 s0, s0, exec_lo
.LBB1483_324:
	s_or_b32 exec_lo, exec_lo, s14
	s_delay_alu instid0(SALU_CYCLE_1)
	s_or_not1_b32 s14, s0, exec_lo
.LBB1483_325:
	s_or_b32 exec_lo, exec_lo, s22
	v_dual_cndmask_b32 v6, v10, v11, s14 :: v_dual_cndmask_b32 v7, v51, v50, s14
	s_mov_b32 s22, exec_lo
	s_delay_alu instid0(VALU_DEP_1) | instskip(NEXT) | instid1(VALU_DEP_1)
	v_add_nc_u32_e32 v8, 1, v6
	v_add_min_u32_e64 v6, v7, -1, v8
	s_delay_alu instid0(VALU_DEP_1)
	v_lshl_add_u32 v6, v6, 3, v46
	ds_load_b64 v[6:7], v6
	v_cndmask_b32_e64 v13, v11, v8, s14
	s_wait_dscnt 0x0
	v_dual_cndmask_b32 v11, v7, v15, s14 :: v_dual_cndmask_b32 v12, v8, v10, s14
	v_dual_cndmask_b32 v21, v17, v7, s14 :: v_dual_cndmask_b32 v10, v6, v14, s14
	v_cndmask_b32_e64 v20, v16, v6, s14
	s_delay_alu instid0(VALU_DEP_3)
	v_cmpx_lt_u32_e64 v12, v51
	s_cbranch_execz .LBB1483_336
; %bb.326:
	s_mov_b32 s0, 0
	s_mov_b32 s15, exec_lo
	v_cmpx_lt_u32_e64 v13, v50
	s_cbranch_execz .LBB1483_335
; %bb.327:
	v_cmp_ne_u32_e32 vcc_lo, 1, v45
	s_cbranch_vccnz .LBB1483_333
; %bb.328:
	v_mul_u64_e32 v[6:7], s[16:17], v[10:11]
	v_mul_u64_e32 v[8:9], s[16:17], v[20:21]
	s_mov_b32 s23, 0
	s_mov_b64 s[6:7], s[16:17]
                                        ; implicit-def: $sgpr24
                                        ; implicit-def: $sgpr25
                                        ; implicit-def: $sgpr26
                                        ; implicit-def: $sgpr27
	s_delay_alu instid0(VALU_DEP_2) | instskip(NEXT) | instid1(VALU_DEP_2)
	v_lshl_add_u64 v[6:7], v[6:7], 2, s[18:19]
	v_lshl_add_u64 v[8:9], v[8:9], 2, s[18:19]
	s_branch .LBB1483_330
.LBB1483_329:                           ;   in Loop: Header=BB1483_330 Depth=1
	s_or_b32 exec_lo, exec_lo, s28
	s_delay_alu instid0(SALU_CYCLE_1) | instskip(NEXT) | instid1(SALU_CYCLE_1)
	s_and_b32 s28, exec_lo, s25
	s_or_b32 s23, s28, s23
	s_and_not1_b32 s27, s27, exec_lo
	s_and_b32 s0, s0, exec_lo
	s_and_not1_b32 s24, s24, exec_lo
	s_and_b32 s28, s26, exec_lo
	s_or_b32 s27, s27, s0
	s_or_b32 s24, s24, s28
	s_and_not1_b32 exec_lo, exec_lo, s23
	s_cbranch_execz .LBB1483_332
.LBB1483_330:                           ; =>This Inner Loop Header: Depth=1
	global_load_b32 v22, v[6:7], off
	global_load_b32 v23, v[8:9], off
	s_and_not1_b32 s26, s26, exec_lo
	s_or_b32 s25, s25, exec_lo
	s_wait_loadcnt 0x0
	v_cmp_le_u32_e32 vcc_lo, v22, v23
	v_cmp_lt_u32_e64 s0, v22, v23
	s_and_b32 s28, vcc_lo, s27
	s_delay_alu instid0(SALU_CYCLE_1) | instskip(NEXT) | instid1(SALU_CYCLE_1)
	s_or_b32 s0, s0, s28
	s_and_b32 s28, s0, exec_lo
	s_delay_alu instid0(SALU_CYCLE_1)
	s_or_b32 s26, s26, s28
	s_mov_b32 s28, exec_lo
	v_cmpx_eq_u32_e64 v22, v23
	s_cbranch_execz .LBB1483_329
; %bb.331:                              ;   in Loop: Header=BB1483_330 Depth=1
	s_add_nc_u64 s[6:7], s[6:7], -1
	v_add_nc_u64_e32 v[6:7], 4, v[6:7]
	s_cmp_eq_u64 s[6:7], 0
	v_add_nc_u64_e32 v[8:9], 4, v[8:9]
	s_cselect_b32 s27, -1, 0
	s_and_not1_b32 s25, s25, exec_lo
	s_and_b32 s27, s27, exec_lo
	s_and_not1_b32 s26, s26, exec_lo
	s_or_b32 s25, s25, s27
                                        ; implicit-def: $sgpr27
	s_branch .LBB1483_329
.LBB1483_332:
	s_or_b32 exec_lo, exec_lo, s23
	s_xor_b32 s0, s24, -1
	s_branch .LBB1483_334
.LBB1483_333:
	s_mov_b32 s0, -1
.LBB1483_334:
	s_delay_alu instid0(SALU_CYCLE_1)
	s_and_b32 s0, s0, exec_lo
.LBB1483_335:
	s_or_b32 exec_lo, exec_lo, s15
	s_delay_alu instid0(SALU_CYCLE_1)
	s_or_not1_b32 s15, s0, exec_lo
.LBB1483_336:
	s_or_b32 exec_lo, exec_lo, s22
	v_dual_cndmask_b32 v6, v12, v13, s15 :: v_dual_cndmask_b32 v7, v51, v50, s15
	s_mov_b32 s23, -1
	s_mov_b32 s22, -1
	s_mov_b32 s24, exec_lo
	s_delay_alu instid0(VALU_DEP_1) | instskip(NEXT) | instid1(VALU_DEP_1)
	v_add_nc_u32_e32 v8, 1, v6
	v_add_min_u32_e64 v6, v7, -1, v8
	s_delay_alu instid0(VALU_DEP_1)
	v_lshl_add_u32 v6, v6, 3, v46
	ds_load_b64 v[6:7], v6
	s_wait_dscnt 0x0
	v_dual_cndmask_b32 v25, v13, v8, s15 :: v_dual_cndmask_b32 v22, v20, v6, s15
	v_dual_cndmask_b32 v13, v7, v11, s15 :: v_dual_cndmask_b32 v24, v8, v12, s15
	;; [unrolled: 1-line block ×3, first 2 shown]
	s_delay_alu instid0(VALU_DEP_2)
	v_cmpx_lt_u32_e64 v24, v51
	s_cbranch_execz .LBB1483_347
; %bb.337:
	s_mov_b32 s0, 0
	s_mov_b32 s22, exec_lo
	v_cmpx_lt_u32_e64 v25, v50
	s_cbranch_execz .LBB1483_346
; %bb.338:
	v_cmp_ne_u32_e32 vcc_lo, 1, v45
	s_cbranch_vccnz .LBB1483_344
; %bb.339:
	v_mul_u64_e32 v[6:7], s[16:17], v[12:13]
	v_mul_u64_e32 v[8:9], s[16:17], v[22:23]
	s_mov_b32 s25, 0
	s_mov_b64 s[6:7], s[16:17]
                                        ; implicit-def: $sgpr26
                                        ; implicit-def: $sgpr27
                                        ; implicit-def: $sgpr28
                                        ; implicit-def: $sgpr29
	s_delay_alu instid0(VALU_DEP_2) | instskip(NEXT) | instid1(VALU_DEP_2)
	v_lshl_add_u64 v[6:7], v[6:7], 2, s[18:19]
	v_lshl_add_u64 v[8:9], v[8:9], 2, s[18:19]
	s_branch .LBB1483_341
.LBB1483_340:                           ;   in Loop: Header=BB1483_341 Depth=1
	s_or_b32 exec_lo, exec_lo, s30
	s_delay_alu instid0(SALU_CYCLE_1) | instskip(NEXT) | instid1(SALU_CYCLE_1)
	s_and_b32 s30, exec_lo, s27
	s_or_b32 s25, s30, s25
	s_and_not1_b32 s29, s29, exec_lo
	s_and_b32 s0, s0, exec_lo
	s_and_not1_b32 s26, s26, exec_lo
	s_and_b32 s30, s28, exec_lo
	s_or_b32 s29, s29, s0
	s_or_b32 s26, s26, s30
	s_and_not1_b32 exec_lo, exec_lo, s25
	s_cbranch_execz .LBB1483_343
.LBB1483_341:                           ; =>This Inner Loop Header: Depth=1
	global_load_b32 v26, v[6:7], off
	global_load_b32 v27, v[8:9], off
	s_and_not1_b32 s28, s28, exec_lo
	s_or_b32 s27, s27, exec_lo
	s_wait_loadcnt 0x0
	v_cmp_le_u32_e32 vcc_lo, v26, v27
	v_cmp_lt_u32_e64 s0, v26, v27
	s_and_b32 s30, vcc_lo, s29
	s_delay_alu instid0(SALU_CYCLE_1) | instskip(NEXT) | instid1(SALU_CYCLE_1)
	s_or_b32 s0, s0, s30
	s_and_b32 s30, s0, exec_lo
	s_delay_alu instid0(SALU_CYCLE_1)
	s_or_b32 s28, s28, s30
	s_mov_b32 s30, exec_lo
	v_cmpx_eq_u32_e64 v26, v27
	s_cbranch_execz .LBB1483_340
; %bb.342:                              ;   in Loop: Header=BB1483_341 Depth=1
	s_add_nc_u64 s[6:7], s[6:7], -1
	v_add_nc_u64_e32 v[6:7], 4, v[6:7]
	s_cmp_eq_u64 s[6:7], 0
	v_add_nc_u64_e32 v[8:9], 4, v[8:9]
	s_cselect_b32 s29, -1, 0
	s_and_not1_b32 s27, s27, exec_lo
	s_and_b32 s29, s29, exec_lo
	s_and_not1_b32 s28, s28, exec_lo
	s_or_b32 s27, s27, s29
                                        ; implicit-def: $sgpr29
	s_branch .LBB1483_340
.LBB1483_343:
	s_or_b32 exec_lo, exec_lo, s25
	s_xor_b32 s0, s26, -1
	s_branch .LBB1483_345
.LBB1483_344:
	s_mov_b32 s0, -1
.LBB1483_345:
	s_delay_alu instid0(SALU_CYCLE_1)
	s_and_b32 s0, s0, exec_lo
.LBB1483_346:
	s_or_b32 exec_lo, exec_lo, s22
	s_delay_alu instid0(SALU_CYCLE_1)
	s_or_not1_b32 s22, s0, exec_lo
.LBB1483_347:
	s_or_b32 exec_lo, exec_lo, s24
	v_dual_cndmask_b32 v6, v24, v25, s22 :: v_dual_cndmask_b32 v7, v51, v50, s22
	s_mov_b32 s24, exec_lo
	s_delay_alu instid0(VALU_DEP_1) | instskip(NEXT) | instid1(VALU_DEP_1)
	v_add_nc_u32_e32 v6, 1, v6
	v_add_min_u32_e64 v7, v7, -1, v6
	s_delay_alu instid0(VALU_DEP_1)
	v_lshl_add_u32 v7, v7, 3, v46
	ds_load_b64 v[8:9], v7
	s_wait_dscnt 0x0
	v_dual_cndmask_b32 v7, v9, v13, s22 :: v_dual_cndmask_b32 v28, v6, v24, s22
	v_dual_cndmask_b32 v29, v25, v6, s22 :: v_dual_cndmask_b32 v6, v8, v12, s22
	;; [unrolled: 1-line block ×3, first 2 shown]
	s_delay_alu instid0(VALU_DEP_3)
	v_cmpx_lt_u32_e64 v28, v51
	s_cbranch_execz .LBB1483_358
; %bb.348:
	s_mov_b32 s0, 0
	s_mov_b32 s23, exec_lo
	v_cmpx_lt_u32_e64 v29, v50
	s_cbranch_execz .LBB1483_357
; %bb.349:
	v_cmp_ne_u32_e32 vcc_lo, 1, v45
	s_cbranch_vccnz .LBB1483_355
; %bb.350:
	v_mul_u64_e32 v[8:9], s[16:17], v[6:7]
	v_mul_u64_e32 v[26:27], s[16:17], v[24:25]
	s_mov_b32 s25, 0
	s_mov_b64 s[6:7], s[16:17]
                                        ; implicit-def: $sgpr26
                                        ; implicit-def: $sgpr27
                                        ; implicit-def: $sgpr28
                                        ; implicit-def: $sgpr29
	s_delay_alu instid0(VALU_DEP_2) | instskip(NEXT) | instid1(VALU_DEP_2)
	v_lshl_add_u64 v[8:9], v[8:9], 2, s[18:19]
	v_lshl_add_u64 v[26:27], v[26:27], 2, s[18:19]
	s_branch .LBB1483_352
.LBB1483_351:                           ;   in Loop: Header=BB1483_352 Depth=1
	s_or_b32 exec_lo, exec_lo, s30
	s_delay_alu instid0(SALU_CYCLE_1) | instskip(NEXT) | instid1(SALU_CYCLE_1)
	s_and_b32 s30, exec_lo, s27
	s_or_b32 s25, s30, s25
	s_and_not1_b32 s29, s29, exec_lo
	s_and_b32 s0, s0, exec_lo
	s_and_not1_b32 s26, s26, exec_lo
	s_and_b32 s30, s28, exec_lo
	s_or_b32 s29, s29, s0
	s_or_b32 s26, s26, s30
	s_and_not1_b32 exec_lo, exec_lo, s25
	s_cbranch_execz .LBB1483_354
.LBB1483_352:                           ; =>This Inner Loop Header: Depth=1
	global_load_b32 v30, v[8:9], off
	global_load_b32 v31, v[26:27], off
	s_and_not1_b32 s28, s28, exec_lo
	s_or_b32 s27, s27, exec_lo
	s_wait_loadcnt 0x0
	v_cmp_le_u32_e32 vcc_lo, v30, v31
	v_cmp_lt_u32_e64 s0, v30, v31
	s_and_b32 s30, vcc_lo, s29
	s_delay_alu instid0(SALU_CYCLE_1) | instskip(NEXT) | instid1(SALU_CYCLE_1)
	s_or_b32 s0, s0, s30
	s_and_b32 s30, s0, exec_lo
	s_delay_alu instid0(SALU_CYCLE_1)
	s_or_b32 s28, s28, s30
	s_mov_b32 s30, exec_lo
	v_cmpx_eq_u32_e64 v30, v31
	s_cbranch_execz .LBB1483_351
; %bb.353:                              ;   in Loop: Header=BB1483_352 Depth=1
	s_add_nc_u64 s[6:7], s[6:7], -1
	v_add_nc_u64_e32 v[8:9], 4, v[8:9]
	s_cmp_eq_u64 s[6:7], 0
	v_add_nc_u64_e32 v[26:27], 4, v[26:27]
	s_cselect_b32 s29, -1, 0
	s_and_not1_b32 s27, s27, exec_lo
	s_and_b32 s29, s29, exec_lo
	s_and_not1_b32 s28, s28, exec_lo
	s_or_b32 s27, s27, s29
                                        ; implicit-def: $sgpr29
	s_branch .LBB1483_351
.LBB1483_354:
	s_or_b32 exec_lo, exec_lo, s25
	s_xor_b32 s0, s26, -1
	s_branch .LBB1483_356
.LBB1483_355:
	s_mov_b32 s0, -1
.LBB1483_356:
	s_delay_alu instid0(SALU_CYCLE_1)
	s_and_b32 s0, s0, exec_lo
.LBB1483_357:
	s_or_b32 exec_lo, exec_lo, s23
	s_delay_alu instid0(SALU_CYCLE_1)
	s_or_not1_b32 s23, s0, exec_lo
.LBB1483_358:
	s_or_b32 exec_lo, exec_lo, s24
	v_dual_cndmask_b32 v8, v28, v29, s23 :: v_dual_cndmask_b32 v9, v51, v50, s23
	s_mov_b32 s24, -1
	s_mov_b32 s25, -1
	s_mov_b32 s26, exec_lo
	s_delay_alu instid0(VALU_DEP_1) | instskip(NEXT) | instid1(VALU_DEP_1)
	v_add_nc_u32_e32 v8, 1, v8
	v_add_min_u32_e64 v9, v9, -1, v8
	s_delay_alu instid0(VALU_DEP_1)
	v_lshl_add_u32 v9, v9, 3, v46
	ds_load_b64 v[26:27], v9
	s_wait_dscnt 0x0
	v_dual_cndmask_b32 v9, v27, v7, s23 :: v_dual_cndmask_b32 v32, v8, v28, s23
	v_dual_cndmask_b32 v33, v29, v8, s23 :: v_dual_cndmask_b32 v8, v26, v6, s23
	;; [unrolled: 1-line block ×3, first 2 shown]
	s_delay_alu instid0(VALU_DEP_3)
	v_cmpx_lt_u32_e64 v32, v51
	s_cbranch_execz .LBB1483_369
; %bb.359:
	s_mov_b32 s0, 0
	s_mov_b32 s25, exec_lo
	v_cmpx_lt_u32_e64 v33, v50
	s_cbranch_execz .LBB1483_368
; %bb.360:
	v_cmp_ne_u32_e32 vcc_lo, 1, v45
	s_cbranch_vccnz .LBB1483_366
; %bb.361:
	v_mul_u64_e32 v[28:29], s[16:17], v[8:9]
	v_mul_u64_e32 v[30:31], s[16:17], v[26:27]
	s_mov_b32 s27, 0
	s_mov_b64 s[6:7], s[16:17]
                                        ; implicit-def: $sgpr28
                                        ; implicit-def: $sgpr29
                                        ; implicit-def: $sgpr30
                                        ; implicit-def: $sgpr31
	s_delay_alu instid0(VALU_DEP_2) | instskip(NEXT) | instid1(VALU_DEP_2)
	v_lshl_add_u64 v[28:29], v[28:29], 2, s[18:19]
	v_lshl_add_u64 v[30:31], v[30:31], 2, s[18:19]
	s_branch .LBB1483_363
.LBB1483_362:                           ;   in Loop: Header=BB1483_363 Depth=1
	s_or_b32 exec_lo, exec_lo, s33
	s_delay_alu instid0(SALU_CYCLE_1) | instskip(NEXT) | instid1(SALU_CYCLE_1)
	s_and_b32 s33, exec_lo, s29
	s_or_b32 s27, s33, s27
	s_and_not1_b32 s31, s31, exec_lo
	s_and_b32 s0, s0, exec_lo
	s_and_not1_b32 s28, s28, exec_lo
	s_and_b32 s33, s30, exec_lo
	s_or_b32 s31, s31, s0
	s_or_b32 s28, s28, s33
	s_and_not1_b32 exec_lo, exec_lo, s27
	s_cbranch_execz .LBB1483_365
.LBB1483_363:                           ; =>This Inner Loop Header: Depth=1
	global_load_b32 v34, v[28:29], off
	global_load_b32 v35, v[30:31], off
	s_and_not1_b32 s30, s30, exec_lo
	s_or_b32 s29, s29, exec_lo
	s_wait_loadcnt 0x0
	v_cmp_le_u32_e32 vcc_lo, v34, v35
	v_cmp_lt_u32_e64 s0, v34, v35
	s_and_b32 s33, vcc_lo, s31
	s_delay_alu instid0(SALU_CYCLE_1) | instskip(NEXT) | instid1(SALU_CYCLE_1)
	s_or_b32 s0, s0, s33
	s_and_b32 s33, s0, exec_lo
	s_delay_alu instid0(SALU_CYCLE_1)
	s_or_b32 s30, s30, s33
	s_mov_b32 s33, exec_lo
	v_cmpx_eq_u32_e64 v34, v35
	s_cbranch_execz .LBB1483_362
; %bb.364:                              ;   in Loop: Header=BB1483_363 Depth=1
	s_add_nc_u64 s[6:7], s[6:7], -1
	v_add_nc_u64_e32 v[28:29], 4, v[28:29]
	s_cmp_eq_u64 s[6:7], 0
	v_add_nc_u64_e32 v[30:31], 4, v[30:31]
	s_cselect_b32 s31, -1, 0
	s_and_not1_b32 s29, s29, exec_lo
	s_and_b32 s31, s31, exec_lo
	s_and_not1_b32 s30, s30, exec_lo
	s_or_b32 s29, s29, s31
                                        ; implicit-def: $sgpr31
	s_branch .LBB1483_362
.LBB1483_365:
	s_or_b32 exec_lo, exec_lo, s27
	s_xor_b32 s0, s28, -1
	s_branch .LBB1483_367
.LBB1483_366:
	s_mov_b32 s0, -1
.LBB1483_367:
	s_delay_alu instid0(SALU_CYCLE_1)
	s_and_b32 s0, s0, exec_lo
.LBB1483_368:
	s_or_b32 exec_lo, exec_lo, s25
	s_delay_alu instid0(SALU_CYCLE_1)
	s_or_not1_b32 s25, s0, exec_lo
.LBB1483_369:
	s_or_b32 exec_lo, exec_lo, s26
	v_dual_cndmask_b32 v28, v32, v33, s25 :: v_dual_cndmask_b32 v29, v51, v50, s25
	s_mov_b32 s26, exec_lo
	s_delay_alu instid0(VALU_DEP_1) | instskip(NEXT) | instid1(VALU_DEP_1)
	v_add_nc_u32_e32 v28, 1, v28
	v_add_min_u32_e64 v29, v29, -1, v28
	s_delay_alu instid0(VALU_DEP_1)
	v_lshl_add_u32 v29, v29, 3, v46
	ds_load_b64 v[30:31], v29
	s_wait_dscnt 0x0
	v_dual_cndmask_b32 v29, v31, v9, s25 :: v_dual_cndmask_b32 v53, v28, v32, s25
	v_dual_cndmask_b32 v31, v27, v31, s25 :: v_dual_cndmask_b32 v52, v33, v28, s25
	v_cndmask_b32_e64 v28, v30, v8, s25
	v_cndmask_b32_e64 v30, v26, v30, s25
	s_delay_alu instid0(VALU_DEP_4)
	v_cmpx_lt_u32_e64 v53, v51
	s_cbranch_execz .LBB1483_380
; %bb.370:
	s_mov_b32 s0, 0
	s_mov_b32 s24, exec_lo
	v_cmpx_lt_u32_e64 v52, v50
	s_cbranch_execz .LBB1483_379
; %bb.371:
	v_cmp_ne_u32_e32 vcc_lo, 1, v45
	s_cbranch_vccnz .LBB1483_377
; %bb.372:
	v_mul_u64_e32 v[32:33], s[16:17], v[28:29]
	v_mul_u64_e32 v[34:35], s[16:17], v[30:31]
	s_mov_b32 s27, 0
	s_mov_b64 s[6:7], s[16:17]
                                        ; implicit-def: $sgpr28
                                        ; implicit-def: $sgpr29
                                        ; implicit-def: $sgpr30
                                        ; implicit-def: $sgpr31
	s_delay_alu instid0(VALU_DEP_2) | instskip(NEXT) | instid1(VALU_DEP_2)
	v_lshl_add_u64 v[32:33], v[32:33], 2, s[18:19]
	v_lshl_add_u64 v[34:35], v[34:35], 2, s[18:19]
	s_branch .LBB1483_374
.LBB1483_373:                           ;   in Loop: Header=BB1483_374 Depth=1
	s_or_b32 exec_lo, exec_lo, s33
	s_delay_alu instid0(SALU_CYCLE_1) | instskip(NEXT) | instid1(SALU_CYCLE_1)
	s_and_b32 s33, exec_lo, s29
	s_or_b32 s27, s33, s27
	s_and_not1_b32 s31, s31, exec_lo
	s_and_b32 s0, s0, exec_lo
	s_and_not1_b32 s28, s28, exec_lo
	s_and_b32 s33, s30, exec_lo
	s_or_b32 s31, s31, s0
	s_or_b32 s28, s28, s33
	s_and_not1_b32 exec_lo, exec_lo, s27
	s_cbranch_execz .LBB1483_376
.LBB1483_374:                           ; =>This Inner Loop Header: Depth=1
	global_load_b32 v54, v[32:33], off
	global_load_b32 v55, v[34:35], off
	s_and_not1_b32 s30, s30, exec_lo
	s_or_b32 s29, s29, exec_lo
	s_wait_loadcnt 0x0
	v_cmp_le_u32_e32 vcc_lo, v54, v55
	v_cmp_lt_u32_e64 s0, v54, v55
	s_and_b32 s33, vcc_lo, s31
	s_delay_alu instid0(SALU_CYCLE_1) | instskip(NEXT) | instid1(SALU_CYCLE_1)
	s_or_b32 s0, s0, s33
	s_and_b32 s33, s0, exec_lo
	s_delay_alu instid0(SALU_CYCLE_1)
	s_or_b32 s30, s30, s33
	s_mov_b32 s33, exec_lo
	v_cmpx_eq_u32_e64 v54, v55
	s_cbranch_execz .LBB1483_373
; %bb.375:                              ;   in Loop: Header=BB1483_374 Depth=1
	s_add_nc_u64 s[6:7], s[6:7], -1
	v_add_nc_u64_e32 v[32:33], 4, v[32:33]
	s_cmp_eq_u64 s[6:7], 0
	v_add_nc_u64_e32 v[34:35], 4, v[34:35]
	s_cselect_b32 s31, -1, 0
	s_and_not1_b32 s29, s29, exec_lo
	s_and_b32 s31, s31, exec_lo
	s_and_not1_b32 s30, s30, exec_lo
	s_or_b32 s29, s29, s31
                                        ; implicit-def: $sgpr31
	s_branch .LBB1483_373
.LBB1483_376:
	s_or_b32 exec_lo, exec_lo, s27
	s_xor_b32 s0, s28, -1
	s_branch .LBB1483_378
.LBB1483_377:
	s_mov_b32 s0, -1
.LBB1483_378:
	s_delay_alu instid0(SALU_CYCLE_1)
	s_and_b32 s0, s0, exec_lo
.LBB1483_379:
	s_or_b32 exec_lo, exec_lo, s24
	s_delay_alu instid0(SALU_CYCLE_1)
	s_or_not1_b32 s24, s0, exec_lo
.LBB1483_380:
	s_or_b32 exec_lo, exec_lo, s26
	v_dual_cndmask_b32 v32, v53, v52, s24 :: v_dual_cndmask_b32 v33, v51, v50, s24
	v_dual_cndmask_b32 v8, v8, v26, s25 :: v_dual_cndmask_b32 v7, v7, v25, s23
	;; [unrolled: 1-line block ×3, first 2 shown]
	s_delay_alu instid0(VALU_DEP_3) | instskip(SKIP_2) | instid1(VALU_DEP_3)
	v_dual_add_nc_u32 v34, 1, v32 :: v_dual_cndmask_b32 v9, v9, v27, s25
	v_dual_cndmask_b32 v12, v12, v22, s22 :: v_dual_cndmask_b32 v11, v11, v21, s15
	v_dual_cndmask_b32 v10, v10, v20, s15 :: v_dual_cndmask_b32 v17, v15, v17, s14
	v_add_min_u32_e64 v32, v33, -1, v34
	v_dual_cndmask_b32 v16, v14, v16, s14 :: v_dual_cndmask_b32 v15, v5, v3, s5
	v_dual_cndmask_b32 v14, v4, v2, s5 :: v_dual_cndmask_b32 v20, v34, v53, s24
	s_delay_alu instid0(VALU_DEP_3)
	v_lshl_add_u32 v32, v32, 3, v46
	v_dual_cndmask_b32 v3, v29, v31, s24 :: v_dual_cndmask_b32 v2, v28, v30, s24
	s_mov_b32 s5, exec_lo
	ds_load_b64 v[32:33], v32
	s_wait_dscnt 0x0
	v_dual_cndmask_b32 v5, v31, v33, s24 :: v_dual_cndmask_b32 v4, v30, v32, s24
	v_cmpx_lt_u32_e64 v20, v51
	s_cbranch_execz .LBB1483_390
; %bb.381:
	v_dual_cndmask_b32 v22, v52, v34, s24 :: v_dual_cndmask_b32 v21, v33, v29, s24
	v_cndmask_b32_e64 v20, v32, v28, s24
	s_mov_b32 s14, exec_lo
	s_delay_alu instid0(VALU_DEP_2)
	v_cmpx_lt_u32_e64 v22, v50
	s_cbranch_execz .LBB1483_389
; %bb.382:
	v_cmp_ne_u32_e32 vcc_lo, 1, v45
	s_cbranch_vccnz .LBB1483_388
; %bb.383:
	v_mul_u64_e32 v[22:23], s[16:17], v[20:21]
	v_mul_u64_e32 v[24:25], s[16:17], v[4:5]
	s_mov_b32 s15, 0
	s_mov_b64 s[6:7], s[16:17]
                                        ; implicit-def: $sgpr22
                                        ; implicit-def: $sgpr23
                                        ; implicit-def: $sgpr24
                                        ; implicit-def: $sgpr25
	s_delay_alu instid0(VALU_DEP_2) | instskip(NEXT) | instid1(VALU_DEP_2)
	v_lshl_add_u64 v[22:23], v[22:23], 2, s[18:19]
	v_lshl_add_u64 v[24:25], v[24:25], 2, s[18:19]
	s_branch .LBB1483_385
.LBB1483_384:                           ;   in Loop: Header=BB1483_385 Depth=1
	s_or_b32 exec_lo, exec_lo, s26
	s_delay_alu instid0(SALU_CYCLE_1) | instskip(NEXT) | instid1(SALU_CYCLE_1)
	s_and_b32 s26, exec_lo, s23
	s_or_b32 s15, s26, s15
	s_and_not1_b32 s25, s25, exec_lo
	s_and_b32 s0, s0, exec_lo
	s_and_not1_b32 s22, s22, exec_lo
	s_and_b32 s26, s24, exec_lo
	s_or_b32 s25, s25, s0
	s_or_b32 s22, s22, s26
	s_and_not1_b32 exec_lo, exec_lo, s15
	s_cbranch_execz .LBB1483_387
.LBB1483_385:                           ; =>This Inner Loop Header: Depth=1
	global_load_b32 v26, v[22:23], off
	global_load_b32 v27, v[24:25], off
	s_and_not1_b32 s24, s24, exec_lo
	s_or_b32 s23, s23, exec_lo
	s_wait_loadcnt 0x0
	v_cmp_le_u32_e32 vcc_lo, v26, v27
	v_cmp_lt_u32_e64 s0, v26, v27
	s_and_b32 s26, vcc_lo, s25
	s_delay_alu instid0(SALU_CYCLE_1) | instskip(NEXT) | instid1(SALU_CYCLE_1)
	s_or_b32 s0, s0, s26
	s_and_b32 s26, s0, exec_lo
	s_delay_alu instid0(SALU_CYCLE_1)
	s_or_b32 s24, s24, s26
	s_mov_b32 s26, exec_lo
	v_cmpx_eq_u32_e64 v26, v27
	s_cbranch_execz .LBB1483_384
; %bb.386:                              ;   in Loop: Header=BB1483_385 Depth=1
	s_add_nc_u64 s[6:7], s[6:7], -1
	v_add_nc_u64_e32 v[22:23], 4, v[22:23]
	s_cmp_eq_u64 s[6:7], 0
	v_add_nc_u64_e32 v[24:25], 4, v[24:25]
	s_cselect_b32 s25, -1, 0
	s_and_not1_b32 s23, s23, exec_lo
	s_and_b32 s25, s25, exec_lo
	s_and_not1_b32 s24, s24, exec_lo
	s_or_b32 s23, s23, s25
                                        ; implicit-def: $sgpr25
	s_branch .LBB1483_384
.LBB1483_387:
	s_or_b32 exec_lo, exec_lo, s15
	v_dual_cndmask_b32 v5, v5, v21, s22 :: v_dual_cndmask_b32 v4, v4, v20, s22
.LBB1483_388:
	s_delay_alu instid0(VALU_DEP_1)
	v_mov_b64_e32 v[20:21], v[4:5]
.LBB1483_389:
	s_or_b32 exec_lo, exec_lo, s14
	s_delay_alu instid0(VALU_DEP_1)
	v_mov_b64_e32 v[4:5], v[20:21]
.LBB1483_390:
	s_or_b32 exec_lo, exec_lo, s5
.LBB1483_391:
	s_delay_alu instid0(SALU_CYCLE_1)
	s_or_b32 exec_lo, exec_lo, s1
	v_and_b32_e32 v26, 0xc0, v48
	s_mov_b32 s1, exec_lo
	; wave barrier
	ds_store_b128 v49, v[14:17]
	ds_store_b128 v49, v[10:13] offset:16
	v_or_b32_e32 v20, 32, v26
	v_lshl_add_u32 v25, v26, 3, v46
	ds_store_b128 v49, v[6:9] offset:32
	ds_store_b128 v49, v[2:5] offset:48
	; wave barrier
	v_min_u32_e32 v50, v47, v20
	v_and_b32_e32 v20, 56, v48
	s_delay_alu instid0(VALU_DEP_2) | instskip(NEXT) | instid1(VALU_DEP_2)
	v_add_min_u32_e64 v51, v50, 32, v47
	v_min_u32_e32 v27, v47, v20
	v_sub_nc_u32_e32 v21, v50, v26
	s_delay_alu instid0(VALU_DEP_3) | instskip(NEXT) | instid1(VALU_DEP_2)
	v_sub_nc_u32_e32 v20, v51, v50
	v_min_u32_e32 v28, v27, v21
	s_delay_alu instid0(VALU_DEP_2) | instskip(NEXT) | instid1(VALU_DEP_1)
	v_sub_nc_u32_e64 v24, v27, v20 clamp
	v_cmpx_lt_u32_e64 v24, v28
	s_cbranch_execz .LBB1483_401
; %bb.392:
	v_dual_lshlrev_b32 v20, 3, v50 :: v_dual_lshlrev_b32 v21, 3, v27
	s_lshl_b64 s[6:7], s[16:17], 2
	s_mov_b32 s5, 0
	s_delay_alu instid0(VALU_DEP_1)
	v_add3_u32 v29, v46, v20, v21
	s_branch .LBB1483_395
.LBB1483_393:                           ;   in Loop: Header=BB1483_395 Depth=1
	s_or_b32 exec_lo, exec_lo, s23
.LBB1483_394:                           ;   in Loop: Header=BB1483_395 Depth=1
	s_delay_alu instid0(VALU_DEP_1) | instskip(NEXT) | instid1(VALU_DEP_1)
	v_dual_add_nc_u32 v20, 1, v30 :: v_dual_cndmask_b32 v28, v28, v30, s22
	v_cndmask_b32_e64 v24, v20, v24, s22
	s_delay_alu instid0(VALU_DEP_1) | instskip(SKIP_1) | instid1(SALU_CYCLE_1)
	v_cmp_ge_u32_e32 vcc_lo, v24, v28
	s_or_b32 s5, vcc_lo, s5
	s_and_not1_b32 exec_lo, exec_lo, s5
	s_cbranch_execz .LBB1483_400
.LBB1483_395:                           ; =>This Loop Header: Depth=1
                                        ;     Child Loop BB1483_398 Depth 2
	v_add_nc_u32_e32 v20, v28, v24
	v_cmp_ne_u32_e32 vcc_lo, 1, v45
	s_mov_b32 s22, 0
	s_delay_alu instid0(VALU_DEP_2)
	v_lshrrev_b32_e32 v30, 1, v20
	s_cbranch_vccnz .LBB1483_394
; %bb.396:                              ;   in Loop: Header=BB1483_395 Depth=1
	s_delay_alu instid0(VALU_DEP_1) | instskip(SKIP_3) | instid1(VALU_DEP_2)
	v_not_b32_e32 v20, v30
	v_lshl_add_u32 v21, v30, 3, v25
	s_mov_b32 s23, 0
	s_mov_b64 s[14:15], s[16:17]
                                        ; implicit-def: $sgpr22
                                        ; implicit-def: $sgpr24
                                        ; implicit-def: $sgpr25
                                        ; implicit-def: $sgpr26
	v_lshl_add_u32 v20, v20, 3, v29
	ds_load_b64 v[32:33], v20
	ds_load_b64 v[34:35], v21
	s_wait_dscnt 0x1
	v_mad_nc_u64_u32 v[20:21], s6, v32, s[18:19]
	s_wait_dscnt 0x0
	v_mad_nc_u64_u32 v[22:23], s6, v34, s[18:19]
	s_delay_alu instid0(VALU_DEP_2) | instskip(NEXT) | instid1(VALU_DEP_2)
	v_mad_u32 v21, s7, v32, v21
	v_mad_u32 v23, s7, v34, v23
	s_delay_alu instid0(VALU_DEP_2) | instskip(NEXT) | instid1(VALU_DEP_2)
	v_mad_u32 v21, s6, v33, v21
	v_mad_u32 v23, s6, v35, v23
	s_branch .LBB1483_398
.LBB1483_397:                           ;   in Loop: Header=BB1483_398 Depth=2
	s_or_b32 exec_lo, exec_lo, s27
	s_delay_alu instid0(SALU_CYCLE_1) | instskip(NEXT) | instid1(SALU_CYCLE_1)
	s_and_b32 s27, exec_lo, s24
	s_or_b32 s23, s27, s23
	s_and_not1_b32 s26, s26, exec_lo
	s_and_b32 s0, s0, exec_lo
	s_and_not1_b32 s22, s22, exec_lo
	s_and_b32 s27, s25, exec_lo
	s_or_b32 s26, s26, s0
	s_or_b32 s22, s22, s27
	s_and_not1_b32 exec_lo, exec_lo, s23
	s_cbranch_execz .LBB1483_393
.LBB1483_398:                           ;   Parent Loop BB1483_395 Depth=1
                                        ; =>  This Inner Loop Header: Depth=2
	global_load_b32 v31, v[20:21], off
	global_load_b32 v32, v[22:23], off
	s_and_not1_b32 s25, s25, exec_lo
	s_or_b32 s24, s24, exec_lo
	s_wait_loadcnt 0x0
	v_cmp_le_u32_e32 vcc_lo, v31, v32
	v_cmp_lt_u32_e64 s0, v31, v32
	s_and_b32 s27, vcc_lo, s26
	s_delay_alu instid0(SALU_CYCLE_1) | instskip(NEXT) | instid1(SALU_CYCLE_1)
	s_or_b32 s0, s0, s27
	s_and_b32 s27, s0, exec_lo
	s_delay_alu instid0(SALU_CYCLE_1)
	s_or_b32 s25, s25, s27
	s_mov_b32 s27, exec_lo
	v_cmpx_eq_u32_e64 v31, v32
	s_cbranch_execz .LBB1483_397
; %bb.399:                              ;   in Loop: Header=BB1483_398 Depth=2
	s_add_nc_u64 s[14:15], s[14:15], -1
	v_add_nc_u64_e32 v[20:21], 4, v[20:21]
	s_cmp_eq_u64 s[14:15], 0
	v_add_nc_u64_e32 v[22:23], 4, v[22:23]
	s_cselect_b32 s26, -1, 0
	s_and_not1_b32 s24, s24, exec_lo
	s_and_b32 s26, s26, exec_lo
	s_and_not1_b32 s25, s25, exec_lo
	s_or_b32 s24, s24, s26
                                        ; implicit-def: $sgpr26
	s_branch .LBB1483_397
.LBB1483_400:
	s_or_b32 exec_lo, exec_lo, s5
.LBB1483_401:
	s_delay_alu instid0(SALU_CYCLE_1) | instskip(SKIP_1) | instid1(VALU_DEP_1)
	s_or_b32 exec_lo, exec_lo, s1
	v_dual_add_nc_u32 v21, v50, v27 :: v_dual_add_nc_u32 v20, v24, v26
	v_sub_nc_u32_e32 v21, v21, v24
	s_delay_alu instid0(VALU_DEP_2) | instskip(NEXT) | instid1(VALU_DEP_2)
	v_cmp_le_u32_e32 vcc_lo, v20, v50
	v_cmp_le_u32_e64 s0, v21, v51
	s_or_b32 s0, vcc_lo, s0
	s_delay_alu instid0(SALU_CYCLE_1)
	s_and_saveexec_b32 s1, s0
	s_cbranch_execz .LBB1483_492
; %bb.402:
	s_mov_b32 s5, exec_lo
	v_cmp_ge_u32_e32 vcc_lo, v20, v50
                                        ; implicit-def: $vgpr2_vgpr3
	v_cmpx_lt_u32_e64 v20, v50
; %bb.403:
	v_lshl_add_u32 v2, v24, 3, v25
	ds_load_b64 v[2:3], v2
; %bb.404:
	s_or_b32 exec_lo, exec_lo, s5
	v_cmp_ge_u32_e64 s5, v21, v51
	s_mov_b32 s6, exec_lo
                                        ; implicit-def: $vgpr4_vgpr5
	v_cmpx_lt_u32_e64 v21, v51
; %bb.405:
	v_lshl_add_u32 v4, v21, 3, v46
	ds_load_b64 v[4:5], v4
; %bb.406:
	s_or_b32 exec_lo, exec_lo, s6
	s_nor_b32 s0, vcc_lo, s5
	s_delay_alu instid0(SALU_CYCLE_1)
	s_and_saveexec_b32 s14, s0
	s_cbranch_execz .LBB1483_415
; %bb.407:
	v_cmp_ne_u32_e32 vcc_lo, 1, v45
	s_cbranch_vccnz .LBB1483_413
; %bb.408:
	s_wait_dscnt 0x0
	v_mul_u64_e32 v[6:7], s[16:17], v[4:5]
	v_mul_u64_e32 v[8:9], s[16:17], v[2:3]
	s_mov_b32 s15, 0
	s_mov_b64 s[6:7], s[16:17]
                                        ; implicit-def: $sgpr22
                                        ; implicit-def: $sgpr23
                                        ; implicit-def: $sgpr24
                                        ; implicit-def: $sgpr25
	s_delay_alu instid0(VALU_DEP_2) | instskip(NEXT) | instid1(VALU_DEP_2)
	v_lshl_add_u64 v[6:7], v[6:7], 2, s[18:19]
	v_lshl_add_u64 v[8:9], v[8:9], 2, s[18:19]
	s_branch .LBB1483_410
.LBB1483_409:                           ;   in Loop: Header=BB1483_410 Depth=1
	s_or_b32 exec_lo, exec_lo, s26
	s_delay_alu instid0(SALU_CYCLE_1) | instskip(NEXT) | instid1(SALU_CYCLE_1)
	s_and_b32 s26, exec_lo, s23
	s_or_b32 s15, s26, s15
	s_and_not1_b32 s25, s25, exec_lo
	s_and_b32 s0, s0, exec_lo
	s_and_not1_b32 s22, s22, exec_lo
	s_and_b32 s26, s24, exec_lo
	s_or_b32 s25, s25, s0
	s_or_b32 s22, s22, s26
	s_and_not1_b32 exec_lo, exec_lo, s15
	s_cbranch_execz .LBB1483_412
.LBB1483_410:                           ; =>This Inner Loop Header: Depth=1
	global_load_b32 v10, v[6:7], off
	global_load_b32 v11, v[8:9], off
	s_and_not1_b32 s24, s24, exec_lo
	s_or_b32 s23, s23, exec_lo
	s_wait_loadcnt 0x0
	v_cmp_le_u32_e32 vcc_lo, v10, v11
	v_cmp_lt_u32_e64 s0, v10, v11
	s_and_b32 s26, vcc_lo, s25
	s_delay_alu instid0(SALU_CYCLE_1) | instskip(NEXT) | instid1(SALU_CYCLE_1)
	s_or_b32 s0, s0, s26
	s_and_b32 s26, s0, exec_lo
	s_delay_alu instid0(SALU_CYCLE_1)
	s_or_b32 s24, s24, s26
	s_mov_b32 s26, exec_lo
	v_cmpx_eq_u32_e64 v10, v11
	s_cbranch_execz .LBB1483_409
; %bb.411:                              ;   in Loop: Header=BB1483_410 Depth=1
	s_add_nc_u64 s[6:7], s[6:7], -1
	v_add_nc_u64_e32 v[6:7], 4, v[6:7]
	s_cmp_eq_u64 s[6:7], 0
	v_add_nc_u64_e32 v[8:9], 4, v[8:9]
	s_cselect_b32 s25, -1, 0
	s_and_not1_b32 s23, s23, exec_lo
	s_and_b32 s25, s25, exec_lo
	s_and_not1_b32 s24, s24, exec_lo
	s_or_b32 s23, s23, s25
                                        ; implicit-def: $sgpr25
	s_branch .LBB1483_409
.LBB1483_412:
	s_or_b32 exec_lo, exec_lo, s15
	s_xor_b32 s0, s22, -1
	s_branch .LBB1483_414
.LBB1483_413:
	s_mov_b32 s0, -1
.LBB1483_414:
	s_and_not1_b32 s5, s5, exec_lo
	s_and_b32 s0, s0, exec_lo
	s_delay_alu instid0(SALU_CYCLE_1)
	s_or_b32 s5, s5, s0
.LBB1483_415:
	s_or_b32 exec_lo, exec_lo, s14
	v_dual_cndmask_b32 v6, v21, v20, s5 :: v_dual_cndmask_b32 v7, v51, v50, s5
	s_mov_b32 s15, -1
	s_mov_b32 s14, -1
	s_mov_b32 s22, exec_lo
	s_delay_alu instid0(VALU_DEP_1) | instskip(NEXT) | instid1(VALU_DEP_1)
	v_add_nc_u32_e32 v8, 1, v6
	v_add_min_u32_e64 v6, v7, -1, v8
	s_delay_alu instid0(VALU_DEP_1)
	v_lshl_add_u32 v6, v6, 3, v46
	ds_load_b64 v[6:7], v6
	s_wait_dscnt 0x0
	v_cndmask_b32_e64 v15, v7, v5, s5
	v_dual_cndmask_b32 v10, v8, v21, s5 :: v_dual_cndmask_b32 v14, v6, v4, s5
	v_dual_cndmask_b32 v11, v20, v8, s5 :: v_dual_cndmask_b32 v17, v3, v7, s5
	v_cndmask_b32_e64 v16, v2, v6, s5
	s_delay_alu instid0(VALU_DEP_3)
	v_cmpx_lt_u32_e64 v10, v51
	s_cbranch_execz .LBB1483_426
; %bb.416:
	s_mov_b32 s0, 0
	s_mov_b32 s14, exec_lo
	v_cmpx_lt_u32_e64 v11, v50
	s_cbranch_execz .LBB1483_425
; %bb.417:
	v_cmp_ne_u32_e32 vcc_lo, 1, v45
	s_cbranch_vccnz .LBB1483_423
; %bb.418:
	v_mul_u64_e32 v[6:7], s[16:17], v[14:15]
	v_mul_u64_e32 v[8:9], s[16:17], v[16:17]
	s_mov_b32 s23, 0
	s_mov_b64 s[6:7], s[16:17]
                                        ; implicit-def: $sgpr24
                                        ; implicit-def: $sgpr25
                                        ; implicit-def: $sgpr26
                                        ; implicit-def: $sgpr27
	s_delay_alu instid0(VALU_DEP_2) | instskip(NEXT) | instid1(VALU_DEP_2)
	v_lshl_add_u64 v[6:7], v[6:7], 2, s[18:19]
	v_lshl_add_u64 v[8:9], v[8:9], 2, s[18:19]
	s_branch .LBB1483_420
.LBB1483_419:                           ;   in Loop: Header=BB1483_420 Depth=1
	s_or_b32 exec_lo, exec_lo, s28
	s_delay_alu instid0(SALU_CYCLE_1) | instskip(NEXT) | instid1(SALU_CYCLE_1)
	s_and_b32 s28, exec_lo, s25
	s_or_b32 s23, s28, s23
	s_and_not1_b32 s27, s27, exec_lo
	s_and_b32 s0, s0, exec_lo
	s_and_not1_b32 s24, s24, exec_lo
	s_and_b32 s28, s26, exec_lo
	s_or_b32 s27, s27, s0
	s_or_b32 s24, s24, s28
	s_and_not1_b32 exec_lo, exec_lo, s23
	s_cbranch_execz .LBB1483_422
.LBB1483_420:                           ; =>This Inner Loop Header: Depth=1
	global_load_b32 v12, v[6:7], off
	global_load_b32 v13, v[8:9], off
	s_and_not1_b32 s26, s26, exec_lo
	s_or_b32 s25, s25, exec_lo
	s_wait_loadcnt 0x0
	v_cmp_le_u32_e32 vcc_lo, v12, v13
	v_cmp_lt_u32_e64 s0, v12, v13
	s_and_b32 s28, vcc_lo, s27
	s_delay_alu instid0(SALU_CYCLE_1) | instskip(NEXT) | instid1(SALU_CYCLE_1)
	s_or_b32 s0, s0, s28
	s_and_b32 s28, s0, exec_lo
	s_delay_alu instid0(SALU_CYCLE_1)
	s_or_b32 s26, s26, s28
	s_mov_b32 s28, exec_lo
	v_cmpx_eq_u32_e64 v12, v13
	s_cbranch_execz .LBB1483_419
; %bb.421:                              ;   in Loop: Header=BB1483_420 Depth=1
	s_add_nc_u64 s[6:7], s[6:7], -1
	v_add_nc_u64_e32 v[6:7], 4, v[6:7]
	s_cmp_eq_u64 s[6:7], 0
	v_add_nc_u64_e32 v[8:9], 4, v[8:9]
	s_cselect_b32 s27, -1, 0
	s_and_not1_b32 s25, s25, exec_lo
	s_and_b32 s27, s27, exec_lo
	s_and_not1_b32 s26, s26, exec_lo
	s_or_b32 s25, s25, s27
                                        ; implicit-def: $sgpr27
	s_branch .LBB1483_419
.LBB1483_422:
	s_or_b32 exec_lo, exec_lo, s23
	s_xor_b32 s0, s24, -1
	s_branch .LBB1483_424
.LBB1483_423:
	s_mov_b32 s0, -1
.LBB1483_424:
	s_delay_alu instid0(SALU_CYCLE_1)
	s_and_b32 s0, s0, exec_lo
.LBB1483_425:
	s_or_b32 exec_lo, exec_lo, s14
	s_delay_alu instid0(SALU_CYCLE_1)
	s_or_not1_b32 s14, s0, exec_lo
.LBB1483_426:
	s_or_b32 exec_lo, exec_lo, s22
	v_dual_cndmask_b32 v6, v10, v11, s14 :: v_dual_cndmask_b32 v7, v51, v50, s14
	s_mov_b32 s22, exec_lo
	s_delay_alu instid0(VALU_DEP_1) | instskip(NEXT) | instid1(VALU_DEP_1)
	v_add_nc_u32_e32 v8, 1, v6
	v_add_min_u32_e64 v6, v7, -1, v8
	s_delay_alu instid0(VALU_DEP_1)
	v_lshl_add_u32 v6, v6, 3, v46
	ds_load_b64 v[6:7], v6
	v_cndmask_b32_e64 v13, v11, v8, s14
	s_wait_dscnt 0x0
	v_dual_cndmask_b32 v11, v7, v15, s14 :: v_dual_cndmask_b32 v12, v8, v10, s14
	v_dual_cndmask_b32 v21, v17, v7, s14 :: v_dual_cndmask_b32 v10, v6, v14, s14
	v_cndmask_b32_e64 v20, v16, v6, s14
	s_delay_alu instid0(VALU_DEP_3)
	v_cmpx_lt_u32_e64 v12, v51
	s_cbranch_execz .LBB1483_437
; %bb.427:
	s_mov_b32 s0, 0
	s_mov_b32 s15, exec_lo
	v_cmpx_lt_u32_e64 v13, v50
	s_cbranch_execz .LBB1483_436
; %bb.428:
	v_cmp_ne_u32_e32 vcc_lo, 1, v45
	s_cbranch_vccnz .LBB1483_434
; %bb.429:
	v_mul_u64_e32 v[6:7], s[16:17], v[10:11]
	v_mul_u64_e32 v[8:9], s[16:17], v[20:21]
	s_mov_b32 s23, 0
	s_mov_b64 s[6:7], s[16:17]
                                        ; implicit-def: $sgpr24
                                        ; implicit-def: $sgpr25
                                        ; implicit-def: $sgpr26
                                        ; implicit-def: $sgpr27
	s_delay_alu instid0(VALU_DEP_2) | instskip(NEXT) | instid1(VALU_DEP_2)
	v_lshl_add_u64 v[6:7], v[6:7], 2, s[18:19]
	v_lshl_add_u64 v[8:9], v[8:9], 2, s[18:19]
	s_branch .LBB1483_431
.LBB1483_430:                           ;   in Loop: Header=BB1483_431 Depth=1
	s_or_b32 exec_lo, exec_lo, s28
	s_delay_alu instid0(SALU_CYCLE_1) | instskip(NEXT) | instid1(SALU_CYCLE_1)
	s_and_b32 s28, exec_lo, s25
	s_or_b32 s23, s28, s23
	s_and_not1_b32 s27, s27, exec_lo
	s_and_b32 s0, s0, exec_lo
	s_and_not1_b32 s24, s24, exec_lo
	s_and_b32 s28, s26, exec_lo
	s_or_b32 s27, s27, s0
	s_or_b32 s24, s24, s28
	s_and_not1_b32 exec_lo, exec_lo, s23
	s_cbranch_execz .LBB1483_433
.LBB1483_431:                           ; =>This Inner Loop Header: Depth=1
	global_load_b32 v22, v[6:7], off
	global_load_b32 v23, v[8:9], off
	s_and_not1_b32 s26, s26, exec_lo
	s_or_b32 s25, s25, exec_lo
	s_wait_loadcnt 0x0
	v_cmp_le_u32_e32 vcc_lo, v22, v23
	v_cmp_lt_u32_e64 s0, v22, v23
	s_and_b32 s28, vcc_lo, s27
	s_delay_alu instid0(SALU_CYCLE_1) | instskip(NEXT) | instid1(SALU_CYCLE_1)
	s_or_b32 s0, s0, s28
	s_and_b32 s28, s0, exec_lo
	s_delay_alu instid0(SALU_CYCLE_1)
	s_or_b32 s26, s26, s28
	s_mov_b32 s28, exec_lo
	v_cmpx_eq_u32_e64 v22, v23
	s_cbranch_execz .LBB1483_430
; %bb.432:                              ;   in Loop: Header=BB1483_431 Depth=1
	s_add_nc_u64 s[6:7], s[6:7], -1
	v_add_nc_u64_e32 v[6:7], 4, v[6:7]
	s_cmp_eq_u64 s[6:7], 0
	v_add_nc_u64_e32 v[8:9], 4, v[8:9]
	s_cselect_b32 s27, -1, 0
	s_and_not1_b32 s25, s25, exec_lo
	s_and_b32 s27, s27, exec_lo
	s_and_not1_b32 s26, s26, exec_lo
	s_or_b32 s25, s25, s27
                                        ; implicit-def: $sgpr27
	s_branch .LBB1483_430
.LBB1483_433:
	s_or_b32 exec_lo, exec_lo, s23
	s_xor_b32 s0, s24, -1
	s_branch .LBB1483_435
.LBB1483_434:
	s_mov_b32 s0, -1
.LBB1483_435:
	s_delay_alu instid0(SALU_CYCLE_1)
	s_and_b32 s0, s0, exec_lo
.LBB1483_436:
	s_or_b32 exec_lo, exec_lo, s15
	s_delay_alu instid0(SALU_CYCLE_1)
	s_or_not1_b32 s15, s0, exec_lo
.LBB1483_437:
	s_or_b32 exec_lo, exec_lo, s22
	v_dual_cndmask_b32 v6, v12, v13, s15 :: v_dual_cndmask_b32 v7, v51, v50, s15
	s_mov_b32 s23, -1
	s_mov_b32 s22, -1
	s_mov_b32 s24, exec_lo
	s_delay_alu instid0(VALU_DEP_1) | instskip(NEXT) | instid1(VALU_DEP_1)
	v_add_nc_u32_e32 v8, 1, v6
	v_add_min_u32_e64 v6, v7, -1, v8
	s_delay_alu instid0(VALU_DEP_1)
	v_lshl_add_u32 v6, v6, 3, v46
	ds_load_b64 v[6:7], v6
	s_wait_dscnt 0x0
	v_dual_cndmask_b32 v25, v13, v8, s15 :: v_dual_cndmask_b32 v22, v20, v6, s15
	v_dual_cndmask_b32 v13, v7, v11, s15 :: v_dual_cndmask_b32 v24, v8, v12, s15
	;; [unrolled: 1-line block ×3, first 2 shown]
	s_delay_alu instid0(VALU_DEP_2)
	v_cmpx_lt_u32_e64 v24, v51
	s_cbranch_execz .LBB1483_448
; %bb.438:
	s_mov_b32 s0, 0
	s_mov_b32 s22, exec_lo
	v_cmpx_lt_u32_e64 v25, v50
	s_cbranch_execz .LBB1483_447
; %bb.439:
	v_cmp_ne_u32_e32 vcc_lo, 1, v45
	s_cbranch_vccnz .LBB1483_445
; %bb.440:
	v_mul_u64_e32 v[6:7], s[16:17], v[12:13]
	v_mul_u64_e32 v[8:9], s[16:17], v[22:23]
	s_mov_b32 s25, 0
	s_mov_b64 s[6:7], s[16:17]
                                        ; implicit-def: $sgpr26
                                        ; implicit-def: $sgpr27
                                        ; implicit-def: $sgpr28
                                        ; implicit-def: $sgpr29
	s_delay_alu instid0(VALU_DEP_2) | instskip(NEXT) | instid1(VALU_DEP_2)
	v_lshl_add_u64 v[6:7], v[6:7], 2, s[18:19]
	v_lshl_add_u64 v[8:9], v[8:9], 2, s[18:19]
	s_branch .LBB1483_442
.LBB1483_441:                           ;   in Loop: Header=BB1483_442 Depth=1
	s_or_b32 exec_lo, exec_lo, s30
	s_delay_alu instid0(SALU_CYCLE_1) | instskip(NEXT) | instid1(SALU_CYCLE_1)
	s_and_b32 s30, exec_lo, s27
	s_or_b32 s25, s30, s25
	s_and_not1_b32 s29, s29, exec_lo
	s_and_b32 s0, s0, exec_lo
	s_and_not1_b32 s26, s26, exec_lo
	s_and_b32 s30, s28, exec_lo
	s_or_b32 s29, s29, s0
	s_or_b32 s26, s26, s30
	s_and_not1_b32 exec_lo, exec_lo, s25
	s_cbranch_execz .LBB1483_444
.LBB1483_442:                           ; =>This Inner Loop Header: Depth=1
	global_load_b32 v26, v[6:7], off
	global_load_b32 v27, v[8:9], off
	s_and_not1_b32 s28, s28, exec_lo
	s_or_b32 s27, s27, exec_lo
	s_wait_loadcnt 0x0
	v_cmp_le_u32_e32 vcc_lo, v26, v27
	v_cmp_lt_u32_e64 s0, v26, v27
	s_and_b32 s30, vcc_lo, s29
	s_delay_alu instid0(SALU_CYCLE_1) | instskip(NEXT) | instid1(SALU_CYCLE_1)
	s_or_b32 s0, s0, s30
	s_and_b32 s30, s0, exec_lo
	s_delay_alu instid0(SALU_CYCLE_1)
	s_or_b32 s28, s28, s30
	s_mov_b32 s30, exec_lo
	v_cmpx_eq_u32_e64 v26, v27
	s_cbranch_execz .LBB1483_441
; %bb.443:                              ;   in Loop: Header=BB1483_442 Depth=1
	s_add_nc_u64 s[6:7], s[6:7], -1
	v_add_nc_u64_e32 v[6:7], 4, v[6:7]
	s_cmp_eq_u64 s[6:7], 0
	v_add_nc_u64_e32 v[8:9], 4, v[8:9]
	s_cselect_b32 s29, -1, 0
	s_and_not1_b32 s27, s27, exec_lo
	s_and_b32 s29, s29, exec_lo
	s_and_not1_b32 s28, s28, exec_lo
	s_or_b32 s27, s27, s29
                                        ; implicit-def: $sgpr29
	s_branch .LBB1483_441
.LBB1483_444:
	s_or_b32 exec_lo, exec_lo, s25
	s_xor_b32 s0, s26, -1
	s_branch .LBB1483_446
.LBB1483_445:
	s_mov_b32 s0, -1
.LBB1483_446:
	s_delay_alu instid0(SALU_CYCLE_1)
	s_and_b32 s0, s0, exec_lo
.LBB1483_447:
	s_or_b32 exec_lo, exec_lo, s22
	s_delay_alu instid0(SALU_CYCLE_1)
	s_or_not1_b32 s22, s0, exec_lo
.LBB1483_448:
	s_or_b32 exec_lo, exec_lo, s24
	v_dual_cndmask_b32 v6, v24, v25, s22 :: v_dual_cndmask_b32 v7, v51, v50, s22
	s_mov_b32 s24, exec_lo
	s_delay_alu instid0(VALU_DEP_1) | instskip(NEXT) | instid1(VALU_DEP_1)
	v_add_nc_u32_e32 v6, 1, v6
	v_add_min_u32_e64 v7, v7, -1, v6
	s_delay_alu instid0(VALU_DEP_1)
	v_lshl_add_u32 v7, v7, 3, v46
	ds_load_b64 v[8:9], v7
	s_wait_dscnt 0x0
	v_dual_cndmask_b32 v7, v9, v13, s22 :: v_dual_cndmask_b32 v28, v6, v24, s22
	v_dual_cndmask_b32 v29, v25, v6, s22 :: v_dual_cndmask_b32 v6, v8, v12, s22
	;; [unrolled: 1-line block ×3, first 2 shown]
	s_delay_alu instid0(VALU_DEP_3)
	v_cmpx_lt_u32_e64 v28, v51
	s_cbranch_execz .LBB1483_459
; %bb.449:
	s_mov_b32 s0, 0
	s_mov_b32 s23, exec_lo
	v_cmpx_lt_u32_e64 v29, v50
	s_cbranch_execz .LBB1483_458
; %bb.450:
	v_cmp_ne_u32_e32 vcc_lo, 1, v45
	s_cbranch_vccnz .LBB1483_456
; %bb.451:
	v_mul_u64_e32 v[8:9], s[16:17], v[6:7]
	v_mul_u64_e32 v[26:27], s[16:17], v[24:25]
	s_mov_b32 s25, 0
	s_mov_b64 s[6:7], s[16:17]
                                        ; implicit-def: $sgpr26
                                        ; implicit-def: $sgpr27
                                        ; implicit-def: $sgpr28
                                        ; implicit-def: $sgpr29
	s_delay_alu instid0(VALU_DEP_2) | instskip(NEXT) | instid1(VALU_DEP_2)
	v_lshl_add_u64 v[8:9], v[8:9], 2, s[18:19]
	v_lshl_add_u64 v[26:27], v[26:27], 2, s[18:19]
	s_branch .LBB1483_453
.LBB1483_452:                           ;   in Loop: Header=BB1483_453 Depth=1
	s_or_b32 exec_lo, exec_lo, s30
	s_delay_alu instid0(SALU_CYCLE_1) | instskip(NEXT) | instid1(SALU_CYCLE_1)
	s_and_b32 s30, exec_lo, s27
	s_or_b32 s25, s30, s25
	s_and_not1_b32 s29, s29, exec_lo
	s_and_b32 s0, s0, exec_lo
	s_and_not1_b32 s26, s26, exec_lo
	s_and_b32 s30, s28, exec_lo
	s_or_b32 s29, s29, s0
	s_or_b32 s26, s26, s30
	s_and_not1_b32 exec_lo, exec_lo, s25
	s_cbranch_execz .LBB1483_455
.LBB1483_453:                           ; =>This Inner Loop Header: Depth=1
	global_load_b32 v30, v[8:9], off
	global_load_b32 v31, v[26:27], off
	s_and_not1_b32 s28, s28, exec_lo
	s_or_b32 s27, s27, exec_lo
	s_wait_loadcnt 0x0
	v_cmp_le_u32_e32 vcc_lo, v30, v31
	v_cmp_lt_u32_e64 s0, v30, v31
	s_and_b32 s30, vcc_lo, s29
	s_delay_alu instid0(SALU_CYCLE_1) | instskip(NEXT) | instid1(SALU_CYCLE_1)
	s_or_b32 s0, s0, s30
	s_and_b32 s30, s0, exec_lo
	s_delay_alu instid0(SALU_CYCLE_1)
	s_or_b32 s28, s28, s30
	s_mov_b32 s30, exec_lo
	v_cmpx_eq_u32_e64 v30, v31
	s_cbranch_execz .LBB1483_452
; %bb.454:                              ;   in Loop: Header=BB1483_453 Depth=1
	s_add_nc_u64 s[6:7], s[6:7], -1
	v_add_nc_u64_e32 v[8:9], 4, v[8:9]
	s_cmp_eq_u64 s[6:7], 0
	v_add_nc_u64_e32 v[26:27], 4, v[26:27]
	s_cselect_b32 s29, -1, 0
	s_and_not1_b32 s27, s27, exec_lo
	s_and_b32 s29, s29, exec_lo
	s_and_not1_b32 s28, s28, exec_lo
	s_or_b32 s27, s27, s29
                                        ; implicit-def: $sgpr29
	s_branch .LBB1483_452
.LBB1483_455:
	s_or_b32 exec_lo, exec_lo, s25
	s_xor_b32 s0, s26, -1
	s_branch .LBB1483_457
.LBB1483_456:
	s_mov_b32 s0, -1
.LBB1483_457:
	s_delay_alu instid0(SALU_CYCLE_1)
	s_and_b32 s0, s0, exec_lo
.LBB1483_458:
	s_or_b32 exec_lo, exec_lo, s23
	s_delay_alu instid0(SALU_CYCLE_1)
	s_or_not1_b32 s23, s0, exec_lo
.LBB1483_459:
	s_or_b32 exec_lo, exec_lo, s24
	v_dual_cndmask_b32 v8, v28, v29, s23 :: v_dual_cndmask_b32 v9, v51, v50, s23
	s_mov_b32 s24, -1
	s_mov_b32 s25, -1
	s_mov_b32 s26, exec_lo
	s_delay_alu instid0(VALU_DEP_1) | instskip(NEXT) | instid1(VALU_DEP_1)
	v_add_nc_u32_e32 v8, 1, v8
	v_add_min_u32_e64 v9, v9, -1, v8
	s_delay_alu instid0(VALU_DEP_1)
	v_lshl_add_u32 v9, v9, 3, v46
	ds_load_b64 v[26:27], v9
	s_wait_dscnt 0x0
	v_dual_cndmask_b32 v9, v27, v7, s23 :: v_dual_cndmask_b32 v32, v8, v28, s23
	v_dual_cndmask_b32 v33, v29, v8, s23 :: v_dual_cndmask_b32 v8, v26, v6, s23
	v_dual_cndmask_b32 v27, v25, v27, s23 :: v_dual_cndmask_b32 v26, v24, v26, s23
	s_delay_alu instid0(VALU_DEP_3)
	v_cmpx_lt_u32_e64 v32, v51
	s_cbranch_execz .LBB1483_470
; %bb.460:
	s_mov_b32 s0, 0
	s_mov_b32 s25, exec_lo
	v_cmpx_lt_u32_e64 v33, v50
	s_cbranch_execz .LBB1483_469
; %bb.461:
	v_cmp_ne_u32_e32 vcc_lo, 1, v45
	s_cbranch_vccnz .LBB1483_467
; %bb.462:
	v_mul_u64_e32 v[28:29], s[16:17], v[8:9]
	v_mul_u64_e32 v[30:31], s[16:17], v[26:27]
	s_mov_b32 s27, 0
	s_mov_b64 s[6:7], s[16:17]
                                        ; implicit-def: $sgpr28
                                        ; implicit-def: $sgpr29
                                        ; implicit-def: $sgpr30
                                        ; implicit-def: $sgpr31
	s_delay_alu instid0(VALU_DEP_2) | instskip(NEXT) | instid1(VALU_DEP_2)
	v_lshl_add_u64 v[28:29], v[28:29], 2, s[18:19]
	v_lshl_add_u64 v[30:31], v[30:31], 2, s[18:19]
	s_branch .LBB1483_464
.LBB1483_463:                           ;   in Loop: Header=BB1483_464 Depth=1
	s_or_b32 exec_lo, exec_lo, s33
	s_delay_alu instid0(SALU_CYCLE_1) | instskip(NEXT) | instid1(SALU_CYCLE_1)
	s_and_b32 s33, exec_lo, s29
	s_or_b32 s27, s33, s27
	s_and_not1_b32 s31, s31, exec_lo
	s_and_b32 s0, s0, exec_lo
	s_and_not1_b32 s28, s28, exec_lo
	s_and_b32 s33, s30, exec_lo
	s_or_b32 s31, s31, s0
	s_or_b32 s28, s28, s33
	s_and_not1_b32 exec_lo, exec_lo, s27
	s_cbranch_execz .LBB1483_466
.LBB1483_464:                           ; =>This Inner Loop Header: Depth=1
	global_load_b32 v34, v[28:29], off
	global_load_b32 v35, v[30:31], off
	s_and_not1_b32 s30, s30, exec_lo
	s_or_b32 s29, s29, exec_lo
	s_wait_loadcnt 0x0
	v_cmp_le_u32_e32 vcc_lo, v34, v35
	v_cmp_lt_u32_e64 s0, v34, v35
	s_and_b32 s33, vcc_lo, s31
	s_delay_alu instid0(SALU_CYCLE_1) | instskip(NEXT) | instid1(SALU_CYCLE_1)
	s_or_b32 s0, s0, s33
	s_and_b32 s33, s0, exec_lo
	s_delay_alu instid0(SALU_CYCLE_1)
	s_or_b32 s30, s30, s33
	s_mov_b32 s33, exec_lo
	v_cmpx_eq_u32_e64 v34, v35
	s_cbranch_execz .LBB1483_463
; %bb.465:                              ;   in Loop: Header=BB1483_464 Depth=1
	s_add_nc_u64 s[6:7], s[6:7], -1
	v_add_nc_u64_e32 v[28:29], 4, v[28:29]
	s_cmp_eq_u64 s[6:7], 0
	v_add_nc_u64_e32 v[30:31], 4, v[30:31]
	s_cselect_b32 s31, -1, 0
	s_and_not1_b32 s29, s29, exec_lo
	s_and_b32 s31, s31, exec_lo
	s_and_not1_b32 s30, s30, exec_lo
	s_or_b32 s29, s29, s31
                                        ; implicit-def: $sgpr31
	s_branch .LBB1483_463
.LBB1483_466:
	s_or_b32 exec_lo, exec_lo, s27
	s_xor_b32 s0, s28, -1
	s_branch .LBB1483_468
.LBB1483_467:
	s_mov_b32 s0, -1
.LBB1483_468:
	s_delay_alu instid0(SALU_CYCLE_1)
	s_and_b32 s0, s0, exec_lo
.LBB1483_469:
	s_or_b32 exec_lo, exec_lo, s25
	s_delay_alu instid0(SALU_CYCLE_1)
	s_or_not1_b32 s25, s0, exec_lo
.LBB1483_470:
	s_or_b32 exec_lo, exec_lo, s26
	v_dual_cndmask_b32 v28, v32, v33, s25 :: v_dual_cndmask_b32 v29, v51, v50, s25
	s_mov_b32 s26, exec_lo
	s_delay_alu instid0(VALU_DEP_1) | instskip(NEXT) | instid1(VALU_DEP_1)
	v_add_nc_u32_e32 v28, 1, v28
	v_add_min_u32_e64 v29, v29, -1, v28
	s_delay_alu instid0(VALU_DEP_1)
	v_lshl_add_u32 v29, v29, 3, v46
	ds_load_b64 v[30:31], v29
	s_wait_dscnt 0x0
	v_dual_cndmask_b32 v29, v31, v9, s25 :: v_dual_cndmask_b32 v53, v28, v32, s25
	v_dual_cndmask_b32 v31, v27, v31, s25 :: v_dual_cndmask_b32 v52, v33, v28, s25
	v_cndmask_b32_e64 v28, v30, v8, s25
	v_cndmask_b32_e64 v30, v26, v30, s25
	s_delay_alu instid0(VALU_DEP_4)
	v_cmpx_lt_u32_e64 v53, v51
	s_cbranch_execz .LBB1483_481
; %bb.471:
	s_mov_b32 s0, 0
	s_mov_b32 s24, exec_lo
	v_cmpx_lt_u32_e64 v52, v50
	s_cbranch_execz .LBB1483_480
; %bb.472:
	v_cmp_ne_u32_e32 vcc_lo, 1, v45
	s_cbranch_vccnz .LBB1483_478
; %bb.473:
	v_mul_u64_e32 v[32:33], s[16:17], v[28:29]
	v_mul_u64_e32 v[34:35], s[16:17], v[30:31]
	s_mov_b32 s27, 0
	s_mov_b64 s[6:7], s[16:17]
                                        ; implicit-def: $sgpr28
                                        ; implicit-def: $sgpr29
                                        ; implicit-def: $sgpr30
                                        ; implicit-def: $sgpr31
	s_delay_alu instid0(VALU_DEP_2) | instskip(NEXT) | instid1(VALU_DEP_2)
	v_lshl_add_u64 v[32:33], v[32:33], 2, s[18:19]
	v_lshl_add_u64 v[34:35], v[34:35], 2, s[18:19]
	s_branch .LBB1483_475
.LBB1483_474:                           ;   in Loop: Header=BB1483_475 Depth=1
	s_or_b32 exec_lo, exec_lo, s33
	s_delay_alu instid0(SALU_CYCLE_1) | instskip(NEXT) | instid1(SALU_CYCLE_1)
	s_and_b32 s33, exec_lo, s29
	s_or_b32 s27, s33, s27
	s_and_not1_b32 s31, s31, exec_lo
	s_and_b32 s0, s0, exec_lo
	s_and_not1_b32 s28, s28, exec_lo
	s_and_b32 s33, s30, exec_lo
	s_or_b32 s31, s31, s0
	s_or_b32 s28, s28, s33
	s_and_not1_b32 exec_lo, exec_lo, s27
	s_cbranch_execz .LBB1483_477
.LBB1483_475:                           ; =>This Inner Loop Header: Depth=1
	global_load_b32 v54, v[32:33], off
	global_load_b32 v55, v[34:35], off
	s_and_not1_b32 s30, s30, exec_lo
	s_or_b32 s29, s29, exec_lo
	s_wait_loadcnt 0x0
	v_cmp_le_u32_e32 vcc_lo, v54, v55
	v_cmp_lt_u32_e64 s0, v54, v55
	s_and_b32 s33, vcc_lo, s31
	s_delay_alu instid0(SALU_CYCLE_1) | instskip(NEXT) | instid1(SALU_CYCLE_1)
	s_or_b32 s0, s0, s33
	s_and_b32 s33, s0, exec_lo
	s_delay_alu instid0(SALU_CYCLE_1)
	s_or_b32 s30, s30, s33
	s_mov_b32 s33, exec_lo
	v_cmpx_eq_u32_e64 v54, v55
	s_cbranch_execz .LBB1483_474
; %bb.476:                              ;   in Loop: Header=BB1483_475 Depth=1
	s_add_nc_u64 s[6:7], s[6:7], -1
	v_add_nc_u64_e32 v[32:33], 4, v[32:33]
	s_cmp_eq_u64 s[6:7], 0
	v_add_nc_u64_e32 v[34:35], 4, v[34:35]
	s_cselect_b32 s31, -1, 0
	s_and_not1_b32 s29, s29, exec_lo
	s_and_b32 s31, s31, exec_lo
	s_and_not1_b32 s30, s30, exec_lo
	s_or_b32 s29, s29, s31
                                        ; implicit-def: $sgpr31
	s_branch .LBB1483_474
.LBB1483_477:
	s_or_b32 exec_lo, exec_lo, s27
	s_xor_b32 s0, s28, -1
	s_branch .LBB1483_479
.LBB1483_478:
	s_mov_b32 s0, -1
.LBB1483_479:
	s_delay_alu instid0(SALU_CYCLE_1)
	s_and_b32 s0, s0, exec_lo
.LBB1483_480:
	s_or_b32 exec_lo, exec_lo, s24
	s_delay_alu instid0(SALU_CYCLE_1)
	s_or_not1_b32 s24, s0, exec_lo
.LBB1483_481:
	s_or_b32 exec_lo, exec_lo, s26
	v_dual_cndmask_b32 v32, v53, v52, s24 :: v_dual_cndmask_b32 v33, v51, v50, s24
	v_dual_cndmask_b32 v8, v8, v26, s25 :: v_dual_cndmask_b32 v7, v7, v25, s23
	;; [unrolled: 1-line block ×3, first 2 shown]
	s_delay_alu instid0(VALU_DEP_3) | instskip(SKIP_2) | instid1(VALU_DEP_3)
	v_dual_add_nc_u32 v34, 1, v32 :: v_dual_cndmask_b32 v9, v9, v27, s25
	v_dual_cndmask_b32 v12, v12, v22, s22 :: v_dual_cndmask_b32 v11, v11, v21, s15
	v_dual_cndmask_b32 v10, v10, v20, s15 :: v_dual_cndmask_b32 v17, v15, v17, s14
	v_add_min_u32_e64 v32, v33, -1, v34
	v_dual_cndmask_b32 v16, v14, v16, s14 :: v_dual_cndmask_b32 v15, v5, v3, s5
	v_dual_cndmask_b32 v14, v4, v2, s5 :: v_dual_cndmask_b32 v20, v34, v53, s24
	s_delay_alu instid0(VALU_DEP_3)
	v_lshl_add_u32 v32, v32, 3, v46
	v_dual_cndmask_b32 v3, v29, v31, s24 :: v_dual_cndmask_b32 v2, v28, v30, s24
	s_mov_b32 s5, exec_lo
	ds_load_b64 v[32:33], v32
	s_wait_dscnt 0x0
	v_dual_cndmask_b32 v5, v31, v33, s24 :: v_dual_cndmask_b32 v4, v30, v32, s24
	v_cmpx_lt_u32_e64 v20, v51
	s_cbranch_execz .LBB1483_491
; %bb.482:
	v_dual_cndmask_b32 v22, v52, v34, s24 :: v_dual_cndmask_b32 v21, v33, v29, s24
	v_cndmask_b32_e64 v20, v32, v28, s24
	s_mov_b32 s14, exec_lo
	s_delay_alu instid0(VALU_DEP_2)
	v_cmpx_lt_u32_e64 v22, v50
	s_cbranch_execz .LBB1483_490
; %bb.483:
	v_cmp_ne_u32_e32 vcc_lo, 1, v45
	s_cbranch_vccnz .LBB1483_489
; %bb.484:
	v_mul_u64_e32 v[22:23], s[16:17], v[20:21]
	v_mul_u64_e32 v[24:25], s[16:17], v[4:5]
	s_mov_b32 s15, 0
	s_mov_b64 s[6:7], s[16:17]
                                        ; implicit-def: $sgpr22
                                        ; implicit-def: $sgpr23
                                        ; implicit-def: $sgpr24
                                        ; implicit-def: $sgpr25
	s_delay_alu instid0(VALU_DEP_2) | instskip(NEXT) | instid1(VALU_DEP_2)
	v_lshl_add_u64 v[22:23], v[22:23], 2, s[18:19]
	v_lshl_add_u64 v[24:25], v[24:25], 2, s[18:19]
	s_branch .LBB1483_486
.LBB1483_485:                           ;   in Loop: Header=BB1483_486 Depth=1
	s_or_b32 exec_lo, exec_lo, s26
	s_delay_alu instid0(SALU_CYCLE_1) | instskip(NEXT) | instid1(SALU_CYCLE_1)
	s_and_b32 s26, exec_lo, s23
	s_or_b32 s15, s26, s15
	s_and_not1_b32 s25, s25, exec_lo
	s_and_b32 s0, s0, exec_lo
	s_and_not1_b32 s22, s22, exec_lo
	s_and_b32 s26, s24, exec_lo
	s_or_b32 s25, s25, s0
	s_or_b32 s22, s22, s26
	s_and_not1_b32 exec_lo, exec_lo, s15
	s_cbranch_execz .LBB1483_488
.LBB1483_486:                           ; =>This Inner Loop Header: Depth=1
	global_load_b32 v26, v[22:23], off
	global_load_b32 v27, v[24:25], off
	s_and_not1_b32 s24, s24, exec_lo
	s_or_b32 s23, s23, exec_lo
	s_wait_loadcnt 0x0
	v_cmp_le_u32_e32 vcc_lo, v26, v27
	v_cmp_lt_u32_e64 s0, v26, v27
	s_and_b32 s26, vcc_lo, s25
	s_delay_alu instid0(SALU_CYCLE_1) | instskip(NEXT) | instid1(SALU_CYCLE_1)
	s_or_b32 s0, s0, s26
	s_and_b32 s26, s0, exec_lo
	s_delay_alu instid0(SALU_CYCLE_1)
	s_or_b32 s24, s24, s26
	s_mov_b32 s26, exec_lo
	v_cmpx_eq_u32_e64 v26, v27
	s_cbranch_execz .LBB1483_485
; %bb.487:                              ;   in Loop: Header=BB1483_486 Depth=1
	s_add_nc_u64 s[6:7], s[6:7], -1
	v_add_nc_u64_e32 v[22:23], 4, v[22:23]
	s_cmp_eq_u64 s[6:7], 0
	v_add_nc_u64_e32 v[24:25], 4, v[24:25]
	s_cselect_b32 s25, -1, 0
	s_and_not1_b32 s23, s23, exec_lo
	s_and_b32 s25, s25, exec_lo
	s_and_not1_b32 s24, s24, exec_lo
	s_or_b32 s23, s23, s25
                                        ; implicit-def: $sgpr25
	s_branch .LBB1483_485
.LBB1483_488:
	s_or_b32 exec_lo, exec_lo, s15
	v_dual_cndmask_b32 v5, v5, v21, s22 :: v_dual_cndmask_b32 v4, v4, v20, s22
.LBB1483_489:
	s_delay_alu instid0(VALU_DEP_1)
	v_mov_b64_e32 v[20:21], v[4:5]
.LBB1483_490:
	s_or_b32 exec_lo, exec_lo, s14
	s_delay_alu instid0(VALU_DEP_1)
	v_mov_b64_e32 v[4:5], v[20:21]
.LBB1483_491:
	s_or_b32 exec_lo, exec_lo, s5
.LBB1483_492:
	s_delay_alu instid0(SALU_CYCLE_1)
	s_or_b32 exec_lo, exec_lo, s1
	v_and_b32_e32 v26, 0x80, v48
	s_mov_b32 s1, exec_lo
	; wave barrier
	ds_store_b128 v49, v[14:17]
	ds_store_b128 v49, v[10:13] offset:16
	v_or_b32_e32 v20, 64, v26
	v_lshl_add_u32 v25, v26, 3, v46
	ds_store_b128 v49, v[6:9] offset:32
	ds_store_b128 v49, v[2:5] offset:48
	; wave barrier
	v_min_u32_e32 v50, v47, v20
	v_and_b32_e32 v20, 0x78, v48
	s_delay_alu instid0(VALU_DEP_2) | instskip(NEXT) | instid1(VALU_DEP_2)
	v_add_min_u32_e64 v48, v50, 64, v47
	v_min_u32_e32 v27, v47, v20
	v_sub_nc_u32_e32 v21, v50, v26
	s_delay_alu instid0(VALU_DEP_3) | instskip(NEXT) | instid1(VALU_DEP_2)
	v_sub_nc_u32_e32 v20, v48, v50
	v_min_u32_e32 v28, v27, v21
	s_delay_alu instid0(VALU_DEP_2) | instskip(NEXT) | instid1(VALU_DEP_1)
	v_sub_nc_u32_e64 v24, v27, v20 clamp
	v_cmpx_lt_u32_e64 v24, v28
	s_cbranch_execz .LBB1483_502
; %bb.493:
	v_dual_lshlrev_b32 v20, 3, v50 :: v_dual_lshlrev_b32 v21, 3, v27
	s_lshl_b64 s[6:7], s[16:17], 2
	s_mov_b32 s5, 0
	s_delay_alu instid0(VALU_DEP_1)
	v_add3_u32 v29, v46, v20, v21
	s_branch .LBB1483_496
.LBB1483_494:                           ;   in Loop: Header=BB1483_496 Depth=1
	s_or_b32 exec_lo, exec_lo, s23
.LBB1483_495:                           ;   in Loop: Header=BB1483_496 Depth=1
	s_delay_alu instid0(VALU_DEP_1) | instskip(NEXT) | instid1(VALU_DEP_1)
	v_dual_add_nc_u32 v20, 1, v30 :: v_dual_cndmask_b32 v28, v28, v30, s22
	v_cndmask_b32_e64 v24, v20, v24, s22
	s_delay_alu instid0(VALU_DEP_1) | instskip(SKIP_1) | instid1(SALU_CYCLE_1)
	v_cmp_ge_u32_e32 vcc_lo, v24, v28
	s_or_b32 s5, vcc_lo, s5
	s_and_not1_b32 exec_lo, exec_lo, s5
	s_cbranch_execz .LBB1483_501
.LBB1483_496:                           ; =>This Loop Header: Depth=1
                                        ;     Child Loop BB1483_499 Depth 2
	v_add_nc_u32_e32 v20, v28, v24
	v_cmp_ne_u32_e32 vcc_lo, 1, v45
	s_mov_b32 s22, 0
	s_delay_alu instid0(VALU_DEP_2)
	v_lshrrev_b32_e32 v30, 1, v20
	s_cbranch_vccnz .LBB1483_495
; %bb.497:                              ;   in Loop: Header=BB1483_496 Depth=1
	s_delay_alu instid0(VALU_DEP_1) | instskip(SKIP_3) | instid1(VALU_DEP_2)
	v_not_b32_e32 v20, v30
	v_lshl_add_u32 v21, v30, 3, v25
	s_mov_b32 s23, 0
	s_mov_b64 s[14:15], s[16:17]
                                        ; implicit-def: $sgpr22
                                        ; implicit-def: $sgpr24
                                        ; implicit-def: $sgpr25
                                        ; implicit-def: $sgpr26
	v_lshl_add_u32 v20, v20, 3, v29
	ds_load_b64 v[32:33], v20
	ds_load_b64 v[34:35], v21
	s_wait_dscnt 0x1
	v_mad_nc_u64_u32 v[20:21], s6, v32, s[18:19]
	s_wait_dscnt 0x0
	v_mad_nc_u64_u32 v[22:23], s6, v34, s[18:19]
	s_delay_alu instid0(VALU_DEP_2) | instskip(NEXT) | instid1(VALU_DEP_2)
	v_mad_u32 v21, s7, v32, v21
	v_mad_u32 v23, s7, v34, v23
	s_delay_alu instid0(VALU_DEP_2) | instskip(NEXT) | instid1(VALU_DEP_2)
	v_mad_u32 v21, s6, v33, v21
	v_mad_u32 v23, s6, v35, v23
	s_branch .LBB1483_499
.LBB1483_498:                           ;   in Loop: Header=BB1483_499 Depth=2
	s_or_b32 exec_lo, exec_lo, s27
	s_delay_alu instid0(SALU_CYCLE_1) | instskip(NEXT) | instid1(SALU_CYCLE_1)
	s_and_b32 s27, exec_lo, s24
	s_or_b32 s23, s27, s23
	s_and_not1_b32 s26, s26, exec_lo
	s_and_b32 s0, s0, exec_lo
	s_and_not1_b32 s22, s22, exec_lo
	s_and_b32 s27, s25, exec_lo
	s_or_b32 s26, s26, s0
	s_or_b32 s22, s22, s27
	s_and_not1_b32 exec_lo, exec_lo, s23
	s_cbranch_execz .LBB1483_494
.LBB1483_499:                           ;   Parent Loop BB1483_496 Depth=1
                                        ; =>  This Inner Loop Header: Depth=2
	global_load_b32 v31, v[20:21], off
	global_load_b32 v32, v[22:23], off
	s_and_not1_b32 s25, s25, exec_lo
	s_or_b32 s24, s24, exec_lo
	s_wait_loadcnt 0x0
	v_cmp_le_u32_e32 vcc_lo, v31, v32
	v_cmp_lt_u32_e64 s0, v31, v32
	s_and_b32 s27, vcc_lo, s26
	s_delay_alu instid0(SALU_CYCLE_1) | instskip(NEXT) | instid1(SALU_CYCLE_1)
	s_or_b32 s0, s0, s27
	s_and_b32 s27, s0, exec_lo
	s_delay_alu instid0(SALU_CYCLE_1)
	s_or_b32 s25, s25, s27
	s_mov_b32 s27, exec_lo
	v_cmpx_eq_u32_e64 v31, v32
	s_cbranch_execz .LBB1483_498
; %bb.500:                              ;   in Loop: Header=BB1483_499 Depth=2
	s_add_nc_u64 s[14:15], s[14:15], -1
	v_add_nc_u64_e32 v[20:21], 4, v[20:21]
	s_cmp_eq_u64 s[14:15], 0
	v_add_nc_u64_e32 v[22:23], 4, v[22:23]
	s_cselect_b32 s26, -1, 0
	s_and_not1_b32 s24, s24, exec_lo
	s_and_b32 s26, s26, exec_lo
	s_and_not1_b32 s25, s25, exec_lo
	s_or_b32 s24, s24, s26
                                        ; implicit-def: $sgpr26
	s_branch .LBB1483_498
.LBB1483_501:
	s_or_b32 exec_lo, exec_lo, s5
.LBB1483_502:
	s_delay_alu instid0(SALU_CYCLE_1) | instskip(SKIP_1) | instid1(VALU_DEP_1)
	s_or_b32 exec_lo, exec_lo, s1
	v_dual_add_nc_u32 v21, v50, v27 :: v_dual_add_nc_u32 v20, v24, v26
	v_sub_nc_u32_e32 v21, v21, v24
	s_delay_alu instid0(VALU_DEP_2) | instskip(NEXT) | instid1(VALU_DEP_2)
	v_cmp_le_u32_e32 vcc_lo, v20, v50
	v_cmp_le_u32_e64 s0, v21, v48
	s_or_b32 s0, vcc_lo, s0
	s_delay_alu instid0(SALU_CYCLE_1)
	s_and_saveexec_b32 s1, s0
	s_cbranch_execz .LBB1483_593
; %bb.503:
	s_mov_b32 s5, exec_lo
	v_cmp_ge_u32_e32 vcc_lo, v20, v50
                                        ; implicit-def: $vgpr2_vgpr3
	v_cmpx_lt_u32_e64 v20, v50
; %bb.504:
	v_lshl_add_u32 v2, v24, 3, v25
	ds_load_b64 v[2:3], v2
; %bb.505:
	s_or_b32 exec_lo, exec_lo, s5
	v_cmp_ge_u32_e64 s5, v21, v48
	s_mov_b32 s6, exec_lo
                                        ; implicit-def: $vgpr4_vgpr5
	v_cmpx_lt_u32_e64 v21, v48
; %bb.506:
	v_lshl_add_u32 v4, v21, 3, v46
	ds_load_b64 v[4:5], v4
; %bb.507:
	s_or_b32 exec_lo, exec_lo, s6
	s_nor_b32 s0, vcc_lo, s5
	s_delay_alu instid0(SALU_CYCLE_1)
	s_and_saveexec_b32 s14, s0
	s_cbranch_execz .LBB1483_516
; %bb.508:
	v_cmp_ne_u32_e32 vcc_lo, 1, v45
	s_cbranch_vccnz .LBB1483_514
; %bb.509:
	s_wait_dscnt 0x0
	v_mul_u64_e32 v[6:7], s[16:17], v[4:5]
	v_mul_u64_e32 v[8:9], s[16:17], v[2:3]
	s_mov_b32 s15, 0
	s_mov_b64 s[6:7], s[16:17]
                                        ; implicit-def: $sgpr22
                                        ; implicit-def: $sgpr23
                                        ; implicit-def: $sgpr24
                                        ; implicit-def: $sgpr25
	s_delay_alu instid0(VALU_DEP_2) | instskip(NEXT) | instid1(VALU_DEP_2)
	v_lshl_add_u64 v[6:7], v[6:7], 2, s[18:19]
	v_lshl_add_u64 v[8:9], v[8:9], 2, s[18:19]
	s_branch .LBB1483_511
.LBB1483_510:                           ;   in Loop: Header=BB1483_511 Depth=1
	s_or_b32 exec_lo, exec_lo, s26
	s_delay_alu instid0(SALU_CYCLE_1) | instskip(NEXT) | instid1(SALU_CYCLE_1)
	s_and_b32 s26, exec_lo, s23
	s_or_b32 s15, s26, s15
	s_and_not1_b32 s25, s25, exec_lo
	s_and_b32 s0, s0, exec_lo
	s_and_not1_b32 s22, s22, exec_lo
	s_and_b32 s26, s24, exec_lo
	s_or_b32 s25, s25, s0
	s_or_b32 s22, s22, s26
	s_and_not1_b32 exec_lo, exec_lo, s15
	s_cbranch_execz .LBB1483_513
.LBB1483_511:                           ; =>This Inner Loop Header: Depth=1
	global_load_b32 v10, v[6:7], off
	global_load_b32 v11, v[8:9], off
	s_and_not1_b32 s24, s24, exec_lo
	s_or_b32 s23, s23, exec_lo
	s_wait_loadcnt 0x0
	v_cmp_le_u32_e32 vcc_lo, v10, v11
	v_cmp_lt_u32_e64 s0, v10, v11
	s_and_b32 s26, vcc_lo, s25
	s_delay_alu instid0(SALU_CYCLE_1) | instskip(NEXT) | instid1(SALU_CYCLE_1)
	s_or_b32 s0, s0, s26
	s_and_b32 s26, s0, exec_lo
	s_delay_alu instid0(SALU_CYCLE_1)
	s_or_b32 s24, s24, s26
	s_mov_b32 s26, exec_lo
	v_cmpx_eq_u32_e64 v10, v11
	s_cbranch_execz .LBB1483_510
; %bb.512:                              ;   in Loop: Header=BB1483_511 Depth=1
	s_add_nc_u64 s[6:7], s[6:7], -1
	v_add_nc_u64_e32 v[6:7], 4, v[6:7]
	s_cmp_eq_u64 s[6:7], 0
	v_add_nc_u64_e32 v[8:9], 4, v[8:9]
	s_cselect_b32 s25, -1, 0
	s_and_not1_b32 s23, s23, exec_lo
	s_and_b32 s25, s25, exec_lo
	s_and_not1_b32 s24, s24, exec_lo
	s_or_b32 s23, s23, s25
                                        ; implicit-def: $sgpr25
	s_branch .LBB1483_510
.LBB1483_513:
	s_or_b32 exec_lo, exec_lo, s15
	s_xor_b32 s0, s22, -1
	s_branch .LBB1483_515
.LBB1483_514:
	s_mov_b32 s0, -1
.LBB1483_515:
	s_and_not1_b32 s5, s5, exec_lo
	s_and_b32 s0, s0, exec_lo
	s_delay_alu instid0(SALU_CYCLE_1)
	s_or_b32 s5, s5, s0
.LBB1483_516:
	s_or_b32 exec_lo, exec_lo, s14
	v_dual_cndmask_b32 v6, v21, v20, s5 :: v_dual_cndmask_b32 v7, v48, v50, s5
	s_mov_b32 s15, -1
	s_mov_b32 s14, -1
	s_mov_b32 s22, exec_lo
	s_delay_alu instid0(VALU_DEP_1) | instskip(NEXT) | instid1(VALU_DEP_1)
	v_add_nc_u32_e32 v8, 1, v6
	v_add_min_u32_e64 v6, v7, -1, v8
	s_delay_alu instid0(VALU_DEP_1)
	v_lshl_add_u32 v6, v6, 3, v46
	ds_load_b64 v[6:7], v6
	s_wait_dscnt 0x0
	v_cndmask_b32_e64 v15, v7, v5, s5
	v_dual_cndmask_b32 v10, v8, v21, s5 :: v_dual_cndmask_b32 v14, v6, v4, s5
	v_dual_cndmask_b32 v11, v20, v8, s5 :: v_dual_cndmask_b32 v17, v3, v7, s5
	v_cndmask_b32_e64 v16, v2, v6, s5
	s_delay_alu instid0(VALU_DEP_3)
	v_cmpx_lt_u32_e64 v10, v48
	s_cbranch_execz .LBB1483_527
; %bb.517:
	s_mov_b32 s0, 0
	s_mov_b32 s14, exec_lo
	v_cmpx_lt_u32_e64 v11, v50
	s_cbranch_execz .LBB1483_526
; %bb.518:
	v_cmp_ne_u32_e32 vcc_lo, 1, v45
	s_cbranch_vccnz .LBB1483_524
; %bb.519:
	v_mul_u64_e32 v[6:7], s[16:17], v[14:15]
	v_mul_u64_e32 v[8:9], s[16:17], v[16:17]
	s_mov_b32 s23, 0
	s_mov_b64 s[6:7], s[16:17]
                                        ; implicit-def: $sgpr24
                                        ; implicit-def: $sgpr25
                                        ; implicit-def: $sgpr26
                                        ; implicit-def: $sgpr27
	s_delay_alu instid0(VALU_DEP_2) | instskip(NEXT) | instid1(VALU_DEP_2)
	v_lshl_add_u64 v[6:7], v[6:7], 2, s[18:19]
	v_lshl_add_u64 v[8:9], v[8:9], 2, s[18:19]
	s_branch .LBB1483_521
.LBB1483_520:                           ;   in Loop: Header=BB1483_521 Depth=1
	s_or_b32 exec_lo, exec_lo, s28
	s_delay_alu instid0(SALU_CYCLE_1) | instskip(NEXT) | instid1(SALU_CYCLE_1)
	s_and_b32 s28, exec_lo, s25
	s_or_b32 s23, s28, s23
	s_and_not1_b32 s27, s27, exec_lo
	s_and_b32 s0, s0, exec_lo
	s_and_not1_b32 s24, s24, exec_lo
	s_and_b32 s28, s26, exec_lo
	s_or_b32 s27, s27, s0
	s_or_b32 s24, s24, s28
	s_and_not1_b32 exec_lo, exec_lo, s23
	s_cbranch_execz .LBB1483_523
.LBB1483_521:                           ; =>This Inner Loop Header: Depth=1
	global_load_b32 v12, v[6:7], off
	global_load_b32 v13, v[8:9], off
	s_and_not1_b32 s26, s26, exec_lo
	s_or_b32 s25, s25, exec_lo
	s_wait_loadcnt 0x0
	v_cmp_le_u32_e32 vcc_lo, v12, v13
	v_cmp_lt_u32_e64 s0, v12, v13
	s_and_b32 s28, vcc_lo, s27
	s_delay_alu instid0(SALU_CYCLE_1) | instskip(NEXT) | instid1(SALU_CYCLE_1)
	s_or_b32 s0, s0, s28
	s_and_b32 s28, s0, exec_lo
	s_delay_alu instid0(SALU_CYCLE_1)
	s_or_b32 s26, s26, s28
	s_mov_b32 s28, exec_lo
	v_cmpx_eq_u32_e64 v12, v13
	s_cbranch_execz .LBB1483_520
; %bb.522:                              ;   in Loop: Header=BB1483_521 Depth=1
	s_add_nc_u64 s[6:7], s[6:7], -1
	v_add_nc_u64_e32 v[6:7], 4, v[6:7]
	s_cmp_eq_u64 s[6:7], 0
	v_add_nc_u64_e32 v[8:9], 4, v[8:9]
	s_cselect_b32 s27, -1, 0
	s_and_not1_b32 s25, s25, exec_lo
	s_and_b32 s27, s27, exec_lo
	s_and_not1_b32 s26, s26, exec_lo
	s_or_b32 s25, s25, s27
                                        ; implicit-def: $sgpr27
	s_branch .LBB1483_520
.LBB1483_523:
	s_or_b32 exec_lo, exec_lo, s23
	s_xor_b32 s0, s24, -1
	s_branch .LBB1483_525
.LBB1483_524:
	s_mov_b32 s0, -1
.LBB1483_525:
	s_delay_alu instid0(SALU_CYCLE_1)
	s_and_b32 s0, s0, exec_lo
.LBB1483_526:
	s_or_b32 exec_lo, exec_lo, s14
	s_delay_alu instid0(SALU_CYCLE_1)
	s_or_not1_b32 s14, s0, exec_lo
.LBB1483_527:
	s_or_b32 exec_lo, exec_lo, s22
	v_dual_cndmask_b32 v6, v10, v11, s14 :: v_dual_cndmask_b32 v7, v48, v50, s14
	s_mov_b32 s22, exec_lo
	s_delay_alu instid0(VALU_DEP_1) | instskip(NEXT) | instid1(VALU_DEP_1)
	v_add_nc_u32_e32 v8, 1, v6
	v_add_min_u32_e64 v6, v7, -1, v8
	s_delay_alu instid0(VALU_DEP_1)
	v_lshl_add_u32 v6, v6, 3, v46
	ds_load_b64 v[6:7], v6
	v_cndmask_b32_e64 v13, v11, v8, s14
	s_wait_dscnt 0x0
	v_dual_cndmask_b32 v11, v7, v15, s14 :: v_dual_cndmask_b32 v12, v8, v10, s14
	v_dual_cndmask_b32 v21, v17, v7, s14 :: v_dual_cndmask_b32 v10, v6, v14, s14
	v_cndmask_b32_e64 v20, v16, v6, s14
	s_delay_alu instid0(VALU_DEP_3)
	v_cmpx_lt_u32_e64 v12, v48
	s_cbranch_execz .LBB1483_538
; %bb.528:
	s_mov_b32 s0, 0
	s_mov_b32 s15, exec_lo
	v_cmpx_lt_u32_e64 v13, v50
	s_cbranch_execz .LBB1483_537
; %bb.529:
	v_cmp_ne_u32_e32 vcc_lo, 1, v45
	s_cbranch_vccnz .LBB1483_535
; %bb.530:
	v_mul_u64_e32 v[6:7], s[16:17], v[10:11]
	v_mul_u64_e32 v[8:9], s[16:17], v[20:21]
	s_mov_b32 s23, 0
	s_mov_b64 s[6:7], s[16:17]
                                        ; implicit-def: $sgpr24
                                        ; implicit-def: $sgpr25
                                        ; implicit-def: $sgpr26
                                        ; implicit-def: $sgpr27
	s_delay_alu instid0(VALU_DEP_2) | instskip(NEXT) | instid1(VALU_DEP_2)
	v_lshl_add_u64 v[6:7], v[6:7], 2, s[18:19]
	v_lshl_add_u64 v[8:9], v[8:9], 2, s[18:19]
	s_branch .LBB1483_532
.LBB1483_531:                           ;   in Loop: Header=BB1483_532 Depth=1
	s_or_b32 exec_lo, exec_lo, s28
	s_delay_alu instid0(SALU_CYCLE_1) | instskip(NEXT) | instid1(SALU_CYCLE_1)
	s_and_b32 s28, exec_lo, s25
	s_or_b32 s23, s28, s23
	s_and_not1_b32 s27, s27, exec_lo
	s_and_b32 s0, s0, exec_lo
	s_and_not1_b32 s24, s24, exec_lo
	s_and_b32 s28, s26, exec_lo
	s_or_b32 s27, s27, s0
	s_or_b32 s24, s24, s28
	s_and_not1_b32 exec_lo, exec_lo, s23
	s_cbranch_execz .LBB1483_534
.LBB1483_532:                           ; =>This Inner Loop Header: Depth=1
	global_load_b32 v22, v[6:7], off
	global_load_b32 v23, v[8:9], off
	s_and_not1_b32 s26, s26, exec_lo
	s_or_b32 s25, s25, exec_lo
	s_wait_loadcnt 0x0
	v_cmp_le_u32_e32 vcc_lo, v22, v23
	v_cmp_lt_u32_e64 s0, v22, v23
	s_and_b32 s28, vcc_lo, s27
	s_delay_alu instid0(SALU_CYCLE_1) | instskip(NEXT) | instid1(SALU_CYCLE_1)
	s_or_b32 s0, s0, s28
	s_and_b32 s28, s0, exec_lo
	s_delay_alu instid0(SALU_CYCLE_1)
	s_or_b32 s26, s26, s28
	s_mov_b32 s28, exec_lo
	v_cmpx_eq_u32_e64 v22, v23
	s_cbranch_execz .LBB1483_531
; %bb.533:                              ;   in Loop: Header=BB1483_532 Depth=1
	s_add_nc_u64 s[6:7], s[6:7], -1
	v_add_nc_u64_e32 v[6:7], 4, v[6:7]
	s_cmp_eq_u64 s[6:7], 0
	v_add_nc_u64_e32 v[8:9], 4, v[8:9]
	s_cselect_b32 s27, -1, 0
	s_and_not1_b32 s25, s25, exec_lo
	s_and_b32 s27, s27, exec_lo
	s_and_not1_b32 s26, s26, exec_lo
	s_or_b32 s25, s25, s27
                                        ; implicit-def: $sgpr27
	s_branch .LBB1483_531
.LBB1483_534:
	s_or_b32 exec_lo, exec_lo, s23
	s_xor_b32 s0, s24, -1
	s_branch .LBB1483_536
.LBB1483_535:
	s_mov_b32 s0, -1
.LBB1483_536:
	s_delay_alu instid0(SALU_CYCLE_1)
	s_and_b32 s0, s0, exec_lo
.LBB1483_537:
	s_or_b32 exec_lo, exec_lo, s15
	s_delay_alu instid0(SALU_CYCLE_1)
	s_or_not1_b32 s15, s0, exec_lo
.LBB1483_538:
	s_or_b32 exec_lo, exec_lo, s22
	v_cndmask_b32_e64 v6, v12, v13, s15
	v_cndmask_b32_e64 v7, v48, v50, s15
	s_mov_b32 s23, -1
	s_mov_b32 s22, -1
	s_mov_b32 s24, exec_lo
	v_add_nc_u32_e32 v8, 1, v6
	s_delay_alu instid0(VALU_DEP_1) | instskip(SKIP_1) | instid1(VALU_DEP_2)
	v_add_min_u32_e64 v6, v7, -1, v8
	v_cndmask_b32_e64 v25, v13, v8, s15
	v_lshl_add_u32 v6, v6, 3, v46
	ds_load_b64 v[6:7], v6
	s_wait_dscnt 0x0
	v_dual_cndmask_b32 v13, v7, v11, s15 :: v_dual_cndmask_b32 v24, v8, v12, s15
	v_dual_cndmask_b32 v12, v6, v10, s15 :: v_dual_cndmask_b32 v23, v21, v7, s15
	v_cndmask_b32_e64 v22, v20, v6, s15
	s_delay_alu instid0(VALU_DEP_3)
	v_cmpx_lt_u32_e64 v24, v48
	s_cbranch_execz .LBB1483_549
; %bb.539:
	s_mov_b32 s0, 0
	s_mov_b32 s22, exec_lo
	v_cmpx_lt_u32_e64 v25, v50
	s_cbranch_execz .LBB1483_548
; %bb.540:
	v_cmp_ne_u32_e32 vcc_lo, 1, v45
	s_cbranch_vccnz .LBB1483_546
; %bb.541:
	v_mul_u64_e32 v[6:7], s[16:17], v[12:13]
	v_mul_u64_e32 v[8:9], s[16:17], v[22:23]
	s_mov_b32 s25, 0
	s_mov_b64 s[6:7], s[16:17]
                                        ; implicit-def: $sgpr26
                                        ; implicit-def: $sgpr27
                                        ; implicit-def: $sgpr28
                                        ; implicit-def: $sgpr29
	s_delay_alu instid0(VALU_DEP_2) | instskip(NEXT) | instid1(VALU_DEP_2)
	v_lshl_add_u64 v[6:7], v[6:7], 2, s[18:19]
	v_lshl_add_u64 v[8:9], v[8:9], 2, s[18:19]
	s_branch .LBB1483_543
.LBB1483_542:                           ;   in Loop: Header=BB1483_543 Depth=1
	s_or_b32 exec_lo, exec_lo, s30
	s_delay_alu instid0(SALU_CYCLE_1) | instskip(NEXT) | instid1(SALU_CYCLE_1)
	s_and_b32 s30, exec_lo, s27
	s_or_b32 s25, s30, s25
	s_and_not1_b32 s29, s29, exec_lo
	s_and_b32 s0, s0, exec_lo
	s_and_not1_b32 s26, s26, exec_lo
	s_and_b32 s30, s28, exec_lo
	s_or_b32 s29, s29, s0
	s_or_b32 s26, s26, s30
	s_and_not1_b32 exec_lo, exec_lo, s25
	s_cbranch_execz .LBB1483_545
.LBB1483_543:                           ; =>This Inner Loop Header: Depth=1
	global_load_b32 v26, v[6:7], off
	global_load_b32 v27, v[8:9], off
	s_and_not1_b32 s28, s28, exec_lo
	s_or_b32 s27, s27, exec_lo
	s_wait_loadcnt 0x0
	v_cmp_le_u32_e32 vcc_lo, v26, v27
	v_cmp_lt_u32_e64 s0, v26, v27
	s_and_b32 s30, vcc_lo, s29
	s_delay_alu instid0(SALU_CYCLE_1) | instskip(NEXT) | instid1(SALU_CYCLE_1)
	s_or_b32 s0, s0, s30
	s_and_b32 s30, s0, exec_lo
	s_delay_alu instid0(SALU_CYCLE_1)
	s_or_b32 s28, s28, s30
	s_mov_b32 s30, exec_lo
	v_cmpx_eq_u32_e64 v26, v27
	s_cbranch_execz .LBB1483_542
; %bb.544:                              ;   in Loop: Header=BB1483_543 Depth=1
	s_add_nc_u64 s[6:7], s[6:7], -1
	v_add_nc_u64_e32 v[6:7], 4, v[6:7]
	s_cmp_eq_u64 s[6:7], 0
	v_add_nc_u64_e32 v[8:9], 4, v[8:9]
	s_cselect_b32 s29, -1, 0
	s_and_not1_b32 s27, s27, exec_lo
	s_and_b32 s29, s29, exec_lo
	s_and_not1_b32 s28, s28, exec_lo
	s_or_b32 s27, s27, s29
                                        ; implicit-def: $sgpr29
	s_branch .LBB1483_542
.LBB1483_545:
	s_or_b32 exec_lo, exec_lo, s25
	s_xor_b32 s0, s26, -1
	s_branch .LBB1483_547
.LBB1483_546:
	s_mov_b32 s0, -1
.LBB1483_547:
	s_delay_alu instid0(SALU_CYCLE_1)
	s_and_b32 s0, s0, exec_lo
.LBB1483_548:
	s_or_b32 exec_lo, exec_lo, s22
	s_delay_alu instid0(SALU_CYCLE_1)
	s_or_not1_b32 s22, s0, exec_lo
.LBB1483_549:
	s_or_b32 exec_lo, exec_lo, s24
	v_cndmask_b32_e64 v6, v24, v25, s22
	s_mov_b32 s24, exec_lo
	s_delay_alu instid0(VALU_DEP_1) | instskip(NEXT) | instid1(VALU_DEP_1)
	v_add_nc_u32_e32 v6, 1, v6
	v_dual_cndmask_b32 v7, v48, v50, s22 :: v_dual_cndmask_b32 v28, v6, v24, s22
	s_delay_alu instid0(VALU_DEP_1) | instskip(NEXT) | instid1(VALU_DEP_1)
	v_add_min_u32_e64 v7, v7, -1, v6
	v_lshl_add_u32 v7, v7, 3, v46
	ds_load_b64 v[8:9], v7
	s_wait_dscnt 0x0
	v_cndmask_b32_e64 v7, v9, v13, s22
	v_dual_cndmask_b32 v29, v25, v6, s22 :: v_dual_cndmask_b32 v6, v8, v12, s22
	v_dual_cndmask_b32 v25, v23, v9, s22 :: v_dual_cndmask_b32 v24, v22, v8, s22
	v_cmpx_lt_u32_e64 v28, v48
	s_cbranch_execz .LBB1483_560
; %bb.550:
	s_mov_b32 s0, 0
	s_mov_b32 s23, exec_lo
	v_cmpx_lt_u32_e64 v29, v50
	s_cbranch_execz .LBB1483_559
; %bb.551:
	v_cmp_ne_u32_e32 vcc_lo, 1, v45
	s_cbranch_vccnz .LBB1483_557
; %bb.552:
	v_mul_u64_e32 v[8:9], s[16:17], v[6:7]
	v_mul_u64_e32 v[26:27], s[16:17], v[24:25]
	s_mov_b32 s25, 0
	s_mov_b64 s[6:7], s[16:17]
                                        ; implicit-def: $sgpr26
                                        ; implicit-def: $sgpr27
                                        ; implicit-def: $sgpr28
                                        ; implicit-def: $sgpr29
	s_delay_alu instid0(VALU_DEP_2) | instskip(NEXT) | instid1(VALU_DEP_2)
	v_lshl_add_u64 v[8:9], v[8:9], 2, s[18:19]
	v_lshl_add_u64 v[26:27], v[26:27], 2, s[18:19]
	s_branch .LBB1483_554
.LBB1483_553:                           ;   in Loop: Header=BB1483_554 Depth=1
	s_or_b32 exec_lo, exec_lo, s30
	s_delay_alu instid0(SALU_CYCLE_1) | instskip(NEXT) | instid1(SALU_CYCLE_1)
	s_and_b32 s30, exec_lo, s27
	s_or_b32 s25, s30, s25
	s_and_not1_b32 s29, s29, exec_lo
	s_and_b32 s0, s0, exec_lo
	s_and_not1_b32 s26, s26, exec_lo
	s_and_b32 s30, s28, exec_lo
	s_or_b32 s29, s29, s0
	s_or_b32 s26, s26, s30
	s_and_not1_b32 exec_lo, exec_lo, s25
	s_cbranch_execz .LBB1483_556
.LBB1483_554:                           ; =>This Inner Loop Header: Depth=1
	global_load_b32 v30, v[8:9], off
	global_load_b32 v31, v[26:27], off
	s_and_not1_b32 s28, s28, exec_lo
	s_or_b32 s27, s27, exec_lo
	s_wait_loadcnt 0x0
	v_cmp_le_u32_e32 vcc_lo, v30, v31
	v_cmp_lt_u32_e64 s0, v30, v31
	s_and_b32 s30, vcc_lo, s29
	s_delay_alu instid0(SALU_CYCLE_1) | instskip(NEXT) | instid1(SALU_CYCLE_1)
	s_or_b32 s0, s0, s30
	s_and_b32 s30, s0, exec_lo
	s_delay_alu instid0(SALU_CYCLE_1)
	s_or_b32 s28, s28, s30
	s_mov_b32 s30, exec_lo
	v_cmpx_eq_u32_e64 v30, v31
	s_cbranch_execz .LBB1483_553
; %bb.555:                              ;   in Loop: Header=BB1483_554 Depth=1
	s_add_nc_u64 s[6:7], s[6:7], -1
	v_add_nc_u64_e32 v[8:9], 4, v[8:9]
	s_cmp_eq_u64 s[6:7], 0
	v_add_nc_u64_e32 v[26:27], 4, v[26:27]
	s_cselect_b32 s29, -1, 0
	s_and_not1_b32 s27, s27, exec_lo
	s_and_b32 s29, s29, exec_lo
	s_and_not1_b32 s28, s28, exec_lo
	s_or_b32 s27, s27, s29
                                        ; implicit-def: $sgpr29
	s_branch .LBB1483_553
.LBB1483_556:
	s_or_b32 exec_lo, exec_lo, s25
	s_xor_b32 s0, s26, -1
	s_branch .LBB1483_558
.LBB1483_557:
	s_mov_b32 s0, -1
.LBB1483_558:
	s_delay_alu instid0(SALU_CYCLE_1)
	s_and_b32 s0, s0, exec_lo
.LBB1483_559:
	s_or_b32 exec_lo, exec_lo, s23
	s_delay_alu instid0(SALU_CYCLE_1)
	s_or_not1_b32 s23, s0, exec_lo
.LBB1483_560:
	s_or_b32 exec_lo, exec_lo, s24
	v_cndmask_b32_e64 v8, v28, v29, s23
	v_cndmask_b32_e64 v9, v48, v50, s23
	s_mov_b32 s24, -1
	s_mov_b32 s25, -1
	s_mov_b32 s26, exec_lo
	v_add_nc_u32_e32 v8, 1, v8
	s_delay_alu instid0(VALU_DEP_1) | instskip(NEXT) | instid1(VALU_DEP_1)
	v_add_min_u32_e64 v9, v9, -1, v8
	v_lshl_add_u32 v9, v9, 3, v46
	ds_load_b64 v[26:27], v9
	v_cndmask_b32_e64 v32, v8, v28, s23
	s_wait_dscnt 0x0
	v_dual_cndmask_b32 v33, v29, v8, s23 :: v_dual_cndmask_b32 v9, v27, v7, s23
	v_dual_cndmask_b32 v8, v26, v6, s23 :: v_dual_cndmask_b32 v27, v25, v27, s23
	v_cndmask_b32_e64 v26, v24, v26, s23
	v_cmpx_lt_u32_e64 v32, v48
	s_cbranch_execz .LBB1483_571
; %bb.561:
	s_mov_b32 s0, 0
	s_mov_b32 s25, exec_lo
	v_cmpx_lt_u32_e64 v33, v50
	s_cbranch_execz .LBB1483_570
; %bb.562:
	v_cmp_ne_u32_e32 vcc_lo, 1, v45
	s_cbranch_vccnz .LBB1483_568
; %bb.563:
	v_mul_u64_e32 v[28:29], s[16:17], v[8:9]
	v_mul_u64_e32 v[30:31], s[16:17], v[26:27]
	s_mov_b32 s27, 0
	s_mov_b64 s[6:7], s[16:17]
                                        ; implicit-def: $sgpr28
                                        ; implicit-def: $sgpr29
                                        ; implicit-def: $sgpr30
                                        ; implicit-def: $sgpr31
	s_delay_alu instid0(VALU_DEP_2) | instskip(NEXT) | instid1(VALU_DEP_2)
	v_lshl_add_u64 v[28:29], v[28:29], 2, s[18:19]
	v_lshl_add_u64 v[30:31], v[30:31], 2, s[18:19]
	s_branch .LBB1483_565
.LBB1483_564:                           ;   in Loop: Header=BB1483_565 Depth=1
	s_or_b32 exec_lo, exec_lo, s33
	s_delay_alu instid0(SALU_CYCLE_1) | instskip(NEXT) | instid1(SALU_CYCLE_1)
	s_and_b32 s33, exec_lo, s29
	s_or_b32 s27, s33, s27
	s_and_not1_b32 s31, s31, exec_lo
	s_and_b32 s0, s0, exec_lo
	s_and_not1_b32 s28, s28, exec_lo
	s_and_b32 s33, s30, exec_lo
	s_or_b32 s31, s31, s0
	s_or_b32 s28, s28, s33
	s_and_not1_b32 exec_lo, exec_lo, s27
	s_cbranch_execz .LBB1483_567
.LBB1483_565:                           ; =>This Inner Loop Header: Depth=1
	global_load_b32 v34, v[28:29], off
	global_load_b32 v35, v[30:31], off
	s_and_not1_b32 s30, s30, exec_lo
	s_or_b32 s29, s29, exec_lo
	s_wait_loadcnt 0x0
	v_cmp_le_u32_e32 vcc_lo, v34, v35
	v_cmp_lt_u32_e64 s0, v34, v35
	s_and_b32 s33, vcc_lo, s31
	s_delay_alu instid0(SALU_CYCLE_1) | instskip(NEXT) | instid1(SALU_CYCLE_1)
	s_or_b32 s0, s0, s33
	s_and_b32 s33, s0, exec_lo
	s_delay_alu instid0(SALU_CYCLE_1)
	s_or_b32 s30, s30, s33
	s_mov_b32 s33, exec_lo
	v_cmpx_eq_u32_e64 v34, v35
	s_cbranch_execz .LBB1483_564
; %bb.566:                              ;   in Loop: Header=BB1483_565 Depth=1
	s_add_nc_u64 s[6:7], s[6:7], -1
	v_add_nc_u64_e32 v[28:29], 4, v[28:29]
	s_cmp_eq_u64 s[6:7], 0
	v_add_nc_u64_e32 v[30:31], 4, v[30:31]
	s_cselect_b32 s31, -1, 0
	s_and_not1_b32 s29, s29, exec_lo
	s_and_b32 s31, s31, exec_lo
	s_and_not1_b32 s30, s30, exec_lo
	s_or_b32 s29, s29, s31
                                        ; implicit-def: $sgpr31
	s_branch .LBB1483_564
.LBB1483_567:
	s_or_b32 exec_lo, exec_lo, s27
	s_xor_b32 s0, s28, -1
	s_branch .LBB1483_569
.LBB1483_568:
	s_mov_b32 s0, -1
.LBB1483_569:
	s_delay_alu instid0(SALU_CYCLE_1)
	s_and_b32 s0, s0, exec_lo
.LBB1483_570:
	s_or_b32 exec_lo, exec_lo, s25
	s_delay_alu instid0(SALU_CYCLE_1)
	s_or_not1_b32 s25, s0, exec_lo
.LBB1483_571:
	s_or_b32 exec_lo, exec_lo, s26
	v_cndmask_b32_e64 v28, v32, v33, s25
	v_cndmask_b32_e64 v29, v48, v50, s25
	s_mov_b32 s26, exec_lo
	s_delay_alu instid0(VALU_DEP_2) | instskip(NEXT) | instid1(VALU_DEP_1)
	v_add_nc_u32_e32 v28, 1, v28
	v_add_min_u32_e64 v29, v29, -1, v28
	s_delay_alu instid0(VALU_DEP_1)
	v_lshl_add_u32 v29, v29, 3, v46
	ds_load_b64 v[30:31], v29
	v_cndmask_b32_e64 v49, v28, v32, s25
	s_wait_dscnt 0x0
	v_dual_cndmask_b32 v47, v33, v28, s25 :: v_dual_cndmask_b32 v29, v31, v9, s25
	v_dual_cndmask_b32 v28, v30, v8, s25 :: v_dual_cndmask_b32 v31, v27, v31, s25
	v_cndmask_b32_e64 v30, v26, v30, s25
	v_cmpx_lt_u32_e64 v49, v48
	s_cbranch_execz .LBB1483_582
; %bb.572:
	s_mov_b32 s0, 0
	s_mov_b32 s24, exec_lo
	v_cmpx_lt_u32_e64 v47, v50
	s_cbranch_execz .LBB1483_581
; %bb.573:
	v_cmp_ne_u32_e32 vcc_lo, 1, v45
	s_cbranch_vccnz .LBB1483_579
; %bb.574:
	v_mul_u64_e32 v[32:33], s[16:17], v[28:29]
	v_mul_u64_e32 v[34:35], s[16:17], v[30:31]
	s_mov_b32 s27, 0
	s_mov_b64 s[6:7], s[16:17]
                                        ; implicit-def: $sgpr28
                                        ; implicit-def: $sgpr29
                                        ; implicit-def: $sgpr30
                                        ; implicit-def: $sgpr31
	s_delay_alu instid0(VALU_DEP_2) | instskip(NEXT) | instid1(VALU_DEP_2)
	v_lshl_add_u64 v[32:33], v[32:33], 2, s[18:19]
	v_lshl_add_u64 v[34:35], v[34:35], 2, s[18:19]
	s_branch .LBB1483_576
.LBB1483_575:                           ;   in Loop: Header=BB1483_576 Depth=1
	s_or_b32 exec_lo, exec_lo, s33
	s_delay_alu instid0(SALU_CYCLE_1) | instskip(NEXT) | instid1(SALU_CYCLE_1)
	s_and_b32 s33, exec_lo, s29
	s_or_b32 s27, s33, s27
	s_and_not1_b32 s31, s31, exec_lo
	s_and_b32 s0, s0, exec_lo
	s_and_not1_b32 s28, s28, exec_lo
	s_and_b32 s33, s30, exec_lo
	s_or_b32 s31, s31, s0
	s_or_b32 s28, s28, s33
	s_and_not1_b32 exec_lo, exec_lo, s27
	s_cbranch_execz .LBB1483_578
.LBB1483_576:                           ; =>This Inner Loop Header: Depth=1
	global_load_b32 v51, v[32:33], off
	global_load_b32 v52, v[34:35], off
	s_and_not1_b32 s30, s30, exec_lo
	s_or_b32 s29, s29, exec_lo
	s_wait_loadcnt 0x0
	v_cmp_le_u32_e32 vcc_lo, v51, v52
	v_cmp_lt_u32_e64 s0, v51, v52
	s_and_b32 s33, vcc_lo, s31
	s_delay_alu instid0(SALU_CYCLE_1) | instskip(NEXT) | instid1(SALU_CYCLE_1)
	s_or_b32 s0, s0, s33
	s_and_b32 s33, s0, exec_lo
	s_delay_alu instid0(SALU_CYCLE_1)
	s_or_b32 s30, s30, s33
	s_mov_b32 s33, exec_lo
	v_cmpx_eq_u32_e64 v51, v52
	s_cbranch_execz .LBB1483_575
; %bb.577:                              ;   in Loop: Header=BB1483_576 Depth=1
	s_add_nc_u64 s[6:7], s[6:7], -1
	v_add_nc_u64_e32 v[32:33], 4, v[32:33]
	s_cmp_eq_u64 s[6:7], 0
	v_add_nc_u64_e32 v[34:35], 4, v[34:35]
	s_cselect_b32 s31, -1, 0
	s_and_not1_b32 s29, s29, exec_lo
	s_and_b32 s31, s31, exec_lo
	s_and_not1_b32 s30, s30, exec_lo
	s_or_b32 s29, s29, s31
                                        ; implicit-def: $sgpr31
	s_branch .LBB1483_575
.LBB1483_578:
	s_or_b32 exec_lo, exec_lo, s27
	s_xor_b32 s0, s28, -1
	s_branch .LBB1483_580
.LBB1483_579:
	s_mov_b32 s0, -1
.LBB1483_580:
	s_delay_alu instid0(SALU_CYCLE_1)
	s_and_b32 s0, s0, exec_lo
.LBB1483_581:
	s_or_b32 exec_lo, exec_lo, s24
	s_delay_alu instid0(SALU_CYCLE_1)
	s_or_not1_b32 s24, s0, exec_lo
.LBB1483_582:
	s_or_b32 exec_lo, exec_lo, s26
	v_dual_cndmask_b32 v32, v49, v47, s24 :: v_dual_cndmask_b32 v33, v48, v50, s24
	v_dual_cndmask_b32 v8, v8, v26, s25 :: v_dual_cndmask_b32 v7, v7, v25, s23
	;; [unrolled: 1-line block ×3, first 2 shown]
	s_delay_alu instid0(VALU_DEP_3) | instskip(SKIP_2) | instid1(VALU_DEP_3)
	v_dual_add_nc_u32 v34, 1, v32 :: v_dual_cndmask_b32 v9, v9, v27, s25
	v_dual_cndmask_b32 v12, v12, v22, s22 :: v_dual_cndmask_b32 v11, v11, v21, s15
	v_dual_cndmask_b32 v10, v10, v20, s15 :: v_dual_cndmask_b32 v17, v15, v17, s14
	v_add_min_u32_e64 v32, v33, -1, v34
	v_dual_cndmask_b32 v16, v14, v16, s14 :: v_dual_cndmask_b32 v15, v5, v3, s5
	v_dual_cndmask_b32 v14, v4, v2, s5 :: v_dual_cndmask_b32 v20, v34, v49, s24
	s_delay_alu instid0(VALU_DEP_3)
	v_lshl_add_u32 v32, v32, 3, v46
	v_dual_cndmask_b32 v3, v29, v31, s24 :: v_dual_cndmask_b32 v2, v28, v30, s24
	s_mov_b32 s5, exec_lo
	ds_load_b64 v[32:33], v32
	s_wait_dscnt 0x0
	v_dual_cndmask_b32 v5, v31, v33, s24 :: v_dual_cndmask_b32 v4, v30, v32, s24
	v_cmpx_lt_u32_e64 v20, v48
	s_cbranch_execz .LBB1483_592
; %bb.583:
	v_dual_cndmask_b32 v22, v47, v34, s24 :: v_dual_cndmask_b32 v21, v33, v29, s24
	v_cndmask_b32_e64 v20, v32, v28, s24
	s_mov_b32 s14, exec_lo
	s_delay_alu instid0(VALU_DEP_2)
	v_cmpx_lt_u32_e64 v22, v50
	s_cbranch_execz .LBB1483_591
; %bb.584:
	v_cmp_ne_u32_e32 vcc_lo, 1, v45
	s_cbranch_vccnz .LBB1483_590
; %bb.585:
	v_mul_u64_e32 v[22:23], s[16:17], v[20:21]
	v_mul_u64_e32 v[24:25], s[16:17], v[4:5]
	s_mov_b32 s15, 0
	s_mov_b64 s[6:7], s[16:17]
                                        ; implicit-def: $sgpr22
                                        ; implicit-def: $sgpr23
                                        ; implicit-def: $sgpr24
                                        ; implicit-def: $sgpr25
	s_delay_alu instid0(VALU_DEP_2) | instskip(NEXT) | instid1(VALU_DEP_2)
	v_lshl_add_u64 v[22:23], v[22:23], 2, s[18:19]
	v_lshl_add_u64 v[24:25], v[24:25], 2, s[18:19]
	s_branch .LBB1483_587
.LBB1483_586:                           ;   in Loop: Header=BB1483_587 Depth=1
	s_or_b32 exec_lo, exec_lo, s26
	s_delay_alu instid0(SALU_CYCLE_1) | instskip(NEXT) | instid1(SALU_CYCLE_1)
	s_and_b32 s26, exec_lo, s23
	s_or_b32 s15, s26, s15
	s_and_not1_b32 s25, s25, exec_lo
	s_and_b32 s0, s0, exec_lo
	s_and_not1_b32 s22, s22, exec_lo
	s_and_b32 s26, s24, exec_lo
	s_or_b32 s25, s25, s0
	s_or_b32 s22, s22, s26
	s_and_not1_b32 exec_lo, exec_lo, s15
	s_cbranch_execz .LBB1483_589
.LBB1483_587:                           ; =>This Inner Loop Header: Depth=1
	global_load_b32 v26, v[22:23], off
	global_load_b32 v27, v[24:25], off
	s_and_not1_b32 s24, s24, exec_lo
	s_or_b32 s23, s23, exec_lo
	s_wait_loadcnt 0x0
	v_cmp_le_u32_e32 vcc_lo, v26, v27
	v_cmp_lt_u32_e64 s0, v26, v27
	s_and_b32 s26, vcc_lo, s25
	s_delay_alu instid0(SALU_CYCLE_1) | instskip(NEXT) | instid1(SALU_CYCLE_1)
	s_or_b32 s0, s0, s26
	s_and_b32 s26, s0, exec_lo
	s_delay_alu instid0(SALU_CYCLE_1)
	s_or_b32 s24, s24, s26
	s_mov_b32 s26, exec_lo
	v_cmpx_eq_u32_e64 v26, v27
	s_cbranch_execz .LBB1483_586
; %bb.588:                              ;   in Loop: Header=BB1483_587 Depth=1
	s_add_nc_u64 s[6:7], s[6:7], -1
	v_add_nc_u64_e32 v[22:23], 4, v[22:23]
	s_cmp_eq_u64 s[6:7], 0
	v_add_nc_u64_e32 v[24:25], 4, v[24:25]
	s_cselect_b32 s25, -1, 0
	s_and_not1_b32 s23, s23, exec_lo
	s_and_b32 s25, s25, exec_lo
	s_and_not1_b32 s24, s24, exec_lo
	s_or_b32 s23, s23, s25
                                        ; implicit-def: $sgpr25
	s_branch .LBB1483_586
.LBB1483_589:
	s_or_b32 exec_lo, exec_lo, s15
	v_dual_cndmask_b32 v5, v5, v21, s22 :: v_dual_cndmask_b32 v4, v4, v20, s22
.LBB1483_590:
	s_delay_alu instid0(VALU_DEP_1)
	v_mov_b64_e32 v[20:21], v[4:5]
.LBB1483_591:
	s_or_b32 exec_lo, exec_lo, s14
	s_delay_alu instid0(VALU_DEP_1)
	v_mov_b64_e32 v[4:5], v[20:21]
.LBB1483_592:
	s_or_b32 exec_lo, exec_lo, s5
.LBB1483_593:
	s_delay_alu instid0(SALU_CYCLE_1)
	s_or_b32 exec_lo, exec_lo, s1
	v_lshlrev_b32_e32 v24, 3, v1
	s_lshl_b64 s[6:7], s[16:17], 2
	s_movk_i32 s1, 0x80
	; wave barrier
	s_wait_dscnt 0x0
	s_barrier_signal -1
	s_barrier_wait -1
.LBB1483_594:                           ; =>This Loop Header: Depth=1
                                        ;     Child Loop BB1483_598 Depth 2
                                        ;       Child Loop BB1483_601 Depth 3
                                        ;     Child Loop BB1483_613 Depth 2
                                        ;     Child Loop BB1483_623 Depth 2
	;; [unrolled: 1-line block ×8, first 2 shown]
	s_lshl_b32 s5, s1, 1
	s_mov_b32 s22, exec_lo
	s_sub_co_i32 s0, 0, s5
	ds_store_b128 v24, v[14:17]
	ds_store_b128 v24, v[10:13] offset:16
	ds_store_b128 v24, v[6:9] offset:32
	;; [unrolled: 1-line block ×3, first 2 shown]
	v_and_b32_e32 v29, s0, v1
	s_add_co_i32 s0, s5, -1
	s_wait_dscnt 0x0
	v_and_b32_e32 v20, s0, v1
	s_barrier_signal -1
	v_add_min_u32_e64 v25, v29, s1, 0x800
	s_barrier_wait -1
	s_delay_alu instid0(VALU_DEP_2) | instskip(NEXT) | instid1(VALU_DEP_2)
	v_min_u32_e32 v30, 0x800, v20
	v_dual_lshlrev_b32 v28, 3, v29 :: v_dual_sub_nc_u32 v20, v25, v29
	v_add_min_u32_e64 v26, v25, s1, 0x800
	s_delay_alu instid0(VALU_DEP_2) | instskip(NEXT) | instid1(VALU_DEP_2)
	v_min_u32_e32 v31, v30, v20
	v_sub_nc_u32_e32 v21, v26, v25
	s_delay_alu instid0(VALU_DEP_1) | instskip(NEXT) | instid1(VALU_DEP_1)
	v_sub_nc_u32_e64 v27, v30, v21 clamp
	v_cmpx_lt_u32_e64 v27, v31
	s_cbranch_execz .LBB1483_604
; %bb.595:                              ;   in Loop: Header=BB1483_594 Depth=1
	v_lshlrev_b32_e32 v20, 3, v30
	s_mov_b32 s23, 0
	s_delay_alu instid0(VALU_DEP_1)
	v_lshl_add_u32 v32, v25, 3, v20
	s_branch .LBB1483_598
.LBB1483_596:                           ;   in Loop: Header=BB1483_598 Depth=2
	s_or_b32 exec_lo, exec_lo, s25
.LBB1483_597:                           ;   in Loop: Header=BB1483_598 Depth=2
	s_delay_alu instid0(VALU_DEP_1) | instskip(NEXT) | instid1(VALU_DEP_1)
	v_dual_add_nc_u32 v20, 1, v33 :: v_dual_cndmask_b32 v31, v31, v33, s24
	v_cndmask_b32_e64 v27, v20, v27, s24
	s_delay_alu instid0(VALU_DEP_1) | instskip(SKIP_1) | instid1(SALU_CYCLE_1)
	v_cmp_ge_u32_e32 vcc_lo, v27, v31
	s_or_b32 s23, vcc_lo, s23
	s_and_not1_b32 exec_lo, exec_lo, s23
	s_cbranch_execz .LBB1483_603
.LBB1483_598:                           ;   Parent Loop BB1483_594 Depth=1
                                        ; =>  This Loop Header: Depth=2
                                        ;       Child Loop BB1483_601 Depth 3
	v_add_nc_u32_e32 v20, v31, v27
	v_cmp_ne_u32_e32 vcc_lo, 1, v45
	s_mov_b32 s24, 0
	s_delay_alu instid0(VALU_DEP_2)
	v_lshrrev_b32_e32 v33, 1, v20
	s_cbranch_vccnz .LBB1483_597
; %bb.599:                              ;   in Loop: Header=BB1483_598 Depth=2
	s_delay_alu instid0(VALU_DEP_1) | instskip(SKIP_3) | instid1(VALU_DEP_2)
	v_not_b32_e32 v20, v33
	v_lshl_add_u32 v21, v33, 3, v28
	s_mov_b32 s25, 0
	s_mov_b64 s[14:15], s[16:17]
                                        ; implicit-def: $sgpr24
                                        ; implicit-def: $sgpr26
                                        ; implicit-def: $sgpr27
                                        ; implicit-def: $sgpr28
	v_lshl_add_u32 v20, v20, 3, v32
	ds_load_b64 v[34:35], v20
	ds_load_b64 v[46:47], v21
	s_wait_dscnt 0x1
	v_mad_nc_u64_u32 v[20:21], s6, v34, s[18:19]
	s_wait_dscnt 0x0
	v_mad_nc_u64_u32 v[22:23], s6, v46, s[18:19]
	s_delay_alu instid0(VALU_DEP_2) | instskip(NEXT) | instid1(VALU_DEP_2)
	v_mad_u32 v21, s7, v34, v21
	v_mad_u32 v23, s7, v46, v23
	s_delay_alu instid0(VALU_DEP_2) | instskip(NEXT) | instid1(VALU_DEP_2)
	v_mad_u32 v21, s6, v35, v21
	v_mad_u32 v23, s6, v47, v23
	s_branch .LBB1483_601
.LBB1483_600:                           ;   in Loop: Header=BB1483_601 Depth=3
	s_or_b32 exec_lo, exec_lo, s29
	s_delay_alu instid0(SALU_CYCLE_1) | instskip(NEXT) | instid1(SALU_CYCLE_1)
	s_and_b32 s29, exec_lo, s26
	s_or_b32 s25, s29, s25
	s_and_not1_b32 s28, s28, exec_lo
	s_and_b32 s0, s0, exec_lo
	s_and_not1_b32 s24, s24, exec_lo
	s_and_b32 s29, s27, exec_lo
	s_or_b32 s28, s28, s0
	s_or_b32 s24, s24, s29
	s_and_not1_b32 exec_lo, exec_lo, s25
	s_cbranch_execz .LBB1483_596
.LBB1483_601:                           ;   Parent Loop BB1483_594 Depth=1
                                        ;     Parent Loop BB1483_598 Depth=2
                                        ; =>    This Inner Loop Header: Depth=3
	global_load_b32 v34, v[20:21], off
	global_load_b32 v35, v[22:23], off
	s_and_not1_b32 s27, s27, exec_lo
	s_or_b32 s26, s26, exec_lo
	s_wait_loadcnt 0x0
	v_cmp_le_u32_e32 vcc_lo, v34, v35
	v_cmp_lt_u32_e64 s0, v34, v35
	s_and_b32 s29, vcc_lo, s28
	s_delay_alu instid0(SALU_CYCLE_1) | instskip(NEXT) | instid1(SALU_CYCLE_1)
	s_or_b32 s0, s0, s29
	s_and_b32 s29, s0, exec_lo
	s_delay_alu instid0(SALU_CYCLE_1)
	s_or_b32 s27, s27, s29
	s_mov_b32 s29, exec_lo
	v_cmpx_eq_u32_e64 v34, v35
	s_cbranch_execz .LBB1483_600
; %bb.602:                              ;   in Loop: Header=BB1483_601 Depth=3
	s_add_nc_u64 s[14:15], s[14:15], -1
	v_add_nc_u64_e32 v[20:21], 4, v[20:21]
	s_cmp_eq_u64 s[14:15], 0
	v_add_nc_u64_e32 v[22:23], 4, v[22:23]
	s_cselect_b32 s28, -1, 0
	s_and_not1_b32 s26, s26, exec_lo
	s_and_b32 s28, s28, exec_lo
	s_and_not1_b32 s27, s27, exec_lo
	s_or_b32 s26, s26, s28
                                        ; implicit-def: $sgpr28
	s_branch .LBB1483_600
.LBB1483_603:                           ;   in Loop: Header=BB1483_594 Depth=1
	s_or_b32 exec_lo, exec_lo, s23
.LBB1483_604:                           ;   in Loop: Header=BB1483_594 Depth=1
	s_delay_alu instid0(SALU_CYCLE_1) | instskip(SKIP_1) | instid1(VALU_DEP_1)
	s_or_b32 exec_lo, exec_lo, s22
	v_dual_sub_nc_u32 v21, v30, v27 :: v_dual_add_nc_u32 v20, v27, v29
	v_add_nc_u32_e32 v21, v21, v25
	s_delay_alu instid0(VALU_DEP_2) | instskip(NEXT) | instid1(VALU_DEP_2)
	v_cmp_le_u32_e32 vcc_lo, v20, v25
	v_cmp_le_u32_e64 s0, v21, v26
	s_or_b32 s0, vcc_lo, s0
	s_delay_alu instid0(SALU_CYCLE_1)
	s_and_saveexec_b32 s22, s0
	s_cbranch_execz .LBB1483_695
; %bb.605:                              ;   in Loop: Header=BB1483_594 Depth=1
	s_mov_b32 s14, exec_lo
	v_cmp_ge_u32_e32 vcc_lo, v20, v25
                                        ; implicit-def: $vgpr2_vgpr3
	v_cmpx_lt_u32_e64 v20, v25
; %bb.606:                              ;   in Loop: Header=BB1483_594 Depth=1
	v_lshl_add_u32 v2, v27, 3, v28
	ds_load_b64 v[2:3], v2
; %bb.607:                              ;   in Loop: Header=BB1483_594 Depth=1
	s_or_b32 exec_lo, exec_lo, s14
	v_cmp_ge_u32_e64 s23, v21, v26
	s_mov_b32 s14, exec_lo
                                        ; implicit-def: $vgpr14_vgpr15
	v_cmpx_lt_u32_e64 v21, v26
; %bb.608:                              ;   in Loop: Header=BB1483_594 Depth=1
	v_lshlrev_b32_e32 v4, 3, v21
	ds_load_b64 v[14:15], v4
; %bb.609:                              ;   in Loop: Header=BB1483_594 Depth=1
	s_or_b32 exec_lo, exec_lo, s14
	s_nor_b32 s0, vcc_lo, s23
	s_delay_alu instid0(SALU_CYCLE_1)
	s_and_saveexec_b32 s24, s0
	s_cbranch_execz .LBB1483_618
; %bb.610:                              ;   in Loop: Header=BB1483_594 Depth=1
	v_cmp_ne_u32_e32 vcc_lo, 1, v45
	s_cbranch_vccnz .LBB1483_616
; %bb.611:                              ;   in Loop: Header=BB1483_594 Depth=1
	s_wait_dscnt 0x0
	v_mad_nc_u64_u32 v[4:5], s6, v14, s[18:19]
	v_mad_nc_u64_u32 v[6:7], s6, v2, s[18:19]
	s_mov_b32 s25, 0
	s_mov_b64 s[14:15], s[16:17]
                                        ; implicit-def: $sgpr26
                                        ; implicit-def: $sgpr27
                                        ; implicit-def: $sgpr28
                                        ; implicit-def: $sgpr29
	s_delay_alu instid0(VALU_DEP_2) | instskip(NEXT) | instid1(VALU_DEP_2)
	v_mad_u32 v5, s7, v14, v5
	v_mad_u32 v7, s7, v2, v7
	s_delay_alu instid0(VALU_DEP_2) | instskip(NEXT) | instid1(VALU_DEP_2)
	v_mad_u32 v5, s6, v15, v5
	v_mad_u32 v7, s6, v3, v7
	s_branch .LBB1483_613
.LBB1483_612:                           ;   in Loop: Header=BB1483_613 Depth=2
	s_or_b32 exec_lo, exec_lo, s30
	s_delay_alu instid0(SALU_CYCLE_1) | instskip(NEXT) | instid1(SALU_CYCLE_1)
	s_and_b32 s30, exec_lo, s27
	s_or_b32 s25, s30, s25
	s_and_not1_b32 s29, s29, exec_lo
	s_and_b32 s0, s0, exec_lo
	s_and_not1_b32 s26, s26, exec_lo
	s_and_b32 s30, s28, exec_lo
	s_or_b32 s29, s29, s0
	s_or_b32 s26, s26, s30
	s_and_not1_b32 exec_lo, exec_lo, s25
	s_cbranch_execz .LBB1483_615
.LBB1483_613:                           ;   Parent Loop BB1483_594 Depth=1
                                        ; =>  This Inner Loop Header: Depth=2
	global_load_b32 v8, v[4:5], off
	global_load_b32 v9, v[6:7], off
	s_and_not1_b32 s28, s28, exec_lo
	s_or_b32 s27, s27, exec_lo
	s_wait_loadcnt 0x0
	v_cmp_le_u32_e32 vcc_lo, v8, v9
	v_cmp_lt_u32_e64 s0, v8, v9
	s_and_b32 s30, vcc_lo, s29
	s_delay_alu instid0(SALU_CYCLE_1) | instskip(NEXT) | instid1(SALU_CYCLE_1)
	s_or_b32 s0, s0, s30
	s_and_b32 s30, s0, exec_lo
	s_delay_alu instid0(SALU_CYCLE_1)
	s_or_b32 s28, s28, s30
	s_mov_b32 s30, exec_lo
	v_cmpx_eq_u32_e64 v8, v9
	s_cbranch_execz .LBB1483_612
; %bb.614:                              ;   in Loop: Header=BB1483_613 Depth=2
	s_add_nc_u64 s[14:15], s[14:15], -1
	v_add_nc_u64_e32 v[4:5], 4, v[4:5]
	s_cmp_eq_u64 s[14:15], 0
	v_add_nc_u64_e32 v[6:7], 4, v[6:7]
	s_cselect_b32 s29, -1, 0
	s_and_not1_b32 s27, s27, exec_lo
	s_and_b32 s29, s29, exec_lo
	s_and_not1_b32 s28, s28, exec_lo
	s_or_b32 s27, s27, s29
                                        ; implicit-def: $sgpr29
	s_branch .LBB1483_612
.LBB1483_615:                           ;   in Loop: Header=BB1483_594 Depth=1
	s_or_b32 exec_lo, exec_lo, s25
	s_xor_b32 s0, s26, -1
	s_branch .LBB1483_617
.LBB1483_616:                           ;   in Loop: Header=BB1483_594 Depth=1
	s_mov_b32 s0, -1
.LBB1483_617:                           ;   in Loop: Header=BB1483_594 Depth=1
	s_and_not1_b32 s14, s23, exec_lo
	s_and_b32 s0, s0, exec_lo
	s_delay_alu instid0(SALU_CYCLE_1)
	s_or_b32 s23, s14, s0
.LBB1483_618:                           ;   in Loop: Header=BB1483_594 Depth=1
	s_or_b32 exec_lo, exec_lo, s24
	v_dual_cndmask_b32 v4, v21, v20, s23 :: v_dual_cndmask_b32 v5, v26, v25, s23
	s_mov_b32 s25, -1
	s_mov_b32 s24, -1
	s_mov_b32 s26, exec_lo
	s_delay_alu instid0(VALU_DEP_1) | instskip(NEXT) | instid1(VALU_DEP_1)
	v_add_nc_u32_e32 v6, 1, v4
	v_add_min_u32_e64 v4, v5, -1, v6
	s_delay_alu instid0(VALU_DEP_1)
	v_dual_lshlrev_b32 v4, 3, v4 :: v_dual_cndmask_b32 v8, v6, v21, s23
	v_cndmask_b32_e64 v9, v20, v6, s23
	ds_load_b64 v[4:5], v4
	s_wait_dscnt 0x0
	v_dual_cndmask_b32 v16, v5, v15, s23 :: v_dual_cndmask_b32 v20, v4, v14, s23
	v_dual_cndmask_b32 v17, v3, v5, s23 :: v_dual_cndmask_b32 v21, v2, v4, s23
	v_cmpx_lt_u32_e64 v8, v26
	s_cbranch_execz .LBB1483_629
; %bb.619:                              ;   in Loop: Header=BB1483_594 Depth=1
	s_mov_b32 s0, 0
	s_mov_b32 s24, exec_lo
	v_cmpx_lt_u32_e64 v9, v25
	s_cbranch_execz .LBB1483_628
; %bb.620:                              ;   in Loop: Header=BB1483_594 Depth=1
	v_cmp_ne_u32_e32 vcc_lo, 1, v45
	s_cbranch_vccnz .LBB1483_626
; %bb.621:                              ;   in Loop: Header=BB1483_594 Depth=1
	v_mad_nc_u64_u32 v[4:5], s6, v20, s[18:19]
	v_mad_nc_u64_u32 v[6:7], s6, v21, s[18:19]
	s_mov_b32 s27, 0
	s_mov_b64 s[14:15], s[16:17]
                                        ; implicit-def: $sgpr28
                                        ; implicit-def: $sgpr29
                                        ; implicit-def: $sgpr30
                                        ; implicit-def: $sgpr31
	s_delay_alu instid0(VALU_DEP_2) | instskip(NEXT) | instid1(VALU_DEP_2)
	v_mad_u32 v5, s7, v20, v5
	v_mad_u32 v7, s7, v21, v7
	s_delay_alu instid0(VALU_DEP_2) | instskip(NEXT) | instid1(VALU_DEP_2)
	v_mad_u32 v5, s6, v16, v5
	v_mad_u32 v7, s6, v17, v7
	s_branch .LBB1483_623
.LBB1483_622:                           ;   in Loop: Header=BB1483_623 Depth=2
	s_or_b32 exec_lo, exec_lo, s33
	s_delay_alu instid0(SALU_CYCLE_1) | instskip(NEXT) | instid1(SALU_CYCLE_1)
	s_and_b32 s33, exec_lo, s29
	s_or_b32 s27, s33, s27
	s_and_not1_b32 s31, s31, exec_lo
	s_and_b32 s0, s0, exec_lo
	s_and_not1_b32 s28, s28, exec_lo
	s_and_b32 s33, s30, exec_lo
	s_or_b32 s31, s31, s0
	s_or_b32 s28, s28, s33
	s_and_not1_b32 exec_lo, exec_lo, s27
	s_cbranch_execz .LBB1483_625
.LBB1483_623:                           ;   Parent Loop BB1483_594 Depth=1
                                        ; =>  This Inner Loop Header: Depth=2
	global_load_b32 v10, v[4:5], off
	global_load_b32 v11, v[6:7], off
	s_and_not1_b32 s30, s30, exec_lo
	s_or_b32 s29, s29, exec_lo
	s_wait_loadcnt 0x0
	v_cmp_le_u32_e32 vcc_lo, v10, v11
	v_cmp_lt_u32_e64 s0, v10, v11
	s_and_b32 s33, vcc_lo, s31
	s_delay_alu instid0(SALU_CYCLE_1) | instskip(NEXT) | instid1(SALU_CYCLE_1)
	s_or_b32 s0, s0, s33
	s_and_b32 s33, s0, exec_lo
	s_delay_alu instid0(SALU_CYCLE_1)
	s_or_b32 s30, s30, s33
	s_mov_b32 s33, exec_lo
	v_cmpx_eq_u32_e64 v10, v11
	s_cbranch_execz .LBB1483_622
; %bb.624:                              ;   in Loop: Header=BB1483_623 Depth=2
	s_add_nc_u64 s[14:15], s[14:15], -1
	v_add_nc_u64_e32 v[4:5], 4, v[4:5]
	s_cmp_eq_u64 s[14:15], 0
	v_add_nc_u64_e32 v[6:7], 4, v[6:7]
	s_cselect_b32 s31, -1, 0
	s_and_not1_b32 s29, s29, exec_lo
	s_and_b32 s31, s31, exec_lo
	s_and_not1_b32 s30, s30, exec_lo
	s_or_b32 s29, s29, s31
                                        ; implicit-def: $sgpr31
	s_branch .LBB1483_622
.LBB1483_625:                           ;   in Loop: Header=BB1483_594 Depth=1
	s_or_b32 exec_lo, exec_lo, s27
	s_xor_b32 s0, s28, -1
	s_branch .LBB1483_627
.LBB1483_626:                           ;   in Loop: Header=BB1483_594 Depth=1
	s_mov_b32 s0, -1
.LBB1483_627:                           ;   in Loop: Header=BB1483_594 Depth=1
	s_delay_alu instid0(SALU_CYCLE_1)
	s_and_b32 s0, s0, exec_lo
.LBB1483_628:                           ;   in Loop: Header=BB1483_594 Depth=1
	s_or_b32 exec_lo, exec_lo, s24
	s_delay_alu instid0(SALU_CYCLE_1)
	s_or_not1_b32 s24, s0, exec_lo
.LBB1483_629:                           ;   in Loop: Header=BB1483_594 Depth=1
	s_or_b32 exec_lo, exec_lo, s26
	v_cndmask_b32_e64 v4, v8, v9, s24
	v_cndmask_b32_e64 v5, v26, v25, s24
	s_mov_b32 s26, exec_lo
	s_delay_alu instid0(VALU_DEP_2) | instskip(NEXT) | instid1(VALU_DEP_1)
	v_add_nc_u32_e32 v6, 1, v4
	v_add_min_u32_e64 v4, v5, -1, v6
	v_dual_cndmask_b32 v8, v6, v8, s24 :: v_dual_cndmask_b32 v9, v9, v6, s24
	s_delay_alu instid0(VALU_DEP_2)
	v_lshlrev_b32_e32 v4, 3, v4
	ds_load_b64 v[4:5], v4
	s_wait_dscnt 0x0
	v_cndmask_b32_e64 v22, v5, v16, s24
	v_dual_cndmask_b32 v23, v4, v20, s24 :: v_dual_cndmask_b32 v27, v17, v5, s24
	v_cndmask_b32_e64 v28, v21, v4, s24
	v_cmpx_lt_u32_e64 v8, v26
	s_cbranch_execz .LBB1483_640
; %bb.630:                              ;   in Loop: Header=BB1483_594 Depth=1
	s_mov_b32 s0, 0
	s_mov_b32 s25, exec_lo
	v_cmpx_lt_u32_e64 v9, v25
	s_cbranch_execz .LBB1483_639
; %bb.631:                              ;   in Loop: Header=BB1483_594 Depth=1
	v_cmp_ne_u32_e32 vcc_lo, 1, v45
	s_cbranch_vccnz .LBB1483_637
; %bb.632:                              ;   in Loop: Header=BB1483_594 Depth=1
	v_mad_nc_u64_u32 v[4:5], s6, v23, s[18:19]
	v_mad_nc_u64_u32 v[6:7], s6, v28, s[18:19]
	s_mov_b32 s27, 0
	s_mov_b64 s[14:15], s[16:17]
                                        ; implicit-def: $sgpr28
                                        ; implicit-def: $sgpr29
                                        ; implicit-def: $sgpr30
                                        ; implicit-def: $sgpr31
	s_delay_alu instid0(VALU_DEP_2) | instskip(NEXT) | instid1(VALU_DEP_2)
	v_mad_u32 v5, s7, v23, v5
	v_mad_u32 v7, s7, v28, v7
	s_delay_alu instid0(VALU_DEP_2) | instskip(NEXT) | instid1(VALU_DEP_2)
	v_mad_u32 v5, s6, v22, v5
	v_mad_u32 v7, s6, v27, v7
	s_branch .LBB1483_634
.LBB1483_633:                           ;   in Loop: Header=BB1483_634 Depth=2
	s_or_b32 exec_lo, exec_lo, s33
	s_delay_alu instid0(SALU_CYCLE_1) | instskip(NEXT) | instid1(SALU_CYCLE_1)
	s_and_b32 s33, exec_lo, s29
	s_or_b32 s27, s33, s27
	s_and_not1_b32 s31, s31, exec_lo
	s_and_b32 s0, s0, exec_lo
	s_and_not1_b32 s28, s28, exec_lo
	s_and_b32 s33, s30, exec_lo
	s_or_b32 s31, s31, s0
	s_or_b32 s28, s28, s33
	s_and_not1_b32 exec_lo, exec_lo, s27
	s_cbranch_execz .LBB1483_636
.LBB1483_634:                           ;   Parent Loop BB1483_594 Depth=1
                                        ; =>  This Inner Loop Header: Depth=2
	global_load_b32 v10, v[4:5], off
	global_load_b32 v11, v[6:7], off
	s_and_not1_b32 s30, s30, exec_lo
	s_or_b32 s29, s29, exec_lo
	s_wait_loadcnt 0x0
	v_cmp_le_u32_e32 vcc_lo, v10, v11
	v_cmp_lt_u32_e64 s0, v10, v11
	s_and_b32 s33, vcc_lo, s31
	s_delay_alu instid0(SALU_CYCLE_1) | instskip(NEXT) | instid1(SALU_CYCLE_1)
	s_or_b32 s0, s0, s33
	s_and_b32 s33, s0, exec_lo
	s_delay_alu instid0(SALU_CYCLE_1)
	s_or_b32 s30, s30, s33
	s_mov_b32 s33, exec_lo
	v_cmpx_eq_u32_e64 v10, v11
	s_cbranch_execz .LBB1483_633
; %bb.635:                              ;   in Loop: Header=BB1483_634 Depth=2
	s_add_nc_u64 s[14:15], s[14:15], -1
	v_add_nc_u64_e32 v[4:5], 4, v[4:5]
	s_cmp_eq_u64 s[14:15], 0
	v_add_nc_u64_e32 v[6:7], 4, v[6:7]
	s_cselect_b32 s31, -1, 0
	s_and_not1_b32 s29, s29, exec_lo
	s_and_b32 s31, s31, exec_lo
	s_and_not1_b32 s30, s30, exec_lo
	s_or_b32 s29, s29, s31
                                        ; implicit-def: $sgpr31
	s_branch .LBB1483_633
.LBB1483_636:                           ;   in Loop: Header=BB1483_594 Depth=1
	s_or_b32 exec_lo, exec_lo, s27
	s_xor_b32 s0, s28, -1
	s_branch .LBB1483_638
.LBB1483_637:                           ;   in Loop: Header=BB1483_594 Depth=1
	s_mov_b32 s0, -1
.LBB1483_638:                           ;   in Loop: Header=BB1483_594 Depth=1
	s_delay_alu instid0(SALU_CYCLE_1)
	s_and_b32 s0, s0, exec_lo
.LBB1483_639:                           ;   in Loop: Header=BB1483_594 Depth=1
	s_or_b32 exec_lo, exec_lo, s25
	s_delay_alu instid0(SALU_CYCLE_1)
	s_or_not1_b32 s25, s0, exec_lo
.LBB1483_640:                           ;   in Loop: Header=BB1483_594 Depth=1
	s_or_b32 exec_lo, exec_lo, s26
	v_cndmask_b32_e64 v4, v8, v9, s25
	v_cndmask_b32_e64 v5, v26, v25, s25
	s_mov_b32 s27, -1
	s_mov_b32 s26, -1
	s_mov_b32 s28, exec_lo
	v_add_nc_u32_e32 v6, 1, v4
	s_delay_alu instid0(VALU_DEP_1) | instskip(SKIP_1) | instid1(VALU_DEP_2)
	v_add_min_u32_e64 v4, v5, -1, v6
	v_dual_cndmask_b32 v8, v6, v8, s25 :: v_dual_cndmask_b32 v9, v9, v6, s25
	v_lshlrev_b32_e32 v4, 3, v4
	ds_load_b64 v[4:5], v4
	s_wait_dscnt 0x0
	v_dual_cndmask_b32 v12, v5, v22, s25 :: v_dual_cndmask_b32 v29, v4, v23, s25
	v_dual_cndmask_b32 v13, v27, v5, s25 :: v_dual_cndmask_b32 v30, v28, v4, s25
	v_cmpx_lt_u32_e64 v8, v26
	s_cbranch_execz .LBB1483_651
; %bb.641:                              ;   in Loop: Header=BB1483_594 Depth=1
	s_mov_b32 s0, 0
	s_mov_b32 s26, exec_lo
	v_cmpx_lt_u32_e64 v9, v25
	s_cbranch_execz .LBB1483_650
; %bb.642:                              ;   in Loop: Header=BB1483_594 Depth=1
	v_cmp_ne_u32_e32 vcc_lo, 1, v45
	s_cbranch_vccnz .LBB1483_648
; %bb.643:                              ;   in Loop: Header=BB1483_594 Depth=1
	v_mad_nc_u64_u32 v[4:5], s6, v29, s[18:19]
	v_mad_nc_u64_u32 v[6:7], s6, v30, s[18:19]
	s_mov_b32 s29, 0
	s_mov_b64 s[14:15], s[16:17]
                                        ; implicit-def: $sgpr30
                                        ; implicit-def: $sgpr31
                                        ; implicit-def: $sgpr33
                                        ; implicit-def: $sgpr34
	s_delay_alu instid0(VALU_DEP_2) | instskip(NEXT) | instid1(VALU_DEP_2)
	v_mad_u32 v5, s7, v29, v5
	v_mad_u32 v7, s7, v30, v7
	s_delay_alu instid0(VALU_DEP_2) | instskip(NEXT) | instid1(VALU_DEP_2)
	v_mad_u32 v5, s6, v12, v5
	v_mad_u32 v7, s6, v13, v7
	s_branch .LBB1483_645
.LBB1483_644:                           ;   in Loop: Header=BB1483_645 Depth=2
	s_or_b32 exec_lo, exec_lo, s35
	s_delay_alu instid0(SALU_CYCLE_1) | instskip(NEXT) | instid1(SALU_CYCLE_1)
	s_and_b32 s35, exec_lo, s31
	s_or_b32 s29, s35, s29
	s_and_not1_b32 s34, s34, exec_lo
	s_and_b32 s0, s0, exec_lo
	s_and_not1_b32 s30, s30, exec_lo
	s_and_b32 s35, s33, exec_lo
	s_or_b32 s34, s34, s0
	s_or_b32 s30, s30, s35
	s_and_not1_b32 exec_lo, exec_lo, s29
	s_cbranch_execz .LBB1483_647
.LBB1483_645:                           ;   Parent Loop BB1483_594 Depth=1
                                        ; =>  This Inner Loop Header: Depth=2
	global_load_b32 v10, v[4:5], off
	global_load_b32 v11, v[6:7], off
	s_and_not1_b32 s33, s33, exec_lo
	s_or_b32 s31, s31, exec_lo
	s_wait_loadcnt 0x0
	v_cmp_le_u32_e32 vcc_lo, v10, v11
	v_cmp_lt_u32_e64 s0, v10, v11
	s_and_b32 s35, vcc_lo, s34
	s_delay_alu instid0(SALU_CYCLE_1) | instskip(NEXT) | instid1(SALU_CYCLE_1)
	s_or_b32 s0, s0, s35
	s_and_b32 s35, s0, exec_lo
	s_delay_alu instid0(SALU_CYCLE_1)
	s_or_b32 s33, s33, s35
	s_mov_b32 s35, exec_lo
	v_cmpx_eq_u32_e64 v10, v11
	s_cbranch_execz .LBB1483_644
; %bb.646:                              ;   in Loop: Header=BB1483_645 Depth=2
	s_add_nc_u64 s[14:15], s[14:15], -1
	v_add_nc_u64_e32 v[4:5], 4, v[4:5]
	s_cmp_eq_u64 s[14:15], 0
	v_add_nc_u64_e32 v[6:7], 4, v[6:7]
	s_cselect_b32 s34, -1, 0
	s_and_not1_b32 s31, s31, exec_lo
	s_and_b32 s34, s34, exec_lo
	s_and_not1_b32 s33, s33, exec_lo
	s_or_b32 s31, s31, s34
                                        ; implicit-def: $sgpr34
	s_branch .LBB1483_644
.LBB1483_647:                           ;   in Loop: Header=BB1483_594 Depth=1
	s_or_b32 exec_lo, exec_lo, s29
	s_xor_b32 s0, s30, -1
	s_branch .LBB1483_649
.LBB1483_648:                           ;   in Loop: Header=BB1483_594 Depth=1
	s_mov_b32 s0, -1
.LBB1483_649:                           ;   in Loop: Header=BB1483_594 Depth=1
	s_delay_alu instid0(SALU_CYCLE_1)
	s_and_b32 s0, s0, exec_lo
.LBB1483_650:                           ;   in Loop: Header=BB1483_594 Depth=1
	s_or_b32 exec_lo, exec_lo, s26
	s_delay_alu instid0(SALU_CYCLE_1)
	s_or_not1_b32 s26, s0, exec_lo
.LBB1483_651:                           ;   in Loop: Header=BB1483_594 Depth=1
	s_or_b32 exec_lo, exec_lo, s28
	v_cndmask_b32_e64 v4, v8, v9, s26
	v_cndmask_b32_e64 v5, v26, v25, s26
	s_mov_b32 s28, exec_lo
	s_delay_alu instid0(VALU_DEP_2) | instskip(NEXT) | instid1(VALU_DEP_1)
	v_add_nc_u32_e32 v6, 1, v4
	v_add_min_u32_e64 v4, v5, -1, v6
	v_dual_cndmask_b32 v8, v6, v8, s26 :: v_dual_cndmask_b32 v9, v9, v6, s26
	s_delay_alu instid0(VALU_DEP_2)
	v_lshlrev_b32_e32 v4, 3, v4
	ds_load_b64 v[4:5], v4
	s_wait_dscnt 0x0
	v_dual_cndmask_b32 v31, v5, v12, s26 :: v_dual_cndmask_b32 v32, v4, v29, s26
	v_dual_cndmask_b32 v33, v13, v5, s26 :: v_dual_cndmask_b32 v34, v30, v4, s26
	v_cmpx_lt_u32_e64 v8, v26
	s_cbranch_execz .LBB1483_662
; %bb.652:                              ;   in Loop: Header=BB1483_594 Depth=1
	s_mov_b32 s0, 0
	s_mov_b32 s27, exec_lo
	v_cmpx_lt_u32_e64 v9, v25
	s_cbranch_execz .LBB1483_661
; %bb.653:                              ;   in Loop: Header=BB1483_594 Depth=1
	v_cmp_ne_u32_e32 vcc_lo, 1, v45
	s_cbranch_vccnz .LBB1483_659
; %bb.654:                              ;   in Loop: Header=BB1483_594 Depth=1
	v_mad_nc_u64_u32 v[4:5], s6, v32, s[18:19]
	v_mad_nc_u64_u32 v[6:7], s6, v34, s[18:19]
	s_mov_b32 s29, 0
	s_mov_b64 s[14:15], s[16:17]
                                        ; implicit-def: $sgpr30
                                        ; implicit-def: $sgpr31
                                        ; implicit-def: $sgpr33
                                        ; implicit-def: $sgpr34
	s_delay_alu instid0(VALU_DEP_2) | instskip(NEXT) | instid1(VALU_DEP_2)
	v_mad_u32 v5, s7, v32, v5
	v_mad_u32 v7, s7, v34, v7
	s_delay_alu instid0(VALU_DEP_2) | instskip(NEXT) | instid1(VALU_DEP_2)
	v_mad_u32 v5, s6, v31, v5
	v_mad_u32 v7, s6, v33, v7
	s_branch .LBB1483_656
.LBB1483_655:                           ;   in Loop: Header=BB1483_656 Depth=2
	s_or_b32 exec_lo, exec_lo, s35
	s_delay_alu instid0(SALU_CYCLE_1) | instskip(NEXT) | instid1(SALU_CYCLE_1)
	s_and_b32 s35, exec_lo, s31
	s_or_b32 s29, s35, s29
	s_and_not1_b32 s34, s34, exec_lo
	s_and_b32 s0, s0, exec_lo
	s_and_not1_b32 s30, s30, exec_lo
	s_and_b32 s35, s33, exec_lo
	s_or_b32 s34, s34, s0
	s_or_b32 s30, s30, s35
	s_and_not1_b32 exec_lo, exec_lo, s29
	s_cbranch_execz .LBB1483_658
.LBB1483_656:                           ;   Parent Loop BB1483_594 Depth=1
                                        ; =>  This Inner Loop Header: Depth=2
	global_load_b32 v10, v[4:5], off
	global_load_b32 v11, v[6:7], off
	s_and_not1_b32 s33, s33, exec_lo
	s_or_b32 s31, s31, exec_lo
	s_wait_loadcnt 0x0
	v_cmp_le_u32_e32 vcc_lo, v10, v11
	v_cmp_lt_u32_e64 s0, v10, v11
	s_and_b32 s35, vcc_lo, s34
	s_delay_alu instid0(SALU_CYCLE_1) | instskip(NEXT) | instid1(SALU_CYCLE_1)
	s_or_b32 s0, s0, s35
	s_and_b32 s35, s0, exec_lo
	s_delay_alu instid0(SALU_CYCLE_1)
	s_or_b32 s33, s33, s35
	s_mov_b32 s35, exec_lo
	v_cmpx_eq_u32_e64 v10, v11
	s_cbranch_execz .LBB1483_655
; %bb.657:                              ;   in Loop: Header=BB1483_656 Depth=2
	s_add_nc_u64 s[14:15], s[14:15], -1
	v_add_nc_u64_e32 v[4:5], 4, v[4:5]
	s_cmp_eq_u64 s[14:15], 0
	v_add_nc_u64_e32 v[6:7], 4, v[6:7]
	s_cselect_b32 s34, -1, 0
	s_and_not1_b32 s31, s31, exec_lo
	s_and_b32 s34, s34, exec_lo
	s_and_not1_b32 s33, s33, exec_lo
	s_or_b32 s31, s31, s34
                                        ; implicit-def: $sgpr34
	s_branch .LBB1483_655
.LBB1483_658:                           ;   in Loop: Header=BB1483_594 Depth=1
	s_or_b32 exec_lo, exec_lo, s29
	s_xor_b32 s0, s30, -1
	s_branch .LBB1483_660
.LBB1483_659:                           ;   in Loop: Header=BB1483_594 Depth=1
	s_mov_b32 s0, -1
.LBB1483_660:                           ;   in Loop: Header=BB1483_594 Depth=1
	s_delay_alu instid0(SALU_CYCLE_1)
	s_and_b32 s0, s0, exec_lo
.LBB1483_661:                           ;   in Loop: Header=BB1483_594 Depth=1
	s_or_b32 exec_lo, exec_lo, s27
	s_delay_alu instid0(SALU_CYCLE_1)
	s_or_not1_b32 s27, s0, exec_lo
.LBB1483_662:                           ;   in Loop: Header=BB1483_594 Depth=1
	s_or_b32 exec_lo, exec_lo, s28
	v_cndmask_b32_e64 v4, v8, v9, s27
	v_cndmask_b32_e64 v5, v26, v25, s27
	s_mov_b32 s28, -1
	s_mov_b32 s29, -1
	s_mov_b32 s30, exec_lo
	v_add_nc_u32_e32 v6, 1, v4
	s_delay_alu instid0(VALU_DEP_1) | instskip(SKIP_1) | instid1(VALU_DEP_2)
	v_add_min_u32_e64 v4, v5, -1, v6
	v_dual_cndmask_b32 v8, v6, v8, s27 :: v_dual_cndmask_b32 v9, v9, v6, s27
	v_lshlrev_b32_e32 v4, 3, v4
	ds_load_b64 v[4:5], v4
	s_wait_dscnt 0x0
	v_dual_cndmask_b32 v35, v5, v31, s27 :: v_dual_cndmask_b32 v46, v4, v32, s27
	v_dual_cndmask_b32 v47, v33, v5, s27 :: v_dual_cndmask_b32 v48, v34, v4, s27
	v_cmpx_lt_u32_e64 v8, v26
	s_cbranch_execz .LBB1483_673
; %bb.663:                              ;   in Loop: Header=BB1483_594 Depth=1
	s_mov_b32 s0, 0
	s_mov_b32 s29, exec_lo
	v_cmpx_lt_u32_e64 v9, v25
	s_cbranch_execz .LBB1483_672
; %bb.664:                              ;   in Loop: Header=BB1483_594 Depth=1
	v_cmp_ne_u32_e32 vcc_lo, 1, v45
	s_cbranch_vccnz .LBB1483_670
; %bb.665:                              ;   in Loop: Header=BB1483_594 Depth=1
	v_mad_nc_u64_u32 v[4:5], s6, v46, s[18:19]
	v_mad_nc_u64_u32 v[6:7], s6, v48, s[18:19]
	s_mov_b32 s31, 0
	s_mov_b64 s[14:15], s[16:17]
                                        ; implicit-def: $sgpr33
                                        ; implicit-def: $sgpr34
                                        ; implicit-def: $sgpr35
                                        ; implicit-def: $sgpr36
	s_delay_alu instid0(VALU_DEP_2) | instskip(NEXT) | instid1(VALU_DEP_2)
	v_mad_u32 v5, s7, v46, v5
	v_mad_u32 v7, s7, v48, v7
	s_delay_alu instid0(VALU_DEP_2) | instskip(NEXT) | instid1(VALU_DEP_2)
	v_mad_u32 v5, s6, v35, v5
	v_mad_u32 v7, s6, v47, v7
	s_branch .LBB1483_667
.LBB1483_666:                           ;   in Loop: Header=BB1483_667 Depth=2
	s_or_b32 exec_lo, exec_lo, s37
	s_delay_alu instid0(SALU_CYCLE_1) | instskip(NEXT) | instid1(SALU_CYCLE_1)
	s_and_b32 s37, exec_lo, s34
	s_or_b32 s31, s37, s31
	s_and_not1_b32 s36, s36, exec_lo
	s_and_b32 s0, s0, exec_lo
	s_and_not1_b32 s33, s33, exec_lo
	s_and_b32 s37, s35, exec_lo
	s_or_b32 s36, s36, s0
	s_or_b32 s33, s33, s37
	s_and_not1_b32 exec_lo, exec_lo, s31
	s_cbranch_execz .LBB1483_669
.LBB1483_667:                           ;   Parent Loop BB1483_594 Depth=1
                                        ; =>  This Inner Loop Header: Depth=2
	global_load_b32 v10, v[4:5], off
	global_load_b32 v11, v[6:7], off
	s_and_not1_b32 s35, s35, exec_lo
	s_or_b32 s34, s34, exec_lo
	s_wait_loadcnt 0x0
	v_cmp_le_u32_e32 vcc_lo, v10, v11
	v_cmp_lt_u32_e64 s0, v10, v11
	s_and_b32 s37, vcc_lo, s36
	s_delay_alu instid0(SALU_CYCLE_1) | instskip(NEXT) | instid1(SALU_CYCLE_1)
	s_or_b32 s0, s0, s37
	s_and_b32 s37, s0, exec_lo
	s_delay_alu instid0(SALU_CYCLE_1)
	s_or_b32 s35, s35, s37
	s_mov_b32 s37, exec_lo
	v_cmpx_eq_u32_e64 v10, v11
	s_cbranch_execz .LBB1483_666
; %bb.668:                              ;   in Loop: Header=BB1483_667 Depth=2
	s_add_nc_u64 s[14:15], s[14:15], -1
	v_add_nc_u64_e32 v[4:5], 4, v[4:5]
	s_cmp_eq_u64 s[14:15], 0
	v_add_nc_u64_e32 v[6:7], 4, v[6:7]
	s_cselect_b32 s36, -1, 0
	s_and_not1_b32 s34, s34, exec_lo
	s_and_b32 s36, s36, exec_lo
	s_and_not1_b32 s35, s35, exec_lo
	s_or_b32 s34, s34, s36
                                        ; implicit-def: $sgpr36
	s_branch .LBB1483_666
.LBB1483_669:                           ;   in Loop: Header=BB1483_594 Depth=1
	s_or_b32 exec_lo, exec_lo, s31
	s_xor_b32 s0, s33, -1
	s_branch .LBB1483_671
.LBB1483_670:                           ;   in Loop: Header=BB1483_594 Depth=1
	s_mov_b32 s0, -1
.LBB1483_671:                           ;   in Loop: Header=BB1483_594 Depth=1
	s_delay_alu instid0(SALU_CYCLE_1)
	s_and_b32 s0, s0, exec_lo
.LBB1483_672:                           ;   in Loop: Header=BB1483_594 Depth=1
	s_or_b32 exec_lo, exec_lo, s29
	s_delay_alu instid0(SALU_CYCLE_1)
	s_or_not1_b32 s29, s0, exec_lo
.LBB1483_673:                           ;   in Loop: Header=BB1483_594 Depth=1
	s_or_b32 exec_lo, exec_lo, s30
	v_cndmask_b32_e64 v4, v8, v9, s29
	v_cndmask_b32_e64 v5, v26, v25, s29
	s_mov_b32 s30, exec_lo
	s_delay_alu instid0(VALU_DEP_2) | instskip(NEXT) | instid1(VALU_DEP_1)
	v_add_nc_u32_e32 v6, 1, v4
	v_add_min_u32_e64 v4, v5, -1, v6
	v_dual_cndmask_b32 v10, v6, v8, s29 :: v_dual_cndmask_b32 v8, v9, v6, s29
	s_delay_alu instid0(VALU_DEP_2)
	v_lshlrev_b32_e32 v4, 3, v4
	ds_load_b64 v[4:5], v4
	s_wait_dscnt 0x0
	v_dual_cndmask_b32 v49, v5, v35, s29 :: v_dual_cndmask_b32 v50, v4, v46, s29
	v_dual_cndmask_b32 v51, v47, v5, s29 :: v_dual_cndmask_b32 v52, v48, v4, s29
	v_cmpx_lt_u32_e64 v10, v26
	s_cbranch_execz .LBB1483_684
; %bb.674:                              ;   in Loop: Header=BB1483_594 Depth=1
	s_mov_b32 s0, 0
	s_mov_b32 s28, exec_lo
	v_cmpx_lt_u32_e64 v8, v25
	s_cbranch_execz .LBB1483_683
; %bb.675:                              ;   in Loop: Header=BB1483_594 Depth=1
	v_cmp_ne_u32_e32 vcc_lo, 1, v45
	s_cbranch_vccnz .LBB1483_681
; %bb.676:                              ;   in Loop: Header=BB1483_594 Depth=1
	v_mad_nc_u64_u32 v[4:5], s6, v50, s[18:19]
	v_mad_nc_u64_u32 v[6:7], s6, v52, s[18:19]
	s_mov_b32 s31, 0
	s_mov_b64 s[14:15], s[16:17]
                                        ; implicit-def: $sgpr33
                                        ; implicit-def: $sgpr34
                                        ; implicit-def: $sgpr35
                                        ; implicit-def: $sgpr36
	s_delay_alu instid0(VALU_DEP_2) | instskip(NEXT) | instid1(VALU_DEP_2)
	v_mad_u32 v5, s7, v50, v5
	v_mad_u32 v7, s7, v52, v7
	s_delay_alu instid0(VALU_DEP_2) | instskip(NEXT) | instid1(VALU_DEP_2)
	v_mad_u32 v5, s6, v49, v5
	v_mad_u32 v7, s6, v51, v7
	s_branch .LBB1483_678
.LBB1483_677:                           ;   in Loop: Header=BB1483_678 Depth=2
	s_or_b32 exec_lo, exec_lo, s37
	s_delay_alu instid0(SALU_CYCLE_1) | instskip(NEXT) | instid1(SALU_CYCLE_1)
	s_and_b32 s37, exec_lo, s34
	s_or_b32 s31, s37, s31
	s_and_not1_b32 s36, s36, exec_lo
	s_and_b32 s0, s0, exec_lo
	s_and_not1_b32 s33, s33, exec_lo
	s_and_b32 s37, s35, exec_lo
	s_or_b32 s36, s36, s0
	s_or_b32 s33, s33, s37
	s_and_not1_b32 exec_lo, exec_lo, s31
	s_cbranch_execz .LBB1483_680
.LBB1483_678:                           ;   Parent Loop BB1483_594 Depth=1
                                        ; =>  This Inner Loop Header: Depth=2
	global_load_b32 v9, v[4:5], off
	global_load_b32 v11, v[6:7], off
	s_and_not1_b32 s35, s35, exec_lo
	s_or_b32 s34, s34, exec_lo
	s_wait_loadcnt 0x0
	v_cmp_le_u32_e32 vcc_lo, v9, v11
	v_cmp_lt_u32_e64 s0, v9, v11
	s_and_b32 s37, vcc_lo, s36
	s_delay_alu instid0(SALU_CYCLE_1) | instskip(NEXT) | instid1(SALU_CYCLE_1)
	s_or_b32 s0, s0, s37
	s_and_b32 s37, s0, exec_lo
	s_delay_alu instid0(SALU_CYCLE_1)
	s_or_b32 s35, s35, s37
	s_mov_b32 s37, exec_lo
	v_cmpx_eq_u32_e64 v9, v11
	s_cbranch_execz .LBB1483_677
; %bb.679:                              ;   in Loop: Header=BB1483_678 Depth=2
	s_add_nc_u64 s[14:15], s[14:15], -1
	v_add_nc_u64_e32 v[4:5], 4, v[4:5]
	s_cmp_eq_u64 s[14:15], 0
	v_add_nc_u64_e32 v[6:7], 4, v[6:7]
	s_cselect_b32 s36, -1, 0
	s_and_not1_b32 s34, s34, exec_lo
	s_and_b32 s36, s36, exec_lo
	s_and_not1_b32 s35, s35, exec_lo
	s_or_b32 s34, s34, s36
                                        ; implicit-def: $sgpr36
	s_branch .LBB1483_677
.LBB1483_680:                           ;   in Loop: Header=BB1483_594 Depth=1
	s_or_b32 exec_lo, exec_lo, s31
	s_xor_b32 s0, s33, -1
	s_branch .LBB1483_682
.LBB1483_681:                           ;   in Loop: Header=BB1483_594 Depth=1
	s_mov_b32 s0, -1
.LBB1483_682:                           ;   in Loop: Header=BB1483_594 Depth=1
	s_delay_alu instid0(SALU_CYCLE_1)
	s_and_b32 s0, s0, exec_lo
.LBB1483_683:                           ;   in Loop: Header=BB1483_594 Depth=1
	s_or_b32 exec_lo, exec_lo, s28
	s_delay_alu instid0(SALU_CYCLE_1)
	s_or_not1_b32 s28, s0, exec_lo
.LBB1483_684:                           ;   in Loop: Header=BB1483_594 Depth=1
	s_or_b32 exec_lo, exec_lo, s30
	v_cndmask_b32_e64 v4, v10, v8, s28
	v_cndmask_b32_e64 v5, v26, v25, s28
	s_mov_b32 s30, exec_lo
	s_delay_alu instid0(VALU_DEP_2) | instskip(NEXT) | instid1(VALU_DEP_1)
	v_add_nc_u32_e32 v9, 1, v4
	v_add_min_u32_e64 v4, v5, -1, v9
	s_delay_alu instid0(VALU_DEP_1)
	v_dual_cndmask_b32 v10, v9, v10, s28 :: v_dual_lshlrev_b32 v4, 3, v4
	ds_load_b64 v[6:7], v4
	s_wait_dscnt 0x0
	v_dual_cndmask_b32 v5, v51, v7, s28 :: v_dual_cndmask_b32 v4, v52, v6, s28
	v_cmpx_lt_u32_e64 v10, v26
	s_cbranch_execz .LBB1483_694
; %bb.685:                              ;   in Loop: Header=BB1483_594 Depth=1
	v_dual_cndmask_b32 v8, v8, v9, s28 :: v_dual_cndmask_b32 v6, v6, v50, s28
	v_cndmask_b32_e64 v7, v7, v49, s28
	s_mov_b32 s31, exec_lo
	s_delay_alu instid0(VALU_DEP_2)
	v_cmpx_lt_u32_e64 v8, v25
	s_cbranch_execz .LBB1483_693
; %bb.686:                              ;   in Loop: Header=BB1483_594 Depth=1
	v_cmp_ne_u32_e32 vcc_lo, 1, v45
	s_cbranch_vccnz .LBB1483_692
; %bb.687:                              ;   in Loop: Header=BB1483_594 Depth=1
	v_mad_nc_u64_u32 v[8:9], s6, v6, s[18:19]
	v_mad_nc_u64_u32 v[10:11], s6, v4, s[18:19]
	s_mov_b32 s33, 0
	s_mov_b64 s[14:15], s[16:17]
                                        ; implicit-def: $sgpr34
                                        ; implicit-def: $sgpr35
                                        ; implicit-def: $sgpr36
                                        ; implicit-def: $sgpr37
	s_delay_alu instid0(VALU_DEP_2) | instskip(NEXT) | instid1(VALU_DEP_2)
	v_mad_u32 v9, s7, v6, v9
	v_mad_u32 v11, s7, v4, v11
	s_delay_alu instid0(VALU_DEP_2) | instskip(NEXT) | instid1(VALU_DEP_2)
	v_mad_u32 v9, s6, v7, v9
	v_mad_u32 v11, s6, v5, v11
	s_branch .LBB1483_689
.LBB1483_688:                           ;   in Loop: Header=BB1483_689 Depth=2
	s_or_b32 exec_lo, exec_lo, s38
	s_delay_alu instid0(SALU_CYCLE_1) | instskip(NEXT) | instid1(SALU_CYCLE_1)
	s_and_b32 s38, exec_lo, s35
	s_or_b32 s33, s38, s33
	s_and_not1_b32 s37, s37, exec_lo
	s_and_b32 s0, s0, exec_lo
	s_and_not1_b32 s34, s34, exec_lo
	s_and_b32 s38, s36, exec_lo
	s_or_b32 s37, s37, s0
	s_or_b32 s34, s34, s38
	s_and_not1_b32 exec_lo, exec_lo, s33
	s_cbranch_execz .LBB1483_691
.LBB1483_689:                           ;   Parent Loop BB1483_594 Depth=1
                                        ; =>  This Inner Loop Header: Depth=2
	global_load_b32 v25, v[8:9], off
	global_load_b32 v26, v[10:11], off
	s_and_not1_b32 s36, s36, exec_lo
	s_or_b32 s35, s35, exec_lo
	s_wait_loadcnt 0x0
	v_cmp_le_u32_e32 vcc_lo, v25, v26
	v_cmp_lt_u32_e64 s0, v25, v26
	s_and_b32 s38, vcc_lo, s37
	s_delay_alu instid0(SALU_CYCLE_1) | instskip(NEXT) | instid1(SALU_CYCLE_1)
	s_or_b32 s0, s0, s38
	s_and_b32 s38, s0, exec_lo
	s_delay_alu instid0(SALU_CYCLE_1)
	s_or_b32 s36, s36, s38
	s_mov_b32 s38, exec_lo
	v_cmpx_eq_u32_e64 v25, v26
	s_cbranch_execz .LBB1483_688
; %bb.690:                              ;   in Loop: Header=BB1483_689 Depth=2
	s_add_nc_u64 s[14:15], s[14:15], -1
	v_add_nc_u64_e32 v[8:9], 4, v[8:9]
	s_cmp_eq_u64 s[14:15], 0
	v_add_nc_u64_e32 v[10:11], 4, v[10:11]
	s_cselect_b32 s37, -1, 0
	s_and_not1_b32 s35, s35, exec_lo
	s_and_b32 s37, s37, exec_lo
	s_and_not1_b32 s36, s36, exec_lo
	s_or_b32 s35, s35, s37
                                        ; implicit-def: $sgpr37
	s_branch .LBB1483_688
.LBB1483_691:                           ;   in Loop: Header=BB1483_594 Depth=1
	s_or_b32 exec_lo, exec_lo, s33
	v_dual_cndmask_b32 v5, v5, v7, s34 :: v_dual_cndmask_b32 v4, v4, v6, s34
.LBB1483_692:                           ;   in Loop: Header=BB1483_594 Depth=1
	s_delay_alu instid0(VALU_DEP_1)
	v_mov_b64_e32 v[6:7], v[4:5]
.LBB1483_693:                           ;   in Loop: Header=BB1483_594 Depth=1
	s_or_b32 exec_lo, exec_lo, s31
	s_delay_alu instid0(VALU_DEP_1)
	v_mov_b64_e32 v[4:5], v[6:7]
.LBB1483_694:                           ;   in Loop: Header=BB1483_594 Depth=1
	s_or_b32 exec_lo, exec_lo, s30
	v_dual_cndmask_b32 v9, v35, v47, s29 :: v_dual_cndmask_b32 v8, v46, v48, s29
	v_dual_cndmask_b32 v7, v31, v33, s27 :: v_dual_cndmask_b32 v6, v32, v34, s27
	;; [unrolled: 1-line block ×7, first 2 shown]
.LBB1483_695:                           ;   in Loop: Header=BB1483_594 Depth=1
	s_or_b32 exec_lo, exec_lo, s22
	s_cmp_lt_u32 s1, 0x400
	s_barrier_signal -1
	s_barrier_wait -1
	s_cbranch_scc0 .LBB1483_697
; %bb.696:                              ;   in Loop: Header=BB1483_594 Depth=1
	s_mov_b32 s1, s5
	s_branch .LBB1483_594
.LBB1483_697:
	s_barrier_signal -1
	s_barrier_wait -1
	ds_store_2addr_b64 v44, v[14:15], v[16:17] offset1:1
	ds_store_2addr_b64 v44, v[10:11], v[12:13] offset0:2 offset1:3
	ds_store_2addr_b64 v44, v[6:7], v[8:9] offset0:4 offset1:5
	ds_store_2addr_b64 v44, v[2:3], v[4:5] offset0:6 offset1:7
	s_wait_dscnt 0x0
	s_barrier_signal -1
	s_barrier_wait -1
	ds_load_b64 v[4:5], v36
	ds_load_b64 v[6:7], v37 offset:2048
	ds_load_b64 v[8:9], v38 offset:4096
	;; [unrolled: 1-line block ×7, first 2 shown]
	s_mov_b32 s24, -1
	s_wait_dscnt 0x7
	global_store_b64 v18, v[4:5], s[20:21] scale_offset
	s_wait_dscnt 0x6
	global_store_b64 v18, v[6:7], s[20:21] offset:2048 scale_offset
	s_wait_dscnt 0x5
	global_store_b64 v18, v[8:9], s[20:21] offset:4096 scale_offset
	;; [unrolled: 2-line block ×6, first 2 shown]
	s_branch .LBB1483_1484
.LBB1483_698:
	s_lshl_b64 s[0:1], s[2:3], 11
                                        ; implicit-def: $vgpr2_vgpr3
	s_delay_alu instid0(SALU_CYCLE_1) | instskip(NEXT) | instid1(SALU_CYCLE_1)
	s_sub_co_i32 s25, s4, s0
	v_cmp_gt_u32_e64 s0, s25, v18
	s_wait_xcnt 0x0
	s_and_saveexec_b32 s1, s0
	s_cbranch_execz .LBB1483_700
; %bb.699:
	s_wait_dscnt 0x0
	global_load_b64 v[2:3], v18, s[12:13] scale_offset
.LBB1483_700:
	s_wait_xcnt 0x0
	s_or_b32 exec_lo, exec_lo, s1
	v_add_nc_u32_e32 v1, 0x100, v18
                                        ; implicit-def: $vgpr4_vgpr5
	s_delay_alu instid0(VALU_DEP_1)
	v_cmp_gt_u32_e64 s1, s25, v1
	s_and_saveexec_b32 s2, s1
	s_cbranch_execz .LBB1483_702
; %bb.701:
	global_load_b64 v[4:5], v18, s[12:13] offset:2048 scale_offset
.LBB1483_702:
	s_wait_xcnt 0x0
	s_or_b32 exec_lo, exec_lo, s2
	v_add_nc_u32_e32 v19, 0x200, v18
                                        ; implicit-def: $vgpr6_vgpr7
	s_delay_alu instid0(VALU_DEP_1)
	v_cmp_gt_u32_e64 s2, s25, v19
	s_and_saveexec_b32 s3, s2
	s_cbranch_execz .LBB1483_704
; %bb.703:
	global_load_b64 v[6:7], v18, s[12:13] offset:4096 scale_offset
.LBB1483_704:
	s_wait_xcnt 0x0
	s_or_b32 exec_lo, exec_lo, s3
	v_add_nc_u32_e32 v20, 0x300, v18
                                        ; implicit-def: $vgpr10_vgpr11
	s_delay_alu instid0(VALU_DEP_1)
	v_cmp_gt_u32_e64 s3, s25, v20
	s_and_saveexec_b32 s4, s3
	s_cbranch_execz .LBB1483_706
; %bb.705:
	global_load_b64 v[10:11], v18, s[12:13] offset:6144 scale_offset
.LBB1483_706:
	s_wait_xcnt 0x0
	s_or_b32 exec_lo, exec_lo, s4
	v_or_b32_e32 v22, 0x400, v18
                                        ; implicit-def: $vgpr8_vgpr9
	s_delay_alu instid0(VALU_DEP_1)
	v_cmp_gt_u32_e64 s4, s25, v22
	s_and_saveexec_b32 s5, s4
	s_cbranch_execz .LBB1483_708
; %bb.707:
	global_load_b64 v[8:9], v18, s[12:13] offset:8192 scale_offset
.LBB1483_708:
	s_wait_xcnt 0x0
	s_or_b32 exec_lo, exec_lo, s5
	v_add_nc_u32_e32 v23, 0x500, v18
                                        ; implicit-def: $vgpr12_vgpr13
	s_delay_alu instid0(VALU_DEP_1)
	v_cmp_gt_u32_e64 s5, s25, v23
	s_and_saveexec_b32 s6, s5
	s_cbranch_execz .LBB1483_710
; %bb.709:
	global_load_b64 v[12:13], v18, s[12:13] offset:10240 scale_offset
.LBB1483_710:
	s_wait_xcnt 0x0
	s_or_b32 exec_lo, exec_lo, s6
	v_add_nc_u32_e32 v24, 0x600, v18
                                        ; implicit-def: $vgpr14_vgpr15
	s_delay_alu instid0(VALU_DEP_1)
	v_cmp_gt_u32_e64 s6, s25, v24
	s_and_saveexec_b32 s7, s6
	s_cbranch_execz .LBB1483_712
; %bb.711:
	global_load_b64 v[14:15], v18, s[12:13] offset:12288 scale_offset
.LBB1483_712:
	s_wait_xcnt 0x0
	s_or_b32 exec_lo, exec_lo, s7
	v_add_nc_u32_e32 v25, 0x700, v18
                                        ; implicit-def: $vgpr16_vgpr17
	s_delay_alu instid0(VALU_DEP_1)
	v_cmp_gt_u32_e64 s24, s25, v25
	s_and_saveexec_b32 s7, s24
	s_cbranch_execz .LBB1483_714
; %bb.713:
	global_load_b64 v[16:17], v18, s[12:13] offset:14336 scale_offset
.LBB1483_714:
	s_wait_xcnt 0x0
	s_or_b32 exec_lo, exec_lo, s7
	v_dual_lshrrev_b32 v21, 2, v18 :: v_dual_lshrrev_b32 v1, 2, v1
	v_dual_lshrrev_b32 v19, 2, v19 :: v_dual_lshrrev_b32 v26, 2, v20
	v_lshlrev_b32_e32 v20, 3, v18
	s_delay_alu instid0(VALU_DEP_3) | instskip(NEXT) | instid1(VALU_DEP_4)
	v_and_b32_e32 v21, 0xf8, v21
	v_and_b32_e32 v1, 0x1f8, v1
	s_delay_alu instid0(VALU_DEP_4)
	v_and_b32_e32 v27, 0x1f8, v19
	v_and_b32_e32 v26, 0x1f8, v26
	s_cmp_lt_u32 s9, s8
	v_add_nc_u32_e32 v19, v21, v20
	v_dual_add_nc_u32 v21, v1, v20 :: v_dual_lshrrev_b32 v1, 2, v22
	v_dual_lshrrev_b32 v22, 2, v23 :: v_dual_add_nc_u32 v36, v27, v20
	v_add_nc_u32_e32 v37, v26, v20
	v_dual_lshrrev_b32 v23, 2, v24 :: v_dual_lshrrev_b32 v24, 2, v25
	s_wait_loadcnt_dscnt 0x0
	ds_store_b64 v19, v[2:3]
	ds_store_b64 v21, v[4:5] offset:2048
	ds_store_b64 v36, v[6:7] offset:4096
	;; [unrolled: 1-line block ×3, first 2 shown]
	v_and_b32_e32 v1, 0x1f8, v1
	v_lshlrev_b32_e32 v5, 1, v18
	v_and_b32_e32 v2, 0x3f8, v22
	v_and_b32_e32 v3, 0x3f8, v23
	;; [unrolled: 1-line block ×3, first 2 shown]
	v_add_nc_u32_e32 v38, v1, v20
	v_and_b32_e32 v1, 0x7f8, v5
	s_delay_alu instid0(VALU_DEP_4) | instskip(NEXT) | instid1(VALU_DEP_4)
	v_dual_add_nc_u32 v39, v2, v20 :: v_dual_add_nc_u32 v40, v3, v20
	v_add_nc_u32_e32 v41, v4, v20
	ds_store_b64 v38, v[8:9] offset:8192
	ds_store_b64 v39, v[12:13] offset:10240
	;; [unrolled: 1-line block ×4, first 2 shown]
	v_lshl_add_u32 v42, v18, 6, v1
	s_wait_storecnt_dscnt 0x0
	s_barrier_signal -1
	s_barrier_wait -1
	ds_load_2addr_b64 v[14:17], v42 offset1:1
	ds_load_2addr_b64 v[10:13], v42 offset0:2 offset1:3
	ds_load_2addr_b64 v[6:9], v42 offset0:4 offset1:5
	;; [unrolled: 1-line block ×3, first 2 shown]
	s_wait_dscnt 0x0
	s_barrier_signal -1
	s_barrier_wait -1
	s_load_u16 s7, s[10:11], 0xe
	s_cselect_b32 s8, 12, 18
	s_mov_b32 s9, 0
	v_bfe_u32 v1, v0, 10, 10
	s_add_nc_u64 s[8:9], s[10:11], s[8:9]
	v_bfe_u32 v0, v0, 20, 10
	s_load_u16 s8, s[8:9], 0x0
	v_cmp_gt_i64_e64 s26, s[16:17], 0
	s_wait_kmcnt 0x0
	s_delay_alu instid0(VALU_DEP_2) | instskip(NEXT) | instid1(VALU_DEP_1)
	v_mad_u32_u24 v0, v0, s7, v1
	v_mul_lo_u32 v0, v0, s8
	s_delay_alu instid0(VALU_DEP_1) | instskip(NEXT) | instid1(VALU_DEP_1)
	v_add_lshl_u32 v24, v0, v18, 3
	v_sub_nc_u32_e64 v25, s25, v24 clamp
	s_delay_alu instid0(VALU_DEP_1)
	v_cmp_lt_u32_e64 s7, 1, v25
	s_and_saveexec_b32 s12, s7
	s_cbranch_execz .LBB1483_723
; %bb.715:
	s_and_not1_b32 vcc_lo, exec_lo, s26
	s_cbranch_vccnz .LBB1483_723
; %bb.716:
	v_mul_u64_e32 v[0:1], s[16:17], v[16:17]
	v_mul_u64_e32 v[22:23], s[16:17], v[14:15]
	s_mov_b32 s14, 0
	s_mov_b64 s[10:11], s[16:17]
                                        ; implicit-def: $sgpr13
                                        ; implicit-def: $sgpr15
                                        ; implicit-def: $sgpr23
                                        ; implicit-def: $sgpr22
                                        ; implicit-def: $sgpr27
	s_delay_alu instid0(VALU_DEP_2) | instskip(NEXT) | instid1(VALU_DEP_2)
	v_lshl_add_u64 v[0:1], v[0:1], 2, s[18:19]
	v_lshl_add_u64 v[22:23], v[22:23], 2, s[18:19]
	s_branch .LBB1483_718
.LBB1483_717:                           ;   in Loop: Header=BB1483_718 Depth=1
	s_or_b32 exec_lo, exec_lo, s28
	s_and_b32 s8, s8, s27
	s_delay_alu instid0(SALU_CYCLE_1) | instskip(SKIP_1) | instid1(SALU_CYCLE_1)
	s_or_b32 s8, vcc_lo, s8
	s_and_b32 s9, exec_lo, s23
	s_or_b32 s14, s9, s14
	s_and_not1_b32 s9, s27, exec_lo
	s_and_b32 s8, s8, exec_lo
	s_and_not1_b32 s15, s15, exec_lo
	s_and_b32 s28, s22, exec_lo
	s_or_b32 s27, s9, s8
	s_and_not1_b32 s9, s13, exec_lo
	s_or_b32 s15, s15, s28
	s_or_b32 s13, s9, s8
	s_and_not1_b32 exec_lo, exec_lo, s14
	s_cbranch_execz .LBB1483_720
.LBB1483_718:                           ; =>This Inner Loop Header: Depth=1
	global_load_b32 v26, v[0:1], off
	global_load_b32 v27, v[22:23], off
	s_or_b32 s22, s22, exec_lo
	s_or_b32 s23, s23, exec_lo
	s_mov_b32 s28, exec_lo
	s_wait_loadcnt 0x0
	v_cmp_le_u32_e64 s8, v26, v27
	v_cmp_lt_u32_e32 vcc_lo, v26, v27
	v_cmpx_eq_u32_e64 v26, v27
	s_cbranch_execz .LBB1483_717
; %bb.719:                              ;   in Loop: Header=BB1483_718 Depth=1
	s_add_nc_u64 s[10:11], s[10:11], -1
	v_add_nc_u64_e32 v[0:1], 4, v[0:1]
	s_cmp_eq_u64 s[10:11], 0
	v_add_nc_u64_e32 v[22:23], 4, v[22:23]
	s_cselect_b32 s9, -1, 0
	s_and_not1_b32 s23, s23, exec_lo
	s_and_b32 s9, s9, exec_lo
	s_and_not1_b32 s22, s22, exec_lo
	s_or_b32 s23, s23, s9
	s_branch .LBB1483_717
.LBB1483_720:
	s_or_b32 exec_lo, exec_lo, s14
	s_and_saveexec_b32 s8, s15
	s_delay_alu instid0(SALU_CYCLE_1)
	s_xor_b32 s8, exec_lo, s8
; %bb.721:
	v_dual_cndmask_b32 v1, v17, v15, s13 :: v_dual_cndmask_b32 v0, v16, v14, s13
	v_dual_cndmask_b32 v15, v15, v17, s13 :: v_dual_cndmask_b32 v14, v14, v16, s13
	s_delay_alu instid0(VALU_DEP_2)
	v_mov_b64_e32 v[16:17], v[0:1]
; %bb.722:
	s_or_b32 exec_lo, exec_lo, s8
.LBB1483_723:
	s_delay_alu instid0(SALU_CYCLE_1)
	s_or_b32 exec_lo, exec_lo, s12
	v_cmp_lt_u32_e64 s8, 3, v25
	s_and_saveexec_b32 s11, s8
	s_cbranch_execz .LBB1483_732
; %bb.724:
	s_and_not1_b32 vcc_lo, exec_lo, s26
	s_cbranch_vccnz .LBB1483_732
; %bb.725:
	v_mul_u64_e32 v[0:1], s[16:17], v[12:13]
	v_mul_u64_e32 v[22:23], s[16:17], v[10:11]
	s_mov_b32 s15, 0
	s_mov_b64 s[12:13], s[16:17]
                                        ; implicit-def: $sgpr14
                                        ; implicit-def: $sgpr22
                                        ; implicit-def: $sgpr27
                                        ; implicit-def: $sgpr23
                                        ; implicit-def: $sgpr28
	s_delay_alu instid0(VALU_DEP_2) | instskip(NEXT) | instid1(VALU_DEP_2)
	v_lshl_add_u64 v[0:1], v[0:1], 2, s[18:19]
	v_lshl_add_u64 v[22:23], v[22:23], 2, s[18:19]
	s_branch .LBB1483_727
.LBB1483_726:                           ;   in Loop: Header=BB1483_727 Depth=1
	s_or_b32 exec_lo, exec_lo, s29
	s_and_b32 s9, s9, s28
	s_delay_alu instid0(SALU_CYCLE_1) | instskip(SKIP_1) | instid1(SALU_CYCLE_1)
	s_or_b32 s9, vcc_lo, s9
	s_and_b32 s10, exec_lo, s27
	s_or_b32 s15, s10, s15
	s_and_not1_b32 s10, s28, exec_lo
	s_and_b32 s9, s9, exec_lo
	s_and_not1_b32 s22, s22, exec_lo
	s_and_b32 s29, s23, exec_lo
	s_or_b32 s28, s10, s9
	s_and_not1_b32 s10, s14, exec_lo
	s_or_b32 s22, s22, s29
	s_or_b32 s14, s10, s9
	s_and_not1_b32 exec_lo, exec_lo, s15
	s_cbranch_execz .LBB1483_729
.LBB1483_727:                           ; =>This Inner Loop Header: Depth=1
	global_load_b32 v26, v[0:1], off
	global_load_b32 v27, v[22:23], off
	s_or_b32 s23, s23, exec_lo
	s_or_b32 s27, s27, exec_lo
	s_mov_b32 s29, exec_lo
	s_wait_loadcnt 0x0
	v_cmp_le_u32_e64 s9, v26, v27
	v_cmp_lt_u32_e32 vcc_lo, v26, v27
	v_cmpx_eq_u32_e64 v26, v27
	s_cbranch_execz .LBB1483_726
; %bb.728:                              ;   in Loop: Header=BB1483_727 Depth=1
	s_add_nc_u64 s[12:13], s[12:13], -1
	v_add_nc_u64_e32 v[0:1], 4, v[0:1]
	s_cmp_eq_u64 s[12:13], 0
	v_add_nc_u64_e32 v[22:23], 4, v[22:23]
	s_cselect_b32 s10, -1, 0
	s_and_not1_b32 s27, s27, exec_lo
	s_and_b32 s10, s10, exec_lo
	s_and_not1_b32 s23, s23, exec_lo
	s_or_b32 s27, s27, s10
	s_branch .LBB1483_726
.LBB1483_729:
	s_or_b32 exec_lo, exec_lo, s15
	s_and_saveexec_b32 s9, s22
	s_delay_alu instid0(SALU_CYCLE_1)
	s_xor_b32 s9, exec_lo, s9
; %bb.730:
	v_dual_cndmask_b32 v1, v11, v13, s14 :: v_dual_cndmask_b32 v0, v10, v12, s14
	v_dual_cndmask_b32 v13, v13, v11, s14 :: v_dual_cndmask_b32 v12, v12, v10, s14
	s_delay_alu instid0(VALU_DEP_2)
	v_mov_b64_e32 v[10:11], v[0:1]
; %bb.731:
	s_or_b32 exec_lo, exec_lo, s9
.LBB1483_732:
	s_delay_alu instid0(SALU_CYCLE_1)
	s_or_b32 exec_lo, exec_lo, s11
	v_cmp_lt_u32_e64 s9, 5, v25
	s_and_saveexec_b32 s14, s9
	s_cbranch_execz .LBB1483_741
; %bb.733:
	s_and_not1_b32 vcc_lo, exec_lo, s26
	s_cbranch_vccnz .LBB1483_741
; %bb.734:
	v_mul_u64_e32 v[0:1], s[16:17], v[8:9]
	v_mul_u64_e32 v[22:23], s[16:17], v[6:7]
	s_mov_b32 s22, 0
	s_mov_b64 s[12:13], s[16:17]
                                        ; implicit-def: $sgpr15
                                        ; implicit-def: $sgpr23
                                        ; implicit-def: $sgpr28
                                        ; implicit-def: $sgpr27
                                        ; implicit-def: $sgpr29
	s_delay_alu instid0(VALU_DEP_2) | instskip(NEXT) | instid1(VALU_DEP_2)
	v_lshl_add_u64 v[0:1], v[0:1], 2, s[18:19]
	v_lshl_add_u64 v[22:23], v[22:23], 2, s[18:19]
	s_branch .LBB1483_736
.LBB1483_735:                           ;   in Loop: Header=BB1483_736 Depth=1
	s_or_b32 exec_lo, exec_lo, s30
	s_and_b32 s10, s10, s29
	s_delay_alu instid0(SALU_CYCLE_1) | instskip(SKIP_1) | instid1(SALU_CYCLE_1)
	s_or_b32 s10, vcc_lo, s10
	s_and_b32 s11, exec_lo, s28
	s_or_b32 s22, s11, s22
	s_and_not1_b32 s11, s29, exec_lo
	s_and_b32 s10, s10, exec_lo
	s_and_not1_b32 s23, s23, exec_lo
	s_and_b32 s30, s27, exec_lo
	s_or_b32 s29, s11, s10
	s_and_not1_b32 s11, s15, exec_lo
	s_or_b32 s23, s23, s30
	s_or_b32 s15, s11, s10
	s_and_not1_b32 exec_lo, exec_lo, s22
	s_cbranch_execz .LBB1483_738
.LBB1483_736:                           ; =>This Inner Loop Header: Depth=1
	global_load_b32 v26, v[0:1], off
	global_load_b32 v27, v[22:23], off
	s_or_b32 s27, s27, exec_lo
	s_or_b32 s28, s28, exec_lo
	s_mov_b32 s30, exec_lo
	s_wait_loadcnt 0x0
	v_cmp_le_u32_e64 s10, v26, v27
	v_cmp_lt_u32_e32 vcc_lo, v26, v27
	v_cmpx_eq_u32_e64 v26, v27
	s_cbranch_execz .LBB1483_735
; %bb.737:                              ;   in Loop: Header=BB1483_736 Depth=1
	s_add_nc_u64 s[12:13], s[12:13], -1
	v_add_nc_u64_e32 v[0:1], 4, v[0:1]
	s_cmp_eq_u64 s[12:13], 0
	v_add_nc_u64_e32 v[22:23], 4, v[22:23]
	s_cselect_b32 s11, -1, 0
	s_and_not1_b32 s28, s28, exec_lo
	s_and_b32 s11, s11, exec_lo
	s_and_not1_b32 s27, s27, exec_lo
	s_or_b32 s28, s28, s11
	s_branch .LBB1483_735
.LBB1483_738:
	s_or_b32 exec_lo, exec_lo, s22
	s_and_saveexec_b32 s10, s23
	s_delay_alu instid0(SALU_CYCLE_1)
	s_xor_b32 s10, exec_lo, s10
; %bb.739:
	v_dual_cndmask_b32 v1, v7, v9, s15 :: v_dual_cndmask_b32 v0, v6, v8, s15
	v_dual_cndmask_b32 v9, v9, v7, s15 :: v_dual_cndmask_b32 v8, v8, v6, s15
	s_delay_alu instid0(VALU_DEP_2)
	v_mov_b64_e32 v[6:7], v[0:1]
; %bb.740:
	s_or_b32 exec_lo, exec_lo, s10
.LBB1483_741:
	s_delay_alu instid0(SALU_CYCLE_1)
	s_or_b32 exec_lo, exec_lo, s14
	v_cmp_lt_u32_e64 s10, 7, v25
	s_and_saveexec_b32 s13, s10
	s_cbranch_execz .LBB1483_750
; %bb.742:
	s_and_not1_b32 vcc_lo, exec_lo, s26
	s_cbranch_vccnz .LBB1483_750
; %bb.743:
	v_mul_u64_e32 v[0:1], s[16:17], v[4:5]
	v_mul_u64_e32 v[22:23], s[16:17], v[2:3]
	s_mov_b32 s23, 0
	s_mov_b64 s[14:15], s[16:17]
                                        ; implicit-def: $sgpr22
                                        ; implicit-def: $sgpr27
                                        ; implicit-def: $sgpr29
                                        ; implicit-def: $sgpr28
                                        ; implicit-def: $sgpr30
	s_delay_alu instid0(VALU_DEP_2) | instskip(NEXT) | instid1(VALU_DEP_2)
	v_lshl_add_u64 v[0:1], v[0:1], 2, s[18:19]
	v_lshl_add_u64 v[22:23], v[22:23], 2, s[18:19]
	s_branch .LBB1483_745
.LBB1483_744:                           ;   in Loop: Header=BB1483_745 Depth=1
	s_or_b32 exec_lo, exec_lo, s31
	s_and_b32 s11, s11, s30
	s_delay_alu instid0(SALU_CYCLE_1) | instskip(SKIP_1) | instid1(SALU_CYCLE_1)
	s_or_b32 s11, vcc_lo, s11
	s_and_b32 s12, exec_lo, s29
	s_or_b32 s23, s12, s23
	s_and_not1_b32 s12, s30, exec_lo
	s_and_b32 s11, s11, exec_lo
	s_and_not1_b32 s27, s27, exec_lo
	s_and_b32 s31, s28, exec_lo
	s_or_b32 s30, s12, s11
	s_and_not1_b32 s12, s22, exec_lo
	s_or_b32 s27, s27, s31
	s_or_b32 s22, s12, s11
	s_and_not1_b32 exec_lo, exec_lo, s23
	s_cbranch_execz .LBB1483_747
.LBB1483_745:                           ; =>This Inner Loop Header: Depth=1
	global_load_b32 v26, v[0:1], off
	global_load_b32 v27, v[22:23], off
	s_or_b32 s28, s28, exec_lo
	s_or_b32 s29, s29, exec_lo
	s_mov_b32 s31, exec_lo
	s_wait_loadcnt 0x0
	v_cmp_le_u32_e64 s11, v26, v27
	v_cmp_lt_u32_e32 vcc_lo, v26, v27
	v_cmpx_eq_u32_e64 v26, v27
	s_cbranch_execz .LBB1483_744
; %bb.746:                              ;   in Loop: Header=BB1483_745 Depth=1
	s_add_nc_u64 s[14:15], s[14:15], -1
	v_add_nc_u64_e32 v[0:1], 4, v[0:1]
	s_cmp_eq_u64 s[14:15], 0
	v_add_nc_u64_e32 v[22:23], 4, v[22:23]
	s_cselect_b32 s12, -1, 0
	s_and_not1_b32 s29, s29, exec_lo
	s_and_b32 s12, s12, exec_lo
	s_and_not1_b32 s28, s28, exec_lo
	s_or_b32 s29, s29, s12
	s_branch .LBB1483_744
.LBB1483_747:
	s_or_b32 exec_lo, exec_lo, s23
	s_and_saveexec_b32 s11, s27
	s_delay_alu instid0(SALU_CYCLE_1)
	s_xor_b32 s11, exec_lo, s11
; %bb.748:
	v_dual_cndmask_b32 v1, v3, v5, s22 :: v_dual_cndmask_b32 v0, v2, v4, s22
	v_dual_cndmask_b32 v5, v5, v3, s22 :: v_dual_cndmask_b32 v4, v4, v2, s22
	s_delay_alu instid0(VALU_DEP_2)
	v_mov_b64_e32 v[2:3], v[0:1]
; %bb.749:
	s_or_b32 exec_lo, exec_lo, s11
.LBB1483_750:
	s_delay_alu instid0(SALU_CYCLE_1) | instskip(SKIP_2) | instid1(SALU_CYCLE_1)
	s_or_b32 exec_lo, exec_lo, s13
	v_cmp_lt_u32_e64 s11, 2, v25
	s_and_saveexec_b32 s12, s11
	s_xor_b32 s22, exec_lo, s12
	s_cbranch_execz .LBB1483_759
; %bb.751:
	s_and_not1_b32 vcc_lo, exec_lo, s26
	s_cbranch_vccnz .LBB1483_759
; %bb.752:
	v_mul_u64_e32 v[0:1], s[16:17], v[10:11]
	v_mul_u64_e32 v[22:23], s[16:17], v[16:17]
	s_mov_b32 s27, 0
	s_mov_b64 s[14:15], s[16:17]
                                        ; implicit-def: $sgpr23
                                        ; implicit-def: $sgpr28
                                        ; implicit-def: $sgpr30
                                        ; implicit-def: $sgpr29
                                        ; implicit-def: $sgpr31
	s_delay_alu instid0(VALU_DEP_2) | instskip(NEXT) | instid1(VALU_DEP_2)
	v_lshl_add_u64 v[0:1], v[0:1], 2, s[18:19]
	v_lshl_add_u64 v[22:23], v[22:23], 2, s[18:19]
	s_branch .LBB1483_754
.LBB1483_753:                           ;   in Loop: Header=BB1483_754 Depth=1
	s_or_b32 exec_lo, exec_lo, s33
	s_and_b32 s12, s12, s31
	s_delay_alu instid0(SALU_CYCLE_1) | instskip(SKIP_1) | instid1(SALU_CYCLE_1)
	s_or_b32 s12, vcc_lo, s12
	s_and_b32 s13, exec_lo, s30
	s_or_b32 s27, s13, s27
	s_and_not1_b32 s13, s31, exec_lo
	s_and_b32 s12, s12, exec_lo
	s_and_not1_b32 s28, s28, exec_lo
	s_and_b32 s33, s29, exec_lo
	s_or_b32 s31, s13, s12
	s_and_not1_b32 s13, s23, exec_lo
	s_or_b32 s28, s28, s33
	s_or_b32 s23, s13, s12
	s_and_not1_b32 exec_lo, exec_lo, s27
	s_cbranch_execz .LBB1483_756
.LBB1483_754:                           ; =>This Inner Loop Header: Depth=1
	global_load_b32 v26, v[0:1], off
	global_load_b32 v27, v[22:23], off
	s_or_b32 s29, s29, exec_lo
	s_or_b32 s30, s30, exec_lo
	s_mov_b32 s33, exec_lo
	s_wait_loadcnt 0x0
	v_cmp_le_u32_e64 s12, v26, v27
	v_cmp_lt_u32_e32 vcc_lo, v26, v27
	v_cmpx_eq_u32_e64 v26, v27
	s_cbranch_execz .LBB1483_753
; %bb.755:                              ;   in Loop: Header=BB1483_754 Depth=1
	s_add_nc_u64 s[14:15], s[14:15], -1
	v_add_nc_u64_e32 v[0:1], 4, v[0:1]
	s_cmp_eq_u64 s[14:15], 0
	v_add_nc_u64_e32 v[22:23], 4, v[22:23]
	s_cselect_b32 s13, -1, 0
	s_and_not1_b32 s30, s30, exec_lo
	s_and_b32 s13, s13, exec_lo
	s_and_not1_b32 s29, s29, exec_lo
	s_or_b32 s30, s30, s13
	s_branch .LBB1483_753
.LBB1483_756:
	s_or_b32 exec_lo, exec_lo, s27
	s_and_saveexec_b32 s12, s28
	s_delay_alu instid0(SALU_CYCLE_1)
	s_xor_b32 s12, exec_lo, s12
; %bb.757:
	v_dual_cndmask_b32 v1, v17, v11, s23 :: v_dual_cndmask_b32 v0, v16, v10, s23
	v_dual_cndmask_b32 v11, v11, v17, s23 :: v_dual_cndmask_b32 v10, v10, v16, s23
	s_delay_alu instid0(VALU_DEP_2)
	v_mov_b64_e32 v[16:17], v[0:1]
; %bb.758:
	s_or_b32 exec_lo, exec_lo, s12
.LBB1483_759:
	s_delay_alu instid0(SALU_CYCLE_1)
	s_or_b32 exec_lo, exec_lo, s22
	v_cmp_lt_u32_e64 s12, 4, v25
	s_and_saveexec_b32 s15, s12
	s_cbranch_execz .LBB1483_768
; %bb.760:
	s_and_not1_b32 vcc_lo, exec_lo, s26
	s_cbranch_vccnz .LBB1483_768
; %bb.761:
	v_mul_u64_e32 v[0:1], s[16:17], v[6:7]
	v_mul_u64_e32 v[22:23], s[16:17], v[12:13]
	s_mov_b32 s28, 0
	s_mov_b64 s[22:23], s[16:17]
                                        ; implicit-def: $sgpr27
                                        ; implicit-def: $sgpr29
                                        ; implicit-def: $sgpr31
                                        ; implicit-def: $sgpr30
                                        ; implicit-def: $sgpr33
	s_delay_alu instid0(VALU_DEP_2) | instskip(NEXT) | instid1(VALU_DEP_2)
	v_lshl_add_u64 v[0:1], v[0:1], 2, s[18:19]
	v_lshl_add_u64 v[22:23], v[22:23], 2, s[18:19]
	s_branch .LBB1483_763
.LBB1483_762:                           ;   in Loop: Header=BB1483_763 Depth=1
	s_or_b32 exec_lo, exec_lo, s34
	s_and_b32 s13, s13, s33
	s_delay_alu instid0(SALU_CYCLE_1) | instskip(SKIP_1) | instid1(SALU_CYCLE_1)
	s_or_b32 s13, vcc_lo, s13
	s_and_b32 s14, exec_lo, s31
	s_or_b32 s28, s14, s28
	s_and_not1_b32 s14, s33, exec_lo
	s_and_b32 s13, s13, exec_lo
	s_and_not1_b32 s29, s29, exec_lo
	s_and_b32 s34, s30, exec_lo
	s_or_b32 s33, s14, s13
	s_and_not1_b32 s14, s27, exec_lo
	s_or_b32 s29, s29, s34
	s_or_b32 s27, s14, s13
	s_and_not1_b32 exec_lo, exec_lo, s28
	s_cbranch_execz .LBB1483_765
.LBB1483_763:                           ; =>This Inner Loop Header: Depth=1
	global_load_b32 v26, v[0:1], off
	global_load_b32 v27, v[22:23], off
	s_or_b32 s30, s30, exec_lo
	s_or_b32 s31, s31, exec_lo
	s_mov_b32 s34, exec_lo
	s_wait_loadcnt 0x0
	v_cmp_le_u32_e64 s13, v26, v27
	v_cmp_lt_u32_e32 vcc_lo, v26, v27
	v_cmpx_eq_u32_e64 v26, v27
	s_cbranch_execz .LBB1483_762
; %bb.764:                              ;   in Loop: Header=BB1483_763 Depth=1
	s_add_nc_u64 s[22:23], s[22:23], -1
	v_add_nc_u64_e32 v[0:1], 4, v[0:1]
	s_cmp_eq_u64 s[22:23], 0
	v_add_nc_u64_e32 v[22:23], 4, v[22:23]
	s_cselect_b32 s14, -1, 0
	s_and_not1_b32 s31, s31, exec_lo
	s_and_b32 s14, s14, exec_lo
	s_and_not1_b32 s30, s30, exec_lo
	s_or_b32 s31, s31, s14
	s_branch .LBB1483_762
.LBB1483_765:
	s_or_b32 exec_lo, exec_lo, s28
	s_and_saveexec_b32 s13, s29
	s_delay_alu instid0(SALU_CYCLE_1)
	s_xor_b32 s13, exec_lo, s13
; %bb.766:
	v_dual_cndmask_b32 v1, v13, v7, s27 :: v_dual_cndmask_b32 v0, v12, v6, s27
	v_dual_cndmask_b32 v7, v7, v13, s27 :: v_dual_cndmask_b32 v6, v6, v12, s27
	s_delay_alu instid0(VALU_DEP_2)
	v_mov_b64_e32 v[12:13], v[0:1]
; %bb.767:
	s_or_b32 exec_lo, exec_lo, s13
.LBB1483_768:
	s_delay_alu instid0(SALU_CYCLE_1)
	s_or_b32 exec_lo, exec_lo, s15
	v_cmp_lt_u32_e64 s13, 6, v25
	s_and_saveexec_b32 s27, s13
	s_cbranch_execz .LBB1483_777
; %bb.769:
	s_and_not1_b32 vcc_lo, exec_lo, s26
	s_cbranch_vccnz .LBB1483_777
; %bb.770:
	v_mul_u64_e32 v[0:1], s[16:17], v[2:3]
	v_mul_u64_e32 v[22:23], s[16:17], v[8:9]
	s_mov_b32 s29, 0
	s_mov_b64 s[22:23], s[16:17]
                                        ; implicit-def: $sgpr28
                                        ; implicit-def: $sgpr30
                                        ; implicit-def: $sgpr33
                                        ; implicit-def: $sgpr31
                                        ; implicit-def: $sgpr34
	s_delay_alu instid0(VALU_DEP_2) | instskip(NEXT) | instid1(VALU_DEP_2)
	v_lshl_add_u64 v[0:1], v[0:1], 2, s[18:19]
	v_lshl_add_u64 v[22:23], v[22:23], 2, s[18:19]
	s_branch .LBB1483_772
.LBB1483_771:                           ;   in Loop: Header=BB1483_772 Depth=1
	s_or_b32 exec_lo, exec_lo, s35
	s_and_b32 s14, s14, s34
	s_delay_alu instid0(SALU_CYCLE_1) | instskip(SKIP_1) | instid1(SALU_CYCLE_1)
	s_or_b32 s14, vcc_lo, s14
	s_and_b32 s15, exec_lo, s33
	s_or_b32 s29, s15, s29
	s_and_not1_b32 s15, s34, exec_lo
	s_and_b32 s14, s14, exec_lo
	s_and_not1_b32 s30, s30, exec_lo
	s_and_b32 s35, s31, exec_lo
	s_or_b32 s34, s15, s14
	s_and_not1_b32 s15, s28, exec_lo
	s_or_b32 s30, s30, s35
	s_or_b32 s28, s15, s14
	s_and_not1_b32 exec_lo, exec_lo, s29
	s_cbranch_execz .LBB1483_774
.LBB1483_772:                           ; =>This Inner Loop Header: Depth=1
	global_load_b32 v25, v[0:1], off
	global_load_b32 v26, v[22:23], off
	s_or_b32 s31, s31, exec_lo
	s_or_b32 s33, s33, exec_lo
	s_mov_b32 s35, exec_lo
	s_wait_loadcnt 0x0
	v_cmp_le_u32_e64 s14, v25, v26
	v_cmp_lt_u32_e32 vcc_lo, v25, v26
	v_cmpx_eq_u32_e64 v25, v26
	s_cbranch_execz .LBB1483_771
; %bb.773:                              ;   in Loop: Header=BB1483_772 Depth=1
	s_add_nc_u64 s[22:23], s[22:23], -1
	v_add_nc_u64_e32 v[0:1], 4, v[0:1]
	s_cmp_eq_u64 s[22:23], 0
	v_add_nc_u64_e32 v[22:23], 4, v[22:23]
	s_cselect_b32 s15, -1, 0
	s_and_not1_b32 s33, s33, exec_lo
	s_and_b32 s15, s15, exec_lo
	s_and_not1_b32 s31, s31, exec_lo
	s_or_b32 s33, s33, s15
	s_branch .LBB1483_771
.LBB1483_774:
	s_or_b32 exec_lo, exec_lo, s29
	s_and_saveexec_b32 s14, s30
	s_delay_alu instid0(SALU_CYCLE_1)
	s_xor_b32 s14, exec_lo, s14
; %bb.775:
	v_dual_cndmask_b32 v1, v9, v3, s28 :: v_dual_cndmask_b32 v0, v8, v2, s28
	v_dual_cndmask_b32 v3, v3, v9, s28 :: v_dual_cndmask_b32 v2, v2, v8, s28
	s_delay_alu instid0(VALU_DEP_2)
	v_mov_b64_e32 v[8:9], v[0:1]
; %bb.776:
	s_or_b32 exec_lo, exec_lo, s14
.LBB1483_777:
	s_delay_alu instid0(SALU_CYCLE_1)
	s_or_b32 exec_lo, exec_lo, s27
	s_and_saveexec_b32 s27, s7
	s_cbranch_execz .LBB1483_786
; %bb.778:
	s_and_not1_b32 vcc_lo, exec_lo, s26
	s_cbranch_vccnz .LBB1483_786
; %bb.779:
	v_mul_u64_e32 v[0:1], s[16:17], v[16:17]
	v_mul_u64_e32 v[22:23], s[16:17], v[14:15]
	s_mov_b32 s29, 0
	s_mov_b64 s[22:23], s[16:17]
                                        ; implicit-def: $sgpr28
                                        ; implicit-def: $sgpr30
                                        ; implicit-def: $sgpr33
                                        ; implicit-def: $sgpr31
                                        ; implicit-def: $sgpr34
	s_delay_alu instid0(VALU_DEP_2) | instskip(NEXT) | instid1(VALU_DEP_2)
	v_lshl_add_u64 v[0:1], v[0:1], 2, s[18:19]
	v_lshl_add_u64 v[22:23], v[22:23], 2, s[18:19]
	s_branch .LBB1483_781
.LBB1483_780:                           ;   in Loop: Header=BB1483_781 Depth=1
	s_or_b32 exec_lo, exec_lo, s35
	s_and_b32 s14, s14, s34
	s_delay_alu instid0(SALU_CYCLE_1) | instskip(SKIP_1) | instid1(SALU_CYCLE_1)
	s_or_b32 s14, vcc_lo, s14
	s_and_b32 s15, exec_lo, s33
	s_or_b32 s29, s15, s29
	s_and_not1_b32 s15, s34, exec_lo
	s_and_b32 s14, s14, exec_lo
	s_and_not1_b32 s30, s30, exec_lo
	s_and_b32 s35, s31, exec_lo
	s_or_b32 s34, s15, s14
	s_and_not1_b32 s15, s28, exec_lo
	s_or_b32 s30, s30, s35
	s_or_b32 s28, s15, s14
	s_and_not1_b32 exec_lo, exec_lo, s29
	s_cbranch_execz .LBB1483_783
.LBB1483_781:                           ; =>This Inner Loop Header: Depth=1
	global_load_b32 v25, v[0:1], off
	global_load_b32 v26, v[22:23], off
	s_or_b32 s31, s31, exec_lo
	s_or_b32 s33, s33, exec_lo
	s_mov_b32 s35, exec_lo
	s_wait_loadcnt 0x0
	v_cmp_le_u32_e64 s14, v25, v26
	v_cmp_lt_u32_e32 vcc_lo, v25, v26
	v_cmpx_eq_u32_e64 v25, v26
	s_cbranch_execz .LBB1483_780
; %bb.782:                              ;   in Loop: Header=BB1483_781 Depth=1
	s_add_nc_u64 s[22:23], s[22:23], -1
	v_add_nc_u64_e32 v[0:1], 4, v[0:1]
	s_cmp_eq_u64 s[22:23], 0
	v_add_nc_u64_e32 v[22:23], 4, v[22:23]
	s_cselect_b32 s15, -1, 0
	s_and_not1_b32 s33, s33, exec_lo
	s_and_b32 s15, s15, exec_lo
	s_and_not1_b32 s31, s31, exec_lo
	s_or_b32 s33, s33, s15
	s_branch .LBB1483_780
.LBB1483_783:
	s_or_b32 exec_lo, exec_lo, s29
	s_and_saveexec_b32 s14, s30
	s_delay_alu instid0(SALU_CYCLE_1)
	s_xor_b32 s14, exec_lo, s14
; %bb.784:
	v_dual_cndmask_b32 v1, v17, v15, s28 :: v_dual_cndmask_b32 v0, v16, v14, s28
	v_dual_cndmask_b32 v15, v15, v17, s28 :: v_dual_cndmask_b32 v14, v14, v16, s28
	s_delay_alu instid0(VALU_DEP_2)
	v_mov_b64_e32 v[16:17], v[0:1]
; %bb.785:
	s_or_b32 exec_lo, exec_lo, s14
.LBB1483_786:
	s_delay_alu instid0(SALU_CYCLE_1)
	s_or_b32 exec_lo, exec_lo, s27
	s_and_saveexec_b32 s27, s8
	s_cbranch_execz .LBB1483_795
; %bb.787:
	s_and_not1_b32 vcc_lo, exec_lo, s26
	s_cbranch_vccnz .LBB1483_795
; %bb.788:
	v_mul_u64_e32 v[0:1], s[16:17], v[12:13]
	v_mul_u64_e32 v[22:23], s[16:17], v[10:11]
	s_mov_b32 s29, 0
	s_mov_b64 s[22:23], s[16:17]
                                        ; implicit-def: $sgpr28
                                        ; implicit-def: $sgpr30
                                        ; implicit-def: $sgpr33
                                        ; implicit-def: $sgpr31
                                        ; implicit-def: $sgpr34
	s_delay_alu instid0(VALU_DEP_2) | instskip(NEXT) | instid1(VALU_DEP_2)
	v_lshl_add_u64 v[0:1], v[0:1], 2, s[18:19]
	v_lshl_add_u64 v[22:23], v[22:23], 2, s[18:19]
	s_branch .LBB1483_790
.LBB1483_789:                           ;   in Loop: Header=BB1483_790 Depth=1
	s_or_b32 exec_lo, exec_lo, s35
	s_and_b32 s14, s14, s34
	s_delay_alu instid0(SALU_CYCLE_1) | instskip(SKIP_1) | instid1(SALU_CYCLE_1)
	s_or_b32 s14, vcc_lo, s14
	s_and_b32 s15, exec_lo, s33
	s_or_b32 s29, s15, s29
	s_and_not1_b32 s15, s34, exec_lo
	s_and_b32 s14, s14, exec_lo
	s_and_not1_b32 s30, s30, exec_lo
	s_and_b32 s35, s31, exec_lo
	s_or_b32 s34, s15, s14
	s_and_not1_b32 s15, s28, exec_lo
	s_or_b32 s30, s30, s35
	s_or_b32 s28, s15, s14
	s_and_not1_b32 exec_lo, exec_lo, s29
	s_cbranch_execz .LBB1483_792
.LBB1483_790:                           ; =>This Inner Loop Header: Depth=1
	global_load_b32 v25, v[0:1], off
	global_load_b32 v26, v[22:23], off
	s_or_b32 s31, s31, exec_lo
	s_or_b32 s33, s33, exec_lo
	s_mov_b32 s35, exec_lo
	s_wait_loadcnt 0x0
	v_cmp_le_u32_e64 s14, v25, v26
	v_cmp_lt_u32_e32 vcc_lo, v25, v26
	v_cmpx_eq_u32_e64 v25, v26
	s_cbranch_execz .LBB1483_789
; %bb.791:                              ;   in Loop: Header=BB1483_790 Depth=1
	s_add_nc_u64 s[22:23], s[22:23], -1
	v_add_nc_u64_e32 v[0:1], 4, v[0:1]
	s_cmp_eq_u64 s[22:23], 0
	v_add_nc_u64_e32 v[22:23], 4, v[22:23]
	s_cselect_b32 s15, -1, 0
	s_and_not1_b32 s33, s33, exec_lo
	s_and_b32 s15, s15, exec_lo
	s_and_not1_b32 s31, s31, exec_lo
	s_or_b32 s33, s33, s15
	s_branch .LBB1483_789
.LBB1483_792:
	s_or_b32 exec_lo, exec_lo, s29
	s_and_saveexec_b32 s14, s30
	s_delay_alu instid0(SALU_CYCLE_1)
	s_xor_b32 s14, exec_lo, s14
; %bb.793:
	v_dual_cndmask_b32 v1, v11, v13, s28 :: v_dual_cndmask_b32 v0, v10, v12, s28
	v_dual_cndmask_b32 v13, v13, v11, s28 :: v_dual_cndmask_b32 v12, v12, v10, s28
	s_delay_alu instid0(VALU_DEP_2)
	v_mov_b64_e32 v[10:11], v[0:1]
; %bb.794:
	s_or_b32 exec_lo, exec_lo, s14
.LBB1483_795:
	s_delay_alu instid0(SALU_CYCLE_1)
	s_or_b32 exec_lo, exec_lo, s27
	s_and_saveexec_b32 s27, s9
	s_cbranch_execz .LBB1483_804
; %bb.796:
	s_and_not1_b32 vcc_lo, exec_lo, s26
	s_cbranch_vccnz .LBB1483_804
; %bb.797:
	v_mul_u64_e32 v[0:1], s[16:17], v[8:9]
	v_mul_u64_e32 v[22:23], s[16:17], v[6:7]
	s_mov_b32 s29, 0
	s_mov_b64 s[22:23], s[16:17]
                                        ; implicit-def: $sgpr28
                                        ; implicit-def: $sgpr30
                                        ; implicit-def: $sgpr33
                                        ; implicit-def: $sgpr31
                                        ; implicit-def: $sgpr34
	s_delay_alu instid0(VALU_DEP_2) | instskip(NEXT) | instid1(VALU_DEP_2)
	v_lshl_add_u64 v[0:1], v[0:1], 2, s[18:19]
	v_lshl_add_u64 v[22:23], v[22:23], 2, s[18:19]
	s_branch .LBB1483_799
.LBB1483_798:                           ;   in Loop: Header=BB1483_799 Depth=1
	s_or_b32 exec_lo, exec_lo, s35
	s_and_b32 s14, s14, s34
	s_delay_alu instid0(SALU_CYCLE_1) | instskip(SKIP_1) | instid1(SALU_CYCLE_1)
	s_or_b32 s14, vcc_lo, s14
	s_and_b32 s15, exec_lo, s33
	s_or_b32 s29, s15, s29
	s_and_not1_b32 s15, s34, exec_lo
	s_and_b32 s14, s14, exec_lo
	s_and_not1_b32 s30, s30, exec_lo
	s_and_b32 s35, s31, exec_lo
	s_or_b32 s34, s15, s14
	s_and_not1_b32 s15, s28, exec_lo
	s_or_b32 s30, s30, s35
	s_or_b32 s28, s15, s14
	s_and_not1_b32 exec_lo, exec_lo, s29
	s_cbranch_execz .LBB1483_801
.LBB1483_799:                           ; =>This Inner Loop Header: Depth=1
	global_load_b32 v25, v[0:1], off
	global_load_b32 v26, v[22:23], off
	s_or_b32 s31, s31, exec_lo
	s_or_b32 s33, s33, exec_lo
	s_mov_b32 s35, exec_lo
	s_wait_loadcnt 0x0
	v_cmp_le_u32_e64 s14, v25, v26
	v_cmp_lt_u32_e32 vcc_lo, v25, v26
	v_cmpx_eq_u32_e64 v25, v26
	s_cbranch_execz .LBB1483_798
; %bb.800:                              ;   in Loop: Header=BB1483_799 Depth=1
	s_add_nc_u64 s[22:23], s[22:23], -1
	v_add_nc_u64_e32 v[0:1], 4, v[0:1]
	s_cmp_eq_u64 s[22:23], 0
	v_add_nc_u64_e32 v[22:23], 4, v[22:23]
	s_cselect_b32 s15, -1, 0
	s_and_not1_b32 s33, s33, exec_lo
	s_and_b32 s15, s15, exec_lo
	s_and_not1_b32 s31, s31, exec_lo
	s_or_b32 s33, s33, s15
	s_branch .LBB1483_798
.LBB1483_801:
	s_or_b32 exec_lo, exec_lo, s29
	s_and_saveexec_b32 s14, s30
	s_delay_alu instid0(SALU_CYCLE_1)
	s_xor_b32 s14, exec_lo, s14
; %bb.802:
	v_dual_cndmask_b32 v1, v7, v9, s28 :: v_dual_cndmask_b32 v0, v6, v8, s28
	v_dual_cndmask_b32 v9, v9, v7, s28 :: v_dual_cndmask_b32 v8, v8, v6, s28
	s_delay_alu instid0(VALU_DEP_2)
	v_mov_b64_e32 v[6:7], v[0:1]
; %bb.803:
	s_or_b32 exec_lo, exec_lo, s14
.LBB1483_804:
	s_delay_alu instid0(SALU_CYCLE_1)
	s_or_b32 exec_lo, exec_lo, s27
	s_and_saveexec_b32 s27, s10
	s_cbranch_execz .LBB1483_813
; %bb.805:
	s_and_not1_b32 vcc_lo, exec_lo, s26
	s_cbranch_vccnz .LBB1483_813
; %bb.806:
	v_mul_u64_e32 v[0:1], s[16:17], v[4:5]
	v_mul_u64_e32 v[22:23], s[16:17], v[2:3]
	s_mov_b32 s29, 0
	s_mov_b64 s[22:23], s[16:17]
                                        ; implicit-def: $sgpr28
                                        ; implicit-def: $sgpr30
                                        ; implicit-def: $sgpr33
                                        ; implicit-def: $sgpr31
                                        ; implicit-def: $sgpr34
	s_delay_alu instid0(VALU_DEP_2) | instskip(NEXT) | instid1(VALU_DEP_2)
	v_lshl_add_u64 v[0:1], v[0:1], 2, s[18:19]
	v_lshl_add_u64 v[22:23], v[22:23], 2, s[18:19]
	s_branch .LBB1483_808
.LBB1483_807:                           ;   in Loop: Header=BB1483_808 Depth=1
	s_or_b32 exec_lo, exec_lo, s35
	s_and_b32 s14, s14, s34
	s_delay_alu instid0(SALU_CYCLE_1) | instskip(SKIP_1) | instid1(SALU_CYCLE_1)
	s_or_b32 s14, vcc_lo, s14
	s_and_b32 s15, exec_lo, s33
	s_or_b32 s29, s15, s29
	s_and_not1_b32 s15, s34, exec_lo
	s_and_b32 s14, s14, exec_lo
	s_and_not1_b32 s30, s30, exec_lo
	s_and_b32 s35, s31, exec_lo
	s_or_b32 s34, s15, s14
	s_and_not1_b32 s15, s28, exec_lo
	s_or_b32 s30, s30, s35
	s_or_b32 s28, s15, s14
	s_and_not1_b32 exec_lo, exec_lo, s29
	s_cbranch_execz .LBB1483_810
.LBB1483_808:                           ; =>This Inner Loop Header: Depth=1
	global_load_b32 v25, v[0:1], off
	global_load_b32 v26, v[22:23], off
	s_or_b32 s31, s31, exec_lo
	s_or_b32 s33, s33, exec_lo
	s_mov_b32 s35, exec_lo
	s_wait_loadcnt 0x0
	v_cmp_le_u32_e64 s14, v25, v26
	v_cmp_lt_u32_e32 vcc_lo, v25, v26
	v_cmpx_eq_u32_e64 v25, v26
	s_cbranch_execz .LBB1483_807
; %bb.809:                              ;   in Loop: Header=BB1483_808 Depth=1
	s_add_nc_u64 s[22:23], s[22:23], -1
	v_add_nc_u64_e32 v[0:1], 4, v[0:1]
	s_cmp_eq_u64 s[22:23], 0
	v_add_nc_u64_e32 v[22:23], 4, v[22:23]
	s_cselect_b32 s15, -1, 0
	s_and_not1_b32 s33, s33, exec_lo
	s_and_b32 s15, s15, exec_lo
	s_and_not1_b32 s31, s31, exec_lo
	s_or_b32 s33, s33, s15
	s_branch .LBB1483_807
.LBB1483_810:
	s_or_b32 exec_lo, exec_lo, s29
	s_and_saveexec_b32 s14, s30
	s_delay_alu instid0(SALU_CYCLE_1)
	s_xor_b32 s14, exec_lo, s14
; %bb.811:
	v_dual_cndmask_b32 v1, v3, v5, s28 :: v_dual_cndmask_b32 v0, v2, v4, s28
	v_dual_cndmask_b32 v5, v5, v3, s28 :: v_dual_cndmask_b32 v4, v4, v2, s28
	s_delay_alu instid0(VALU_DEP_2)
	v_mov_b64_e32 v[2:3], v[0:1]
; %bb.812:
	s_or_b32 exec_lo, exec_lo, s14
.LBB1483_813:
	s_delay_alu instid0(SALU_CYCLE_1)
	s_or_b32 exec_lo, exec_lo, s27
	s_and_saveexec_b32 s27, s11
	s_cbranch_execz .LBB1483_822
; %bb.814:
	s_and_not1_b32 vcc_lo, exec_lo, s26
	s_cbranch_vccnz .LBB1483_822
; %bb.815:
	v_mul_u64_e32 v[0:1], s[16:17], v[10:11]
	v_mul_u64_e32 v[22:23], s[16:17], v[16:17]
	s_mov_b32 s29, 0
	s_mov_b64 s[22:23], s[16:17]
                                        ; implicit-def: $sgpr28
                                        ; implicit-def: $sgpr30
                                        ; implicit-def: $sgpr33
                                        ; implicit-def: $sgpr31
                                        ; implicit-def: $sgpr34
	s_delay_alu instid0(VALU_DEP_2) | instskip(NEXT) | instid1(VALU_DEP_2)
	v_lshl_add_u64 v[0:1], v[0:1], 2, s[18:19]
	v_lshl_add_u64 v[22:23], v[22:23], 2, s[18:19]
	s_branch .LBB1483_817
.LBB1483_816:                           ;   in Loop: Header=BB1483_817 Depth=1
	s_or_b32 exec_lo, exec_lo, s35
	s_and_b32 s14, s14, s34
	s_delay_alu instid0(SALU_CYCLE_1) | instskip(SKIP_1) | instid1(SALU_CYCLE_1)
	s_or_b32 s14, vcc_lo, s14
	s_and_b32 s15, exec_lo, s33
	s_or_b32 s29, s15, s29
	s_and_not1_b32 s15, s34, exec_lo
	s_and_b32 s14, s14, exec_lo
	s_and_not1_b32 s30, s30, exec_lo
	s_and_b32 s35, s31, exec_lo
	s_or_b32 s34, s15, s14
	s_and_not1_b32 s15, s28, exec_lo
	s_or_b32 s30, s30, s35
	s_or_b32 s28, s15, s14
	s_and_not1_b32 exec_lo, exec_lo, s29
	s_cbranch_execz .LBB1483_819
.LBB1483_817:                           ; =>This Inner Loop Header: Depth=1
	global_load_b32 v25, v[0:1], off
	global_load_b32 v26, v[22:23], off
	s_or_b32 s31, s31, exec_lo
	s_or_b32 s33, s33, exec_lo
	s_mov_b32 s35, exec_lo
	s_wait_loadcnt 0x0
	v_cmp_le_u32_e64 s14, v25, v26
	v_cmp_lt_u32_e32 vcc_lo, v25, v26
	v_cmpx_eq_u32_e64 v25, v26
	s_cbranch_execz .LBB1483_816
; %bb.818:                              ;   in Loop: Header=BB1483_817 Depth=1
	s_add_nc_u64 s[22:23], s[22:23], -1
	v_add_nc_u64_e32 v[0:1], 4, v[0:1]
	s_cmp_eq_u64 s[22:23], 0
	v_add_nc_u64_e32 v[22:23], 4, v[22:23]
	s_cselect_b32 s15, -1, 0
	s_and_not1_b32 s33, s33, exec_lo
	s_and_b32 s15, s15, exec_lo
	s_and_not1_b32 s31, s31, exec_lo
	s_or_b32 s33, s33, s15
	s_branch .LBB1483_816
.LBB1483_819:
	s_or_b32 exec_lo, exec_lo, s29
	s_and_saveexec_b32 s14, s30
	s_delay_alu instid0(SALU_CYCLE_1)
	s_xor_b32 s14, exec_lo, s14
; %bb.820:
	v_dual_cndmask_b32 v1, v17, v11, s28 :: v_dual_cndmask_b32 v0, v16, v10, s28
	v_dual_cndmask_b32 v11, v11, v17, s28 :: v_dual_cndmask_b32 v10, v10, v16, s28
	s_delay_alu instid0(VALU_DEP_2)
	v_mov_b64_e32 v[16:17], v[0:1]
; %bb.821:
	s_or_b32 exec_lo, exec_lo, s14
.LBB1483_822:
	s_delay_alu instid0(SALU_CYCLE_1)
	s_or_b32 exec_lo, exec_lo, s27
	s_and_saveexec_b32 s27, s12
	s_cbranch_execz .LBB1483_831
; %bb.823:
	s_and_not1_b32 vcc_lo, exec_lo, s26
	s_cbranch_vccnz .LBB1483_831
; %bb.824:
	v_mul_u64_e32 v[0:1], s[16:17], v[6:7]
	v_mul_u64_e32 v[22:23], s[16:17], v[12:13]
	s_mov_b32 s29, 0
	s_mov_b64 s[22:23], s[16:17]
                                        ; implicit-def: $sgpr28
                                        ; implicit-def: $sgpr30
                                        ; implicit-def: $sgpr33
                                        ; implicit-def: $sgpr31
                                        ; implicit-def: $sgpr34
	s_delay_alu instid0(VALU_DEP_2) | instskip(NEXT) | instid1(VALU_DEP_2)
	v_lshl_add_u64 v[0:1], v[0:1], 2, s[18:19]
	v_lshl_add_u64 v[22:23], v[22:23], 2, s[18:19]
	s_branch .LBB1483_826
.LBB1483_825:                           ;   in Loop: Header=BB1483_826 Depth=1
	s_or_b32 exec_lo, exec_lo, s35
	s_and_b32 s14, s14, s34
	s_delay_alu instid0(SALU_CYCLE_1) | instskip(SKIP_1) | instid1(SALU_CYCLE_1)
	s_or_b32 s14, vcc_lo, s14
	s_and_b32 s15, exec_lo, s33
	s_or_b32 s29, s15, s29
	s_and_not1_b32 s15, s34, exec_lo
	s_and_b32 s14, s14, exec_lo
	s_and_not1_b32 s30, s30, exec_lo
	s_and_b32 s35, s31, exec_lo
	s_or_b32 s34, s15, s14
	s_and_not1_b32 s15, s28, exec_lo
	s_or_b32 s30, s30, s35
	s_or_b32 s28, s15, s14
	s_and_not1_b32 exec_lo, exec_lo, s29
	s_cbranch_execz .LBB1483_828
.LBB1483_826:                           ; =>This Inner Loop Header: Depth=1
	global_load_b32 v25, v[0:1], off
	global_load_b32 v26, v[22:23], off
	s_or_b32 s31, s31, exec_lo
	s_or_b32 s33, s33, exec_lo
	s_mov_b32 s35, exec_lo
	s_wait_loadcnt 0x0
	v_cmp_le_u32_e64 s14, v25, v26
	v_cmp_lt_u32_e32 vcc_lo, v25, v26
	v_cmpx_eq_u32_e64 v25, v26
	s_cbranch_execz .LBB1483_825
; %bb.827:                              ;   in Loop: Header=BB1483_826 Depth=1
	s_add_nc_u64 s[22:23], s[22:23], -1
	v_add_nc_u64_e32 v[0:1], 4, v[0:1]
	s_cmp_eq_u64 s[22:23], 0
	v_add_nc_u64_e32 v[22:23], 4, v[22:23]
	s_cselect_b32 s15, -1, 0
	s_and_not1_b32 s33, s33, exec_lo
	s_and_b32 s15, s15, exec_lo
	s_and_not1_b32 s31, s31, exec_lo
	s_or_b32 s33, s33, s15
	s_branch .LBB1483_825
.LBB1483_828:
	s_or_b32 exec_lo, exec_lo, s29
	s_and_saveexec_b32 s14, s30
	s_delay_alu instid0(SALU_CYCLE_1)
	s_xor_b32 s14, exec_lo, s14
; %bb.829:
	v_dual_cndmask_b32 v1, v13, v7, s28 :: v_dual_cndmask_b32 v0, v12, v6, s28
	v_dual_cndmask_b32 v7, v7, v13, s28 :: v_dual_cndmask_b32 v6, v6, v12, s28
	s_delay_alu instid0(VALU_DEP_2)
	v_mov_b64_e32 v[12:13], v[0:1]
; %bb.830:
	s_or_b32 exec_lo, exec_lo, s14
.LBB1483_831:
	s_delay_alu instid0(SALU_CYCLE_1)
	s_or_b32 exec_lo, exec_lo, s27
	s_and_saveexec_b32 s27, s13
	s_cbranch_execz .LBB1483_840
; %bb.832:
	s_and_not1_b32 vcc_lo, exec_lo, s26
	s_cbranch_vccnz .LBB1483_840
; %bb.833:
	v_mul_u64_e32 v[0:1], s[16:17], v[2:3]
	v_mul_u64_e32 v[22:23], s[16:17], v[8:9]
	s_mov_b32 s29, 0
	s_mov_b64 s[22:23], s[16:17]
                                        ; implicit-def: $sgpr28
                                        ; implicit-def: $sgpr30
                                        ; implicit-def: $sgpr33
                                        ; implicit-def: $sgpr31
                                        ; implicit-def: $sgpr34
	s_delay_alu instid0(VALU_DEP_2) | instskip(NEXT) | instid1(VALU_DEP_2)
	v_lshl_add_u64 v[0:1], v[0:1], 2, s[18:19]
	v_lshl_add_u64 v[22:23], v[22:23], 2, s[18:19]
	s_branch .LBB1483_835
.LBB1483_834:                           ;   in Loop: Header=BB1483_835 Depth=1
	s_or_b32 exec_lo, exec_lo, s35
	s_and_b32 s14, s14, s34
	s_delay_alu instid0(SALU_CYCLE_1) | instskip(SKIP_1) | instid1(SALU_CYCLE_1)
	s_or_b32 s14, vcc_lo, s14
	s_and_b32 s15, exec_lo, s33
	s_or_b32 s29, s15, s29
	s_and_not1_b32 s15, s34, exec_lo
	s_and_b32 s14, s14, exec_lo
	s_and_not1_b32 s30, s30, exec_lo
	s_and_b32 s35, s31, exec_lo
	s_or_b32 s34, s15, s14
	s_and_not1_b32 s15, s28, exec_lo
	s_or_b32 s30, s30, s35
	s_or_b32 s28, s15, s14
	s_and_not1_b32 exec_lo, exec_lo, s29
	s_cbranch_execz .LBB1483_837
.LBB1483_835:                           ; =>This Inner Loop Header: Depth=1
	global_load_b32 v25, v[0:1], off
	global_load_b32 v26, v[22:23], off
	s_or_b32 s31, s31, exec_lo
	s_or_b32 s33, s33, exec_lo
	s_mov_b32 s35, exec_lo
	s_wait_loadcnt 0x0
	v_cmp_le_u32_e64 s14, v25, v26
	v_cmp_lt_u32_e32 vcc_lo, v25, v26
	v_cmpx_eq_u32_e64 v25, v26
	s_cbranch_execz .LBB1483_834
; %bb.836:                              ;   in Loop: Header=BB1483_835 Depth=1
	s_add_nc_u64 s[22:23], s[22:23], -1
	v_add_nc_u64_e32 v[0:1], 4, v[0:1]
	s_cmp_eq_u64 s[22:23], 0
	v_add_nc_u64_e32 v[22:23], 4, v[22:23]
	s_cselect_b32 s15, -1, 0
	s_and_not1_b32 s33, s33, exec_lo
	s_and_b32 s15, s15, exec_lo
	s_and_not1_b32 s31, s31, exec_lo
	s_or_b32 s33, s33, s15
	s_branch .LBB1483_834
.LBB1483_837:
	s_or_b32 exec_lo, exec_lo, s29
	s_and_saveexec_b32 s14, s30
	s_delay_alu instid0(SALU_CYCLE_1)
	s_xor_b32 s14, exec_lo, s14
; %bb.838:
	v_dual_cndmask_b32 v1, v9, v3, s28 :: v_dual_cndmask_b32 v0, v8, v2, s28
	v_dual_cndmask_b32 v3, v3, v9, s28 :: v_dual_cndmask_b32 v2, v2, v8, s28
	s_delay_alu instid0(VALU_DEP_2)
	v_mov_b64_e32 v[8:9], v[0:1]
; %bb.839:
	s_or_b32 exec_lo, exec_lo, s14
.LBB1483_840:
	s_delay_alu instid0(SALU_CYCLE_1)
	s_or_b32 exec_lo, exec_lo, s27
	s_and_saveexec_b32 s27, s7
	s_cbranch_execz .LBB1483_849
; %bb.841:
	s_and_not1_b32 vcc_lo, exec_lo, s26
	s_cbranch_vccnz .LBB1483_849
; %bb.842:
	v_mul_u64_e32 v[0:1], s[16:17], v[16:17]
	v_mul_u64_e32 v[22:23], s[16:17], v[14:15]
	s_mov_b32 s29, 0
	s_mov_b64 s[22:23], s[16:17]
                                        ; implicit-def: $sgpr28
                                        ; implicit-def: $sgpr30
                                        ; implicit-def: $sgpr33
                                        ; implicit-def: $sgpr31
                                        ; implicit-def: $sgpr34
	s_delay_alu instid0(VALU_DEP_2) | instskip(NEXT) | instid1(VALU_DEP_2)
	v_lshl_add_u64 v[0:1], v[0:1], 2, s[18:19]
	v_lshl_add_u64 v[22:23], v[22:23], 2, s[18:19]
	s_branch .LBB1483_844
.LBB1483_843:                           ;   in Loop: Header=BB1483_844 Depth=1
	s_or_b32 exec_lo, exec_lo, s35
	s_and_b32 s14, s14, s34
	s_delay_alu instid0(SALU_CYCLE_1) | instskip(SKIP_1) | instid1(SALU_CYCLE_1)
	s_or_b32 s14, vcc_lo, s14
	s_and_b32 s15, exec_lo, s33
	s_or_b32 s29, s15, s29
	s_and_not1_b32 s15, s34, exec_lo
	s_and_b32 s14, s14, exec_lo
	s_and_not1_b32 s30, s30, exec_lo
	s_and_b32 s35, s31, exec_lo
	s_or_b32 s34, s15, s14
	s_and_not1_b32 s15, s28, exec_lo
	s_or_b32 s30, s30, s35
	s_or_b32 s28, s15, s14
	s_and_not1_b32 exec_lo, exec_lo, s29
	s_cbranch_execz .LBB1483_846
.LBB1483_844:                           ; =>This Inner Loop Header: Depth=1
	global_load_b32 v25, v[0:1], off
	global_load_b32 v26, v[22:23], off
	s_or_b32 s31, s31, exec_lo
	s_or_b32 s33, s33, exec_lo
	s_mov_b32 s35, exec_lo
	s_wait_loadcnt 0x0
	v_cmp_le_u32_e64 s14, v25, v26
	v_cmp_lt_u32_e32 vcc_lo, v25, v26
	v_cmpx_eq_u32_e64 v25, v26
	s_cbranch_execz .LBB1483_843
; %bb.845:                              ;   in Loop: Header=BB1483_844 Depth=1
	s_add_nc_u64 s[22:23], s[22:23], -1
	v_add_nc_u64_e32 v[0:1], 4, v[0:1]
	s_cmp_eq_u64 s[22:23], 0
	v_add_nc_u64_e32 v[22:23], 4, v[22:23]
	s_cselect_b32 s15, -1, 0
	s_and_not1_b32 s33, s33, exec_lo
	s_and_b32 s15, s15, exec_lo
	s_and_not1_b32 s31, s31, exec_lo
	s_or_b32 s33, s33, s15
	s_branch .LBB1483_843
.LBB1483_846:
	s_or_b32 exec_lo, exec_lo, s29
	s_and_saveexec_b32 s14, s30
	s_delay_alu instid0(SALU_CYCLE_1)
	s_xor_b32 s14, exec_lo, s14
; %bb.847:
	v_dual_cndmask_b32 v1, v17, v15, s28 :: v_dual_cndmask_b32 v0, v16, v14, s28
	v_dual_cndmask_b32 v15, v15, v17, s28 :: v_dual_cndmask_b32 v14, v14, v16, s28
	s_delay_alu instid0(VALU_DEP_2)
	v_mov_b64_e32 v[16:17], v[0:1]
; %bb.848:
	s_or_b32 exec_lo, exec_lo, s14
.LBB1483_849:
	s_delay_alu instid0(SALU_CYCLE_1)
	s_or_b32 exec_lo, exec_lo, s27
	s_and_saveexec_b32 s27, s8
	s_cbranch_execz .LBB1483_858
; %bb.850:
	s_and_not1_b32 vcc_lo, exec_lo, s26
	s_cbranch_vccnz .LBB1483_858
; %bb.851:
	v_mul_u64_e32 v[0:1], s[16:17], v[12:13]
	v_mul_u64_e32 v[22:23], s[16:17], v[10:11]
	s_mov_b32 s29, 0
	s_mov_b64 s[22:23], s[16:17]
                                        ; implicit-def: $sgpr28
                                        ; implicit-def: $sgpr30
                                        ; implicit-def: $sgpr33
                                        ; implicit-def: $sgpr31
                                        ; implicit-def: $sgpr34
	s_delay_alu instid0(VALU_DEP_2) | instskip(NEXT) | instid1(VALU_DEP_2)
	v_lshl_add_u64 v[0:1], v[0:1], 2, s[18:19]
	v_lshl_add_u64 v[22:23], v[22:23], 2, s[18:19]
	s_branch .LBB1483_853
.LBB1483_852:                           ;   in Loop: Header=BB1483_853 Depth=1
	s_or_b32 exec_lo, exec_lo, s35
	s_and_b32 s14, s14, s34
	s_delay_alu instid0(SALU_CYCLE_1) | instskip(SKIP_1) | instid1(SALU_CYCLE_1)
	s_or_b32 s14, vcc_lo, s14
	s_and_b32 s15, exec_lo, s33
	s_or_b32 s29, s15, s29
	s_and_not1_b32 s15, s34, exec_lo
	s_and_b32 s14, s14, exec_lo
	s_and_not1_b32 s30, s30, exec_lo
	s_and_b32 s35, s31, exec_lo
	s_or_b32 s34, s15, s14
	s_and_not1_b32 s15, s28, exec_lo
	s_or_b32 s30, s30, s35
	s_or_b32 s28, s15, s14
	s_and_not1_b32 exec_lo, exec_lo, s29
	s_cbranch_execz .LBB1483_855
.LBB1483_853:                           ; =>This Inner Loop Header: Depth=1
	global_load_b32 v25, v[0:1], off
	global_load_b32 v26, v[22:23], off
	s_or_b32 s31, s31, exec_lo
	s_or_b32 s33, s33, exec_lo
	s_mov_b32 s35, exec_lo
	s_wait_loadcnt 0x0
	v_cmp_le_u32_e64 s14, v25, v26
	v_cmp_lt_u32_e32 vcc_lo, v25, v26
	v_cmpx_eq_u32_e64 v25, v26
	s_cbranch_execz .LBB1483_852
; %bb.854:                              ;   in Loop: Header=BB1483_853 Depth=1
	s_add_nc_u64 s[22:23], s[22:23], -1
	v_add_nc_u64_e32 v[0:1], 4, v[0:1]
	s_cmp_eq_u64 s[22:23], 0
	v_add_nc_u64_e32 v[22:23], 4, v[22:23]
	s_cselect_b32 s15, -1, 0
	s_and_not1_b32 s33, s33, exec_lo
	s_and_b32 s15, s15, exec_lo
	s_and_not1_b32 s31, s31, exec_lo
	s_or_b32 s33, s33, s15
	s_branch .LBB1483_852
.LBB1483_855:
	s_or_b32 exec_lo, exec_lo, s29
	s_and_saveexec_b32 s14, s30
	s_delay_alu instid0(SALU_CYCLE_1)
	s_xor_b32 s14, exec_lo, s14
; %bb.856:
	v_dual_cndmask_b32 v1, v11, v13, s28 :: v_dual_cndmask_b32 v0, v10, v12, s28
	v_dual_cndmask_b32 v13, v13, v11, s28 :: v_dual_cndmask_b32 v12, v12, v10, s28
	s_delay_alu instid0(VALU_DEP_2)
	v_mov_b64_e32 v[10:11], v[0:1]
; %bb.857:
	s_or_b32 exec_lo, exec_lo, s14
.LBB1483_858:
	s_delay_alu instid0(SALU_CYCLE_1)
	s_or_b32 exec_lo, exec_lo, s27
	s_and_saveexec_b32 s27, s9
	s_cbranch_execz .LBB1483_867
; %bb.859:
	s_and_not1_b32 vcc_lo, exec_lo, s26
	s_cbranch_vccnz .LBB1483_867
; %bb.860:
	v_mul_u64_e32 v[0:1], s[16:17], v[8:9]
	v_mul_u64_e32 v[22:23], s[16:17], v[6:7]
	s_mov_b32 s29, 0
	s_mov_b64 s[22:23], s[16:17]
                                        ; implicit-def: $sgpr28
                                        ; implicit-def: $sgpr30
                                        ; implicit-def: $sgpr33
                                        ; implicit-def: $sgpr31
                                        ; implicit-def: $sgpr34
	s_delay_alu instid0(VALU_DEP_2) | instskip(NEXT) | instid1(VALU_DEP_2)
	v_lshl_add_u64 v[0:1], v[0:1], 2, s[18:19]
	v_lshl_add_u64 v[22:23], v[22:23], 2, s[18:19]
	s_branch .LBB1483_862
.LBB1483_861:                           ;   in Loop: Header=BB1483_862 Depth=1
	s_or_b32 exec_lo, exec_lo, s35
	s_and_b32 s14, s14, s34
	s_delay_alu instid0(SALU_CYCLE_1) | instskip(SKIP_1) | instid1(SALU_CYCLE_1)
	s_or_b32 s14, vcc_lo, s14
	s_and_b32 s15, exec_lo, s33
	s_or_b32 s29, s15, s29
	s_and_not1_b32 s15, s34, exec_lo
	s_and_b32 s14, s14, exec_lo
	s_and_not1_b32 s30, s30, exec_lo
	s_and_b32 s35, s31, exec_lo
	s_or_b32 s34, s15, s14
	s_and_not1_b32 s15, s28, exec_lo
	s_or_b32 s30, s30, s35
	s_or_b32 s28, s15, s14
	s_and_not1_b32 exec_lo, exec_lo, s29
	s_cbranch_execz .LBB1483_864
.LBB1483_862:                           ; =>This Inner Loop Header: Depth=1
	global_load_b32 v25, v[0:1], off
	global_load_b32 v26, v[22:23], off
	s_or_b32 s31, s31, exec_lo
	s_or_b32 s33, s33, exec_lo
	s_mov_b32 s35, exec_lo
	s_wait_loadcnt 0x0
	v_cmp_le_u32_e64 s14, v25, v26
	v_cmp_lt_u32_e32 vcc_lo, v25, v26
	v_cmpx_eq_u32_e64 v25, v26
	s_cbranch_execz .LBB1483_861
; %bb.863:                              ;   in Loop: Header=BB1483_862 Depth=1
	s_add_nc_u64 s[22:23], s[22:23], -1
	v_add_nc_u64_e32 v[0:1], 4, v[0:1]
	s_cmp_eq_u64 s[22:23], 0
	v_add_nc_u64_e32 v[22:23], 4, v[22:23]
	s_cselect_b32 s15, -1, 0
	s_and_not1_b32 s33, s33, exec_lo
	s_and_b32 s15, s15, exec_lo
	s_and_not1_b32 s31, s31, exec_lo
	s_or_b32 s33, s33, s15
	s_branch .LBB1483_861
.LBB1483_864:
	s_or_b32 exec_lo, exec_lo, s29
	s_and_saveexec_b32 s14, s30
	s_delay_alu instid0(SALU_CYCLE_1)
	s_xor_b32 s14, exec_lo, s14
; %bb.865:
	v_dual_cndmask_b32 v1, v7, v9, s28 :: v_dual_cndmask_b32 v0, v6, v8, s28
	v_dual_cndmask_b32 v9, v9, v7, s28 :: v_dual_cndmask_b32 v8, v8, v6, s28
	s_delay_alu instid0(VALU_DEP_2)
	v_mov_b64_e32 v[6:7], v[0:1]
; %bb.866:
	s_or_b32 exec_lo, exec_lo, s14
.LBB1483_867:
	s_delay_alu instid0(SALU_CYCLE_1)
	s_or_b32 exec_lo, exec_lo, s27
	s_and_saveexec_b32 s27, s10
	s_cbranch_execz .LBB1483_876
; %bb.868:
	s_and_not1_b32 vcc_lo, exec_lo, s26
	s_cbranch_vccnz .LBB1483_876
; %bb.869:
	v_mul_u64_e32 v[0:1], s[16:17], v[4:5]
	v_mul_u64_e32 v[22:23], s[16:17], v[2:3]
	s_mov_b32 s29, 0
	s_mov_b64 s[22:23], s[16:17]
                                        ; implicit-def: $sgpr28
                                        ; implicit-def: $sgpr30
                                        ; implicit-def: $sgpr33
                                        ; implicit-def: $sgpr31
                                        ; implicit-def: $sgpr34
	s_delay_alu instid0(VALU_DEP_2) | instskip(NEXT) | instid1(VALU_DEP_2)
	v_lshl_add_u64 v[0:1], v[0:1], 2, s[18:19]
	v_lshl_add_u64 v[22:23], v[22:23], 2, s[18:19]
	s_branch .LBB1483_871
.LBB1483_870:                           ;   in Loop: Header=BB1483_871 Depth=1
	s_or_b32 exec_lo, exec_lo, s35
	s_and_b32 s14, s14, s34
	s_delay_alu instid0(SALU_CYCLE_1) | instskip(SKIP_1) | instid1(SALU_CYCLE_1)
	s_or_b32 s14, vcc_lo, s14
	s_and_b32 s15, exec_lo, s33
	s_or_b32 s29, s15, s29
	s_and_not1_b32 s15, s34, exec_lo
	s_and_b32 s14, s14, exec_lo
	s_and_not1_b32 s30, s30, exec_lo
	s_and_b32 s35, s31, exec_lo
	s_or_b32 s34, s15, s14
	s_and_not1_b32 s15, s28, exec_lo
	s_or_b32 s30, s30, s35
	s_or_b32 s28, s15, s14
	s_and_not1_b32 exec_lo, exec_lo, s29
	s_cbranch_execz .LBB1483_873
.LBB1483_871:                           ; =>This Inner Loop Header: Depth=1
	global_load_b32 v25, v[0:1], off
	global_load_b32 v26, v[22:23], off
	s_or_b32 s31, s31, exec_lo
	s_or_b32 s33, s33, exec_lo
	s_mov_b32 s35, exec_lo
	s_wait_loadcnt 0x0
	v_cmp_le_u32_e64 s14, v25, v26
	v_cmp_lt_u32_e32 vcc_lo, v25, v26
	v_cmpx_eq_u32_e64 v25, v26
	s_cbranch_execz .LBB1483_870
; %bb.872:                              ;   in Loop: Header=BB1483_871 Depth=1
	s_add_nc_u64 s[22:23], s[22:23], -1
	v_add_nc_u64_e32 v[0:1], 4, v[0:1]
	s_cmp_eq_u64 s[22:23], 0
	v_add_nc_u64_e32 v[22:23], 4, v[22:23]
	s_cselect_b32 s15, -1, 0
	s_and_not1_b32 s33, s33, exec_lo
	s_and_b32 s15, s15, exec_lo
	s_and_not1_b32 s31, s31, exec_lo
	s_or_b32 s33, s33, s15
	s_branch .LBB1483_870
.LBB1483_873:
	s_or_b32 exec_lo, exec_lo, s29
	s_and_saveexec_b32 s14, s30
	s_delay_alu instid0(SALU_CYCLE_1)
	s_xor_b32 s14, exec_lo, s14
; %bb.874:
	v_dual_cndmask_b32 v1, v3, v5, s28 :: v_dual_cndmask_b32 v0, v2, v4, s28
	v_dual_cndmask_b32 v5, v5, v3, s28 :: v_dual_cndmask_b32 v4, v4, v2, s28
	s_delay_alu instid0(VALU_DEP_2)
	v_mov_b64_e32 v[2:3], v[0:1]
; %bb.875:
	s_or_b32 exec_lo, exec_lo, s14
.LBB1483_876:
	s_delay_alu instid0(SALU_CYCLE_1)
	s_or_b32 exec_lo, exec_lo, s27
	s_and_saveexec_b32 s27, s11
	s_cbranch_execz .LBB1483_885
; %bb.877:
	s_and_not1_b32 vcc_lo, exec_lo, s26
	s_cbranch_vccnz .LBB1483_885
; %bb.878:
	v_mul_u64_e32 v[0:1], s[16:17], v[10:11]
	v_mul_u64_e32 v[22:23], s[16:17], v[16:17]
	s_mov_b32 s29, 0
	s_mov_b64 s[22:23], s[16:17]
                                        ; implicit-def: $sgpr28
                                        ; implicit-def: $sgpr30
                                        ; implicit-def: $sgpr33
                                        ; implicit-def: $sgpr31
                                        ; implicit-def: $sgpr34
	s_delay_alu instid0(VALU_DEP_2) | instskip(NEXT) | instid1(VALU_DEP_2)
	v_lshl_add_u64 v[0:1], v[0:1], 2, s[18:19]
	v_lshl_add_u64 v[22:23], v[22:23], 2, s[18:19]
	s_branch .LBB1483_880
.LBB1483_879:                           ;   in Loop: Header=BB1483_880 Depth=1
	s_or_b32 exec_lo, exec_lo, s35
	s_and_b32 s14, s14, s34
	s_delay_alu instid0(SALU_CYCLE_1) | instskip(SKIP_1) | instid1(SALU_CYCLE_1)
	s_or_b32 s14, vcc_lo, s14
	s_and_b32 s15, exec_lo, s33
	s_or_b32 s29, s15, s29
	s_and_not1_b32 s15, s34, exec_lo
	s_and_b32 s14, s14, exec_lo
	s_and_not1_b32 s30, s30, exec_lo
	s_and_b32 s35, s31, exec_lo
	s_or_b32 s34, s15, s14
	s_and_not1_b32 s15, s28, exec_lo
	s_or_b32 s30, s30, s35
	s_or_b32 s28, s15, s14
	s_and_not1_b32 exec_lo, exec_lo, s29
	s_cbranch_execz .LBB1483_882
.LBB1483_880:                           ; =>This Inner Loop Header: Depth=1
	global_load_b32 v25, v[0:1], off
	global_load_b32 v26, v[22:23], off
	s_or_b32 s31, s31, exec_lo
	s_or_b32 s33, s33, exec_lo
	s_mov_b32 s35, exec_lo
	s_wait_loadcnt 0x0
	v_cmp_le_u32_e64 s14, v25, v26
	v_cmp_lt_u32_e32 vcc_lo, v25, v26
	v_cmpx_eq_u32_e64 v25, v26
	s_cbranch_execz .LBB1483_879
; %bb.881:                              ;   in Loop: Header=BB1483_880 Depth=1
	s_add_nc_u64 s[22:23], s[22:23], -1
	v_add_nc_u64_e32 v[0:1], 4, v[0:1]
	s_cmp_eq_u64 s[22:23], 0
	v_add_nc_u64_e32 v[22:23], 4, v[22:23]
	s_cselect_b32 s15, -1, 0
	s_and_not1_b32 s33, s33, exec_lo
	s_and_b32 s15, s15, exec_lo
	s_and_not1_b32 s31, s31, exec_lo
	s_or_b32 s33, s33, s15
	s_branch .LBB1483_879
.LBB1483_882:
	s_or_b32 exec_lo, exec_lo, s29
	s_and_saveexec_b32 s14, s30
	s_delay_alu instid0(SALU_CYCLE_1)
	s_xor_b32 s14, exec_lo, s14
; %bb.883:
	v_dual_cndmask_b32 v1, v17, v11, s28 :: v_dual_cndmask_b32 v0, v16, v10, s28
	v_dual_cndmask_b32 v11, v11, v17, s28 :: v_dual_cndmask_b32 v10, v10, v16, s28
	s_delay_alu instid0(VALU_DEP_2)
	v_mov_b64_e32 v[16:17], v[0:1]
; %bb.884:
	s_or_b32 exec_lo, exec_lo, s14
.LBB1483_885:
	s_delay_alu instid0(SALU_CYCLE_1)
	s_or_b32 exec_lo, exec_lo, s27
	s_and_saveexec_b32 s27, s12
	s_cbranch_execz .LBB1483_894
; %bb.886:
	s_and_not1_b32 vcc_lo, exec_lo, s26
	s_cbranch_vccnz .LBB1483_894
; %bb.887:
	v_mul_u64_e32 v[0:1], s[16:17], v[6:7]
	v_mul_u64_e32 v[22:23], s[16:17], v[12:13]
	s_mov_b32 s29, 0
	s_mov_b64 s[22:23], s[16:17]
                                        ; implicit-def: $sgpr28
                                        ; implicit-def: $sgpr30
                                        ; implicit-def: $sgpr33
                                        ; implicit-def: $sgpr31
                                        ; implicit-def: $sgpr34
	s_delay_alu instid0(VALU_DEP_2) | instskip(NEXT) | instid1(VALU_DEP_2)
	v_lshl_add_u64 v[0:1], v[0:1], 2, s[18:19]
	v_lshl_add_u64 v[22:23], v[22:23], 2, s[18:19]
	s_branch .LBB1483_889
.LBB1483_888:                           ;   in Loop: Header=BB1483_889 Depth=1
	s_or_b32 exec_lo, exec_lo, s35
	s_and_b32 s14, s14, s34
	s_delay_alu instid0(SALU_CYCLE_1) | instskip(SKIP_1) | instid1(SALU_CYCLE_1)
	s_or_b32 s14, vcc_lo, s14
	s_and_b32 s15, exec_lo, s33
	s_or_b32 s29, s15, s29
	s_and_not1_b32 s15, s34, exec_lo
	s_and_b32 s14, s14, exec_lo
	s_and_not1_b32 s30, s30, exec_lo
	s_and_b32 s35, s31, exec_lo
	s_or_b32 s34, s15, s14
	s_and_not1_b32 s15, s28, exec_lo
	s_or_b32 s30, s30, s35
	s_or_b32 s28, s15, s14
	s_and_not1_b32 exec_lo, exec_lo, s29
	s_cbranch_execz .LBB1483_891
.LBB1483_889:                           ; =>This Inner Loop Header: Depth=1
	global_load_b32 v25, v[0:1], off
	global_load_b32 v26, v[22:23], off
	s_or_b32 s31, s31, exec_lo
	s_or_b32 s33, s33, exec_lo
	s_mov_b32 s35, exec_lo
	s_wait_loadcnt 0x0
	v_cmp_le_u32_e64 s14, v25, v26
	v_cmp_lt_u32_e32 vcc_lo, v25, v26
	v_cmpx_eq_u32_e64 v25, v26
	s_cbranch_execz .LBB1483_888
; %bb.890:                              ;   in Loop: Header=BB1483_889 Depth=1
	s_add_nc_u64 s[22:23], s[22:23], -1
	v_add_nc_u64_e32 v[0:1], 4, v[0:1]
	s_cmp_eq_u64 s[22:23], 0
	v_add_nc_u64_e32 v[22:23], 4, v[22:23]
	s_cselect_b32 s15, -1, 0
	s_and_not1_b32 s33, s33, exec_lo
	s_and_b32 s15, s15, exec_lo
	s_and_not1_b32 s31, s31, exec_lo
	s_or_b32 s33, s33, s15
	s_branch .LBB1483_888
.LBB1483_891:
	s_or_b32 exec_lo, exec_lo, s29
	s_and_saveexec_b32 s14, s30
	s_delay_alu instid0(SALU_CYCLE_1)
	s_xor_b32 s14, exec_lo, s14
; %bb.892:
	v_dual_cndmask_b32 v1, v13, v7, s28 :: v_dual_cndmask_b32 v0, v12, v6, s28
	v_dual_cndmask_b32 v7, v7, v13, s28 :: v_dual_cndmask_b32 v6, v6, v12, s28
	s_delay_alu instid0(VALU_DEP_2)
	v_mov_b64_e32 v[12:13], v[0:1]
; %bb.893:
	s_or_b32 exec_lo, exec_lo, s14
.LBB1483_894:
	s_delay_alu instid0(SALU_CYCLE_1)
	s_or_b32 exec_lo, exec_lo, s27
	s_and_saveexec_b32 s27, s13
	s_cbranch_execz .LBB1483_903
; %bb.895:
	s_and_not1_b32 vcc_lo, exec_lo, s26
	s_cbranch_vccnz .LBB1483_903
; %bb.896:
	v_mul_u64_e32 v[0:1], s[16:17], v[2:3]
	v_mul_u64_e32 v[22:23], s[16:17], v[8:9]
	s_mov_b32 s29, 0
	s_mov_b64 s[22:23], s[16:17]
                                        ; implicit-def: $sgpr28
                                        ; implicit-def: $sgpr30
                                        ; implicit-def: $sgpr33
                                        ; implicit-def: $sgpr31
                                        ; implicit-def: $sgpr34
	s_delay_alu instid0(VALU_DEP_2) | instskip(NEXT) | instid1(VALU_DEP_2)
	v_lshl_add_u64 v[0:1], v[0:1], 2, s[18:19]
	v_lshl_add_u64 v[22:23], v[22:23], 2, s[18:19]
	s_branch .LBB1483_898
.LBB1483_897:                           ;   in Loop: Header=BB1483_898 Depth=1
	s_or_b32 exec_lo, exec_lo, s35
	s_and_b32 s14, s14, s34
	s_delay_alu instid0(SALU_CYCLE_1) | instskip(SKIP_1) | instid1(SALU_CYCLE_1)
	s_or_b32 s14, vcc_lo, s14
	s_and_b32 s15, exec_lo, s33
	s_or_b32 s29, s15, s29
	s_and_not1_b32 s15, s34, exec_lo
	s_and_b32 s14, s14, exec_lo
	s_and_not1_b32 s30, s30, exec_lo
	s_and_b32 s35, s31, exec_lo
	s_or_b32 s34, s15, s14
	s_and_not1_b32 s15, s28, exec_lo
	s_or_b32 s30, s30, s35
	s_or_b32 s28, s15, s14
	s_and_not1_b32 exec_lo, exec_lo, s29
	s_cbranch_execz .LBB1483_900
.LBB1483_898:                           ; =>This Inner Loop Header: Depth=1
	global_load_b32 v25, v[0:1], off
	global_load_b32 v26, v[22:23], off
	s_or_b32 s31, s31, exec_lo
	s_or_b32 s33, s33, exec_lo
	s_mov_b32 s35, exec_lo
	s_wait_loadcnt 0x0
	v_cmp_le_u32_e64 s14, v25, v26
	v_cmp_lt_u32_e32 vcc_lo, v25, v26
	v_cmpx_eq_u32_e64 v25, v26
	s_cbranch_execz .LBB1483_897
; %bb.899:                              ;   in Loop: Header=BB1483_898 Depth=1
	s_add_nc_u64 s[22:23], s[22:23], -1
	v_add_nc_u64_e32 v[0:1], 4, v[0:1]
	s_cmp_eq_u64 s[22:23], 0
	v_add_nc_u64_e32 v[22:23], 4, v[22:23]
	s_cselect_b32 s15, -1, 0
	s_and_not1_b32 s33, s33, exec_lo
	s_and_b32 s15, s15, exec_lo
	s_and_not1_b32 s31, s31, exec_lo
	s_or_b32 s33, s33, s15
	s_branch .LBB1483_897
.LBB1483_900:
	s_or_b32 exec_lo, exec_lo, s29
	s_and_saveexec_b32 s14, s30
	s_delay_alu instid0(SALU_CYCLE_1)
	s_xor_b32 s14, exec_lo, s14
; %bb.901:
	v_dual_cndmask_b32 v1, v9, v3, s28 :: v_dual_cndmask_b32 v0, v8, v2, s28
	v_dual_cndmask_b32 v3, v3, v9, s28 :: v_dual_cndmask_b32 v2, v2, v8, s28
	s_delay_alu instid0(VALU_DEP_2)
	v_mov_b64_e32 v[8:9], v[0:1]
; %bb.902:
	s_or_b32 exec_lo, exec_lo, s14
.LBB1483_903:
	s_delay_alu instid0(SALU_CYCLE_1)
	s_or_b32 exec_lo, exec_lo, s27
	s_and_saveexec_b32 s15, s7
	s_cbranch_execz .LBB1483_912
; %bb.904:
	s_and_not1_b32 vcc_lo, exec_lo, s26
	s_cbranch_vccnz .LBB1483_912
; %bb.905:
	v_mul_u64_e32 v[0:1], s[16:17], v[16:17]
	v_mul_u64_e32 v[22:23], s[16:17], v[14:15]
	s_mov_b32 s28, 0
	s_mov_b64 s[22:23], s[16:17]
                                        ; implicit-def: $sgpr27
                                        ; implicit-def: $sgpr29
                                        ; implicit-def: $sgpr31
                                        ; implicit-def: $sgpr30
                                        ; implicit-def: $sgpr33
	s_delay_alu instid0(VALU_DEP_2) | instskip(NEXT) | instid1(VALU_DEP_2)
	v_lshl_add_u64 v[0:1], v[0:1], 2, s[18:19]
	v_lshl_add_u64 v[22:23], v[22:23], 2, s[18:19]
	s_branch .LBB1483_907
.LBB1483_906:                           ;   in Loop: Header=BB1483_907 Depth=1
	s_or_b32 exec_lo, exec_lo, s34
	s_and_b32 s7, s7, s33
	s_delay_alu instid0(SALU_CYCLE_1) | instskip(SKIP_1) | instid1(SALU_CYCLE_1)
	s_or_b32 s7, vcc_lo, s7
	s_and_b32 s14, exec_lo, s31
	s_or_b32 s28, s14, s28
	s_and_not1_b32 s14, s33, exec_lo
	s_and_b32 s7, s7, exec_lo
	s_and_not1_b32 s29, s29, exec_lo
	s_and_b32 s34, s30, exec_lo
	s_or_b32 s33, s14, s7
	s_and_not1_b32 s14, s27, exec_lo
	s_or_b32 s29, s29, s34
	s_or_b32 s27, s14, s7
	s_and_not1_b32 exec_lo, exec_lo, s28
	s_cbranch_execz .LBB1483_909
.LBB1483_907:                           ; =>This Inner Loop Header: Depth=1
	global_load_b32 v25, v[0:1], off
	global_load_b32 v26, v[22:23], off
	s_or_b32 s30, s30, exec_lo
	s_or_b32 s31, s31, exec_lo
	s_mov_b32 s34, exec_lo
	s_wait_loadcnt 0x0
	v_cmp_le_u32_e64 s7, v25, v26
	v_cmp_lt_u32_e32 vcc_lo, v25, v26
	v_cmpx_eq_u32_e64 v25, v26
	s_cbranch_execz .LBB1483_906
; %bb.908:                              ;   in Loop: Header=BB1483_907 Depth=1
	s_add_nc_u64 s[22:23], s[22:23], -1
	v_add_nc_u64_e32 v[0:1], 4, v[0:1]
	s_cmp_eq_u64 s[22:23], 0
	v_add_nc_u64_e32 v[22:23], 4, v[22:23]
	s_cselect_b32 s14, -1, 0
	s_and_not1_b32 s31, s31, exec_lo
	s_and_b32 s14, s14, exec_lo
	s_and_not1_b32 s30, s30, exec_lo
	s_or_b32 s31, s31, s14
	s_branch .LBB1483_906
.LBB1483_909:
	s_or_b32 exec_lo, exec_lo, s28
	s_and_saveexec_b32 s7, s29
	s_delay_alu instid0(SALU_CYCLE_1)
	s_xor_b32 s7, exec_lo, s7
; %bb.910:
	v_dual_cndmask_b32 v1, v17, v15, s27 :: v_dual_cndmask_b32 v0, v16, v14, s27
	v_dual_cndmask_b32 v15, v15, v17, s27 :: v_dual_cndmask_b32 v14, v14, v16, s27
	s_delay_alu instid0(VALU_DEP_2)
	v_mov_b64_e32 v[16:17], v[0:1]
; %bb.911:
	s_or_b32 exec_lo, exec_lo, s7
.LBB1483_912:
	s_delay_alu instid0(SALU_CYCLE_1)
	s_or_b32 exec_lo, exec_lo, s15
	s_and_saveexec_b32 s22, s8
	s_cbranch_execz .LBB1483_921
; %bb.913:
	s_and_not1_b32 vcc_lo, exec_lo, s26
	s_cbranch_vccnz .LBB1483_921
; %bb.914:
	v_mul_u64_e32 v[0:1], s[16:17], v[12:13]
	v_mul_u64_e32 v[22:23], s[16:17], v[10:11]
	s_mov_b32 s27, 0
	s_mov_b64 s[14:15], s[16:17]
                                        ; implicit-def: $sgpr23
                                        ; implicit-def: $sgpr28
                                        ; implicit-def: $sgpr30
                                        ; implicit-def: $sgpr29
                                        ; implicit-def: $sgpr31
	s_delay_alu instid0(VALU_DEP_2) | instskip(NEXT) | instid1(VALU_DEP_2)
	v_lshl_add_u64 v[0:1], v[0:1], 2, s[18:19]
	v_lshl_add_u64 v[22:23], v[22:23], 2, s[18:19]
	s_branch .LBB1483_916
.LBB1483_915:                           ;   in Loop: Header=BB1483_916 Depth=1
	s_or_b32 exec_lo, exec_lo, s33
	s_and_b32 s7, s7, s31
	s_delay_alu instid0(SALU_CYCLE_1) | instskip(SKIP_1) | instid1(SALU_CYCLE_1)
	s_or_b32 s7, vcc_lo, s7
	s_and_b32 s8, exec_lo, s30
	s_or_b32 s27, s8, s27
	s_and_not1_b32 s8, s31, exec_lo
	s_and_b32 s7, s7, exec_lo
	s_and_not1_b32 s28, s28, exec_lo
	s_and_b32 s33, s29, exec_lo
	s_or_b32 s31, s8, s7
	s_and_not1_b32 s8, s23, exec_lo
	s_or_b32 s28, s28, s33
	s_or_b32 s23, s8, s7
	s_and_not1_b32 exec_lo, exec_lo, s27
	s_cbranch_execz .LBB1483_918
.LBB1483_916:                           ; =>This Inner Loop Header: Depth=1
	global_load_b32 v25, v[0:1], off
	global_load_b32 v26, v[22:23], off
	s_or_b32 s29, s29, exec_lo
	s_or_b32 s30, s30, exec_lo
	s_mov_b32 s33, exec_lo
	s_wait_loadcnt 0x0
	v_cmp_le_u32_e64 s7, v25, v26
	v_cmp_lt_u32_e32 vcc_lo, v25, v26
	v_cmpx_eq_u32_e64 v25, v26
	s_cbranch_execz .LBB1483_915
; %bb.917:                              ;   in Loop: Header=BB1483_916 Depth=1
	s_add_nc_u64 s[14:15], s[14:15], -1
	v_add_nc_u64_e32 v[0:1], 4, v[0:1]
	s_cmp_eq_u64 s[14:15], 0
	v_add_nc_u64_e32 v[22:23], 4, v[22:23]
	s_cselect_b32 s8, -1, 0
	s_and_not1_b32 s30, s30, exec_lo
	s_and_b32 s8, s8, exec_lo
	s_and_not1_b32 s29, s29, exec_lo
	s_or_b32 s30, s30, s8
	s_branch .LBB1483_915
.LBB1483_918:
	s_or_b32 exec_lo, exec_lo, s27
	s_and_saveexec_b32 s7, s28
	s_delay_alu instid0(SALU_CYCLE_1)
	s_xor_b32 s7, exec_lo, s7
; %bb.919:
	v_dual_cndmask_b32 v1, v11, v13, s23 :: v_dual_cndmask_b32 v0, v10, v12, s23
	v_dual_cndmask_b32 v13, v13, v11, s23 :: v_dual_cndmask_b32 v12, v12, v10, s23
	s_delay_alu instid0(VALU_DEP_2)
	v_mov_b64_e32 v[10:11], v[0:1]
; %bb.920:
	s_or_b32 exec_lo, exec_lo, s7
.LBB1483_921:
	s_delay_alu instid0(SALU_CYCLE_1)
	s_or_b32 exec_lo, exec_lo, s22
	s_and_saveexec_b32 s22, s9
	s_cbranch_execz .LBB1483_930
; %bb.922:
	s_and_not1_b32 vcc_lo, exec_lo, s26
	s_cbranch_vccnz .LBB1483_930
; %bb.923:
	v_mul_u64_e32 v[0:1], s[16:17], v[8:9]
	v_mul_u64_e32 v[22:23], s[16:17], v[6:7]
	s_mov_b32 s23, 0
	s_mov_b64 s[14:15], s[16:17]
                                        ; implicit-def: $sgpr9
                                        ; implicit-def: $sgpr27
                                        ; implicit-def: $sgpr29
                                        ; implicit-def: $sgpr28
                                        ; implicit-def: $sgpr30
	s_delay_alu instid0(VALU_DEP_2) | instskip(NEXT) | instid1(VALU_DEP_2)
	v_lshl_add_u64 v[0:1], v[0:1], 2, s[18:19]
	v_lshl_add_u64 v[22:23], v[22:23], 2, s[18:19]
	s_branch .LBB1483_925
.LBB1483_924:                           ;   in Loop: Header=BB1483_925 Depth=1
	s_or_b32 exec_lo, exec_lo, s31
	s_and_b32 s7, s7, s30
	s_delay_alu instid0(SALU_CYCLE_1) | instskip(SKIP_1) | instid1(SALU_CYCLE_1)
	s_or_b32 s7, vcc_lo, s7
	s_and_b32 s8, exec_lo, s29
	s_or_b32 s23, s8, s23
	s_and_not1_b32 s8, s30, exec_lo
	s_and_b32 s7, s7, exec_lo
	s_and_not1_b32 s27, s27, exec_lo
	s_and_b32 s31, s28, exec_lo
	s_or_b32 s30, s8, s7
	s_and_not1_b32 s8, s9, exec_lo
	s_or_b32 s27, s27, s31
	s_or_b32 s9, s8, s7
	s_and_not1_b32 exec_lo, exec_lo, s23
	s_cbranch_execz .LBB1483_927
.LBB1483_925:                           ; =>This Inner Loop Header: Depth=1
	global_load_b32 v25, v[0:1], off
	global_load_b32 v26, v[22:23], off
	s_or_b32 s28, s28, exec_lo
	s_or_b32 s29, s29, exec_lo
	s_mov_b32 s31, exec_lo
	s_wait_loadcnt 0x0
	v_cmp_le_u32_e64 s7, v25, v26
	v_cmp_lt_u32_e32 vcc_lo, v25, v26
	v_cmpx_eq_u32_e64 v25, v26
	s_cbranch_execz .LBB1483_924
; %bb.926:                              ;   in Loop: Header=BB1483_925 Depth=1
	s_add_nc_u64 s[14:15], s[14:15], -1
	v_add_nc_u64_e32 v[0:1], 4, v[0:1]
	s_cmp_eq_u64 s[14:15], 0
	v_add_nc_u64_e32 v[22:23], 4, v[22:23]
	s_cselect_b32 s8, -1, 0
	s_and_not1_b32 s29, s29, exec_lo
	s_and_b32 s8, s8, exec_lo
	s_and_not1_b32 s28, s28, exec_lo
	s_or_b32 s29, s29, s8
	s_branch .LBB1483_924
.LBB1483_927:
	s_or_b32 exec_lo, exec_lo, s23
	s_and_saveexec_b32 s7, s27
	s_delay_alu instid0(SALU_CYCLE_1)
	s_xor_b32 s7, exec_lo, s7
; %bb.928:
	v_dual_cndmask_b32 v1, v7, v9, s9 :: v_dual_cndmask_b32 v0, v6, v8, s9
	v_dual_cndmask_b32 v9, v9, v7, s9 :: v_dual_cndmask_b32 v8, v8, v6, s9
	s_delay_alu instid0(VALU_DEP_2)
	v_mov_b64_e32 v[6:7], v[0:1]
; %bb.929:
	s_or_b32 exec_lo, exec_lo, s7
.LBB1483_930:
	s_delay_alu instid0(SALU_CYCLE_1)
	s_or_b32 exec_lo, exec_lo, s22
	s_and_saveexec_b32 s9, s10
	s_cbranch_execz .LBB1483_939
; %bb.931:
	s_and_not1_b32 vcc_lo, exec_lo, s26
	s_cbranch_vccnz .LBB1483_939
; %bb.932:
	v_mul_u64_e32 v[0:1], s[16:17], v[4:5]
	v_mul_u64_e32 v[22:23], s[16:17], v[2:3]
	s_mov_b32 s22, 0
	s_mov_b64 s[14:15], s[16:17]
                                        ; implicit-def: $sgpr10
                                        ; implicit-def: $sgpr23
                                        ; implicit-def: $sgpr28
                                        ; implicit-def: $sgpr27
                                        ; implicit-def: $sgpr29
	s_delay_alu instid0(VALU_DEP_2) | instskip(NEXT) | instid1(VALU_DEP_2)
	v_lshl_add_u64 v[0:1], v[0:1], 2, s[18:19]
	v_lshl_add_u64 v[22:23], v[22:23], 2, s[18:19]
	s_branch .LBB1483_934
.LBB1483_933:                           ;   in Loop: Header=BB1483_934 Depth=1
	s_or_b32 exec_lo, exec_lo, s30
	s_and_b32 s7, s7, s29
	s_delay_alu instid0(SALU_CYCLE_1) | instskip(SKIP_1) | instid1(SALU_CYCLE_1)
	s_or_b32 s7, vcc_lo, s7
	s_and_b32 s8, exec_lo, s28
	s_or_b32 s22, s8, s22
	s_and_not1_b32 s8, s29, exec_lo
	s_and_b32 s7, s7, exec_lo
	s_and_not1_b32 s23, s23, exec_lo
	s_and_b32 s30, s27, exec_lo
	s_or_b32 s29, s8, s7
	s_and_not1_b32 s8, s10, exec_lo
	s_or_b32 s23, s23, s30
	s_or_b32 s10, s8, s7
	s_and_not1_b32 exec_lo, exec_lo, s22
	s_cbranch_execz .LBB1483_936
.LBB1483_934:                           ; =>This Inner Loop Header: Depth=1
	global_load_b32 v25, v[0:1], off
	global_load_b32 v26, v[22:23], off
	s_or_b32 s27, s27, exec_lo
	s_or_b32 s28, s28, exec_lo
	s_mov_b32 s30, exec_lo
	s_wait_loadcnt 0x0
	v_cmp_le_u32_e64 s7, v25, v26
	v_cmp_lt_u32_e32 vcc_lo, v25, v26
	v_cmpx_eq_u32_e64 v25, v26
	s_cbranch_execz .LBB1483_933
; %bb.935:                              ;   in Loop: Header=BB1483_934 Depth=1
	s_add_nc_u64 s[14:15], s[14:15], -1
	v_add_nc_u64_e32 v[0:1], 4, v[0:1]
	s_cmp_eq_u64 s[14:15], 0
	v_add_nc_u64_e32 v[22:23], 4, v[22:23]
	s_cselect_b32 s8, -1, 0
	s_and_not1_b32 s28, s28, exec_lo
	s_and_b32 s8, s8, exec_lo
	s_and_not1_b32 s27, s27, exec_lo
	s_or_b32 s28, s28, s8
	s_branch .LBB1483_933
.LBB1483_936:
	s_or_b32 exec_lo, exec_lo, s22
	s_and_saveexec_b32 s7, s23
	s_delay_alu instid0(SALU_CYCLE_1)
	s_xor_b32 s7, exec_lo, s7
; %bb.937:
	v_dual_cndmask_b32 v1, v3, v5, s10 :: v_dual_cndmask_b32 v0, v2, v4, s10
	v_dual_cndmask_b32 v5, v5, v3, s10 :: v_dual_cndmask_b32 v4, v4, v2, s10
	s_delay_alu instid0(VALU_DEP_2)
	v_mov_b64_e32 v[2:3], v[0:1]
; %bb.938:
	s_or_b32 exec_lo, exec_lo, s7
.LBB1483_939:
	s_delay_alu instid0(SALU_CYCLE_1)
	s_or_b32 exec_lo, exec_lo, s9
	s_and_saveexec_b32 s9, s11
	s_cbranch_execz .LBB1483_948
; %bb.940:
	s_and_not1_b32 vcc_lo, exec_lo, s26
	s_cbranch_vccnz .LBB1483_948
; %bb.941:
	v_mul_u64_e32 v[0:1], s[16:17], v[10:11]
	v_mul_u64_e32 v[22:23], s[16:17], v[16:17]
	s_mov_b32 s15, 0
	s_mov_b64 s[10:11], s[16:17]
                                        ; implicit-def: $sgpr14
                                        ; implicit-def: $sgpr22
                                        ; implicit-def: $sgpr27
                                        ; implicit-def: $sgpr23
                                        ; implicit-def: $sgpr28
	s_delay_alu instid0(VALU_DEP_2) | instskip(NEXT) | instid1(VALU_DEP_2)
	v_lshl_add_u64 v[0:1], v[0:1], 2, s[18:19]
	v_lshl_add_u64 v[22:23], v[22:23], 2, s[18:19]
	s_branch .LBB1483_943
.LBB1483_942:                           ;   in Loop: Header=BB1483_943 Depth=1
	s_or_b32 exec_lo, exec_lo, s29
	s_and_b32 s7, s7, s28
	s_delay_alu instid0(SALU_CYCLE_1) | instskip(SKIP_1) | instid1(SALU_CYCLE_1)
	s_or_b32 s7, vcc_lo, s7
	s_and_b32 s8, exec_lo, s27
	s_or_b32 s15, s8, s15
	s_and_not1_b32 s8, s28, exec_lo
	s_and_b32 s7, s7, exec_lo
	s_and_not1_b32 s22, s22, exec_lo
	s_and_b32 s29, s23, exec_lo
	s_or_b32 s28, s8, s7
	s_and_not1_b32 s8, s14, exec_lo
	s_or_b32 s22, s22, s29
	s_or_b32 s14, s8, s7
	s_and_not1_b32 exec_lo, exec_lo, s15
	s_cbranch_execz .LBB1483_945
.LBB1483_943:                           ; =>This Inner Loop Header: Depth=1
	global_load_b32 v25, v[0:1], off
	global_load_b32 v26, v[22:23], off
	s_or_b32 s23, s23, exec_lo
	s_or_b32 s27, s27, exec_lo
	s_mov_b32 s29, exec_lo
	s_wait_loadcnt 0x0
	v_cmp_le_u32_e64 s7, v25, v26
	v_cmp_lt_u32_e32 vcc_lo, v25, v26
	v_cmpx_eq_u32_e64 v25, v26
	s_cbranch_execz .LBB1483_942
; %bb.944:                              ;   in Loop: Header=BB1483_943 Depth=1
	s_add_nc_u64 s[10:11], s[10:11], -1
	v_add_nc_u64_e32 v[0:1], 4, v[0:1]
	s_cmp_eq_u64 s[10:11], 0
	v_add_nc_u64_e32 v[22:23], 4, v[22:23]
	s_cselect_b32 s8, -1, 0
	s_and_not1_b32 s27, s27, exec_lo
	s_and_b32 s8, s8, exec_lo
	s_and_not1_b32 s23, s23, exec_lo
	s_or_b32 s27, s27, s8
	s_branch .LBB1483_942
.LBB1483_945:
	s_or_b32 exec_lo, exec_lo, s15
	s_and_saveexec_b32 s7, s22
	s_delay_alu instid0(SALU_CYCLE_1)
	s_xor_b32 s7, exec_lo, s7
; %bb.946:
	v_dual_cndmask_b32 v1, v17, v11, s14 :: v_dual_cndmask_b32 v0, v16, v10, s14
	v_dual_cndmask_b32 v11, v11, v17, s14 :: v_dual_cndmask_b32 v10, v10, v16, s14
	s_delay_alu instid0(VALU_DEP_2)
	v_mov_b64_e32 v[16:17], v[0:1]
; %bb.947:
	s_or_b32 exec_lo, exec_lo, s7
.LBB1483_948:
	s_delay_alu instid0(SALU_CYCLE_1)
	s_or_b32 exec_lo, exec_lo, s9
	s_and_saveexec_b32 s9, s12
	s_cbranch_execz .LBB1483_957
; %bb.949:
	s_and_not1_b32 vcc_lo, exec_lo, s26
	s_cbranch_vccnz .LBB1483_957
; %bb.950:
	v_mul_u64_e32 v[0:1], s[16:17], v[6:7]
	v_mul_u64_e32 v[22:23], s[16:17], v[12:13]
	s_mov_b32 s14, 0
	s_mov_b64 s[10:11], s[16:17]
                                        ; implicit-def: $sgpr12
                                        ; implicit-def: $sgpr15
                                        ; implicit-def: $sgpr23
                                        ; implicit-def: $sgpr22
                                        ; implicit-def: $sgpr27
	s_delay_alu instid0(VALU_DEP_2) | instskip(NEXT) | instid1(VALU_DEP_2)
	v_lshl_add_u64 v[0:1], v[0:1], 2, s[18:19]
	v_lshl_add_u64 v[22:23], v[22:23], 2, s[18:19]
	s_branch .LBB1483_952
.LBB1483_951:                           ;   in Loop: Header=BB1483_952 Depth=1
	s_or_b32 exec_lo, exec_lo, s28
	s_and_b32 s7, s7, s27
	s_delay_alu instid0(SALU_CYCLE_1) | instskip(SKIP_1) | instid1(SALU_CYCLE_1)
	s_or_b32 s7, vcc_lo, s7
	s_and_b32 s8, exec_lo, s23
	s_or_b32 s14, s8, s14
	s_and_not1_b32 s8, s27, exec_lo
	s_and_b32 s7, s7, exec_lo
	s_and_not1_b32 s15, s15, exec_lo
	s_and_b32 s28, s22, exec_lo
	s_or_b32 s27, s8, s7
	s_and_not1_b32 s8, s12, exec_lo
	s_or_b32 s15, s15, s28
	s_or_b32 s12, s8, s7
	s_and_not1_b32 exec_lo, exec_lo, s14
	s_cbranch_execz .LBB1483_954
.LBB1483_952:                           ; =>This Inner Loop Header: Depth=1
	global_load_b32 v25, v[0:1], off
	global_load_b32 v26, v[22:23], off
	s_or_b32 s22, s22, exec_lo
	s_or_b32 s23, s23, exec_lo
	s_mov_b32 s28, exec_lo
	s_wait_loadcnt 0x0
	v_cmp_le_u32_e64 s7, v25, v26
	v_cmp_lt_u32_e32 vcc_lo, v25, v26
	v_cmpx_eq_u32_e64 v25, v26
	s_cbranch_execz .LBB1483_951
; %bb.953:                              ;   in Loop: Header=BB1483_952 Depth=1
	s_add_nc_u64 s[10:11], s[10:11], -1
	v_add_nc_u64_e32 v[0:1], 4, v[0:1]
	s_cmp_eq_u64 s[10:11], 0
	v_add_nc_u64_e32 v[22:23], 4, v[22:23]
	s_cselect_b32 s8, -1, 0
	s_and_not1_b32 s23, s23, exec_lo
	s_and_b32 s8, s8, exec_lo
	s_and_not1_b32 s22, s22, exec_lo
	s_or_b32 s23, s23, s8
	s_branch .LBB1483_951
.LBB1483_954:
	s_or_b32 exec_lo, exec_lo, s14
	s_and_saveexec_b32 s7, s15
	s_delay_alu instid0(SALU_CYCLE_1)
	s_xor_b32 s7, exec_lo, s7
; %bb.955:
	v_dual_cndmask_b32 v1, v13, v7, s12 :: v_dual_cndmask_b32 v0, v12, v6, s12
	v_dual_cndmask_b32 v7, v7, v13, s12 :: v_dual_cndmask_b32 v6, v6, v12, s12
	s_delay_alu instid0(VALU_DEP_2)
	v_mov_b64_e32 v[12:13], v[0:1]
; %bb.956:
	s_or_b32 exec_lo, exec_lo, s7
.LBB1483_957:
	s_delay_alu instid0(SALU_CYCLE_1)
	s_or_b32 exec_lo, exec_lo, s9
	s_and_saveexec_b32 s9, s13
	s_cbranch_execz .LBB1483_966
; %bb.958:
	s_and_not1_b32 vcc_lo, exec_lo, s26
	s_cbranch_vccnz .LBB1483_966
; %bb.959:
	v_mul_u64_e32 v[0:1], s[16:17], v[2:3]
	v_mul_u64_e32 v[22:23], s[16:17], v[8:9]
	s_mov_b32 s13, 0
	s_mov_b64 s[10:11], s[16:17]
                                        ; implicit-def: $sgpr12
                                        ; implicit-def: $sgpr14
                                        ; implicit-def: $sgpr22
                                        ; implicit-def: $sgpr15
                                        ; implicit-def: $sgpr23
	s_delay_alu instid0(VALU_DEP_2) | instskip(NEXT) | instid1(VALU_DEP_2)
	v_lshl_add_u64 v[0:1], v[0:1], 2, s[18:19]
	v_lshl_add_u64 v[22:23], v[22:23], 2, s[18:19]
	s_branch .LBB1483_961
.LBB1483_960:                           ;   in Loop: Header=BB1483_961 Depth=1
	s_or_b32 exec_lo, exec_lo, s27
	s_and_b32 s7, s7, s23
	s_delay_alu instid0(SALU_CYCLE_1) | instskip(SKIP_1) | instid1(SALU_CYCLE_1)
	s_or_b32 s7, vcc_lo, s7
	s_and_b32 s8, exec_lo, s22
	s_or_b32 s13, s8, s13
	s_and_not1_b32 s8, s23, exec_lo
	s_and_b32 s7, s7, exec_lo
	s_and_not1_b32 s14, s14, exec_lo
	s_and_b32 s27, s15, exec_lo
	s_or_b32 s23, s8, s7
	s_and_not1_b32 s8, s12, exec_lo
	s_or_b32 s14, s14, s27
	s_or_b32 s12, s8, s7
	s_and_not1_b32 exec_lo, exec_lo, s13
	s_cbranch_execz .LBB1483_963
.LBB1483_961:                           ; =>This Inner Loop Header: Depth=1
	global_load_b32 v25, v[0:1], off
	global_load_b32 v26, v[22:23], off
	s_or_b32 s15, s15, exec_lo
	s_or_b32 s22, s22, exec_lo
	s_mov_b32 s27, exec_lo
	s_wait_loadcnt 0x0
	v_cmp_le_u32_e64 s7, v25, v26
	v_cmp_lt_u32_e32 vcc_lo, v25, v26
	v_cmpx_eq_u32_e64 v25, v26
	s_cbranch_execz .LBB1483_960
; %bb.962:                              ;   in Loop: Header=BB1483_961 Depth=1
	s_add_nc_u64 s[10:11], s[10:11], -1
	v_add_nc_u64_e32 v[0:1], 4, v[0:1]
	s_cmp_eq_u64 s[10:11], 0
	v_add_nc_u64_e32 v[22:23], 4, v[22:23]
	s_cselect_b32 s8, -1, 0
	s_and_not1_b32 s22, s22, exec_lo
	s_and_b32 s8, s8, exec_lo
	s_and_not1_b32 s15, s15, exec_lo
	s_or_b32 s22, s22, s8
	s_branch .LBB1483_960
.LBB1483_963:
	s_or_b32 exec_lo, exec_lo, s13
	s_and_saveexec_b32 s7, s14
	s_delay_alu instid0(SALU_CYCLE_1)
	s_xor_b32 s7, exec_lo, s7
; %bb.964:
	v_dual_cndmask_b32 v1, v9, v3, s12 :: v_dual_cndmask_b32 v0, v8, v2, s12
	v_dual_cndmask_b32 v3, v3, v9, s12 :: v_dual_cndmask_b32 v2, v2, v8, s12
	s_delay_alu instid0(VALU_DEP_2)
	v_mov_b64_e32 v[8:9], v[0:1]
; %bb.965:
	s_or_b32 exec_lo, exec_lo, s7
.LBB1483_966:
	s_delay_alu instid0(SALU_CYCLE_1) | instskip(SKIP_4) | instid1(VALU_DEP_1)
	s_or_b32 exec_lo, exec_lo, s9
	v_mbcnt_lo_u32_b32 v0, -1, 0
	v_and_b32_e32 v1, 0xffffff00, v24
	s_mov_b32 s12, 0
	s_mov_b32 s13, exec_lo
	v_dual_lshlrev_b32 v45, 3, v0 :: v_dual_lshlrev_b32 v43, 3, v1
	v_sub_nc_u32_e64 v44, s25, v1 clamp
	s_delay_alu instid0(VALU_DEP_2) | instskip(SKIP_1) | instid1(VALU_DEP_4)
	v_or_b32_e32 v22, 8, v45
	v_and_b32_e32 v26, 0xf0, v45
	v_lshl_or_b32 v46, v0, 6, v43
	ds_store_b128 v46, v[14:17]
	ds_store_b128 v46, v[10:13] offset:16
	v_min_u32_e32 v47, v44, v22
	v_and_b32_e32 v22, 8, v45
	v_lshl_or_b32 v25, v26, 3, v43
	ds_store_b128 v46, v[6:9] offset:32
	ds_store_b128 v46, v[2:5] offset:48
	v_add_min_u32_e64 v48, v47, 8, v44
	v_min_u32_e32 v27, v44, v22
	v_sub_nc_u32_e32 v22, v47, v26
	; wave barrier
	s_delay_alu instid0(VALU_DEP_3) | instskip(NEXT) | instid1(VALU_DEP_2)
	v_sub_nc_u32_e32 v1, v48, v47
	v_min_u32_e32 v28, v27, v22
	s_delay_alu instid0(VALU_DEP_2) | instskip(NEXT) | instid1(VALU_DEP_1)
	v_sub_nc_u32_e64 v24, v27, v1 clamp
	v_cmpx_lt_u32_e64 v24, v28
	s_cbranch_execz .LBB1483_977
; %bb.967:
	v_lshlrev_b32_e32 v0, 3, v47
	v_lshlrev_b32_e32 v1, 3, v27
	s_lshl_b64 s[8:9], s[16:17], 2
	s_delay_alu instid0(VALU_DEP_1)
	v_add3_u32 v29, v43, v0, v1
	s_branch .LBB1483_970
.LBB1483_968:                           ;   in Loop: Header=BB1483_970 Depth=1
	s_or_b32 exec_lo, exec_lo, s15
.LBB1483_969:                           ;   in Loop: Header=BB1483_970 Depth=1
	s_delay_alu instid0(VALU_DEP_1) | instskip(NEXT) | instid1(VALU_DEP_1)
	v_dual_add_nc_u32 v0, 1, v30 :: v_dual_cndmask_b32 v28, v28, v30, s14
	v_cndmask_b32_e64 v24, v0, v24, s14
	s_delay_alu instid0(VALU_DEP_1) | instskip(SKIP_1) | instid1(SALU_CYCLE_1)
	v_cmp_ge_u32_e32 vcc_lo, v24, v28
	s_or_b32 s12, vcc_lo, s12
	s_and_not1_b32 exec_lo, exec_lo, s12
	s_cbranch_execz .LBB1483_976
.LBB1483_970:                           ; =>This Loop Header: Depth=1
                                        ;     Child Loop BB1483_973 Depth 2
	v_add_nc_u32_e32 v0, v28, v24
	s_and_not1_b32 vcc_lo, exec_lo, s26
	s_delay_alu instid0(VALU_DEP_1)
	v_lshrrev_b32_e32 v30, 1, v0
	s_cbranch_vccnz .LBB1483_975
; %bb.971:                              ;   in Loop: Header=BB1483_970 Depth=1
	s_delay_alu instid0(VALU_DEP_1) | instskip(SKIP_3) | instid1(VALU_DEP_2)
	v_not_b32_e32 v0, v30
	v_lshl_add_u32 v1, v30, 3, v25
	s_mov_b32 s15, 0
	s_mov_b64 s[10:11], s[16:17]
                                        ; implicit-def: $sgpr14
                                        ; implicit-def: $sgpr22
                                        ; implicit-def: $sgpr23
                                        ; implicit-def: $sgpr27
	v_lshl_add_u32 v0, v0, 3, v29
	ds_load_b64 v[32:33], v0
	ds_load_b64 v[34:35], v1
	s_wait_dscnt 0x1
	v_mad_nc_u64_u32 v[0:1], s8, v32, s[18:19]
	s_wait_dscnt 0x0
	v_mad_nc_u64_u32 v[22:23], s8, v34, s[18:19]
	s_delay_alu instid0(VALU_DEP_2) | instskip(NEXT) | instid1(VALU_DEP_2)
	v_mad_u32 v1, s9, v32, v1
	v_mad_u32 v23, s9, v34, v23
	s_delay_alu instid0(VALU_DEP_2) | instskip(NEXT) | instid1(VALU_DEP_2)
	v_mad_u32 v1, s8, v33, v1
	v_mad_u32 v23, s8, v35, v23
	s_branch .LBB1483_973
.LBB1483_972:                           ;   in Loop: Header=BB1483_973 Depth=2
	s_or_b32 exec_lo, exec_lo, s28
	s_delay_alu instid0(SALU_CYCLE_1) | instskip(NEXT) | instid1(SALU_CYCLE_1)
	s_and_b32 s28, exec_lo, s22
	s_or_b32 s15, s28, s15
	s_and_not1_b32 s27, s27, exec_lo
	s_and_b32 s7, s7, exec_lo
	s_and_not1_b32 s14, s14, exec_lo
	s_and_b32 s28, s23, exec_lo
	s_or_b32 s27, s27, s7
	s_or_b32 s14, s14, s28
	s_and_not1_b32 exec_lo, exec_lo, s15
	s_cbranch_execz .LBB1483_968
.LBB1483_973:                           ;   Parent Loop BB1483_970 Depth=1
                                        ; =>  This Inner Loop Header: Depth=2
	global_load_b32 v31, v[0:1], off
	global_load_b32 v32, v[22:23], off
	s_and_not1_b32 s23, s23, exec_lo
	s_or_b32 s22, s22, exec_lo
	s_wait_loadcnt 0x0
	v_cmp_le_u32_e32 vcc_lo, v31, v32
	v_cmp_lt_u32_e64 s7, v31, v32
	s_and_b32 s28, vcc_lo, s27
	s_delay_alu instid0(SALU_CYCLE_1) | instskip(NEXT) | instid1(SALU_CYCLE_1)
	s_or_b32 s7, s7, s28
	s_and_b32 s28, s7, exec_lo
	s_delay_alu instid0(SALU_CYCLE_1)
	s_or_b32 s23, s23, s28
	s_mov_b32 s28, exec_lo
	v_cmpx_eq_u32_e64 v31, v32
	s_cbranch_execz .LBB1483_972
; %bb.974:                              ;   in Loop: Header=BB1483_973 Depth=2
	s_add_nc_u64 s[10:11], s[10:11], -1
	v_add_nc_u64_e32 v[0:1], 4, v[0:1]
	s_cmp_eq_u64 s[10:11], 0
	v_add_nc_u64_e32 v[22:23], 4, v[22:23]
	s_cselect_b32 s27, -1, 0
	s_and_not1_b32 s22, s22, exec_lo
	s_and_b32 s27, s27, exec_lo
	s_and_not1_b32 s23, s23, exec_lo
	s_or_b32 s22, s22, s27
                                        ; implicit-def: $sgpr27
	s_branch .LBB1483_972
.LBB1483_975:                           ;   in Loop: Header=BB1483_970 Depth=1
	s_mov_b32 s14, 0
	s_branch .LBB1483_969
.LBB1483_976:
	s_or_b32 exec_lo, exec_lo, s12
.LBB1483_977:
	s_delay_alu instid0(SALU_CYCLE_1) | instskip(SKIP_1) | instid1(VALU_DEP_1)
	s_or_b32 exec_lo, exec_lo, s13
	v_dual_add_nc_u32 v0, v47, v27 :: v_dual_add_nc_u32 v22, v24, v26
	v_sub_nc_u32_e32 v23, v0, v24
	s_delay_alu instid0(VALU_DEP_2) | instskip(NEXT) | instid1(VALU_DEP_2)
	v_cmp_le_u32_e32 vcc_lo, v22, v47
	v_cmp_le_u32_e64 s7, v23, v48
	s_or_b32 s7, vcc_lo, s7
	s_delay_alu instid0(SALU_CYCLE_1)
	s_and_saveexec_b32 s10, s7
	s_cbranch_execz .LBB1483_1068
; %bb.978:
	s_mov_b32 s8, exec_lo
	v_cmp_ge_u32_e32 vcc_lo, v22, v47
                                        ; implicit-def: $vgpr0_vgpr1
	v_cmpx_lt_u32_e64 v22, v47
; %bb.979:
	v_lshl_add_u32 v0, v24, 3, v25
	ds_load_b64 v[0:1], v0
; %bb.980:
	s_or_b32 exec_lo, exec_lo, s8
	v_cmp_ge_u32_e64 s11, v23, v48
	s_mov_b32 s8, exec_lo
                                        ; implicit-def: $vgpr2_vgpr3
	v_cmpx_lt_u32_e64 v23, v48
; %bb.981:
	v_lshl_add_u32 v2, v23, 3, v43
	ds_load_b64 v[2:3], v2
; %bb.982:
	s_or_b32 exec_lo, exec_lo, s8
	s_nor_b32 s7, vcc_lo, s11
	s_delay_alu instid0(SALU_CYCLE_1)
	s_and_saveexec_b32 s12, s7
	s_cbranch_execz .LBB1483_991
; %bb.983:
	s_and_not1_b32 vcc_lo, exec_lo, s26
	s_cbranch_vccnz .LBB1483_989
; %bb.984:
	s_wait_dscnt 0x0
	v_mul_u64_e32 v[4:5], s[16:17], v[2:3]
	v_mul_u64_e32 v[6:7], s[16:17], v[0:1]
	s_mov_b32 s13, 0
	s_mov_b64 s[8:9], s[16:17]
                                        ; implicit-def: $sgpr14
                                        ; implicit-def: $sgpr15
                                        ; implicit-def: $sgpr22
                                        ; implicit-def: $sgpr23
	s_delay_alu instid0(VALU_DEP_2) | instskip(NEXT) | instid1(VALU_DEP_2)
	v_lshl_add_u64 v[4:5], v[4:5], 2, s[18:19]
	v_lshl_add_u64 v[6:7], v[6:7], 2, s[18:19]
	s_branch .LBB1483_986
.LBB1483_985:                           ;   in Loop: Header=BB1483_986 Depth=1
	s_or_b32 exec_lo, exec_lo, s27
	s_delay_alu instid0(SALU_CYCLE_1) | instskip(NEXT) | instid1(SALU_CYCLE_1)
	s_and_b32 s27, exec_lo, s15
	s_or_b32 s13, s27, s13
	s_and_not1_b32 s23, s23, exec_lo
	s_and_b32 s7, s7, exec_lo
	s_and_not1_b32 s14, s14, exec_lo
	s_and_b32 s27, s22, exec_lo
	s_or_b32 s23, s23, s7
	s_or_b32 s14, s14, s27
	s_and_not1_b32 exec_lo, exec_lo, s13
	s_cbranch_execz .LBB1483_988
.LBB1483_986:                           ; =>This Inner Loop Header: Depth=1
	global_load_b32 v8, v[4:5], off
	global_load_b32 v9, v[6:7], off
	s_and_not1_b32 s22, s22, exec_lo
	s_or_b32 s15, s15, exec_lo
	s_wait_loadcnt 0x0
	v_cmp_le_u32_e32 vcc_lo, v8, v9
	v_cmp_lt_u32_e64 s7, v8, v9
	s_and_b32 s27, vcc_lo, s23
	s_delay_alu instid0(SALU_CYCLE_1) | instskip(NEXT) | instid1(SALU_CYCLE_1)
	s_or_b32 s7, s7, s27
	s_and_b32 s27, s7, exec_lo
	s_delay_alu instid0(SALU_CYCLE_1)
	s_or_b32 s22, s22, s27
	s_mov_b32 s27, exec_lo
	v_cmpx_eq_u32_e64 v8, v9
	s_cbranch_execz .LBB1483_985
; %bb.987:                              ;   in Loop: Header=BB1483_986 Depth=1
	s_add_nc_u64 s[8:9], s[8:9], -1
	v_add_nc_u64_e32 v[4:5], 4, v[4:5]
	s_cmp_eq_u64 s[8:9], 0
	v_add_nc_u64_e32 v[6:7], 4, v[6:7]
	s_cselect_b32 s23, -1, 0
	s_and_not1_b32 s15, s15, exec_lo
	s_and_b32 s23, s23, exec_lo
	s_and_not1_b32 s22, s22, exec_lo
	s_or_b32 s15, s15, s23
                                        ; implicit-def: $sgpr23
	s_branch .LBB1483_985
.LBB1483_988:
	s_or_b32 exec_lo, exec_lo, s13
	s_xor_b32 s7, s14, -1
	s_branch .LBB1483_990
.LBB1483_989:
	s_mov_b32 s7, -1
.LBB1483_990:
	s_and_not1_b32 s8, s11, exec_lo
	s_and_b32 s7, s7, exec_lo
	s_delay_alu instid0(SALU_CYCLE_1)
	s_or_b32 s11, s8, s7
.LBB1483_991:
	s_or_b32 exec_lo, exec_lo, s12
	v_dual_cndmask_b32 v4, v23, v22, s11 :: v_dual_cndmask_b32 v5, v48, v47, s11
	s_mov_b32 s13, -1
	s_mov_b32 s12, -1
	s_mov_b32 s14, exec_lo
	s_delay_alu instid0(VALU_DEP_1) | instskip(NEXT) | instid1(VALU_DEP_1)
	v_add_nc_u32_e32 v4, 1, v4
	v_add_min_u32_e64 v5, v5, -1, v4
	s_delay_alu instid0(VALU_DEP_1)
	v_lshl_add_u32 v5, v5, 3, v43
	ds_load_b64 v[6:7], v5
	s_wait_dscnt 0x0
	v_cndmask_b32_e64 v5, v7, v3, s11
	v_dual_cndmask_b32 v10, v4, v23, s11 :: v_dual_cndmask_b32 v11, v22, v4, s11
	v_dual_cndmask_b32 v4, v6, v2, s11 :: v_dual_cndmask_b32 v15, v1, v7, s11
	v_cndmask_b32_e64 v14, v0, v6, s11
	s_delay_alu instid0(VALU_DEP_3)
	v_cmpx_lt_u32_e64 v10, v48
	s_cbranch_execz .LBB1483_1002
; %bb.992:
	s_mov_b32 s7, 0
	s_mov_b32 s12, exec_lo
	v_cmpx_lt_u32_e64 v11, v47
	s_cbranch_execz .LBB1483_1001
; %bb.993:
	s_and_not1_b32 vcc_lo, exec_lo, s26
	s_cbranch_vccnz .LBB1483_999
; %bb.994:
	v_mul_u64_e32 v[6:7], s[16:17], v[4:5]
	v_mul_u64_e32 v[8:9], s[16:17], v[14:15]
	s_mov_b32 s15, 0
	s_mov_b64 s[8:9], s[16:17]
                                        ; implicit-def: $sgpr22
                                        ; implicit-def: $sgpr23
                                        ; implicit-def: $sgpr27
                                        ; implicit-def: $sgpr28
	s_delay_alu instid0(VALU_DEP_2) | instskip(NEXT) | instid1(VALU_DEP_2)
	v_lshl_add_u64 v[6:7], v[6:7], 2, s[18:19]
	v_lshl_add_u64 v[8:9], v[8:9], 2, s[18:19]
	s_branch .LBB1483_996
.LBB1483_995:                           ;   in Loop: Header=BB1483_996 Depth=1
	s_or_b32 exec_lo, exec_lo, s29
	s_delay_alu instid0(SALU_CYCLE_1) | instskip(NEXT) | instid1(SALU_CYCLE_1)
	s_and_b32 s29, exec_lo, s23
	s_or_b32 s15, s29, s15
	s_and_not1_b32 s28, s28, exec_lo
	s_and_b32 s7, s7, exec_lo
	s_and_not1_b32 s22, s22, exec_lo
	s_and_b32 s29, s27, exec_lo
	s_or_b32 s28, s28, s7
	s_or_b32 s22, s22, s29
	s_and_not1_b32 exec_lo, exec_lo, s15
	s_cbranch_execz .LBB1483_998
.LBB1483_996:                           ; =>This Inner Loop Header: Depth=1
	global_load_b32 v12, v[6:7], off
	global_load_b32 v13, v[8:9], off
	s_and_not1_b32 s27, s27, exec_lo
	s_or_b32 s23, s23, exec_lo
	s_wait_loadcnt 0x0
	v_cmp_le_u32_e32 vcc_lo, v12, v13
	v_cmp_lt_u32_e64 s7, v12, v13
	s_and_b32 s29, vcc_lo, s28
	s_delay_alu instid0(SALU_CYCLE_1) | instskip(NEXT) | instid1(SALU_CYCLE_1)
	s_or_b32 s7, s7, s29
	s_and_b32 s29, s7, exec_lo
	s_delay_alu instid0(SALU_CYCLE_1)
	s_or_b32 s27, s27, s29
	s_mov_b32 s29, exec_lo
	v_cmpx_eq_u32_e64 v12, v13
	s_cbranch_execz .LBB1483_995
; %bb.997:                              ;   in Loop: Header=BB1483_996 Depth=1
	s_add_nc_u64 s[8:9], s[8:9], -1
	v_add_nc_u64_e32 v[6:7], 4, v[6:7]
	s_cmp_eq_u64 s[8:9], 0
	v_add_nc_u64_e32 v[8:9], 4, v[8:9]
	s_cselect_b32 s28, -1, 0
	s_and_not1_b32 s23, s23, exec_lo
	s_and_b32 s28, s28, exec_lo
	s_and_not1_b32 s27, s27, exec_lo
	s_or_b32 s23, s23, s28
                                        ; implicit-def: $sgpr28
	s_branch .LBB1483_995
.LBB1483_998:
	s_or_b32 exec_lo, exec_lo, s15
	s_xor_b32 s7, s22, -1
	s_branch .LBB1483_1000
.LBB1483_999:
	s_mov_b32 s7, -1
.LBB1483_1000:
	s_delay_alu instid0(SALU_CYCLE_1)
	s_and_b32 s7, s7, exec_lo
.LBB1483_1001:
	s_or_b32 exec_lo, exec_lo, s12
	s_delay_alu instid0(SALU_CYCLE_1)
	s_or_not1_b32 s12, s7, exec_lo
.LBB1483_1002:
	s_or_b32 exec_lo, exec_lo, s14
	v_cndmask_b32_e64 v6, v10, v11, s12
	v_cndmask_b32_e64 v7, v48, v47, s12
	s_mov_b32 s14, exec_lo
	s_delay_alu instid0(VALU_DEP_2) | instskip(NEXT) | instid1(VALU_DEP_1)
	v_add_nc_u32_e32 v8, 1, v6
	v_add_min_u32_e64 v6, v7, -1, v8
	v_cndmask_b32_e64 v12, v8, v10, s12
	s_delay_alu instid0(VALU_DEP_2)
	v_lshl_add_u32 v6, v6, 3, v43
	ds_load_b64 v[6:7], v6
	s_wait_dscnt 0x0
	v_dual_cndmask_b32 v13, v11, v8, s12 :: v_dual_cndmask_b32 v16, v14, v6, s12
	v_dual_cndmask_b32 v11, v7, v5, s12 :: v_dual_cndmask_b32 v10, v6, v4, s12
	v_cndmask_b32_e64 v17, v15, v7, s12
	v_cmpx_lt_u32_e64 v12, v48
	s_cbranch_execz .LBB1483_1013
; %bb.1003:
	s_mov_b32 s7, 0
	s_mov_b32 s13, exec_lo
	v_cmpx_lt_u32_e64 v13, v47
	s_cbranch_execz .LBB1483_1012
; %bb.1004:
	s_and_not1_b32 vcc_lo, exec_lo, s26
	s_cbranch_vccnz .LBB1483_1010
; %bb.1005:
	v_mul_u64_e32 v[6:7], s[16:17], v[10:11]
	v_mul_u64_e32 v[8:9], s[16:17], v[16:17]
	s_mov_b32 s15, 0
	s_mov_b64 s[8:9], s[16:17]
                                        ; implicit-def: $sgpr22
                                        ; implicit-def: $sgpr23
                                        ; implicit-def: $sgpr27
                                        ; implicit-def: $sgpr28
	s_delay_alu instid0(VALU_DEP_2) | instskip(NEXT) | instid1(VALU_DEP_2)
	v_lshl_add_u64 v[6:7], v[6:7], 2, s[18:19]
	v_lshl_add_u64 v[8:9], v[8:9], 2, s[18:19]
	s_branch .LBB1483_1007
.LBB1483_1006:                          ;   in Loop: Header=BB1483_1007 Depth=1
	s_or_b32 exec_lo, exec_lo, s29
	s_delay_alu instid0(SALU_CYCLE_1) | instskip(NEXT) | instid1(SALU_CYCLE_1)
	s_and_b32 s29, exec_lo, s23
	s_or_b32 s15, s29, s15
	s_and_not1_b32 s28, s28, exec_lo
	s_and_b32 s7, s7, exec_lo
	s_and_not1_b32 s22, s22, exec_lo
	s_and_b32 s29, s27, exec_lo
	s_or_b32 s28, s28, s7
	s_or_b32 s22, s22, s29
	s_and_not1_b32 exec_lo, exec_lo, s15
	s_cbranch_execz .LBB1483_1009
.LBB1483_1007:                          ; =>This Inner Loop Header: Depth=1
	global_load_b32 v22, v[6:7], off
	global_load_b32 v23, v[8:9], off
	s_and_not1_b32 s27, s27, exec_lo
	s_or_b32 s23, s23, exec_lo
	s_wait_loadcnt 0x0
	v_cmp_le_u32_e32 vcc_lo, v22, v23
	v_cmp_lt_u32_e64 s7, v22, v23
	s_and_b32 s29, vcc_lo, s28
	s_delay_alu instid0(SALU_CYCLE_1) | instskip(NEXT) | instid1(SALU_CYCLE_1)
	s_or_b32 s7, s7, s29
	s_and_b32 s29, s7, exec_lo
	s_delay_alu instid0(SALU_CYCLE_1)
	s_or_b32 s27, s27, s29
	s_mov_b32 s29, exec_lo
	v_cmpx_eq_u32_e64 v22, v23
	s_cbranch_execz .LBB1483_1006
; %bb.1008:                             ;   in Loop: Header=BB1483_1007 Depth=1
	s_add_nc_u64 s[8:9], s[8:9], -1
	v_add_nc_u64_e32 v[6:7], 4, v[6:7]
	s_cmp_eq_u64 s[8:9], 0
	v_add_nc_u64_e32 v[8:9], 4, v[8:9]
	s_cselect_b32 s28, -1, 0
	s_and_not1_b32 s23, s23, exec_lo
	s_and_b32 s28, s28, exec_lo
	s_and_not1_b32 s27, s27, exec_lo
	s_or_b32 s23, s23, s28
                                        ; implicit-def: $sgpr28
	s_branch .LBB1483_1006
.LBB1483_1009:
	s_or_b32 exec_lo, exec_lo, s15
	s_xor_b32 s7, s22, -1
	s_branch .LBB1483_1011
.LBB1483_1010:
	s_mov_b32 s7, -1
.LBB1483_1011:
	s_delay_alu instid0(SALU_CYCLE_1)
	s_and_b32 s7, s7, exec_lo
.LBB1483_1012:
	s_or_b32 exec_lo, exec_lo, s13
	s_delay_alu instid0(SALU_CYCLE_1)
	s_or_not1_b32 s13, s7, exec_lo
.LBB1483_1013:
	s_or_b32 exec_lo, exec_lo, s14
	v_cndmask_b32_e64 v6, v12, v13, s13
	v_cndmask_b32_e64 v7, v48, v47, s13
	s_mov_b32 s15, -1
	s_mov_b32 s14, -1
	s_mov_b32 s22, exec_lo
	v_add_nc_u32_e32 v8, 1, v6
	s_delay_alu instid0(VALU_DEP_1) | instskip(SKIP_1) | instid1(VALU_DEP_2)
	v_add_min_u32_e64 v6, v7, -1, v8
	v_cndmask_b32_e64 v25, v13, v8, s13
	v_lshl_add_u32 v6, v6, 3, v43
	ds_load_b64 v[6:7], v6
	s_wait_dscnt 0x0
	v_dual_cndmask_b32 v24, v8, v12, s13 :: v_dual_cndmask_b32 v13, v7, v11, s13
	v_dual_cndmask_b32 v12, v6, v10, s13 :: v_dual_cndmask_b32 v23, v17, v7, s13
	v_cndmask_b32_e64 v22, v16, v6, s13
	s_delay_alu instid0(VALU_DEP_3)
	v_cmpx_lt_u32_e64 v24, v48
	s_cbranch_execz .LBB1483_1024
; %bb.1014:
	s_mov_b32 s7, 0
	s_mov_b32 s14, exec_lo
	v_cmpx_lt_u32_e64 v25, v47
	s_cbranch_execz .LBB1483_1023
; %bb.1015:
	s_and_not1_b32 vcc_lo, exec_lo, s26
	s_cbranch_vccnz .LBB1483_1021
; %bb.1016:
	v_mul_u64_e32 v[6:7], s[16:17], v[12:13]
	v_mul_u64_e32 v[8:9], s[16:17], v[22:23]
	s_mov_b32 s23, 0
	s_mov_b64 s[8:9], s[16:17]
                                        ; implicit-def: $sgpr27
                                        ; implicit-def: $sgpr28
                                        ; implicit-def: $sgpr29
                                        ; implicit-def: $sgpr30
	s_delay_alu instid0(VALU_DEP_2) | instskip(NEXT) | instid1(VALU_DEP_2)
	v_lshl_add_u64 v[6:7], v[6:7], 2, s[18:19]
	v_lshl_add_u64 v[8:9], v[8:9], 2, s[18:19]
	s_branch .LBB1483_1018
.LBB1483_1017:                          ;   in Loop: Header=BB1483_1018 Depth=1
	s_or_b32 exec_lo, exec_lo, s31
	s_delay_alu instid0(SALU_CYCLE_1) | instskip(NEXT) | instid1(SALU_CYCLE_1)
	s_and_b32 s31, exec_lo, s28
	s_or_b32 s23, s31, s23
	s_and_not1_b32 s30, s30, exec_lo
	s_and_b32 s7, s7, exec_lo
	s_and_not1_b32 s27, s27, exec_lo
	s_and_b32 s31, s29, exec_lo
	s_or_b32 s30, s30, s7
	s_or_b32 s27, s27, s31
	s_and_not1_b32 exec_lo, exec_lo, s23
	s_cbranch_execz .LBB1483_1020
.LBB1483_1018:                          ; =>This Inner Loop Header: Depth=1
	global_load_b32 v26, v[6:7], off
	global_load_b32 v27, v[8:9], off
	s_and_not1_b32 s29, s29, exec_lo
	s_or_b32 s28, s28, exec_lo
	s_wait_loadcnt 0x0
	v_cmp_le_u32_e32 vcc_lo, v26, v27
	v_cmp_lt_u32_e64 s7, v26, v27
	s_and_b32 s31, vcc_lo, s30
	s_delay_alu instid0(SALU_CYCLE_1) | instskip(NEXT) | instid1(SALU_CYCLE_1)
	s_or_b32 s7, s7, s31
	s_and_b32 s31, s7, exec_lo
	s_delay_alu instid0(SALU_CYCLE_1)
	s_or_b32 s29, s29, s31
	s_mov_b32 s31, exec_lo
	v_cmpx_eq_u32_e64 v26, v27
	s_cbranch_execz .LBB1483_1017
; %bb.1019:                             ;   in Loop: Header=BB1483_1018 Depth=1
	s_add_nc_u64 s[8:9], s[8:9], -1
	v_add_nc_u64_e32 v[6:7], 4, v[6:7]
	s_cmp_eq_u64 s[8:9], 0
	v_add_nc_u64_e32 v[8:9], 4, v[8:9]
	s_cselect_b32 s30, -1, 0
	s_and_not1_b32 s28, s28, exec_lo
	s_and_b32 s30, s30, exec_lo
	s_and_not1_b32 s29, s29, exec_lo
	s_or_b32 s28, s28, s30
                                        ; implicit-def: $sgpr30
	s_branch .LBB1483_1017
.LBB1483_1020:
	s_or_b32 exec_lo, exec_lo, s23
	s_xor_b32 s7, s27, -1
	s_branch .LBB1483_1022
.LBB1483_1021:
	s_mov_b32 s7, -1
.LBB1483_1022:
	s_delay_alu instid0(SALU_CYCLE_1)
	s_and_b32 s7, s7, exec_lo
.LBB1483_1023:
	s_or_b32 exec_lo, exec_lo, s14
	s_delay_alu instid0(SALU_CYCLE_1)
	s_or_not1_b32 s14, s7, exec_lo
.LBB1483_1024:
	s_or_b32 exec_lo, exec_lo, s22
	v_cndmask_b32_e64 v6, v24, v25, s14
	v_cndmask_b32_e64 v7, v48, v47, s14
	s_mov_b32 s22, exec_lo
	s_delay_alu instid0(VALU_DEP_2) | instskip(NEXT) | instid1(VALU_DEP_1)
	v_add_nc_u32_e32 v6, 1, v6
	v_add_min_u32_e64 v7, v7, -1, v6
	v_dual_cndmask_b32 v28, v6, v24, s14 :: v_dual_cndmask_b32 v29, v25, v6, s14
	s_delay_alu instid0(VALU_DEP_2)
	v_lshl_add_u32 v7, v7, 3, v43
	ds_load_b64 v[8:9], v7
	s_wait_dscnt 0x0
	v_dual_cndmask_b32 v7, v9, v13, s14 :: v_dual_cndmask_b32 v6, v8, v12, s14
	v_dual_cndmask_b32 v25, v23, v9, s14 :: v_dual_cndmask_b32 v24, v22, v8, s14
	v_cmpx_lt_u32_e64 v28, v48
	s_cbranch_execz .LBB1483_1035
; %bb.1025:
	s_mov_b32 s7, 0
	s_mov_b32 s15, exec_lo
	v_cmpx_lt_u32_e64 v29, v47
	s_cbranch_execz .LBB1483_1034
; %bb.1026:
	s_and_not1_b32 vcc_lo, exec_lo, s26
	s_cbranch_vccnz .LBB1483_1032
; %bb.1027:
	v_mul_u64_e32 v[8:9], s[16:17], v[6:7]
	v_mul_u64_e32 v[26:27], s[16:17], v[24:25]
	s_mov_b32 s23, 0
	s_mov_b64 s[8:9], s[16:17]
                                        ; implicit-def: $sgpr27
                                        ; implicit-def: $sgpr28
                                        ; implicit-def: $sgpr29
                                        ; implicit-def: $sgpr30
	s_delay_alu instid0(VALU_DEP_2) | instskip(NEXT) | instid1(VALU_DEP_2)
	v_lshl_add_u64 v[8:9], v[8:9], 2, s[18:19]
	v_lshl_add_u64 v[26:27], v[26:27], 2, s[18:19]
	s_branch .LBB1483_1029
.LBB1483_1028:                          ;   in Loop: Header=BB1483_1029 Depth=1
	s_or_b32 exec_lo, exec_lo, s31
	s_delay_alu instid0(SALU_CYCLE_1) | instskip(NEXT) | instid1(SALU_CYCLE_1)
	s_and_b32 s31, exec_lo, s28
	s_or_b32 s23, s31, s23
	s_and_not1_b32 s30, s30, exec_lo
	s_and_b32 s7, s7, exec_lo
	s_and_not1_b32 s27, s27, exec_lo
	s_and_b32 s31, s29, exec_lo
	s_or_b32 s30, s30, s7
	s_or_b32 s27, s27, s31
	s_and_not1_b32 exec_lo, exec_lo, s23
	s_cbranch_execz .LBB1483_1031
.LBB1483_1029:                          ; =>This Inner Loop Header: Depth=1
	global_load_b32 v30, v[8:9], off
	global_load_b32 v31, v[26:27], off
	s_and_not1_b32 s29, s29, exec_lo
	s_or_b32 s28, s28, exec_lo
	s_wait_loadcnt 0x0
	v_cmp_le_u32_e32 vcc_lo, v30, v31
	v_cmp_lt_u32_e64 s7, v30, v31
	s_and_b32 s31, vcc_lo, s30
	s_delay_alu instid0(SALU_CYCLE_1) | instskip(NEXT) | instid1(SALU_CYCLE_1)
	s_or_b32 s7, s7, s31
	s_and_b32 s31, s7, exec_lo
	s_delay_alu instid0(SALU_CYCLE_1)
	s_or_b32 s29, s29, s31
	s_mov_b32 s31, exec_lo
	v_cmpx_eq_u32_e64 v30, v31
	s_cbranch_execz .LBB1483_1028
; %bb.1030:                             ;   in Loop: Header=BB1483_1029 Depth=1
	s_add_nc_u64 s[8:9], s[8:9], -1
	v_add_nc_u64_e32 v[8:9], 4, v[8:9]
	s_cmp_eq_u64 s[8:9], 0
	v_add_nc_u64_e32 v[26:27], 4, v[26:27]
	s_cselect_b32 s30, -1, 0
	s_and_not1_b32 s28, s28, exec_lo
	s_and_b32 s30, s30, exec_lo
	s_and_not1_b32 s29, s29, exec_lo
	s_or_b32 s28, s28, s30
                                        ; implicit-def: $sgpr30
	s_branch .LBB1483_1028
.LBB1483_1031:
	s_or_b32 exec_lo, exec_lo, s23
	s_xor_b32 s7, s27, -1
	s_branch .LBB1483_1033
.LBB1483_1032:
	s_mov_b32 s7, -1
.LBB1483_1033:
	s_delay_alu instid0(SALU_CYCLE_1)
	s_and_b32 s7, s7, exec_lo
.LBB1483_1034:
	s_or_b32 exec_lo, exec_lo, s15
	s_delay_alu instid0(SALU_CYCLE_1)
	s_or_not1_b32 s15, s7, exec_lo
.LBB1483_1035:
	s_or_b32 exec_lo, exec_lo, s22
	v_cndmask_b32_e64 v8, v28, v29, s15
	v_cndmask_b32_e64 v9, v48, v47, s15
	s_mov_b32 s22, -1
	s_mov_b32 s23, -1
	s_mov_b32 s27, exec_lo
	v_add_nc_u32_e32 v8, 1, v8
	s_delay_alu instid0(VALU_DEP_1) | instskip(NEXT) | instid1(VALU_DEP_1)
	v_add_min_u32_e64 v9, v9, -1, v8
	v_lshl_add_u32 v9, v9, 3, v43
	ds_load_b64 v[26:27], v9
	v_cndmask_b32_e64 v32, v8, v28, s15
	s_wait_dscnt 0x0
	v_dual_cndmask_b32 v33, v29, v8, s15 :: v_dual_cndmask_b32 v9, v27, v7, s15
	v_dual_cndmask_b32 v8, v26, v6, s15 :: v_dual_cndmask_b32 v27, v25, v27, s15
	v_cndmask_b32_e64 v26, v24, v26, s15
	v_cmpx_lt_u32_e64 v32, v48
	s_cbranch_execz .LBB1483_1046
; %bb.1036:
	s_mov_b32 s7, 0
	s_mov_b32 s23, exec_lo
	v_cmpx_lt_u32_e64 v33, v47
	s_cbranch_execz .LBB1483_1045
; %bb.1037:
	s_and_not1_b32 vcc_lo, exec_lo, s26
	s_cbranch_vccnz .LBB1483_1043
; %bb.1038:
	v_mul_u64_e32 v[28:29], s[16:17], v[8:9]
	v_mul_u64_e32 v[30:31], s[16:17], v[26:27]
	s_mov_b32 s28, 0
	s_mov_b64 s[8:9], s[16:17]
                                        ; implicit-def: $sgpr29
                                        ; implicit-def: $sgpr30
                                        ; implicit-def: $sgpr31
                                        ; implicit-def: $sgpr33
	s_delay_alu instid0(VALU_DEP_2) | instskip(NEXT) | instid1(VALU_DEP_2)
	v_lshl_add_u64 v[28:29], v[28:29], 2, s[18:19]
	v_lshl_add_u64 v[30:31], v[30:31], 2, s[18:19]
	s_branch .LBB1483_1040
.LBB1483_1039:                          ;   in Loop: Header=BB1483_1040 Depth=1
	s_or_b32 exec_lo, exec_lo, s34
	s_delay_alu instid0(SALU_CYCLE_1) | instskip(NEXT) | instid1(SALU_CYCLE_1)
	s_and_b32 s34, exec_lo, s30
	s_or_b32 s28, s34, s28
	s_and_not1_b32 s33, s33, exec_lo
	s_and_b32 s7, s7, exec_lo
	s_and_not1_b32 s29, s29, exec_lo
	s_and_b32 s34, s31, exec_lo
	s_or_b32 s33, s33, s7
	s_or_b32 s29, s29, s34
	s_and_not1_b32 exec_lo, exec_lo, s28
	s_cbranch_execz .LBB1483_1042
.LBB1483_1040:                          ; =>This Inner Loop Header: Depth=1
	global_load_b32 v34, v[28:29], off
	global_load_b32 v35, v[30:31], off
	s_and_not1_b32 s31, s31, exec_lo
	s_or_b32 s30, s30, exec_lo
	s_wait_loadcnt 0x0
	v_cmp_le_u32_e32 vcc_lo, v34, v35
	v_cmp_lt_u32_e64 s7, v34, v35
	s_and_b32 s34, vcc_lo, s33
	s_delay_alu instid0(SALU_CYCLE_1) | instskip(NEXT) | instid1(SALU_CYCLE_1)
	s_or_b32 s7, s7, s34
	s_and_b32 s34, s7, exec_lo
	s_delay_alu instid0(SALU_CYCLE_1)
	s_or_b32 s31, s31, s34
	s_mov_b32 s34, exec_lo
	v_cmpx_eq_u32_e64 v34, v35
	s_cbranch_execz .LBB1483_1039
; %bb.1041:                             ;   in Loop: Header=BB1483_1040 Depth=1
	s_add_nc_u64 s[8:9], s[8:9], -1
	v_add_nc_u64_e32 v[28:29], 4, v[28:29]
	s_cmp_eq_u64 s[8:9], 0
	v_add_nc_u64_e32 v[30:31], 4, v[30:31]
	s_cselect_b32 s33, -1, 0
	s_and_not1_b32 s30, s30, exec_lo
	s_and_b32 s33, s33, exec_lo
	s_and_not1_b32 s31, s31, exec_lo
	s_or_b32 s30, s30, s33
                                        ; implicit-def: $sgpr33
	s_branch .LBB1483_1039
.LBB1483_1042:
	s_or_b32 exec_lo, exec_lo, s28
	s_xor_b32 s7, s29, -1
	s_branch .LBB1483_1044
.LBB1483_1043:
	s_mov_b32 s7, -1
.LBB1483_1044:
	s_delay_alu instid0(SALU_CYCLE_1)
	s_and_b32 s7, s7, exec_lo
.LBB1483_1045:
	s_or_b32 exec_lo, exec_lo, s23
	s_delay_alu instid0(SALU_CYCLE_1)
	s_or_not1_b32 s23, s7, exec_lo
.LBB1483_1046:
	s_or_b32 exec_lo, exec_lo, s27
	v_cndmask_b32_e64 v28, v32, v33, s23
	v_cndmask_b32_e64 v29, v48, v47, s23
	s_mov_b32 s27, exec_lo
	s_delay_alu instid0(VALU_DEP_2) | instskip(NEXT) | instid1(VALU_DEP_1)
	v_add_nc_u32_e32 v28, 1, v28
	v_add_min_u32_e64 v29, v29, -1, v28
	s_delay_alu instid0(VALU_DEP_1)
	v_lshl_add_u32 v29, v29, 3, v43
	ds_load_b64 v[30:31], v29
	v_cndmask_b32_e64 v50, v28, v32, s23
	s_wait_dscnt 0x0
	v_dual_cndmask_b32 v49, v33, v28, s23 :: v_dual_cndmask_b32 v29, v31, v9, s23
	v_dual_cndmask_b32 v28, v30, v8, s23 :: v_dual_cndmask_b32 v31, v27, v31, s23
	v_cndmask_b32_e64 v30, v26, v30, s23
	v_cmpx_lt_u32_e64 v50, v48
	s_cbranch_execz .LBB1483_1057
; %bb.1047:
	s_mov_b32 s7, 0
	s_mov_b32 s22, exec_lo
	v_cmpx_lt_u32_e64 v49, v47
	s_cbranch_execz .LBB1483_1056
; %bb.1048:
	s_and_not1_b32 vcc_lo, exec_lo, s26
	s_cbranch_vccnz .LBB1483_1054
; %bb.1049:
	v_mul_u64_e32 v[32:33], s[16:17], v[28:29]
	v_mul_u64_e32 v[34:35], s[16:17], v[30:31]
	s_mov_b32 s28, 0
	s_mov_b64 s[8:9], s[16:17]
                                        ; implicit-def: $sgpr29
                                        ; implicit-def: $sgpr30
                                        ; implicit-def: $sgpr31
                                        ; implicit-def: $sgpr33
	s_delay_alu instid0(VALU_DEP_2) | instskip(NEXT) | instid1(VALU_DEP_2)
	v_lshl_add_u64 v[32:33], v[32:33], 2, s[18:19]
	v_lshl_add_u64 v[34:35], v[34:35], 2, s[18:19]
	s_branch .LBB1483_1051
.LBB1483_1050:                          ;   in Loop: Header=BB1483_1051 Depth=1
	s_or_b32 exec_lo, exec_lo, s34
	s_delay_alu instid0(SALU_CYCLE_1) | instskip(NEXT) | instid1(SALU_CYCLE_1)
	s_and_b32 s34, exec_lo, s30
	s_or_b32 s28, s34, s28
	s_and_not1_b32 s33, s33, exec_lo
	s_and_b32 s7, s7, exec_lo
	s_and_not1_b32 s29, s29, exec_lo
	s_and_b32 s34, s31, exec_lo
	s_or_b32 s33, s33, s7
	s_or_b32 s29, s29, s34
	s_and_not1_b32 exec_lo, exec_lo, s28
	s_cbranch_execz .LBB1483_1053
.LBB1483_1051:                          ; =>This Inner Loop Header: Depth=1
	global_load_b32 v51, v[32:33], off
	global_load_b32 v52, v[34:35], off
	s_and_not1_b32 s31, s31, exec_lo
	s_or_b32 s30, s30, exec_lo
	s_wait_loadcnt 0x0
	v_cmp_le_u32_e32 vcc_lo, v51, v52
	v_cmp_lt_u32_e64 s7, v51, v52
	s_and_b32 s34, vcc_lo, s33
	s_delay_alu instid0(SALU_CYCLE_1) | instskip(NEXT) | instid1(SALU_CYCLE_1)
	s_or_b32 s7, s7, s34
	s_and_b32 s34, s7, exec_lo
	s_delay_alu instid0(SALU_CYCLE_1)
	s_or_b32 s31, s31, s34
	s_mov_b32 s34, exec_lo
	v_cmpx_eq_u32_e64 v51, v52
	s_cbranch_execz .LBB1483_1050
; %bb.1052:                             ;   in Loop: Header=BB1483_1051 Depth=1
	s_add_nc_u64 s[8:9], s[8:9], -1
	v_add_nc_u64_e32 v[32:33], 4, v[32:33]
	s_cmp_eq_u64 s[8:9], 0
	v_add_nc_u64_e32 v[34:35], 4, v[34:35]
	s_cselect_b32 s33, -1, 0
	s_and_not1_b32 s30, s30, exec_lo
	s_and_b32 s33, s33, exec_lo
	s_and_not1_b32 s31, s31, exec_lo
	s_or_b32 s30, s30, s33
                                        ; implicit-def: $sgpr33
	s_branch .LBB1483_1050
.LBB1483_1053:
	s_or_b32 exec_lo, exec_lo, s28
	s_xor_b32 s7, s29, -1
	s_branch .LBB1483_1055
.LBB1483_1054:
	s_mov_b32 s7, -1
.LBB1483_1055:
	s_delay_alu instid0(SALU_CYCLE_1)
	s_and_b32 s7, s7, exec_lo
.LBB1483_1056:
	s_or_b32 exec_lo, exec_lo, s22
	s_delay_alu instid0(SALU_CYCLE_1)
	s_or_not1_b32 s22, s7, exec_lo
.LBB1483_1057:
	s_or_b32 exec_lo, exec_lo, s27
	v_dual_cndmask_b32 v32, v50, v49, s22 :: v_dual_cndmask_b32 v33, v48, v47, s22
	v_dual_cndmask_b32 v8, v8, v26, s23 :: v_dual_cndmask_b32 v7, v7, v25, s15
	;; [unrolled: 1-line block ×3, first 2 shown]
	s_delay_alu instid0(VALU_DEP_3) | instskip(SKIP_2) | instid1(VALU_DEP_3)
	v_dual_add_nc_u32 v34, 1, v32 :: v_dual_cndmask_b32 v9, v9, v27, s23
	v_dual_cndmask_b32 v12, v12, v22, s14 :: v_dual_cndmask_b32 v11, v11, v17, s13
	v_dual_cndmask_b32 v10, v10, v16, s13 :: v_dual_cndmask_b32 v17, v5, v15, s12
	v_add_min_u32_e64 v32, v33, -1, v34
	v_dual_cndmask_b32 v16, v4, v14, s12 :: v_dual_cndmask_b32 v15, v3, v1, s11
	v_dual_cndmask_b32 v14, v2, v0, s11 :: v_dual_cndmask_b32 v3, v29, v31, s22
	s_delay_alu instid0(VALU_DEP_3)
	v_lshl_add_u32 v32, v32, 3, v43
	s_mov_b32 s11, exec_lo
	ds_load_b64 v[32:33], v32
	v_cndmask_b32_e64 v0, v34, v50, s22
	s_wait_dscnt 0x0
	v_dual_cndmask_b32 v2, v28, v30, s22 :: v_dual_cndmask_b32 v4, v30, v32, s22
	v_cndmask_b32_e64 v5, v31, v33, s22
	s_delay_alu instid0(VALU_DEP_3)
	v_cmpx_lt_u32_e64 v0, v48
	s_cbranch_execz .LBB1483_1067
; %bb.1058:
	v_dual_cndmask_b32 v22, v49, v34, s22 :: v_dual_cndmask_b32 v0, v32, v28, s22
	v_cndmask_b32_e64 v1, v33, v29, s22
	s_mov_b32 s12, exec_lo
	s_delay_alu instid0(VALU_DEP_2)
	v_cmpx_lt_u32_e64 v22, v47
	s_cbranch_execz .LBB1483_1066
; %bb.1059:
	s_and_not1_b32 vcc_lo, exec_lo, s26
	s_cbranch_vccnz .LBB1483_1065
; %bb.1060:
	v_mul_u64_e32 v[22:23], s[16:17], v[0:1]
	v_mul_u64_e32 v[24:25], s[16:17], v[4:5]
	s_mov_b32 s13, 0
	s_mov_b64 s[8:9], s[16:17]
                                        ; implicit-def: $sgpr14
                                        ; implicit-def: $sgpr15
                                        ; implicit-def: $sgpr22
                                        ; implicit-def: $sgpr23
	s_delay_alu instid0(VALU_DEP_2) | instskip(NEXT) | instid1(VALU_DEP_2)
	v_lshl_add_u64 v[22:23], v[22:23], 2, s[18:19]
	v_lshl_add_u64 v[24:25], v[24:25], 2, s[18:19]
	s_branch .LBB1483_1062
.LBB1483_1061:                          ;   in Loop: Header=BB1483_1062 Depth=1
	s_or_b32 exec_lo, exec_lo, s27
	s_delay_alu instid0(SALU_CYCLE_1) | instskip(NEXT) | instid1(SALU_CYCLE_1)
	s_and_b32 s27, exec_lo, s15
	s_or_b32 s13, s27, s13
	s_and_not1_b32 s23, s23, exec_lo
	s_and_b32 s7, s7, exec_lo
	s_and_not1_b32 s14, s14, exec_lo
	s_and_b32 s27, s22, exec_lo
	s_or_b32 s23, s23, s7
	s_or_b32 s14, s14, s27
	s_and_not1_b32 exec_lo, exec_lo, s13
	s_cbranch_execz .LBB1483_1064
.LBB1483_1062:                          ; =>This Inner Loop Header: Depth=1
	global_load_b32 v26, v[22:23], off
	global_load_b32 v27, v[24:25], off
	s_and_not1_b32 s22, s22, exec_lo
	s_or_b32 s15, s15, exec_lo
	s_wait_loadcnt 0x0
	v_cmp_le_u32_e32 vcc_lo, v26, v27
	v_cmp_lt_u32_e64 s7, v26, v27
	s_and_b32 s27, vcc_lo, s23
	s_delay_alu instid0(SALU_CYCLE_1) | instskip(NEXT) | instid1(SALU_CYCLE_1)
	s_or_b32 s7, s7, s27
	s_and_b32 s27, s7, exec_lo
	s_delay_alu instid0(SALU_CYCLE_1)
	s_or_b32 s22, s22, s27
	s_mov_b32 s27, exec_lo
	v_cmpx_eq_u32_e64 v26, v27
	s_cbranch_execz .LBB1483_1061
; %bb.1063:                             ;   in Loop: Header=BB1483_1062 Depth=1
	s_add_nc_u64 s[8:9], s[8:9], -1
	v_add_nc_u64_e32 v[22:23], 4, v[22:23]
	s_cmp_eq_u64 s[8:9], 0
	v_add_nc_u64_e32 v[24:25], 4, v[24:25]
	s_cselect_b32 s23, -1, 0
	s_and_not1_b32 s15, s15, exec_lo
	s_and_b32 s23, s23, exec_lo
	s_and_not1_b32 s22, s22, exec_lo
	s_or_b32 s15, s15, s23
                                        ; implicit-def: $sgpr23
	s_branch .LBB1483_1061
.LBB1483_1064:
	s_or_b32 exec_lo, exec_lo, s13
	v_dual_cndmask_b32 v5, v5, v1, s14 :: v_dual_cndmask_b32 v4, v4, v0, s14
.LBB1483_1065:
	s_delay_alu instid0(VALU_DEP_1)
	v_mov_b64_e32 v[0:1], v[4:5]
.LBB1483_1066:
	s_or_b32 exec_lo, exec_lo, s12
	s_delay_alu instid0(VALU_DEP_1)
	v_mov_b64_e32 v[4:5], v[0:1]
.LBB1483_1067:
	s_or_b32 exec_lo, exec_lo, s11
.LBB1483_1068:
	s_delay_alu instid0(SALU_CYCLE_1)
	s_or_b32 exec_lo, exec_lo, s10
	v_and_b32_e32 v26, 0xe0, v45
	s_mov_b32 s12, exec_lo
	; wave barrier
	ds_store_b128 v46, v[14:17]
	ds_store_b128 v46, v[10:13] offset:16
	v_or_b32_e32 v0, 16, v26
	v_lshl_add_u32 v25, v26, 3, v43
	ds_store_b128 v46, v[6:9] offset:32
	ds_store_b128 v46, v[2:5] offset:48
	; wave barrier
	v_min_u32_e32 v47, v44, v0
	v_and_b32_e32 v0, 24, v45
	s_delay_alu instid0(VALU_DEP_2) | instskip(NEXT) | instid1(VALU_DEP_2)
	v_add_min_u32_e64 v48, v47, 16, v44
	v_min_u32_e32 v27, v44, v0
	s_delay_alu instid0(VALU_DEP_2) | instskip(NEXT) | instid1(VALU_DEP_1)
	v_dual_sub_nc_u32 v1, v47, v26 :: v_dual_sub_nc_u32 v0, v48, v47
	v_min_u32_e32 v28, v27, v1
	s_delay_alu instid0(VALU_DEP_2) | instskip(NEXT) | instid1(VALU_DEP_1)
	v_sub_nc_u32_e64 v24, v27, v0 clamp
	v_cmpx_lt_u32_e64 v24, v28
	s_cbranch_execz .LBB1483_1078
; %bb.1069:
	v_lshlrev_b32_e32 v0, 3, v47
	v_lshlrev_b32_e32 v1, 3, v27
	s_lshl_b64 s[8:9], s[16:17], 2
	s_mov_b32 s13, 0
	s_delay_alu instid0(VALU_DEP_1)
	v_add3_u32 v29, v43, v0, v1
	s_branch .LBB1483_1072
.LBB1483_1070:                          ;   in Loop: Header=BB1483_1072 Depth=1
	s_or_b32 exec_lo, exec_lo, s15
.LBB1483_1071:                          ;   in Loop: Header=BB1483_1072 Depth=1
	s_delay_alu instid0(VALU_DEP_1) | instskip(NEXT) | instid1(VALU_DEP_1)
	v_dual_add_nc_u32 v0, 1, v30 :: v_dual_cndmask_b32 v28, v28, v30, s14
	v_cndmask_b32_e64 v24, v0, v24, s14
	s_delay_alu instid0(VALU_DEP_1) | instskip(SKIP_1) | instid1(SALU_CYCLE_1)
	v_cmp_ge_u32_e32 vcc_lo, v24, v28
	s_or_b32 s13, vcc_lo, s13
	s_and_not1_b32 exec_lo, exec_lo, s13
	s_cbranch_execz .LBB1483_1077
.LBB1483_1072:                          ; =>This Loop Header: Depth=1
                                        ;     Child Loop BB1483_1075 Depth 2
	v_add_nc_u32_e32 v0, v28, v24
	s_and_not1_b32 vcc_lo, exec_lo, s26
	s_mov_b32 s14, 0
	s_delay_alu instid0(VALU_DEP_1)
	v_lshrrev_b32_e32 v30, 1, v0
	s_cbranch_vccnz .LBB1483_1071
; %bb.1073:                             ;   in Loop: Header=BB1483_1072 Depth=1
	s_delay_alu instid0(VALU_DEP_1) | instskip(SKIP_3) | instid1(VALU_DEP_2)
	v_not_b32_e32 v0, v30
	v_lshl_add_u32 v1, v30, 3, v25
	s_mov_b32 s15, 0
	s_mov_b64 s[10:11], s[16:17]
                                        ; implicit-def: $sgpr14
                                        ; implicit-def: $sgpr22
                                        ; implicit-def: $sgpr23
                                        ; implicit-def: $sgpr27
	v_lshl_add_u32 v0, v0, 3, v29
	ds_load_b64 v[32:33], v0
	ds_load_b64 v[34:35], v1
	s_wait_dscnt 0x1
	v_mad_nc_u64_u32 v[0:1], s8, v32, s[18:19]
	s_wait_dscnt 0x0
	v_mad_nc_u64_u32 v[22:23], s8, v34, s[18:19]
	s_delay_alu instid0(VALU_DEP_2) | instskip(NEXT) | instid1(VALU_DEP_2)
	v_mad_u32 v1, s9, v32, v1
	v_mad_u32 v23, s9, v34, v23
	s_delay_alu instid0(VALU_DEP_2) | instskip(NEXT) | instid1(VALU_DEP_2)
	v_mad_u32 v1, s8, v33, v1
	v_mad_u32 v23, s8, v35, v23
	s_branch .LBB1483_1075
.LBB1483_1074:                          ;   in Loop: Header=BB1483_1075 Depth=2
	s_or_b32 exec_lo, exec_lo, s28
	s_delay_alu instid0(SALU_CYCLE_1) | instskip(NEXT) | instid1(SALU_CYCLE_1)
	s_and_b32 s28, exec_lo, s22
	s_or_b32 s15, s28, s15
	s_and_not1_b32 s27, s27, exec_lo
	s_and_b32 s7, s7, exec_lo
	s_and_not1_b32 s14, s14, exec_lo
	s_and_b32 s28, s23, exec_lo
	s_or_b32 s27, s27, s7
	s_or_b32 s14, s14, s28
	s_and_not1_b32 exec_lo, exec_lo, s15
	s_cbranch_execz .LBB1483_1070
.LBB1483_1075:                          ;   Parent Loop BB1483_1072 Depth=1
                                        ; =>  This Inner Loop Header: Depth=2
	global_load_b32 v31, v[0:1], off
	global_load_b32 v32, v[22:23], off
	s_and_not1_b32 s23, s23, exec_lo
	s_or_b32 s22, s22, exec_lo
	s_wait_loadcnt 0x0
	v_cmp_le_u32_e32 vcc_lo, v31, v32
	v_cmp_lt_u32_e64 s7, v31, v32
	s_and_b32 s28, vcc_lo, s27
	s_delay_alu instid0(SALU_CYCLE_1) | instskip(NEXT) | instid1(SALU_CYCLE_1)
	s_or_b32 s7, s7, s28
	s_and_b32 s28, s7, exec_lo
	s_delay_alu instid0(SALU_CYCLE_1)
	s_or_b32 s23, s23, s28
	s_mov_b32 s28, exec_lo
	v_cmpx_eq_u32_e64 v31, v32
	s_cbranch_execz .LBB1483_1074
; %bb.1076:                             ;   in Loop: Header=BB1483_1075 Depth=2
	s_add_nc_u64 s[10:11], s[10:11], -1
	v_add_nc_u64_e32 v[0:1], 4, v[0:1]
	s_cmp_eq_u64 s[10:11], 0
	v_add_nc_u64_e32 v[22:23], 4, v[22:23]
	s_cselect_b32 s27, -1, 0
	s_and_not1_b32 s22, s22, exec_lo
	s_and_b32 s27, s27, exec_lo
	s_and_not1_b32 s23, s23, exec_lo
	s_or_b32 s22, s22, s27
                                        ; implicit-def: $sgpr27
	s_branch .LBB1483_1074
.LBB1483_1077:
	s_or_b32 exec_lo, exec_lo, s13
.LBB1483_1078:
	s_delay_alu instid0(SALU_CYCLE_1) | instskip(SKIP_1) | instid1(VALU_DEP_1)
	s_or_b32 exec_lo, exec_lo, s12
	v_dual_add_nc_u32 v0, v47, v27 :: v_dual_add_nc_u32 v22, v24, v26
	v_sub_nc_u32_e32 v23, v0, v24
	s_delay_alu instid0(VALU_DEP_2) | instskip(NEXT) | instid1(VALU_DEP_2)
	v_cmp_le_u32_e32 vcc_lo, v22, v47
	v_cmp_le_u32_e64 s7, v23, v48
	s_or_b32 s7, vcc_lo, s7
	s_delay_alu instid0(SALU_CYCLE_1)
	s_and_saveexec_b32 s10, s7
	s_cbranch_execz .LBB1483_1169
; %bb.1079:
	s_mov_b32 s8, exec_lo
	v_cmp_ge_u32_e32 vcc_lo, v22, v47
                                        ; implicit-def: $vgpr0_vgpr1
	v_cmpx_lt_u32_e64 v22, v47
; %bb.1080:
	v_lshl_add_u32 v0, v24, 3, v25
	ds_load_b64 v[0:1], v0
; %bb.1081:
	s_or_b32 exec_lo, exec_lo, s8
	v_cmp_ge_u32_e64 s11, v23, v48
	s_mov_b32 s8, exec_lo
                                        ; implicit-def: $vgpr2_vgpr3
	v_cmpx_lt_u32_e64 v23, v48
; %bb.1082:
	v_lshl_add_u32 v2, v23, 3, v43
	ds_load_b64 v[2:3], v2
; %bb.1083:
	s_or_b32 exec_lo, exec_lo, s8
	s_nor_b32 s7, vcc_lo, s11
	s_delay_alu instid0(SALU_CYCLE_1)
	s_and_saveexec_b32 s12, s7
	s_cbranch_execz .LBB1483_1092
; %bb.1084:
	s_and_not1_b32 vcc_lo, exec_lo, s26
	s_cbranch_vccnz .LBB1483_1090
; %bb.1085:
	s_wait_dscnt 0x0
	v_mul_u64_e32 v[4:5], s[16:17], v[2:3]
	v_mul_u64_e32 v[6:7], s[16:17], v[0:1]
	s_mov_b32 s13, 0
	s_mov_b64 s[8:9], s[16:17]
                                        ; implicit-def: $sgpr14
                                        ; implicit-def: $sgpr15
                                        ; implicit-def: $sgpr22
                                        ; implicit-def: $sgpr23
	s_delay_alu instid0(VALU_DEP_2) | instskip(NEXT) | instid1(VALU_DEP_2)
	v_lshl_add_u64 v[4:5], v[4:5], 2, s[18:19]
	v_lshl_add_u64 v[6:7], v[6:7], 2, s[18:19]
	s_branch .LBB1483_1087
.LBB1483_1086:                          ;   in Loop: Header=BB1483_1087 Depth=1
	s_or_b32 exec_lo, exec_lo, s27
	s_delay_alu instid0(SALU_CYCLE_1) | instskip(NEXT) | instid1(SALU_CYCLE_1)
	s_and_b32 s27, exec_lo, s15
	s_or_b32 s13, s27, s13
	s_and_not1_b32 s23, s23, exec_lo
	s_and_b32 s7, s7, exec_lo
	s_and_not1_b32 s14, s14, exec_lo
	s_and_b32 s27, s22, exec_lo
	s_or_b32 s23, s23, s7
	s_or_b32 s14, s14, s27
	s_and_not1_b32 exec_lo, exec_lo, s13
	s_cbranch_execz .LBB1483_1089
.LBB1483_1087:                          ; =>This Inner Loop Header: Depth=1
	global_load_b32 v8, v[4:5], off
	global_load_b32 v9, v[6:7], off
	s_and_not1_b32 s22, s22, exec_lo
	s_or_b32 s15, s15, exec_lo
	s_wait_loadcnt 0x0
	v_cmp_le_u32_e32 vcc_lo, v8, v9
	v_cmp_lt_u32_e64 s7, v8, v9
	s_and_b32 s27, vcc_lo, s23
	s_delay_alu instid0(SALU_CYCLE_1) | instskip(NEXT) | instid1(SALU_CYCLE_1)
	s_or_b32 s7, s7, s27
	s_and_b32 s27, s7, exec_lo
	s_delay_alu instid0(SALU_CYCLE_1)
	s_or_b32 s22, s22, s27
	s_mov_b32 s27, exec_lo
	v_cmpx_eq_u32_e64 v8, v9
	s_cbranch_execz .LBB1483_1086
; %bb.1088:                             ;   in Loop: Header=BB1483_1087 Depth=1
	s_add_nc_u64 s[8:9], s[8:9], -1
	v_add_nc_u64_e32 v[4:5], 4, v[4:5]
	s_cmp_eq_u64 s[8:9], 0
	v_add_nc_u64_e32 v[6:7], 4, v[6:7]
	s_cselect_b32 s23, -1, 0
	s_and_not1_b32 s15, s15, exec_lo
	s_and_b32 s23, s23, exec_lo
	s_and_not1_b32 s22, s22, exec_lo
	s_or_b32 s15, s15, s23
                                        ; implicit-def: $sgpr23
	s_branch .LBB1483_1086
.LBB1483_1089:
	s_or_b32 exec_lo, exec_lo, s13
	s_xor_b32 s7, s14, -1
	s_branch .LBB1483_1091
.LBB1483_1090:
	s_mov_b32 s7, -1
.LBB1483_1091:
	s_and_not1_b32 s8, s11, exec_lo
	s_and_b32 s7, s7, exec_lo
	s_delay_alu instid0(SALU_CYCLE_1)
	s_or_b32 s11, s8, s7
.LBB1483_1092:
	s_or_b32 exec_lo, exec_lo, s12
	v_dual_cndmask_b32 v4, v23, v22, s11 :: v_dual_cndmask_b32 v5, v48, v47, s11
	s_mov_b32 s13, -1
	s_mov_b32 s12, -1
	s_mov_b32 s14, exec_lo
	s_delay_alu instid0(VALU_DEP_1) | instskip(NEXT) | instid1(VALU_DEP_1)
	v_add_nc_u32_e32 v4, 1, v4
	v_add_min_u32_e64 v5, v5, -1, v4
	s_delay_alu instid0(VALU_DEP_1)
	v_lshl_add_u32 v5, v5, 3, v43
	ds_load_b64 v[6:7], v5
	s_wait_dscnt 0x0
	v_cndmask_b32_e64 v5, v7, v3, s11
	v_dual_cndmask_b32 v10, v4, v23, s11 :: v_dual_cndmask_b32 v11, v22, v4, s11
	v_dual_cndmask_b32 v4, v6, v2, s11 :: v_dual_cndmask_b32 v15, v1, v7, s11
	v_cndmask_b32_e64 v14, v0, v6, s11
	s_delay_alu instid0(VALU_DEP_3)
	v_cmpx_lt_u32_e64 v10, v48
	s_cbranch_execz .LBB1483_1103
; %bb.1093:
	s_mov_b32 s7, 0
	s_mov_b32 s12, exec_lo
	v_cmpx_lt_u32_e64 v11, v47
	s_cbranch_execz .LBB1483_1102
; %bb.1094:
	s_and_not1_b32 vcc_lo, exec_lo, s26
	s_cbranch_vccnz .LBB1483_1100
; %bb.1095:
	v_mul_u64_e32 v[6:7], s[16:17], v[4:5]
	v_mul_u64_e32 v[8:9], s[16:17], v[14:15]
	s_mov_b32 s15, 0
	s_mov_b64 s[8:9], s[16:17]
                                        ; implicit-def: $sgpr22
                                        ; implicit-def: $sgpr23
                                        ; implicit-def: $sgpr27
                                        ; implicit-def: $sgpr28
	s_delay_alu instid0(VALU_DEP_2) | instskip(NEXT) | instid1(VALU_DEP_2)
	v_lshl_add_u64 v[6:7], v[6:7], 2, s[18:19]
	v_lshl_add_u64 v[8:9], v[8:9], 2, s[18:19]
	s_branch .LBB1483_1097
.LBB1483_1096:                          ;   in Loop: Header=BB1483_1097 Depth=1
	s_or_b32 exec_lo, exec_lo, s29
	s_delay_alu instid0(SALU_CYCLE_1) | instskip(NEXT) | instid1(SALU_CYCLE_1)
	s_and_b32 s29, exec_lo, s23
	s_or_b32 s15, s29, s15
	s_and_not1_b32 s28, s28, exec_lo
	s_and_b32 s7, s7, exec_lo
	s_and_not1_b32 s22, s22, exec_lo
	s_and_b32 s29, s27, exec_lo
	s_or_b32 s28, s28, s7
	s_or_b32 s22, s22, s29
	s_and_not1_b32 exec_lo, exec_lo, s15
	s_cbranch_execz .LBB1483_1099
.LBB1483_1097:                          ; =>This Inner Loop Header: Depth=1
	global_load_b32 v12, v[6:7], off
	global_load_b32 v13, v[8:9], off
	s_and_not1_b32 s27, s27, exec_lo
	s_or_b32 s23, s23, exec_lo
	s_wait_loadcnt 0x0
	v_cmp_le_u32_e32 vcc_lo, v12, v13
	v_cmp_lt_u32_e64 s7, v12, v13
	s_and_b32 s29, vcc_lo, s28
	s_delay_alu instid0(SALU_CYCLE_1) | instskip(NEXT) | instid1(SALU_CYCLE_1)
	s_or_b32 s7, s7, s29
	s_and_b32 s29, s7, exec_lo
	s_delay_alu instid0(SALU_CYCLE_1)
	s_or_b32 s27, s27, s29
	s_mov_b32 s29, exec_lo
	v_cmpx_eq_u32_e64 v12, v13
	s_cbranch_execz .LBB1483_1096
; %bb.1098:                             ;   in Loop: Header=BB1483_1097 Depth=1
	s_add_nc_u64 s[8:9], s[8:9], -1
	v_add_nc_u64_e32 v[6:7], 4, v[6:7]
	s_cmp_eq_u64 s[8:9], 0
	v_add_nc_u64_e32 v[8:9], 4, v[8:9]
	s_cselect_b32 s28, -1, 0
	s_and_not1_b32 s23, s23, exec_lo
	s_and_b32 s28, s28, exec_lo
	s_and_not1_b32 s27, s27, exec_lo
	s_or_b32 s23, s23, s28
                                        ; implicit-def: $sgpr28
	s_branch .LBB1483_1096
.LBB1483_1099:
	s_or_b32 exec_lo, exec_lo, s15
	s_xor_b32 s7, s22, -1
	s_branch .LBB1483_1101
.LBB1483_1100:
	s_mov_b32 s7, -1
.LBB1483_1101:
	s_delay_alu instid0(SALU_CYCLE_1)
	s_and_b32 s7, s7, exec_lo
.LBB1483_1102:
	s_or_b32 exec_lo, exec_lo, s12
	s_delay_alu instid0(SALU_CYCLE_1)
	s_or_not1_b32 s12, s7, exec_lo
.LBB1483_1103:
	s_or_b32 exec_lo, exec_lo, s14
	v_cndmask_b32_e64 v6, v10, v11, s12
	v_cndmask_b32_e64 v7, v48, v47, s12
	s_mov_b32 s14, exec_lo
	s_delay_alu instid0(VALU_DEP_2) | instskip(NEXT) | instid1(VALU_DEP_1)
	v_add_nc_u32_e32 v8, 1, v6
	v_add_min_u32_e64 v6, v7, -1, v8
	v_cndmask_b32_e64 v12, v8, v10, s12
	s_delay_alu instid0(VALU_DEP_2)
	v_lshl_add_u32 v6, v6, 3, v43
	ds_load_b64 v[6:7], v6
	s_wait_dscnt 0x0
	v_dual_cndmask_b32 v13, v11, v8, s12 :: v_dual_cndmask_b32 v16, v14, v6, s12
	v_dual_cndmask_b32 v11, v7, v5, s12 :: v_dual_cndmask_b32 v10, v6, v4, s12
	v_cndmask_b32_e64 v17, v15, v7, s12
	v_cmpx_lt_u32_e64 v12, v48
	s_cbranch_execz .LBB1483_1114
; %bb.1104:
	s_mov_b32 s7, 0
	s_mov_b32 s13, exec_lo
	v_cmpx_lt_u32_e64 v13, v47
	s_cbranch_execz .LBB1483_1113
; %bb.1105:
	s_and_not1_b32 vcc_lo, exec_lo, s26
	s_cbranch_vccnz .LBB1483_1111
; %bb.1106:
	v_mul_u64_e32 v[6:7], s[16:17], v[10:11]
	v_mul_u64_e32 v[8:9], s[16:17], v[16:17]
	s_mov_b32 s15, 0
	s_mov_b64 s[8:9], s[16:17]
                                        ; implicit-def: $sgpr22
                                        ; implicit-def: $sgpr23
                                        ; implicit-def: $sgpr27
                                        ; implicit-def: $sgpr28
	s_delay_alu instid0(VALU_DEP_2) | instskip(NEXT) | instid1(VALU_DEP_2)
	v_lshl_add_u64 v[6:7], v[6:7], 2, s[18:19]
	v_lshl_add_u64 v[8:9], v[8:9], 2, s[18:19]
	s_branch .LBB1483_1108
.LBB1483_1107:                          ;   in Loop: Header=BB1483_1108 Depth=1
	s_or_b32 exec_lo, exec_lo, s29
	s_delay_alu instid0(SALU_CYCLE_1) | instskip(NEXT) | instid1(SALU_CYCLE_1)
	s_and_b32 s29, exec_lo, s23
	s_or_b32 s15, s29, s15
	s_and_not1_b32 s28, s28, exec_lo
	s_and_b32 s7, s7, exec_lo
	s_and_not1_b32 s22, s22, exec_lo
	s_and_b32 s29, s27, exec_lo
	s_or_b32 s28, s28, s7
	s_or_b32 s22, s22, s29
	s_and_not1_b32 exec_lo, exec_lo, s15
	s_cbranch_execz .LBB1483_1110
.LBB1483_1108:                          ; =>This Inner Loop Header: Depth=1
	global_load_b32 v22, v[6:7], off
	global_load_b32 v23, v[8:9], off
	s_and_not1_b32 s27, s27, exec_lo
	s_or_b32 s23, s23, exec_lo
	s_wait_loadcnt 0x0
	v_cmp_le_u32_e32 vcc_lo, v22, v23
	v_cmp_lt_u32_e64 s7, v22, v23
	s_and_b32 s29, vcc_lo, s28
	s_delay_alu instid0(SALU_CYCLE_1) | instskip(NEXT) | instid1(SALU_CYCLE_1)
	s_or_b32 s7, s7, s29
	s_and_b32 s29, s7, exec_lo
	s_delay_alu instid0(SALU_CYCLE_1)
	s_or_b32 s27, s27, s29
	s_mov_b32 s29, exec_lo
	v_cmpx_eq_u32_e64 v22, v23
	s_cbranch_execz .LBB1483_1107
; %bb.1109:                             ;   in Loop: Header=BB1483_1108 Depth=1
	s_add_nc_u64 s[8:9], s[8:9], -1
	v_add_nc_u64_e32 v[6:7], 4, v[6:7]
	s_cmp_eq_u64 s[8:9], 0
	v_add_nc_u64_e32 v[8:9], 4, v[8:9]
	s_cselect_b32 s28, -1, 0
	s_and_not1_b32 s23, s23, exec_lo
	s_and_b32 s28, s28, exec_lo
	s_and_not1_b32 s27, s27, exec_lo
	s_or_b32 s23, s23, s28
                                        ; implicit-def: $sgpr28
	s_branch .LBB1483_1107
.LBB1483_1110:
	s_or_b32 exec_lo, exec_lo, s15
	s_xor_b32 s7, s22, -1
	s_branch .LBB1483_1112
.LBB1483_1111:
	s_mov_b32 s7, -1
.LBB1483_1112:
	s_delay_alu instid0(SALU_CYCLE_1)
	s_and_b32 s7, s7, exec_lo
.LBB1483_1113:
	s_or_b32 exec_lo, exec_lo, s13
	s_delay_alu instid0(SALU_CYCLE_1)
	s_or_not1_b32 s13, s7, exec_lo
.LBB1483_1114:
	s_or_b32 exec_lo, exec_lo, s14
	v_cndmask_b32_e64 v6, v12, v13, s13
	v_cndmask_b32_e64 v7, v48, v47, s13
	s_mov_b32 s15, -1
	s_mov_b32 s14, -1
	s_mov_b32 s22, exec_lo
	v_add_nc_u32_e32 v8, 1, v6
	s_delay_alu instid0(VALU_DEP_1) | instskip(SKIP_1) | instid1(VALU_DEP_2)
	v_add_min_u32_e64 v6, v7, -1, v8
	v_cndmask_b32_e64 v25, v13, v8, s13
	v_lshl_add_u32 v6, v6, 3, v43
	ds_load_b64 v[6:7], v6
	s_wait_dscnt 0x0
	v_dual_cndmask_b32 v24, v8, v12, s13 :: v_dual_cndmask_b32 v13, v7, v11, s13
	v_dual_cndmask_b32 v12, v6, v10, s13 :: v_dual_cndmask_b32 v23, v17, v7, s13
	v_cndmask_b32_e64 v22, v16, v6, s13
	s_delay_alu instid0(VALU_DEP_3)
	v_cmpx_lt_u32_e64 v24, v48
	s_cbranch_execz .LBB1483_1125
; %bb.1115:
	s_mov_b32 s7, 0
	s_mov_b32 s14, exec_lo
	v_cmpx_lt_u32_e64 v25, v47
	s_cbranch_execz .LBB1483_1124
; %bb.1116:
	s_and_not1_b32 vcc_lo, exec_lo, s26
	s_cbranch_vccnz .LBB1483_1122
; %bb.1117:
	v_mul_u64_e32 v[6:7], s[16:17], v[12:13]
	v_mul_u64_e32 v[8:9], s[16:17], v[22:23]
	s_mov_b32 s23, 0
	s_mov_b64 s[8:9], s[16:17]
                                        ; implicit-def: $sgpr27
                                        ; implicit-def: $sgpr28
                                        ; implicit-def: $sgpr29
                                        ; implicit-def: $sgpr30
	s_delay_alu instid0(VALU_DEP_2) | instskip(NEXT) | instid1(VALU_DEP_2)
	v_lshl_add_u64 v[6:7], v[6:7], 2, s[18:19]
	v_lshl_add_u64 v[8:9], v[8:9], 2, s[18:19]
	s_branch .LBB1483_1119
.LBB1483_1118:                          ;   in Loop: Header=BB1483_1119 Depth=1
	s_or_b32 exec_lo, exec_lo, s31
	s_delay_alu instid0(SALU_CYCLE_1) | instskip(NEXT) | instid1(SALU_CYCLE_1)
	s_and_b32 s31, exec_lo, s28
	s_or_b32 s23, s31, s23
	s_and_not1_b32 s30, s30, exec_lo
	s_and_b32 s7, s7, exec_lo
	s_and_not1_b32 s27, s27, exec_lo
	s_and_b32 s31, s29, exec_lo
	s_or_b32 s30, s30, s7
	s_or_b32 s27, s27, s31
	s_and_not1_b32 exec_lo, exec_lo, s23
	s_cbranch_execz .LBB1483_1121
.LBB1483_1119:                          ; =>This Inner Loop Header: Depth=1
	global_load_b32 v26, v[6:7], off
	global_load_b32 v27, v[8:9], off
	s_and_not1_b32 s29, s29, exec_lo
	s_or_b32 s28, s28, exec_lo
	s_wait_loadcnt 0x0
	v_cmp_le_u32_e32 vcc_lo, v26, v27
	v_cmp_lt_u32_e64 s7, v26, v27
	s_and_b32 s31, vcc_lo, s30
	s_delay_alu instid0(SALU_CYCLE_1) | instskip(NEXT) | instid1(SALU_CYCLE_1)
	s_or_b32 s7, s7, s31
	s_and_b32 s31, s7, exec_lo
	s_delay_alu instid0(SALU_CYCLE_1)
	s_or_b32 s29, s29, s31
	s_mov_b32 s31, exec_lo
	v_cmpx_eq_u32_e64 v26, v27
	s_cbranch_execz .LBB1483_1118
; %bb.1120:                             ;   in Loop: Header=BB1483_1119 Depth=1
	s_add_nc_u64 s[8:9], s[8:9], -1
	v_add_nc_u64_e32 v[6:7], 4, v[6:7]
	s_cmp_eq_u64 s[8:9], 0
	v_add_nc_u64_e32 v[8:9], 4, v[8:9]
	s_cselect_b32 s30, -1, 0
	s_and_not1_b32 s28, s28, exec_lo
	s_and_b32 s30, s30, exec_lo
	s_and_not1_b32 s29, s29, exec_lo
	s_or_b32 s28, s28, s30
                                        ; implicit-def: $sgpr30
	s_branch .LBB1483_1118
.LBB1483_1121:
	s_or_b32 exec_lo, exec_lo, s23
	s_xor_b32 s7, s27, -1
	s_branch .LBB1483_1123
.LBB1483_1122:
	s_mov_b32 s7, -1
.LBB1483_1123:
	s_delay_alu instid0(SALU_CYCLE_1)
	s_and_b32 s7, s7, exec_lo
.LBB1483_1124:
	s_or_b32 exec_lo, exec_lo, s14
	s_delay_alu instid0(SALU_CYCLE_1)
	s_or_not1_b32 s14, s7, exec_lo
.LBB1483_1125:
	s_or_b32 exec_lo, exec_lo, s22
	v_cndmask_b32_e64 v6, v24, v25, s14
	v_cndmask_b32_e64 v7, v48, v47, s14
	s_mov_b32 s22, exec_lo
	s_delay_alu instid0(VALU_DEP_2) | instskip(NEXT) | instid1(VALU_DEP_1)
	v_add_nc_u32_e32 v6, 1, v6
	v_add_min_u32_e64 v7, v7, -1, v6
	v_dual_cndmask_b32 v28, v6, v24, s14 :: v_dual_cndmask_b32 v29, v25, v6, s14
	s_delay_alu instid0(VALU_DEP_2)
	v_lshl_add_u32 v7, v7, 3, v43
	ds_load_b64 v[8:9], v7
	s_wait_dscnt 0x0
	v_dual_cndmask_b32 v7, v9, v13, s14 :: v_dual_cndmask_b32 v6, v8, v12, s14
	v_dual_cndmask_b32 v25, v23, v9, s14 :: v_dual_cndmask_b32 v24, v22, v8, s14
	v_cmpx_lt_u32_e64 v28, v48
	s_cbranch_execz .LBB1483_1136
; %bb.1126:
	s_mov_b32 s7, 0
	s_mov_b32 s15, exec_lo
	v_cmpx_lt_u32_e64 v29, v47
	s_cbranch_execz .LBB1483_1135
; %bb.1127:
	s_and_not1_b32 vcc_lo, exec_lo, s26
	s_cbranch_vccnz .LBB1483_1133
; %bb.1128:
	v_mul_u64_e32 v[8:9], s[16:17], v[6:7]
	v_mul_u64_e32 v[26:27], s[16:17], v[24:25]
	s_mov_b32 s23, 0
	s_mov_b64 s[8:9], s[16:17]
                                        ; implicit-def: $sgpr27
                                        ; implicit-def: $sgpr28
                                        ; implicit-def: $sgpr29
                                        ; implicit-def: $sgpr30
	s_delay_alu instid0(VALU_DEP_2) | instskip(NEXT) | instid1(VALU_DEP_2)
	v_lshl_add_u64 v[8:9], v[8:9], 2, s[18:19]
	v_lshl_add_u64 v[26:27], v[26:27], 2, s[18:19]
	s_branch .LBB1483_1130
.LBB1483_1129:                          ;   in Loop: Header=BB1483_1130 Depth=1
	s_or_b32 exec_lo, exec_lo, s31
	s_delay_alu instid0(SALU_CYCLE_1) | instskip(NEXT) | instid1(SALU_CYCLE_1)
	s_and_b32 s31, exec_lo, s28
	s_or_b32 s23, s31, s23
	s_and_not1_b32 s30, s30, exec_lo
	s_and_b32 s7, s7, exec_lo
	s_and_not1_b32 s27, s27, exec_lo
	s_and_b32 s31, s29, exec_lo
	s_or_b32 s30, s30, s7
	s_or_b32 s27, s27, s31
	s_and_not1_b32 exec_lo, exec_lo, s23
	s_cbranch_execz .LBB1483_1132
.LBB1483_1130:                          ; =>This Inner Loop Header: Depth=1
	global_load_b32 v30, v[8:9], off
	global_load_b32 v31, v[26:27], off
	s_and_not1_b32 s29, s29, exec_lo
	s_or_b32 s28, s28, exec_lo
	s_wait_loadcnt 0x0
	v_cmp_le_u32_e32 vcc_lo, v30, v31
	v_cmp_lt_u32_e64 s7, v30, v31
	s_and_b32 s31, vcc_lo, s30
	s_delay_alu instid0(SALU_CYCLE_1) | instskip(NEXT) | instid1(SALU_CYCLE_1)
	s_or_b32 s7, s7, s31
	s_and_b32 s31, s7, exec_lo
	s_delay_alu instid0(SALU_CYCLE_1)
	s_or_b32 s29, s29, s31
	s_mov_b32 s31, exec_lo
	v_cmpx_eq_u32_e64 v30, v31
	s_cbranch_execz .LBB1483_1129
; %bb.1131:                             ;   in Loop: Header=BB1483_1130 Depth=1
	s_add_nc_u64 s[8:9], s[8:9], -1
	v_add_nc_u64_e32 v[8:9], 4, v[8:9]
	s_cmp_eq_u64 s[8:9], 0
	v_add_nc_u64_e32 v[26:27], 4, v[26:27]
	s_cselect_b32 s30, -1, 0
	s_and_not1_b32 s28, s28, exec_lo
	s_and_b32 s30, s30, exec_lo
	s_and_not1_b32 s29, s29, exec_lo
	s_or_b32 s28, s28, s30
                                        ; implicit-def: $sgpr30
	s_branch .LBB1483_1129
.LBB1483_1132:
	s_or_b32 exec_lo, exec_lo, s23
	s_xor_b32 s7, s27, -1
	s_branch .LBB1483_1134
.LBB1483_1133:
	s_mov_b32 s7, -1
.LBB1483_1134:
	s_delay_alu instid0(SALU_CYCLE_1)
	s_and_b32 s7, s7, exec_lo
.LBB1483_1135:
	s_or_b32 exec_lo, exec_lo, s15
	s_delay_alu instid0(SALU_CYCLE_1)
	s_or_not1_b32 s15, s7, exec_lo
.LBB1483_1136:
	s_or_b32 exec_lo, exec_lo, s22
	v_cndmask_b32_e64 v8, v28, v29, s15
	v_cndmask_b32_e64 v9, v48, v47, s15
	s_mov_b32 s22, -1
	s_mov_b32 s23, -1
	s_mov_b32 s27, exec_lo
	v_add_nc_u32_e32 v8, 1, v8
	s_delay_alu instid0(VALU_DEP_1) | instskip(NEXT) | instid1(VALU_DEP_1)
	v_add_min_u32_e64 v9, v9, -1, v8
	v_lshl_add_u32 v9, v9, 3, v43
	ds_load_b64 v[26:27], v9
	v_cndmask_b32_e64 v32, v8, v28, s15
	s_wait_dscnt 0x0
	v_dual_cndmask_b32 v33, v29, v8, s15 :: v_dual_cndmask_b32 v9, v27, v7, s15
	v_dual_cndmask_b32 v8, v26, v6, s15 :: v_dual_cndmask_b32 v27, v25, v27, s15
	v_cndmask_b32_e64 v26, v24, v26, s15
	v_cmpx_lt_u32_e64 v32, v48
	s_cbranch_execz .LBB1483_1147
; %bb.1137:
	s_mov_b32 s7, 0
	s_mov_b32 s23, exec_lo
	v_cmpx_lt_u32_e64 v33, v47
	s_cbranch_execz .LBB1483_1146
; %bb.1138:
	s_and_not1_b32 vcc_lo, exec_lo, s26
	s_cbranch_vccnz .LBB1483_1144
; %bb.1139:
	v_mul_u64_e32 v[28:29], s[16:17], v[8:9]
	v_mul_u64_e32 v[30:31], s[16:17], v[26:27]
	s_mov_b32 s28, 0
	s_mov_b64 s[8:9], s[16:17]
                                        ; implicit-def: $sgpr29
                                        ; implicit-def: $sgpr30
                                        ; implicit-def: $sgpr31
                                        ; implicit-def: $sgpr33
	s_delay_alu instid0(VALU_DEP_2) | instskip(NEXT) | instid1(VALU_DEP_2)
	v_lshl_add_u64 v[28:29], v[28:29], 2, s[18:19]
	v_lshl_add_u64 v[30:31], v[30:31], 2, s[18:19]
	s_branch .LBB1483_1141
.LBB1483_1140:                          ;   in Loop: Header=BB1483_1141 Depth=1
	s_or_b32 exec_lo, exec_lo, s34
	s_delay_alu instid0(SALU_CYCLE_1) | instskip(NEXT) | instid1(SALU_CYCLE_1)
	s_and_b32 s34, exec_lo, s30
	s_or_b32 s28, s34, s28
	s_and_not1_b32 s33, s33, exec_lo
	s_and_b32 s7, s7, exec_lo
	s_and_not1_b32 s29, s29, exec_lo
	s_and_b32 s34, s31, exec_lo
	s_or_b32 s33, s33, s7
	s_or_b32 s29, s29, s34
	s_and_not1_b32 exec_lo, exec_lo, s28
	s_cbranch_execz .LBB1483_1143
.LBB1483_1141:                          ; =>This Inner Loop Header: Depth=1
	global_load_b32 v34, v[28:29], off
	global_load_b32 v35, v[30:31], off
	s_and_not1_b32 s31, s31, exec_lo
	s_or_b32 s30, s30, exec_lo
	s_wait_loadcnt 0x0
	v_cmp_le_u32_e32 vcc_lo, v34, v35
	v_cmp_lt_u32_e64 s7, v34, v35
	s_and_b32 s34, vcc_lo, s33
	s_delay_alu instid0(SALU_CYCLE_1) | instskip(NEXT) | instid1(SALU_CYCLE_1)
	s_or_b32 s7, s7, s34
	s_and_b32 s34, s7, exec_lo
	s_delay_alu instid0(SALU_CYCLE_1)
	s_or_b32 s31, s31, s34
	s_mov_b32 s34, exec_lo
	v_cmpx_eq_u32_e64 v34, v35
	s_cbranch_execz .LBB1483_1140
; %bb.1142:                             ;   in Loop: Header=BB1483_1141 Depth=1
	s_add_nc_u64 s[8:9], s[8:9], -1
	v_add_nc_u64_e32 v[28:29], 4, v[28:29]
	s_cmp_eq_u64 s[8:9], 0
	v_add_nc_u64_e32 v[30:31], 4, v[30:31]
	s_cselect_b32 s33, -1, 0
	s_and_not1_b32 s30, s30, exec_lo
	s_and_b32 s33, s33, exec_lo
	s_and_not1_b32 s31, s31, exec_lo
	s_or_b32 s30, s30, s33
                                        ; implicit-def: $sgpr33
	s_branch .LBB1483_1140
.LBB1483_1143:
	s_or_b32 exec_lo, exec_lo, s28
	s_xor_b32 s7, s29, -1
	s_branch .LBB1483_1145
.LBB1483_1144:
	s_mov_b32 s7, -1
.LBB1483_1145:
	s_delay_alu instid0(SALU_CYCLE_1)
	s_and_b32 s7, s7, exec_lo
.LBB1483_1146:
	s_or_b32 exec_lo, exec_lo, s23
	s_delay_alu instid0(SALU_CYCLE_1)
	s_or_not1_b32 s23, s7, exec_lo
.LBB1483_1147:
	s_or_b32 exec_lo, exec_lo, s27
	v_cndmask_b32_e64 v28, v32, v33, s23
	v_cndmask_b32_e64 v29, v48, v47, s23
	s_mov_b32 s27, exec_lo
	s_delay_alu instid0(VALU_DEP_2) | instskip(NEXT) | instid1(VALU_DEP_1)
	v_add_nc_u32_e32 v28, 1, v28
	v_add_min_u32_e64 v29, v29, -1, v28
	s_delay_alu instid0(VALU_DEP_1)
	v_lshl_add_u32 v29, v29, 3, v43
	ds_load_b64 v[30:31], v29
	v_cndmask_b32_e64 v50, v28, v32, s23
	s_wait_dscnt 0x0
	v_dual_cndmask_b32 v49, v33, v28, s23 :: v_dual_cndmask_b32 v29, v31, v9, s23
	v_dual_cndmask_b32 v28, v30, v8, s23 :: v_dual_cndmask_b32 v31, v27, v31, s23
	v_cndmask_b32_e64 v30, v26, v30, s23
	v_cmpx_lt_u32_e64 v50, v48
	s_cbranch_execz .LBB1483_1158
; %bb.1148:
	s_mov_b32 s7, 0
	s_mov_b32 s22, exec_lo
	v_cmpx_lt_u32_e64 v49, v47
	s_cbranch_execz .LBB1483_1157
; %bb.1149:
	s_and_not1_b32 vcc_lo, exec_lo, s26
	s_cbranch_vccnz .LBB1483_1155
; %bb.1150:
	v_mul_u64_e32 v[32:33], s[16:17], v[28:29]
	v_mul_u64_e32 v[34:35], s[16:17], v[30:31]
	s_mov_b32 s28, 0
	s_mov_b64 s[8:9], s[16:17]
                                        ; implicit-def: $sgpr29
                                        ; implicit-def: $sgpr30
                                        ; implicit-def: $sgpr31
                                        ; implicit-def: $sgpr33
	s_delay_alu instid0(VALU_DEP_2) | instskip(NEXT) | instid1(VALU_DEP_2)
	v_lshl_add_u64 v[32:33], v[32:33], 2, s[18:19]
	v_lshl_add_u64 v[34:35], v[34:35], 2, s[18:19]
	s_branch .LBB1483_1152
.LBB1483_1151:                          ;   in Loop: Header=BB1483_1152 Depth=1
	s_or_b32 exec_lo, exec_lo, s34
	s_delay_alu instid0(SALU_CYCLE_1) | instskip(NEXT) | instid1(SALU_CYCLE_1)
	s_and_b32 s34, exec_lo, s30
	s_or_b32 s28, s34, s28
	s_and_not1_b32 s33, s33, exec_lo
	s_and_b32 s7, s7, exec_lo
	s_and_not1_b32 s29, s29, exec_lo
	s_and_b32 s34, s31, exec_lo
	s_or_b32 s33, s33, s7
	s_or_b32 s29, s29, s34
	s_and_not1_b32 exec_lo, exec_lo, s28
	s_cbranch_execz .LBB1483_1154
.LBB1483_1152:                          ; =>This Inner Loop Header: Depth=1
	global_load_b32 v51, v[32:33], off
	global_load_b32 v52, v[34:35], off
	s_and_not1_b32 s31, s31, exec_lo
	s_or_b32 s30, s30, exec_lo
	s_wait_loadcnt 0x0
	v_cmp_le_u32_e32 vcc_lo, v51, v52
	v_cmp_lt_u32_e64 s7, v51, v52
	s_and_b32 s34, vcc_lo, s33
	s_delay_alu instid0(SALU_CYCLE_1) | instskip(NEXT) | instid1(SALU_CYCLE_1)
	s_or_b32 s7, s7, s34
	s_and_b32 s34, s7, exec_lo
	s_delay_alu instid0(SALU_CYCLE_1)
	s_or_b32 s31, s31, s34
	s_mov_b32 s34, exec_lo
	v_cmpx_eq_u32_e64 v51, v52
	s_cbranch_execz .LBB1483_1151
; %bb.1153:                             ;   in Loop: Header=BB1483_1152 Depth=1
	s_add_nc_u64 s[8:9], s[8:9], -1
	v_add_nc_u64_e32 v[32:33], 4, v[32:33]
	s_cmp_eq_u64 s[8:9], 0
	v_add_nc_u64_e32 v[34:35], 4, v[34:35]
	s_cselect_b32 s33, -1, 0
	s_and_not1_b32 s30, s30, exec_lo
	s_and_b32 s33, s33, exec_lo
	s_and_not1_b32 s31, s31, exec_lo
	s_or_b32 s30, s30, s33
                                        ; implicit-def: $sgpr33
	s_branch .LBB1483_1151
.LBB1483_1154:
	s_or_b32 exec_lo, exec_lo, s28
	s_xor_b32 s7, s29, -1
	s_branch .LBB1483_1156
.LBB1483_1155:
	s_mov_b32 s7, -1
.LBB1483_1156:
	s_delay_alu instid0(SALU_CYCLE_1)
	s_and_b32 s7, s7, exec_lo
.LBB1483_1157:
	s_or_b32 exec_lo, exec_lo, s22
	s_delay_alu instid0(SALU_CYCLE_1)
	s_or_not1_b32 s22, s7, exec_lo
.LBB1483_1158:
	s_or_b32 exec_lo, exec_lo, s27
	v_dual_cndmask_b32 v32, v50, v49, s22 :: v_dual_cndmask_b32 v33, v48, v47, s22
	v_dual_cndmask_b32 v8, v8, v26, s23 :: v_dual_cndmask_b32 v7, v7, v25, s15
	;; [unrolled: 1-line block ×3, first 2 shown]
	s_delay_alu instid0(VALU_DEP_3) | instskip(SKIP_2) | instid1(VALU_DEP_3)
	v_dual_add_nc_u32 v34, 1, v32 :: v_dual_cndmask_b32 v9, v9, v27, s23
	v_dual_cndmask_b32 v12, v12, v22, s14 :: v_dual_cndmask_b32 v11, v11, v17, s13
	v_dual_cndmask_b32 v10, v10, v16, s13 :: v_dual_cndmask_b32 v17, v5, v15, s12
	v_add_min_u32_e64 v32, v33, -1, v34
	v_dual_cndmask_b32 v16, v4, v14, s12 :: v_dual_cndmask_b32 v15, v3, v1, s11
	v_dual_cndmask_b32 v14, v2, v0, s11 :: v_dual_cndmask_b32 v3, v29, v31, s22
	s_delay_alu instid0(VALU_DEP_3)
	v_lshl_add_u32 v32, v32, 3, v43
	s_mov_b32 s11, exec_lo
	ds_load_b64 v[32:33], v32
	v_cndmask_b32_e64 v0, v34, v50, s22
	s_wait_dscnt 0x0
	v_dual_cndmask_b32 v2, v28, v30, s22 :: v_dual_cndmask_b32 v4, v30, v32, s22
	v_cndmask_b32_e64 v5, v31, v33, s22
	s_delay_alu instid0(VALU_DEP_3)
	v_cmpx_lt_u32_e64 v0, v48
	s_cbranch_execz .LBB1483_1168
; %bb.1159:
	v_dual_cndmask_b32 v22, v49, v34, s22 :: v_dual_cndmask_b32 v0, v32, v28, s22
	v_cndmask_b32_e64 v1, v33, v29, s22
	s_mov_b32 s12, exec_lo
	s_delay_alu instid0(VALU_DEP_2)
	v_cmpx_lt_u32_e64 v22, v47
	s_cbranch_execz .LBB1483_1167
; %bb.1160:
	s_and_not1_b32 vcc_lo, exec_lo, s26
	s_cbranch_vccnz .LBB1483_1166
; %bb.1161:
	v_mul_u64_e32 v[22:23], s[16:17], v[0:1]
	v_mul_u64_e32 v[24:25], s[16:17], v[4:5]
	s_mov_b32 s13, 0
	s_mov_b64 s[8:9], s[16:17]
                                        ; implicit-def: $sgpr14
                                        ; implicit-def: $sgpr15
                                        ; implicit-def: $sgpr22
                                        ; implicit-def: $sgpr23
	s_delay_alu instid0(VALU_DEP_2) | instskip(NEXT) | instid1(VALU_DEP_2)
	v_lshl_add_u64 v[22:23], v[22:23], 2, s[18:19]
	v_lshl_add_u64 v[24:25], v[24:25], 2, s[18:19]
	s_branch .LBB1483_1163
.LBB1483_1162:                          ;   in Loop: Header=BB1483_1163 Depth=1
	s_or_b32 exec_lo, exec_lo, s27
	s_delay_alu instid0(SALU_CYCLE_1) | instskip(NEXT) | instid1(SALU_CYCLE_1)
	s_and_b32 s27, exec_lo, s15
	s_or_b32 s13, s27, s13
	s_and_not1_b32 s23, s23, exec_lo
	s_and_b32 s7, s7, exec_lo
	s_and_not1_b32 s14, s14, exec_lo
	s_and_b32 s27, s22, exec_lo
	s_or_b32 s23, s23, s7
	s_or_b32 s14, s14, s27
	s_and_not1_b32 exec_lo, exec_lo, s13
	s_cbranch_execz .LBB1483_1165
.LBB1483_1163:                          ; =>This Inner Loop Header: Depth=1
	global_load_b32 v26, v[22:23], off
	global_load_b32 v27, v[24:25], off
	s_and_not1_b32 s22, s22, exec_lo
	s_or_b32 s15, s15, exec_lo
	s_wait_loadcnt 0x0
	v_cmp_le_u32_e32 vcc_lo, v26, v27
	v_cmp_lt_u32_e64 s7, v26, v27
	s_and_b32 s27, vcc_lo, s23
	s_delay_alu instid0(SALU_CYCLE_1) | instskip(NEXT) | instid1(SALU_CYCLE_1)
	s_or_b32 s7, s7, s27
	s_and_b32 s27, s7, exec_lo
	s_delay_alu instid0(SALU_CYCLE_1)
	s_or_b32 s22, s22, s27
	s_mov_b32 s27, exec_lo
	v_cmpx_eq_u32_e64 v26, v27
	s_cbranch_execz .LBB1483_1162
; %bb.1164:                             ;   in Loop: Header=BB1483_1163 Depth=1
	s_add_nc_u64 s[8:9], s[8:9], -1
	v_add_nc_u64_e32 v[22:23], 4, v[22:23]
	s_cmp_eq_u64 s[8:9], 0
	v_add_nc_u64_e32 v[24:25], 4, v[24:25]
	s_cselect_b32 s23, -1, 0
	s_and_not1_b32 s15, s15, exec_lo
	s_and_b32 s23, s23, exec_lo
	s_and_not1_b32 s22, s22, exec_lo
	s_or_b32 s15, s15, s23
                                        ; implicit-def: $sgpr23
	s_branch .LBB1483_1162
.LBB1483_1165:
	s_or_b32 exec_lo, exec_lo, s13
	v_dual_cndmask_b32 v5, v5, v1, s14 :: v_dual_cndmask_b32 v4, v4, v0, s14
.LBB1483_1166:
	s_delay_alu instid0(VALU_DEP_1)
	v_mov_b64_e32 v[0:1], v[4:5]
.LBB1483_1167:
	s_or_b32 exec_lo, exec_lo, s12
	s_delay_alu instid0(VALU_DEP_1)
	v_mov_b64_e32 v[4:5], v[0:1]
.LBB1483_1168:
	s_or_b32 exec_lo, exec_lo, s11
.LBB1483_1169:
	s_delay_alu instid0(SALU_CYCLE_1)
	s_or_b32 exec_lo, exec_lo, s10
	v_and_b32_e32 v26, 0xc0, v45
	s_mov_b32 s12, exec_lo
	; wave barrier
	ds_store_b128 v46, v[14:17]
	ds_store_b128 v46, v[10:13] offset:16
	v_or_b32_e32 v0, 32, v26
	v_lshl_add_u32 v25, v26, 3, v43
	ds_store_b128 v46, v[6:9] offset:32
	ds_store_b128 v46, v[2:5] offset:48
	; wave barrier
	v_min_u32_e32 v47, v44, v0
	v_and_b32_e32 v0, 56, v45
	s_delay_alu instid0(VALU_DEP_2) | instskip(NEXT) | instid1(VALU_DEP_2)
	v_add_min_u32_e64 v48, v47, 32, v44
	v_min_u32_e32 v27, v44, v0
	s_delay_alu instid0(VALU_DEP_2) | instskip(NEXT) | instid1(VALU_DEP_1)
	v_dual_sub_nc_u32 v1, v47, v26 :: v_dual_sub_nc_u32 v0, v48, v47
	v_min_u32_e32 v28, v27, v1
	s_delay_alu instid0(VALU_DEP_2) | instskip(NEXT) | instid1(VALU_DEP_1)
	v_sub_nc_u32_e64 v24, v27, v0 clamp
	v_cmpx_lt_u32_e64 v24, v28
	s_cbranch_execz .LBB1483_1179
; %bb.1170:
	v_lshlrev_b32_e32 v0, 3, v47
	v_lshlrev_b32_e32 v1, 3, v27
	s_lshl_b64 s[8:9], s[16:17], 2
	s_mov_b32 s13, 0
	s_delay_alu instid0(VALU_DEP_1)
	v_add3_u32 v29, v43, v0, v1
	s_branch .LBB1483_1173
.LBB1483_1171:                          ;   in Loop: Header=BB1483_1173 Depth=1
	s_or_b32 exec_lo, exec_lo, s15
.LBB1483_1172:                          ;   in Loop: Header=BB1483_1173 Depth=1
	s_delay_alu instid0(VALU_DEP_1) | instskip(NEXT) | instid1(VALU_DEP_1)
	v_dual_add_nc_u32 v0, 1, v30 :: v_dual_cndmask_b32 v28, v28, v30, s14
	v_cndmask_b32_e64 v24, v0, v24, s14
	s_delay_alu instid0(VALU_DEP_1) | instskip(SKIP_1) | instid1(SALU_CYCLE_1)
	v_cmp_ge_u32_e32 vcc_lo, v24, v28
	s_or_b32 s13, vcc_lo, s13
	s_and_not1_b32 exec_lo, exec_lo, s13
	s_cbranch_execz .LBB1483_1178
.LBB1483_1173:                          ; =>This Loop Header: Depth=1
                                        ;     Child Loop BB1483_1176 Depth 2
	v_add_nc_u32_e32 v0, v28, v24
	s_and_not1_b32 vcc_lo, exec_lo, s26
	s_mov_b32 s14, 0
	s_delay_alu instid0(VALU_DEP_1)
	v_lshrrev_b32_e32 v30, 1, v0
	s_cbranch_vccnz .LBB1483_1172
; %bb.1174:                             ;   in Loop: Header=BB1483_1173 Depth=1
	s_delay_alu instid0(VALU_DEP_1) | instskip(SKIP_3) | instid1(VALU_DEP_2)
	v_not_b32_e32 v0, v30
	v_lshl_add_u32 v1, v30, 3, v25
	s_mov_b32 s15, 0
	s_mov_b64 s[10:11], s[16:17]
                                        ; implicit-def: $sgpr14
                                        ; implicit-def: $sgpr22
                                        ; implicit-def: $sgpr23
                                        ; implicit-def: $sgpr27
	v_lshl_add_u32 v0, v0, 3, v29
	ds_load_b64 v[32:33], v0
	ds_load_b64 v[34:35], v1
	s_wait_dscnt 0x1
	v_mad_nc_u64_u32 v[0:1], s8, v32, s[18:19]
	s_wait_dscnt 0x0
	v_mad_nc_u64_u32 v[22:23], s8, v34, s[18:19]
	s_delay_alu instid0(VALU_DEP_2) | instskip(NEXT) | instid1(VALU_DEP_2)
	v_mad_u32 v1, s9, v32, v1
	v_mad_u32 v23, s9, v34, v23
	s_delay_alu instid0(VALU_DEP_2) | instskip(NEXT) | instid1(VALU_DEP_2)
	v_mad_u32 v1, s8, v33, v1
	v_mad_u32 v23, s8, v35, v23
	s_branch .LBB1483_1176
.LBB1483_1175:                          ;   in Loop: Header=BB1483_1176 Depth=2
	s_or_b32 exec_lo, exec_lo, s28
	s_delay_alu instid0(SALU_CYCLE_1) | instskip(NEXT) | instid1(SALU_CYCLE_1)
	s_and_b32 s28, exec_lo, s22
	s_or_b32 s15, s28, s15
	s_and_not1_b32 s27, s27, exec_lo
	s_and_b32 s7, s7, exec_lo
	s_and_not1_b32 s14, s14, exec_lo
	s_and_b32 s28, s23, exec_lo
	s_or_b32 s27, s27, s7
	s_or_b32 s14, s14, s28
	s_and_not1_b32 exec_lo, exec_lo, s15
	s_cbranch_execz .LBB1483_1171
.LBB1483_1176:                          ;   Parent Loop BB1483_1173 Depth=1
                                        ; =>  This Inner Loop Header: Depth=2
	global_load_b32 v31, v[0:1], off
	global_load_b32 v32, v[22:23], off
	s_and_not1_b32 s23, s23, exec_lo
	s_or_b32 s22, s22, exec_lo
	s_wait_loadcnt 0x0
	v_cmp_le_u32_e32 vcc_lo, v31, v32
	v_cmp_lt_u32_e64 s7, v31, v32
	s_and_b32 s28, vcc_lo, s27
	s_delay_alu instid0(SALU_CYCLE_1) | instskip(NEXT) | instid1(SALU_CYCLE_1)
	s_or_b32 s7, s7, s28
	s_and_b32 s28, s7, exec_lo
	s_delay_alu instid0(SALU_CYCLE_1)
	s_or_b32 s23, s23, s28
	s_mov_b32 s28, exec_lo
	v_cmpx_eq_u32_e64 v31, v32
	s_cbranch_execz .LBB1483_1175
; %bb.1177:                             ;   in Loop: Header=BB1483_1176 Depth=2
	s_add_nc_u64 s[10:11], s[10:11], -1
	v_add_nc_u64_e32 v[0:1], 4, v[0:1]
	s_cmp_eq_u64 s[10:11], 0
	v_add_nc_u64_e32 v[22:23], 4, v[22:23]
	s_cselect_b32 s27, -1, 0
	s_and_not1_b32 s22, s22, exec_lo
	s_and_b32 s27, s27, exec_lo
	s_and_not1_b32 s23, s23, exec_lo
	s_or_b32 s22, s22, s27
                                        ; implicit-def: $sgpr27
	s_branch .LBB1483_1175
.LBB1483_1178:
	s_or_b32 exec_lo, exec_lo, s13
.LBB1483_1179:
	s_delay_alu instid0(SALU_CYCLE_1) | instskip(SKIP_1) | instid1(VALU_DEP_1)
	s_or_b32 exec_lo, exec_lo, s12
	v_dual_add_nc_u32 v0, v47, v27 :: v_dual_add_nc_u32 v22, v24, v26
	v_sub_nc_u32_e32 v23, v0, v24
	s_delay_alu instid0(VALU_DEP_2) | instskip(NEXT) | instid1(VALU_DEP_2)
	v_cmp_le_u32_e32 vcc_lo, v22, v47
	v_cmp_le_u32_e64 s7, v23, v48
	s_or_b32 s7, vcc_lo, s7
	s_delay_alu instid0(SALU_CYCLE_1)
	s_and_saveexec_b32 s10, s7
	s_cbranch_execz .LBB1483_1270
; %bb.1180:
	s_mov_b32 s8, exec_lo
	v_cmp_ge_u32_e32 vcc_lo, v22, v47
                                        ; implicit-def: $vgpr0_vgpr1
	v_cmpx_lt_u32_e64 v22, v47
; %bb.1181:
	v_lshl_add_u32 v0, v24, 3, v25
	ds_load_b64 v[0:1], v0
; %bb.1182:
	s_or_b32 exec_lo, exec_lo, s8
	v_cmp_ge_u32_e64 s11, v23, v48
	s_mov_b32 s8, exec_lo
                                        ; implicit-def: $vgpr2_vgpr3
	v_cmpx_lt_u32_e64 v23, v48
; %bb.1183:
	v_lshl_add_u32 v2, v23, 3, v43
	ds_load_b64 v[2:3], v2
; %bb.1184:
	s_or_b32 exec_lo, exec_lo, s8
	s_nor_b32 s7, vcc_lo, s11
	s_delay_alu instid0(SALU_CYCLE_1)
	s_and_saveexec_b32 s12, s7
	s_cbranch_execz .LBB1483_1193
; %bb.1185:
	s_and_not1_b32 vcc_lo, exec_lo, s26
	s_cbranch_vccnz .LBB1483_1191
; %bb.1186:
	s_wait_dscnt 0x0
	v_mul_u64_e32 v[4:5], s[16:17], v[2:3]
	v_mul_u64_e32 v[6:7], s[16:17], v[0:1]
	s_mov_b32 s13, 0
	s_mov_b64 s[8:9], s[16:17]
                                        ; implicit-def: $sgpr14
                                        ; implicit-def: $sgpr15
                                        ; implicit-def: $sgpr22
                                        ; implicit-def: $sgpr23
	s_delay_alu instid0(VALU_DEP_2) | instskip(NEXT) | instid1(VALU_DEP_2)
	v_lshl_add_u64 v[4:5], v[4:5], 2, s[18:19]
	v_lshl_add_u64 v[6:7], v[6:7], 2, s[18:19]
	s_branch .LBB1483_1188
.LBB1483_1187:                          ;   in Loop: Header=BB1483_1188 Depth=1
	s_or_b32 exec_lo, exec_lo, s27
	s_delay_alu instid0(SALU_CYCLE_1) | instskip(NEXT) | instid1(SALU_CYCLE_1)
	s_and_b32 s27, exec_lo, s15
	s_or_b32 s13, s27, s13
	s_and_not1_b32 s23, s23, exec_lo
	s_and_b32 s7, s7, exec_lo
	s_and_not1_b32 s14, s14, exec_lo
	s_and_b32 s27, s22, exec_lo
	s_or_b32 s23, s23, s7
	s_or_b32 s14, s14, s27
	s_and_not1_b32 exec_lo, exec_lo, s13
	s_cbranch_execz .LBB1483_1190
.LBB1483_1188:                          ; =>This Inner Loop Header: Depth=1
	global_load_b32 v8, v[4:5], off
	global_load_b32 v9, v[6:7], off
	s_and_not1_b32 s22, s22, exec_lo
	s_or_b32 s15, s15, exec_lo
	s_wait_loadcnt 0x0
	v_cmp_le_u32_e32 vcc_lo, v8, v9
	v_cmp_lt_u32_e64 s7, v8, v9
	s_and_b32 s27, vcc_lo, s23
	s_delay_alu instid0(SALU_CYCLE_1) | instskip(NEXT) | instid1(SALU_CYCLE_1)
	s_or_b32 s7, s7, s27
	s_and_b32 s27, s7, exec_lo
	s_delay_alu instid0(SALU_CYCLE_1)
	s_or_b32 s22, s22, s27
	s_mov_b32 s27, exec_lo
	v_cmpx_eq_u32_e64 v8, v9
	s_cbranch_execz .LBB1483_1187
; %bb.1189:                             ;   in Loop: Header=BB1483_1188 Depth=1
	s_add_nc_u64 s[8:9], s[8:9], -1
	v_add_nc_u64_e32 v[4:5], 4, v[4:5]
	s_cmp_eq_u64 s[8:9], 0
	v_add_nc_u64_e32 v[6:7], 4, v[6:7]
	s_cselect_b32 s23, -1, 0
	s_and_not1_b32 s15, s15, exec_lo
	s_and_b32 s23, s23, exec_lo
	s_and_not1_b32 s22, s22, exec_lo
	s_or_b32 s15, s15, s23
                                        ; implicit-def: $sgpr23
	s_branch .LBB1483_1187
.LBB1483_1190:
	s_or_b32 exec_lo, exec_lo, s13
	s_xor_b32 s7, s14, -1
	s_branch .LBB1483_1192
.LBB1483_1191:
	s_mov_b32 s7, -1
.LBB1483_1192:
	s_and_not1_b32 s8, s11, exec_lo
	s_and_b32 s7, s7, exec_lo
	s_delay_alu instid0(SALU_CYCLE_1)
	s_or_b32 s11, s8, s7
.LBB1483_1193:
	s_or_b32 exec_lo, exec_lo, s12
	v_dual_cndmask_b32 v4, v23, v22, s11 :: v_dual_cndmask_b32 v5, v48, v47, s11
	s_mov_b32 s13, -1
	s_mov_b32 s12, -1
	s_mov_b32 s14, exec_lo
	s_delay_alu instid0(VALU_DEP_1) | instskip(NEXT) | instid1(VALU_DEP_1)
	v_add_nc_u32_e32 v4, 1, v4
	v_add_min_u32_e64 v5, v5, -1, v4
	s_delay_alu instid0(VALU_DEP_1)
	v_lshl_add_u32 v5, v5, 3, v43
	ds_load_b64 v[6:7], v5
	s_wait_dscnt 0x0
	v_cndmask_b32_e64 v5, v7, v3, s11
	v_dual_cndmask_b32 v10, v4, v23, s11 :: v_dual_cndmask_b32 v11, v22, v4, s11
	v_dual_cndmask_b32 v4, v6, v2, s11 :: v_dual_cndmask_b32 v15, v1, v7, s11
	v_cndmask_b32_e64 v14, v0, v6, s11
	s_delay_alu instid0(VALU_DEP_3)
	v_cmpx_lt_u32_e64 v10, v48
	s_cbranch_execz .LBB1483_1204
; %bb.1194:
	s_mov_b32 s7, 0
	s_mov_b32 s12, exec_lo
	v_cmpx_lt_u32_e64 v11, v47
	s_cbranch_execz .LBB1483_1203
; %bb.1195:
	s_and_not1_b32 vcc_lo, exec_lo, s26
	s_cbranch_vccnz .LBB1483_1201
; %bb.1196:
	v_mul_u64_e32 v[6:7], s[16:17], v[4:5]
	v_mul_u64_e32 v[8:9], s[16:17], v[14:15]
	s_mov_b32 s15, 0
	s_mov_b64 s[8:9], s[16:17]
                                        ; implicit-def: $sgpr22
                                        ; implicit-def: $sgpr23
                                        ; implicit-def: $sgpr27
                                        ; implicit-def: $sgpr28
	s_delay_alu instid0(VALU_DEP_2) | instskip(NEXT) | instid1(VALU_DEP_2)
	v_lshl_add_u64 v[6:7], v[6:7], 2, s[18:19]
	v_lshl_add_u64 v[8:9], v[8:9], 2, s[18:19]
	s_branch .LBB1483_1198
.LBB1483_1197:                          ;   in Loop: Header=BB1483_1198 Depth=1
	s_or_b32 exec_lo, exec_lo, s29
	s_delay_alu instid0(SALU_CYCLE_1) | instskip(NEXT) | instid1(SALU_CYCLE_1)
	s_and_b32 s29, exec_lo, s23
	s_or_b32 s15, s29, s15
	s_and_not1_b32 s28, s28, exec_lo
	s_and_b32 s7, s7, exec_lo
	s_and_not1_b32 s22, s22, exec_lo
	s_and_b32 s29, s27, exec_lo
	s_or_b32 s28, s28, s7
	s_or_b32 s22, s22, s29
	s_and_not1_b32 exec_lo, exec_lo, s15
	s_cbranch_execz .LBB1483_1200
.LBB1483_1198:                          ; =>This Inner Loop Header: Depth=1
	global_load_b32 v12, v[6:7], off
	global_load_b32 v13, v[8:9], off
	s_and_not1_b32 s27, s27, exec_lo
	s_or_b32 s23, s23, exec_lo
	s_wait_loadcnt 0x0
	v_cmp_le_u32_e32 vcc_lo, v12, v13
	v_cmp_lt_u32_e64 s7, v12, v13
	s_and_b32 s29, vcc_lo, s28
	s_delay_alu instid0(SALU_CYCLE_1) | instskip(NEXT) | instid1(SALU_CYCLE_1)
	s_or_b32 s7, s7, s29
	s_and_b32 s29, s7, exec_lo
	s_delay_alu instid0(SALU_CYCLE_1)
	s_or_b32 s27, s27, s29
	s_mov_b32 s29, exec_lo
	v_cmpx_eq_u32_e64 v12, v13
	s_cbranch_execz .LBB1483_1197
; %bb.1199:                             ;   in Loop: Header=BB1483_1198 Depth=1
	s_add_nc_u64 s[8:9], s[8:9], -1
	v_add_nc_u64_e32 v[6:7], 4, v[6:7]
	s_cmp_eq_u64 s[8:9], 0
	v_add_nc_u64_e32 v[8:9], 4, v[8:9]
	s_cselect_b32 s28, -1, 0
	s_and_not1_b32 s23, s23, exec_lo
	s_and_b32 s28, s28, exec_lo
	s_and_not1_b32 s27, s27, exec_lo
	s_or_b32 s23, s23, s28
                                        ; implicit-def: $sgpr28
	s_branch .LBB1483_1197
.LBB1483_1200:
	s_or_b32 exec_lo, exec_lo, s15
	s_xor_b32 s7, s22, -1
	s_branch .LBB1483_1202
.LBB1483_1201:
	s_mov_b32 s7, -1
.LBB1483_1202:
	s_delay_alu instid0(SALU_CYCLE_1)
	s_and_b32 s7, s7, exec_lo
.LBB1483_1203:
	s_or_b32 exec_lo, exec_lo, s12
	s_delay_alu instid0(SALU_CYCLE_1)
	s_or_not1_b32 s12, s7, exec_lo
.LBB1483_1204:
	s_or_b32 exec_lo, exec_lo, s14
	v_cndmask_b32_e64 v6, v10, v11, s12
	v_cndmask_b32_e64 v7, v48, v47, s12
	s_mov_b32 s14, exec_lo
	s_delay_alu instid0(VALU_DEP_2) | instskip(NEXT) | instid1(VALU_DEP_1)
	v_add_nc_u32_e32 v8, 1, v6
	v_add_min_u32_e64 v6, v7, -1, v8
	v_cndmask_b32_e64 v12, v8, v10, s12
	s_delay_alu instid0(VALU_DEP_2)
	v_lshl_add_u32 v6, v6, 3, v43
	ds_load_b64 v[6:7], v6
	s_wait_dscnt 0x0
	v_dual_cndmask_b32 v13, v11, v8, s12 :: v_dual_cndmask_b32 v16, v14, v6, s12
	v_dual_cndmask_b32 v11, v7, v5, s12 :: v_dual_cndmask_b32 v10, v6, v4, s12
	v_cndmask_b32_e64 v17, v15, v7, s12
	v_cmpx_lt_u32_e64 v12, v48
	s_cbranch_execz .LBB1483_1215
; %bb.1205:
	s_mov_b32 s7, 0
	s_mov_b32 s13, exec_lo
	v_cmpx_lt_u32_e64 v13, v47
	s_cbranch_execz .LBB1483_1214
; %bb.1206:
	s_and_not1_b32 vcc_lo, exec_lo, s26
	s_cbranch_vccnz .LBB1483_1212
; %bb.1207:
	v_mul_u64_e32 v[6:7], s[16:17], v[10:11]
	v_mul_u64_e32 v[8:9], s[16:17], v[16:17]
	s_mov_b32 s15, 0
	s_mov_b64 s[8:9], s[16:17]
                                        ; implicit-def: $sgpr22
                                        ; implicit-def: $sgpr23
                                        ; implicit-def: $sgpr27
                                        ; implicit-def: $sgpr28
	s_delay_alu instid0(VALU_DEP_2) | instskip(NEXT) | instid1(VALU_DEP_2)
	v_lshl_add_u64 v[6:7], v[6:7], 2, s[18:19]
	v_lshl_add_u64 v[8:9], v[8:9], 2, s[18:19]
	s_branch .LBB1483_1209
.LBB1483_1208:                          ;   in Loop: Header=BB1483_1209 Depth=1
	s_or_b32 exec_lo, exec_lo, s29
	s_delay_alu instid0(SALU_CYCLE_1) | instskip(NEXT) | instid1(SALU_CYCLE_1)
	s_and_b32 s29, exec_lo, s23
	s_or_b32 s15, s29, s15
	s_and_not1_b32 s28, s28, exec_lo
	s_and_b32 s7, s7, exec_lo
	s_and_not1_b32 s22, s22, exec_lo
	s_and_b32 s29, s27, exec_lo
	s_or_b32 s28, s28, s7
	s_or_b32 s22, s22, s29
	s_and_not1_b32 exec_lo, exec_lo, s15
	s_cbranch_execz .LBB1483_1211
.LBB1483_1209:                          ; =>This Inner Loop Header: Depth=1
	global_load_b32 v22, v[6:7], off
	global_load_b32 v23, v[8:9], off
	s_and_not1_b32 s27, s27, exec_lo
	s_or_b32 s23, s23, exec_lo
	s_wait_loadcnt 0x0
	v_cmp_le_u32_e32 vcc_lo, v22, v23
	v_cmp_lt_u32_e64 s7, v22, v23
	s_and_b32 s29, vcc_lo, s28
	s_delay_alu instid0(SALU_CYCLE_1) | instskip(NEXT) | instid1(SALU_CYCLE_1)
	s_or_b32 s7, s7, s29
	s_and_b32 s29, s7, exec_lo
	s_delay_alu instid0(SALU_CYCLE_1)
	s_or_b32 s27, s27, s29
	s_mov_b32 s29, exec_lo
	v_cmpx_eq_u32_e64 v22, v23
	s_cbranch_execz .LBB1483_1208
; %bb.1210:                             ;   in Loop: Header=BB1483_1209 Depth=1
	s_add_nc_u64 s[8:9], s[8:9], -1
	v_add_nc_u64_e32 v[6:7], 4, v[6:7]
	s_cmp_eq_u64 s[8:9], 0
	v_add_nc_u64_e32 v[8:9], 4, v[8:9]
	s_cselect_b32 s28, -1, 0
	s_and_not1_b32 s23, s23, exec_lo
	s_and_b32 s28, s28, exec_lo
	s_and_not1_b32 s27, s27, exec_lo
	s_or_b32 s23, s23, s28
                                        ; implicit-def: $sgpr28
	s_branch .LBB1483_1208
.LBB1483_1211:
	s_or_b32 exec_lo, exec_lo, s15
	s_xor_b32 s7, s22, -1
	s_branch .LBB1483_1213
.LBB1483_1212:
	s_mov_b32 s7, -1
.LBB1483_1213:
	s_delay_alu instid0(SALU_CYCLE_1)
	s_and_b32 s7, s7, exec_lo
.LBB1483_1214:
	s_or_b32 exec_lo, exec_lo, s13
	s_delay_alu instid0(SALU_CYCLE_1)
	s_or_not1_b32 s13, s7, exec_lo
.LBB1483_1215:
	s_or_b32 exec_lo, exec_lo, s14
	v_cndmask_b32_e64 v6, v12, v13, s13
	v_cndmask_b32_e64 v7, v48, v47, s13
	s_mov_b32 s15, -1
	s_mov_b32 s14, -1
	s_mov_b32 s22, exec_lo
	v_add_nc_u32_e32 v8, 1, v6
	s_delay_alu instid0(VALU_DEP_1) | instskip(SKIP_1) | instid1(VALU_DEP_2)
	v_add_min_u32_e64 v6, v7, -1, v8
	v_cndmask_b32_e64 v25, v13, v8, s13
	v_lshl_add_u32 v6, v6, 3, v43
	ds_load_b64 v[6:7], v6
	s_wait_dscnt 0x0
	v_dual_cndmask_b32 v24, v8, v12, s13 :: v_dual_cndmask_b32 v13, v7, v11, s13
	v_dual_cndmask_b32 v12, v6, v10, s13 :: v_dual_cndmask_b32 v23, v17, v7, s13
	v_cndmask_b32_e64 v22, v16, v6, s13
	s_delay_alu instid0(VALU_DEP_3)
	v_cmpx_lt_u32_e64 v24, v48
	s_cbranch_execz .LBB1483_1226
; %bb.1216:
	s_mov_b32 s7, 0
	s_mov_b32 s14, exec_lo
	v_cmpx_lt_u32_e64 v25, v47
	s_cbranch_execz .LBB1483_1225
; %bb.1217:
	s_and_not1_b32 vcc_lo, exec_lo, s26
	s_cbranch_vccnz .LBB1483_1223
; %bb.1218:
	v_mul_u64_e32 v[6:7], s[16:17], v[12:13]
	v_mul_u64_e32 v[8:9], s[16:17], v[22:23]
	s_mov_b32 s23, 0
	s_mov_b64 s[8:9], s[16:17]
                                        ; implicit-def: $sgpr27
                                        ; implicit-def: $sgpr28
                                        ; implicit-def: $sgpr29
                                        ; implicit-def: $sgpr30
	s_delay_alu instid0(VALU_DEP_2) | instskip(NEXT) | instid1(VALU_DEP_2)
	v_lshl_add_u64 v[6:7], v[6:7], 2, s[18:19]
	v_lshl_add_u64 v[8:9], v[8:9], 2, s[18:19]
	s_branch .LBB1483_1220
.LBB1483_1219:                          ;   in Loop: Header=BB1483_1220 Depth=1
	s_or_b32 exec_lo, exec_lo, s31
	s_delay_alu instid0(SALU_CYCLE_1) | instskip(NEXT) | instid1(SALU_CYCLE_1)
	s_and_b32 s31, exec_lo, s28
	s_or_b32 s23, s31, s23
	s_and_not1_b32 s30, s30, exec_lo
	s_and_b32 s7, s7, exec_lo
	s_and_not1_b32 s27, s27, exec_lo
	s_and_b32 s31, s29, exec_lo
	s_or_b32 s30, s30, s7
	s_or_b32 s27, s27, s31
	s_and_not1_b32 exec_lo, exec_lo, s23
	s_cbranch_execz .LBB1483_1222
.LBB1483_1220:                          ; =>This Inner Loop Header: Depth=1
	global_load_b32 v26, v[6:7], off
	global_load_b32 v27, v[8:9], off
	s_and_not1_b32 s29, s29, exec_lo
	s_or_b32 s28, s28, exec_lo
	s_wait_loadcnt 0x0
	v_cmp_le_u32_e32 vcc_lo, v26, v27
	v_cmp_lt_u32_e64 s7, v26, v27
	s_and_b32 s31, vcc_lo, s30
	s_delay_alu instid0(SALU_CYCLE_1) | instskip(NEXT) | instid1(SALU_CYCLE_1)
	s_or_b32 s7, s7, s31
	s_and_b32 s31, s7, exec_lo
	s_delay_alu instid0(SALU_CYCLE_1)
	s_or_b32 s29, s29, s31
	s_mov_b32 s31, exec_lo
	v_cmpx_eq_u32_e64 v26, v27
	s_cbranch_execz .LBB1483_1219
; %bb.1221:                             ;   in Loop: Header=BB1483_1220 Depth=1
	s_add_nc_u64 s[8:9], s[8:9], -1
	v_add_nc_u64_e32 v[6:7], 4, v[6:7]
	s_cmp_eq_u64 s[8:9], 0
	v_add_nc_u64_e32 v[8:9], 4, v[8:9]
	s_cselect_b32 s30, -1, 0
	s_and_not1_b32 s28, s28, exec_lo
	s_and_b32 s30, s30, exec_lo
	s_and_not1_b32 s29, s29, exec_lo
	s_or_b32 s28, s28, s30
                                        ; implicit-def: $sgpr30
	s_branch .LBB1483_1219
.LBB1483_1222:
	s_or_b32 exec_lo, exec_lo, s23
	s_xor_b32 s7, s27, -1
	s_branch .LBB1483_1224
.LBB1483_1223:
	s_mov_b32 s7, -1
.LBB1483_1224:
	s_delay_alu instid0(SALU_CYCLE_1)
	s_and_b32 s7, s7, exec_lo
.LBB1483_1225:
	s_or_b32 exec_lo, exec_lo, s14
	s_delay_alu instid0(SALU_CYCLE_1)
	s_or_not1_b32 s14, s7, exec_lo
.LBB1483_1226:
	s_or_b32 exec_lo, exec_lo, s22
	v_cndmask_b32_e64 v6, v24, v25, s14
	v_cndmask_b32_e64 v7, v48, v47, s14
	s_mov_b32 s22, exec_lo
	s_delay_alu instid0(VALU_DEP_2) | instskip(NEXT) | instid1(VALU_DEP_1)
	v_add_nc_u32_e32 v6, 1, v6
	v_add_min_u32_e64 v7, v7, -1, v6
	v_dual_cndmask_b32 v28, v6, v24, s14 :: v_dual_cndmask_b32 v29, v25, v6, s14
	s_delay_alu instid0(VALU_DEP_2)
	v_lshl_add_u32 v7, v7, 3, v43
	ds_load_b64 v[8:9], v7
	s_wait_dscnt 0x0
	v_dual_cndmask_b32 v7, v9, v13, s14 :: v_dual_cndmask_b32 v6, v8, v12, s14
	v_dual_cndmask_b32 v25, v23, v9, s14 :: v_dual_cndmask_b32 v24, v22, v8, s14
	v_cmpx_lt_u32_e64 v28, v48
	s_cbranch_execz .LBB1483_1237
; %bb.1227:
	s_mov_b32 s7, 0
	s_mov_b32 s15, exec_lo
	v_cmpx_lt_u32_e64 v29, v47
	s_cbranch_execz .LBB1483_1236
; %bb.1228:
	s_and_not1_b32 vcc_lo, exec_lo, s26
	s_cbranch_vccnz .LBB1483_1234
; %bb.1229:
	v_mul_u64_e32 v[8:9], s[16:17], v[6:7]
	v_mul_u64_e32 v[26:27], s[16:17], v[24:25]
	s_mov_b32 s23, 0
	s_mov_b64 s[8:9], s[16:17]
                                        ; implicit-def: $sgpr27
                                        ; implicit-def: $sgpr28
                                        ; implicit-def: $sgpr29
                                        ; implicit-def: $sgpr30
	s_delay_alu instid0(VALU_DEP_2) | instskip(NEXT) | instid1(VALU_DEP_2)
	v_lshl_add_u64 v[8:9], v[8:9], 2, s[18:19]
	v_lshl_add_u64 v[26:27], v[26:27], 2, s[18:19]
	s_branch .LBB1483_1231
.LBB1483_1230:                          ;   in Loop: Header=BB1483_1231 Depth=1
	s_or_b32 exec_lo, exec_lo, s31
	s_delay_alu instid0(SALU_CYCLE_1) | instskip(NEXT) | instid1(SALU_CYCLE_1)
	s_and_b32 s31, exec_lo, s28
	s_or_b32 s23, s31, s23
	s_and_not1_b32 s30, s30, exec_lo
	s_and_b32 s7, s7, exec_lo
	s_and_not1_b32 s27, s27, exec_lo
	s_and_b32 s31, s29, exec_lo
	s_or_b32 s30, s30, s7
	s_or_b32 s27, s27, s31
	s_and_not1_b32 exec_lo, exec_lo, s23
	s_cbranch_execz .LBB1483_1233
.LBB1483_1231:                          ; =>This Inner Loop Header: Depth=1
	global_load_b32 v30, v[8:9], off
	global_load_b32 v31, v[26:27], off
	s_and_not1_b32 s29, s29, exec_lo
	s_or_b32 s28, s28, exec_lo
	s_wait_loadcnt 0x0
	v_cmp_le_u32_e32 vcc_lo, v30, v31
	v_cmp_lt_u32_e64 s7, v30, v31
	s_and_b32 s31, vcc_lo, s30
	s_delay_alu instid0(SALU_CYCLE_1) | instskip(NEXT) | instid1(SALU_CYCLE_1)
	s_or_b32 s7, s7, s31
	s_and_b32 s31, s7, exec_lo
	s_delay_alu instid0(SALU_CYCLE_1)
	s_or_b32 s29, s29, s31
	s_mov_b32 s31, exec_lo
	v_cmpx_eq_u32_e64 v30, v31
	s_cbranch_execz .LBB1483_1230
; %bb.1232:                             ;   in Loop: Header=BB1483_1231 Depth=1
	s_add_nc_u64 s[8:9], s[8:9], -1
	v_add_nc_u64_e32 v[8:9], 4, v[8:9]
	s_cmp_eq_u64 s[8:9], 0
	v_add_nc_u64_e32 v[26:27], 4, v[26:27]
	s_cselect_b32 s30, -1, 0
	s_and_not1_b32 s28, s28, exec_lo
	s_and_b32 s30, s30, exec_lo
	s_and_not1_b32 s29, s29, exec_lo
	s_or_b32 s28, s28, s30
                                        ; implicit-def: $sgpr30
	s_branch .LBB1483_1230
.LBB1483_1233:
	s_or_b32 exec_lo, exec_lo, s23
	s_xor_b32 s7, s27, -1
	s_branch .LBB1483_1235
.LBB1483_1234:
	s_mov_b32 s7, -1
.LBB1483_1235:
	s_delay_alu instid0(SALU_CYCLE_1)
	s_and_b32 s7, s7, exec_lo
.LBB1483_1236:
	s_or_b32 exec_lo, exec_lo, s15
	s_delay_alu instid0(SALU_CYCLE_1)
	s_or_not1_b32 s15, s7, exec_lo
.LBB1483_1237:
	s_or_b32 exec_lo, exec_lo, s22
	v_cndmask_b32_e64 v8, v28, v29, s15
	v_cndmask_b32_e64 v9, v48, v47, s15
	s_mov_b32 s22, -1
	s_mov_b32 s23, -1
	s_mov_b32 s27, exec_lo
	v_add_nc_u32_e32 v8, 1, v8
	s_delay_alu instid0(VALU_DEP_1) | instskip(NEXT) | instid1(VALU_DEP_1)
	v_add_min_u32_e64 v9, v9, -1, v8
	v_lshl_add_u32 v9, v9, 3, v43
	ds_load_b64 v[26:27], v9
	v_cndmask_b32_e64 v32, v8, v28, s15
	s_wait_dscnt 0x0
	v_dual_cndmask_b32 v33, v29, v8, s15 :: v_dual_cndmask_b32 v9, v27, v7, s15
	v_dual_cndmask_b32 v8, v26, v6, s15 :: v_dual_cndmask_b32 v27, v25, v27, s15
	v_cndmask_b32_e64 v26, v24, v26, s15
	v_cmpx_lt_u32_e64 v32, v48
	s_cbranch_execz .LBB1483_1248
; %bb.1238:
	s_mov_b32 s7, 0
	s_mov_b32 s23, exec_lo
	v_cmpx_lt_u32_e64 v33, v47
	s_cbranch_execz .LBB1483_1247
; %bb.1239:
	s_and_not1_b32 vcc_lo, exec_lo, s26
	s_cbranch_vccnz .LBB1483_1245
; %bb.1240:
	v_mul_u64_e32 v[28:29], s[16:17], v[8:9]
	v_mul_u64_e32 v[30:31], s[16:17], v[26:27]
	s_mov_b32 s28, 0
	s_mov_b64 s[8:9], s[16:17]
                                        ; implicit-def: $sgpr29
                                        ; implicit-def: $sgpr30
                                        ; implicit-def: $sgpr31
                                        ; implicit-def: $sgpr33
	s_delay_alu instid0(VALU_DEP_2) | instskip(NEXT) | instid1(VALU_DEP_2)
	v_lshl_add_u64 v[28:29], v[28:29], 2, s[18:19]
	v_lshl_add_u64 v[30:31], v[30:31], 2, s[18:19]
	s_branch .LBB1483_1242
.LBB1483_1241:                          ;   in Loop: Header=BB1483_1242 Depth=1
	s_or_b32 exec_lo, exec_lo, s34
	s_delay_alu instid0(SALU_CYCLE_1) | instskip(NEXT) | instid1(SALU_CYCLE_1)
	s_and_b32 s34, exec_lo, s30
	s_or_b32 s28, s34, s28
	s_and_not1_b32 s33, s33, exec_lo
	s_and_b32 s7, s7, exec_lo
	s_and_not1_b32 s29, s29, exec_lo
	s_and_b32 s34, s31, exec_lo
	s_or_b32 s33, s33, s7
	s_or_b32 s29, s29, s34
	s_and_not1_b32 exec_lo, exec_lo, s28
	s_cbranch_execz .LBB1483_1244
.LBB1483_1242:                          ; =>This Inner Loop Header: Depth=1
	global_load_b32 v34, v[28:29], off
	global_load_b32 v35, v[30:31], off
	s_and_not1_b32 s31, s31, exec_lo
	s_or_b32 s30, s30, exec_lo
	s_wait_loadcnt 0x0
	v_cmp_le_u32_e32 vcc_lo, v34, v35
	v_cmp_lt_u32_e64 s7, v34, v35
	s_and_b32 s34, vcc_lo, s33
	s_delay_alu instid0(SALU_CYCLE_1) | instskip(NEXT) | instid1(SALU_CYCLE_1)
	s_or_b32 s7, s7, s34
	s_and_b32 s34, s7, exec_lo
	s_delay_alu instid0(SALU_CYCLE_1)
	s_or_b32 s31, s31, s34
	s_mov_b32 s34, exec_lo
	v_cmpx_eq_u32_e64 v34, v35
	s_cbranch_execz .LBB1483_1241
; %bb.1243:                             ;   in Loop: Header=BB1483_1242 Depth=1
	s_add_nc_u64 s[8:9], s[8:9], -1
	v_add_nc_u64_e32 v[28:29], 4, v[28:29]
	s_cmp_eq_u64 s[8:9], 0
	v_add_nc_u64_e32 v[30:31], 4, v[30:31]
	s_cselect_b32 s33, -1, 0
	s_and_not1_b32 s30, s30, exec_lo
	s_and_b32 s33, s33, exec_lo
	s_and_not1_b32 s31, s31, exec_lo
	s_or_b32 s30, s30, s33
                                        ; implicit-def: $sgpr33
	s_branch .LBB1483_1241
.LBB1483_1244:
	s_or_b32 exec_lo, exec_lo, s28
	s_xor_b32 s7, s29, -1
	s_branch .LBB1483_1246
.LBB1483_1245:
	s_mov_b32 s7, -1
.LBB1483_1246:
	s_delay_alu instid0(SALU_CYCLE_1)
	s_and_b32 s7, s7, exec_lo
.LBB1483_1247:
	s_or_b32 exec_lo, exec_lo, s23
	s_delay_alu instid0(SALU_CYCLE_1)
	s_or_not1_b32 s23, s7, exec_lo
.LBB1483_1248:
	s_or_b32 exec_lo, exec_lo, s27
	v_cndmask_b32_e64 v28, v32, v33, s23
	v_cndmask_b32_e64 v29, v48, v47, s23
	s_mov_b32 s27, exec_lo
	s_delay_alu instid0(VALU_DEP_2) | instskip(NEXT) | instid1(VALU_DEP_1)
	v_add_nc_u32_e32 v28, 1, v28
	v_add_min_u32_e64 v29, v29, -1, v28
	s_delay_alu instid0(VALU_DEP_1)
	v_lshl_add_u32 v29, v29, 3, v43
	ds_load_b64 v[30:31], v29
	v_cndmask_b32_e64 v50, v28, v32, s23
	s_wait_dscnt 0x0
	v_dual_cndmask_b32 v49, v33, v28, s23 :: v_dual_cndmask_b32 v29, v31, v9, s23
	v_dual_cndmask_b32 v28, v30, v8, s23 :: v_dual_cndmask_b32 v31, v27, v31, s23
	v_cndmask_b32_e64 v30, v26, v30, s23
	v_cmpx_lt_u32_e64 v50, v48
	s_cbranch_execz .LBB1483_1259
; %bb.1249:
	s_mov_b32 s7, 0
	s_mov_b32 s22, exec_lo
	v_cmpx_lt_u32_e64 v49, v47
	s_cbranch_execz .LBB1483_1258
; %bb.1250:
	s_and_not1_b32 vcc_lo, exec_lo, s26
	s_cbranch_vccnz .LBB1483_1256
; %bb.1251:
	v_mul_u64_e32 v[32:33], s[16:17], v[28:29]
	v_mul_u64_e32 v[34:35], s[16:17], v[30:31]
	s_mov_b32 s28, 0
	s_mov_b64 s[8:9], s[16:17]
                                        ; implicit-def: $sgpr29
                                        ; implicit-def: $sgpr30
                                        ; implicit-def: $sgpr31
                                        ; implicit-def: $sgpr33
	s_delay_alu instid0(VALU_DEP_2) | instskip(NEXT) | instid1(VALU_DEP_2)
	v_lshl_add_u64 v[32:33], v[32:33], 2, s[18:19]
	v_lshl_add_u64 v[34:35], v[34:35], 2, s[18:19]
	s_branch .LBB1483_1253
.LBB1483_1252:                          ;   in Loop: Header=BB1483_1253 Depth=1
	s_or_b32 exec_lo, exec_lo, s34
	s_delay_alu instid0(SALU_CYCLE_1) | instskip(NEXT) | instid1(SALU_CYCLE_1)
	s_and_b32 s34, exec_lo, s30
	s_or_b32 s28, s34, s28
	s_and_not1_b32 s33, s33, exec_lo
	s_and_b32 s7, s7, exec_lo
	s_and_not1_b32 s29, s29, exec_lo
	s_and_b32 s34, s31, exec_lo
	s_or_b32 s33, s33, s7
	s_or_b32 s29, s29, s34
	s_and_not1_b32 exec_lo, exec_lo, s28
	s_cbranch_execz .LBB1483_1255
.LBB1483_1253:                          ; =>This Inner Loop Header: Depth=1
	global_load_b32 v51, v[32:33], off
	global_load_b32 v52, v[34:35], off
	s_and_not1_b32 s31, s31, exec_lo
	s_or_b32 s30, s30, exec_lo
	s_wait_loadcnt 0x0
	v_cmp_le_u32_e32 vcc_lo, v51, v52
	v_cmp_lt_u32_e64 s7, v51, v52
	s_and_b32 s34, vcc_lo, s33
	s_delay_alu instid0(SALU_CYCLE_1) | instskip(NEXT) | instid1(SALU_CYCLE_1)
	s_or_b32 s7, s7, s34
	s_and_b32 s34, s7, exec_lo
	s_delay_alu instid0(SALU_CYCLE_1)
	s_or_b32 s31, s31, s34
	s_mov_b32 s34, exec_lo
	v_cmpx_eq_u32_e64 v51, v52
	s_cbranch_execz .LBB1483_1252
; %bb.1254:                             ;   in Loop: Header=BB1483_1253 Depth=1
	s_add_nc_u64 s[8:9], s[8:9], -1
	v_add_nc_u64_e32 v[32:33], 4, v[32:33]
	s_cmp_eq_u64 s[8:9], 0
	v_add_nc_u64_e32 v[34:35], 4, v[34:35]
	s_cselect_b32 s33, -1, 0
	s_and_not1_b32 s30, s30, exec_lo
	s_and_b32 s33, s33, exec_lo
	s_and_not1_b32 s31, s31, exec_lo
	s_or_b32 s30, s30, s33
                                        ; implicit-def: $sgpr33
	s_branch .LBB1483_1252
.LBB1483_1255:
	s_or_b32 exec_lo, exec_lo, s28
	s_xor_b32 s7, s29, -1
	s_branch .LBB1483_1257
.LBB1483_1256:
	s_mov_b32 s7, -1
.LBB1483_1257:
	s_delay_alu instid0(SALU_CYCLE_1)
	s_and_b32 s7, s7, exec_lo
.LBB1483_1258:
	s_or_b32 exec_lo, exec_lo, s22
	s_delay_alu instid0(SALU_CYCLE_1)
	s_or_not1_b32 s22, s7, exec_lo
.LBB1483_1259:
	s_or_b32 exec_lo, exec_lo, s27
	v_dual_cndmask_b32 v32, v50, v49, s22 :: v_dual_cndmask_b32 v33, v48, v47, s22
	v_dual_cndmask_b32 v8, v8, v26, s23 :: v_dual_cndmask_b32 v7, v7, v25, s15
	;; [unrolled: 1-line block ×3, first 2 shown]
	s_delay_alu instid0(VALU_DEP_3) | instskip(SKIP_2) | instid1(VALU_DEP_3)
	v_dual_add_nc_u32 v34, 1, v32 :: v_dual_cndmask_b32 v9, v9, v27, s23
	v_dual_cndmask_b32 v12, v12, v22, s14 :: v_dual_cndmask_b32 v11, v11, v17, s13
	v_dual_cndmask_b32 v10, v10, v16, s13 :: v_dual_cndmask_b32 v17, v5, v15, s12
	v_add_min_u32_e64 v32, v33, -1, v34
	v_dual_cndmask_b32 v16, v4, v14, s12 :: v_dual_cndmask_b32 v15, v3, v1, s11
	v_dual_cndmask_b32 v14, v2, v0, s11 :: v_dual_cndmask_b32 v3, v29, v31, s22
	s_delay_alu instid0(VALU_DEP_3)
	v_lshl_add_u32 v32, v32, 3, v43
	s_mov_b32 s11, exec_lo
	ds_load_b64 v[32:33], v32
	v_cndmask_b32_e64 v0, v34, v50, s22
	s_wait_dscnt 0x0
	v_dual_cndmask_b32 v2, v28, v30, s22 :: v_dual_cndmask_b32 v4, v30, v32, s22
	v_cndmask_b32_e64 v5, v31, v33, s22
	s_delay_alu instid0(VALU_DEP_3)
	v_cmpx_lt_u32_e64 v0, v48
	s_cbranch_execz .LBB1483_1269
; %bb.1260:
	v_dual_cndmask_b32 v22, v49, v34, s22 :: v_dual_cndmask_b32 v0, v32, v28, s22
	v_cndmask_b32_e64 v1, v33, v29, s22
	s_mov_b32 s12, exec_lo
	s_delay_alu instid0(VALU_DEP_2)
	v_cmpx_lt_u32_e64 v22, v47
	s_cbranch_execz .LBB1483_1268
; %bb.1261:
	s_and_not1_b32 vcc_lo, exec_lo, s26
	s_cbranch_vccnz .LBB1483_1267
; %bb.1262:
	v_mul_u64_e32 v[22:23], s[16:17], v[0:1]
	v_mul_u64_e32 v[24:25], s[16:17], v[4:5]
	s_mov_b32 s13, 0
	s_mov_b64 s[8:9], s[16:17]
                                        ; implicit-def: $sgpr14
                                        ; implicit-def: $sgpr15
                                        ; implicit-def: $sgpr22
                                        ; implicit-def: $sgpr23
	s_delay_alu instid0(VALU_DEP_2) | instskip(NEXT) | instid1(VALU_DEP_2)
	v_lshl_add_u64 v[22:23], v[22:23], 2, s[18:19]
	v_lshl_add_u64 v[24:25], v[24:25], 2, s[18:19]
	s_branch .LBB1483_1264
.LBB1483_1263:                          ;   in Loop: Header=BB1483_1264 Depth=1
	s_or_b32 exec_lo, exec_lo, s27
	s_delay_alu instid0(SALU_CYCLE_1) | instskip(NEXT) | instid1(SALU_CYCLE_1)
	s_and_b32 s27, exec_lo, s15
	s_or_b32 s13, s27, s13
	s_and_not1_b32 s23, s23, exec_lo
	s_and_b32 s7, s7, exec_lo
	s_and_not1_b32 s14, s14, exec_lo
	s_and_b32 s27, s22, exec_lo
	s_or_b32 s23, s23, s7
	s_or_b32 s14, s14, s27
	s_and_not1_b32 exec_lo, exec_lo, s13
	s_cbranch_execz .LBB1483_1266
.LBB1483_1264:                          ; =>This Inner Loop Header: Depth=1
	global_load_b32 v26, v[22:23], off
	global_load_b32 v27, v[24:25], off
	s_and_not1_b32 s22, s22, exec_lo
	s_or_b32 s15, s15, exec_lo
	s_wait_loadcnt 0x0
	v_cmp_le_u32_e32 vcc_lo, v26, v27
	v_cmp_lt_u32_e64 s7, v26, v27
	s_and_b32 s27, vcc_lo, s23
	s_delay_alu instid0(SALU_CYCLE_1) | instskip(NEXT) | instid1(SALU_CYCLE_1)
	s_or_b32 s7, s7, s27
	s_and_b32 s27, s7, exec_lo
	s_delay_alu instid0(SALU_CYCLE_1)
	s_or_b32 s22, s22, s27
	s_mov_b32 s27, exec_lo
	v_cmpx_eq_u32_e64 v26, v27
	s_cbranch_execz .LBB1483_1263
; %bb.1265:                             ;   in Loop: Header=BB1483_1264 Depth=1
	s_add_nc_u64 s[8:9], s[8:9], -1
	v_add_nc_u64_e32 v[22:23], 4, v[22:23]
	s_cmp_eq_u64 s[8:9], 0
	v_add_nc_u64_e32 v[24:25], 4, v[24:25]
	s_cselect_b32 s23, -1, 0
	s_and_not1_b32 s15, s15, exec_lo
	s_and_b32 s23, s23, exec_lo
	s_and_not1_b32 s22, s22, exec_lo
	s_or_b32 s15, s15, s23
                                        ; implicit-def: $sgpr23
	s_branch .LBB1483_1263
.LBB1483_1266:
	s_or_b32 exec_lo, exec_lo, s13
	v_dual_cndmask_b32 v5, v5, v1, s14 :: v_dual_cndmask_b32 v4, v4, v0, s14
.LBB1483_1267:
	s_delay_alu instid0(VALU_DEP_1)
	v_mov_b64_e32 v[0:1], v[4:5]
.LBB1483_1268:
	s_or_b32 exec_lo, exec_lo, s12
	s_delay_alu instid0(VALU_DEP_1)
	v_mov_b64_e32 v[4:5], v[0:1]
.LBB1483_1269:
	s_or_b32 exec_lo, exec_lo, s11
.LBB1483_1270:
	s_delay_alu instid0(SALU_CYCLE_1)
	s_or_b32 exec_lo, exec_lo, s10
	v_and_b32_e32 v26, 0x80, v45
	s_mov_b32 s12, exec_lo
	; wave barrier
	ds_store_b128 v46, v[14:17]
	ds_store_b128 v46, v[10:13] offset:16
	v_or_b32_e32 v0, 64, v26
	v_lshl_add_u32 v25, v26, 3, v43
	ds_store_b128 v46, v[6:9] offset:32
	ds_store_b128 v46, v[2:5] offset:48
	; wave barrier
	v_min_u32_e32 v47, v44, v0
	v_and_b32_e32 v0, 0x78, v45
	s_delay_alu instid0(VALU_DEP_2) | instskip(NEXT) | instid1(VALU_DEP_2)
	v_add_min_u32_e64 v45, v47, 64, v44
	v_min_u32_e32 v27, v44, v0
	s_delay_alu instid0(VALU_DEP_2) | instskip(NEXT) | instid1(VALU_DEP_1)
	v_dual_sub_nc_u32 v1, v47, v26 :: v_dual_sub_nc_u32 v0, v45, v47
	v_min_u32_e32 v28, v27, v1
	s_delay_alu instid0(VALU_DEP_2) | instskip(NEXT) | instid1(VALU_DEP_1)
	v_sub_nc_u32_e64 v24, v27, v0 clamp
	v_cmpx_lt_u32_e64 v24, v28
	s_cbranch_execz .LBB1483_1280
; %bb.1271:
	v_lshlrev_b32_e32 v0, 3, v47
	v_lshlrev_b32_e32 v1, 3, v27
	s_lshl_b64 s[8:9], s[16:17], 2
	s_mov_b32 s13, 0
	s_delay_alu instid0(VALU_DEP_1)
	v_add3_u32 v29, v43, v0, v1
	s_branch .LBB1483_1274
.LBB1483_1272:                          ;   in Loop: Header=BB1483_1274 Depth=1
	s_or_b32 exec_lo, exec_lo, s15
.LBB1483_1273:                          ;   in Loop: Header=BB1483_1274 Depth=1
	s_delay_alu instid0(VALU_DEP_1) | instskip(NEXT) | instid1(VALU_DEP_1)
	v_dual_add_nc_u32 v0, 1, v30 :: v_dual_cndmask_b32 v28, v28, v30, s14
	v_cndmask_b32_e64 v24, v0, v24, s14
	s_delay_alu instid0(VALU_DEP_1) | instskip(SKIP_1) | instid1(SALU_CYCLE_1)
	v_cmp_ge_u32_e32 vcc_lo, v24, v28
	s_or_b32 s13, vcc_lo, s13
	s_and_not1_b32 exec_lo, exec_lo, s13
	s_cbranch_execz .LBB1483_1279
.LBB1483_1274:                          ; =>This Loop Header: Depth=1
                                        ;     Child Loop BB1483_1277 Depth 2
	v_add_nc_u32_e32 v0, v28, v24
	s_and_not1_b32 vcc_lo, exec_lo, s26
	s_mov_b32 s14, 0
	s_delay_alu instid0(VALU_DEP_1)
	v_lshrrev_b32_e32 v30, 1, v0
	s_cbranch_vccnz .LBB1483_1273
; %bb.1275:                             ;   in Loop: Header=BB1483_1274 Depth=1
	s_delay_alu instid0(VALU_DEP_1) | instskip(SKIP_3) | instid1(VALU_DEP_2)
	v_not_b32_e32 v0, v30
	v_lshl_add_u32 v1, v30, 3, v25
	s_mov_b32 s15, 0
	s_mov_b64 s[10:11], s[16:17]
                                        ; implicit-def: $sgpr14
                                        ; implicit-def: $sgpr22
                                        ; implicit-def: $sgpr23
                                        ; implicit-def: $sgpr27
	v_lshl_add_u32 v0, v0, 3, v29
	ds_load_b64 v[32:33], v0
	ds_load_b64 v[34:35], v1
	s_wait_dscnt 0x1
	v_mad_nc_u64_u32 v[0:1], s8, v32, s[18:19]
	s_wait_dscnt 0x0
	v_mad_nc_u64_u32 v[22:23], s8, v34, s[18:19]
	s_delay_alu instid0(VALU_DEP_2) | instskip(NEXT) | instid1(VALU_DEP_2)
	v_mad_u32 v1, s9, v32, v1
	v_mad_u32 v23, s9, v34, v23
	s_delay_alu instid0(VALU_DEP_2) | instskip(NEXT) | instid1(VALU_DEP_2)
	v_mad_u32 v1, s8, v33, v1
	v_mad_u32 v23, s8, v35, v23
	s_branch .LBB1483_1277
.LBB1483_1276:                          ;   in Loop: Header=BB1483_1277 Depth=2
	s_or_b32 exec_lo, exec_lo, s28
	s_delay_alu instid0(SALU_CYCLE_1) | instskip(NEXT) | instid1(SALU_CYCLE_1)
	s_and_b32 s28, exec_lo, s22
	s_or_b32 s15, s28, s15
	s_and_not1_b32 s27, s27, exec_lo
	s_and_b32 s7, s7, exec_lo
	s_and_not1_b32 s14, s14, exec_lo
	s_and_b32 s28, s23, exec_lo
	s_or_b32 s27, s27, s7
	s_or_b32 s14, s14, s28
	s_and_not1_b32 exec_lo, exec_lo, s15
	s_cbranch_execz .LBB1483_1272
.LBB1483_1277:                          ;   Parent Loop BB1483_1274 Depth=1
                                        ; =>  This Inner Loop Header: Depth=2
	global_load_b32 v31, v[0:1], off
	global_load_b32 v32, v[22:23], off
	s_and_not1_b32 s23, s23, exec_lo
	s_or_b32 s22, s22, exec_lo
	s_wait_loadcnt 0x0
	v_cmp_le_u32_e32 vcc_lo, v31, v32
	v_cmp_lt_u32_e64 s7, v31, v32
	s_and_b32 s28, vcc_lo, s27
	s_delay_alu instid0(SALU_CYCLE_1) | instskip(NEXT) | instid1(SALU_CYCLE_1)
	s_or_b32 s7, s7, s28
	s_and_b32 s28, s7, exec_lo
	s_delay_alu instid0(SALU_CYCLE_1)
	s_or_b32 s23, s23, s28
	s_mov_b32 s28, exec_lo
	v_cmpx_eq_u32_e64 v31, v32
	s_cbranch_execz .LBB1483_1276
; %bb.1278:                             ;   in Loop: Header=BB1483_1277 Depth=2
	s_add_nc_u64 s[10:11], s[10:11], -1
	v_add_nc_u64_e32 v[0:1], 4, v[0:1]
	s_cmp_eq_u64 s[10:11], 0
	v_add_nc_u64_e32 v[22:23], 4, v[22:23]
	s_cselect_b32 s27, -1, 0
	s_and_not1_b32 s22, s22, exec_lo
	s_and_b32 s27, s27, exec_lo
	s_and_not1_b32 s23, s23, exec_lo
	s_or_b32 s22, s22, s27
                                        ; implicit-def: $sgpr27
	s_branch .LBB1483_1276
.LBB1483_1279:
	s_or_b32 exec_lo, exec_lo, s13
.LBB1483_1280:
	s_delay_alu instid0(SALU_CYCLE_1) | instskip(SKIP_1) | instid1(VALU_DEP_1)
	s_or_b32 exec_lo, exec_lo, s12
	v_dual_add_nc_u32 v0, v47, v27 :: v_dual_add_nc_u32 v22, v24, v26
	v_sub_nc_u32_e32 v23, v0, v24
	s_delay_alu instid0(VALU_DEP_2) | instskip(NEXT) | instid1(VALU_DEP_2)
	v_cmp_le_u32_e32 vcc_lo, v22, v47
	v_cmp_le_u32_e64 s7, v23, v45
	s_or_b32 s7, vcc_lo, s7
	s_delay_alu instid0(SALU_CYCLE_1)
	s_and_saveexec_b32 s10, s7
	s_cbranch_execz .LBB1483_1371
; %bb.1281:
	s_mov_b32 s8, exec_lo
	v_cmp_ge_u32_e32 vcc_lo, v22, v47
                                        ; implicit-def: $vgpr0_vgpr1
	v_cmpx_lt_u32_e64 v22, v47
; %bb.1282:
	v_lshl_add_u32 v0, v24, 3, v25
	ds_load_b64 v[0:1], v0
; %bb.1283:
	s_or_b32 exec_lo, exec_lo, s8
	v_cmp_ge_u32_e64 s11, v23, v45
	s_mov_b32 s8, exec_lo
                                        ; implicit-def: $vgpr2_vgpr3
	v_cmpx_lt_u32_e64 v23, v45
; %bb.1284:
	v_lshl_add_u32 v2, v23, 3, v43
	ds_load_b64 v[2:3], v2
; %bb.1285:
	s_or_b32 exec_lo, exec_lo, s8
	s_nor_b32 s7, vcc_lo, s11
	s_delay_alu instid0(SALU_CYCLE_1)
	s_and_saveexec_b32 s12, s7
	s_cbranch_execz .LBB1483_1294
; %bb.1286:
	s_and_not1_b32 vcc_lo, exec_lo, s26
	s_cbranch_vccnz .LBB1483_1292
; %bb.1287:
	s_wait_dscnt 0x0
	v_mul_u64_e32 v[4:5], s[16:17], v[2:3]
	v_mul_u64_e32 v[6:7], s[16:17], v[0:1]
	s_mov_b32 s13, 0
	s_mov_b64 s[8:9], s[16:17]
                                        ; implicit-def: $sgpr14
                                        ; implicit-def: $sgpr15
                                        ; implicit-def: $sgpr22
                                        ; implicit-def: $sgpr23
	s_delay_alu instid0(VALU_DEP_2) | instskip(NEXT) | instid1(VALU_DEP_2)
	v_lshl_add_u64 v[4:5], v[4:5], 2, s[18:19]
	v_lshl_add_u64 v[6:7], v[6:7], 2, s[18:19]
	s_branch .LBB1483_1289
.LBB1483_1288:                          ;   in Loop: Header=BB1483_1289 Depth=1
	s_or_b32 exec_lo, exec_lo, s27
	s_delay_alu instid0(SALU_CYCLE_1) | instskip(NEXT) | instid1(SALU_CYCLE_1)
	s_and_b32 s27, exec_lo, s15
	s_or_b32 s13, s27, s13
	s_and_not1_b32 s23, s23, exec_lo
	s_and_b32 s7, s7, exec_lo
	s_and_not1_b32 s14, s14, exec_lo
	s_and_b32 s27, s22, exec_lo
	s_or_b32 s23, s23, s7
	s_or_b32 s14, s14, s27
	s_and_not1_b32 exec_lo, exec_lo, s13
	s_cbranch_execz .LBB1483_1291
.LBB1483_1289:                          ; =>This Inner Loop Header: Depth=1
	global_load_b32 v8, v[4:5], off
	global_load_b32 v9, v[6:7], off
	s_and_not1_b32 s22, s22, exec_lo
	s_or_b32 s15, s15, exec_lo
	s_wait_loadcnt 0x0
	v_cmp_le_u32_e32 vcc_lo, v8, v9
	v_cmp_lt_u32_e64 s7, v8, v9
	s_and_b32 s27, vcc_lo, s23
	s_delay_alu instid0(SALU_CYCLE_1) | instskip(NEXT) | instid1(SALU_CYCLE_1)
	s_or_b32 s7, s7, s27
	s_and_b32 s27, s7, exec_lo
	s_delay_alu instid0(SALU_CYCLE_1)
	s_or_b32 s22, s22, s27
	s_mov_b32 s27, exec_lo
	v_cmpx_eq_u32_e64 v8, v9
	s_cbranch_execz .LBB1483_1288
; %bb.1290:                             ;   in Loop: Header=BB1483_1289 Depth=1
	s_add_nc_u64 s[8:9], s[8:9], -1
	v_add_nc_u64_e32 v[4:5], 4, v[4:5]
	s_cmp_eq_u64 s[8:9], 0
	v_add_nc_u64_e32 v[6:7], 4, v[6:7]
	s_cselect_b32 s23, -1, 0
	s_and_not1_b32 s15, s15, exec_lo
	s_and_b32 s23, s23, exec_lo
	s_and_not1_b32 s22, s22, exec_lo
	s_or_b32 s15, s15, s23
                                        ; implicit-def: $sgpr23
	s_branch .LBB1483_1288
.LBB1483_1291:
	s_or_b32 exec_lo, exec_lo, s13
	s_xor_b32 s7, s14, -1
	s_branch .LBB1483_1293
.LBB1483_1292:
	s_mov_b32 s7, -1
.LBB1483_1293:
	s_and_not1_b32 s8, s11, exec_lo
	s_and_b32 s7, s7, exec_lo
	s_delay_alu instid0(SALU_CYCLE_1)
	s_or_b32 s11, s8, s7
.LBB1483_1294:
	s_or_b32 exec_lo, exec_lo, s12
	v_dual_cndmask_b32 v4, v23, v22, s11 :: v_dual_cndmask_b32 v5, v45, v47, s11
	s_mov_b32 s13, -1
	s_mov_b32 s12, -1
	s_mov_b32 s14, exec_lo
	s_delay_alu instid0(VALU_DEP_1) | instskip(NEXT) | instid1(VALU_DEP_1)
	v_add_nc_u32_e32 v4, 1, v4
	v_add_min_u32_e64 v5, v5, -1, v4
	s_delay_alu instid0(VALU_DEP_1)
	v_lshl_add_u32 v5, v5, 3, v43
	ds_load_b64 v[6:7], v5
	s_wait_dscnt 0x0
	v_cndmask_b32_e64 v5, v7, v3, s11
	v_dual_cndmask_b32 v10, v4, v23, s11 :: v_dual_cndmask_b32 v11, v22, v4, s11
	v_dual_cndmask_b32 v4, v6, v2, s11 :: v_dual_cndmask_b32 v15, v1, v7, s11
	v_cndmask_b32_e64 v14, v0, v6, s11
	s_delay_alu instid0(VALU_DEP_3)
	v_cmpx_lt_u32_e64 v10, v45
	s_cbranch_execz .LBB1483_1305
; %bb.1295:
	s_mov_b32 s7, 0
	s_mov_b32 s12, exec_lo
	v_cmpx_lt_u32_e64 v11, v47
	s_cbranch_execz .LBB1483_1304
; %bb.1296:
	s_and_not1_b32 vcc_lo, exec_lo, s26
	s_cbranch_vccnz .LBB1483_1302
; %bb.1297:
	v_mul_u64_e32 v[6:7], s[16:17], v[4:5]
	v_mul_u64_e32 v[8:9], s[16:17], v[14:15]
	s_mov_b32 s15, 0
	s_mov_b64 s[8:9], s[16:17]
                                        ; implicit-def: $sgpr22
                                        ; implicit-def: $sgpr23
                                        ; implicit-def: $sgpr27
                                        ; implicit-def: $sgpr28
	s_delay_alu instid0(VALU_DEP_2) | instskip(NEXT) | instid1(VALU_DEP_2)
	v_lshl_add_u64 v[6:7], v[6:7], 2, s[18:19]
	v_lshl_add_u64 v[8:9], v[8:9], 2, s[18:19]
	s_branch .LBB1483_1299
.LBB1483_1298:                          ;   in Loop: Header=BB1483_1299 Depth=1
	s_or_b32 exec_lo, exec_lo, s29
	s_delay_alu instid0(SALU_CYCLE_1) | instskip(NEXT) | instid1(SALU_CYCLE_1)
	s_and_b32 s29, exec_lo, s23
	s_or_b32 s15, s29, s15
	s_and_not1_b32 s28, s28, exec_lo
	s_and_b32 s7, s7, exec_lo
	s_and_not1_b32 s22, s22, exec_lo
	s_and_b32 s29, s27, exec_lo
	s_or_b32 s28, s28, s7
	s_or_b32 s22, s22, s29
	s_and_not1_b32 exec_lo, exec_lo, s15
	s_cbranch_execz .LBB1483_1301
.LBB1483_1299:                          ; =>This Inner Loop Header: Depth=1
	global_load_b32 v12, v[6:7], off
	global_load_b32 v13, v[8:9], off
	s_and_not1_b32 s27, s27, exec_lo
	s_or_b32 s23, s23, exec_lo
	s_wait_loadcnt 0x0
	v_cmp_le_u32_e32 vcc_lo, v12, v13
	v_cmp_lt_u32_e64 s7, v12, v13
	s_and_b32 s29, vcc_lo, s28
	s_delay_alu instid0(SALU_CYCLE_1) | instskip(NEXT) | instid1(SALU_CYCLE_1)
	s_or_b32 s7, s7, s29
	s_and_b32 s29, s7, exec_lo
	s_delay_alu instid0(SALU_CYCLE_1)
	s_or_b32 s27, s27, s29
	s_mov_b32 s29, exec_lo
	v_cmpx_eq_u32_e64 v12, v13
	s_cbranch_execz .LBB1483_1298
; %bb.1300:                             ;   in Loop: Header=BB1483_1299 Depth=1
	s_add_nc_u64 s[8:9], s[8:9], -1
	v_add_nc_u64_e32 v[6:7], 4, v[6:7]
	s_cmp_eq_u64 s[8:9], 0
	v_add_nc_u64_e32 v[8:9], 4, v[8:9]
	s_cselect_b32 s28, -1, 0
	s_and_not1_b32 s23, s23, exec_lo
	s_and_b32 s28, s28, exec_lo
	s_and_not1_b32 s27, s27, exec_lo
	s_or_b32 s23, s23, s28
                                        ; implicit-def: $sgpr28
	s_branch .LBB1483_1298
.LBB1483_1301:
	s_or_b32 exec_lo, exec_lo, s15
	s_xor_b32 s7, s22, -1
	s_branch .LBB1483_1303
.LBB1483_1302:
	s_mov_b32 s7, -1
.LBB1483_1303:
	s_delay_alu instid0(SALU_CYCLE_1)
	s_and_b32 s7, s7, exec_lo
.LBB1483_1304:
	s_or_b32 exec_lo, exec_lo, s12
	s_delay_alu instid0(SALU_CYCLE_1)
	s_or_not1_b32 s12, s7, exec_lo
.LBB1483_1305:
	s_or_b32 exec_lo, exec_lo, s14
	v_cndmask_b32_e64 v6, v10, v11, s12
	v_cndmask_b32_e64 v7, v45, v47, s12
	s_mov_b32 s14, exec_lo
	s_delay_alu instid0(VALU_DEP_2) | instskip(NEXT) | instid1(VALU_DEP_1)
	v_add_nc_u32_e32 v8, 1, v6
	v_add_min_u32_e64 v6, v7, -1, v8
	v_cndmask_b32_e64 v12, v8, v10, s12
	s_delay_alu instid0(VALU_DEP_2)
	v_lshl_add_u32 v6, v6, 3, v43
	ds_load_b64 v[6:7], v6
	s_wait_dscnt 0x0
	v_dual_cndmask_b32 v13, v11, v8, s12 :: v_dual_cndmask_b32 v16, v14, v6, s12
	v_dual_cndmask_b32 v11, v7, v5, s12 :: v_dual_cndmask_b32 v10, v6, v4, s12
	v_cndmask_b32_e64 v17, v15, v7, s12
	v_cmpx_lt_u32_e64 v12, v45
	s_cbranch_execz .LBB1483_1316
; %bb.1306:
	s_mov_b32 s7, 0
	s_mov_b32 s13, exec_lo
	v_cmpx_lt_u32_e64 v13, v47
	s_cbranch_execz .LBB1483_1315
; %bb.1307:
	s_and_not1_b32 vcc_lo, exec_lo, s26
	s_cbranch_vccnz .LBB1483_1313
; %bb.1308:
	v_mul_u64_e32 v[6:7], s[16:17], v[10:11]
	v_mul_u64_e32 v[8:9], s[16:17], v[16:17]
	s_mov_b32 s15, 0
	s_mov_b64 s[8:9], s[16:17]
                                        ; implicit-def: $sgpr22
                                        ; implicit-def: $sgpr23
                                        ; implicit-def: $sgpr27
                                        ; implicit-def: $sgpr28
	s_delay_alu instid0(VALU_DEP_2) | instskip(NEXT) | instid1(VALU_DEP_2)
	v_lshl_add_u64 v[6:7], v[6:7], 2, s[18:19]
	v_lshl_add_u64 v[8:9], v[8:9], 2, s[18:19]
	s_branch .LBB1483_1310
.LBB1483_1309:                          ;   in Loop: Header=BB1483_1310 Depth=1
	s_or_b32 exec_lo, exec_lo, s29
	s_delay_alu instid0(SALU_CYCLE_1) | instskip(NEXT) | instid1(SALU_CYCLE_1)
	s_and_b32 s29, exec_lo, s23
	s_or_b32 s15, s29, s15
	s_and_not1_b32 s28, s28, exec_lo
	s_and_b32 s7, s7, exec_lo
	s_and_not1_b32 s22, s22, exec_lo
	s_and_b32 s29, s27, exec_lo
	s_or_b32 s28, s28, s7
	s_or_b32 s22, s22, s29
	s_and_not1_b32 exec_lo, exec_lo, s15
	s_cbranch_execz .LBB1483_1312
.LBB1483_1310:                          ; =>This Inner Loop Header: Depth=1
	global_load_b32 v22, v[6:7], off
	global_load_b32 v23, v[8:9], off
	s_and_not1_b32 s27, s27, exec_lo
	s_or_b32 s23, s23, exec_lo
	s_wait_loadcnt 0x0
	v_cmp_le_u32_e32 vcc_lo, v22, v23
	v_cmp_lt_u32_e64 s7, v22, v23
	s_and_b32 s29, vcc_lo, s28
	s_delay_alu instid0(SALU_CYCLE_1) | instskip(NEXT) | instid1(SALU_CYCLE_1)
	s_or_b32 s7, s7, s29
	s_and_b32 s29, s7, exec_lo
	s_delay_alu instid0(SALU_CYCLE_1)
	s_or_b32 s27, s27, s29
	s_mov_b32 s29, exec_lo
	v_cmpx_eq_u32_e64 v22, v23
	s_cbranch_execz .LBB1483_1309
; %bb.1311:                             ;   in Loop: Header=BB1483_1310 Depth=1
	s_add_nc_u64 s[8:9], s[8:9], -1
	v_add_nc_u64_e32 v[6:7], 4, v[6:7]
	s_cmp_eq_u64 s[8:9], 0
	v_add_nc_u64_e32 v[8:9], 4, v[8:9]
	s_cselect_b32 s28, -1, 0
	s_and_not1_b32 s23, s23, exec_lo
	s_and_b32 s28, s28, exec_lo
	s_and_not1_b32 s27, s27, exec_lo
	s_or_b32 s23, s23, s28
                                        ; implicit-def: $sgpr28
	s_branch .LBB1483_1309
.LBB1483_1312:
	s_or_b32 exec_lo, exec_lo, s15
	s_xor_b32 s7, s22, -1
	s_branch .LBB1483_1314
.LBB1483_1313:
	s_mov_b32 s7, -1
.LBB1483_1314:
	s_delay_alu instid0(SALU_CYCLE_1)
	s_and_b32 s7, s7, exec_lo
.LBB1483_1315:
	s_or_b32 exec_lo, exec_lo, s13
	s_delay_alu instid0(SALU_CYCLE_1)
	s_or_not1_b32 s13, s7, exec_lo
.LBB1483_1316:
	s_or_b32 exec_lo, exec_lo, s14
	v_dual_cndmask_b32 v6, v12, v13, s13 :: v_dual_cndmask_b32 v7, v45, v47, s13
	s_mov_b32 s15, -1
	s_mov_b32 s14, -1
	s_mov_b32 s22, exec_lo
	s_delay_alu instid0(VALU_DEP_1) | instskip(NEXT) | instid1(VALU_DEP_1)
	v_add_nc_u32_e32 v8, 1, v6
	v_add_min_u32_e64 v6, v7, -1, v8
	s_delay_alu instid0(VALU_DEP_1)
	v_lshl_add_u32 v6, v6, 3, v43
	ds_load_b64 v[6:7], v6
	s_wait_dscnt 0x0
	v_dual_cndmask_b32 v25, v13, v8, s13 :: v_dual_cndmask_b32 v22, v16, v6, s13
	v_dual_cndmask_b32 v13, v7, v11, s13 :: v_dual_cndmask_b32 v24, v8, v12, s13
	;; [unrolled: 1-line block ×3, first 2 shown]
	s_delay_alu instid0(VALU_DEP_2)
	v_cmpx_lt_u32_e64 v24, v45
	s_cbranch_execz .LBB1483_1327
; %bb.1317:
	s_mov_b32 s7, 0
	s_mov_b32 s14, exec_lo
	v_cmpx_lt_u32_e64 v25, v47
	s_cbranch_execz .LBB1483_1326
; %bb.1318:
	s_and_not1_b32 vcc_lo, exec_lo, s26
	s_cbranch_vccnz .LBB1483_1324
; %bb.1319:
	v_mul_u64_e32 v[6:7], s[16:17], v[12:13]
	v_mul_u64_e32 v[8:9], s[16:17], v[22:23]
	s_mov_b32 s23, 0
	s_mov_b64 s[8:9], s[16:17]
                                        ; implicit-def: $sgpr27
                                        ; implicit-def: $sgpr28
                                        ; implicit-def: $sgpr29
                                        ; implicit-def: $sgpr30
	s_delay_alu instid0(VALU_DEP_2) | instskip(NEXT) | instid1(VALU_DEP_2)
	v_lshl_add_u64 v[6:7], v[6:7], 2, s[18:19]
	v_lshl_add_u64 v[8:9], v[8:9], 2, s[18:19]
	s_branch .LBB1483_1321
.LBB1483_1320:                          ;   in Loop: Header=BB1483_1321 Depth=1
	s_or_b32 exec_lo, exec_lo, s31
	s_delay_alu instid0(SALU_CYCLE_1) | instskip(NEXT) | instid1(SALU_CYCLE_1)
	s_and_b32 s31, exec_lo, s28
	s_or_b32 s23, s31, s23
	s_and_not1_b32 s30, s30, exec_lo
	s_and_b32 s7, s7, exec_lo
	s_and_not1_b32 s27, s27, exec_lo
	s_and_b32 s31, s29, exec_lo
	s_or_b32 s30, s30, s7
	s_or_b32 s27, s27, s31
	s_and_not1_b32 exec_lo, exec_lo, s23
	s_cbranch_execz .LBB1483_1323
.LBB1483_1321:                          ; =>This Inner Loop Header: Depth=1
	global_load_b32 v26, v[6:7], off
	global_load_b32 v27, v[8:9], off
	s_and_not1_b32 s29, s29, exec_lo
	s_or_b32 s28, s28, exec_lo
	s_wait_loadcnt 0x0
	v_cmp_le_u32_e32 vcc_lo, v26, v27
	v_cmp_lt_u32_e64 s7, v26, v27
	s_and_b32 s31, vcc_lo, s30
	s_delay_alu instid0(SALU_CYCLE_1) | instskip(NEXT) | instid1(SALU_CYCLE_1)
	s_or_b32 s7, s7, s31
	s_and_b32 s31, s7, exec_lo
	s_delay_alu instid0(SALU_CYCLE_1)
	s_or_b32 s29, s29, s31
	s_mov_b32 s31, exec_lo
	v_cmpx_eq_u32_e64 v26, v27
	s_cbranch_execz .LBB1483_1320
; %bb.1322:                             ;   in Loop: Header=BB1483_1321 Depth=1
	s_add_nc_u64 s[8:9], s[8:9], -1
	v_add_nc_u64_e32 v[6:7], 4, v[6:7]
	s_cmp_eq_u64 s[8:9], 0
	v_add_nc_u64_e32 v[8:9], 4, v[8:9]
	s_cselect_b32 s30, -1, 0
	s_and_not1_b32 s28, s28, exec_lo
	s_and_b32 s30, s30, exec_lo
	s_and_not1_b32 s29, s29, exec_lo
	s_or_b32 s28, s28, s30
                                        ; implicit-def: $sgpr30
	s_branch .LBB1483_1320
.LBB1483_1323:
	s_or_b32 exec_lo, exec_lo, s23
	s_xor_b32 s7, s27, -1
	s_branch .LBB1483_1325
.LBB1483_1324:
	s_mov_b32 s7, -1
.LBB1483_1325:
	s_delay_alu instid0(SALU_CYCLE_1)
	s_and_b32 s7, s7, exec_lo
.LBB1483_1326:
	s_or_b32 exec_lo, exec_lo, s14
	s_delay_alu instid0(SALU_CYCLE_1)
	s_or_not1_b32 s14, s7, exec_lo
.LBB1483_1327:
	s_or_b32 exec_lo, exec_lo, s22
	v_dual_cndmask_b32 v6, v24, v25, s14 :: v_dual_cndmask_b32 v7, v45, v47, s14
	s_mov_b32 s22, exec_lo
	s_delay_alu instid0(VALU_DEP_1) | instskip(NEXT) | instid1(VALU_DEP_1)
	v_add_nc_u32_e32 v6, 1, v6
	v_add_min_u32_e64 v7, v7, -1, v6
	s_delay_alu instid0(VALU_DEP_1)
	v_lshl_add_u32 v7, v7, 3, v43
	ds_load_b64 v[8:9], v7
	s_wait_dscnt 0x0
	v_dual_cndmask_b32 v7, v9, v13, s14 :: v_dual_cndmask_b32 v28, v6, v24, s14
	v_dual_cndmask_b32 v29, v25, v6, s14 :: v_dual_cndmask_b32 v6, v8, v12, s14
	;; [unrolled: 1-line block ×3, first 2 shown]
	s_delay_alu instid0(VALU_DEP_3)
	v_cmpx_lt_u32_e64 v28, v45
	s_cbranch_execz .LBB1483_1338
; %bb.1328:
	s_mov_b32 s7, 0
	s_mov_b32 s15, exec_lo
	v_cmpx_lt_u32_e64 v29, v47
	s_cbranch_execz .LBB1483_1337
; %bb.1329:
	s_and_not1_b32 vcc_lo, exec_lo, s26
	s_cbranch_vccnz .LBB1483_1335
; %bb.1330:
	v_mul_u64_e32 v[8:9], s[16:17], v[6:7]
	v_mul_u64_e32 v[26:27], s[16:17], v[24:25]
	s_mov_b32 s23, 0
	s_mov_b64 s[8:9], s[16:17]
                                        ; implicit-def: $sgpr27
                                        ; implicit-def: $sgpr28
                                        ; implicit-def: $sgpr29
                                        ; implicit-def: $sgpr30
	s_delay_alu instid0(VALU_DEP_2) | instskip(NEXT) | instid1(VALU_DEP_2)
	v_lshl_add_u64 v[8:9], v[8:9], 2, s[18:19]
	v_lshl_add_u64 v[26:27], v[26:27], 2, s[18:19]
	s_branch .LBB1483_1332
.LBB1483_1331:                          ;   in Loop: Header=BB1483_1332 Depth=1
	s_or_b32 exec_lo, exec_lo, s31
	s_delay_alu instid0(SALU_CYCLE_1) | instskip(NEXT) | instid1(SALU_CYCLE_1)
	s_and_b32 s31, exec_lo, s28
	s_or_b32 s23, s31, s23
	s_and_not1_b32 s30, s30, exec_lo
	s_and_b32 s7, s7, exec_lo
	s_and_not1_b32 s27, s27, exec_lo
	s_and_b32 s31, s29, exec_lo
	s_or_b32 s30, s30, s7
	s_or_b32 s27, s27, s31
	s_and_not1_b32 exec_lo, exec_lo, s23
	s_cbranch_execz .LBB1483_1334
.LBB1483_1332:                          ; =>This Inner Loop Header: Depth=1
	global_load_b32 v30, v[8:9], off
	global_load_b32 v31, v[26:27], off
	s_and_not1_b32 s29, s29, exec_lo
	s_or_b32 s28, s28, exec_lo
	s_wait_loadcnt 0x0
	v_cmp_le_u32_e32 vcc_lo, v30, v31
	v_cmp_lt_u32_e64 s7, v30, v31
	s_and_b32 s31, vcc_lo, s30
	s_delay_alu instid0(SALU_CYCLE_1) | instskip(NEXT) | instid1(SALU_CYCLE_1)
	s_or_b32 s7, s7, s31
	s_and_b32 s31, s7, exec_lo
	s_delay_alu instid0(SALU_CYCLE_1)
	s_or_b32 s29, s29, s31
	s_mov_b32 s31, exec_lo
	v_cmpx_eq_u32_e64 v30, v31
	s_cbranch_execz .LBB1483_1331
; %bb.1333:                             ;   in Loop: Header=BB1483_1332 Depth=1
	s_add_nc_u64 s[8:9], s[8:9], -1
	v_add_nc_u64_e32 v[8:9], 4, v[8:9]
	s_cmp_eq_u64 s[8:9], 0
	v_add_nc_u64_e32 v[26:27], 4, v[26:27]
	s_cselect_b32 s30, -1, 0
	s_and_not1_b32 s28, s28, exec_lo
	s_and_b32 s30, s30, exec_lo
	s_and_not1_b32 s29, s29, exec_lo
	s_or_b32 s28, s28, s30
                                        ; implicit-def: $sgpr30
	s_branch .LBB1483_1331
.LBB1483_1334:
	s_or_b32 exec_lo, exec_lo, s23
	s_xor_b32 s7, s27, -1
	s_branch .LBB1483_1336
.LBB1483_1335:
	s_mov_b32 s7, -1
.LBB1483_1336:
	s_delay_alu instid0(SALU_CYCLE_1)
	s_and_b32 s7, s7, exec_lo
.LBB1483_1337:
	s_or_b32 exec_lo, exec_lo, s15
	s_delay_alu instid0(SALU_CYCLE_1)
	s_or_not1_b32 s15, s7, exec_lo
.LBB1483_1338:
	s_or_b32 exec_lo, exec_lo, s22
	v_dual_cndmask_b32 v8, v28, v29, s15 :: v_dual_cndmask_b32 v9, v45, v47, s15
	s_mov_b32 s22, -1
	s_mov_b32 s23, -1
	s_mov_b32 s27, exec_lo
	s_delay_alu instid0(VALU_DEP_1) | instskip(NEXT) | instid1(VALU_DEP_1)
	v_add_nc_u32_e32 v8, 1, v8
	v_add_min_u32_e64 v9, v9, -1, v8
	s_delay_alu instid0(VALU_DEP_1)
	v_lshl_add_u32 v9, v9, 3, v43
	ds_load_b64 v[26:27], v9
	s_wait_dscnt 0x0
	v_dual_cndmask_b32 v9, v27, v7, s15 :: v_dual_cndmask_b32 v32, v8, v28, s15
	v_dual_cndmask_b32 v33, v29, v8, s15 :: v_dual_cndmask_b32 v8, v26, v6, s15
	;; [unrolled: 1-line block ×3, first 2 shown]
	s_delay_alu instid0(VALU_DEP_3)
	v_cmpx_lt_u32_e64 v32, v45
	s_cbranch_execz .LBB1483_1349
; %bb.1339:
	s_mov_b32 s7, 0
	s_mov_b32 s23, exec_lo
	v_cmpx_lt_u32_e64 v33, v47
	s_cbranch_execz .LBB1483_1348
; %bb.1340:
	s_and_not1_b32 vcc_lo, exec_lo, s26
	s_cbranch_vccnz .LBB1483_1346
; %bb.1341:
	v_mul_u64_e32 v[28:29], s[16:17], v[8:9]
	v_mul_u64_e32 v[30:31], s[16:17], v[26:27]
	s_mov_b32 s28, 0
	s_mov_b64 s[8:9], s[16:17]
                                        ; implicit-def: $sgpr29
                                        ; implicit-def: $sgpr30
                                        ; implicit-def: $sgpr31
                                        ; implicit-def: $sgpr33
	s_delay_alu instid0(VALU_DEP_2) | instskip(NEXT) | instid1(VALU_DEP_2)
	v_lshl_add_u64 v[28:29], v[28:29], 2, s[18:19]
	v_lshl_add_u64 v[30:31], v[30:31], 2, s[18:19]
	s_branch .LBB1483_1343
.LBB1483_1342:                          ;   in Loop: Header=BB1483_1343 Depth=1
	s_or_b32 exec_lo, exec_lo, s34
	s_delay_alu instid0(SALU_CYCLE_1) | instskip(NEXT) | instid1(SALU_CYCLE_1)
	s_and_b32 s34, exec_lo, s30
	s_or_b32 s28, s34, s28
	s_and_not1_b32 s33, s33, exec_lo
	s_and_b32 s7, s7, exec_lo
	s_and_not1_b32 s29, s29, exec_lo
	s_and_b32 s34, s31, exec_lo
	s_or_b32 s33, s33, s7
	s_or_b32 s29, s29, s34
	s_and_not1_b32 exec_lo, exec_lo, s28
	s_cbranch_execz .LBB1483_1345
.LBB1483_1343:                          ; =>This Inner Loop Header: Depth=1
	global_load_b32 v34, v[28:29], off
	global_load_b32 v35, v[30:31], off
	s_and_not1_b32 s31, s31, exec_lo
	s_or_b32 s30, s30, exec_lo
	s_wait_loadcnt 0x0
	v_cmp_le_u32_e32 vcc_lo, v34, v35
	v_cmp_lt_u32_e64 s7, v34, v35
	s_and_b32 s34, vcc_lo, s33
	s_delay_alu instid0(SALU_CYCLE_1) | instskip(NEXT) | instid1(SALU_CYCLE_1)
	s_or_b32 s7, s7, s34
	s_and_b32 s34, s7, exec_lo
	s_delay_alu instid0(SALU_CYCLE_1)
	s_or_b32 s31, s31, s34
	s_mov_b32 s34, exec_lo
	v_cmpx_eq_u32_e64 v34, v35
	s_cbranch_execz .LBB1483_1342
; %bb.1344:                             ;   in Loop: Header=BB1483_1343 Depth=1
	s_add_nc_u64 s[8:9], s[8:9], -1
	v_add_nc_u64_e32 v[28:29], 4, v[28:29]
	s_cmp_eq_u64 s[8:9], 0
	v_add_nc_u64_e32 v[30:31], 4, v[30:31]
	s_cselect_b32 s33, -1, 0
	s_and_not1_b32 s30, s30, exec_lo
	s_and_b32 s33, s33, exec_lo
	s_and_not1_b32 s31, s31, exec_lo
	s_or_b32 s30, s30, s33
                                        ; implicit-def: $sgpr33
	s_branch .LBB1483_1342
.LBB1483_1345:
	s_or_b32 exec_lo, exec_lo, s28
	s_xor_b32 s7, s29, -1
	s_branch .LBB1483_1347
.LBB1483_1346:
	s_mov_b32 s7, -1
.LBB1483_1347:
	s_delay_alu instid0(SALU_CYCLE_1)
	s_and_b32 s7, s7, exec_lo
.LBB1483_1348:
	s_or_b32 exec_lo, exec_lo, s23
	s_delay_alu instid0(SALU_CYCLE_1)
	s_or_not1_b32 s23, s7, exec_lo
.LBB1483_1349:
	s_or_b32 exec_lo, exec_lo, s27
	v_dual_cndmask_b32 v28, v32, v33, s23 :: v_dual_cndmask_b32 v29, v45, v47, s23
	s_mov_b32 s27, exec_lo
	s_delay_alu instid0(VALU_DEP_1) | instskip(NEXT) | instid1(VALU_DEP_1)
	v_add_nc_u32_e32 v28, 1, v28
	v_add_min_u32_e64 v29, v29, -1, v28
	s_delay_alu instid0(VALU_DEP_1)
	v_lshl_add_u32 v29, v29, 3, v43
	ds_load_b64 v[30:31], v29
	s_wait_dscnt 0x0
	v_dual_cndmask_b32 v29, v31, v9, s23 :: v_dual_cndmask_b32 v46, v28, v32, s23
	v_dual_cndmask_b32 v31, v27, v31, s23 :: v_dual_cndmask_b32 v44, v33, v28, s23
	v_cndmask_b32_e64 v28, v30, v8, s23
	v_cndmask_b32_e64 v30, v26, v30, s23
	s_delay_alu instid0(VALU_DEP_4)
	v_cmpx_lt_u32_e64 v46, v45
	s_cbranch_execz .LBB1483_1360
; %bb.1350:
	s_mov_b32 s7, 0
	s_mov_b32 s22, exec_lo
	v_cmpx_lt_u32_e64 v44, v47
	s_cbranch_execz .LBB1483_1359
; %bb.1351:
	s_and_not1_b32 vcc_lo, exec_lo, s26
	s_cbranch_vccnz .LBB1483_1357
; %bb.1352:
	v_mul_u64_e32 v[32:33], s[16:17], v[28:29]
	v_mul_u64_e32 v[34:35], s[16:17], v[30:31]
	s_mov_b32 s28, 0
	s_mov_b64 s[8:9], s[16:17]
                                        ; implicit-def: $sgpr29
                                        ; implicit-def: $sgpr30
                                        ; implicit-def: $sgpr31
                                        ; implicit-def: $sgpr33
	s_delay_alu instid0(VALU_DEP_2) | instskip(NEXT) | instid1(VALU_DEP_2)
	v_lshl_add_u64 v[32:33], v[32:33], 2, s[18:19]
	v_lshl_add_u64 v[34:35], v[34:35], 2, s[18:19]
	s_branch .LBB1483_1354
.LBB1483_1353:                          ;   in Loop: Header=BB1483_1354 Depth=1
	s_or_b32 exec_lo, exec_lo, s34
	s_delay_alu instid0(SALU_CYCLE_1) | instskip(NEXT) | instid1(SALU_CYCLE_1)
	s_and_b32 s34, exec_lo, s30
	s_or_b32 s28, s34, s28
	s_and_not1_b32 s33, s33, exec_lo
	s_and_b32 s7, s7, exec_lo
	s_and_not1_b32 s29, s29, exec_lo
	s_and_b32 s34, s31, exec_lo
	s_or_b32 s33, s33, s7
	s_or_b32 s29, s29, s34
	s_and_not1_b32 exec_lo, exec_lo, s28
	s_cbranch_execz .LBB1483_1356
.LBB1483_1354:                          ; =>This Inner Loop Header: Depth=1
	global_load_b32 v48, v[32:33], off
	global_load_b32 v49, v[34:35], off
	s_and_not1_b32 s31, s31, exec_lo
	s_or_b32 s30, s30, exec_lo
	s_wait_loadcnt 0x0
	v_cmp_le_u32_e32 vcc_lo, v48, v49
	v_cmp_lt_u32_e64 s7, v48, v49
	s_and_b32 s34, vcc_lo, s33
	s_delay_alu instid0(SALU_CYCLE_1) | instskip(NEXT) | instid1(SALU_CYCLE_1)
	s_or_b32 s7, s7, s34
	s_and_b32 s34, s7, exec_lo
	s_delay_alu instid0(SALU_CYCLE_1)
	s_or_b32 s31, s31, s34
	s_mov_b32 s34, exec_lo
	v_cmpx_eq_u32_e64 v48, v49
	s_cbranch_execz .LBB1483_1353
; %bb.1355:                             ;   in Loop: Header=BB1483_1354 Depth=1
	s_add_nc_u64 s[8:9], s[8:9], -1
	v_add_nc_u64_e32 v[32:33], 4, v[32:33]
	s_cmp_eq_u64 s[8:9], 0
	v_add_nc_u64_e32 v[34:35], 4, v[34:35]
	s_cselect_b32 s33, -1, 0
	s_and_not1_b32 s30, s30, exec_lo
	s_and_b32 s33, s33, exec_lo
	s_and_not1_b32 s31, s31, exec_lo
	s_or_b32 s30, s30, s33
                                        ; implicit-def: $sgpr33
	s_branch .LBB1483_1353
.LBB1483_1356:
	s_or_b32 exec_lo, exec_lo, s28
	s_xor_b32 s7, s29, -1
	s_branch .LBB1483_1358
.LBB1483_1357:
	s_mov_b32 s7, -1
.LBB1483_1358:
	s_delay_alu instid0(SALU_CYCLE_1)
	s_and_b32 s7, s7, exec_lo
.LBB1483_1359:
	s_or_b32 exec_lo, exec_lo, s22
	s_delay_alu instid0(SALU_CYCLE_1)
	s_or_not1_b32 s22, s7, exec_lo
.LBB1483_1360:
	s_or_b32 exec_lo, exec_lo, s27
	v_dual_cndmask_b32 v32, v46, v44, s22 :: v_dual_cndmask_b32 v33, v45, v47, s22
	v_dual_cndmask_b32 v8, v8, v26, s23 :: v_dual_cndmask_b32 v7, v7, v25, s15
	;; [unrolled: 1-line block ×3, first 2 shown]
	s_delay_alu instid0(VALU_DEP_3) | instskip(SKIP_2) | instid1(VALU_DEP_3)
	v_dual_add_nc_u32 v34, 1, v32 :: v_dual_cndmask_b32 v9, v9, v27, s23
	v_dual_cndmask_b32 v12, v12, v22, s14 :: v_dual_cndmask_b32 v11, v11, v17, s13
	v_dual_cndmask_b32 v10, v10, v16, s13 :: v_dual_cndmask_b32 v17, v5, v15, s12
	v_add_min_u32_e64 v32, v33, -1, v34
	v_dual_cndmask_b32 v16, v4, v14, s12 :: v_dual_cndmask_b32 v15, v3, v1, s11
	v_dual_cndmask_b32 v14, v2, v0, s11 :: v_dual_cndmask_b32 v3, v29, v31, s22
	s_delay_alu instid0(VALU_DEP_3)
	v_lshl_add_u32 v32, v32, 3, v43
	s_mov_b32 s11, exec_lo
	ds_load_b64 v[32:33], v32
	v_cndmask_b32_e64 v0, v34, v46, s22
	s_wait_dscnt 0x0
	v_dual_cndmask_b32 v2, v28, v30, s22 :: v_dual_cndmask_b32 v4, v30, v32, s22
	v_cndmask_b32_e64 v5, v31, v33, s22
	s_delay_alu instid0(VALU_DEP_3)
	v_cmpx_lt_u32_e64 v0, v45
	s_cbranch_execz .LBB1483_1370
; %bb.1361:
	v_dual_cndmask_b32 v22, v44, v34, s22 :: v_dual_cndmask_b32 v1, v33, v29, s22
	v_cndmask_b32_e64 v0, v32, v28, s22
	s_mov_b32 s12, exec_lo
	s_delay_alu instid0(VALU_DEP_2)
	v_cmpx_lt_u32_e64 v22, v47
	s_cbranch_execz .LBB1483_1369
; %bb.1362:
	s_and_not1_b32 vcc_lo, exec_lo, s26
	s_cbranch_vccnz .LBB1483_1368
; %bb.1363:
	v_mul_u64_e32 v[22:23], s[16:17], v[0:1]
	v_mul_u64_e32 v[24:25], s[16:17], v[4:5]
	s_mov_b32 s13, 0
	s_mov_b64 s[8:9], s[16:17]
                                        ; implicit-def: $sgpr14
                                        ; implicit-def: $sgpr15
                                        ; implicit-def: $sgpr22
                                        ; implicit-def: $sgpr23
	s_delay_alu instid0(VALU_DEP_2) | instskip(NEXT) | instid1(VALU_DEP_2)
	v_lshl_add_u64 v[22:23], v[22:23], 2, s[18:19]
	v_lshl_add_u64 v[24:25], v[24:25], 2, s[18:19]
	s_branch .LBB1483_1365
.LBB1483_1364:                          ;   in Loop: Header=BB1483_1365 Depth=1
	s_or_b32 exec_lo, exec_lo, s27
	s_delay_alu instid0(SALU_CYCLE_1) | instskip(NEXT) | instid1(SALU_CYCLE_1)
	s_and_b32 s27, exec_lo, s15
	s_or_b32 s13, s27, s13
	s_and_not1_b32 s23, s23, exec_lo
	s_and_b32 s7, s7, exec_lo
	s_and_not1_b32 s14, s14, exec_lo
	s_and_b32 s27, s22, exec_lo
	s_or_b32 s23, s23, s7
	s_or_b32 s14, s14, s27
	s_and_not1_b32 exec_lo, exec_lo, s13
	s_cbranch_execz .LBB1483_1367
.LBB1483_1365:                          ; =>This Inner Loop Header: Depth=1
	global_load_b32 v26, v[22:23], off
	global_load_b32 v27, v[24:25], off
	s_and_not1_b32 s22, s22, exec_lo
	s_or_b32 s15, s15, exec_lo
	s_wait_loadcnt 0x0
	v_cmp_le_u32_e32 vcc_lo, v26, v27
	v_cmp_lt_u32_e64 s7, v26, v27
	s_and_b32 s27, vcc_lo, s23
	s_delay_alu instid0(SALU_CYCLE_1) | instskip(NEXT) | instid1(SALU_CYCLE_1)
	s_or_b32 s7, s7, s27
	s_and_b32 s27, s7, exec_lo
	s_delay_alu instid0(SALU_CYCLE_1)
	s_or_b32 s22, s22, s27
	s_mov_b32 s27, exec_lo
	v_cmpx_eq_u32_e64 v26, v27
	s_cbranch_execz .LBB1483_1364
; %bb.1366:                             ;   in Loop: Header=BB1483_1365 Depth=1
	s_add_nc_u64 s[8:9], s[8:9], -1
	v_add_nc_u64_e32 v[22:23], 4, v[22:23]
	s_cmp_eq_u64 s[8:9], 0
	v_add_nc_u64_e32 v[24:25], 4, v[24:25]
	s_cselect_b32 s23, -1, 0
	s_and_not1_b32 s15, s15, exec_lo
	s_and_b32 s23, s23, exec_lo
	s_and_not1_b32 s22, s22, exec_lo
	s_or_b32 s15, s15, s23
                                        ; implicit-def: $sgpr23
	s_branch .LBB1483_1364
.LBB1483_1367:
	s_or_b32 exec_lo, exec_lo, s13
	v_dual_cndmask_b32 v5, v5, v1, s14 :: v_dual_cndmask_b32 v4, v4, v0, s14
.LBB1483_1368:
	s_delay_alu instid0(VALU_DEP_1)
	v_mov_b64_e32 v[0:1], v[4:5]
.LBB1483_1369:
	s_or_b32 exec_lo, exec_lo, s12
	s_delay_alu instid0(VALU_DEP_1)
	v_mov_b64_e32 v[4:5], v[0:1]
.LBB1483_1370:
	s_or_b32 exec_lo, exec_lo, s11
.LBB1483_1371:
	s_delay_alu instid0(SALU_CYCLE_1)
	s_or_b32 exec_lo, exec_lo, s10
	s_cmp_lt_u32 s25, 0x81
	; wave barrier
	s_wait_dscnt 0x0
	s_barrier_signal -1
	s_barrier_wait -1
	s_cbranch_scc1 .LBB1483_1475
; %bb.1372:
	v_lshlrev_b32_e32 v24, 3, v20
	s_lshl_b64 s[8:9], s[16:17], 2
	s_movk_i32 s12, 0x80
	s_branch .LBB1483_1378
.LBB1483_1373:                          ;   in Loop: Header=BB1483_1378 Depth=1
	s_or_b32 exec_lo, exec_lo, s33
	v_dual_cndmask_b32 v5, v5, v7, s34 :: v_dual_cndmask_b32 v4, v4, v6, s34
.LBB1483_1374:                          ;   in Loop: Header=BB1483_1378 Depth=1
	s_delay_alu instid0(VALU_DEP_1)
	v_mov_b64_e32 v[6:7], v[4:5]
.LBB1483_1375:                          ;   in Loop: Header=BB1483_1378 Depth=1
	s_or_b32 exec_lo, exec_lo, s31
	s_delay_alu instid0(VALU_DEP_1)
	v_mov_b64_e32 v[4:5], v[6:7]
.LBB1483_1376:                          ;   in Loop: Header=BB1483_1378 Depth=1
	s_or_b32 exec_lo, exec_lo, s30
	v_dual_cndmask_b32 v9, v35, v44, s29 :: v_dual_cndmask_b32 v6, v32, v34, s27
	v_cndmask_b32_e64 v8, v43, v45, s29
	v_dual_cndmask_b32 v7, v31, v33, s27 :: v_dual_cndmask_b32 v11, v17, v27, s22
	v_dual_cndmask_b32 v13, v12, v13, s23 :: v_dual_cndmask_b32 v10, v23, v28, s22
	;; [unrolled: 1-line block ×3, first 2 shown]
	v_cndmask_b32_e64 v16, v15, v22, s15
	v_dual_cndmask_b32 v15, v3, v1, s14 :: v_dual_cndmask_b32 v14, v2, v0, s14
	v_dual_cndmask_b32 v3, v46, v48, s28 :: v_dual_cndmask_b32 v2, v47, v49, s28
.LBB1483_1377:                          ;   in Loop: Header=BB1483_1378 Depth=1
	s_or_b32 exec_lo, exec_lo, s13
	s_cmp_lt_u32 s12, s25
	s_barrier_signal -1
	s_barrier_wait -1
	s_cbranch_scc0 .LBB1483_1475
.LBB1483_1378:                          ; =>This Loop Header: Depth=1
                                        ;     Child Loop BB1483_1382 Depth 2
                                        ;       Child Loop BB1483_1385 Depth 3
                                        ;     Child Loop BB1483_1397 Depth 2
                                        ;     Child Loop BB1483_1407 Depth 2
                                        ;     Child Loop BB1483_1418 Depth 2
                                        ;     Child Loop BB1483_1429 Depth 2
                                        ;     Child Loop BB1483_1440 Depth 2
                                        ;     Child Loop BB1483_1451 Depth 2
                                        ;     Child Loop BB1483_1462 Depth 2
                                        ;     Child Loop BB1483_1473 Depth 2
	s_mov_b32 s7, s12
	s_lshl_b32 s12, s12, 1
	s_mov_b32 s13, exec_lo
	s_sub_co_i32 s10, 0, s12
	ds_store_b128 v24, v[14:17]
	ds_store_b128 v24, v[10:13] offset:16
	ds_store_b128 v24, v[6:9] offset:32
	;; [unrolled: 1-line block ×3, first 2 shown]
	v_and_b32_e32 v29, s10, v20
	s_add_co_i32 s10, s12, -1
	s_wait_dscnt 0x0
	s_barrier_signal -1
	s_barrier_wait -1
	v_add_min_u32_e64 v25, v29, s7, s25
	s_delay_alu instid0(VALU_DEP_1) | instskip(NEXT) | instid1(VALU_DEP_1)
	v_add_min_u32_e64 v26, v25, s7, s25
	v_dual_sub_nc_u32 v1, v26, v25 :: v_dual_bitop2_b32 v0, s10, v20 bitop3:0x40
	v_lshlrev_b32_e32 v28, 3, v29
	s_delay_alu instid0(VALU_DEP_2) | instskip(SKIP_1) | instid1(VALU_DEP_2)
	v_min_u32_e32 v30, s25, v0
	v_sub_nc_u32_e32 v0, v25, v29
	v_sub_nc_u32_e64 v27, v30, v1 clamp
	s_delay_alu instid0(VALU_DEP_2) | instskip(NEXT) | instid1(VALU_DEP_1)
	v_min_u32_e32 v31, v30, v0
	v_cmpx_lt_u32_e64 v27, v31
	s_cbranch_execz .LBB1483_1388
; %bb.1379:                             ;   in Loop: Header=BB1483_1378 Depth=1
	v_lshlrev_b32_e32 v0, 3, v30
	s_mov_b32 s14, 0
	s_delay_alu instid0(VALU_DEP_1)
	v_lshl_add_u32 v32, v25, 3, v0
	s_branch .LBB1483_1382
.LBB1483_1380:                          ;   in Loop: Header=BB1483_1382 Depth=2
	s_or_b32 exec_lo, exec_lo, s22
.LBB1483_1381:                          ;   in Loop: Header=BB1483_1382 Depth=2
	s_delay_alu instid0(VALU_DEP_1) | instskip(NEXT) | instid1(VALU_DEP_1)
	v_dual_add_nc_u32 v0, 1, v33 :: v_dual_cndmask_b32 v31, v31, v33, s15
	v_cndmask_b32_e64 v27, v0, v27, s15
	s_delay_alu instid0(VALU_DEP_1) | instskip(SKIP_1) | instid1(SALU_CYCLE_1)
	v_cmp_ge_u32_e32 vcc_lo, v27, v31
	s_or_b32 s14, vcc_lo, s14
	s_and_not1_b32 exec_lo, exec_lo, s14
	s_cbranch_execz .LBB1483_1387
.LBB1483_1382:                          ;   Parent Loop BB1483_1378 Depth=1
                                        ; =>  This Loop Header: Depth=2
                                        ;       Child Loop BB1483_1385 Depth 3
	v_add_nc_u32_e32 v0, v31, v27
	s_and_not1_b32 vcc_lo, exec_lo, s26
	s_mov_b32 s15, 0
	s_delay_alu instid0(VALU_DEP_1)
	v_lshrrev_b32_e32 v33, 1, v0
	s_cbranch_vccnz .LBB1483_1381
; %bb.1383:                             ;   in Loop: Header=BB1483_1382 Depth=2
	s_delay_alu instid0(VALU_DEP_1) | instskip(SKIP_3) | instid1(VALU_DEP_2)
	v_not_b32_e32 v0, v33
	v_lshl_add_u32 v1, v33, 3, v28
	s_mov_b32 s22, 0
	s_mov_b64 s[10:11], s[16:17]
                                        ; implicit-def: $sgpr15
                                        ; implicit-def: $sgpr23
                                        ; implicit-def: $sgpr27
                                        ; implicit-def: $sgpr28
	v_lshl_add_u32 v0, v0, 3, v32
	ds_load_b64 v[34:35], v0
	ds_load_b64 v[44:45], v1
	s_wait_dscnt 0x1
	v_mad_nc_u64_u32 v[0:1], s8, v34, s[18:19]
	s_wait_dscnt 0x0
	v_mad_nc_u64_u32 v[22:23], s8, v44, s[18:19]
	s_delay_alu instid0(VALU_DEP_2) | instskip(NEXT) | instid1(VALU_DEP_2)
	v_mad_u32 v1, s9, v34, v1
	v_mad_u32 v23, s9, v44, v23
	s_delay_alu instid0(VALU_DEP_2) | instskip(NEXT) | instid1(VALU_DEP_2)
	v_mad_u32 v1, s8, v35, v1
	v_mad_u32 v23, s8, v45, v23
	s_branch .LBB1483_1385
.LBB1483_1384:                          ;   in Loop: Header=BB1483_1385 Depth=3
	s_or_b32 exec_lo, exec_lo, s29
	s_delay_alu instid0(SALU_CYCLE_1) | instskip(NEXT) | instid1(SALU_CYCLE_1)
	s_and_b32 s29, exec_lo, s23
	s_or_b32 s22, s29, s22
	s_and_not1_b32 s28, s28, exec_lo
	s_and_b32 s7, s7, exec_lo
	s_and_not1_b32 s15, s15, exec_lo
	s_and_b32 s29, s27, exec_lo
	s_or_b32 s28, s28, s7
	s_or_b32 s15, s15, s29
	s_and_not1_b32 exec_lo, exec_lo, s22
	s_cbranch_execz .LBB1483_1380
.LBB1483_1385:                          ;   Parent Loop BB1483_1378 Depth=1
                                        ;     Parent Loop BB1483_1382 Depth=2
                                        ; =>    This Inner Loop Header: Depth=3
	global_load_b32 v34, v[0:1], off
	global_load_b32 v35, v[22:23], off
	s_and_not1_b32 s27, s27, exec_lo
	s_or_b32 s23, s23, exec_lo
	s_wait_loadcnt 0x0
	v_cmp_le_u32_e32 vcc_lo, v34, v35
	v_cmp_lt_u32_e64 s7, v34, v35
	s_and_b32 s29, vcc_lo, s28
	s_delay_alu instid0(SALU_CYCLE_1) | instskip(NEXT) | instid1(SALU_CYCLE_1)
	s_or_b32 s7, s7, s29
	s_and_b32 s29, s7, exec_lo
	s_delay_alu instid0(SALU_CYCLE_1)
	s_or_b32 s27, s27, s29
	s_mov_b32 s29, exec_lo
	v_cmpx_eq_u32_e64 v34, v35
	s_cbranch_execz .LBB1483_1384
; %bb.1386:                             ;   in Loop: Header=BB1483_1385 Depth=3
	s_add_nc_u64 s[10:11], s[10:11], -1
	v_add_nc_u64_e32 v[0:1], 4, v[0:1]
	s_cmp_eq_u64 s[10:11], 0
	v_add_nc_u64_e32 v[22:23], 4, v[22:23]
	s_cselect_b32 s28, -1, 0
	s_and_not1_b32 s23, s23, exec_lo
	s_and_b32 s28, s28, exec_lo
	s_and_not1_b32 s27, s27, exec_lo
	s_or_b32 s23, s23, s28
                                        ; implicit-def: $sgpr28
	s_branch .LBB1483_1384
.LBB1483_1387:                          ;   in Loop: Header=BB1483_1378 Depth=1
	s_or_b32 exec_lo, exec_lo, s14
.LBB1483_1388:                          ;   in Loop: Header=BB1483_1378 Depth=1
	s_delay_alu instid0(SALU_CYCLE_1) | instskip(SKIP_1) | instid1(VALU_DEP_1)
	s_or_b32 exec_lo, exec_lo, s13
	v_dual_sub_nc_u32 v0, v30, v27 :: v_dual_add_nc_u32 v22, v27, v29
	v_add_nc_u32_e32 v23, v0, v25
	s_delay_alu instid0(VALU_DEP_2) | instskip(NEXT) | instid1(VALU_DEP_2)
	v_cmp_le_u32_e32 vcc_lo, v22, v25
	v_cmp_le_u32_e64 s7, v23, v26
	s_or_b32 s7, vcc_lo, s7
	s_delay_alu instid0(SALU_CYCLE_1)
	s_and_saveexec_b32 s13, s7
	s_cbranch_execz .LBB1483_1377
; %bb.1389:                             ;   in Loop: Header=BB1483_1378 Depth=1
	s_mov_b32 s10, exec_lo
	v_cmp_ge_u32_e32 vcc_lo, v22, v25
                                        ; implicit-def: $vgpr0_vgpr1
	v_cmpx_lt_u32_e64 v22, v25
; %bb.1390:                             ;   in Loop: Header=BB1483_1378 Depth=1
	v_lshl_add_u32 v0, v27, 3, v28
	ds_load_b64 v[0:1], v0
; %bb.1391:                             ;   in Loop: Header=BB1483_1378 Depth=1
	s_or_b32 exec_lo, exec_lo, s10
	v_cmp_ge_u32_e64 s14, v23, v26
	s_mov_b32 s10, exec_lo
                                        ; implicit-def: $vgpr2_vgpr3
	v_cmpx_lt_u32_e64 v23, v26
; %bb.1392:                             ;   in Loop: Header=BB1483_1378 Depth=1
	v_lshlrev_b32_e32 v2, 3, v23
	ds_load_b64 v[2:3], v2
; %bb.1393:                             ;   in Loop: Header=BB1483_1378 Depth=1
	s_or_b32 exec_lo, exec_lo, s10
	s_nor_b32 s7, vcc_lo, s14
	s_delay_alu instid0(SALU_CYCLE_1)
	s_and_saveexec_b32 s15, s7
	s_cbranch_execz .LBB1483_1402
; %bb.1394:                             ;   in Loop: Header=BB1483_1378 Depth=1
	s_and_not1_b32 vcc_lo, exec_lo, s26
	s_cbranch_vccnz .LBB1483_1400
; %bb.1395:                             ;   in Loop: Header=BB1483_1378 Depth=1
	s_wait_dscnt 0x0
	v_mad_nc_u64_u32 v[4:5], s8, v2, s[18:19]
	v_mad_nc_u64_u32 v[6:7], s8, v0, s[18:19]
	s_mov_b32 s22, 0
	s_mov_b64 s[10:11], s[16:17]
                                        ; implicit-def: $sgpr23
                                        ; implicit-def: $sgpr27
                                        ; implicit-def: $sgpr28
                                        ; implicit-def: $sgpr29
	s_delay_alu instid0(VALU_DEP_2) | instskip(NEXT) | instid1(VALU_DEP_2)
	v_mad_u32 v5, s9, v2, v5
	v_mad_u32 v7, s9, v0, v7
	s_delay_alu instid0(VALU_DEP_2) | instskip(NEXT) | instid1(VALU_DEP_2)
	v_mad_u32 v5, s8, v3, v5
	v_mad_u32 v7, s8, v1, v7
	s_branch .LBB1483_1397
.LBB1483_1396:                          ;   in Loop: Header=BB1483_1397 Depth=2
	s_or_b32 exec_lo, exec_lo, s30
	s_delay_alu instid0(SALU_CYCLE_1) | instskip(NEXT) | instid1(SALU_CYCLE_1)
	s_and_b32 s30, exec_lo, s27
	s_or_b32 s22, s30, s22
	s_and_not1_b32 s29, s29, exec_lo
	s_and_b32 s7, s7, exec_lo
	s_and_not1_b32 s23, s23, exec_lo
	s_and_b32 s30, s28, exec_lo
	s_or_b32 s29, s29, s7
	s_or_b32 s23, s23, s30
	s_and_not1_b32 exec_lo, exec_lo, s22
	s_cbranch_execz .LBB1483_1399
.LBB1483_1397:                          ;   Parent Loop BB1483_1378 Depth=1
                                        ; =>  This Inner Loop Header: Depth=2
	global_load_b32 v8, v[4:5], off
	global_load_b32 v9, v[6:7], off
	s_and_not1_b32 s28, s28, exec_lo
	s_or_b32 s27, s27, exec_lo
	s_wait_loadcnt 0x0
	v_cmp_le_u32_e32 vcc_lo, v8, v9
	v_cmp_lt_u32_e64 s7, v8, v9
	s_and_b32 s30, vcc_lo, s29
	s_delay_alu instid0(SALU_CYCLE_1) | instskip(NEXT) | instid1(SALU_CYCLE_1)
	s_or_b32 s7, s7, s30
	s_and_b32 s30, s7, exec_lo
	s_delay_alu instid0(SALU_CYCLE_1)
	s_or_b32 s28, s28, s30
	s_mov_b32 s30, exec_lo
	v_cmpx_eq_u32_e64 v8, v9
	s_cbranch_execz .LBB1483_1396
; %bb.1398:                             ;   in Loop: Header=BB1483_1397 Depth=2
	s_add_nc_u64 s[10:11], s[10:11], -1
	v_add_nc_u64_e32 v[4:5], 4, v[4:5]
	s_cmp_eq_u64 s[10:11], 0
	v_add_nc_u64_e32 v[6:7], 4, v[6:7]
	s_cselect_b32 s29, -1, 0
	s_and_not1_b32 s27, s27, exec_lo
	s_and_b32 s29, s29, exec_lo
	s_and_not1_b32 s28, s28, exec_lo
	s_or_b32 s27, s27, s29
                                        ; implicit-def: $sgpr29
	s_branch .LBB1483_1396
.LBB1483_1399:                          ;   in Loop: Header=BB1483_1378 Depth=1
	s_or_b32 exec_lo, exec_lo, s22
	s_xor_b32 s7, s23, -1
	s_branch .LBB1483_1401
.LBB1483_1400:                          ;   in Loop: Header=BB1483_1378 Depth=1
	s_mov_b32 s7, -1
.LBB1483_1401:                          ;   in Loop: Header=BB1483_1378 Depth=1
	s_and_not1_b32 s10, s14, exec_lo
	s_and_b32 s7, s7, exec_lo
	s_delay_alu instid0(SALU_CYCLE_1)
	s_or_b32 s14, s10, s7
.LBB1483_1402:                          ;   in Loop: Header=BB1483_1378 Depth=1
	s_or_b32 exec_lo, exec_lo, s15
	v_dual_cndmask_b32 v4, v23, v22, s14 :: v_dual_cndmask_b32 v5, v26, v25, s14
	s_mov_b32 s22, -1
	s_mov_b32 s15, -1
	s_mov_b32 s23, exec_lo
	s_delay_alu instid0(VALU_DEP_1) | instskip(NEXT) | instid1(VALU_DEP_1)
	v_add_nc_u32_e32 v6, 1, v4
	v_add_min_u32_e64 v4, v5, -1, v6
	s_delay_alu instid0(VALU_DEP_1)
	v_lshlrev_b32_e32 v4, 3, v4
	ds_load_b64 v[4:5], v4
	v_cndmask_b32_e64 v8, v6, v23, s14
	s_wait_dscnt 0x0
	v_dual_cndmask_b32 v9, v22, v6, s14 :: v_dual_cndmask_b32 v14, v5, v3, s14
	v_dual_cndmask_b32 v15, v4, v2, s14 :: v_dual_cndmask_b32 v16, v1, v5, s14
	v_cndmask_b32_e64 v22, v0, v4, s14
	v_cmpx_lt_u32_e64 v8, v26
	s_cbranch_execz .LBB1483_1413
; %bb.1403:                             ;   in Loop: Header=BB1483_1378 Depth=1
	s_mov_b32 s7, 0
	s_mov_b32 s15, exec_lo
	v_cmpx_lt_u32_e64 v9, v25
	s_cbranch_execz .LBB1483_1412
; %bb.1404:                             ;   in Loop: Header=BB1483_1378 Depth=1
	s_and_not1_b32 vcc_lo, exec_lo, s26
	s_cbranch_vccnz .LBB1483_1410
; %bb.1405:                             ;   in Loop: Header=BB1483_1378 Depth=1
	v_mad_nc_u64_u32 v[4:5], s8, v15, s[18:19]
	v_mad_nc_u64_u32 v[6:7], s8, v22, s[18:19]
	s_mov_b32 s27, 0
	s_mov_b64 s[10:11], s[16:17]
                                        ; implicit-def: $sgpr28
                                        ; implicit-def: $sgpr29
                                        ; implicit-def: $sgpr30
                                        ; implicit-def: $sgpr31
	s_delay_alu instid0(VALU_DEP_2) | instskip(NEXT) | instid1(VALU_DEP_2)
	v_mad_u32 v5, s9, v15, v5
	v_mad_u32 v7, s9, v22, v7
	s_delay_alu instid0(VALU_DEP_2) | instskip(NEXT) | instid1(VALU_DEP_2)
	v_mad_u32 v5, s8, v14, v5
	v_mad_u32 v7, s8, v16, v7
	s_branch .LBB1483_1407
.LBB1483_1406:                          ;   in Loop: Header=BB1483_1407 Depth=2
	s_or_b32 exec_lo, exec_lo, s33
	s_delay_alu instid0(SALU_CYCLE_1) | instskip(NEXT) | instid1(SALU_CYCLE_1)
	s_and_b32 s33, exec_lo, s29
	s_or_b32 s27, s33, s27
	s_and_not1_b32 s31, s31, exec_lo
	s_and_b32 s7, s7, exec_lo
	s_and_not1_b32 s28, s28, exec_lo
	s_and_b32 s33, s30, exec_lo
	s_or_b32 s31, s31, s7
	s_or_b32 s28, s28, s33
	s_and_not1_b32 exec_lo, exec_lo, s27
	s_cbranch_execz .LBB1483_1409
.LBB1483_1407:                          ;   Parent Loop BB1483_1378 Depth=1
                                        ; =>  This Inner Loop Header: Depth=2
	global_load_b32 v10, v[4:5], off
	global_load_b32 v11, v[6:7], off
	s_and_not1_b32 s30, s30, exec_lo
	s_or_b32 s29, s29, exec_lo
	s_wait_loadcnt 0x0
	v_cmp_le_u32_e32 vcc_lo, v10, v11
	v_cmp_lt_u32_e64 s7, v10, v11
	s_and_b32 s33, vcc_lo, s31
	s_delay_alu instid0(SALU_CYCLE_1) | instskip(NEXT) | instid1(SALU_CYCLE_1)
	s_or_b32 s7, s7, s33
	s_and_b32 s33, s7, exec_lo
	s_delay_alu instid0(SALU_CYCLE_1)
	s_or_b32 s30, s30, s33
	s_mov_b32 s33, exec_lo
	v_cmpx_eq_u32_e64 v10, v11
	s_cbranch_execz .LBB1483_1406
; %bb.1408:                             ;   in Loop: Header=BB1483_1407 Depth=2
	s_add_nc_u64 s[10:11], s[10:11], -1
	v_add_nc_u64_e32 v[4:5], 4, v[4:5]
	s_cmp_eq_u64 s[10:11], 0
	v_add_nc_u64_e32 v[6:7], 4, v[6:7]
	s_cselect_b32 s31, -1, 0
	s_and_not1_b32 s29, s29, exec_lo
	s_and_b32 s31, s31, exec_lo
	s_and_not1_b32 s30, s30, exec_lo
	s_or_b32 s29, s29, s31
                                        ; implicit-def: $sgpr31
	s_branch .LBB1483_1406
.LBB1483_1409:                          ;   in Loop: Header=BB1483_1378 Depth=1
	s_or_b32 exec_lo, exec_lo, s27
	s_xor_b32 s7, s28, -1
	s_branch .LBB1483_1411
.LBB1483_1410:                          ;   in Loop: Header=BB1483_1378 Depth=1
	s_mov_b32 s7, -1
.LBB1483_1411:                          ;   in Loop: Header=BB1483_1378 Depth=1
	s_delay_alu instid0(SALU_CYCLE_1)
	s_and_b32 s7, s7, exec_lo
.LBB1483_1412:                          ;   in Loop: Header=BB1483_1378 Depth=1
	s_or_b32 exec_lo, exec_lo, s15
	s_delay_alu instid0(SALU_CYCLE_1)
	s_or_not1_b32 s15, s7, exec_lo
.LBB1483_1413:                          ;   in Loop: Header=BB1483_1378 Depth=1
	s_or_b32 exec_lo, exec_lo, s23
	v_cndmask_b32_e64 v4, v8, v9, s15
	v_cndmask_b32_e64 v5, v26, v25, s15
	s_mov_b32 s23, exec_lo
	s_delay_alu instid0(VALU_DEP_2) | instskip(NEXT) | instid1(VALU_DEP_1)
	v_add_nc_u32_e32 v6, 1, v4
	v_add_min_u32_e64 v4, v5, -1, v6
	v_dual_cndmask_b32 v8, v6, v8, s15 :: v_dual_cndmask_b32 v9, v9, v6, s15
	s_delay_alu instid0(VALU_DEP_2)
	v_lshlrev_b32_e32 v4, 3, v4
	ds_load_b64 v[4:5], v4
	s_wait_dscnt 0x0
	v_dual_cndmask_b32 v17, v5, v14, s15 :: v_dual_cndmask_b32 v23, v4, v15, s15
	v_dual_cndmask_b32 v27, v16, v5, s15 :: v_dual_cndmask_b32 v28, v22, v4, s15
	v_cmpx_lt_u32_e64 v8, v26
	s_cbranch_execz .LBB1483_1424
; %bb.1414:                             ;   in Loop: Header=BB1483_1378 Depth=1
	s_mov_b32 s7, 0
	s_mov_b32 s22, exec_lo
	v_cmpx_lt_u32_e64 v9, v25
	s_cbranch_execz .LBB1483_1423
; %bb.1415:                             ;   in Loop: Header=BB1483_1378 Depth=1
	s_and_not1_b32 vcc_lo, exec_lo, s26
	s_cbranch_vccnz .LBB1483_1421
; %bb.1416:                             ;   in Loop: Header=BB1483_1378 Depth=1
	v_mad_nc_u64_u32 v[4:5], s8, v23, s[18:19]
	v_mad_nc_u64_u32 v[6:7], s8, v28, s[18:19]
	s_mov_b32 s27, 0
	s_mov_b64 s[10:11], s[16:17]
                                        ; implicit-def: $sgpr28
                                        ; implicit-def: $sgpr29
                                        ; implicit-def: $sgpr30
                                        ; implicit-def: $sgpr31
	s_delay_alu instid0(VALU_DEP_2) | instskip(NEXT) | instid1(VALU_DEP_2)
	v_mad_u32 v5, s9, v23, v5
	v_mad_u32 v7, s9, v28, v7
	s_delay_alu instid0(VALU_DEP_2) | instskip(NEXT) | instid1(VALU_DEP_2)
	v_mad_u32 v5, s8, v17, v5
	v_mad_u32 v7, s8, v27, v7
	s_branch .LBB1483_1418
.LBB1483_1417:                          ;   in Loop: Header=BB1483_1418 Depth=2
	s_or_b32 exec_lo, exec_lo, s33
	s_delay_alu instid0(SALU_CYCLE_1) | instskip(NEXT) | instid1(SALU_CYCLE_1)
	s_and_b32 s33, exec_lo, s29
	s_or_b32 s27, s33, s27
	s_and_not1_b32 s31, s31, exec_lo
	s_and_b32 s7, s7, exec_lo
	s_and_not1_b32 s28, s28, exec_lo
	s_and_b32 s33, s30, exec_lo
	s_or_b32 s31, s31, s7
	s_or_b32 s28, s28, s33
	s_and_not1_b32 exec_lo, exec_lo, s27
	s_cbranch_execz .LBB1483_1420
.LBB1483_1418:                          ;   Parent Loop BB1483_1378 Depth=1
                                        ; =>  This Inner Loop Header: Depth=2
	global_load_b32 v10, v[4:5], off
	global_load_b32 v11, v[6:7], off
	s_and_not1_b32 s30, s30, exec_lo
	s_or_b32 s29, s29, exec_lo
	s_wait_loadcnt 0x0
	v_cmp_le_u32_e32 vcc_lo, v10, v11
	v_cmp_lt_u32_e64 s7, v10, v11
	s_and_b32 s33, vcc_lo, s31
	s_delay_alu instid0(SALU_CYCLE_1) | instskip(NEXT) | instid1(SALU_CYCLE_1)
	s_or_b32 s7, s7, s33
	s_and_b32 s33, s7, exec_lo
	s_delay_alu instid0(SALU_CYCLE_1)
	s_or_b32 s30, s30, s33
	s_mov_b32 s33, exec_lo
	v_cmpx_eq_u32_e64 v10, v11
	s_cbranch_execz .LBB1483_1417
; %bb.1419:                             ;   in Loop: Header=BB1483_1418 Depth=2
	s_add_nc_u64 s[10:11], s[10:11], -1
	v_add_nc_u64_e32 v[4:5], 4, v[4:5]
	s_cmp_eq_u64 s[10:11], 0
	v_add_nc_u64_e32 v[6:7], 4, v[6:7]
	s_cselect_b32 s31, -1, 0
	s_and_not1_b32 s29, s29, exec_lo
	s_and_b32 s31, s31, exec_lo
	s_and_not1_b32 s30, s30, exec_lo
	s_or_b32 s29, s29, s31
                                        ; implicit-def: $sgpr31
	s_branch .LBB1483_1417
.LBB1483_1420:                          ;   in Loop: Header=BB1483_1378 Depth=1
	s_or_b32 exec_lo, exec_lo, s27
	s_xor_b32 s7, s28, -1
	s_branch .LBB1483_1422
.LBB1483_1421:                          ;   in Loop: Header=BB1483_1378 Depth=1
	s_mov_b32 s7, -1
.LBB1483_1422:                          ;   in Loop: Header=BB1483_1378 Depth=1
	s_delay_alu instid0(SALU_CYCLE_1)
	s_and_b32 s7, s7, exec_lo
.LBB1483_1423:                          ;   in Loop: Header=BB1483_1378 Depth=1
	s_or_b32 exec_lo, exec_lo, s22
	s_delay_alu instid0(SALU_CYCLE_1)
	s_or_not1_b32 s22, s7, exec_lo
.LBB1483_1424:                          ;   in Loop: Header=BB1483_1378 Depth=1
	s_or_b32 exec_lo, exec_lo, s23
	v_cndmask_b32_e64 v4, v8, v9, s22
	v_cndmask_b32_e64 v5, v26, v25, s22
	s_mov_b32 s27, -1
	s_mov_b32 s23, -1
	s_mov_b32 s28, exec_lo
	v_add_nc_u32_e32 v6, 1, v4
	s_delay_alu instid0(VALU_DEP_1) | instskip(SKIP_1) | instid1(VALU_DEP_2)
	v_add_min_u32_e64 v4, v5, -1, v6
	v_dual_cndmask_b32 v8, v6, v8, s22 :: v_dual_cndmask_b32 v9, v9, v6, s22
	v_lshlrev_b32_e32 v4, 3, v4
	ds_load_b64 v[4:5], v4
	s_wait_dscnt 0x0
	v_dual_cndmask_b32 v12, v5, v17, s22 :: v_dual_cndmask_b32 v29, v4, v23, s22
	v_dual_cndmask_b32 v13, v27, v5, s22 :: v_dual_cndmask_b32 v30, v28, v4, s22
	v_cmpx_lt_u32_e64 v8, v26
	s_cbranch_execz .LBB1483_1435
; %bb.1425:                             ;   in Loop: Header=BB1483_1378 Depth=1
	s_mov_b32 s7, 0
	s_mov_b32 s23, exec_lo
	v_cmpx_lt_u32_e64 v9, v25
	s_cbranch_execz .LBB1483_1434
; %bb.1426:                             ;   in Loop: Header=BB1483_1378 Depth=1
	s_and_not1_b32 vcc_lo, exec_lo, s26
	s_cbranch_vccnz .LBB1483_1432
; %bb.1427:                             ;   in Loop: Header=BB1483_1378 Depth=1
	v_mad_nc_u64_u32 v[4:5], s8, v29, s[18:19]
	v_mad_nc_u64_u32 v[6:7], s8, v30, s[18:19]
	s_mov_b32 s29, 0
	s_mov_b64 s[10:11], s[16:17]
                                        ; implicit-def: $sgpr30
                                        ; implicit-def: $sgpr31
                                        ; implicit-def: $sgpr33
                                        ; implicit-def: $sgpr34
	s_delay_alu instid0(VALU_DEP_2) | instskip(NEXT) | instid1(VALU_DEP_2)
	v_mad_u32 v5, s9, v29, v5
	v_mad_u32 v7, s9, v30, v7
	s_delay_alu instid0(VALU_DEP_2) | instskip(NEXT) | instid1(VALU_DEP_2)
	v_mad_u32 v5, s8, v12, v5
	v_mad_u32 v7, s8, v13, v7
	s_branch .LBB1483_1429
.LBB1483_1428:                          ;   in Loop: Header=BB1483_1429 Depth=2
	s_or_b32 exec_lo, exec_lo, s35
	s_delay_alu instid0(SALU_CYCLE_1) | instskip(NEXT) | instid1(SALU_CYCLE_1)
	s_and_b32 s35, exec_lo, s31
	s_or_b32 s29, s35, s29
	s_and_not1_b32 s34, s34, exec_lo
	s_and_b32 s7, s7, exec_lo
	s_and_not1_b32 s30, s30, exec_lo
	s_and_b32 s35, s33, exec_lo
	s_or_b32 s34, s34, s7
	s_or_b32 s30, s30, s35
	s_and_not1_b32 exec_lo, exec_lo, s29
	s_cbranch_execz .LBB1483_1431
.LBB1483_1429:                          ;   Parent Loop BB1483_1378 Depth=1
                                        ; =>  This Inner Loop Header: Depth=2
	global_load_b32 v10, v[4:5], off
	global_load_b32 v11, v[6:7], off
	s_and_not1_b32 s33, s33, exec_lo
	s_or_b32 s31, s31, exec_lo
	s_wait_loadcnt 0x0
	v_cmp_le_u32_e32 vcc_lo, v10, v11
	v_cmp_lt_u32_e64 s7, v10, v11
	s_and_b32 s35, vcc_lo, s34
	s_delay_alu instid0(SALU_CYCLE_1) | instskip(NEXT) | instid1(SALU_CYCLE_1)
	s_or_b32 s7, s7, s35
	s_and_b32 s35, s7, exec_lo
	s_delay_alu instid0(SALU_CYCLE_1)
	s_or_b32 s33, s33, s35
	s_mov_b32 s35, exec_lo
	v_cmpx_eq_u32_e64 v10, v11
	s_cbranch_execz .LBB1483_1428
; %bb.1430:                             ;   in Loop: Header=BB1483_1429 Depth=2
	s_add_nc_u64 s[10:11], s[10:11], -1
	v_add_nc_u64_e32 v[4:5], 4, v[4:5]
	s_cmp_eq_u64 s[10:11], 0
	v_add_nc_u64_e32 v[6:7], 4, v[6:7]
	s_cselect_b32 s34, -1, 0
	s_and_not1_b32 s31, s31, exec_lo
	s_and_b32 s34, s34, exec_lo
	s_and_not1_b32 s33, s33, exec_lo
	s_or_b32 s31, s31, s34
                                        ; implicit-def: $sgpr34
	s_branch .LBB1483_1428
.LBB1483_1431:                          ;   in Loop: Header=BB1483_1378 Depth=1
	s_or_b32 exec_lo, exec_lo, s29
	s_xor_b32 s7, s30, -1
	s_branch .LBB1483_1433
.LBB1483_1432:                          ;   in Loop: Header=BB1483_1378 Depth=1
	s_mov_b32 s7, -1
.LBB1483_1433:                          ;   in Loop: Header=BB1483_1378 Depth=1
	s_delay_alu instid0(SALU_CYCLE_1)
	s_and_b32 s7, s7, exec_lo
.LBB1483_1434:                          ;   in Loop: Header=BB1483_1378 Depth=1
	s_or_b32 exec_lo, exec_lo, s23
	s_delay_alu instid0(SALU_CYCLE_1)
	s_or_not1_b32 s23, s7, exec_lo
.LBB1483_1435:                          ;   in Loop: Header=BB1483_1378 Depth=1
	s_or_b32 exec_lo, exec_lo, s28
	v_cndmask_b32_e64 v4, v8, v9, s23
	v_cndmask_b32_e64 v5, v26, v25, s23
	s_mov_b32 s28, exec_lo
	s_delay_alu instid0(VALU_DEP_2) | instskip(NEXT) | instid1(VALU_DEP_1)
	v_add_nc_u32_e32 v6, 1, v4
	v_add_min_u32_e64 v4, v5, -1, v6
	v_dual_cndmask_b32 v8, v6, v8, s23 :: v_dual_cndmask_b32 v9, v9, v6, s23
	s_delay_alu instid0(VALU_DEP_2)
	v_lshlrev_b32_e32 v4, 3, v4
	ds_load_b64 v[4:5], v4
	s_wait_dscnt 0x0
	v_dual_cndmask_b32 v31, v5, v12, s23 :: v_dual_cndmask_b32 v32, v4, v29, s23
	v_dual_cndmask_b32 v33, v13, v5, s23 :: v_dual_cndmask_b32 v34, v30, v4, s23
	v_cmpx_lt_u32_e64 v8, v26
	s_cbranch_execz .LBB1483_1446
; %bb.1436:                             ;   in Loop: Header=BB1483_1378 Depth=1
	s_mov_b32 s7, 0
	s_mov_b32 s27, exec_lo
	v_cmpx_lt_u32_e64 v9, v25
	s_cbranch_execz .LBB1483_1445
; %bb.1437:                             ;   in Loop: Header=BB1483_1378 Depth=1
	s_and_not1_b32 vcc_lo, exec_lo, s26
	s_cbranch_vccnz .LBB1483_1443
; %bb.1438:                             ;   in Loop: Header=BB1483_1378 Depth=1
	v_mad_nc_u64_u32 v[4:5], s8, v32, s[18:19]
	v_mad_nc_u64_u32 v[6:7], s8, v34, s[18:19]
	s_mov_b32 s29, 0
	s_mov_b64 s[10:11], s[16:17]
                                        ; implicit-def: $sgpr30
                                        ; implicit-def: $sgpr31
                                        ; implicit-def: $sgpr33
                                        ; implicit-def: $sgpr34
	s_delay_alu instid0(VALU_DEP_2) | instskip(NEXT) | instid1(VALU_DEP_2)
	v_mad_u32 v5, s9, v32, v5
	v_mad_u32 v7, s9, v34, v7
	s_delay_alu instid0(VALU_DEP_2) | instskip(NEXT) | instid1(VALU_DEP_2)
	v_mad_u32 v5, s8, v31, v5
	v_mad_u32 v7, s8, v33, v7
	s_branch .LBB1483_1440
.LBB1483_1439:                          ;   in Loop: Header=BB1483_1440 Depth=2
	s_or_b32 exec_lo, exec_lo, s35
	s_delay_alu instid0(SALU_CYCLE_1) | instskip(NEXT) | instid1(SALU_CYCLE_1)
	s_and_b32 s35, exec_lo, s31
	s_or_b32 s29, s35, s29
	s_and_not1_b32 s34, s34, exec_lo
	s_and_b32 s7, s7, exec_lo
	s_and_not1_b32 s30, s30, exec_lo
	s_and_b32 s35, s33, exec_lo
	s_or_b32 s34, s34, s7
	s_or_b32 s30, s30, s35
	s_and_not1_b32 exec_lo, exec_lo, s29
	s_cbranch_execz .LBB1483_1442
.LBB1483_1440:                          ;   Parent Loop BB1483_1378 Depth=1
                                        ; =>  This Inner Loop Header: Depth=2
	global_load_b32 v10, v[4:5], off
	global_load_b32 v11, v[6:7], off
	s_and_not1_b32 s33, s33, exec_lo
	s_or_b32 s31, s31, exec_lo
	s_wait_loadcnt 0x0
	v_cmp_le_u32_e32 vcc_lo, v10, v11
	v_cmp_lt_u32_e64 s7, v10, v11
	s_and_b32 s35, vcc_lo, s34
	s_delay_alu instid0(SALU_CYCLE_1) | instskip(NEXT) | instid1(SALU_CYCLE_1)
	s_or_b32 s7, s7, s35
	s_and_b32 s35, s7, exec_lo
	s_delay_alu instid0(SALU_CYCLE_1)
	s_or_b32 s33, s33, s35
	s_mov_b32 s35, exec_lo
	v_cmpx_eq_u32_e64 v10, v11
	s_cbranch_execz .LBB1483_1439
; %bb.1441:                             ;   in Loop: Header=BB1483_1440 Depth=2
	s_add_nc_u64 s[10:11], s[10:11], -1
	v_add_nc_u64_e32 v[4:5], 4, v[4:5]
	s_cmp_eq_u64 s[10:11], 0
	v_add_nc_u64_e32 v[6:7], 4, v[6:7]
	s_cselect_b32 s34, -1, 0
	s_and_not1_b32 s31, s31, exec_lo
	s_and_b32 s34, s34, exec_lo
	s_and_not1_b32 s33, s33, exec_lo
	s_or_b32 s31, s31, s34
                                        ; implicit-def: $sgpr34
	s_branch .LBB1483_1439
.LBB1483_1442:                          ;   in Loop: Header=BB1483_1378 Depth=1
	s_or_b32 exec_lo, exec_lo, s29
	s_xor_b32 s7, s30, -1
	s_branch .LBB1483_1444
.LBB1483_1443:                          ;   in Loop: Header=BB1483_1378 Depth=1
	s_mov_b32 s7, -1
.LBB1483_1444:                          ;   in Loop: Header=BB1483_1378 Depth=1
	s_delay_alu instid0(SALU_CYCLE_1)
	s_and_b32 s7, s7, exec_lo
.LBB1483_1445:                          ;   in Loop: Header=BB1483_1378 Depth=1
	s_or_b32 exec_lo, exec_lo, s27
	s_delay_alu instid0(SALU_CYCLE_1)
	s_or_not1_b32 s27, s7, exec_lo
.LBB1483_1446:                          ;   in Loop: Header=BB1483_1378 Depth=1
	s_or_b32 exec_lo, exec_lo, s28
	v_cndmask_b32_e64 v4, v8, v9, s27
	v_cndmask_b32_e64 v5, v26, v25, s27
	s_mov_b32 s28, -1
	s_mov_b32 s29, -1
	s_mov_b32 s30, exec_lo
	v_add_nc_u32_e32 v6, 1, v4
	s_delay_alu instid0(VALU_DEP_1) | instskip(SKIP_1) | instid1(VALU_DEP_2)
	v_add_min_u32_e64 v4, v5, -1, v6
	v_dual_cndmask_b32 v8, v6, v8, s27 :: v_dual_cndmask_b32 v9, v9, v6, s27
	v_lshlrev_b32_e32 v4, 3, v4
	ds_load_b64 v[4:5], v4
	s_wait_dscnt 0x0
	v_dual_cndmask_b32 v35, v5, v31, s27 :: v_dual_cndmask_b32 v43, v4, v32, s27
	v_dual_cndmask_b32 v44, v33, v5, s27 :: v_dual_cndmask_b32 v45, v34, v4, s27
	v_cmpx_lt_u32_e64 v8, v26
	s_cbranch_execz .LBB1483_1457
; %bb.1447:                             ;   in Loop: Header=BB1483_1378 Depth=1
	s_mov_b32 s7, 0
	s_mov_b32 s29, exec_lo
	v_cmpx_lt_u32_e64 v9, v25
	s_cbranch_execz .LBB1483_1456
; %bb.1448:                             ;   in Loop: Header=BB1483_1378 Depth=1
	s_and_not1_b32 vcc_lo, exec_lo, s26
	s_cbranch_vccnz .LBB1483_1454
; %bb.1449:                             ;   in Loop: Header=BB1483_1378 Depth=1
	v_mad_nc_u64_u32 v[4:5], s8, v43, s[18:19]
	v_mad_nc_u64_u32 v[6:7], s8, v45, s[18:19]
	s_mov_b32 s31, 0
	s_mov_b64 s[10:11], s[16:17]
                                        ; implicit-def: $sgpr33
                                        ; implicit-def: $sgpr34
                                        ; implicit-def: $sgpr35
                                        ; implicit-def: $sgpr36
	s_delay_alu instid0(VALU_DEP_2) | instskip(NEXT) | instid1(VALU_DEP_2)
	v_mad_u32 v5, s9, v43, v5
	v_mad_u32 v7, s9, v45, v7
	s_delay_alu instid0(VALU_DEP_2) | instskip(NEXT) | instid1(VALU_DEP_2)
	v_mad_u32 v5, s8, v35, v5
	v_mad_u32 v7, s8, v44, v7
	s_branch .LBB1483_1451
.LBB1483_1450:                          ;   in Loop: Header=BB1483_1451 Depth=2
	s_or_b32 exec_lo, exec_lo, s37
	s_delay_alu instid0(SALU_CYCLE_1) | instskip(NEXT) | instid1(SALU_CYCLE_1)
	s_and_b32 s37, exec_lo, s34
	s_or_b32 s31, s37, s31
	s_and_not1_b32 s36, s36, exec_lo
	s_and_b32 s7, s7, exec_lo
	s_and_not1_b32 s33, s33, exec_lo
	s_and_b32 s37, s35, exec_lo
	s_or_b32 s36, s36, s7
	s_or_b32 s33, s33, s37
	s_and_not1_b32 exec_lo, exec_lo, s31
	s_cbranch_execz .LBB1483_1453
.LBB1483_1451:                          ;   Parent Loop BB1483_1378 Depth=1
                                        ; =>  This Inner Loop Header: Depth=2
	global_load_b32 v10, v[4:5], off
	global_load_b32 v11, v[6:7], off
	s_and_not1_b32 s35, s35, exec_lo
	s_or_b32 s34, s34, exec_lo
	s_wait_loadcnt 0x0
	v_cmp_le_u32_e32 vcc_lo, v10, v11
	v_cmp_lt_u32_e64 s7, v10, v11
	s_and_b32 s37, vcc_lo, s36
	s_delay_alu instid0(SALU_CYCLE_1) | instskip(NEXT) | instid1(SALU_CYCLE_1)
	s_or_b32 s7, s7, s37
	s_and_b32 s37, s7, exec_lo
	s_delay_alu instid0(SALU_CYCLE_1)
	s_or_b32 s35, s35, s37
	s_mov_b32 s37, exec_lo
	v_cmpx_eq_u32_e64 v10, v11
	s_cbranch_execz .LBB1483_1450
; %bb.1452:                             ;   in Loop: Header=BB1483_1451 Depth=2
	s_add_nc_u64 s[10:11], s[10:11], -1
	v_add_nc_u64_e32 v[4:5], 4, v[4:5]
	s_cmp_eq_u64 s[10:11], 0
	v_add_nc_u64_e32 v[6:7], 4, v[6:7]
	s_cselect_b32 s36, -1, 0
	s_and_not1_b32 s34, s34, exec_lo
	s_and_b32 s36, s36, exec_lo
	s_and_not1_b32 s35, s35, exec_lo
	s_or_b32 s34, s34, s36
                                        ; implicit-def: $sgpr36
	s_branch .LBB1483_1450
.LBB1483_1453:                          ;   in Loop: Header=BB1483_1378 Depth=1
	s_or_b32 exec_lo, exec_lo, s31
	s_xor_b32 s7, s33, -1
	s_branch .LBB1483_1455
.LBB1483_1454:                          ;   in Loop: Header=BB1483_1378 Depth=1
	s_mov_b32 s7, -1
.LBB1483_1455:                          ;   in Loop: Header=BB1483_1378 Depth=1
	s_delay_alu instid0(SALU_CYCLE_1)
	s_and_b32 s7, s7, exec_lo
.LBB1483_1456:                          ;   in Loop: Header=BB1483_1378 Depth=1
	s_or_b32 exec_lo, exec_lo, s29
	s_delay_alu instid0(SALU_CYCLE_1)
	s_or_not1_b32 s29, s7, exec_lo
.LBB1483_1457:                          ;   in Loop: Header=BB1483_1378 Depth=1
	s_or_b32 exec_lo, exec_lo, s30
	v_cndmask_b32_e64 v4, v8, v9, s29
	v_cndmask_b32_e64 v5, v26, v25, s29
	s_mov_b32 s30, exec_lo
	s_delay_alu instid0(VALU_DEP_2) | instskip(NEXT) | instid1(VALU_DEP_1)
	v_add_nc_u32_e32 v6, 1, v4
	v_add_min_u32_e64 v4, v5, -1, v6
	v_dual_cndmask_b32 v10, v6, v8, s29 :: v_dual_cndmask_b32 v8, v9, v6, s29
	s_delay_alu instid0(VALU_DEP_2)
	v_lshlrev_b32_e32 v4, 3, v4
	ds_load_b64 v[4:5], v4
	s_wait_dscnt 0x0
	v_dual_cndmask_b32 v46, v5, v35, s29 :: v_dual_cndmask_b32 v48, v44, v5, s29
	v_dual_cndmask_b32 v47, v4, v43, s29 :: v_dual_cndmask_b32 v49, v45, v4, s29
	v_cmpx_lt_u32_e64 v10, v26
	s_cbranch_execz .LBB1483_1468
; %bb.1458:                             ;   in Loop: Header=BB1483_1378 Depth=1
	s_mov_b32 s7, 0
	s_mov_b32 s28, exec_lo
	v_cmpx_lt_u32_e64 v8, v25
	s_cbranch_execz .LBB1483_1467
; %bb.1459:                             ;   in Loop: Header=BB1483_1378 Depth=1
	s_and_not1_b32 vcc_lo, exec_lo, s26
	s_cbranch_vccnz .LBB1483_1465
; %bb.1460:                             ;   in Loop: Header=BB1483_1378 Depth=1
	v_mad_nc_u64_u32 v[4:5], s8, v47, s[18:19]
	v_mad_nc_u64_u32 v[6:7], s8, v49, s[18:19]
	s_mov_b32 s31, 0
	s_mov_b64 s[10:11], s[16:17]
                                        ; implicit-def: $sgpr33
                                        ; implicit-def: $sgpr34
                                        ; implicit-def: $sgpr35
                                        ; implicit-def: $sgpr36
	s_delay_alu instid0(VALU_DEP_2) | instskip(NEXT) | instid1(VALU_DEP_2)
	v_mad_u32 v5, s9, v47, v5
	v_mad_u32 v7, s9, v49, v7
	s_delay_alu instid0(VALU_DEP_2) | instskip(NEXT) | instid1(VALU_DEP_2)
	v_mad_u32 v5, s8, v46, v5
	v_mad_u32 v7, s8, v48, v7
	s_branch .LBB1483_1462
.LBB1483_1461:                          ;   in Loop: Header=BB1483_1462 Depth=2
	s_or_b32 exec_lo, exec_lo, s37
	s_delay_alu instid0(SALU_CYCLE_1) | instskip(NEXT) | instid1(SALU_CYCLE_1)
	s_and_b32 s37, exec_lo, s34
	s_or_b32 s31, s37, s31
	s_and_not1_b32 s36, s36, exec_lo
	s_and_b32 s7, s7, exec_lo
	s_and_not1_b32 s33, s33, exec_lo
	s_and_b32 s37, s35, exec_lo
	s_or_b32 s36, s36, s7
	s_or_b32 s33, s33, s37
	s_and_not1_b32 exec_lo, exec_lo, s31
	s_cbranch_execz .LBB1483_1464
.LBB1483_1462:                          ;   Parent Loop BB1483_1378 Depth=1
                                        ; =>  This Inner Loop Header: Depth=2
	global_load_b32 v9, v[4:5], off
	global_load_b32 v11, v[6:7], off
	s_and_not1_b32 s35, s35, exec_lo
	s_or_b32 s34, s34, exec_lo
	s_wait_loadcnt 0x0
	v_cmp_le_u32_e32 vcc_lo, v9, v11
	v_cmp_lt_u32_e64 s7, v9, v11
	s_and_b32 s37, vcc_lo, s36
	s_delay_alu instid0(SALU_CYCLE_1) | instskip(NEXT) | instid1(SALU_CYCLE_1)
	s_or_b32 s7, s7, s37
	s_and_b32 s37, s7, exec_lo
	s_delay_alu instid0(SALU_CYCLE_1)
	s_or_b32 s35, s35, s37
	s_mov_b32 s37, exec_lo
	v_cmpx_eq_u32_e64 v9, v11
	s_cbranch_execz .LBB1483_1461
; %bb.1463:                             ;   in Loop: Header=BB1483_1462 Depth=2
	s_add_nc_u64 s[10:11], s[10:11], -1
	v_add_nc_u64_e32 v[4:5], 4, v[4:5]
	s_cmp_eq_u64 s[10:11], 0
	v_add_nc_u64_e32 v[6:7], 4, v[6:7]
	s_cselect_b32 s36, -1, 0
	s_and_not1_b32 s34, s34, exec_lo
	s_and_b32 s36, s36, exec_lo
	s_and_not1_b32 s35, s35, exec_lo
	s_or_b32 s34, s34, s36
                                        ; implicit-def: $sgpr36
	s_branch .LBB1483_1461
.LBB1483_1464:                          ;   in Loop: Header=BB1483_1378 Depth=1
	s_or_b32 exec_lo, exec_lo, s31
	s_xor_b32 s7, s33, -1
	s_branch .LBB1483_1466
.LBB1483_1465:                          ;   in Loop: Header=BB1483_1378 Depth=1
	s_mov_b32 s7, -1
.LBB1483_1466:                          ;   in Loop: Header=BB1483_1378 Depth=1
	s_delay_alu instid0(SALU_CYCLE_1)
	s_and_b32 s7, s7, exec_lo
.LBB1483_1467:                          ;   in Loop: Header=BB1483_1378 Depth=1
	s_or_b32 exec_lo, exec_lo, s28
	s_delay_alu instid0(SALU_CYCLE_1)
	s_or_not1_b32 s28, s7, exec_lo
.LBB1483_1468:                          ;   in Loop: Header=BB1483_1378 Depth=1
	s_or_b32 exec_lo, exec_lo, s30
	v_cndmask_b32_e64 v4, v10, v8, s28
	v_cndmask_b32_e64 v5, v26, v25, s28
	s_mov_b32 s30, exec_lo
	s_delay_alu instid0(VALU_DEP_2) | instskip(NEXT) | instid1(VALU_DEP_1)
	v_add_nc_u32_e32 v9, 1, v4
	v_add_min_u32_e64 v4, v5, -1, v9
	s_delay_alu instid0(VALU_DEP_1)
	v_dual_cndmask_b32 v10, v9, v10, s28 :: v_dual_lshlrev_b32 v4, 3, v4
	ds_load_b64 v[6:7], v4
	s_wait_dscnt 0x0
	v_dual_cndmask_b32 v5, v48, v7, s28 :: v_dual_cndmask_b32 v4, v49, v6, s28
	v_cmpx_lt_u32_e64 v10, v26
	s_cbranch_execz .LBB1483_1376
; %bb.1469:                             ;   in Loop: Header=BB1483_1378 Depth=1
	v_dual_cndmask_b32 v8, v8, v9, s28 :: v_dual_cndmask_b32 v7, v7, v46, s28
	v_cndmask_b32_e64 v6, v6, v47, s28
	s_mov_b32 s31, exec_lo
	s_delay_alu instid0(VALU_DEP_2)
	v_cmpx_lt_u32_e64 v8, v25
	s_cbranch_execz .LBB1483_1375
; %bb.1470:                             ;   in Loop: Header=BB1483_1378 Depth=1
	s_and_not1_b32 vcc_lo, exec_lo, s26
	s_cbranch_vccnz .LBB1483_1374
; %bb.1471:                             ;   in Loop: Header=BB1483_1378 Depth=1
	v_mad_nc_u64_u32 v[8:9], s8, v6, s[18:19]
	v_mad_nc_u64_u32 v[10:11], s8, v4, s[18:19]
	s_mov_b32 s33, 0
	s_mov_b64 s[10:11], s[16:17]
                                        ; implicit-def: $sgpr34
                                        ; implicit-def: $sgpr35
                                        ; implicit-def: $sgpr36
                                        ; implicit-def: $sgpr37
	s_delay_alu instid0(VALU_DEP_2) | instskip(NEXT) | instid1(VALU_DEP_2)
	v_mad_u32 v9, s9, v6, v9
	v_mad_u32 v11, s9, v4, v11
	s_delay_alu instid0(VALU_DEP_2) | instskip(NEXT) | instid1(VALU_DEP_2)
	v_mad_u32 v9, s8, v7, v9
	v_mad_u32 v11, s8, v5, v11
	s_branch .LBB1483_1473
.LBB1483_1472:                          ;   in Loop: Header=BB1483_1473 Depth=2
	s_or_b32 exec_lo, exec_lo, s38
	s_delay_alu instid0(SALU_CYCLE_1) | instskip(NEXT) | instid1(SALU_CYCLE_1)
	s_and_b32 s38, exec_lo, s35
	s_or_b32 s33, s38, s33
	s_and_not1_b32 s37, s37, exec_lo
	s_and_b32 s7, s7, exec_lo
	s_and_not1_b32 s34, s34, exec_lo
	s_and_b32 s38, s36, exec_lo
	s_or_b32 s37, s37, s7
	s_or_b32 s34, s34, s38
	s_and_not1_b32 exec_lo, exec_lo, s33
	s_cbranch_execz .LBB1483_1373
.LBB1483_1473:                          ;   Parent Loop BB1483_1378 Depth=1
                                        ; =>  This Inner Loop Header: Depth=2
	global_load_b32 v25, v[8:9], off
	global_load_b32 v26, v[10:11], off
	s_and_not1_b32 s36, s36, exec_lo
	s_or_b32 s35, s35, exec_lo
	s_wait_loadcnt 0x0
	v_cmp_le_u32_e32 vcc_lo, v25, v26
	v_cmp_lt_u32_e64 s7, v25, v26
	s_and_b32 s38, vcc_lo, s37
	s_delay_alu instid0(SALU_CYCLE_1) | instskip(NEXT) | instid1(SALU_CYCLE_1)
	s_or_b32 s7, s7, s38
	s_and_b32 s38, s7, exec_lo
	s_delay_alu instid0(SALU_CYCLE_1)
	s_or_b32 s36, s36, s38
	s_mov_b32 s38, exec_lo
	v_cmpx_eq_u32_e64 v25, v26
	s_cbranch_execz .LBB1483_1472
; %bb.1474:                             ;   in Loop: Header=BB1483_1473 Depth=2
	s_add_nc_u64 s[10:11], s[10:11], -1
	v_add_nc_u64_e32 v[8:9], 4, v[8:9]
	s_cmp_eq_u64 s[10:11], 0
	v_add_nc_u64_e32 v[10:11], 4, v[10:11]
	s_cselect_b32 s37, -1, 0
	s_and_not1_b32 s35, s35, exec_lo
	s_and_b32 s37, s37, exec_lo
	s_and_not1_b32 s36, s36, exec_lo
	s_or_b32 s35, s35, s37
                                        ; implicit-def: $sgpr37
	s_branch .LBB1483_1472
.LBB1483_1475:
	s_barrier_signal -1
	s_barrier_wait -1
	ds_store_2addr_b64 v42, v[14:15], v[16:17] offset1:1
	ds_store_2addr_b64 v42, v[10:11], v[12:13] offset0:2 offset1:3
	ds_store_2addr_b64 v42, v[6:7], v[8:9] offset0:4 offset1:5
	;; [unrolled: 1-line block ×3, first 2 shown]
	s_wait_dscnt 0x0
	s_barrier_signal -1
	s_barrier_wait -1
	ds_load_b64 v[14:15], v21 offset:2048
	ds_load_b64 v[12:13], v36 offset:4096
	;; [unrolled: 1-line block ×7, first 2 shown]
	v_mov_b32_e32 v21, 0
	s_delay_alu instid0(VALU_DEP_1)
	v_add_nc_u64_e32 v[4:5], s[20:21], v[20:21]
	s_and_saveexec_b32 s7, s0
	s_cbranch_execnz .LBB1483_1487
; %bb.1476:
	s_or_b32 exec_lo, exec_lo, s7
	s_and_saveexec_b32 s0, s1
	s_cbranch_execnz .LBB1483_1488
.LBB1483_1477:
	s_or_b32 exec_lo, exec_lo, s0
	s_and_saveexec_b32 s0, s2
	s_cbranch_execnz .LBB1483_1489
.LBB1483_1478:
	s_or_b32 exec_lo, exec_lo, s0
	s_and_saveexec_b32 s0, s3
	s_cbranch_execnz .LBB1483_1490
.LBB1483_1479:
	s_or_b32 exec_lo, exec_lo, s0
	s_and_saveexec_b32 s0, s4
	s_cbranch_execnz .LBB1483_1491
.LBB1483_1480:
	s_or_b32 exec_lo, exec_lo, s0
	s_and_saveexec_b32 s0, s5
	s_cbranch_execnz .LBB1483_1492
.LBB1483_1481:
	s_or_b32 exec_lo, exec_lo, s0
	s_and_saveexec_b32 s0, s6
	s_cbranch_execz .LBB1483_1483
.LBB1483_1482:
	s_wait_dscnt 0x1
	global_store_b64 v[4:5], v[0:1], off offset:12288
.LBB1483_1483:
	s_wait_xcnt 0x0
	s_or_b32 exec_lo, exec_lo, s0
	v_mov_b32_e32 v19, v21
.LBB1483_1484:
	s_wait_xcnt 0x0
	s_and_saveexec_b32 s0, s24
	s_cbranch_execz .LBB1483_1486
; %bb.1485:
	s_wait_dscnt 0x1
	v_lshl_add_u64 v[0:1], v[18:19], 3, s[20:21]
	s_wait_dscnt 0x0
	global_store_b64 v[0:1], v[2:3], off offset:14336
.LBB1483_1486:
	s_endpgm
.LBB1483_1487:
	ds_load_b64 v[16:17], v19
	s_wait_dscnt 0x0
	global_store_b64 v[4:5], v[16:17], off
	s_wait_xcnt 0x0
	s_or_b32 exec_lo, exec_lo, s7
	s_and_saveexec_b32 s0, s1
	s_cbranch_execz .LBB1483_1477
.LBB1483_1488:
	s_wait_dscnt 0x6
	global_store_b64 v[4:5], v[14:15], off offset:2048
	s_wait_xcnt 0x0
	s_or_b32 exec_lo, exec_lo, s0
	s_and_saveexec_b32 s0, s2
	s_cbranch_execz .LBB1483_1478
.LBB1483_1489:
	s_wait_dscnt 0x5
	global_store_b64 v[4:5], v[12:13], off offset:4096
	s_wait_xcnt 0x0
	s_or_b32 exec_lo, exec_lo, s0
	s_and_saveexec_b32 s0, s3
	s_cbranch_execz .LBB1483_1479
.LBB1483_1490:
	s_wait_dscnt 0x4
	global_store_b64 v[4:5], v[10:11], off offset:6144
	s_wait_xcnt 0x0
	s_or_b32 exec_lo, exec_lo, s0
	s_and_saveexec_b32 s0, s4
	s_cbranch_execz .LBB1483_1480
.LBB1483_1491:
	s_wait_dscnt 0x3
	global_store_b64 v[4:5], v[8:9], off offset:8192
	s_wait_xcnt 0x0
	s_or_b32 exec_lo, exec_lo, s0
	s_and_saveexec_b32 s0, s5
	s_cbranch_execz .LBB1483_1481
.LBB1483_1492:
	s_wait_dscnt 0x2
	global_store_b64 v[4:5], v[6:7], off offset:10240
	s_wait_xcnt 0x0
	s_or_b32 exec_lo, exec_lo, s0
	s_and_saveexec_b32 s0, s6
	s_cbranch_execnz .LBB1483_1482
	s_branch .LBB1483_1483
	.section	.rodata,"a",@progbits
	.p2align	6, 0x0
	.amdhsa_kernel _ZN7rocprim17ROCPRIM_400000_NS6detail17trampoline_kernelINS0_14default_configENS1_37merge_sort_block_sort_config_selectorIlNS0_10empty_typeEEEZNS1_21merge_sort_block_sortIS3_PlS8_PS5_S9_ZN2at6native12_GLOBAL__N_124unique_dim_cuda_templateIjEESt5tupleIJNSA_6TensorESF_SF_EERKSF_lbbbEUlllE_EE10hipError_tT0_T1_T2_T3_mRjT4_P12ihipStream_tbNS1_7vsmem_tEEUlT_E_NS1_11comp_targetILNS1_3genE0ELNS1_11target_archE4294967295ELNS1_3gpuE0ELNS1_3repE0EEENS1_30default_config_static_selectorELNS0_4arch9wavefront6targetE0EEEvSM_
		.amdhsa_group_segment_fixed_size 16896
		.amdhsa_private_segment_fixed_size 0
		.amdhsa_kernarg_size 328
		.amdhsa_user_sgpr_count 2
		.amdhsa_user_sgpr_dispatch_ptr 0
		.amdhsa_user_sgpr_queue_ptr 0
		.amdhsa_user_sgpr_kernarg_segment_ptr 1
		.amdhsa_user_sgpr_dispatch_id 0
		.amdhsa_user_sgpr_kernarg_preload_length 0
		.amdhsa_user_sgpr_kernarg_preload_offset 0
		.amdhsa_user_sgpr_private_segment_size 0
		.amdhsa_wavefront_size32 1
		.amdhsa_uses_dynamic_stack 0
		.amdhsa_enable_private_segment 0
		.amdhsa_system_sgpr_workgroup_id_x 1
		.amdhsa_system_sgpr_workgroup_id_y 1
		.amdhsa_system_sgpr_workgroup_id_z 1
		.amdhsa_system_sgpr_workgroup_info 0
		.amdhsa_system_vgpr_workitem_id 2
		.amdhsa_next_free_vgpr 56
		.amdhsa_next_free_sgpr 39
		.amdhsa_named_barrier_count 0
		.amdhsa_reserve_vcc 1
		.amdhsa_float_round_mode_32 0
		.amdhsa_float_round_mode_16_64 0
		.amdhsa_float_denorm_mode_32 3
		.amdhsa_float_denorm_mode_16_64 3
		.amdhsa_fp16_overflow 0
		.amdhsa_memory_ordered 1
		.amdhsa_forward_progress 1
		.amdhsa_inst_pref_size 255
		.amdhsa_round_robin_scheduling 0
		.amdhsa_exception_fp_ieee_invalid_op 0
		.amdhsa_exception_fp_denorm_src 0
		.amdhsa_exception_fp_ieee_div_zero 0
		.amdhsa_exception_fp_ieee_overflow 0
		.amdhsa_exception_fp_ieee_underflow 0
		.amdhsa_exception_fp_ieee_inexact 0
		.amdhsa_exception_int_div_zero 0
	.end_amdhsa_kernel
	.section	.text._ZN7rocprim17ROCPRIM_400000_NS6detail17trampoline_kernelINS0_14default_configENS1_37merge_sort_block_sort_config_selectorIlNS0_10empty_typeEEEZNS1_21merge_sort_block_sortIS3_PlS8_PS5_S9_ZN2at6native12_GLOBAL__N_124unique_dim_cuda_templateIjEESt5tupleIJNSA_6TensorESF_SF_EERKSF_lbbbEUlllE_EE10hipError_tT0_T1_T2_T3_mRjT4_P12ihipStream_tbNS1_7vsmem_tEEUlT_E_NS1_11comp_targetILNS1_3genE0ELNS1_11target_archE4294967295ELNS1_3gpuE0ELNS1_3repE0EEENS1_30default_config_static_selectorELNS0_4arch9wavefront6targetE0EEEvSM_,"axG",@progbits,_ZN7rocprim17ROCPRIM_400000_NS6detail17trampoline_kernelINS0_14default_configENS1_37merge_sort_block_sort_config_selectorIlNS0_10empty_typeEEEZNS1_21merge_sort_block_sortIS3_PlS8_PS5_S9_ZN2at6native12_GLOBAL__N_124unique_dim_cuda_templateIjEESt5tupleIJNSA_6TensorESF_SF_EERKSF_lbbbEUlllE_EE10hipError_tT0_T1_T2_T3_mRjT4_P12ihipStream_tbNS1_7vsmem_tEEUlT_E_NS1_11comp_targetILNS1_3genE0ELNS1_11target_archE4294967295ELNS1_3gpuE0ELNS1_3repE0EEENS1_30default_config_static_selectorELNS0_4arch9wavefront6targetE0EEEvSM_,comdat
.Lfunc_end1483:
	.size	_ZN7rocprim17ROCPRIM_400000_NS6detail17trampoline_kernelINS0_14default_configENS1_37merge_sort_block_sort_config_selectorIlNS0_10empty_typeEEEZNS1_21merge_sort_block_sortIS3_PlS8_PS5_S9_ZN2at6native12_GLOBAL__N_124unique_dim_cuda_templateIjEESt5tupleIJNSA_6TensorESF_SF_EERKSF_lbbbEUlllE_EE10hipError_tT0_T1_T2_T3_mRjT4_P12ihipStream_tbNS1_7vsmem_tEEUlT_E_NS1_11comp_targetILNS1_3genE0ELNS1_11target_archE4294967295ELNS1_3gpuE0ELNS1_3repE0EEENS1_30default_config_static_selectorELNS0_4arch9wavefront6targetE0EEEvSM_, .Lfunc_end1483-_ZN7rocprim17ROCPRIM_400000_NS6detail17trampoline_kernelINS0_14default_configENS1_37merge_sort_block_sort_config_selectorIlNS0_10empty_typeEEEZNS1_21merge_sort_block_sortIS3_PlS8_PS5_S9_ZN2at6native12_GLOBAL__N_124unique_dim_cuda_templateIjEESt5tupleIJNSA_6TensorESF_SF_EERKSF_lbbbEUlllE_EE10hipError_tT0_T1_T2_T3_mRjT4_P12ihipStream_tbNS1_7vsmem_tEEUlT_E_NS1_11comp_targetILNS1_3genE0ELNS1_11target_archE4294967295ELNS1_3gpuE0ELNS1_3repE0EEENS1_30default_config_static_selectorELNS0_4arch9wavefront6targetE0EEEvSM_
                                        ; -- End function
	.set _ZN7rocprim17ROCPRIM_400000_NS6detail17trampoline_kernelINS0_14default_configENS1_37merge_sort_block_sort_config_selectorIlNS0_10empty_typeEEEZNS1_21merge_sort_block_sortIS3_PlS8_PS5_S9_ZN2at6native12_GLOBAL__N_124unique_dim_cuda_templateIjEESt5tupleIJNSA_6TensorESF_SF_EERKSF_lbbbEUlllE_EE10hipError_tT0_T1_T2_T3_mRjT4_P12ihipStream_tbNS1_7vsmem_tEEUlT_E_NS1_11comp_targetILNS1_3genE0ELNS1_11target_archE4294967295ELNS1_3gpuE0ELNS1_3repE0EEENS1_30default_config_static_selectorELNS0_4arch9wavefront6targetE0EEEvSM_.num_vgpr, 56
	.set _ZN7rocprim17ROCPRIM_400000_NS6detail17trampoline_kernelINS0_14default_configENS1_37merge_sort_block_sort_config_selectorIlNS0_10empty_typeEEEZNS1_21merge_sort_block_sortIS3_PlS8_PS5_S9_ZN2at6native12_GLOBAL__N_124unique_dim_cuda_templateIjEESt5tupleIJNSA_6TensorESF_SF_EERKSF_lbbbEUlllE_EE10hipError_tT0_T1_T2_T3_mRjT4_P12ihipStream_tbNS1_7vsmem_tEEUlT_E_NS1_11comp_targetILNS1_3genE0ELNS1_11target_archE4294967295ELNS1_3gpuE0ELNS1_3repE0EEENS1_30default_config_static_selectorELNS0_4arch9wavefront6targetE0EEEvSM_.num_agpr, 0
	.set _ZN7rocprim17ROCPRIM_400000_NS6detail17trampoline_kernelINS0_14default_configENS1_37merge_sort_block_sort_config_selectorIlNS0_10empty_typeEEEZNS1_21merge_sort_block_sortIS3_PlS8_PS5_S9_ZN2at6native12_GLOBAL__N_124unique_dim_cuda_templateIjEESt5tupleIJNSA_6TensorESF_SF_EERKSF_lbbbEUlllE_EE10hipError_tT0_T1_T2_T3_mRjT4_P12ihipStream_tbNS1_7vsmem_tEEUlT_E_NS1_11comp_targetILNS1_3genE0ELNS1_11target_archE4294967295ELNS1_3gpuE0ELNS1_3repE0EEENS1_30default_config_static_selectorELNS0_4arch9wavefront6targetE0EEEvSM_.numbered_sgpr, 39
	.set _ZN7rocprim17ROCPRIM_400000_NS6detail17trampoline_kernelINS0_14default_configENS1_37merge_sort_block_sort_config_selectorIlNS0_10empty_typeEEEZNS1_21merge_sort_block_sortIS3_PlS8_PS5_S9_ZN2at6native12_GLOBAL__N_124unique_dim_cuda_templateIjEESt5tupleIJNSA_6TensorESF_SF_EERKSF_lbbbEUlllE_EE10hipError_tT0_T1_T2_T3_mRjT4_P12ihipStream_tbNS1_7vsmem_tEEUlT_E_NS1_11comp_targetILNS1_3genE0ELNS1_11target_archE4294967295ELNS1_3gpuE0ELNS1_3repE0EEENS1_30default_config_static_selectorELNS0_4arch9wavefront6targetE0EEEvSM_.num_named_barrier, 0
	.set _ZN7rocprim17ROCPRIM_400000_NS6detail17trampoline_kernelINS0_14default_configENS1_37merge_sort_block_sort_config_selectorIlNS0_10empty_typeEEEZNS1_21merge_sort_block_sortIS3_PlS8_PS5_S9_ZN2at6native12_GLOBAL__N_124unique_dim_cuda_templateIjEESt5tupleIJNSA_6TensorESF_SF_EERKSF_lbbbEUlllE_EE10hipError_tT0_T1_T2_T3_mRjT4_P12ihipStream_tbNS1_7vsmem_tEEUlT_E_NS1_11comp_targetILNS1_3genE0ELNS1_11target_archE4294967295ELNS1_3gpuE0ELNS1_3repE0EEENS1_30default_config_static_selectorELNS0_4arch9wavefront6targetE0EEEvSM_.private_seg_size, 0
	.set _ZN7rocprim17ROCPRIM_400000_NS6detail17trampoline_kernelINS0_14default_configENS1_37merge_sort_block_sort_config_selectorIlNS0_10empty_typeEEEZNS1_21merge_sort_block_sortIS3_PlS8_PS5_S9_ZN2at6native12_GLOBAL__N_124unique_dim_cuda_templateIjEESt5tupleIJNSA_6TensorESF_SF_EERKSF_lbbbEUlllE_EE10hipError_tT0_T1_T2_T3_mRjT4_P12ihipStream_tbNS1_7vsmem_tEEUlT_E_NS1_11comp_targetILNS1_3genE0ELNS1_11target_archE4294967295ELNS1_3gpuE0ELNS1_3repE0EEENS1_30default_config_static_selectorELNS0_4arch9wavefront6targetE0EEEvSM_.uses_vcc, 1
	.set _ZN7rocprim17ROCPRIM_400000_NS6detail17trampoline_kernelINS0_14default_configENS1_37merge_sort_block_sort_config_selectorIlNS0_10empty_typeEEEZNS1_21merge_sort_block_sortIS3_PlS8_PS5_S9_ZN2at6native12_GLOBAL__N_124unique_dim_cuda_templateIjEESt5tupleIJNSA_6TensorESF_SF_EERKSF_lbbbEUlllE_EE10hipError_tT0_T1_T2_T3_mRjT4_P12ihipStream_tbNS1_7vsmem_tEEUlT_E_NS1_11comp_targetILNS1_3genE0ELNS1_11target_archE4294967295ELNS1_3gpuE0ELNS1_3repE0EEENS1_30default_config_static_selectorELNS0_4arch9wavefront6targetE0EEEvSM_.uses_flat_scratch, 0
	.set _ZN7rocprim17ROCPRIM_400000_NS6detail17trampoline_kernelINS0_14default_configENS1_37merge_sort_block_sort_config_selectorIlNS0_10empty_typeEEEZNS1_21merge_sort_block_sortIS3_PlS8_PS5_S9_ZN2at6native12_GLOBAL__N_124unique_dim_cuda_templateIjEESt5tupleIJNSA_6TensorESF_SF_EERKSF_lbbbEUlllE_EE10hipError_tT0_T1_T2_T3_mRjT4_P12ihipStream_tbNS1_7vsmem_tEEUlT_E_NS1_11comp_targetILNS1_3genE0ELNS1_11target_archE4294967295ELNS1_3gpuE0ELNS1_3repE0EEENS1_30default_config_static_selectorELNS0_4arch9wavefront6targetE0EEEvSM_.has_dyn_sized_stack, 0
	.set _ZN7rocprim17ROCPRIM_400000_NS6detail17trampoline_kernelINS0_14default_configENS1_37merge_sort_block_sort_config_selectorIlNS0_10empty_typeEEEZNS1_21merge_sort_block_sortIS3_PlS8_PS5_S9_ZN2at6native12_GLOBAL__N_124unique_dim_cuda_templateIjEESt5tupleIJNSA_6TensorESF_SF_EERKSF_lbbbEUlllE_EE10hipError_tT0_T1_T2_T3_mRjT4_P12ihipStream_tbNS1_7vsmem_tEEUlT_E_NS1_11comp_targetILNS1_3genE0ELNS1_11target_archE4294967295ELNS1_3gpuE0ELNS1_3repE0EEENS1_30default_config_static_selectorELNS0_4arch9wavefront6targetE0EEEvSM_.has_recursion, 0
	.set _ZN7rocprim17ROCPRIM_400000_NS6detail17trampoline_kernelINS0_14default_configENS1_37merge_sort_block_sort_config_selectorIlNS0_10empty_typeEEEZNS1_21merge_sort_block_sortIS3_PlS8_PS5_S9_ZN2at6native12_GLOBAL__N_124unique_dim_cuda_templateIjEESt5tupleIJNSA_6TensorESF_SF_EERKSF_lbbbEUlllE_EE10hipError_tT0_T1_T2_T3_mRjT4_P12ihipStream_tbNS1_7vsmem_tEEUlT_E_NS1_11comp_targetILNS1_3genE0ELNS1_11target_archE4294967295ELNS1_3gpuE0ELNS1_3repE0EEENS1_30default_config_static_selectorELNS0_4arch9wavefront6targetE0EEEvSM_.has_indirect_call, 0
	.section	.AMDGPU.csdata,"",@progbits
; Kernel info:
; codeLenInByte = 56504
; TotalNumSgprs: 41
; NumVgprs: 56
; ScratchSize: 0
; MemoryBound: 0
; FloatMode: 240
; IeeeMode: 1
; LDSByteSize: 16896 bytes/workgroup (compile time only)
; SGPRBlocks: 0
; VGPRBlocks: 3
; NumSGPRsForWavesPerEU: 41
; NumVGPRsForWavesPerEU: 56
; NamedBarCnt: 0
; Occupancy: 16
; WaveLimiterHint : 1
; COMPUTE_PGM_RSRC2:SCRATCH_EN: 0
; COMPUTE_PGM_RSRC2:USER_SGPR: 2
; COMPUTE_PGM_RSRC2:TRAP_HANDLER: 0
; COMPUTE_PGM_RSRC2:TGID_X_EN: 1
; COMPUTE_PGM_RSRC2:TGID_Y_EN: 1
; COMPUTE_PGM_RSRC2:TGID_Z_EN: 1
; COMPUTE_PGM_RSRC2:TIDIG_COMP_CNT: 2
	.section	.text._ZN7rocprim17ROCPRIM_400000_NS6detail17trampoline_kernelINS0_14default_configENS1_37merge_sort_block_sort_config_selectorIlNS0_10empty_typeEEEZNS1_21merge_sort_block_sortIS3_PlS8_PS5_S9_ZN2at6native12_GLOBAL__N_124unique_dim_cuda_templateIjEESt5tupleIJNSA_6TensorESF_SF_EERKSF_lbbbEUlllE_EE10hipError_tT0_T1_T2_T3_mRjT4_P12ihipStream_tbNS1_7vsmem_tEEUlT_E_NS1_11comp_targetILNS1_3genE5ELNS1_11target_archE942ELNS1_3gpuE9ELNS1_3repE0EEENS1_30default_config_static_selectorELNS0_4arch9wavefront6targetE0EEEvSM_,"axG",@progbits,_ZN7rocprim17ROCPRIM_400000_NS6detail17trampoline_kernelINS0_14default_configENS1_37merge_sort_block_sort_config_selectorIlNS0_10empty_typeEEEZNS1_21merge_sort_block_sortIS3_PlS8_PS5_S9_ZN2at6native12_GLOBAL__N_124unique_dim_cuda_templateIjEESt5tupleIJNSA_6TensorESF_SF_EERKSF_lbbbEUlllE_EE10hipError_tT0_T1_T2_T3_mRjT4_P12ihipStream_tbNS1_7vsmem_tEEUlT_E_NS1_11comp_targetILNS1_3genE5ELNS1_11target_archE942ELNS1_3gpuE9ELNS1_3repE0EEENS1_30default_config_static_selectorELNS0_4arch9wavefront6targetE0EEEvSM_,comdat
	.globl	_ZN7rocprim17ROCPRIM_400000_NS6detail17trampoline_kernelINS0_14default_configENS1_37merge_sort_block_sort_config_selectorIlNS0_10empty_typeEEEZNS1_21merge_sort_block_sortIS3_PlS8_PS5_S9_ZN2at6native12_GLOBAL__N_124unique_dim_cuda_templateIjEESt5tupleIJNSA_6TensorESF_SF_EERKSF_lbbbEUlllE_EE10hipError_tT0_T1_T2_T3_mRjT4_P12ihipStream_tbNS1_7vsmem_tEEUlT_E_NS1_11comp_targetILNS1_3genE5ELNS1_11target_archE942ELNS1_3gpuE9ELNS1_3repE0EEENS1_30default_config_static_selectorELNS0_4arch9wavefront6targetE0EEEvSM_ ; -- Begin function _ZN7rocprim17ROCPRIM_400000_NS6detail17trampoline_kernelINS0_14default_configENS1_37merge_sort_block_sort_config_selectorIlNS0_10empty_typeEEEZNS1_21merge_sort_block_sortIS3_PlS8_PS5_S9_ZN2at6native12_GLOBAL__N_124unique_dim_cuda_templateIjEESt5tupleIJNSA_6TensorESF_SF_EERKSF_lbbbEUlllE_EE10hipError_tT0_T1_T2_T3_mRjT4_P12ihipStream_tbNS1_7vsmem_tEEUlT_E_NS1_11comp_targetILNS1_3genE5ELNS1_11target_archE942ELNS1_3gpuE9ELNS1_3repE0EEENS1_30default_config_static_selectorELNS0_4arch9wavefront6targetE0EEEvSM_
	.p2align	8
	.type	_ZN7rocprim17ROCPRIM_400000_NS6detail17trampoline_kernelINS0_14default_configENS1_37merge_sort_block_sort_config_selectorIlNS0_10empty_typeEEEZNS1_21merge_sort_block_sortIS3_PlS8_PS5_S9_ZN2at6native12_GLOBAL__N_124unique_dim_cuda_templateIjEESt5tupleIJNSA_6TensorESF_SF_EERKSF_lbbbEUlllE_EE10hipError_tT0_T1_T2_T3_mRjT4_P12ihipStream_tbNS1_7vsmem_tEEUlT_E_NS1_11comp_targetILNS1_3genE5ELNS1_11target_archE942ELNS1_3gpuE9ELNS1_3repE0EEENS1_30default_config_static_selectorELNS0_4arch9wavefront6targetE0EEEvSM_,@function
_ZN7rocprim17ROCPRIM_400000_NS6detail17trampoline_kernelINS0_14default_configENS1_37merge_sort_block_sort_config_selectorIlNS0_10empty_typeEEEZNS1_21merge_sort_block_sortIS3_PlS8_PS5_S9_ZN2at6native12_GLOBAL__N_124unique_dim_cuda_templateIjEESt5tupleIJNSA_6TensorESF_SF_EERKSF_lbbbEUlllE_EE10hipError_tT0_T1_T2_T3_mRjT4_P12ihipStream_tbNS1_7vsmem_tEEUlT_E_NS1_11comp_targetILNS1_3genE5ELNS1_11target_archE942ELNS1_3gpuE9ELNS1_3repE0EEENS1_30default_config_static_selectorELNS0_4arch9wavefront6targetE0EEEvSM_: ; @_ZN7rocprim17ROCPRIM_400000_NS6detail17trampoline_kernelINS0_14default_configENS1_37merge_sort_block_sort_config_selectorIlNS0_10empty_typeEEEZNS1_21merge_sort_block_sortIS3_PlS8_PS5_S9_ZN2at6native12_GLOBAL__N_124unique_dim_cuda_templateIjEESt5tupleIJNSA_6TensorESF_SF_EERKSF_lbbbEUlllE_EE10hipError_tT0_T1_T2_T3_mRjT4_P12ihipStream_tbNS1_7vsmem_tEEUlT_E_NS1_11comp_targetILNS1_3genE5ELNS1_11target_archE942ELNS1_3gpuE9ELNS1_3repE0EEENS1_30default_config_static_selectorELNS0_4arch9wavefront6targetE0EEEvSM_
; %bb.0:
	.section	.rodata,"a",@progbits
	.p2align	6, 0x0
	.amdhsa_kernel _ZN7rocprim17ROCPRIM_400000_NS6detail17trampoline_kernelINS0_14default_configENS1_37merge_sort_block_sort_config_selectorIlNS0_10empty_typeEEEZNS1_21merge_sort_block_sortIS3_PlS8_PS5_S9_ZN2at6native12_GLOBAL__N_124unique_dim_cuda_templateIjEESt5tupleIJNSA_6TensorESF_SF_EERKSF_lbbbEUlllE_EE10hipError_tT0_T1_T2_T3_mRjT4_P12ihipStream_tbNS1_7vsmem_tEEUlT_E_NS1_11comp_targetILNS1_3genE5ELNS1_11target_archE942ELNS1_3gpuE9ELNS1_3repE0EEENS1_30default_config_static_selectorELNS0_4arch9wavefront6targetE0EEEvSM_
		.amdhsa_group_segment_fixed_size 0
		.amdhsa_private_segment_fixed_size 0
		.amdhsa_kernarg_size 72
		.amdhsa_user_sgpr_count 2
		.amdhsa_user_sgpr_dispatch_ptr 0
		.amdhsa_user_sgpr_queue_ptr 0
		.amdhsa_user_sgpr_kernarg_segment_ptr 1
		.amdhsa_user_sgpr_dispatch_id 0
		.amdhsa_user_sgpr_kernarg_preload_length 0
		.amdhsa_user_sgpr_kernarg_preload_offset 0
		.amdhsa_user_sgpr_private_segment_size 0
		.amdhsa_wavefront_size32 1
		.amdhsa_uses_dynamic_stack 0
		.amdhsa_enable_private_segment 0
		.amdhsa_system_sgpr_workgroup_id_x 1
		.amdhsa_system_sgpr_workgroup_id_y 0
		.amdhsa_system_sgpr_workgroup_id_z 0
		.amdhsa_system_sgpr_workgroup_info 0
		.amdhsa_system_vgpr_workitem_id 0
		.amdhsa_next_free_vgpr 1
		.amdhsa_next_free_sgpr 1
		.amdhsa_named_barrier_count 0
		.amdhsa_reserve_vcc 0
		.amdhsa_float_round_mode_32 0
		.amdhsa_float_round_mode_16_64 0
		.amdhsa_float_denorm_mode_32 3
		.amdhsa_float_denorm_mode_16_64 3
		.amdhsa_fp16_overflow 0
		.amdhsa_memory_ordered 1
		.amdhsa_forward_progress 1
		.amdhsa_inst_pref_size 0
		.amdhsa_round_robin_scheduling 0
		.amdhsa_exception_fp_ieee_invalid_op 0
		.amdhsa_exception_fp_denorm_src 0
		.amdhsa_exception_fp_ieee_div_zero 0
		.amdhsa_exception_fp_ieee_overflow 0
		.amdhsa_exception_fp_ieee_underflow 0
		.amdhsa_exception_fp_ieee_inexact 0
		.amdhsa_exception_int_div_zero 0
	.end_amdhsa_kernel
	.section	.text._ZN7rocprim17ROCPRIM_400000_NS6detail17trampoline_kernelINS0_14default_configENS1_37merge_sort_block_sort_config_selectorIlNS0_10empty_typeEEEZNS1_21merge_sort_block_sortIS3_PlS8_PS5_S9_ZN2at6native12_GLOBAL__N_124unique_dim_cuda_templateIjEESt5tupleIJNSA_6TensorESF_SF_EERKSF_lbbbEUlllE_EE10hipError_tT0_T1_T2_T3_mRjT4_P12ihipStream_tbNS1_7vsmem_tEEUlT_E_NS1_11comp_targetILNS1_3genE5ELNS1_11target_archE942ELNS1_3gpuE9ELNS1_3repE0EEENS1_30default_config_static_selectorELNS0_4arch9wavefront6targetE0EEEvSM_,"axG",@progbits,_ZN7rocprim17ROCPRIM_400000_NS6detail17trampoline_kernelINS0_14default_configENS1_37merge_sort_block_sort_config_selectorIlNS0_10empty_typeEEEZNS1_21merge_sort_block_sortIS3_PlS8_PS5_S9_ZN2at6native12_GLOBAL__N_124unique_dim_cuda_templateIjEESt5tupleIJNSA_6TensorESF_SF_EERKSF_lbbbEUlllE_EE10hipError_tT0_T1_T2_T3_mRjT4_P12ihipStream_tbNS1_7vsmem_tEEUlT_E_NS1_11comp_targetILNS1_3genE5ELNS1_11target_archE942ELNS1_3gpuE9ELNS1_3repE0EEENS1_30default_config_static_selectorELNS0_4arch9wavefront6targetE0EEEvSM_,comdat
.Lfunc_end1484:
	.size	_ZN7rocprim17ROCPRIM_400000_NS6detail17trampoline_kernelINS0_14default_configENS1_37merge_sort_block_sort_config_selectorIlNS0_10empty_typeEEEZNS1_21merge_sort_block_sortIS3_PlS8_PS5_S9_ZN2at6native12_GLOBAL__N_124unique_dim_cuda_templateIjEESt5tupleIJNSA_6TensorESF_SF_EERKSF_lbbbEUlllE_EE10hipError_tT0_T1_T2_T3_mRjT4_P12ihipStream_tbNS1_7vsmem_tEEUlT_E_NS1_11comp_targetILNS1_3genE5ELNS1_11target_archE942ELNS1_3gpuE9ELNS1_3repE0EEENS1_30default_config_static_selectorELNS0_4arch9wavefront6targetE0EEEvSM_, .Lfunc_end1484-_ZN7rocprim17ROCPRIM_400000_NS6detail17trampoline_kernelINS0_14default_configENS1_37merge_sort_block_sort_config_selectorIlNS0_10empty_typeEEEZNS1_21merge_sort_block_sortIS3_PlS8_PS5_S9_ZN2at6native12_GLOBAL__N_124unique_dim_cuda_templateIjEESt5tupleIJNSA_6TensorESF_SF_EERKSF_lbbbEUlllE_EE10hipError_tT0_T1_T2_T3_mRjT4_P12ihipStream_tbNS1_7vsmem_tEEUlT_E_NS1_11comp_targetILNS1_3genE5ELNS1_11target_archE942ELNS1_3gpuE9ELNS1_3repE0EEENS1_30default_config_static_selectorELNS0_4arch9wavefront6targetE0EEEvSM_
                                        ; -- End function
	.set _ZN7rocprim17ROCPRIM_400000_NS6detail17trampoline_kernelINS0_14default_configENS1_37merge_sort_block_sort_config_selectorIlNS0_10empty_typeEEEZNS1_21merge_sort_block_sortIS3_PlS8_PS5_S9_ZN2at6native12_GLOBAL__N_124unique_dim_cuda_templateIjEESt5tupleIJNSA_6TensorESF_SF_EERKSF_lbbbEUlllE_EE10hipError_tT0_T1_T2_T3_mRjT4_P12ihipStream_tbNS1_7vsmem_tEEUlT_E_NS1_11comp_targetILNS1_3genE5ELNS1_11target_archE942ELNS1_3gpuE9ELNS1_3repE0EEENS1_30default_config_static_selectorELNS0_4arch9wavefront6targetE0EEEvSM_.num_vgpr, 0
	.set _ZN7rocprim17ROCPRIM_400000_NS6detail17trampoline_kernelINS0_14default_configENS1_37merge_sort_block_sort_config_selectorIlNS0_10empty_typeEEEZNS1_21merge_sort_block_sortIS3_PlS8_PS5_S9_ZN2at6native12_GLOBAL__N_124unique_dim_cuda_templateIjEESt5tupleIJNSA_6TensorESF_SF_EERKSF_lbbbEUlllE_EE10hipError_tT0_T1_T2_T3_mRjT4_P12ihipStream_tbNS1_7vsmem_tEEUlT_E_NS1_11comp_targetILNS1_3genE5ELNS1_11target_archE942ELNS1_3gpuE9ELNS1_3repE0EEENS1_30default_config_static_selectorELNS0_4arch9wavefront6targetE0EEEvSM_.num_agpr, 0
	.set _ZN7rocprim17ROCPRIM_400000_NS6detail17trampoline_kernelINS0_14default_configENS1_37merge_sort_block_sort_config_selectorIlNS0_10empty_typeEEEZNS1_21merge_sort_block_sortIS3_PlS8_PS5_S9_ZN2at6native12_GLOBAL__N_124unique_dim_cuda_templateIjEESt5tupleIJNSA_6TensorESF_SF_EERKSF_lbbbEUlllE_EE10hipError_tT0_T1_T2_T3_mRjT4_P12ihipStream_tbNS1_7vsmem_tEEUlT_E_NS1_11comp_targetILNS1_3genE5ELNS1_11target_archE942ELNS1_3gpuE9ELNS1_3repE0EEENS1_30default_config_static_selectorELNS0_4arch9wavefront6targetE0EEEvSM_.numbered_sgpr, 0
	.set _ZN7rocprim17ROCPRIM_400000_NS6detail17trampoline_kernelINS0_14default_configENS1_37merge_sort_block_sort_config_selectorIlNS0_10empty_typeEEEZNS1_21merge_sort_block_sortIS3_PlS8_PS5_S9_ZN2at6native12_GLOBAL__N_124unique_dim_cuda_templateIjEESt5tupleIJNSA_6TensorESF_SF_EERKSF_lbbbEUlllE_EE10hipError_tT0_T1_T2_T3_mRjT4_P12ihipStream_tbNS1_7vsmem_tEEUlT_E_NS1_11comp_targetILNS1_3genE5ELNS1_11target_archE942ELNS1_3gpuE9ELNS1_3repE0EEENS1_30default_config_static_selectorELNS0_4arch9wavefront6targetE0EEEvSM_.num_named_barrier, 0
	.set _ZN7rocprim17ROCPRIM_400000_NS6detail17trampoline_kernelINS0_14default_configENS1_37merge_sort_block_sort_config_selectorIlNS0_10empty_typeEEEZNS1_21merge_sort_block_sortIS3_PlS8_PS5_S9_ZN2at6native12_GLOBAL__N_124unique_dim_cuda_templateIjEESt5tupleIJNSA_6TensorESF_SF_EERKSF_lbbbEUlllE_EE10hipError_tT0_T1_T2_T3_mRjT4_P12ihipStream_tbNS1_7vsmem_tEEUlT_E_NS1_11comp_targetILNS1_3genE5ELNS1_11target_archE942ELNS1_3gpuE9ELNS1_3repE0EEENS1_30default_config_static_selectorELNS0_4arch9wavefront6targetE0EEEvSM_.private_seg_size, 0
	.set _ZN7rocprim17ROCPRIM_400000_NS6detail17trampoline_kernelINS0_14default_configENS1_37merge_sort_block_sort_config_selectorIlNS0_10empty_typeEEEZNS1_21merge_sort_block_sortIS3_PlS8_PS5_S9_ZN2at6native12_GLOBAL__N_124unique_dim_cuda_templateIjEESt5tupleIJNSA_6TensorESF_SF_EERKSF_lbbbEUlllE_EE10hipError_tT0_T1_T2_T3_mRjT4_P12ihipStream_tbNS1_7vsmem_tEEUlT_E_NS1_11comp_targetILNS1_3genE5ELNS1_11target_archE942ELNS1_3gpuE9ELNS1_3repE0EEENS1_30default_config_static_selectorELNS0_4arch9wavefront6targetE0EEEvSM_.uses_vcc, 0
	.set _ZN7rocprim17ROCPRIM_400000_NS6detail17trampoline_kernelINS0_14default_configENS1_37merge_sort_block_sort_config_selectorIlNS0_10empty_typeEEEZNS1_21merge_sort_block_sortIS3_PlS8_PS5_S9_ZN2at6native12_GLOBAL__N_124unique_dim_cuda_templateIjEESt5tupleIJNSA_6TensorESF_SF_EERKSF_lbbbEUlllE_EE10hipError_tT0_T1_T2_T3_mRjT4_P12ihipStream_tbNS1_7vsmem_tEEUlT_E_NS1_11comp_targetILNS1_3genE5ELNS1_11target_archE942ELNS1_3gpuE9ELNS1_3repE0EEENS1_30default_config_static_selectorELNS0_4arch9wavefront6targetE0EEEvSM_.uses_flat_scratch, 0
	.set _ZN7rocprim17ROCPRIM_400000_NS6detail17trampoline_kernelINS0_14default_configENS1_37merge_sort_block_sort_config_selectorIlNS0_10empty_typeEEEZNS1_21merge_sort_block_sortIS3_PlS8_PS5_S9_ZN2at6native12_GLOBAL__N_124unique_dim_cuda_templateIjEESt5tupleIJNSA_6TensorESF_SF_EERKSF_lbbbEUlllE_EE10hipError_tT0_T1_T2_T3_mRjT4_P12ihipStream_tbNS1_7vsmem_tEEUlT_E_NS1_11comp_targetILNS1_3genE5ELNS1_11target_archE942ELNS1_3gpuE9ELNS1_3repE0EEENS1_30default_config_static_selectorELNS0_4arch9wavefront6targetE0EEEvSM_.has_dyn_sized_stack, 0
	.set _ZN7rocprim17ROCPRIM_400000_NS6detail17trampoline_kernelINS0_14default_configENS1_37merge_sort_block_sort_config_selectorIlNS0_10empty_typeEEEZNS1_21merge_sort_block_sortIS3_PlS8_PS5_S9_ZN2at6native12_GLOBAL__N_124unique_dim_cuda_templateIjEESt5tupleIJNSA_6TensorESF_SF_EERKSF_lbbbEUlllE_EE10hipError_tT0_T1_T2_T3_mRjT4_P12ihipStream_tbNS1_7vsmem_tEEUlT_E_NS1_11comp_targetILNS1_3genE5ELNS1_11target_archE942ELNS1_3gpuE9ELNS1_3repE0EEENS1_30default_config_static_selectorELNS0_4arch9wavefront6targetE0EEEvSM_.has_recursion, 0
	.set _ZN7rocprim17ROCPRIM_400000_NS6detail17trampoline_kernelINS0_14default_configENS1_37merge_sort_block_sort_config_selectorIlNS0_10empty_typeEEEZNS1_21merge_sort_block_sortIS3_PlS8_PS5_S9_ZN2at6native12_GLOBAL__N_124unique_dim_cuda_templateIjEESt5tupleIJNSA_6TensorESF_SF_EERKSF_lbbbEUlllE_EE10hipError_tT0_T1_T2_T3_mRjT4_P12ihipStream_tbNS1_7vsmem_tEEUlT_E_NS1_11comp_targetILNS1_3genE5ELNS1_11target_archE942ELNS1_3gpuE9ELNS1_3repE0EEENS1_30default_config_static_selectorELNS0_4arch9wavefront6targetE0EEEvSM_.has_indirect_call, 0
	.section	.AMDGPU.csdata,"",@progbits
; Kernel info:
; codeLenInByte = 0
; TotalNumSgprs: 0
; NumVgprs: 0
; ScratchSize: 0
; MemoryBound: 0
; FloatMode: 240
; IeeeMode: 1
; LDSByteSize: 0 bytes/workgroup (compile time only)
; SGPRBlocks: 0
; VGPRBlocks: 0
; NumSGPRsForWavesPerEU: 1
; NumVGPRsForWavesPerEU: 1
; NamedBarCnt: 0
; Occupancy: 16
; WaveLimiterHint : 0
; COMPUTE_PGM_RSRC2:SCRATCH_EN: 0
; COMPUTE_PGM_RSRC2:USER_SGPR: 2
; COMPUTE_PGM_RSRC2:TRAP_HANDLER: 0
; COMPUTE_PGM_RSRC2:TGID_X_EN: 1
; COMPUTE_PGM_RSRC2:TGID_Y_EN: 0
; COMPUTE_PGM_RSRC2:TGID_Z_EN: 0
; COMPUTE_PGM_RSRC2:TIDIG_COMP_CNT: 0
	.section	.text._ZN7rocprim17ROCPRIM_400000_NS6detail17trampoline_kernelINS0_14default_configENS1_37merge_sort_block_sort_config_selectorIlNS0_10empty_typeEEEZNS1_21merge_sort_block_sortIS3_PlS8_PS5_S9_ZN2at6native12_GLOBAL__N_124unique_dim_cuda_templateIjEESt5tupleIJNSA_6TensorESF_SF_EERKSF_lbbbEUlllE_EE10hipError_tT0_T1_T2_T3_mRjT4_P12ihipStream_tbNS1_7vsmem_tEEUlT_E_NS1_11comp_targetILNS1_3genE4ELNS1_11target_archE910ELNS1_3gpuE8ELNS1_3repE0EEENS1_30default_config_static_selectorELNS0_4arch9wavefront6targetE0EEEvSM_,"axG",@progbits,_ZN7rocprim17ROCPRIM_400000_NS6detail17trampoline_kernelINS0_14default_configENS1_37merge_sort_block_sort_config_selectorIlNS0_10empty_typeEEEZNS1_21merge_sort_block_sortIS3_PlS8_PS5_S9_ZN2at6native12_GLOBAL__N_124unique_dim_cuda_templateIjEESt5tupleIJNSA_6TensorESF_SF_EERKSF_lbbbEUlllE_EE10hipError_tT0_T1_T2_T3_mRjT4_P12ihipStream_tbNS1_7vsmem_tEEUlT_E_NS1_11comp_targetILNS1_3genE4ELNS1_11target_archE910ELNS1_3gpuE8ELNS1_3repE0EEENS1_30default_config_static_selectorELNS0_4arch9wavefront6targetE0EEEvSM_,comdat
	.globl	_ZN7rocprim17ROCPRIM_400000_NS6detail17trampoline_kernelINS0_14default_configENS1_37merge_sort_block_sort_config_selectorIlNS0_10empty_typeEEEZNS1_21merge_sort_block_sortIS3_PlS8_PS5_S9_ZN2at6native12_GLOBAL__N_124unique_dim_cuda_templateIjEESt5tupleIJNSA_6TensorESF_SF_EERKSF_lbbbEUlllE_EE10hipError_tT0_T1_T2_T3_mRjT4_P12ihipStream_tbNS1_7vsmem_tEEUlT_E_NS1_11comp_targetILNS1_3genE4ELNS1_11target_archE910ELNS1_3gpuE8ELNS1_3repE0EEENS1_30default_config_static_selectorELNS0_4arch9wavefront6targetE0EEEvSM_ ; -- Begin function _ZN7rocprim17ROCPRIM_400000_NS6detail17trampoline_kernelINS0_14default_configENS1_37merge_sort_block_sort_config_selectorIlNS0_10empty_typeEEEZNS1_21merge_sort_block_sortIS3_PlS8_PS5_S9_ZN2at6native12_GLOBAL__N_124unique_dim_cuda_templateIjEESt5tupleIJNSA_6TensorESF_SF_EERKSF_lbbbEUlllE_EE10hipError_tT0_T1_T2_T3_mRjT4_P12ihipStream_tbNS1_7vsmem_tEEUlT_E_NS1_11comp_targetILNS1_3genE4ELNS1_11target_archE910ELNS1_3gpuE8ELNS1_3repE0EEENS1_30default_config_static_selectorELNS0_4arch9wavefront6targetE0EEEvSM_
	.p2align	8
	.type	_ZN7rocprim17ROCPRIM_400000_NS6detail17trampoline_kernelINS0_14default_configENS1_37merge_sort_block_sort_config_selectorIlNS0_10empty_typeEEEZNS1_21merge_sort_block_sortIS3_PlS8_PS5_S9_ZN2at6native12_GLOBAL__N_124unique_dim_cuda_templateIjEESt5tupleIJNSA_6TensorESF_SF_EERKSF_lbbbEUlllE_EE10hipError_tT0_T1_T2_T3_mRjT4_P12ihipStream_tbNS1_7vsmem_tEEUlT_E_NS1_11comp_targetILNS1_3genE4ELNS1_11target_archE910ELNS1_3gpuE8ELNS1_3repE0EEENS1_30default_config_static_selectorELNS0_4arch9wavefront6targetE0EEEvSM_,@function
_ZN7rocprim17ROCPRIM_400000_NS6detail17trampoline_kernelINS0_14default_configENS1_37merge_sort_block_sort_config_selectorIlNS0_10empty_typeEEEZNS1_21merge_sort_block_sortIS3_PlS8_PS5_S9_ZN2at6native12_GLOBAL__N_124unique_dim_cuda_templateIjEESt5tupleIJNSA_6TensorESF_SF_EERKSF_lbbbEUlllE_EE10hipError_tT0_T1_T2_T3_mRjT4_P12ihipStream_tbNS1_7vsmem_tEEUlT_E_NS1_11comp_targetILNS1_3genE4ELNS1_11target_archE910ELNS1_3gpuE8ELNS1_3repE0EEENS1_30default_config_static_selectorELNS0_4arch9wavefront6targetE0EEEvSM_: ; @_ZN7rocprim17ROCPRIM_400000_NS6detail17trampoline_kernelINS0_14default_configENS1_37merge_sort_block_sort_config_selectorIlNS0_10empty_typeEEEZNS1_21merge_sort_block_sortIS3_PlS8_PS5_S9_ZN2at6native12_GLOBAL__N_124unique_dim_cuda_templateIjEESt5tupleIJNSA_6TensorESF_SF_EERKSF_lbbbEUlllE_EE10hipError_tT0_T1_T2_T3_mRjT4_P12ihipStream_tbNS1_7vsmem_tEEUlT_E_NS1_11comp_targetILNS1_3genE4ELNS1_11target_archE910ELNS1_3gpuE8ELNS1_3repE0EEENS1_30default_config_static_selectorELNS0_4arch9wavefront6targetE0EEEvSM_
; %bb.0:
	.section	.rodata,"a",@progbits
	.p2align	6, 0x0
	.amdhsa_kernel _ZN7rocprim17ROCPRIM_400000_NS6detail17trampoline_kernelINS0_14default_configENS1_37merge_sort_block_sort_config_selectorIlNS0_10empty_typeEEEZNS1_21merge_sort_block_sortIS3_PlS8_PS5_S9_ZN2at6native12_GLOBAL__N_124unique_dim_cuda_templateIjEESt5tupleIJNSA_6TensorESF_SF_EERKSF_lbbbEUlllE_EE10hipError_tT0_T1_T2_T3_mRjT4_P12ihipStream_tbNS1_7vsmem_tEEUlT_E_NS1_11comp_targetILNS1_3genE4ELNS1_11target_archE910ELNS1_3gpuE8ELNS1_3repE0EEENS1_30default_config_static_selectorELNS0_4arch9wavefront6targetE0EEEvSM_
		.amdhsa_group_segment_fixed_size 0
		.amdhsa_private_segment_fixed_size 0
		.amdhsa_kernarg_size 72
		.amdhsa_user_sgpr_count 2
		.amdhsa_user_sgpr_dispatch_ptr 0
		.amdhsa_user_sgpr_queue_ptr 0
		.amdhsa_user_sgpr_kernarg_segment_ptr 1
		.amdhsa_user_sgpr_dispatch_id 0
		.amdhsa_user_sgpr_kernarg_preload_length 0
		.amdhsa_user_sgpr_kernarg_preload_offset 0
		.amdhsa_user_sgpr_private_segment_size 0
		.amdhsa_wavefront_size32 1
		.amdhsa_uses_dynamic_stack 0
		.amdhsa_enable_private_segment 0
		.amdhsa_system_sgpr_workgroup_id_x 1
		.amdhsa_system_sgpr_workgroup_id_y 0
		.amdhsa_system_sgpr_workgroup_id_z 0
		.amdhsa_system_sgpr_workgroup_info 0
		.amdhsa_system_vgpr_workitem_id 0
		.amdhsa_next_free_vgpr 1
		.amdhsa_next_free_sgpr 1
		.amdhsa_named_barrier_count 0
		.amdhsa_reserve_vcc 0
		.amdhsa_float_round_mode_32 0
		.amdhsa_float_round_mode_16_64 0
		.amdhsa_float_denorm_mode_32 3
		.amdhsa_float_denorm_mode_16_64 3
		.amdhsa_fp16_overflow 0
		.amdhsa_memory_ordered 1
		.amdhsa_forward_progress 1
		.amdhsa_inst_pref_size 0
		.amdhsa_round_robin_scheduling 0
		.amdhsa_exception_fp_ieee_invalid_op 0
		.amdhsa_exception_fp_denorm_src 0
		.amdhsa_exception_fp_ieee_div_zero 0
		.amdhsa_exception_fp_ieee_overflow 0
		.amdhsa_exception_fp_ieee_underflow 0
		.amdhsa_exception_fp_ieee_inexact 0
		.amdhsa_exception_int_div_zero 0
	.end_amdhsa_kernel
	.section	.text._ZN7rocprim17ROCPRIM_400000_NS6detail17trampoline_kernelINS0_14default_configENS1_37merge_sort_block_sort_config_selectorIlNS0_10empty_typeEEEZNS1_21merge_sort_block_sortIS3_PlS8_PS5_S9_ZN2at6native12_GLOBAL__N_124unique_dim_cuda_templateIjEESt5tupleIJNSA_6TensorESF_SF_EERKSF_lbbbEUlllE_EE10hipError_tT0_T1_T2_T3_mRjT4_P12ihipStream_tbNS1_7vsmem_tEEUlT_E_NS1_11comp_targetILNS1_3genE4ELNS1_11target_archE910ELNS1_3gpuE8ELNS1_3repE0EEENS1_30default_config_static_selectorELNS0_4arch9wavefront6targetE0EEEvSM_,"axG",@progbits,_ZN7rocprim17ROCPRIM_400000_NS6detail17trampoline_kernelINS0_14default_configENS1_37merge_sort_block_sort_config_selectorIlNS0_10empty_typeEEEZNS1_21merge_sort_block_sortIS3_PlS8_PS5_S9_ZN2at6native12_GLOBAL__N_124unique_dim_cuda_templateIjEESt5tupleIJNSA_6TensorESF_SF_EERKSF_lbbbEUlllE_EE10hipError_tT0_T1_T2_T3_mRjT4_P12ihipStream_tbNS1_7vsmem_tEEUlT_E_NS1_11comp_targetILNS1_3genE4ELNS1_11target_archE910ELNS1_3gpuE8ELNS1_3repE0EEENS1_30default_config_static_selectorELNS0_4arch9wavefront6targetE0EEEvSM_,comdat
.Lfunc_end1485:
	.size	_ZN7rocprim17ROCPRIM_400000_NS6detail17trampoline_kernelINS0_14default_configENS1_37merge_sort_block_sort_config_selectorIlNS0_10empty_typeEEEZNS1_21merge_sort_block_sortIS3_PlS8_PS5_S9_ZN2at6native12_GLOBAL__N_124unique_dim_cuda_templateIjEESt5tupleIJNSA_6TensorESF_SF_EERKSF_lbbbEUlllE_EE10hipError_tT0_T1_T2_T3_mRjT4_P12ihipStream_tbNS1_7vsmem_tEEUlT_E_NS1_11comp_targetILNS1_3genE4ELNS1_11target_archE910ELNS1_3gpuE8ELNS1_3repE0EEENS1_30default_config_static_selectorELNS0_4arch9wavefront6targetE0EEEvSM_, .Lfunc_end1485-_ZN7rocprim17ROCPRIM_400000_NS6detail17trampoline_kernelINS0_14default_configENS1_37merge_sort_block_sort_config_selectorIlNS0_10empty_typeEEEZNS1_21merge_sort_block_sortIS3_PlS8_PS5_S9_ZN2at6native12_GLOBAL__N_124unique_dim_cuda_templateIjEESt5tupleIJNSA_6TensorESF_SF_EERKSF_lbbbEUlllE_EE10hipError_tT0_T1_T2_T3_mRjT4_P12ihipStream_tbNS1_7vsmem_tEEUlT_E_NS1_11comp_targetILNS1_3genE4ELNS1_11target_archE910ELNS1_3gpuE8ELNS1_3repE0EEENS1_30default_config_static_selectorELNS0_4arch9wavefront6targetE0EEEvSM_
                                        ; -- End function
	.set _ZN7rocprim17ROCPRIM_400000_NS6detail17trampoline_kernelINS0_14default_configENS1_37merge_sort_block_sort_config_selectorIlNS0_10empty_typeEEEZNS1_21merge_sort_block_sortIS3_PlS8_PS5_S9_ZN2at6native12_GLOBAL__N_124unique_dim_cuda_templateIjEESt5tupleIJNSA_6TensorESF_SF_EERKSF_lbbbEUlllE_EE10hipError_tT0_T1_T2_T3_mRjT4_P12ihipStream_tbNS1_7vsmem_tEEUlT_E_NS1_11comp_targetILNS1_3genE4ELNS1_11target_archE910ELNS1_3gpuE8ELNS1_3repE0EEENS1_30default_config_static_selectorELNS0_4arch9wavefront6targetE0EEEvSM_.num_vgpr, 0
	.set _ZN7rocprim17ROCPRIM_400000_NS6detail17trampoline_kernelINS0_14default_configENS1_37merge_sort_block_sort_config_selectorIlNS0_10empty_typeEEEZNS1_21merge_sort_block_sortIS3_PlS8_PS5_S9_ZN2at6native12_GLOBAL__N_124unique_dim_cuda_templateIjEESt5tupleIJNSA_6TensorESF_SF_EERKSF_lbbbEUlllE_EE10hipError_tT0_T1_T2_T3_mRjT4_P12ihipStream_tbNS1_7vsmem_tEEUlT_E_NS1_11comp_targetILNS1_3genE4ELNS1_11target_archE910ELNS1_3gpuE8ELNS1_3repE0EEENS1_30default_config_static_selectorELNS0_4arch9wavefront6targetE0EEEvSM_.num_agpr, 0
	.set _ZN7rocprim17ROCPRIM_400000_NS6detail17trampoline_kernelINS0_14default_configENS1_37merge_sort_block_sort_config_selectorIlNS0_10empty_typeEEEZNS1_21merge_sort_block_sortIS3_PlS8_PS5_S9_ZN2at6native12_GLOBAL__N_124unique_dim_cuda_templateIjEESt5tupleIJNSA_6TensorESF_SF_EERKSF_lbbbEUlllE_EE10hipError_tT0_T1_T2_T3_mRjT4_P12ihipStream_tbNS1_7vsmem_tEEUlT_E_NS1_11comp_targetILNS1_3genE4ELNS1_11target_archE910ELNS1_3gpuE8ELNS1_3repE0EEENS1_30default_config_static_selectorELNS0_4arch9wavefront6targetE0EEEvSM_.numbered_sgpr, 0
	.set _ZN7rocprim17ROCPRIM_400000_NS6detail17trampoline_kernelINS0_14default_configENS1_37merge_sort_block_sort_config_selectorIlNS0_10empty_typeEEEZNS1_21merge_sort_block_sortIS3_PlS8_PS5_S9_ZN2at6native12_GLOBAL__N_124unique_dim_cuda_templateIjEESt5tupleIJNSA_6TensorESF_SF_EERKSF_lbbbEUlllE_EE10hipError_tT0_T1_T2_T3_mRjT4_P12ihipStream_tbNS1_7vsmem_tEEUlT_E_NS1_11comp_targetILNS1_3genE4ELNS1_11target_archE910ELNS1_3gpuE8ELNS1_3repE0EEENS1_30default_config_static_selectorELNS0_4arch9wavefront6targetE0EEEvSM_.num_named_barrier, 0
	.set _ZN7rocprim17ROCPRIM_400000_NS6detail17trampoline_kernelINS0_14default_configENS1_37merge_sort_block_sort_config_selectorIlNS0_10empty_typeEEEZNS1_21merge_sort_block_sortIS3_PlS8_PS5_S9_ZN2at6native12_GLOBAL__N_124unique_dim_cuda_templateIjEESt5tupleIJNSA_6TensorESF_SF_EERKSF_lbbbEUlllE_EE10hipError_tT0_T1_T2_T3_mRjT4_P12ihipStream_tbNS1_7vsmem_tEEUlT_E_NS1_11comp_targetILNS1_3genE4ELNS1_11target_archE910ELNS1_3gpuE8ELNS1_3repE0EEENS1_30default_config_static_selectorELNS0_4arch9wavefront6targetE0EEEvSM_.private_seg_size, 0
	.set _ZN7rocprim17ROCPRIM_400000_NS6detail17trampoline_kernelINS0_14default_configENS1_37merge_sort_block_sort_config_selectorIlNS0_10empty_typeEEEZNS1_21merge_sort_block_sortIS3_PlS8_PS5_S9_ZN2at6native12_GLOBAL__N_124unique_dim_cuda_templateIjEESt5tupleIJNSA_6TensorESF_SF_EERKSF_lbbbEUlllE_EE10hipError_tT0_T1_T2_T3_mRjT4_P12ihipStream_tbNS1_7vsmem_tEEUlT_E_NS1_11comp_targetILNS1_3genE4ELNS1_11target_archE910ELNS1_3gpuE8ELNS1_3repE0EEENS1_30default_config_static_selectorELNS0_4arch9wavefront6targetE0EEEvSM_.uses_vcc, 0
	.set _ZN7rocprim17ROCPRIM_400000_NS6detail17trampoline_kernelINS0_14default_configENS1_37merge_sort_block_sort_config_selectorIlNS0_10empty_typeEEEZNS1_21merge_sort_block_sortIS3_PlS8_PS5_S9_ZN2at6native12_GLOBAL__N_124unique_dim_cuda_templateIjEESt5tupleIJNSA_6TensorESF_SF_EERKSF_lbbbEUlllE_EE10hipError_tT0_T1_T2_T3_mRjT4_P12ihipStream_tbNS1_7vsmem_tEEUlT_E_NS1_11comp_targetILNS1_3genE4ELNS1_11target_archE910ELNS1_3gpuE8ELNS1_3repE0EEENS1_30default_config_static_selectorELNS0_4arch9wavefront6targetE0EEEvSM_.uses_flat_scratch, 0
	.set _ZN7rocprim17ROCPRIM_400000_NS6detail17trampoline_kernelINS0_14default_configENS1_37merge_sort_block_sort_config_selectorIlNS0_10empty_typeEEEZNS1_21merge_sort_block_sortIS3_PlS8_PS5_S9_ZN2at6native12_GLOBAL__N_124unique_dim_cuda_templateIjEESt5tupleIJNSA_6TensorESF_SF_EERKSF_lbbbEUlllE_EE10hipError_tT0_T1_T2_T3_mRjT4_P12ihipStream_tbNS1_7vsmem_tEEUlT_E_NS1_11comp_targetILNS1_3genE4ELNS1_11target_archE910ELNS1_3gpuE8ELNS1_3repE0EEENS1_30default_config_static_selectorELNS0_4arch9wavefront6targetE0EEEvSM_.has_dyn_sized_stack, 0
	.set _ZN7rocprim17ROCPRIM_400000_NS6detail17trampoline_kernelINS0_14default_configENS1_37merge_sort_block_sort_config_selectorIlNS0_10empty_typeEEEZNS1_21merge_sort_block_sortIS3_PlS8_PS5_S9_ZN2at6native12_GLOBAL__N_124unique_dim_cuda_templateIjEESt5tupleIJNSA_6TensorESF_SF_EERKSF_lbbbEUlllE_EE10hipError_tT0_T1_T2_T3_mRjT4_P12ihipStream_tbNS1_7vsmem_tEEUlT_E_NS1_11comp_targetILNS1_3genE4ELNS1_11target_archE910ELNS1_3gpuE8ELNS1_3repE0EEENS1_30default_config_static_selectorELNS0_4arch9wavefront6targetE0EEEvSM_.has_recursion, 0
	.set _ZN7rocprim17ROCPRIM_400000_NS6detail17trampoline_kernelINS0_14default_configENS1_37merge_sort_block_sort_config_selectorIlNS0_10empty_typeEEEZNS1_21merge_sort_block_sortIS3_PlS8_PS5_S9_ZN2at6native12_GLOBAL__N_124unique_dim_cuda_templateIjEESt5tupleIJNSA_6TensorESF_SF_EERKSF_lbbbEUlllE_EE10hipError_tT0_T1_T2_T3_mRjT4_P12ihipStream_tbNS1_7vsmem_tEEUlT_E_NS1_11comp_targetILNS1_3genE4ELNS1_11target_archE910ELNS1_3gpuE8ELNS1_3repE0EEENS1_30default_config_static_selectorELNS0_4arch9wavefront6targetE0EEEvSM_.has_indirect_call, 0
	.section	.AMDGPU.csdata,"",@progbits
; Kernel info:
; codeLenInByte = 0
; TotalNumSgprs: 0
; NumVgprs: 0
; ScratchSize: 0
; MemoryBound: 0
; FloatMode: 240
; IeeeMode: 1
; LDSByteSize: 0 bytes/workgroup (compile time only)
; SGPRBlocks: 0
; VGPRBlocks: 0
; NumSGPRsForWavesPerEU: 1
; NumVGPRsForWavesPerEU: 1
; NamedBarCnt: 0
; Occupancy: 16
; WaveLimiterHint : 0
; COMPUTE_PGM_RSRC2:SCRATCH_EN: 0
; COMPUTE_PGM_RSRC2:USER_SGPR: 2
; COMPUTE_PGM_RSRC2:TRAP_HANDLER: 0
; COMPUTE_PGM_RSRC2:TGID_X_EN: 1
; COMPUTE_PGM_RSRC2:TGID_Y_EN: 0
; COMPUTE_PGM_RSRC2:TGID_Z_EN: 0
; COMPUTE_PGM_RSRC2:TIDIG_COMP_CNT: 0
	.section	.text._ZN7rocprim17ROCPRIM_400000_NS6detail17trampoline_kernelINS0_14default_configENS1_37merge_sort_block_sort_config_selectorIlNS0_10empty_typeEEEZNS1_21merge_sort_block_sortIS3_PlS8_PS5_S9_ZN2at6native12_GLOBAL__N_124unique_dim_cuda_templateIjEESt5tupleIJNSA_6TensorESF_SF_EERKSF_lbbbEUlllE_EE10hipError_tT0_T1_T2_T3_mRjT4_P12ihipStream_tbNS1_7vsmem_tEEUlT_E_NS1_11comp_targetILNS1_3genE3ELNS1_11target_archE908ELNS1_3gpuE7ELNS1_3repE0EEENS1_30default_config_static_selectorELNS0_4arch9wavefront6targetE0EEEvSM_,"axG",@progbits,_ZN7rocprim17ROCPRIM_400000_NS6detail17trampoline_kernelINS0_14default_configENS1_37merge_sort_block_sort_config_selectorIlNS0_10empty_typeEEEZNS1_21merge_sort_block_sortIS3_PlS8_PS5_S9_ZN2at6native12_GLOBAL__N_124unique_dim_cuda_templateIjEESt5tupleIJNSA_6TensorESF_SF_EERKSF_lbbbEUlllE_EE10hipError_tT0_T1_T2_T3_mRjT4_P12ihipStream_tbNS1_7vsmem_tEEUlT_E_NS1_11comp_targetILNS1_3genE3ELNS1_11target_archE908ELNS1_3gpuE7ELNS1_3repE0EEENS1_30default_config_static_selectorELNS0_4arch9wavefront6targetE0EEEvSM_,comdat
	.globl	_ZN7rocprim17ROCPRIM_400000_NS6detail17trampoline_kernelINS0_14default_configENS1_37merge_sort_block_sort_config_selectorIlNS0_10empty_typeEEEZNS1_21merge_sort_block_sortIS3_PlS8_PS5_S9_ZN2at6native12_GLOBAL__N_124unique_dim_cuda_templateIjEESt5tupleIJNSA_6TensorESF_SF_EERKSF_lbbbEUlllE_EE10hipError_tT0_T1_T2_T3_mRjT4_P12ihipStream_tbNS1_7vsmem_tEEUlT_E_NS1_11comp_targetILNS1_3genE3ELNS1_11target_archE908ELNS1_3gpuE7ELNS1_3repE0EEENS1_30default_config_static_selectorELNS0_4arch9wavefront6targetE0EEEvSM_ ; -- Begin function _ZN7rocprim17ROCPRIM_400000_NS6detail17trampoline_kernelINS0_14default_configENS1_37merge_sort_block_sort_config_selectorIlNS0_10empty_typeEEEZNS1_21merge_sort_block_sortIS3_PlS8_PS5_S9_ZN2at6native12_GLOBAL__N_124unique_dim_cuda_templateIjEESt5tupleIJNSA_6TensorESF_SF_EERKSF_lbbbEUlllE_EE10hipError_tT0_T1_T2_T3_mRjT4_P12ihipStream_tbNS1_7vsmem_tEEUlT_E_NS1_11comp_targetILNS1_3genE3ELNS1_11target_archE908ELNS1_3gpuE7ELNS1_3repE0EEENS1_30default_config_static_selectorELNS0_4arch9wavefront6targetE0EEEvSM_
	.p2align	8
	.type	_ZN7rocprim17ROCPRIM_400000_NS6detail17trampoline_kernelINS0_14default_configENS1_37merge_sort_block_sort_config_selectorIlNS0_10empty_typeEEEZNS1_21merge_sort_block_sortIS3_PlS8_PS5_S9_ZN2at6native12_GLOBAL__N_124unique_dim_cuda_templateIjEESt5tupleIJNSA_6TensorESF_SF_EERKSF_lbbbEUlllE_EE10hipError_tT0_T1_T2_T3_mRjT4_P12ihipStream_tbNS1_7vsmem_tEEUlT_E_NS1_11comp_targetILNS1_3genE3ELNS1_11target_archE908ELNS1_3gpuE7ELNS1_3repE0EEENS1_30default_config_static_selectorELNS0_4arch9wavefront6targetE0EEEvSM_,@function
_ZN7rocprim17ROCPRIM_400000_NS6detail17trampoline_kernelINS0_14default_configENS1_37merge_sort_block_sort_config_selectorIlNS0_10empty_typeEEEZNS1_21merge_sort_block_sortIS3_PlS8_PS5_S9_ZN2at6native12_GLOBAL__N_124unique_dim_cuda_templateIjEESt5tupleIJNSA_6TensorESF_SF_EERKSF_lbbbEUlllE_EE10hipError_tT0_T1_T2_T3_mRjT4_P12ihipStream_tbNS1_7vsmem_tEEUlT_E_NS1_11comp_targetILNS1_3genE3ELNS1_11target_archE908ELNS1_3gpuE7ELNS1_3repE0EEENS1_30default_config_static_selectorELNS0_4arch9wavefront6targetE0EEEvSM_: ; @_ZN7rocprim17ROCPRIM_400000_NS6detail17trampoline_kernelINS0_14default_configENS1_37merge_sort_block_sort_config_selectorIlNS0_10empty_typeEEEZNS1_21merge_sort_block_sortIS3_PlS8_PS5_S9_ZN2at6native12_GLOBAL__N_124unique_dim_cuda_templateIjEESt5tupleIJNSA_6TensorESF_SF_EERKSF_lbbbEUlllE_EE10hipError_tT0_T1_T2_T3_mRjT4_P12ihipStream_tbNS1_7vsmem_tEEUlT_E_NS1_11comp_targetILNS1_3genE3ELNS1_11target_archE908ELNS1_3gpuE7ELNS1_3repE0EEENS1_30default_config_static_selectorELNS0_4arch9wavefront6targetE0EEEvSM_
; %bb.0:
	.section	.rodata,"a",@progbits
	.p2align	6, 0x0
	.amdhsa_kernel _ZN7rocprim17ROCPRIM_400000_NS6detail17trampoline_kernelINS0_14default_configENS1_37merge_sort_block_sort_config_selectorIlNS0_10empty_typeEEEZNS1_21merge_sort_block_sortIS3_PlS8_PS5_S9_ZN2at6native12_GLOBAL__N_124unique_dim_cuda_templateIjEESt5tupleIJNSA_6TensorESF_SF_EERKSF_lbbbEUlllE_EE10hipError_tT0_T1_T2_T3_mRjT4_P12ihipStream_tbNS1_7vsmem_tEEUlT_E_NS1_11comp_targetILNS1_3genE3ELNS1_11target_archE908ELNS1_3gpuE7ELNS1_3repE0EEENS1_30default_config_static_selectorELNS0_4arch9wavefront6targetE0EEEvSM_
		.amdhsa_group_segment_fixed_size 0
		.amdhsa_private_segment_fixed_size 0
		.amdhsa_kernarg_size 72
		.amdhsa_user_sgpr_count 2
		.amdhsa_user_sgpr_dispatch_ptr 0
		.amdhsa_user_sgpr_queue_ptr 0
		.amdhsa_user_sgpr_kernarg_segment_ptr 1
		.amdhsa_user_sgpr_dispatch_id 0
		.amdhsa_user_sgpr_kernarg_preload_length 0
		.amdhsa_user_sgpr_kernarg_preload_offset 0
		.amdhsa_user_sgpr_private_segment_size 0
		.amdhsa_wavefront_size32 1
		.amdhsa_uses_dynamic_stack 0
		.amdhsa_enable_private_segment 0
		.amdhsa_system_sgpr_workgroup_id_x 1
		.amdhsa_system_sgpr_workgroup_id_y 0
		.amdhsa_system_sgpr_workgroup_id_z 0
		.amdhsa_system_sgpr_workgroup_info 0
		.amdhsa_system_vgpr_workitem_id 0
		.amdhsa_next_free_vgpr 1
		.amdhsa_next_free_sgpr 1
		.amdhsa_named_barrier_count 0
		.amdhsa_reserve_vcc 0
		.amdhsa_float_round_mode_32 0
		.amdhsa_float_round_mode_16_64 0
		.amdhsa_float_denorm_mode_32 3
		.amdhsa_float_denorm_mode_16_64 3
		.amdhsa_fp16_overflow 0
		.amdhsa_memory_ordered 1
		.amdhsa_forward_progress 1
		.amdhsa_inst_pref_size 0
		.amdhsa_round_robin_scheduling 0
		.amdhsa_exception_fp_ieee_invalid_op 0
		.amdhsa_exception_fp_denorm_src 0
		.amdhsa_exception_fp_ieee_div_zero 0
		.amdhsa_exception_fp_ieee_overflow 0
		.amdhsa_exception_fp_ieee_underflow 0
		.amdhsa_exception_fp_ieee_inexact 0
		.amdhsa_exception_int_div_zero 0
	.end_amdhsa_kernel
	.section	.text._ZN7rocprim17ROCPRIM_400000_NS6detail17trampoline_kernelINS0_14default_configENS1_37merge_sort_block_sort_config_selectorIlNS0_10empty_typeEEEZNS1_21merge_sort_block_sortIS3_PlS8_PS5_S9_ZN2at6native12_GLOBAL__N_124unique_dim_cuda_templateIjEESt5tupleIJNSA_6TensorESF_SF_EERKSF_lbbbEUlllE_EE10hipError_tT0_T1_T2_T3_mRjT4_P12ihipStream_tbNS1_7vsmem_tEEUlT_E_NS1_11comp_targetILNS1_3genE3ELNS1_11target_archE908ELNS1_3gpuE7ELNS1_3repE0EEENS1_30default_config_static_selectorELNS0_4arch9wavefront6targetE0EEEvSM_,"axG",@progbits,_ZN7rocprim17ROCPRIM_400000_NS6detail17trampoline_kernelINS0_14default_configENS1_37merge_sort_block_sort_config_selectorIlNS0_10empty_typeEEEZNS1_21merge_sort_block_sortIS3_PlS8_PS5_S9_ZN2at6native12_GLOBAL__N_124unique_dim_cuda_templateIjEESt5tupleIJNSA_6TensorESF_SF_EERKSF_lbbbEUlllE_EE10hipError_tT0_T1_T2_T3_mRjT4_P12ihipStream_tbNS1_7vsmem_tEEUlT_E_NS1_11comp_targetILNS1_3genE3ELNS1_11target_archE908ELNS1_3gpuE7ELNS1_3repE0EEENS1_30default_config_static_selectorELNS0_4arch9wavefront6targetE0EEEvSM_,comdat
.Lfunc_end1486:
	.size	_ZN7rocprim17ROCPRIM_400000_NS6detail17trampoline_kernelINS0_14default_configENS1_37merge_sort_block_sort_config_selectorIlNS0_10empty_typeEEEZNS1_21merge_sort_block_sortIS3_PlS8_PS5_S9_ZN2at6native12_GLOBAL__N_124unique_dim_cuda_templateIjEESt5tupleIJNSA_6TensorESF_SF_EERKSF_lbbbEUlllE_EE10hipError_tT0_T1_T2_T3_mRjT4_P12ihipStream_tbNS1_7vsmem_tEEUlT_E_NS1_11comp_targetILNS1_3genE3ELNS1_11target_archE908ELNS1_3gpuE7ELNS1_3repE0EEENS1_30default_config_static_selectorELNS0_4arch9wavefront6targetE0EEEvSM_, .Lfunc_end1486-_ZN7rocprim17ROCPRIM_400000_NS6detail17trampoline_kernelINS0_14default_configENS1_37merge_sort_block_sort_config_selectorIlNS0_10empty_typeEEEZNS1_21merge_sort_block_sortIS3_PlS8_PS5_S9_ZN2at6native12_GLOBAL__N_124unique_dim_cuda_templateIjEESt5tupleIJNSA_6TensorESF_SF_EERKSF_lbbbEUlllE_EE10hipError_tT0_T1_T2_T3_mRjT4_P12ihipStream_tbNS1_7vsmem_tEEUlT_E_NS1_11comp_targetILNS1_3genE3ELNS1_11target_archE908ELNS1_3gpuE7ELNS1_3repE0EEENS1_30default_config_static_selectorELNS0_4arch9wavefront6targetE0EEEvSM_
                                        ; -- End function
	.set _ZN7rocprim17ROCPRIM_400000_NS6detail17trampoline_kernelINS0_14default_configENS1_37merge_sort_block_sort_config_selectorIlNS0_10empty_typeEEEZNS1_21merge_sort_block_sortIS3_PlS8_PS5_S9_ZN2at6native12_GLOBAL__N_124unique_dim_cuda_templateIjEESt5tupleIJNSA_6TensorESF_SF_EERKSF_lbbbEUlllE_EE10hipError_tT0_T1_T2_T3_mRjT4_P12ihipStream_tbNS1_7vsmem_tEEUlT_E_NS1_11comp_targetILNS1_3genE3ELNS1_11target_archE908ELNS1_3gpuE7ELNS1_3repE0EEENS1_30default_config_static_selectorELNS0_4arch9wavefront6targetE0EEEvSM_.num_vgpr, 0
	.set _ZN7rocprim17ROCPRIM_400000_NS6detail17trampoline_kernelINS0_14default_configENS1_37merge_sort_block_sort_config_selectorIlNS0_10empty_typeEEEZNS1_21merge_sort_block_sortIS3_PlS8_PS5_S9_ZN2at6native12_GLOBAL__N_124unique_dim_cuda_templateIjEESt5tupleIJNSA_6TensorESF_SF_EERKSF_lbbbEUlllE_EE10hipError_tT0_T1_T2_T3_mRjT4_P12ihipStream_tbNS1_7vsmem_tEEUlT_E_NS1_11comp_targetILNS1_3genE3ELNS1_11target_archE908ELNS1_3gpuE7ELNS1_3repE0EEENS1_30default_config_static_selectorELNS0_4arch9wavefront6targetE0EEEvSM_.num_agpr, 0
	.set _ZN7rocprim17ROCPRIM_400000_NS6detail17trampoline_kernelINS0_14default_configENS1_37merge_sort_block_sort_config_selectorIlNS0_10empty_typeEEEZNS1_21merge_sort_block_sortIS3_PlS8_PS5_S9_ZN2at6native12_GLOBAL__N_124unique_dim_cuda_templateIjEESt5tupleIJNSA_6TensorESF_SF_EERKSF_lbbbEUlllE_EE10hipError_tT0_T1_T2_T3_mRjT4_P12ihipStream_tbNS1_7vsmem_tEEUlT_E_NS1_11comp_targetILNS1_3genE3ELNS1_11target_archE908ELNS1_3gpuE7ELNS1_3repE0EEENS1_30default_config_static_selectorELNS0_4arch9wavefront6targetE0EEEvSM_.numbered_sgpr, 0
	.set _ZN7rocprim17ROCPRIM_400000_NS6detail17trampoline_kernelINS0_14default_configENS1_37merge_sort_block_sort_config_selectorIlNS0_10empty_typeEEEZNS1_21merge_sort_block_sortIS3_PlS8_PS5_S9_ZN2at6native12_GLOBAL__N_124unique_dim_cuda_templateIjEESt5tupleIJNSA_6TensorESF_SF_EERKSF_lbbbEUlllE_EE10hipError_tT0_T1_T2_T3_mRjT4_P12ihipStream_tbNS1_7vsmem_tEEUlT_E_NS1_11comp_targetILNS1_3genE3ELNS1_11target_archE908ELNS1_3gpuE7ELNS1_3repE0EEENS1_30default_config_static_selectorELNS0_4arch9wavefront6targetE0EEEvSM_.num_named_barrier, 0
	.set _ZN7rocprim17ROCPRIM_400000_NS6detail17trampoline_kernelINS0_14default_configENS1_37merge_sort_block_sort_config_selectorIlNS0_10empty_typeEEEZNS1_21merge_sort_block_sortIS3_PlS8_PS5_S9_ZN2at6native12_GLOBAL__N_124unique_dim_cuda_templateIjEESt5tupleIJNSA_6TensorESF_SF_EERKSF_lbbbEUlllE_EE10hipError_tT0_T1_T2_T3_mRjT4_P12ihipStream_tbNS1_7vsmem_tEEUlT_E_NS1_11comp_targetILNS1_3genE3ELNS1_11target_archE908ELNS1_3gpuE7ELNS1_3repE0EEENS1_30default_config_static_selectorELNS0_4arch9wavefront6targetE0EEEvSM_.private_seg_size, 0
	.set _ZN7rocprim17ROCPRIM_400000_NS6detail17trampoline_kernelINS0_14default_configENS1_37merge_sort_block_sort_config_selectorIlNS0_10empty_typeEEEZNS1_21merge_sort_block_sortIS3_PlS8_PS5_S9_ZN2at6native12_GLOBAL__N_124unique_dim_cuda_templateIjEESt5tupleIJNSA_6TensorESF_SF_EERKSF_lbbbEUlllE_EE10hipError_tT0_T1_T2_T3_mRjT4_P12ihipStream_tbNS1_7vsmem_tEEUlT_E_NS1_11comp_targetILNS1_3genE3ELNS1_11target_archE908ELNS1_3gpuE7ELNS1_3repE0EEENS1_30default_config_static_selectorELNS0_4arch9wavefront6targetE0EEEvSM_.uses_vcc, 0
	.set _ZN7rocprim17ROCPRIM_400000_NS6detail17trampoline_kernelINS0_14default_configENS1_37merge_sort_block_sort_config_selectorIlNS0_10empty_typeEEEZNS1_21merge_sort_block_sortIS3_PlS8_PS5_S9_ZN2at6native12_GLOBAL__N_124unique_dim_cuda_templateIjEESt5tupleIJNSA_6TensorESF_SF_EERKSF_lbbbEUlllE_EE10hipError_tT0_T1_T2_T3_mRjT4_P12ihipStream_tbNS1_7vsmem_tEEUlT_E_NS1_11comp_targetILNS1_3genE3ELNS1_11target_archE908ELNS1_3gpuE7ELNS1_3repE0EEENS1_30default_config_static_selectorELNS0_4arch9wavefront6targetE0EEEvSM_.uses_flat_scratch, 0
	.set _ZN7rocprim17ROCPRIM_400000_NS6detail17trampoline_kernelINS0_14default_configENS1_37merge_sort_block_sort_config_selectorIlNS0_10empty_typeEEEZNS1_21merge_sort_block_sortIS3_PlS8_PS5_S9_ZN2at6native12_GLOBAL__N_124unique_dim_cuda_templateIjEESt5tupleIJNSA_6TensorESF_SF_EERKSF_lbbbEUlllE_EE10hipError_tT0_T1_T2_T3_mRjT4_P12ihipStream_tbNS1_7vsmem_tEEUlT_E_NS1_11comp_targetILNS1_3genE3ELNS1_11target_archE908ELNS1_3gpuE7ELNS1_3repE0EEENS1_30default_config_static_selectorELNS0_4arch9wavefront6targetE0EEEvSM_.has_dyn_sized_stack, 0
	.set _ZN7rocprim17ROCPRIM_400000_NS6detail17trampoline_kernelINS0_14default_configENS1_37merge_sort_block_sort_config_selectorIlNS0_10empty_typeEEEZNS1_21merge_sort_block_sortIS3_PlS8_PS5_S9_ZN2at6native12_GLOBAL__N_124unique_dim_cuda_templateIjEESt5tupleIJNSA_6TensorESF_SF_EERKSF_lbbbEUlllE_EE10hipError_tT0_T1_T2_T3_mRjT4_P12ihipStream_tbNS1_7vsmem_tEEUlT_E_NS1_11comp_targetILNS1_3genE3ELNS1_11target_archE908ELNS1_3gpuE7ELNS1_3repE0EEENS1_30default_config_static_selectorELNS0_4arch9wavefront6targetE0EEEvSM_.has_recursion, 0
	.set _ZN7rocprim17ROCPRIM_400000_NS6detail17trampoline_kernelINS0_14default_configENS1_37merge_sort_block_sort_config_selectorIlNS0_10empty_typeEEEZNS1_21merge_sort_block_sortIS3_PlS8_PS5_S9_ZN2at6native12_GLOBAL__N_124unique_dim_cuda_templateIjEESt5tupleIJNSA_6TensorESF_SF_EERKSF_lbbbEUlllE_EE10hipError_tT0_T1_T2_T3_mRjT4_P12ihipStream_tbNS1_7vsmem_tEEUlT_E_NS1_11comp_targetILNS1_3genE3ELNS1_11target_archE908ELNS1_3gpuE7ELNS1_3repE0EEENS1_30default_config_static_selectorELNS0_4arch9wavefront6targetE0EEEvSM_.has_indirect_call, 0
	.section	.AMDGPU.csdata,"",@progbits
; Kernel info:
; codeLenInByte = 0
; TotalNumSgprs: 0
; NumVgprs: 0
; ScratchSize: 0
; MemoryBound: 0
; FloatMode: 240
; IeeeMode: 1
; LDSByteSize: 0 bytes/workgroup (compile time only)
; SGPRBlocks: 0
; VGPRBlocks: 0
; NumSGPRsForWavesPerEU: 1
; NumVGPRsForWavesPerEU: 1
; NamedBarCnt: 0
; Occupancy: 16
; WaveLimiterHint : 0
; COMPUTE_PGM_RSRC2:SCRATCH_EN: 0
; COMPUTE_PGM_RSRC2:USER_SGPR: 2
; COMPUTE_PGM_RSRC2:TRAP_HANDLER: 0
; COMPUTE_PGM_RSRC2:TGID_X_EN: 1
; COMPUTE_PGM_RSRC2:TGID_Y_EN: 0
; COMPUTE_PGM_RSRC2:TGID_Z_EN: 0
; COMPUTE_PGM_RSRC2:TIDIG_COMP_CNT: 0
	.section	.text._ZN7rocprim17ROCPRIM_400000_NS6detail17trampoline_kernelINS0_14default_configENS1_37merge_sort_block_sort_config_selectorIlNS0_10empty_typeEEEZNS1_21merge_sort_block_sortIS3_PlS8_PS5_S9_ZN2at6native12_GLOBAL__N_124unique_dim_cuda_templateIjEESt5tupleIJNSA_6TensorESF_SF_EERKSF_lbbbEUlllE_EE10hipError_tT0_T1_T2_T3_mRjT4_P12ihipStream_tbNS1_7vsmem_tEEUlT_E_NS1_11comp_targetILNS1_3genE2ELNS1_11target_archE906ELNS1_3gpuE6ELNS1_3repE0EEENS1_30default_config_static_selectorELNS0_4arch9wavefront6targetE0EEEvSM_,"axG",@progbits,_ZN7rocprim17ROCPRIM_400000_NS6detail17trampoline_kernelINS0_14default_configENS1_37merge_sort_block_sort_config_selectorIlNS0_10empty_typeEEEZNS1_21merge_sort_block_sortIS3_PlS8_PS5_S9_ZN2at6native12_GLOBAL__N_124unique_dim_cuda_templateIjEESt5tupleIJNSA_6TensorESF_SF_EERKSF_lbbbEUlllE_EE10hipError_tT0_T1_T2_T3_mRjT4_P12ihipStream_tbNS1_7vsmem_tEEUlT_E_NS1_11comp_targetILNS1_3genE2ELNS1_11target_archE906ELNS1_3gpuE6ELNS1_3repE0EEENS1_30default_config_static_selectorELNS0_4arch9wavefront6targetE0EEEvSM_,comdat
	.globl	_ZN7rocprim17ROCPRIM_400000_NS6detail17trampoline_kernelINS0_14default_configENS1_37merge_sort_block_sort_config_selectorIlNS0_10empty_typeEEEZNS1_21merge_sort_block_sortIS3_PlS8_PS5_S9_ZN2at6native12_GLOBAL__N_124unique_dim_cuda_templateIjEESt5tupleIJNSA_6TensorESF_SF_EERKSF_lbbbEUlllE_EE10hipError_tT0_T1_T2_T3_mRjT4_P12ihipStream_tbNS1_7vsmem_tEEUlT_E_NS1_11comp_targetILNS1_3genE2ELNS1_11target_archE906ELNS1_3gpuE6ELNS1_3repE0EEENS1_30default_config_static_selectorELNS0_4arch9wavefront6targetE0EEEvSM_ ; -- Begin function _ZN7rocprim17ROCPRIM_400000_NS6detail17trampoline_kernelINS0_14default_configENS1_37merge_sort_block_sort_config_selectorIlNS0_10empty_typeEEEZNS1_21merge_sort_block_sortIS3_PlS8_PS5_S9_ZN2at6native12_GLOBAL__N_124unique_dim_cuda_templateIjEESt5tupleIJNSA_6TensorESF_SF_EERKSF_lbbbEUlllE_EE10hipError_tT0_T1_T2_T3_mRjT4_P12ihipStream_tbNS1_7vsmem_tEEUlT_E_NS1_11comp_targetILNS1_3genE2ELNS1_11target_archE906ELNS1_3gpuE6ELNS1_3repE0EEENS1_30default_config_static_selectorELNS0_4arch9wavefront6targetE0EEEvSM_
	.p2align	8
	.type	_ZN7rocprim17ROCPRIM_400000_NS6detail17trampoline_kernelINS0_14default_configENS1_37merge_sort_block_sort_config_selectorIlNS0_10empty_typeEEEZNS1_21merge_sort_block_sortIS3_PlS8_PS5_S9_ZN2at6native12_GLOBAL__N_124unique_dim_cuda_templateIjEESt5tupleIJNSA_6TensorESF_SF_EERKSF_lbbbEUlllE_EE10hipError_tT0_T1_T2_T3_mRjT4_P12ihipStream_tbNS1_7vsmem_tEEUlT_E_NS1_11comp_targetILNS1_3genE2ELNS1_11target_archE906ELNS1_3gpuE6ELNS1_3repE0EEENS1_30default_config_static_selectorELNS0_4arch9wavefront6targetE0EEEvSM_,@function
_ZN7rocprim17ROCPRIM_400000_NS6detail17trampoline_kernelINS0_14default_configENS1_37merge_sort_block_sort_config_selectorIlNS0_10empty_typeEEEZNS1_21merge_sort_block_sortIS3_PlS8_PS5_S9_ZN2at6native12_GLOBAL__N_124unique_dim_cuda_templateIjEESt5tupleIJNSA_6TensorESF_SF_EERKSF_lbbbEUlllE_EE10hipError_tT0_T1_T2_T3_mRjT4_P12ihipStream_tbNS1_7vsmem_tEEUlT_E_NS1_11comp_targetILNS1_3genE2ELNS1_11target_archE906ELNS1_3gpuE6ELNS1_3repE0EEENS1_30default_config_static_selectorELNS0_4arch9wavefront6targetE0EEEvSM_: ; @_ZN7rocprim17ROCPRIM_400000_NS6detail17trampoline_kernelINS0_14default_configENS1_37merge_sort_block_sort_config_selectorIlNS0_10empty_typeEEEZNS1_21merge_sort_block_sortIS3_PlS8_PS5_S9_ZN2at6native12_GLOBAL__N_124unique_dim_cuda_templateIjEESt5tupleIJNSA_6TensorESF_SF_EERKSF_lbbbEUlllE_EE10hipError_tT0_T1_T2_T3_mRjT4_P12ihipStream_tbNS1_7vsmem_tEEUlT_E_NS1_11comp_targetILNS1_3genE2ELNS1_11target_archE906ELNS1_3gpuE6ELNS1_3repE0EEENS1_30default_config_static_selectorELNS0_4arch9wavefront6targetE0EEEvSM_
; %bb.0:
	.section	.rodata,"a",@progbits
	.p2align	6, 0x0
	.amdhsa_kernel _ZN7rocprim17ROCPRIM_400000_NS6detail17trampoline_kernelINS0_14default_configENS1_37merge_sort_block_sort_config_selectorIlNS0_10empty_typeEEEZNS1_21merge_sort_block_sortIS3_PlS8_PS5_S9_ZN2at6native12_GLOBAL__N_124unique_dim_cuda_templateIjEESt5tupleIJNSA_6TensorESF_SF_EERKSF_lbbbEUlllE_EE10hipError_tT0_T1_T2_T3_mRjT4_P12ihipStream_tbNS1_7vsmem_tEEUlT_E_NS1_11comp_targetILNS1_3genE2ELNS1_11target_archE906ELNS1_3gpuE6ELNS1_3repE0EEENS1_30default_config_static_selectorELNS0_4arch9wavefront6targetE0EEEvSM_
		.amdhsa_group_segment_fixed_size 0
		.amdhsa_private_segment_fixed_size 0
		.amdhsa_kernarg_size 72
		.amdhsa_user_sgpr_count 2
		.amdhsa_user_sgpr_dispatch_ptr 0
		.amdhsa_user_sgpr_queue_ptr 0
		.amdhsa_user_sgpr_kernarg_segment_ptr 1
		.amdhsa_user_sgpr_dispatch_id 0
		.amdhsa_user_sgpr_kernarg_preload_length 0
		.amdhsa_user_sgpr_kernarg_preload_offset 0
		.amdhsa_user_sgpr_private_segment_size 0
		.amdhsa_wavefront_size32 1
		.amdhsa_uses_dynamic_stack 0
		.amdhsa_enable_private_segment 0
		.amdhsa_system_sgpr_workgroup_id_x 1
		.amdhsa_system_sgpr_workgroup_id_y 0
		.amdhsa_system_sgpr_workgroup_id_z 0
		.amdhsa_system_sgpr_workgroup_info 0
		.amdhsa_system_vgpr_workitem_id 0
		.amdhsa_next_free_vgpr 1
		.amdhsa_next_free_sgpr 1
		.amdhsa_named_barrier_count 0
		.amdhsa_reserve_vcc 0
		.amdhsa_float_round_mode_32 0
		.amdhsa_float_round_mode_16_64 0
		.amdhsa_float_denorm_mode_32 3
		.amdhsa_float_denorm_mode_16_64 3
		.amdhsa_fp16_overflow 0
		.amdhsa_memory_ordered 1
		.amdhsa_forward_progress 1
		.amdhsa_inst_pref_size 0
		.amdhsa_round_robin_scheduling 0
		.amdhsa_exception_fp_ieee_invalid_op 0
		.amdhsa_exception_fp_denorm_src 0
		.amdhsa_exception_fp_ieee_div_zero 0
		.amdhsa_exception_fp_ieee_overflow 0
		.amdhsa_exception_fp_ieee_underflow 0
		.amdhsa_exception_fp_ieee_inexact 0
		.amdhsa_exception_int_div_zero 0
	.end_amdhsa_kernel
	.section	.text._ZN7rocprim17ROCPRIM_400000_NS6detail17trampoline_kernelINS0_14default_configENS1_37merge_sort_block_sort_config_selectorIlNS0_10empty_typeEEEZNS1_21merge_sort_block_sortIS3_PlS8_PS5_S9_ZN2at6native12_GLOBAL__N_124unique_dim_cuda_templateIjEESt5tupleIJNSA_6TensorESF_SF_EERKSF_lbbbEUlllE_EE10hipError_tT0_T1_T2_T3_mRjT4_P12ihipStream_tbNS1_7vsmem_tEEUlT_E_NS1_11comp_targetILNS1_3genE2ELNS1_11target_archE906ELNS1_3gpuE6ELNS1_3repE0EEENS1_30default_config_static_selectorELNS0_4arch9wavefront6targetE0EEEvSM_,"axG",@progbits,_ZN7rocprim17ROCPRIM_400000_NS6detail17trampoline_kernelINS0_14default_configENS1_37merge_sort_block_sort_config_selectorIlNS0_10empty_typeEEEZNS1_21merge_sort_block_sortIS3_PlS8_PS5_S9_ZN2at6native12_GLOBAL__N_124unique_dim_cuda_templateIjEESt5tupleIJNSA_6TensorESF_SF_EERKSF_lbbbEUlllE_EE10hipError_tT0_T1_T2_T3_mRjT4_P12ihipStream_tbNS1_7vsmem_tEEUlT_E_NS1_11comp_targetILNS1_3genE2ELNS1_11target_archE906ELNS1_3gpuE6ELNS1_3repE0EEENS1_30default_config_static_selectorELNS0_4arch9wavefront6targetE0EEEvSM_,comdat
.Lfunc_end1487:
	.size	_ZN7rocprim17ROCPRIM_400000_NS6detail17trampoline_kernelINS0_14default_configENS1_37merge_sort_block_sort_config_selectorIlNS0_10empty_typeEEEZNS1_21merge_sort_block_sortIS3_PlS8_PS5_S9_ZN2at6native12_GLOBAL__N_124unique_dim_cuda_templateIjEESt5tupleIJNSA_6TensorESF_SF_EERKSF_lbbbEUlllE_EE10hipError_tT0_T1_T2_T3_mRjT4_P12ihipStream_tbNS1_7vsmem_tEEUlT_E_NS1_11comp_targetILNS1_3genE2ELNS1_11target_archE906ELNS1_3gpuE6ELNS1_3repE0EEENS1_30default_config_static_selectorELNS0_4arch9wavefront6targetE0EEEvSM_, .Lfunc_end1487-_ZN7rocprim17ROCPRIM_400000_NS6detail17trampoline_kernelINS0_14default_configENS1_37merge_sort_block_sort_config_selectorIlNS0_10empty_typeEEEZNS1_21merge_sort_block_sortIS3_PlS8_PS5_S9_ZN2at6native12_GLOBAL__N_124unique_dim_cuda_templateIjEESt5tupleIJNSA_6TensorESF_SF_EERKSF_lbbbEUlllE_EE10hipError_tT0_T1_T2_T3_mRjT4_P12ihipStream_tbNS1_7vsmem_tEEUlT_E_NS1_11comp_targetILNS1_3genE2ELNS1_11target_archE906ELNS1_3gpuE6ELNS1_3repE0EEENS1_30default_config_static_selectorELNS0_4arch9wavefront6targetE0EEEvSM_
                                        ; -- End function
	.set _ZN7rocprim17ROCPRIM_400000_NS6detail17trampoline_kernelINS0_14default_configENS1_37merge_sort_block_sort_config_selectorIlNS0_10empty_typeEEEZNS1_21merge_sort_block_sortIS3_PlS8_PS5_S9_ZN2at6native12_GLOBAL__N_124unique_dim_cuda_templateIjEESt5tupleIJNSA_6TensorESF_SF_EERKSF_lbbbEUlllE_EE10hipError_tT0_T1_T2_T3_mRjT4_P12ihipStream_tbNS1_7vsmem_tEEUlT_E_NS1_11comp_targetILNS1_3genE2ELNS1_11target_archE906ELNS1_3gpuE6ELNS1_3repE0EEENS1_30default_config_static_selectorELNS0_4arch9wavefront6targetE0EEEvSM_.num_vgpr, 0
	.set _ZN7rocprim17ROCPRIM_400000_NS6detail17trampoline_kernelINS0_14default_configENS1_37merge_sort_block_sort_config_selectorIlNS0_10empty_typeEEEZNS1_21merge_sort_block_sortIS3_PlS8_PS5_S9_ZN2at6native12_GLOBAL__N_124unique_dim_cuda_templateIjEESt5tupleIJNSA_6TensorESF_SF_EERKSF_lbbbEUlllE_EE10hipError_tT0_T1_T2_T3_mRjT4_P12ihipStream_tbNS1_7vsmem_tEEUlT_E_NS1_11comp_targetILNS1_3genE2ELNS1_11target_archE906ELNS1_3gpuE6ELNS1_3repE0EEENS1_30default_config_static_selectorELNS0_4arch9wavefront6targetE0EEEvSM_.num_agpr, 0
	.set _ZN7rocprim17ROCPRIM_400000_NS6detail17trampoline_kernelINS0_14default_configENS1_37merge_sort_block_sort_config_selectorIlNS0_10empty_typeEEEZNS1_21merge_sort_block_sortIS3_PlS8_PS5_S9_ZN2at6native12_GLOBAL__N_124unique_dim_cuda_templateIjEESt5tupleIJNSA_6TensorESF_SF_EERKSF_lbbbEUlllE_EE10hipError_tT0_T1_T2_T3_mRjT4_P12ihipStream_tbNS1_7vsmem_tEEUlT_E_NS1_11comp_targetILNS1_3genE2ELNS1_11target_archE906ELNS1_3gpuE6ELNS1_3repE0EEENS1_30default_config_static_selectorELNS0_4arch9wavefront6targetE0EEEvSM_.numbered_sgpr, 0
	.set _ZN7rocprim17ROCPRIM_400000_NS6detail17trampoline_kernelINS0_14default_configENS1_37merge_sort_block_sort_config_selectorIlNS0_10empty_typeEEEZNS1_21merge_sort_block_sortIS3_PlS8_PS5_S9_ZN2at6native12_GLOBAL__N_124unique_dim_cuda_templateIjEESt5tupleIJNSA_6TensorESF_SF_EERKSF_lbbbEUlllE_EE10hipError_tT0_T1_T2_T3_mRjT4_P12ihipStream_tbNS1_7vsmem_tEEUlT_E_NS1_11comp_targetILNS1_3genE2ELNS1_11target_archE906ELNS1_3gpuE6ELNS1_3repE0EEENS1_30default_config_static_selectorELNS0_4arch9wavefront6targetE0EEEvSM_.num_named_barrier, 0
	.set _ZN7rocprim17ROCPRIM_400000_NS6detail17trampoline_kernelINS0_14default_configENS1_37merge_sort_block_sort_config_selectorIlNS0_10empty_typeEEEZNS1_21merge_sort_block_sortIS3_PlS8_PS5_S9_ZN2at6native12_GLOBAL__N_124unique_dim_cuda_templateIjEESt5tupleIJNSA_6TensorESF_SF_EERKSF_lbbbEUlllE_EE10hipError_tT0_T1_T2_T3_mRjT4_P12ihipStream_tbNS1_7vsmem_tEEUlT_E_NS1_11comp_targetILNS1_3genE2ELNS1_11target_archE906ELNS1_3gpuE6ELNS1_3repE0EEENS1_30default_config_static_selectorELNS0_4arch9wavefront6targetE0EEEvSM_.private_seg_size, 0
	.set _ZN7rocprim17ROCPRIM_400000_NS6detail17trampoline_kernelINS0_14default_configENS1_37merge_sort_block_sort_config_selectorIlNS0_10empty_typeEEEZNS1_21merge_sort_block_sortIS3_PlS8_PS5_S9_ZN2at6native12_GLOBAL__N_124unique_dim_cuda_templateIjEESt5tupleIJNSA_6TensorESF_SF_EERKSF_lbbbEUlllE_EE10hipError_tT0_T1_T2_T3_mRjT4_P12ihipStream_tbNS1_7vsmem_tEEUlT_E_NS1_11comp_targetILNS1_3genE2ELNS1_11target_archE906ELNS1_3gpuE6ELNS1_3repE0EEENS1_30default_config_static_selectorELNS0_4arch9wavefront6targetE0EEEvSM_.uses_vcc, 0
	.set _ZN7rocprim17ROCPRIM_400000_NS6detail17trampoline_kernelINS0_14default_configENS1_37merge_sort_block_sort_config_selectorIlNS0_10empty_typeEEEZNS1_21merge_sort_block_sortIS3_PlS8_PS5_S9_ZN2at6native12_GLOBAL__N_124unique_dim_cuda_templateIjEESt5tupleIJNSA_6TensorESF_SF_EERKSF_lbbbEUlllE_EE10hipError_tT0_T1_T2_T3_mRjT4_P12ihipStream_tbNS1_7vsmem_tEEUlT_E_NS1_11comp_targetILNS1_3genE2ELNS1_11target_archE906ELNS1_3gpuE6ELNS1_3repE0EEENS1_30default_config_static_selectorELNS0_4arch9wavefront6targetE0EEEvSM_.uses_flat_scratch, 0
	.set _ZN7rocprim17ROCPRIM_400000_NS6detail17trampoline_kernelINS0_14default_configENS1_37merge_sort_block_sort_config_selectorIlNS0_10empty_typeEEEZNS1_21merge_sort_block_sortIS3_PlS8_PS5_S9_ZN2at6native12_GLOBAL__N_124unique_dim_cuda_templateIjEESt5tupleIJNSA_6TensorESF_SF_EERKSF_lbbbEUlllE_EE10hipError_tT0_T1_T2_T3_mRjT4_P12ihipStream_tbNS1_7vsmem_tEEUlT_E_NS1_11comp_targetILNS1_3genE2ELNS1_11target_archE906ELNS1_3gpuE6ELNS1_3repE0EEENS1_30default_config_static_selectorELNS0_4arch9wavefront6targetE0EEEvSM_.has_dyn_sized_stack, 0
	.set _ZN7rocprim17ROCPRIM_400000_NS6detail17trampoline_kernelINS0_14default_configENS1_37merge_sort_block_sort_config_selectorIlNS0_10empty_typeEEEZNS1_21merge_sort_block_sortIS3_PlS8_PS5_S9_ZN2at6native12_GLOBAL__N_124unique_dim_cuda_templateIjEESt5tupleIJNSA_6TensorESF_SF_EERKSF_lbbbEUlllE_EE10hipError_tT0_T1_T2_T3_mRjT4_P12ihipStream_tbNS1_7vsmem_tEEUlT_E_NS1_11comp_targetILNS1_3genE2ELNS1_11target_archE906ELNS1_3gpuE6ELNS1_3repE0EEENS1_30default_config_static_selectorELNS0_4arch9wavefront6targetE0EEEvSM_.has_recursion, 0
	.set _ZN7rocprim17ROCPRIM_400000_NS6detail17trampoline_kernelINS0_14default_configENS1_37merge_sort_block_sort_config_selectorIlNS0_10empty_typeEEEZNS1_21merge_sort_block_sortIS3_PlS8_PS5_S9_ZN2at6native12_GLOBAL__N_124unique_dim_cuda_templateIjEESt5tupleIJNSA_6TensorESF_SF_EERKSF_lbbbEUlllE_EE10hipError_tT0_T1_T2_T3_mRjT4_P12ihipStream_tbNS1_7vsmem_tEEUlT_E_NS1_11comp_targetILNS1_3genE2ELNS1_11target_archE906ELNS1_3gpuE6ELNS1_3repE0EEENS1_30default_config_static_selectorELNS0_4arch9wavefront6targetE0EEEvSM_.has_indirect_call, 0
	.section	.AMDGPU.csdata,"",@progbits
; Kernel info:
; codeLenInByte = 0
; TotalNumSgprs: 0
; NumVgprs: 0
; ScratchSize: 0
; MemoryBound: 0
; FloatMode: 240
; IeeeMode: 1
; LDSByteSize: 0 bytes/workgroup (compile time only)
; SGPRBlocks: 0
; VGPRBlocks: 0
; NumSGPRsForWavesPerEU: 1
; NumVGPRsForWavesPerEU: 1
; NamedBarCnt: 0
; Occupancy: 16
; WaveLimiterHint : 0
; COMPUTE_PGM_RSRC2:SCRATCH_EN: 0
; COMPUTE_PGM_RSRC2:USER_SGPR: 2
; COMPUTE_PGM_RSRC2:TRAP_HANDLER: 0
; COMPUTE_PGM_RSRC2:TGID_X_EN: 1
; COMPUTE_PGM_RSRC2:TGID_Y_EN: 0
; COMPUTE_PGM_RSRC2:TGID_Z_EN: 0
; COMPUTE_PGM_RSRC2:TIDIG_COMP_CNT: 0
	.section	.text._ZN7rocprim17ROCPRIM_400000_NS6detail17trampoline_kernelINS0_14default_configENS1_37merge_sort_block_sort_config_selectorIlNS0_10empty_typeEEEZNS1_21merge_sort_block_sortIS3_PlS8_PS5_S9_ZN2at6native12_GLOBAL__N_124unique_dim_cuda_templateIjEESt5tupleIJNSA_6TensorESF_SF_EERKSF_lbbbEUlllE_EE10hipError_tT0_T1_T2_T3_mRjT4_P12ihipStream_tbNS1_7vsmem_tEEUlT_E_NS1_11comp_targetILNS1_3genE10ELNS1_11target_archE1201ELNS1_3gpuE5ELNS1_3repE0EEENS1_30default_config_static_selectorELNS0_4arch9wavefront6targetE0EEEvSM_,"axG",@progbits,_ZN7rocprim17ROCPRIM_400000_NS6detail17trampoline_kernelINS0_14default_configENS1_37merge_sort_block_sort_config_selectorIlNS0_10empty_typeEEEZNS1_21merge_sort_block_sortIS3_PlS8_PS5_S9_ZN2at6native12_GLOBAL__N_124unique_dim_cuda_templateIjEESt5tupleIJNSA_6TensorESF_SF_EERKSF_lbbbEUlllE_EE10hipError_tT0_T1_T2_T3_mRjT4_P12ihipStream_tbNS1_7vsmem_tEEUlT_E_NS1_11comp_targetILNS1_3genE10ELNS1_11target_archE1201ELNS1_3gpuE5ELNS1_3repE0EEENS1_30default_config_static_selectorELNS0_4arch9wavefront6targetE0EEEvSM_,comdat
	.globl	_ZN7rocprim17ROCPRIM_400000_NS6detail17trampoline_kernelINS0_14default_configENS1_37merge_sort_block_sort_config_selectorIlNS0_10empty_typeEEEZNS1_21merge_sort_block_sortIS3_PlS8_PS5_S9_ZN2at6native12_GLOBAL__N_124unique_dim_cuda_templateIjEESt5tupleIJNSA_6TensorESF_SF_EERKSF_lbbbEUlllE_EE10hipError_tT0_T1_T2_T3_mRjT4_P12ihipStream_tbNS1_7vsmem_tEEUlT_E_NS1_11comp_targetILNS1_3genE10ELNS1_11target_archE1201ELNS1_3gpuE5ELNS1_3repE0EEENS1_30default_config_static_selectorELNS0_4arch9wavefront6targetE0EEEvSM_ ; -- Begin function _ZN7rocprim17ROCPRIM_400000_NS6detail17trampoline_kernelINS0_14default_configENS1_37merge_sort_block_sort_config_selectorIlNS0_10empty_typeEEEZNS1_21merge_sort_block_sortIS3_PlS8_PS5_S9_ZN2at6native12_GLOBAL__N_124unique_dim_cuda_templateIjEESt5tupleIJNSA_6TensorESF_SF_EERKSF_lbbbEUlllE_EE10hipError_tT0_T1_T2_T3_mRjT4_P12ihipStream_tbNS1_7vsmem_tEEUlT_E_NS1_11comp_targetILNS1_3genE10ELNS1_11target_archE1201ELNS1_3gpuE5ELNS1_3repE0EEENS1_30default_config_static_selectorELNS0_4arch9wavefront6targetE0EEEvSM_
	.p2align	8
	.type	_ZN7rocprim17ROCPRIM_400000_NS6detail17trampoline_kernelINS0_14default_configENS1_37merge_sort_block_sort_config_selectorIlNS0_10empty_typeEEEZNS1_21merge_sort_block_sortIS3_PlS8_PS5_S9_ZN2at6native12_GLOBAL__N_124unique_dim_cuda_templateIjEESt5tupleIJNSA_6TensorESF_SF_EERKSF_lbbbEUlllE_EE10hipError_tT0_T1_T2_T3_mRjT4_P12ihipStream_tbNS1_7vsmem_tEEUlT_E_NS1_11comp_targetILNS1_3genE10ELNS1_11target_archE1201ELNS1_3gpuE5ELNS1_3repE0EEENS1_30default_config_static_selectorELNS0_4arch9wavefront6targetE0EEEvSM_,@function
_ZN7rocprim17ROCPRIM_400000_NS6detail17trampoline_kernelINS0_14default_configENS1_37merge_sort_block_sort_config_selectorIlNS0_10empty_typeEEEZNS1_21merge_sort_block_sortIS3_PlS8_PS5_S9_ZN2at6native12_GLOBAL__N_124unique_dim_cuda_templateIjEESt5tupleIJNSA_6TensorESF_SF_EERKSF_lbbbEUlllE_EE10hipError_tT0_T1_T2_T3_mRjT4_P12ihipStream_tbNS1_7vsmem_tEEUlT_E_NS1_11comp_targetILNS1_3genE10ELNS1_11target_archE1201ELNS1_3gpuE5ELNS1_3repE0EEENS1_30default_config_static_selectorELNS0_4arch9wavefront6targetE0EEEvSM_: ; @_ZN7rocprim17ROCPRIM_400000_NS6detail17trampoline_kernelINS0_14default_configENS1_37merge_sort_block_sort_config_selectorIlNS0_10empty_typeEEEZNS1_21merge_sort_block_sortIS3_PlS8_PS5_S9_ZN2at6native12_GLOBAL__N_124unique_dim_cuda_templateIjEESt5tupleIJNSA_6TensorESF_SF_EERKSF_lbbbEUlllE_EE10hipError_tT0_T1_T2_T3_mRjT4_P12ihipStream_tbNS1_7vsmem_tEEUlT_E_NS1_11comp_targetILNS1_3genE10ELNS1_11target_archE1201ELNS1_3gpuE5ELNS1_3repE0EEENS1_30default_config_static_selectorELNS0_4arch9wavefront6targetE0EEEvSM_
; %bb.0:
	.section	.rodata,"a",@progbits
	.p2align	6, 0x0
	.amdhsa_kernel _ZN7rocprim17ROCPRIM_400000_NS6detail17trampoline_kernelINS0_14default_configENS1_37merge_sort_block_sort_config_selectorIlNS0_10empty_typeEEEZNS1_21merge_sort_block_sortIS3_PlS8_PS5_S9_ZN2at6native12_GLOBAL__N_124unique_dim_cuda_templateIjEESt5tupleIJNSA_6TensorESF_SF_EERKSF_lbbbEUlllE_EE10hipError_tT0_T1_T2_T3_mRjT4_P12ihipStream_tbNS1_7vsmem_tEEUlT_E_NS1_11comp_targetILNS1_3genE10ELNS1_11target_archE1201ELNS1_3gpuE5ELNS1_3repE0EEENS1_30default_config_static_selectorELNS0_4arch9wavefront6targetE0EEEvSM_
		.amdhsa_group_segment_fixed_size 0
		.amdhsa_private_segment_fixed_size 0
		.amdhsa_kernarg_size 72
		.amdhsa_user_sgpr_count 2
		.amdhsa_user_sgpr_dispatch_ptr 0
		.amdhsa_user_sgpr_queue_ptr 0
		.amdhsa_user_sgpr_kernarg_segment_ptr 1
		.amdhsa_user_sgpr_dispatch_id 0
		.amdhsa_user_sgpr_kernarg_preload_length 0
		.amdhsa_user_sgpr_kernarg_preload_offset 0
		.amdhsa_user_sgpr_private_segment_size 0
		.amdhsa_wavefront_size32 1
		.amdhsa_uses_dynamic_stack 0
		.amdhsa_enable_private_segment 0
		.amdhsa_system_sgpr_workgroup_id_x 1
		.amdhsa_system_sgpr_workgroup_id_y 0
		.amdhsa_system_sgpr_workgroup_id_z 0
		.amdhsa_system_sgpr_workgroup_info 0
		.amdhsa_system_vgpr_workitem_id 0
		.amdhsa_next_free_vgpr 1
		.amdhsa_next_free_sgpr 1
		.amdhsa_named_barrier_count 0
		.amdhsa_reserve_vcc 0
		.amdhsa_float_round_mode_32 0
		.amdhsa_float_round_mode_16_64 0
		.amdhsa_float_denorm_mode_32 3
		.amdhsa_float_denorm_mode_16_64 3
		.amdhsa_fp16_overflow 0
		.amdhsa_memory_ordered 1
		.amdhsa_forward_progress 1
		.amdhsa_inst_pref_size 0
		.amdhsa_round_robin_scheduling 0
		.amdhsa_exception_fp_ieee_invalid_op 0
		.amdhsa_exception_fp_denorm_src 0
		.amdhsa_exception_fp_ieee_div_zero 0
		.amdhsa_exception_fp_ieee_overflow 0
		.amdhsa_exception_fp_ieee_underflow 0
		.amdhsa_exception_fp_ieee_inexact 0
		.amdhsa_exception_int_div_zero 0
	.end_amdhsa_kernel
	.section	.text._ZN7rocprim17ROCPRIM_400000_NS6detail17trampoline_kernelINS0_14default_configENS1_37merge_sort_block_sort_config_selectorIlNS0_10empty_typeEEEZNS1_21merge_sort_block_sortIS3_PlS8_PS5_S9_ZN2at6native12_GLOBAL__N_124unique_dim_cuda_templateIjEESt5tupleIJNSA_6TensorESF_SF_EERKSF_lbbbEUlllE_EE10hipError_tT0_T1_T2_T3_mRjT4_P12ihipStream_tbNS1_7vsmem_tEEUlT_E_NS1_11comp_targetILNS1_3genE10ELNS1_11target_archE1201ELNS1_3gpuE5ELNS1_3repE0EEENS1_30default_config_static_selectorELNS0_4arch9wavefront6targetE0EEEvSM_,"axG",@progbits,_ZN7rocprim17ROCPRIM_400000_NS6detail17trampoline_kernelINS0_14default_configENS1_37merge_sort_block_sort_config_selectorIlNS0_10empty_typeEEEZNS1_21merge_sort_block_sortIS3_PlS8_PS5_S9_ZN2at6native12_GLOBAL__N_124unique_dim_cuda_templateIjEESt5tupleIJNSA_6TensorESF_SF_EERKSF_lbbbEUlllE_EE10hipError_tT0_T1_T2_T3_mRjT4_P12ihipStream_tbNS1_7vsmem_tEEUlT_E_NS1_11comp_targetILNS1_3genE10ELNS1_11target_archE1201ELNS1_3gpuE5ELNS1_3repE0EEENS1_30default_config_static_selectorELNS0_4arch9wavefront6targetE0EEEvSM_,comdat
.Lfunc_end1488:
	.size	_ZN7rocprim17ROCPRIM_400000_NS6detail17trampoline_kernelINS0_14default_configENS1_37merge_sort_block_sort_config_selectorIlNS0_10empty_typeEEEZNS1_21merge_sort_block_sortIS3_PlS8_PS5_S9_ZN2at6native12_GLOBAL__N_124unique_dim_cuda_templateIjEESt5tupleIJNSA_6TensorESF_SF_EERKSF_lbbbEUlllE_EE10hipError_tT0_T1_T2_T3_mRjT4_P12ihipStream_tbNS1_7vsmem_tEEUlT_E_NS1_11comp_targetILNS1_3genE10ELNS1_11target_archE1201ELNS1_3gpuE5ELNS1_3repE0EEENS1_30default_config_static_selectorELNS0_4arch9wavefront6targetE0EEEvSM_, .Lfunc_end1488-_ZN7rocprim17ROCPRIM_400000_NS6detail17trampoline_kernelINS0_14default_configENS1_37merge_sort_block_sort_config_selectorIlNS0_10empty_typeEEEZNS1_21merge_sort_block_sortIS3_PlS8_PS5_S9_ZN2at6native12_GLOBAL__N_124unique_dim_cuda_templateIjEESt5tupleIJNSA_6TensorESF_SF_EERKSF_lbbbEUlllE_EE10hipError_tT0_T1_T2_T3_mRjT4_P12ihipStream_tbNS1_7vsmem_tEEUlT_E_NS1_11comp_targetILNS1_3genE10ELNS1_11target_archE1201ELNS1_3gpuE5ELNS1_3repE0EEENS1_30default_config_static_selectorELNS0_4arch9wavefront6targetE0EEEvSM_
                                        ; -- End function
	.set _ZN7rocprim17ROCPRIM_400000_NS6detail17trampoline_kernelINS0_14default_configENS1_37merge_sort_block_sort_config_selectorIlNS0_10empty_typeEEEZNS1_21merge_sort_block_sortIS3_PlS8_PS5_S9_ZN2at6native12_GLOBAL__N_124unique_dim_cuda_templateIjEESt5tupleIJNSA_6TensorESF_SF_EERKSF_lbbbEUlllE_EE10hipError_tT0_T1_T2_T3_mRjT4_P12ihipStream_tbNS1_7vsmem_tEEUlT_E_NS1_11comp_targetILNS1_3genE10ELNS1_11target_archE1201ELNS1_3gpuE5ELNS1_3repE0EEENS1_30default_config_static_selectorELNS0_4arch9wavefront6targetE0EEEvSM_.num_vgpr, 0
	.set _ZN7rocprim17ROCPRIM_400000_NS6detail17trampoline_kernelINS0_14default_configENS1_37merge_sort_block_sort_config_selectorIlNS0_10empty_typeEEEZNS1_21merge_sort_block_sortIS3_PlS8_PS5_S9_ZN2at6native12_GLOBAL__N_124unique_dim_cuda_templateIjEESt5tupleIJNSA_6TensorESF_SF_EERKSF_lbbbEUlllE_EE10hipError_tT0_T1_T2_T3_mRjT4_P12ihipStream_tbNS1_7vsmem_tEEUlT_E_NS1_11comp_targetILNS1_3genE10ELNS1_11target_archE1201ELNS1_3gpuE5ELNS1_3repE0EEENS1_30default_config_static_selectorELNS0_4arch9wavefront6targetE0EEEvSM_.num_agpr, 0
	.set _ZN7rocprim17ROCPRIM_400000_NS6detail17trampoline_kernelINS0_14default_configENS1_37merge_sort_block_sort_config_selectorIlNS0_10empty_typeEEEZNS1_21merge_sort_block_sortIS3_PlS8_PS5_S9_ZN2at6native12_GLOBAL__N_124unique_dim_cuda_templateIjEESt5tupleIJNSA_6TensorESF_SF_EERKSF_lbbbEUlllE_EE10hipError_tT0_T1_T2_T3_mRjT4_P12ihipStream_tbNS1_7vsmem_tEEUlT_E_NS1_11comp_targetILNS1_3genE10ELNS1_11target_archE1201ELNS1_3gpuE5ELNS1_3repE0EEENS1_30default_config_static_selectorELNS0_4arch9wavefront6targetE0EEEvSM_.numbered_sgpr, 0
	.set _ZN7rocprim17ROCPRIM_400000_NS6detail17trampoline_kernelINS0_14default_configENS1_37merge_sort_block_sort_config_selectorIlNS0_10empty_typeEEEZNS1_21merge_sort_block_sortIS3_PlS8_PS5_S9_ZN2at6native12_GLOBAL__N_124unique_dim_cuda_templateIjEESt5tupleIJNSA_6TensorESF_SF_EERKSF_lbbbEUlllE_EE10hipError_tT0_T1_T2_T3_mRjT4_P12ihipStream_tbNS1_7vsmem_tEEUlT_E_NS1_11comp_targetILNS1_3genE10ELNS1_11target_archE1201ELNS1_3gpuE5ELNS1_3repE0EEENS1_30default_config_static_selectorELNS0_4arch9wavefront6targetE0EEEvSM_.num_named_barrier, 0
	.set _ZN7rocprim17ROCPRIM_400000_NS6detail17trampoline_kernelINS0_14default_configENS1_37merge_sort_block_sort_config_selectorIlNS0_10empty_typeEEEZNS1_21merge_sort_block_sortIS3_PlS8_PS5_S9_ZN2at6native12_GLOBAL__N_124unique_dim_cuda_templateIjEESt5tupleIJNSA_6TensorESF_SF_EERKSF_lbbbEUlllE_EE10hipError_tT0_T1_T2_T3_mRjT4_P12ihipStream_tbNS1_7vsmem_tEEUlT_E_NS1_11comp_targetILNS1_3genE10ELNS1_11target_archE1201ELNS1_3gpuE5ELNS1_3repE0EEENS1_30default_config_static_selectorELNS0_4arch9wavefront6targetE0EEEvSM_.private_seg_size, 0
	.set _ZN7rocprim17ROCPRIM_400000_NS6detail17trampoline_kernelINS0_14default_configENS1_37merge_sort_block_sort_config_selectorIlNS0_10empty_typeEEEZNS1_21merge_sort_block_sortIS3_PlS8_PS5_S9_ZN2at6native12_GLOBAL__N_124unique_dim_cuda_templateIjEESt5tupleIJNSA_6TensorESF_SF_EERKSF_lbbbEUlllE_EE10hipError_tT0_T1_T2_T3_mRjT4_P12ihipStream_tbNS1_7vsmem_tEEUlT_E_NS1_11comp_targetILNS1_3genE10ELNS1_11target_archE1201ELNS1_3gpuE5ELNS1_3repE0EEENS1_30default_config_static_selectorELNS0_4arch9wavefront6targetE0EEEvSM_.uses_vcc, 0
	.set _ZN7rocprim17ROCPRIM_400000_NS6detail17trampoline_kernelINS0_14default_configENS1_37merge_sort_block_sort_config_selectorIlNS0_10empty_typeEEEZNS1_21merge_sort_block_sortIS3_PlS8_PS5_S9_ZN2at6native12_GLOBAL__N_124unique_dim_cuda_templateIjEESt5tupleIJNSA_6TensorESF_SF_EERKSF_lbbbEUlllE_EE10hipError_tT0_T1_T2_T3_mRjT4_P12ihipStream_tbNS1_7vsmem_tEEUlT_E_NS1_11comp_targetILNS1_3genE10ELNS1_11target_archE1201ELNS1_3gpuE5ELNS1_3repE0EEENS1_30default_config_static_selectorELNS0_4arch9wavefront6targetE0EEEvSM_.uses_flat_scratch, 0
	.set _ZN7rocprim17ROCPRIM_400000_NS6detail17trampoline_kernelINS0_14default_configENS1_37merge_sort_block_sort_config_selectorIlNS0_10empty_typeEEEZNS1_21merge_sort_block_sortIS3_PlS8_PS5_S9_ZN2at6native12_GLOBAL__N_124unique_dim_cuda_templateIjEESt5tupleIJNSA_6TensorESF_SF_EERKSF_lbbbEUlllE_EE10hipError_tT0_T1_T2_T3_mRjT4_P12ihipStream_tbNS1_7vsmem_tEEUlT_E_NS1_11comp_targetILNS1_3genE10ELNS1_11target_archE1201ELNS1_3gpuE5ELNS1_3repE0EEENS1_30default_config_static_selectorELNS0_4arch9wavefront6targetE0EEEvSM_.has_dyn_sized_stack, 0
	.set _ZN7rocprim17ROCPRIM_400000_NS6detail17trampoline_kernelINS0_14default_configENS1_37merge_sort_block_sort_config_selectorIlNS0_10empty_typeEEEZNS1_21merge_sort_block_sortIS3_PlS8_PS5_S9_ZN2at6native12_GLOBAL__N_124unique_dim_cuda_templateIjEESt5tupleIJNSA_6TensorESF_SF_EERKSF_lbbbEUlllE_EE10hipError_tT0_T1_T2_T3_mRjT4_P12ihipStream_tbNS1_7vsmem_tEEUlT_E_NS1_11comp_targetILNS1_3genE10ELNS1_11target_archE1201ELNS1_3gpuE5ELNS1_3repE0EEENS1_30default_config_static_selectorELNS0_4arch9wavefront6targetE0EEEvSM_.has_recursion, 0
	.set _ZN7rocprim17ROCPRIM_400000_NS6detail17trampoline_kernelINS0_14default_configENS1_37merge_sort_block_sort_config_selectorIlNS0_10empty_typeEEEZNS1_21merge_sort_block_sortIS3_PlS8_PS5_S9_ZN2at6native12_GLOBAL__N_124unique_dim_cuda_templateIjEESt5tupleIJNSA_6TensorESF_SF_EERKSF_lbbbEUlllE_EE10hipError_tT0_T1_T2_T3_mRjT4_P12ihipStream_tbNS1_7vsmem_tEEUlT_E_NS1_11comp_targetILNS1_3genE10ELNS1_11target_archE1201ELNS1_3gpuE5ELNS1_3repE0EEENS1_30default_config_static_selectorELNS0_4arch9wavefront6targetE0EEEvSM_.has_indirect_call, 0
	.section	.AMDGPU.csdata,"",@progbits
; Kernel info:
; codeLenInByte = 0
; TotalNumSgprs: 0
; NumVgprs: 0
; ScratchSize: 0
; MemoryBound: 0
; FloatMode: 240
; IeeeMode: 1
; LDSByteSize: 0 bytes/workgroup (compile time only)
; SGPRBlocks: 0
; VGPRBlocks: 0
; NumSGPRsForWavesPerEU: 1
; NumVGPRsForWavesPerEU: 1
; NamedBarCnt: 0
; Occupancy: 16
; WaveLimiterHint : 0
; COMPUTE_PGM_RSRC2:SCRATCH_EN: 0
; COMPUTE_PGM_RSRC2:USER_SGPR: 2
; COMPUTE_PGM_RSRC2:TRAP_HANDLER: 0
; COMPUTE_PGM_RSRC2:TGID_X_EN: 1
; COMPUTE_PGM_RSRC2:TGID_Y_EN: 0
; COMPUTE_PGM_RSRC2:TGID_Z_EN: 0
; COMPUTE_PGM_RSRC2:TIDIG_COMP_CNT: 0
	.section	.text._ZN7rocprim17ROCPRIM_400000_NS6detail17trampoline_kernelINS0_14default_configENS1_37merge_sort_block_sort_config_selectorIlNS0_10empty_typeEEEZNS1_21merge_sort_block_sortIS3_PlS8_PS5_S9_ZN2at6native12_GLOBAL__N_124unique_dim_cuda_templateIjEESt5tupleIJNSA_6TensorESF_SF_EERKSF_lbbbEUlllE_EE10hipError_tT0_T1_T2_T3_mRjT4_P12ihipStream_tbNS1_7vsmem_tEEUlT_E_NS1_11comp_targetILNS1_3genE10ELNS1_11target_archE1200ELNS1_3gpuE4ELNS1_3repE0EEENS1_30default_config_static_selectorELNS0_4arch9wavefront6targetE0EEEvSM_,"axG",@progbits,_ZN7rocprim17ROCPRIM_400000_NS6detail17trampoline_kernelINS0_14default_configENS1_37merge_sort_block_sort_config_selectorIlNS0_10empty_typeEEEZNS1_21merge_sort_block_sortIS3_PlS8_PS5_S9_ZN2at6native12_GLOBAL__N_124unique_dim_cuda_templateIjEESt5tupleIJNSA_6TensorESF_SF_EERKSF_lbbbEUlllE_EE10hipError_tT0_T1_T2_T3_mRjT4_P12ihipStream_tbNS1_7vsmem_tEEUlT_E_NS1_11comp_targetILNS1_3genE10ELNS1_11target_archE1200ELNS1_3gpuE4ELNS1_3repE0EEENS1_30default_config_static_selectorELNS0_4arch9wavefront6targetE0EEEvSM_,comdat
	.globl	_ZN7rocprim17ROCPRIM_400000_NS6detail17trampoline_kernelINS0_14default_configENS1_37merge_sort_block_sort_config_selectorIlNS0_10empty_typeEEEZNS1_21merge_sort_block_sortIS3_PlS8_PS5_S9_ZN2at6native12_GLOBAL__N_124unique_dim_cuda_templateIjEESt5tupleIJNSA_6TensorESF_SF_EERKSF_lbbbEUlllE_EE10hipError_tT0_T1_T2_T3_mRjT4_P12ihipStream_tbNS1_7vsmem_tEEUlT_E_NS1_11comp_targetILNS1_3genE10ELNS1_11target_archE1200ELNS1_3gpuE4ELNS1_3repE0EEENS1_30default_config_static_selectorELNS0_4arch9wavefront6targetE0EEEvSM_ ; -- Begin function _ZN7rocprim17ROCPRIM_400000_NS6detail17trampoline_kernelINS0_14default_configENS1_37merge_sort_block_sort_config_selectorIlNS0_10empty_typeEEEZNS1_21merge_sort_block_sortIS3_PlS8_PS5_S9_ZN2at6native12_GLOBAL__N_124unique_dim_cuda_templateIjEESt5tupleIJNSA_6TensorESF_SF_EERKSF_lbbbEUlllE_EE10hipError_tT0_T1_T2_T3_mRjT4_P12ihipStream_tbNS1_7vsmem_tEEUlT_E_NS1_11comp_targetILNS1_3genE10ELNS1_11target_archE1200ELNS1_3gpuE4ELNS1_3repE0EEENS1_30default_config_static_selectorELNS0_4arch9wavefront6targetE0EEEvSM_
	.p2align	8
	.type	_ZN7rocprim17ROCPRIM_400000_NS6detail17trampoline_kernelINS0_14default_configENS1_37merge_sort_block_sort_config_selectorIlNS0_10empty_typeEEEZNS1_21merge_sort_block_sortIS3_PlS8_PS5_S9_ZN2at6native12_GLOBAL__N_124unique_dim_cuda_templateIjEESt5tupleIJNSA_6TensorESF_SF_EERKSF_lbbbEUlllE_EE10hipError_tT0_T1_T2_T3_mRjT4_P12ihipStream_tbNS1_7vsmem_tEEUlT_E_NS1_11comp_targetILNS1_3genE10ELNS1_11target_archE1200ELNS1_3gpuE4ELNS1_3repE0EEENS1_30default_config_static_selectorELNS0_4arch9wavefront6targetE0EEEvSM_,@function
_ZN7rocprim17ROCPRIM_400000_NS6detail17trampoline_kernelINS0_14default_configENS1_37merge_sort_block_sort_config_selectorIlNS0_10empty_typeEEEZNS1_21merge_sort_block_sortIS3_PlS8_PS5_S9_ZN2at6native12_GLOBAL__N_124unique_dim_cuda_templateIjEESt5tupleIJNSA_6TensorESF_SF_EERKSF_lbbbEUlllE_EE10hipError_tT0_T1_T2_T3_mRjT4_P12ihipStream_tbNS1_7vsmem_tEEUlT_E_NS1_11comp_targetILNS1_3genE10ELNS1_11target_archE1200ELNS1_3gpuE4ELNS1_3repE0EEENS1_30default_config_static_selectorELNS0_4arch9wavefront6targetE0EEEvSM_: ; @_ZN7rocprim17ROCPRIM_400000_NS6detail17trampoline_kernelINS0_14default_configENS1_37merge_sort_block_sort_config_selectorIlNS0_10empty_typeEEEZNS1_21merge_sort_block_sortIS3_PlS8_PS5_S9_ZN2at6native12_GLOBAL__N_124unique_dim_cuda_templateIjEESt5tupleIJNSA_6TensorESF_SF_EERKSF_lbbbEUlllE_EE10hipError_tT0_T1_T2_T3_mRjT4_P12ihipStream_tbNS1_7vsmem_tEEUlT_E_NS1_11comp_targetILNS1_3genE10ELNS1_11target_archE1200ELNS1_3gpuE4ELNS1_3repE0EEENS1_30default_config_static_selectorELNS0_4arch9wavefront6targetE0EEEvSM_
; %bb.0:
	.section	.rodata,"a",@progbits
	.p2align	6, 0x0
	.amdhsa_kernel _ZN7rocprim17ROCPRIM_400000_NS6detail17trampoline_kernelINS0_14default_configENS1_37merge_sort_block_sort_config_selectorIlNS0_10empty_typeEEEZNS1_21merge_sort_block_sortIS3_PlS8_PS5_S9_ZN2at6native12_GLOBAL__N_124unique_dim_cuda_templateIjEESt5tupleIJNSA_6TensorESF_SF_EERKSF_lbbbEUlllE_EE10hipError_tT0_T1_T2_T3_mRjT4_P12ihipStream_tbNS1_7vsmem_tEEUlT_E_NS1_11comp_targetILNS1_3genE10ELNS1_11target_archE1200ELNS1_3gpuE4ELNS1_3repE0EEENS1_30default_config_static_selectorELNS0_4arch9wavefront6targetE0EEEvSM_
		.amdhsa_group_segment_fixed_size 0
		.amdhsa_private_segment_fixed_size 0
		.amdhsa_kernarg_size 72
		.amdhsa_user_sgpr_count 2
		.amdhsa_user_sgpr_dispatch_ptr 0
		.amdhsa_user_sgpr_queue_ptr 0
		.amdhsa_user_sgpr_kernarg_segment_ptr 1
		.amdhsa_user_sgpr_dispatch_id 0
		.amdhsa_user_sgpr_kernarg_preload_length 0
		.amdhsa_user_sgpr_kernarg_preload_offset 0
		.amdhsa_user_sgpr_private_segment_size 0
		.amdhsa_wavefront_size32 1
		.amdhsa_uses_dynamic_stack 0
		.amdhsa_enable_private_segment 0
		.amdhsa_system_sgpr_workgroup_id_x 1
		.amdhsa_system_sgpr_workgroup_id_y 0
		.amdhsa_system_sgpr_workgroup_id_z 0
		.amdhsa_system_sgpr_workgroup_info 0
		.amdhsa_system_vgpr_workitem_id 0
		.amdhsa_next_free_vgpr 1
		.amdhsa_next_free_sgpr 1
		.amdhsa_named_barrier_count 0
		.amdhsa_reserve_vcc 0
		.amdhsa_float_round_mode_32 0
		.amdhsa_float_round_mode_16_64 0
		.amdhsa_float_denorm_mode_32 3
		.amdhsa_float_denorm_mode_16_64 3
		.amdhsa_fp16_overflow 0
		.amdhsa_memory_ordered 1
		.amdhsa_forward_progress 1
		.amdhsa_inst_pref_size 0
		.amdhsa_round_robin_scheduling 0
		.amdhsa_exception_fp_ieee_invalid_op 0
		.amdhsa_exception_fp_denorm_src 0
		.amdhsa_exception_fp_ieee_div_zero 0
		.amdhsa_exception_fp_ieee_overflow 0
		.amdhsa_exception_fp_ieee_underflow 0
		.amdhsa_exception_fp_ieee_inexact 0
		.amdhsa_exception_int_div_zero 0
	.end_amdhsa_kernel
	.section	.text._ZN7rocprim17ROCPRIM_400000_NS6detail17trampoline_kernelINS0_14default_configENS1_37merge_sort_block_sort_config_selectorIlNS0_10empty_typeEEEZNS1_21merge_sort_block_sortIS3_PlS8_PS5_S9_ZN2at6native12_GLOBAL__N_124unique_dim_cuda_templateIjEESt5tupleIJNSA_6TensorESF_SF_EERKSF_lbbbEUlllE_EE10hipError_tT0_T1_T2_T3_mRjT4_P12ihipStream_tbNS1_7vsmem_tEEUlT_E_NS1_11comp_targetILNS1_3genE10ELNS1_11target_archE1200ELNS1_3gpuE4ELNS1_3repE0EEENS1_30default_config_static_selectorELNS0_4arch9wavefront6targetE0EEEvSM_,"axG",@progbits,_ZN7rocprim17ROCPRIM_400000_NS6detail17trampoline_kernelINS0_14default_configENS1_37merge_sort_block_sort_config_selectorIlNS0_10empty_typeEEEZNS1_21merge_sort_block_sortIS3_PlS8_PS5_S9_ZN2at6native12_GLOBAL__N_124unique_dim_cuda_templateIjEESt5tupleIJNSA_6TensorESF_SF_EERKSF_lbbbEUlllE_EE10hipError_tT0_T1_T2_T3_mRjT4_P12ihipStream_tbNS1_7vsmem_tEEUlT_E_NS1_11comp_targetILNS1_3genE10ELNS1_11target_archE1200ELNS1_3gpuE4ELNS1_3repE0EEENS1_30default_config_static_selectorELNS0_4arch9wavefront6targetE0EEEvSM_,comdat
.Lfunc_end1489:
	.size	_ZN7rocprim17ROCPRIM_400000_NS6detail17trampoline_kernelINS0_14default_configENS1_37merge_sort_block_sort_config_selectorIlNS0_10empty_typeEEEZNS1_21merge_sort_block_sortIS3_PlS8_PS5_S9_ZN2at6native12_GLOBAL__N_124unique_dim_cuda_templateIjEESt5tupleIJNSA_6TensorESF_SF_EERKSF_lbbbEUlllE_EE10hipError_tT0_T1_T2_T3_mRjT4_P12ihipStream_tbNS1_7vsmem_tEEUlT_E_NS1_11comp_targetILNS1_3genE10ELNS1_11target_archE1200ELNS1_3gpuE4ELNS1_3repE0EEENS1_30default_config_static_selectorELNS0_4arch9wavefront6targetE0EEEvSM_, .Lfunc_end1489-_ZN7rocprim17ROCPRIM_400000_NS6detail17trampoline_kernelINS0_14default_configENS1_37merge_sort_block_sort_config_selectorIlNS0_10empty_typeEEEZNS1_21merge_sort_block_sortIS3_PlS8_PS5_S9_ZN2at6native12_GLOBAL__N_124unique_dim_cuda_templateIjEESt5tupleIJNSA_6TensorESF_SF_EERKSF_lbbbEUlllE_EE10hipError_tT0_T1_T2_T3_mRjT4_P12ihipStream_tbNS1_7vsmem_tEEUlT_E_NS1_11comp_targetILNS1_3genE10ELNS1_11target_archE1200ELNS1_3gpuE4ELNS1_3repE0EEENS1_30default_config_static_selectorELNS0_4arch9wavefront6targetE0EEEvSM_
                                        ; -- End function
	.set _ZN7rocprim17ROCPRIM_400000_NS6detail17trampoline_kernelINS0_14default_configENS1_37merge_sort_block_sort_config_selectorIlNS0_10empty_typeEEEZNS1_21merge_sort_block_sortIS3_PlS8_PS5_S9_ZN2at6native12_GLOBAL__N_124unique_dim_cuda_templateIjEESt5tupleIJNSA_6TensorESF_SF_EERKSF_lbbbEUlllE_EE10hipError_tT0_T1_T2_T3_mRjT4_P12ihipStream_tbNS1_7vsmem_tEEUlT_E_NS1_11comp_targetILNS1_3genE10ELNS1_11target_archE1200ELNS1_3gpuE4ELNS1_3repE0EEENS1_30default_config_static_selectorELNS0_4arch9wavefront6targetE0EEEvSM_.num_vgpr, 0
	.set _ZN7rocprim17ROCPRIM_400000_NS6detail17trampoline_kernelINS0_14default_configENS1_37merge_sort_block_sort_config_selectorIlNS0_10empty_typeEEEZNS1_21merge_sort_block_sortIS3_PlS8_PS5_S9_ZN2at6native12_GLOBAL__N_124unique_dim_cuda_templateIjEESt5tupleIJNSA_6TensorESF_SF_EERKSF_lbbbEUlllE_EE10hipError_tT0_T1_T2_T3_mRjT4_P12ihipStream_tbNS1_7vsmem_tEEUlT_E_NS1_11comp_targetILNS1_3genE10ELNS1_11target_archE1200ELNS1_3gpuE4ELNS1_3repE0EEENS1_30default_config_static_selectorELNS0_4arch9wavefront6targetE0EEEvSM_.num_agpr, 0
	.set _ZN7rocprim17ROCPRIM_400000_NS6detail17trampoline_kernelINS0_14default_configENS1_37merge_sort_block_sort_config_selectorIlNS0_10empty_typeEEEZNS1_21merge_sort_block_sortIS3_PlS8_PS5_S9_ZN2at6native12_GLOBAL__N_124unique_dim_cuda_templateIjEESt5tupleIJNSA_6TensorESF_SF_EERKSF_lbbbEUlllE_EE10hipError_tT0_T1_T2_T3_mRjT4_P12ihipStream_tbNS1_7vsmem_tEEUlT_E_NS1_11comp_targetILNS1_3genE10ELNS1_11target_archE1200ELNS1_3gpuE4ELNS1_3repE0EEENS1_30default_config_static_selectorELNS0_4arch9wavefront6targetE0EEEvSM_.numbered_sgpr, 0
	.set _ZN7rocprim17ROCPRIM_400000_NS6detail17trampoline_kernelINS0_14default_configENS1_37merge_sort_block_sort_config_selectorIlNS0_10empty_typeEEEZNS1_21merge_sort_block_sortIS3_PlS8_PS5_S9_ZN2at6native12_GLOBAL__N_124unique_dim_cuda_templateIjEESt5tupleIJNSA_6TensorESF_SF_EERKSF_lbbbEUlllE_EE10hipError_tT0_T1_T2_T3_mRjT4_P12ihipStream_tbNS1_7vsmem_tEEUlT_E_NS1_11comp_targetILNS1_3genE10ELNS1_11target_archE1200ELNS1_3gpuE4ELNS1_3repE0EEENS1_30default_config_static_selectorELNS0_4arch9wavefront6targetE0EEEvSM_.num_named_barrier, 0
	.set _ZN7rocprim17ROCPRIM_400000_NS6detail17trampoline_kernelINS0_14default_configENS1_37merge_sort_block_sort_config_selectorIlNS0_10empty_typeEEEZNS1_21merge_sort_block_sortIS3_PlS8_PS5_S9_ZN2at6native12_GLOBAL__N_124unique_dim_cuda_templateIjEESt5tupleIJNSA_6TensorESF_SF_EERKSF_lbbbEUlllE_EE10hipError_tT0_T1_T2_T3_mRjT4_P12ihipStream_tbNS1_7vsmem_tEEUlT_E_NS1_11comp_targetILNS1_3genE10ELNS1_11target_archE1200ELNS1_3gpuE4ELNS1_3repE0EEENS1_30default_config_static_selectorELNS0_4arch9wavefront6targetE0EEEvSM_.private_seg_size, 0
	.set _ZN7rocprim17ROCPRIM_400000_NS6detail17trampoline_kernelINS0_14default_configENS1_37merge_sort_block_sort_config_selectorIlNS0_10empty_typeEEEZNS1_21merge_sort_block_sortIS3_PlS8_PS5_S9_ZN2at6native12_GLOBAL__N_124unique_dim_cuda_templateIjEESt5tupleIJNSA_6TensorESF_SF_EERKSF_lbbbEUlllE_EE10hipError_tT0_T1_T2_T3_mRjT4_P12ihipStream_tbNS1_7vsmem_tEEUlT_E_NS1_11comp_targetILNS1_3genE10ELNS1_11target_archE1200ELNS1_3gpuE4ELNS1_3repE0EEENS1_30default_config_static_selectorELNS0_4arch9wavefront6targetE0EEEvSM_.uses_vcc, 0
	.set _ZN7rocprim17ROCPRIM_400000_NS6detail17trampoline_kernelINS0_14default_configENS1_37merge_sort_block_sort_config_selectorIlNS0_10empty_typeEEEZNS1_21merge_sort_block_sortIS3_PlS8_PS5_S9_ZN2at6native12_GLOBAL__N_124unique_dim_cuda_templateIjEESt5tupleIJNSA_6TensorESF_SF_EERKSF_lbbbEUlllE_EE10hipError_tT0_T1_T2_T3_mRjT4_P12ihipStream_tbNS1_7vsmem_tEEUlT_E_NS1_11comp_targetILNS1_3genE10ELNS1_11target_archE1200ELNS1_3gpuE4ELNS1_3repE0EEENS1_30default_config_static_selectorELNS0_4arch9wavefront6targetE0EEEvSM_.uses_flat_scratch, 0
	.set _ZN7rocprim17ROCPRIM_400000_NS6detail17trampoline_kernelINS0_14default_configENS1_37merge_sort_block_sort_config_selectorIlNS0_10empty_typeEEEZNS1_21merge_sort_block_sortIS3_PlS8_PS5_S9_ZN2at6native12_GLOBAL__N_124unique_dim_cuda_templateIjEESt5tupleIJNSA_6TensorESF_SF_EERKSF_lbbbEUlllE_EE10hipError_tT0_T1_T2_T3_mRjT4_P12ihipStream_tbNS1_7vsmem_tEEUlT_E_NS1_11comp_targetILNS1_3genE10ELNS1_11target_archE1200ELNS1_3gpuE4ELNS1_3repE0EEENS1_30default_config_static_selectorELNS0_4arch9wavefront6targetE0EEEvSM_.has_dyn_sized_stack, 0
	.set _ZN7rocprim17ROCPRIM_400000_NS6detail17trampoline_kernelINS0_14default_configENS1_37merge_sort_block_sort_config_selectorIlNS0_10empty_typeEEEZNS1_21merge_sort_block_sortIS3_PlS8_PS5_S9_ZN2at6native12_GLOBAL__N_124unique_dim_cuda_templateIjEESt5tupleIJNSA_6TensorESF_SF_EERKSF_lbbbEUlllE_EE10hipError_tT0_T1_T2_T3_mRjT4_P12ihipStream_tbNS1_7vsmem_tEEUlT_E_NS1_11comp_targetILNS1_3genE10ELNS1_11target_archE1200ELNS1_3gpuE4ELNS1_3repE0EEENS1_30default_config_static_selectorELNS0_4arch9wavefront6targetE0EEEvSM_.has_recursion, 0
	.set _ZN7rocprim17ROCPRIM_400000_NS6detail17trampoline_kernelINS0_14default_configENS1_37merge_sort_block_sort_config_selectorIlNS0_10empty_typeEEEZNS1_21merge_sort_block_sortIS3_PlS8_PS5_S9_ZN2at6native12_GLOBAL__N_124unique_dim_cuda_templateIjEESt5tupleIJNSA_6TensorESF_SF_EERKSF_lbbbEUlllE_EE10hipError_tT0_T1_T2_T3_mRjT4_P12ihipStream_tbNS1_7vsmem_tEEUlT_E_NS1_11comp_targetILNS1_3genE10ELNS1_11target_archE1200ELNS1_3gpuE4ELNS1_3repE0EEENS1_30default_config_static_selectorELNS0_4arch9wavefront6targetE0EEEvSM_.has_indirect_call, 0
	.section	.AMDGPU.csdata,"",@progbits
; Kernel info:
; codeLenInByte = 0
; TotalNumSgprs: 0
; NumVgprs: 0
; ScratchSize: 0
; MemoryBound: 0
; FloatMode: 240
; IeeeMode: 1
; LDSByteSize: 0 bytes/workgroup (compile time only)
; SGPRBlocks: 0
; VGPRBlocks: 0
; NumSGPRsForWavesPerEU: 1
; NumVGPRsForWavesPerEU: 1
; NamedBarCnt: 0
; Occupancy: 16
; WaveLimiterHint : 0
; COMPUTE_PGM_RSRC2:SCRATCH_EN: 0
; COMPUTE_PGM_RSRC2:USER_SGPR: 2
; COMPUTE_PGM_RSRC2:TRAP_HANDLER: 0
; COMPUTE_PGM_RSRC2:TGID_X_EN: 1
; COMPUTE_PGM_RSRC2:TGID_Y_EN: 0
; COMPUTE_PGM_RSRC2:TGID_Z_EN: 0
; COMPUTE_PGM_RSRC2:TIDIG_COMP_CNT: 0
	.section	.text._ZN7rocprim17ROCPRIM_400000_NS6detail17trampoline_kernelINS0_14default_configENS1_37merge_sort_block_sort_config_selectorIlNS0_10empty_typeEEEZNS1_21merge_sort_block_sortIS3_PlS8_PS5_S9_ZN2at6native12_GLOBAL__N_124unique_dim_cuda_templateIjEESt5tupleIJNSA_6TensorESF_SF_EERKSF_lbbbEUlllE_EE10hipError_tT0_T1_T2_T3_mRjT4_P12ihipStream_tbNS1_7vsmem_tEEUlT_E_NS1_11comp_targetILNS1_3genE9ELNS1_11target_archE1100ELNS1_3gpuE3ELNS1_3repE0EEENS1_30default_config_static_selectorELNS0_4arch9wavefront6targetE0EEEvSM_,"axG",@progbits,_ZN7rocprim17ROCPRIM_400000_NS6detail17trampoline_kernelINS0_14default_configENS1_37merge_sort_block_sort_config_selectorIlNS0_10empty_typeEEEZNS1_21merge_sort_block_sortIS3_PlS8_PS5_S9_ZN2at6native12_GLOBAL__N_124unique_dim_cuda_templateIjEESt5tupleIJNSA_6TensorESF_SF_EERKSF_lbbbEUlllE_EE10hipError_tT0_T1_T2_T3_mRjT4_P12ihipStream_tbNS1_7vsmem_tEEUlT_E_NS1_11comp_targetILNS1_3genE9ELNS1_11target_archE1100ELNS1_3gpuE3ELNS1_3repE0EEENS1_30default_config_static_selectorELNS0_4arch9wavefront6targetE0EEEvSM_,comdat
	.globl	_ZN7rocprim17ROCPRIM_400000_NS6detail17trampoline_kernelINS0_14default_configENS1_37merge_sort_block_sort_config_selectorIlNS0_10empty_typeEEEZNS1_21merge_sort_block_sortIS3_PlS8_PS5_S9_ZN2at6native12_GLOBAL__N_124unique_dim_cuda_templateIjEESt5tupleIJNSA_6TensorESF_SF_EERKSF_lbbbEUlllE_EE10hipError_tT0_T1_T2_T3_mRjT4_P12ihipStream_tbNS1_7vsmem_tEEUlT_E_NS1_11comp_targetILNS1_3genE9ELNS1_11target_archE1100ELNS1_3gpuE3ELNS1_3repE0EEENS1_30default_config_static_selectorELNS0_4arch9wavefront6targetE0EEEvSM_ ; -- Begin function _ZN7rocprim17ROCPRIM_400000_NS6detail17trampoline_kernelINS0_14default_configENS1_37merge_sort_block_sort_config_selectorIlNS0_10empty_typeEEEZNS1_21merge_sort_block_sortIS3_PlS8_PS5_S9_ZN2at6native12_GLOBAL__N_124unique_dim_cuda_templateIjEESt5tupleIJNSA_6TensorESF_SF_EERKSF_lbbbEUlllE_EE10hipError_tT0_T1_T2_T3_mRjT4_P12ihipStream_tbNS1_7vsmem_tEEUlT_E_NS1_11comp_targetILNS1_3genE9ELNS1_11target_archE1100ELNS1_3gpuE3ELNS1_3repE0EEENS1_30default_config_static_selectorELNS0_4arch9wavefront6targetE0EEEvSM_
	.p2align	8
	.type	_ZN7rocprim17ROCPRIM_400000_NS6detail17trampoline_kernelINS0_14default_configENS1_37merge_sort_block_sort_config_selectorIlNS0_10empty_typeEEEZNS1_21merge_sort_block_sortIS3_PlS8_PS5_S9_ZN2at6native12_GLOBAL__N_124unique_dim_cuda_templateIjEESt5tupleIJNSA_6TensorESF_SF_EERKSF_lbbbEUlllE_EE10hipError_tT0_T1_T2_T3_mRjT4_P12ihipStream_tbNS1_7vsmem_tEEUlT_E_NS1_11comp_targetILNS1_3genE9ELNS1_11target_archE1100ELNS1_3gpuE3ELNS1_3repE0EEENS1_30default_config_static_selectorELNS0_4arch9wavefront6targetE0EEEvSM_,@function
_ZN7rocprim17ROCPRIM_400000_NS6detail17trampoline_kernelINS0_14default_configENS1_37merge_sort_block_sort_config_selectorIlNS0_10empty_typeEEEZNS1_21merge_sort_block_sortIS3_PlS8_PS5_S9_ZN2at6native12_GLOBAL__N_124unique_dim_cuda_templateIjEESt5tupleIJNSA_6TensorESF_SF_EERKSF_lbbbEUlllE_EE10hipError_tT0_T1_T2_T3_mRjT4_P12ihipStream_tbNS1_7vsmem_tEEUlT_E_NS1_11comp_targetILNS1_3genE9ELNS1_11target_archE1100ELNS1_3gpuE3ELNS1_3repE0EEENS1_30default_config_static_selectorELNS0_4arch9wavefront6targetE0EEEvSM_: ; @_ZN7rocprim17ROCPRIM_400000_NS6detail17trampoline_kernelINS0_14default_configENS1_37merge_sort_block_sort_config_selectorIlNS0_10empty_typeEEEZNS1_21merge_sort_block_sortIS3_PlS8_PS5_S9_ZN2at6native12_GLOBAL__N_124unique_dim_cuda_templateIjEESt5tupleIJNSA_6TensorESF_SF_EERKSF_lbbbEUlllE_EE10hipError_tT0_T1_T2_T3_mRjT4_P12ihipStream_tbNS1_7vsmem_tEEUlT_E_NS1_11comp_targetILNS1_3genE9ELNS1_11target_archE1100ELNS1_3gpuE3ELNS1_3repE0EEENS1_30default_config_static_selectorELNS0_4arch9wavefront6targetE0EEEvSM_
; %bb.0:
	.section	.rodata,"a",@progbits
	.p2align	6, 0x0
	.amdhsa_kernel _ZN7rocprim17ROCPRIM_400000_NS6detail17trampoline_kernelINS0_14default_configENS1_37merge_sort_block_sort_config_selectorIlNS0_10empty_typeEEEZNS1_21merge_sort_block_sortIS3_PlS8_PS5_S9_ZN2at6native12_GLOBAL__N_124unique_dim_cuda_templateIjEESt5tupleIJNSA_6TensorESF_SF_EERKSF_lbbbEUlllE_EE10hipError_tT0_T1_T2_T3_mRjT4_P12ihipStream_tbNS1_7vsmem_tEEUlT_E_NS1_11comp_targetILNS1_3genE9ELNS1_11target_archE1100ELNS1_3gpuE3ELNS1_3repE0EEENS1_30default_config_static_selectorELNS0_4arch9wavefront6targetE0EEEvSM_
		.amdhsa_group_segment_fixed_size 0
		.amdhsa_private_segment_fixed_size 0
		.amdhsa_kernarg_size 72
		.amdhsa_user_sgpr_count 2
		.amdhsa_user_sgpr_dispatch_ptr 0
		.amdhsa_user_sgpr_queue_ptr 0
		.amdhsa_user_sgpr_kernarg_segment_ptr 1
		.amdhsa_user_sgpr_dispatch_id 0
		.amdhsa_user_sgpr_kernarg_preload_length 0
		.amdhsa_user_sgpr_kernarg_preload_offset 0
		.amdhsa_user_sgpr_private_segment_size 0
		.amdhsa_wavefront_size32 1
		.amdhsa_uses_dynamic_stack 0
		.amdhsa_enable_private_segment 0
		.amdhsa_system_sgpr_workgroup_id_x 1
		.amdhsa_system_sgpr_workgroup_id_y 0
		.amdhsa_system_sgpr_workgroup_id_z 0
		.amdhsa_system_sgpr_workgroup_info 0
		.amdhsa_system_vgpr_workitem_id 0
		.amdhsa_next_free_vgpr 1
		.amdhsa_next_free_sgpr 1
		.amdhsa_named_barrier_count 0
		.amdhsa_reserve_vcc 0
		.amdhsa_float_round_mode_32 0
		.amdhsa_float_round_mode_16_64 0
		.amdhsa_float_denorm_mode_32 3
		.amdhsa_float_denorm_mode_16_64 3
		.amdhsa_fp16_overflow 0
		.amdhsa_memory_ordered 1
		.amdhsa_forward_progress 1
		.amdhsa_inst_pref_size 0
		.amdhsa_round_robin_scheduling 0
		.amdhsa_exception_fp_ieee_invalid_op 0
		.amdhsa_exception_fp_denorm_src 0
		.amdhsa_exception_fp_ieee_div_zero 0
		.amdhsa_exception_fp_ieee_overflow 0
		.amdhsa_exception_fp_ieee_underflow 0
		.amdhsa_exception_fp_ieee_inexact 0
		.amdhsa_exception_int_div_zero 0
	.end_amdhsa_kernel
	.section	.text._ZN7rocprim17ROCPRIM_400000_NS6detail17trampoline_kernelINS0_14default_configENS1_37merge_sort_block_sort_config_selectorIlNS0_10empty_typeEEEZNS1_21merge_sort_block_sortIS3_PlS8_PS5_S9_ZN2at6native12_GLOBAL__N_124unique_dim_cuda_templateIjEESt5tupleIJNSA_6TensorESF_SF_EERKSF_lbbbEUlllE_EE10hipError_tT0_T1_T2_T3_mRjT4_P12ihipStream_tbNS1_7vsmem_tEEUlT_E_NS1_11comp_targetILNS1_3genE9ELNS1_11target_archE1100ELNS1_3gpuE3ELNS1_3repE0EEENS1_30default_config_static_selectorELNS0_4arch9wavefront6targetE0EEEvSM_,"axG",@progbits,_ZN7rocprim17ROCPRIM_400000_NS6detail17trampoline_kernelINS0_14default_configENS1_37merge_sort_block_sort_config_selectorIlNS0_10empty_typeEEEZNS1_21merge_sort_block_sortIS3_PlS8_PS5_S9_ZN2at6native12_GLOBAL__N_124unique_dim_cuda_templateIjEESt5tupleIJNSA_6TensorESF_SF_EERKSF_lbbbEUlllE_EE10hipError_tT0_T1_T2_T3_mRjT4_P12ihipStream_tbNS1_7vsmem_tEEUlT_E_NS1_11comp_targetILNS1_3genE9ELNS1_11target_archE1100ELNS1_3gpuE3ELNS1_3repE0EEENS1_30default_config_static_selectorELNS0_4arch9wavefront6targetE0EEEvSM_,comdat
.Lfunc_end1490:
	.size	_ZN7rocprim17ROCPRIM_400000_NS6detail17trampoline_kernelINS0_14default_configENS1_37merge_sort_block_sort_config_selectorIlNS0_10empty_typeEEEZNS1_21merge_sort_block_sortIS3_PlS8_PS5_S9_ZN2at6native12_GLOBAL__N_124unique_dim_cuda_templateIjEESt5tupleIJNSA_6TensorESF_SF_EERKSF_lbbbEUlllE_EE10hipError_tT0_T1_T2_T3_mRjT4_P12ihipStream_tbNS1_7vsmem_tEEUlT_E_NS1_11comp_targetILNS1_3genE9ELNS1_11target_archE1100ELNS1_3gpuE3ELNS1_3repE0EEENS1_30default_config_static_selectorELNS0_4arch9wavefront6targetE0EEEvSM_, .Lfunc_end1490-_ZN7rocprim17ROCPRIM_400000_NS6detail17trampoline_kernelINS0_14default_configENS1_37merge_sort_block_sort_config_selectorIlNS0_10empty_typeEEEZNS1_21merge_sort_block_sortIS3_PlS8_PS5_S9_ZN2at6native12_GLOBAL__N_124unique_dim_cuda_templateIjEESt5tupleIJNSA_6TensorESF_SF_EERKSF_lbbbEUlllE_EE10hipError_tT0_T1_T2_T3_mRjT4_P12ihipStream_tbNS1_7vsmem_tEEUlT_E_NS1_11comp_targetILNS1_3genE9ELNS1_11target_archE1100ELNS1_3gpuE3ELNS1_3repE0EEENS1_30default_config_static_selectorELNS0_4arch9wavefront6targetE0EEEvSM_
                                        ; -- End function
	.set _ZN7rocprim17ROCPRIM_400000_NS6detail17trampoline_kernelINS0_14default_configENS1_37merge_sort_block_sort_config_selectorIlNS0_10empty_typeEEEZNS1_21merge_sort_block_sortIS3_PlS8_PS5_S9_ZN2at6native12_GLOBAL__N_124unique_dim_cuda_templateIjEESt5tupleIJNSA_6TensorESF_SF_EERKSF_lbbbEUlllE_EE10hipError_tT0_T1_T2_T3_mRjT4_P12ihipStream_tbNS1_7vsmem_tEEUlT_E_NS1_11comp_targetILNS1_3genE9ELNS1_11target_archE1100ELNS1_3gpuE3ELNS1_3repE0EEENS1_30default_config_static_selectorELNS0_4arch9wavefront6targetE0EEEvSM_.num_vgpr, 0
	.set _ZN7rocprim17ROCPRIM_400000_NS6detail17trampoline_kernelINS0_14default_configENS1_37merge_sort_block_sort_config_selectorIlNS0_10empty_typeEEEZNS1_21merge_sort_block_sortIS3_PlS8_PS5_S9_ZN2at6native12_GLOBAL__N_124unique_dim_cuda_templateIjEESt5tupleIJNSA_6TensorESF_SF_EERKSF_lbbbEUlllE_EE10hipError_tT0_T1_T2_T3_mRjT4_P12ihipStream_tbNS1_7vsmem_tEEUlT_E_NS1_11comp_targetILNS1_3genE9ELNS1_11target_archE1100ELNS1_3gpuE3ELNS1_3repE0EEENS1_30default_config_static_selectorELNS0_4arch9wavefront6targetE0EEEvSM_.num_agpr, 0
	.set _ZN7rocprim17ROCPRIM_400000_NS6detail17trampoline_kernelINS0_14default_configENS1_37merge_sort_block_sort_config_selectorIlNS0_10empty_typeEEEZNS1_21merge_sort_block_sortIS3_PlS8_PS5_S9_ZN2at6native12_GLOBAL__N_124unique_dim_cuda_templateIjEESt5tupleIJNSA_6TensorESF_SF_EERKSF_lbbbEUlllE_EE10hipError_tT0_T1_T2_T3_mRjT4_P12ihipStream_tbNS1_7vsmem_tEEUlT_E_NS1_11comp_targetILNS1_3genE9ELNS1_11target_archE1100ELNS1_3gpuE3ELNS1_3repE0EEENS1_30default_config_static_selectorELNS0_4arch9wavefront6targetE0EEEvSM_.numbered_sgpr, 0
	.set _ZN7rocprim17ROCPRIM_400000_NS6detail17trampoline_kernelINS0_14default_configENS1_37merge_sort_block_sort_config_selectorIlNS0_10empty_typeEEEZNS1_21merge_sort_block_sortIS3_PlS8_PS5_S9_ZN2at6native12_GLOBAL__N_124unique_dim_cuda_templateIjEESt5tupleIJNSA_6TensorESF_SF_EERKSF_lbbbEUlllE_EE10hipError_tT0_T1_T2_T3_mRjT4_P12ihipStream_tbNS1_7vsmem_tEEUlT_E_NS1_11comp_targetILNS1_3genE9ELNS1_11target_archE1100ELNS1_3gpuE3ELNS1_3repE0EEENS1_30default_config_static_selectorELNS0_4arch9wavefront6targetE0EEEvSM_.num_named_barrier, 0
	.set _ZN7rocprim17ROCPRIM_400000_NS6detail17trampoline_kernelINS0_14default_configENS1_37merge_sort_block_sort_config_selectorIlNS0_10empty_typeEEEZNS1_21merge_sort_block_sortIS3_PlS8_PS5_S9_ZN2at6native12_GLOBAL__N_124unique_dim_cuda_templateIjEESt5tupleIJNSA_6TensorESF_SF_EERKSF_lbbbEUlllE_EE10hipError_tT0_T1_T2_T3_mRjT4_P12ihipStream_tbNS1_7vsmem_tEEUlT_E_NS1_11comp_targetILNS1_3genE9ELNS1_11target_archE1100ELNS1_3gpuE3ELNS1_3repE0EEENS1_30default_config_static_selectorELNS0_4arch9wavefront6targetE0EEEvSM_.private_seg_size, 0
	.set _ZN7rocprim17ROCPRIM_400000_NS6detail17trampoline_kernelINS0_14default_configENS1_37merge_sort_block_sort_config_selectorIlNS0_10empty_typeEEEZNS1_21merge_sort_block_sortIS3_PlS8_PS5_S9_ZN2at6native12_GLOBAL__N_124unique_dim_cuda_templateIjEESt5tupleIJNSA_6TensorESF_SF_EERKSF_lbbbEUlllE_EE10hipError_tT0_T1_T2_T3_mRjT4_P12ihipStream_tbNS1_7vsmem_tEEUlT_E_NS1_11comp_targetILNS1_3genE9ELNS1_11target_archE1100ELNS1_3gpuE3ELNS1_3repE0EEENS1_30default_config_static_selectorELNS0_4arch9wavefront6targetE0EEEvSM_.uses_vcc, 0
	.set _ZN7rocprim17ROCPRIM_400000_NS6detail17trampoline_kernelINS0_14default_configENS1_37merge_sort_block_sort_config_selectorIlNS0_10empty_typeEEEZNS1_21merge_sort_block_sortIS3_PlS8_PS5_S9_ZN2at6native12_GLOBAL__N_124unique_dim_cuda_templateIjEESt5tupleIJNSA_6TensorESF_SF_EERKSF_lbbbEUlllE_EE10hipError_tT0_T1_T2_T3_mRjT4_P12ihipStream_tbNS1_7vsmem_tEEUlT_E_NS1_11comp_targetILNS1_3genE9ELNS1_11target_archE1100ELNS1_3gpuE3ELNS1_3repE0EEENS1_30default_config_static_selectorELNS0_4arch9wavefront6targetE0EEEvSM_.uses_flat_scratch, 0
	.set _ZN7rocprim17ROCPRIM_400000_NS6detail17trampoline_kernelINS0_14default_configENS1_37merge_sort_block_sort_config_selectorIlNS0_10empty_typeEEEZNS1_21merge_sort_block_sortIS3_PlS8_PS5_S9_ZN2at6native12_GLOBAL__N_124unique_dim_cuda_templateIjEESt5tupleIJNSA_6TensorESF_SF_EERKSF_lbbbEUlllE_EE10hipError_tT0_T1_T2_T3_mRjT4_P12ihipStream_tbNS1_7vsmem_tEEUlT_E_NS1_11comp_targetILNS1_3genE9ELNS1_11target_archE1100ELNS1_3gpuE3ELNS1_3repE0EEENS1_30default_config_static_selectorELNS0_4arch9wavefront6targetE0EEEvSM_.has_dyn_sized_stack, 0
	.set _ZN7rocprim17ROCPRIM_400000_NS6detail17trampoline_kernelINS0_14default_configENS1_37merge_sort_block_sort_config_selectorIlNS0_10empty_typeEEEZNS1_21merge_sort_block_sortIS3_PlS8_PS5_S9_ZN2at6native12_GLOBAL__N_124unique_dim_cuda_templateIjEESt5tupleIJNSA_6TensorESF_SF_EERKSF_lbbbEUlllE_EE10hipError_tT0_T1_T2_T3_mRjT4_P12ihipStream_tbNS1_7vsmem_tEEUlT_E_NS1_11comp_targetILNS1_3genE9ELNS1_11target_archE1100ELNS1_3gpuE3ELNS1_3repE0EEENS1_30default_config_static_selectorELNS0_4arch9wavefront6targetE0EEEvSM_.has_recursion, 0
	.set _ZN7rocprim17ROCPRIM_400000_NS6detail17trampoline_kernelINS0_14default_configENS1_37merge_sort_block_sort_config_selectorIlNS0_10empty_typeEEEZNS1_21merge_sort_block_sortIS3_PlS8_PS5_S9_ZN2at6native12_GLOBAL__N_124unique_dim_cuda_templateIjEESt5tupleIJNSA_6TensorESF_SF_EERKSF_lbbbEUlllE_EE10hipError_tT0_T1_T2_T3_mRjT4_P12ihipStream_tbNS1_7vsmem_tEEUlT_E_NS1_11comp_targetILNS1_3genE9ELNS1_11target_archE1100ELNS1_3gpuE3ELNS1_3repE0EEENS1_30default_config_static_selectorELNS0_4arch9wavefront6targetE0EEEvSM_.has_indirect_call, 0
	.section	.AMDGPU.csdata,"",@progbits
; Kernel info:
; codeLenInByte = 0
; TotalNumSgprs: 0
; NumVgprs: 0
; ScratchSize: 0
; MemoryBound: 0
; FloatMode: 240
; IeeeMode: 1
; LDSByteSize: 0 bytes/workgroup (compile time only)
; SGPRBlocks: 0
; VGPRBlocks: 0
; NumSGPRsForWavesPerEU: 1
; NumVGPRsForWavesPerEU: 1
; NamedBarCnt: 0
; Occupancy: 16
; WaveLimiterHint : 0
; COMPUTE_PGM_RSRC2:SCRATCH_EN: 0
; COMPUTE_PGM_RSRC2:USER_SGPR: 2
; COMPUTE_PGM_RSRC2:TRAP_HANDLER: 0
; COMPUTE_PGM_RSRC2:TGID_X_EN: 1
; COMPUTE_PGM_RSRC2:TGID_Y_EN: 0
; COMPUTE_PGM_RSRC2:TGID_Z_EN: 0
; COMPUTE_PGM_RSRC2:TIDIG_COMP_CNT: 0
	.section	.text._ZN7rocprim17ROCPRIM_400000_NS6detail17trampoline_kernelINS0_14default_configENS1_37merge_sort_block_sort_config_selectorIlNS0_10empty_typeEEEZNS1_21merge_sort_block_sortIS3_PlS8_PS5_S9_ZN2at6native12_GLOBAL__N_124unique_dim_cuda_templateIjEESt5tupleIJNSA_6TensorESF_SF_EERKSF_lbbbEUlllE_EE10hipError_tT0_T1_T2_T3_mRjT4_P12ihipStream_tbNS1_7vsmem_tEEUlT_E_NS1_11comp_targetILNS1_3genE8ELNS1_11target_archE1030ELNS1_3gpuE2ELNS1_3repE0EEENS1_30default_config_static_selectorELNS0_4arch9wavefront6targetE0EEEvSM_,"axG",@progbits,_ZN7rocprim17ROCPRIM_400000_NS6detail17trampoline_kernelINS0_14default_configENS1_37merge_sort_block_sort_config_selectorIlNS0_10empty_typeEEEZNS1_21merge_sort_block_sortIS3_PlS8_PS5_S9_ZN2at6native12_GLOBAL__N_124unique_dim_cuda_templateIjEESt5tupleIJNSA_6TensorESF_SF_EERKSF_lbbbEUlllE_EE10hipError_tT0_T1_T2_T3_mRjT4_P12ihipStream_tbNS1_7vsmem_tEEUlT_E_NS1_11comp_targetILNS1_3genE8ELNS1_11target_archE1030ELNS1_3gpuE2ELNS1_3repE0EEENS1_30default_config_static_selectorELNS0_4arch9wavefront6targetE0EEEvSM_,comdat
	.globl	_ZN7rocprim17ROCPRIM_400000_NS6detail17trampoline_kernelINS0_14default_configENS1_37merge_sort_block_sort_config_selectorIlNS0_10empty_typeEEEZNS1_21merge_sort_block_sortIS3_PlS8_PS5_S9_ZN2at6native12_GLOBAL__N_124unique_dim_cuda_templateIjEESt5tupleIJNSA_6TensorESF_SF_EERKSF_lbbbEUlllE_EE10hipError_tT0_T1_T2_T3_mRjT4_P12ihipStream_tbNS1_7vsmem_tEEUlT_E_NS1_11comp_targetILNS1_3genE8ELNS1_11target_archE1030ELNS1_3gpuE2ELNS1_3repE0EEENS1_30default_config_static_selectorELNS0_4arch9wavefront6targetE0EEEvSM_ ; -- Begin function _ZN7rocprim17ROCPRIM_400000_NS6detail17trampoline_kernelINS0_14default_configENS1_37merge_sort_block_sort_config_selectorIlNS0_10empty_typeEEEZNS1_21merge_sort_block_sortIS3_PlS8_PS5_S9_ZN2at6native12_GLOBAL__N_124unique_dim_cuda_templateIjEESt5tupleIJNSA_6TensorESF_SF_EERKSF_lbbbEUlllE_EE10hipError_tT0_T1_T2_T3_mRjT4_P12ihipStream_tbNS1_7vsmem_tEEUlT_E_NS1_11comp_targetILNS1_3genE8ELNS1_11target_archE1030ELNS1_3gpuE2ELNS1_3repE0EEENS1_30default_config_static_selectorELNS0_4arch9wavefront6targetE0EEEvSM_
	.p2align	8
	.type	_ZN7rocprim17ROCPRIM_400000_NS6detail17trampoline_kernelINS0_14default_configENS1_37merge_sort_block_sort_config_selectorIlNS0_10empty_typeEEEZNS1_21merge_sort_block_sortIS3_PlS8_PS5_S9_ZN2at6native12_GLOBAL__N_124unique_dim_cuda_templateIjEESt5tupleIJNSA_6TensorESF_SF_EERKSF_lbbbEUlllE_EE10hipError_tT0_T1_T2_T3_mRjT4_P12ihipStream_tbNS1_7vsmem_tEEUlT_E_NS1_11comp_targetILNS1_3genE8ELNS1_11target_archE1030ELNS1_3gpuE2ELNS1_3repE0EEENS1_30default_config_static_selectorELNS0_4arch9wavefront6targetE0EEEvSM_,@function
_ZN7rocprim17ROCPRIM_400000_NS6detail17trampoline_kernelINS0_14default_configENS1_37merge_sort_block_sort_config_selectorIlNS0_10empty_typeEEEZNS1_21merge_sort_block_sortIS3_PlS8_PS5_S9_ZN2at6native12_GLOBAL__N_124unique_dim_cuda_templateIjEESt5tupleIJNSA_6TensorESF_SF_EERKSF_lbbbEUlllE_EE10hipError_tT0_T1_T2_T3_mRjT4_P12ihipStream_tbNS1_7vsmem_tEEUlT_E_NS1_11comp_targetILNS1_3genE8ELNS1_11target_archE1030ELNS1_3gpuE2ELNS1_3repE0EEENS1_30default_config_static_selectorELNS0_4arch9wavefront6targetE0EEEvSM_: ; @_ZN7rocprim17ROCPRIM_400000_NS6detail17trampoline_kernelINS0_14default_configENS1_37merge_sort_block_sort_config_selectorIlNS0_10empty_typeEEEZNS1_21merge_sort_block_sortIS3_PlS8_PS5_S9_ZN2at6native12_GLOBAL__N_124unique_dim_cuda_templateIjEESt5tupleIJNSA_6TensorESF_SF_EERKSF_lbbbEUlllE_EE10hipError_tT0_T1_T2_T3_mRjT4_P12ihipStream_tbNS1_7vsmem_tEEUlT_E_NS1_11comp_targetILNS1_3genE8ELNS1_11target_archE1030ELNS1_3gpuE2ELNS1_3repE0EEENS1_30default_config_static_selectorELNS0_4arch9wavefront6targetE0EEEvSM_
; %bb.0:
	.section	.rodata,"a",@progbits
	.p2align	6, 0x0
	.amdhsa_kernel _ZN7rocprim17ROCPRIM_400000_NS6detail17trampoline_kernelINS0_14default_configENS1_37merge_sort_block_sort_config_selectorIlNS0_10empty_typeEEEZNS1_21merge_sort_block_sortIS3_PlS8_PS5_S9_ZN2at6native12_GLOBAL__N_124unique_dim_cuda_templateIjEESt5tupleIJNSA_6TensorESF_SF_EERKSF_lbbbEUlllE_EE10hipError_tT0_T1_T2_T3_mRjT4_P12ihipStream_tbNS1_7vsmem_tEEUlT_E_NS1_11comp_targetILNS1_3genE8ELNS1_11target_archE1030ELNS1_3gpuE2ELNS1_3repE0EEENS1_30default_config_static_selectorELNS0_4arch9wavefront6targetE0EEEvSM_
		.amdhsa_group_segment_fixed_size 0
		.amdhsa_private_segment_fixed_size 0
		.amdhsa_kernarg_size 72
		.amdhsa_user_sgpr_count 2
		.amdhsa_user_sgpr_dispatch_ptr 0
		.amdhsa_user_sgpr_queue_ptr 0
		.amdhsa_user_sgpr_kernarg_segment_ptr 1
		.amdhsa_user_sgpr_dispatch_id 0
		.amdhsa_user_sgpr_kernarg_preload_length 0
		.amdhsa_user_sgpr_kernarg_preload_offset 0
		.amdhsa_user_sgpr_private_segment_size 0
		.amdhsa_wavefront_size32 1
		.amdhsa_uses_dynamic_stack 0
		.amdhsa_enable_private_segment 0
		.amdhsa_system_sgpr_workgroup_id_x 1
		.amdhsa_system_sgpr_workgroup_id_y 0
		.amdhsa_system_sgpr_workgroup_id_z 0
		.amdhsa_system_sgpr_workgroup_info 0
		.amdhsa_system_vgpr_workitem_id 0
		.amdhsa_next_free_vgpr 1
		.amdhsa_next_free_sgpr 1
		.amdhsa_named_barrier_count 0
		.amdhsa_reserve_vcc 0
		.amdhsa_float_round_mode_32 0
		.amdhsa_float_round_mode_16_64 0
		.amdhsa_float_denorm_mode_32 3
		.amdhsa_float_denorm_mode_16_64 3
		.amdhsa_fp16_overflow 0
		.amdhsa_memory_ordered 1
		.amdhsa_forward_progress 1
		.amdhsa_inst_pref_size 0
		.amdhsa_round_robin_scheduling 0
		.amdhsa_exception_fp_ieee_invalid_op 0
		.amdhsa_exception_fp_denorm_src 0
		.amdhsa_exception_fp_ieee_div_zero 0
		.amdhsa_exception_fp_ieee_overflow 0
		.amdhsa_exception_fp_ieee_underflow 0
		.amdhsa_exception_fp_ieee_inexact 0
		.amdhsa_exception_int_div_zero 0
	.end_amdhsa_kernel
	.section	.text._ZN7rocprim17ROCPRIM_400000_NS6detail17trampoline_kernelINS0_14default_configENS1_37merge_sort_block_sort_config_selectorIlNS0_10empty_typeEEEZNS1_21merge_sort_block_sortIS3_PlS8_PS5_S9_ZN2at6native12_GLOBAL__N_124unique_dim_cuda_templateIjEESt5tupleIJNSA_6TensorESF_SF_EERKSF_lbbbEUlllE_EE10hipError_tT0_T1_T2_T3_mRjT4_P12ihipStream_tbNS1_7vsmem_tEEUlT_E_NS1_11comp_targetILNS1_3genE8ELNS1_11target_archE1030ELNS1_3gpuE2ELNS1_3repE0EEENS1_30default_config_static_selectorELNS0_4arch9wavefront6targetE0EEEvSM_,"axG",@progbits,_ZN7rocprim17ROCPRIM_400000_NS6detail17trampoline_kernelINS0_14default_configENS1_37merge_sort_block_sort_config_selectorIlNS0_10empty_typeEEEZNS1_21merge_sort_block_sortIS3_PlS8_PS5_S9_ZN2at6native12_GLOBAL__N_124unique_dim_cuda_templateIjEESt5tupleIJNSA_6TensorESF_SF_EERKSF_lbbbEUlllE_EE10hipError_tT0_T1_T2_T3_mRjT4_P12ihipStream_tbNS1_7vsmem_tEEUlT_E_NS1_11comp_targetILNS1_3genE8ELNS1_11target_archE1030ELNS1_3gpuE2ELNS1_3repE0EEENS1_30default_config_static_selectorELNS0_4arch9wavefront6targetE0EEEvSM_,comdat
.Lfunc_end1491:
	.size	_ZN7rocprim17ROCPRIM_400000_NS6detail17trampoline_kernelINS0_14default_configENS1_37merge_sort_block_sort_config_selectorIlNS0_10empty_typeEEEZNS1_21merge_sort_block_sortIS3_PlS8_PS5_S9_ZN2at6native12_GLOBAL__N_124unique_dim_cuda_templateIjEESt5tupleIJNSA_6TensorESF_SF_EERKSF_lbbbEUlllE_EE10hipError_tT0_T1_T2_T3_mRjT4_P12ihipStream_tbNS1_7vsmem_tEEUlT_E_NS1_11comp_targetILNS1_3genE8ELNS1_11target_archE1030ELNS1_3gpuE2ELNS1_3repE0EEENS1_30default_config_static_selectorELNS0_4arch9wavefront6targetE0EEEvSM_, .Lfunc_end1491-_ZN7rocprim17ROCPRIM_400000_NS6detail17trampoline_kernelINS0_14default_configENS1_37merge_sort_block_sort_config_selectorIlNS0_10empty_typeEEEZNS1_21merge_sort_block_sortIS3_PlS8_PS5_S9_ZN2at6native12_GLOBAL__N_124unique_dim_cuda_templateIjEESt5tupleIJNSA_6TensorESF_SF_EERKSF_lbbbEUlllE_EE10hipError_tT0_T1_T2_T3_mRjT4_P12ihipStream_tbNS1_7vsmem_tEEUlT_E_NS1_11comp_targetILNS1_3genE8ELNS1_11target_archE1030ELNS1_3gpuE2ELNS1_3repE0EEENS1_30default_config_static_selectorELNS0_4arch9wavefront6targetE0EEEvSM_
                                        ; -- End function
	.set _ZN7rocprim17ROCPRIM_400000_NS6detail17trampoline_kernelINS0_14default_configENS1_37merge_sort_block_sort_config_selectorIlNS0_10empty_typeEEEZNS1_21merge_sort_block_sortIS3_PlS8_PS5_S9_ZN2at6native12_GLOBAL__N_124unique_dim_cuda_templateIjEESt5tupleIJNSA_6TensorESF_SF_EERKSF_lbbbEUlllE_EE10hipError_tT0_T1_T2_T3_mRjT4_P12ihipStream_tbNS1_7vsmem_tEEUlT_E_NS1_11comp_targetILNS1_3genE8ELNS1_11target_archE1030ELNS1_3gpuE2ELNS1_3repE0EEENS1_30default_config_static_selectorELNS0_4arch9wavefront6targetE0EEEvSM_.num_vgpr, 0
	.set _ZN7rocprim17ROCPRIM_400000_NS6detail17trampoline_kernelINS0_14default_configENS1_37merge_sort_block_sort_config_selectorIlNS0_10empty_typeEEEZNS1_21merge_sort_block_sortIS3_PlS8_PS5_S9_ZN2at6native12_GLOBAL__N_124unique_dim_cuda_templateIjEESt5tupleIJNSA_6TensorESF_SF_EERKSF_lbbbEUlllE_EE10hipError_tT0_T1_T2_T3_mRjT4_P12ihipStream_tbNS1_7vsmem_tEEUlT_E_NS1_11comp_targetILNS1_3genE8ELNS1_11target_archE1030ELNS1_3gpuE2ELNS1_3repE0EEENS1_30default_config_static_selectorELNS0_4arch9wavefront6targetE0EEEvSM_.num_agpr, 0
	.set _ZN7rocprim17ROCPRIM_400000_NS6detail17trampoline_kernelINS0_14default_configENS1_37merge_sort_block_sort_config_selectorIlNS0_10empty_typeEEEZNS1_21merge_sort_block_sortIS3_PlS8_PS5_S9_ZN2at6native12_GLOBAL__N_124unique_dim_cuda_templateIjEESt5tupleIJNSA_6TensorESF_SF_EERKSF_lbbbEUlllE_EE10hipError_tT0_T1_T2_T3_mRjT4_P12ihipStream_tbNS1_7vsmem_tEEUlT_E_NS1_11comp_targetILNS1_3genE8ELNS1_11target_archE1030ELNS1_3gpuE2ELNS1_3repE0EEENS1_30default_config_static_selectorELNS0_4arch9wavefront6targetE0EEEvSM_.numbered_sgpr, 0
	.set _ZN7rocprim17ROCPRIM_400000_NS6detail17trampoline_kernelINS0_14default_configENS1_37merge_sort_block_sort_config_selectorIlNS0_10empty_typeEEEZNS1_21merge_sort_block_sortIS3_PlS8_PS5_S9_ZN2at6native12_GLOBAL__N_124unique_dim_cuda_templateIjEESt5tupleIJNSA_6TensorESF_SF_EERKSF_lbbbEUlllE_EE10hipError_tT0_T1_T2_T3_mRjT4_P12ihipStream_tbNS1_7vsmem_tEEUlT_E_NS1_11comp_targetILNS1_3genE8ELNS1_11target_archE1030ELNS1_3gpuE2ELNS1_3repE0EEENS1_30default_config_static_selectorELNS0_4arch9wavefront6targetE0EEEvSM_.num_named_barrier, 0
	.set _ZN7rocprim17ROCPRIM_400000_NS6detail17trampoline_kernelINS0_14default_configENS1_37merge_sort_block_sort_config_selectorIlNS0_10empty_typeEEEZNS1_21merge_sort_block_sortIS3_PlS8_PS5_S9_ZN2at6native12_GLOBAL__N_124unique_dim_cuda_templateIjEESt5tupleIJNSA_6TensorESF_SF_EERKSF_lbbbEUlllE_EE10hipError_tT0_T1_T2_T3_mRjT4_P12ihipStream_tbNS1_7vsmem_tEEUlT_E_NS1_11comp_targetILNS1_3genE8ELNS1_11target_archE1030ELNS1_3gpuE2ELNS1_3repE0EEENS1_30default_config_static_selectorELNS0_4arch9wavefront6targetE0EEEvSM_.private_seg_size, 0
	.set _ZN7rocprim17ROCPRIM_400000_NS6detail17trampoline_kernelINS0_14default_configENS1_37merge_sort_block_sort_config_selectorIlNS0_10empty_typeEEEZNS1_21merge_sort_block_sortIS3_PlS8_PS5_S9_ZN2at6native12_GLOBAL__N_124unique_dim_cuda_templateIjEESt5tupleIJNSA_6TensorESF_SF_EERKSF_lbbbEUlllE_EE10hipError_tT0_T1_T2_T3_mRjT4_P12ihipStream_tbNS1_7vsmem_tEEUlT_E_NS1_11comp_targetILNS1_3genE8ELNS1_11target_archE1030ELNS1_3gpuE2ELNS1_3repE0EEENS1_30default_config_static_selectorELNS0_4arch9wavefront6targetE0EEEvSM_.uses_vcc, 0
	.set _ZN7rocprim17ROCPRIM_400000_NS6detail17trampoline_kernelINS0_14default_configENS1_37merge_sort_block_sort_config_selectorIlNS0_10empty_typeEEEZNS1_21merge_sort_block_sortIS3_PlS8_PS5_S9_ZN2at6native12_GLOBAL__N_124unique_dim_cuda_templateIjEESt5tupleIJNSA_6TensorESF_SF_EERKSF_lbbbEUlllE_EE10hipError_tT0_T1_T2_T3_mRjT4_P12ihipStream_tbNS1_7vsmem_tEEUlT_E_NS1_11comp_targetILNS1_3genE8ELNS1_11target_archE1030ELNS1_3gpuE2ELNS1_3repE0EEENS1_30default_config_static_selectorELNS0_4arch9wavefront6targetE0EEEvSM_.uses_flat_scratch, 0
	.set _ZN7rocprim17ROCPRIM_400000_NS6detail17trampoline_kernelINS0_14default_configENS1_37merge_sort_block_sort_config_selectorIlNS0_10empty_typeEEEZNS1_21merge_sort_block_sortIS3_PlS8_PS5_S9_ZN2at6native12_GLOBAL__N_124unique_dim_cuda_templateIjEESt5tupleIJNSA_6TensorESF_SF_EERKSF_lbbbEUlllE_EE10hipError_tT0_T1_T2_T3_mRjT4_P12ihipStream_tbNS1_7vsmem_tEEUlT_E_NS1_11comp_targetILNS1_3genE8ELNS1_11target_archE1030ELNS1_3gpuE2ELNS1_3repE0EEENS1_30default_config_static_selectorELNS0_4arch9wavefront6targetE0EEEvSM_.has_dyn_sized_stack, 0
	.set _ZN7rocprim17ROCPRIM_400000_NS6detail17trampoline_kernelINS0_14default_configENS1_37merge_sort_block_sort_config_selectorIlNS0_10empty_typeEEEZNS1_21merge_sort_block_sortIS3_PlS8_PS5_S9_ZN2at6native12_GLOBAL__N_124unique_dim_cuda_templateIjEESt5tupleIJNSA_6TensorESF_SF_EERKSF_lbbbEUlllE_EE10hipError_tT0_T1_T2_T3_mRjT4_P12ihipStream_tbNS1_7vsmem_tEEUlT_E_NS1_11comp_targetILNS1_3genE8ELNS1_11target_archE1030ELNS1_3gpuE2ELNS1_3repE0EEENS1_30default_config_static_selectorELNS0_4arch9wavefront6targetE0EEEvSM_.has_recursion, 0
	.set _ZN7rocprim17ROCPRIM_400000_NS6detail17trampoline_kernelINS0_14default_configENS1_37merge_sort_block_sort_config_selectorIlNS0_10empty_typeEEEZNS1_21merge_sort_block_sortIS3_PlS8_PS5_S9_ZN2at6native12_GLOBAL__N_124unique_dim_cuda_templateIjEESt5tupleIJNSA_6TensorESF_SF_EERKSF_lbbbEUlllE_EE10hipError_tT0_T1_T2_T3_mRjT4_P12ihipStream_tbNS1_7vsmem_tEEUlT_E_NS1_11comp_targetILNS1_3genE8ELNS1_11target_archE1030ELNS1_3gpuE2ELNS1_3repE0EEENS1_30default_config_static_selectorELNS0_4arch9wavefront6targetE0EEEvSM_.has_indirect_call, 0
	.section	.AMDGPU.csdata,"",@progbits
; Kernel info:
; codeLenInByte = 0
; TotalNumSgprs: 0
; NumVgprs: 0
; ScratchSize: 0
; MemoryBound: 0
; FloatMode: 240
; IeeeMode: 1
; LDSByteSize: 0 bytes/workgroup (compile time only)
; SGPRBlocks: 0
; VGPRBlocks: 0
; NumSGPRsForWavesPerEU: 1
; NumVGPRsForWavesPerEU: 1
; NamedBarCnt: 0
; Occupancy: 16
; WaveLimiterHint : 0
; COMPUTE_PGM_RSRC2:SCRATCH_EN: 0
; COMPUTE_PGM_RSRC2:USER_SGPR: 2
; COMPUTE_PGM_RSRC2:TRAP_HANDLER: 0
; COMPUTE_PGM_RSRC2:TGID_X_EN: 1
; COMPUTE_PGM_RSRC2:TGID_Y_EN: 0
; COMPUTE_PGM_RSRC2:TGID_Z_EN: 0
; COMPUTE_PGM_RSRC2:TIDIG_COMP_CNT: 0
	.section	.text._ZN7rocprim17ROCPRIM_400000_NS6detail17trampoline_kernelINS0_14default_configENS1_38merge_sort_block_merge_config_selectorIlNS0_10empty_typeEEEZZNS1_27merge_sort_block_merge_implIS3_PlPS5_mZN2at6native12_GLOBAL__N_124unique_dim_cuda_templateIjEESt5tupleIJNSA_6TensorESF_SF_EERKSF_lbbbEUlllE_EE10hipError_tT0_T1_T2_jT3_P12ihipStream_tbPNSt15iterator_traitsISL_E10value_typeEPNSR_ISM_E10value_typeEPSN_NS1_7vsmem_tEENKUlT_SL_SM_SN_E_clIS8_S8_S9_S9_EESK_S10_SL_SM_SN_EUlS10_E_NS1_11comp_targetILNS1_3genE0ELNS1_11target_archE4294967295ELNS1_3gpuE0ELNS1_3repE0EEENS1_48merge_mergepath_partition_config_static_selectorELNS0_4arch9wavefront6targetE0EEEvSM_,"axG",@progbits,_ZN7rocprim17ROCPRIM_400000_NS6detail17trampoline_kernelINS0_14default_configENS1_38merge_sort_block_merge_config_selectorIlNS0_10empty_typeEEEZZNS1_27merge_sort_block_merge_implIS3_PlPS5_mZN2at6native12_GLOBAL__N_124unique_dim_cuda_templateIjEESt5tupleIJNSA_6TensorESF_SF_EERKSF_lbbbEUlllE_EE10hipError_tT0_T1_T2_jT3_P12ihipStream_tbPNSt15iterator_traitsISL_E10value_typeEPNSR_ISM_E10value_typeEPSN_NS1_7vsmem_tEENKUlT_SL_SM_SN_E_clIS8_S8_S9_S9_EESK_S10_SL_SM_SN_EUlS10_E_NS1_11comp_targetILNS1_3genE0ELNS1_11target_archE4294967295ELNS1_3gpuE0ELNS1_3repE0EEENS1_48merge_mergepath_partition_config_static_selectorELNS0_4arch9wavefront6targetE0EEEvSM_,comdat
	.globl	_ZN7rocprim17ROCPRIM_400000_NS6detail17trampoline_kernelINS0_14default_configENS1_38merge_sort_block_merge_config_selectorIlNS0_10empty_typeEEEZZNS1_27merge_sort_block_merge_implIS3_PlPS5_mZN2at6native12_GLOBAL__N_124unique_dim_cuda_templateIjEESt5tupleIJNSA_6TensorESF_SF_EERKSF_lbbbEUlllE_EE10hipError_tT0_T1_T2_jT3_P12ihipStream_tbPNSt15iterator_traitsISL_E10value_typeEPNSR_ISM_E10value_typeEPSN_NS1_7vsmem_tEENKUlT_SL_SM_SN_E_clIS8_S8_S9_S9_EESK_S10_SL_SM_SN_EUlS10_E_NS1_11comp_targetILNS1_3genE0ELNS1_11target_archE4294967295ELNS1_3gpuE0ELNS1_3repE0EEENS1_48merge_mergepath_partition_config_static_selectorELNS0_4arch9wavefront6targetE0EEEvSM_ ; -- Begin function _ZN7rocprim17ROCPRIM_400000_NS6detail17trampoline_kernelINS0_14default_configENS1_38merge_sort_block_merge_config_selectorIlNS0_10empty_typeEEEZZNS1_27merge_sort_block_merge_implIS3_PlPS5_mZN2at6native12_GLOBAL__N_124unique_dim_cuda_templateIjEESt5tupleIJNSA_6TensorESF_SF_EERKSF_lbbbEUlllE_EE10hipError_tT0_T1_T2_jT3_P12ihipStream_tbPNSt15iterator_traitsISL_E10value_typeEPNSR_ISM_E10value_typeEPSN_NS1_7vsmem_tEENKUlT_SL_SM_SN_E_clIS8_S8_S9_S9_EESK_S10_SL_SM_SN_EUlS10_E_NS1_11comp_targetILNS1_3genE0ELNS1_11target_archE4294967295ELNS1_3gpuE0ELNS1_3repE0EEENS1_48merge_mergepath_partition_config_static_selectorELNS0_4arch9wavefront6targetE0EEEvSM_
	.p2align	8
	.type	_ZN7rocprim17ROCPRIM_400000_NS6detail17trampoline_kernelINS0_14default_configENS1_38merge_sort_block_merge_config_selectorIlNS0_10empty_typeEEEZZNS1_27merge_sort_block_merge_implIS3_PlPS5_mZN2at6native12_GLOBAL__N_124unique_dim_cuda_templateIjEESt5tupleIJNSA_6TensorESF_SF_EERKSF_lbbbEUlllE_EE10hipError_tT0_T1_T2_jT3_P12ihipStream_tbPNSt15iterator_traitsISL_E10value_typeEPNSR_ISM_E10value_typeEPSN_NS1_7vsmem_tEENKUlT_SL_SM_SN_E_clIS8_S8_S9_S9_EESK_S10_SL_SM_SN_EUlS10_E_NS1_11comp_targetILNS1_3genE0ELNS1_11target_archE4294967295ELNS1_3gpuE0ELNS1_3repE0EEENS1_48merge_mergepath_partition_config_static_selectorELNS0_4arch9wavefront6targetE0EEEvSM_,@function
_ZN7rocprim17ROCPRIM_400000_NS6detail17trampoline_kernelINS0_14default_configENS1_38merge_sort_block_merge_config_selectorIlNS0_10empty_typeEEEZZNS1_27merge_sort_block_merge_implIS3_PlPS5_mZN2at6native12_GLOBAL__N_124unique_dim_cuda_templateIjEESt5tupleIJNSA_6TensorESF_SF_EERKSF_lbbbEUlllE_EE10hipError_tT0_T1_T2_jT3_P12ihipStream_tbPNSt15iterator_traitsISL_E10value_typeEPNSR_ISM_E10value_typeEPSN_NS1_7vsmem_tEENKUlT_SL_SM_SN_E_clIS8_S8_S9_S9_EESK_S10_SL_SM_SN_EUlS10_E_NS1_11comp_targetILNS1_3genE0ELNS1_11target_archE4294967295ELNS1_3gpuE0ELNS1_3repE0EEENS1_48merge_mergepath_partition_config_static_selectorELNS0_4arch9wavefront6targetE0EEEvSM_: ; @_ZN7rocprim17ROCPRIM_400000_NS6detail17trampoline_kernelINS0_14default_configENS1_38merge_sort_block_merge_config_selectorIlNS0_10empty_typeEEEZZNS1_27merge_sort_block_merge_implIS3_PlPS5_mZN2at6native12_GLOBAL__N_124unique_dim_cuda_templateIjEESt5tupleIJNSA_6TensorESF_SF_EERKSF_lbbbEUlllE_EE10hipError_tT0_T1_T2_jT3_P12ihipStream_tbPNSt15iterator_traitsISL_E10value_typeEPNSR_ISM_E10value_typeEPSN_NS1_7vsmem_tEENKUlT_SL_SM_SN_E_clIS8_S8_S9_S9_EESK_S10_SL_SM_SN_EUlS10_E_NS1_11comp_targetILNS1_3genE0ELNS1_11target_archE4294967295ELNS1_3gpuE0ELNS1_3repE0EEENS1_48merge_mergepath_partition_config_static_selectorELNS0_4arch9wavefront6targetE0EEEvSM_
; %bb.0:
	s_load_b32 s2, s[0:1], 0x0
	s_bfe_u32 s3, ttmp6, 0x4000c
	s_and_b32 s4, ttmp6, 15
	s_add_co_i32 s3, s3, 1
	s_getreg_b32 s5, hwreg(HW_REG_IB_STS2, 6, 4)
	s_mul_i32 s3, ttmp9, s3
	s_delay_alu instid0(SALU_CYCLE_1) | instskip(SKIP_2) | instid1(SALU_CYCLE_1)
	s_add_co_i32 s4, s4, s3
	s_cmp_eq_u32 s5, 0
	s_cselect_b32 s3, ttmp9, s4
	v_lshl_or_b32 v16, s3, 7, v0
	s_wait_kmcnt 0x0
	s_delay_alu instid0(VALU_DEP_1)
	v_cmp_gt_u32_e32 vcc_lo, s2, v16
	s_and_saveexec_b32 s2, vcc_lo
	s_cbranch_execz .LBB1492_12
; %bb.1:
	s_load_b128 s[4:7], s[0:1], 0x8
	s_wait_kmcnt 0x0
	s_lshr_b64 s[2:3], s[4:5], 9
	s_delay_alu instid0(SALU_CYCLE_1) | instskip(NEXT) | instid1(SALU_CYCLE_1)
	s_and_b32 s2, s2, -2
	s_sub_co_i32 s3, 0, s2
	s_delay_alu instid0(SALU_CYCLE_1) | instskip(SKIP_1) | instid1(VALU_DEP_1)
	v_dual_mov_b32 v3, 0 :: v_dual_bitop2_b32 v2, s3, v16 bitop3:0x40
	s_add_co_i32 s2, s2, -1
	v_lshlrev_b64_e32 v[0:1], 10, v[2:3]
	v_and_b32_e32 v2, s2, v16
	s_delay_alu instid0(VALU_DEP_1) | instskip(NEXT) | instid1(VALU_DEP_3)
	v_lshlrev_b64_e32 v[2:3], 10, v[2:3]
	v_add_nc_u64_e32 v[4:5], s[4:5], v[0:1]
	v_min_u64 v[0:1], s[6:7], v[0:1]
	s_delay_alu instid0(VALU_DEP_2) | instskip(NEXT) | instid1(VALU_DEP_1)
	v_min_u64 v[6:7], s[6:7], v[4:5]
	v_add_nc_u64_e32 v[4:5], s[4:5], v[6:7]
	s_delay_alu instid0(VALU_DEP_1) | instskip(SKIP_3) | instid1(VALU_DEP_1)
	v_min_u64 v[4:5], s[6:7], v[4:5]
	s_load_b256 s[4:11], s[0:1], 0x18
	s_wait_xcnt 0x0
	s_mov_b32 s1, exec_lo
	v_sub_nc_u64_e32 v[8:9], v[4:5], v[0:1]
	s_delay_alu instid0(VALU_DEP_1) | instskip(SKIP_2) | instid1(VALU_DEP_2)
	v_min_u64 v[8:9], v[8:9], v[2:3]
	v_sub_nc_u64_e32 v[2:3], v[4:5], v[6:7]
	v_sub_nc_u64_e32 v[4:5], v[6:7], v[0:1]
	v_max_u64 v[10:11], v[8:9], v[2:3]
	s_delay_alu instid0(VALU_DEP_2) | instskip(NEXT) | instid1(VALU_DEP_2)
	v_min_u64 v[4:5], v[8:9], v[4:5]
	v_sub_nc_u64_e32 v[2:3], v[10:11], v[2:3]
	s_delay_alu instid0(VALU_DEP_1)
	v_cmpx_lt_u64_e64 v[2:3], v[4:5]
	s_cbranch_execz .LBB1492_11
; %bb.2:
	s_wait_kmcnt 0x0
	v_lshl_add_u64 v[10:11], v[6:7], 3, s[4:5]
	v_cmp_gt_i64_e64 s12, s[6:7], 0
	v_lshl_add_u64 v[6:7], v[0:1], 3, s[4:5]
	s_lshl_b64 s[2:3], s[6:7], 2
	s_mov_b32 s13, 0
	v_lshl_add_u64 v[8:9], v[8:9], 3, v[10:11]
	s_branch .LBB1492_5
.LBB1492_3:                             ;   in Loop: Header=BB1492_5 Depth=1
	s_or_b32 exec_lo, exec_lo, s15
.LBB1492_4:                             ;   in Loop: Header=BB1492_5 Depth=1
	s_delay_alu instid0(VALU_DEP_1) | instskip(SKIP_1) | instid1(VALU_DEP_2)
	v_add_nc_u64_e32 v[12:13], 1, v[10:11]
	v_dual_cndmask_b32 v5, v5, v11, s14 :: v_dual_cndmask_b32 v4, v4, v10, s14
	v_dual_cndmask_b32 v3, v13, v3, s14 :: v_dual_cndmask_b32 v2, v12, v2, s14
	s_delay_alu instid0(VALU_DEP_1) | instskip(SKIP_1) | instid1(SALU_CYCLE_1)
	v_cmp_ge_u64_e32 vcc_lo, v[2:3], v[4:5]
	s_or_b32 s13, vcc_lo, s13
	s_and_not1_b32 exec_lo, exec_lo, s13
	s_cbranch_execz .LBB1492_10
.LBB1492_5:                             ; =>This Loop Header: Depth=1
                                        ;     Child Loop BB1492_8 Depth 2
	v_add_nc_u64_e32 v[10:11], v[4:5], v[2:3]
	s_and_not1_b32 vcc_lo, exec_lo, s12
	s_mov_b32 s14, 0
	s_delay_alu instid0(VALU_DEP_1)
	v_lshrrev_b64 v[10:11], 1, v[10:11]
	s_cbranch_vccnz .LBB1492_4
; %bb.6:                                ;   in Loop: Header=BB1492_5 Depth=1
	s_delay_alu instid0(VALU_DEP_1) | instskip(NEXT) | instid1(VALU_DEP_2)
	v_not_b32_e32 v13, v11
	v_not_b32_e32 v12, v10
	v_lshl_add_u64 v[14:15], v[10:11], 3, v[6:7]
	s_mov_b32 s15, 0
	s_mov_b64 s[4:5], s[6:7]
                                        ; implicit-def: $sgpr14
                                        ; implicit-def: $sgpr16
                                        ; implicit-def: $sgpr17
                                        ; implicit-def: $sgpr18
	s_delay_alu instid0(VALU_DEP_2)
	v_lshl_add_u64 v[12:13], v[12:13], 3, v[8:9]
	s_clause 0x1
	global_load_b64 v[18:19], v[12:13], off
	global_load_b64 v[20:21], v[14:15], off
	s_wait_loadcnt 0x1
	s_wait_xcnt 0x1
	v_mad_nc_u64_u32 v[12:13], s2, v18, s[8:9]
	s_wait_loadcnt 0x0
	v_mad_nc_u64_u32 v[14:15], s2, v20, s[8:9]
	s_delay_alu instid0(VALU_DEP_2) | instskip(NEXT) | instid1(VALU_DEP_2)
	v_mad_u32 v13, s3, v18, v13
	v_mad_u32 v15, s3, v20, v15
	s_delay_alu instid0(VALU_DEP_2) | instskip(NEXT) | instid1(VALU_DEP_2)
	v_mad_u32 v13, s2, v19, v13
	v_mad_u32 v15, s2, v21, v15
	s_branch .LBB1492_8
.LBB1492_7:                             ;   in Loop: Header=BB1492_8 Depth=2
	s_or_b32 exec_lo, exec_lo, s19
	s_delay_alu instid0(SALU_CYCLE_1) | instskip(NEXT) | instid1(SALU_CYCLE_1)
	s_and_b32 s19, exec_lo, s16
	s_or_b32 s15, s19, s15
	s_and_not1_b32 s18, s18, exec_lo
	s_and_b32 s0, s0, exec_lo
	s_and_not1_b32 s14, s14, exec_lo
	s_and_b32 s19, s17, exec_lo
	s_or_b32 s18, s18, s0
	s_or_b32 s14, s14, s19
	s_and_not1_b32 exec_lo, exec_lo, s15
	s_cbranch_execz .LBB1492_3
.LBB1492_8:                             ;   Parent Loop BB1492_5 Depth=1
                                        ; =>  This Inner Loop Header: Depth=2
	global_load_b32 v17, v[12:13], off
	global_load_b32 v18, v[14:15], off
	s_and_not1_b32 s17, s17, exec_lo
	s_or_b32 s16, s16, exec_lo
	s_wait_loadcnt 0x0
	v_cmp_le_u32_e32 vcc_lo, v17, v18
	v_cmp_lt_u32_e64 s0, v17, v18
	s_and_b32 s19, vcc_lo, s18
	s_delay_alu instid0(SALU_CYCLE_1) | instskip(NEXT) | instid1(SALU_CYCLE_1)
	s_or_b32 s0, s0, s19
	s_and_b32 s19, s0, exec_lo
	s_delay_alu instid0(SALU_CYCLE_1)
	s_or_b32 s17, s17, s19
	s_mov_b32 s19, exec_lo
	v_cmpx_eq_u32_e64 v17, v18
	s_cbranch_execz .LBB1492_7
; %bb.9:                                ;   in Loop: Header=BB1492_8 Depth=2
	s_add_nc_u64 s[4:5], s[4:5], -1
	v_add_nc_u64_e32 v[12:13], 4, v[12:13]
	s_cmp_eq_u64 s[4:5], 0
	v_add_nc_u64_e32 v[14:15], 4, v[14:15]
	s_cselect_b32 s18, -1, 0
	s_and_not1_b32 s16, s16, exec_lo
	s_and_b32 s18, s18, exec_lo
	s_and_not1_b32 s17, s17, exec_lo
	s_or_b32 s16, s16, s18
                                        ; implicit-def: $sgpr18
	s_branch .LBB1492_7
.LBB1492_10:
	s_or_b32 exec_lo, exec_lo, s13
.LBB1492_11:
	s_delay_alu instid0(SALU_CYCLE_1)
	s_or_b32 exec_lo, exec_lo, s1
	v_add_nc_u64_e32 v[0:1], v[2:3], v[0:1]
	s_wait_kmcnt 0x0
	global_store_b64 v16, v[0:1], s[10:11] scale_offset
.LBB1492_12:
	s_endpgm
	.section	.rodata,"a",@progbits
	.p2align	6, 0x0
	.amdhsa_kernel _ZN7rocprim17ROCPRIM_400000_NS6detail17trampoline_kernelINS0_14default_configENS1_38merge_sort_block_merge_config_selectorIlNS0_10empty_typeEEEZZNS1_27merge_sort_block_merge_implIS3_PlPS5_mZN2at6native12_GLOBAL__N_124unique_dim_cuda_templateIjEESt5tupleIJNSA_6TensorESF_SF_EERKSF_lbbbEUlllE_EE10hipError_tT0_T1_T2_jT3_P12ihipStream_tbPNSt15iterator_traitsISL_E10value_typeEPNSR_ISM_E10value_typeEPSN_NS1_7vsmem_tEENKUlT_SL_SM_SN_E_clIS8_S8_S9_S9_EESK_S10_SL_SM_SN_EUlS10_E_NS1_11comp_targetILNS1_3genE0ELNS1_11target_archE4294967295ELNS1_3gpuE0ELNS1_3repE0EEENS1_48merge_mergepath_partition_config_static_selectorELNS0_4arch9wavefront6targetE0EEEvSM_
		.amdhsa_group_segment_fixed_size 0
		.amdhsa_private_segment_fixed_size 0
		.amdhsa_kernarg_size 56
		.amdhsa_user_sgpr_count 2
		.amdhsa_user_sgpr_dispatch_ptr 0
		.amdhsa_user_sgpr_queue_ptr 0
		.amdhsa_user_sgpr_kernarg_segment_ptr 1
		.amdhsa_user_sgpr_dispatch_id 0
		.amdhsa_user_sgpr_kernarg_preload_length 0
		.amdhsa_user_sgpr_kernarg_preload_offset 0
		.amdhsa_user_sgpr_private_segment_size 0
		.amdhsa_wavefront_size32 1
		.amdhsa_uses_dynamic_stack 0
		.amdhsa_enable_private_segment 0
		.amdhsa_system_sgpr_workgroup_id_x 1
		.amdhsa_system_sgpr_workgroup_id_y 0
		.amdhsa_system_sgpr_workgroup_id_z 0
		.amdhsa_system_sgpr_workgroup_info 0
		.amdhsa_system_vgpr_workitem_id 0
		.amdhsa_next_free_vgpr 22
		.amdhsa_next_free_sgpr 20
		.amdhsa_named_barrier_count 0
		.amdhsa_reserve_vcc 1
		.amdhsa_float_round_mode_32 0
		.amdhsa_float_round_mode_16_64 0
		.amdhsa_float_denorm_mode_32 3
		.amdhsa_float_denorm_mode_16_64 3
		.amdhsa_fp16_overflow 0
		.amdhsa_memory_ordered 1
		.amdhsa_forward_progress 1
		.amdhsa_inst_pref_size 6
		.amdhsa_round_robin_scheduling 0
		.amdhsa_exception_fp_ieee_invalid_op 0
		.amdhsa_exception_fp_denorm_src 0
		.amdhsa_exception_fp_ieee_div_zero 0
		.amdhsa_exception_fp_ieee_overflow 0
		.amdhsa_exception_fp_ieee_underflow 0
		.amdhsa_exception_fp_ieee_inexact 0
		.amdhsa_exception_int_div_zero 0
	.end_amdhsa_kernel
	.section	.text._ZN7rocprim17ROCPRIM_400000_NS6detail17trampoline_kernelINS0_14default_configENS1_38merge_sort_block_merge_config_selectorIlNS0_10empty_typeEEEZZNS1_27merge_sort_block_merge_implIS3_PlPS5_mZN2at6native12_GLOBAL__N_124unique_dim_cuda_templateIjEESt5tupleIJNSA_6TensorESF_SF_EERKSF_lbbbEUlllE_EE10hipError_tT0_T1_T2_jT3_P12ihipStream_tbPNSt15iterator_traitsISL_E10value_typeEPNSR_ISM_E10value_typeEPSN_NS1_7vsmem_tEENKUlT_SL_SM_SN_E_clIS8_S8_S9_S9_EESK_S10_SL_SM_SN_EUlS10_E_NS1_11comp_targetILNS1_3genE0ELNS1_11target_archE4294967295ELNS1_3gpuE0ELNS1_3repE0EEENS1_48merge_mergepath_partition_config_static_selectorELNS0_4arch9wavefront6targetE0EEEvSM_,"axG",@progbits,_ZN7rocprim17ROCPRIM_400000_NS6detail17trampoline_kernelINS0_14default_configENS1_38merge_sort_block_merge_config_selectorIlNS0_10empty_typeEEEZZNS1_27merge_sort_block_merge_implIS3_PlPS5_mZN2at6native12_GLOBAL__N_124unique_dim_cuda_templateIjEESt5tupleIJNSA_6TensorESF_SF_EERKSF_lbbbEUlllE_EE10hipError_tT0_T1_T2_jT3_P12ihipStream_tbPNSt15iterator_traitsISL_E10value_typeEPNSR_ISM_E10value_typeEPSN_NS1_7vsmem_tEENKUlT_SL_SM_SN_E_clIS8_S8_S9_S9_EESK_S10_SL_SM_SN_EUlS10_E_NS1_11comp_targetILNS1_3genE0ELNS1_11target_archE4294967295ELNS1_3gpuE0ELNS1_3repE0EEENS1_48merge_mergepath_partition_config_static_selectorELNS0_4arch9wavefront6targetE0EEEvSM_,comdat
.Lfunc_end1492:
	.size	_ZN7rocprim17ROCPRIM_400000_NS6detail17trampoline_kernelINS0_14default_configENS1_38merge_sort_block_merge_config_selectorIlNS0_10empty_typeEEEZZNS1_27merge_sort_block_merge_implIS3_PlPS5_mZN2at6native12_GLOBAL__N_124unique_dim_cuda_templateIjEESt5tupleIJNSA_6TensorESF_SF_EERKSF_lbbbEUlllE_EE10hipError_tT0_T1_T2_jT3_P12ihipStream_tbPNSt15iterator_traitsISL_E10value_typeEPNSR_ISM_E10value_typeEPSN_NS1_7vsmem_tEENKUlT_SL_SM_SN_E_clIS8_S8_S9_S9_EESK_S10_SL_SM_SN_EUlS10_E_NS1_11comp_targetILNS1_3genE0ELNS1_11target_archE4294967295ELNS1_3gpuE0ELNS1_3repE0EEENS1_48merge_mergepath_partition_config_static_selectorELNS0_4arch9wavefront6targetE0EEEvSM_, .Lfunc_end1492-_ZN7rocprim17ROCPRIM_400000_NS6detail17trampoline_kernelINS0_14default_configENS1_38merge_sort_block_merge_config_selectorIlNS0_10empty_typeEEEZZNS1_27merge_sort_block_merge_implIS3_PlPS5_mZN2at6native12_GLOBAL__N_124unique_dim_cuda_templateIjEESt5tupleIJNSA_6TensorESF_SF_EERKSF_lbbbEUlllE_EE10hipError_tT0_T1_T2_jT3_P12ihipStream_tbPNSt15iterator_traitsISL_E10value_typeEPNSR_ISM_E10value_typeEPSN_NS1_7vsmem_tEENKUlT_SL_SM_SN_E_clIS8_S8_S9_S9_EESK_S10_SL_SM_SN_EUlS10_E_NS1_11comp_targetILNS1_3genE0ELNS1_11target_archE4294967295ELNS1_3gpuE0ELNS1_3repE0EEENS1_48merge_mergepath_partition_config_static_selectorELNS0_4arch9wavefront6targetE0EEEvSM_
                                        ; -- End function
	.set _ZN7rocprim17ROCPRIM_400000_NS6detail17trampoline_kernelINS0_14default_configENS1_38merge_sort_block_merge_config_selectorIlNS0_10empty_typeEEEZZNS1_27merge_sort_block_merge_implIS3_PlPS5_mZN2at6native12_GLOBAL__N_124unique_dim_cuda_templateIjEESt5tupleIJNSA_6TensorESF_SF_EERKSF_lbbbEUlllE_EE10hipError_tT0_T1_T2_jT3_P12ihipStream_tbPNSt15iterator_traitsISL_E10value_typeEPNSR_ISM_E10value_typeEPSN_NS1_7vsmem_tEENKUlT_SL_SM_SN_E_clIS8_S8_S9_S9_EESK_S10_SL_SM_SN_EUlS10_E_NS1_11comp_targetILNS1_3genE0ELNS1_11target_archE4294967295ELNS1_3gpuE0ELNS1_3repE0EEENS1_48merge_mergepath_partition_config_static_selectorELNS0_4arch9wavefront6targetE0EEEvSM_.num_vgpr, 22
	.set _ZN7rocprim17ROCPRIM_400000_NS6detail17trampoline_kernelINS0_14default_configENS1_38merge_sort_block_merge_config_selectorIlNS0_10empty_typeEEEZZNS1_27merge_sort_block_merge_implIS3_PlPS5_mZN2at6native12_GLOBAL__N_124unique_dim_cuda_templateIjEESt5tupleIJNSA_6TensorESF_SF_EERKSF_lbbbEUlllE_EE10hipError_tT0_T1_T2_jT3_P12ihipStream_tbPNSt15iterator_traitsISL_E10value_typeEPNSR_ISM_E10value_typeEPSN_NS1_7vsmem_tEENKUlT_SL_SM_SN_E_clIS8_S8_S9_S9_EESK_S10_SL_SM_SN_EUlS10_E_NS1_11comp_targetILNS1_3genE0ELNS1_11target_archE4294967295ELNS1_3gpuE0ELNS1_3repE0EEENS1_48merge_mergepath_partition_config_static_selectorELNS0_4arch9wavefront6targetE0EEEvSM_.num_agpr, 0
	.set _ZN7rocprim17ROCPRIM_400000_NS6detail17trampoline_kernelINS0_14default_configENS1_38merge_sort_block_merge_config_selectorIlNS0_10empty_typeEEEZZNS1_27merge_sort_block_merge_implIS3_PlPS5_mZN2at6native12_GLOBAL__N_124unique_dim_cuda_templateIjEESt5tupleIJNSA_6TensorESF_SF_EERKSF_lbbbEUlllE_EE10hipError_tT0_T1_T2_jT3_P12ihipStream_tbPNSt15iterator_traitsISL_E10value_typeEPNSR_ISM_E10value_typeEPSN_NS1_7vsmem_tEENKUlT_SL_SM_SN_E_clIS8_S8_S9_S9_EESK_S10_SL_SM_SN_EUlS10_E_NS1_11comp_targetILNS1_3genE0ELNS1_11target_archE4294967295ELNS1_3gpuE0ELNS1_3repE0EEENS1_48merge_mergepath_partition_config_static_selectorELNS0_4arch9wavefront6targetE0EEEvSM_.numbered_sgpr, 20
	.set _ZN7rocprim17ROCPRIM_400000_NS6detail17trampoline_kernelINS0_14default_configENS1_38merge_sort_block_merge_config_selectorIlNS0_10empty_typeEEEZZNS1_27merge_sort_block_merge_implIS3_PlPS5_mZN2at6native12_GLOBAL__N_124unique_dim_cuda_templateIjEESt5tupleIJNSA_6TensorESF_SF_EERKSF_lbbbEUlllE_EE10hipError_tT0_T1_T2_jT3_P12ihipStream_tbPNSt15iterator_traitsISL_E10value_typeEPNSR_ISM_E10value_typeEPSN_NS1_7vsmem_tEENKUlT_SL_SM_SN_E_clIS8_S8_S9_S9_EESK_S10_SL_SM_SN_EUlS10_E_NS1_11comp_targetILNS1_3genE0ELNS1_11target_archE4294967295ELNS1_3gpuE0ELNS1_3repE0EEENS1_48merge_mergepath_partition_config_static_selectorELNS0_4arch9wavefront6targetE0EEEvSM_.num_named_barrier, 0
	.set _ZN7rocprim17ROCPRIM_400000_NS6detail17trampoline_kernelINS0_14default_configENS1_38merge_sort_block_merge_config_selectorIlNS0_10empty_typeEEEZZNS1_27merge_sort_block_merge_implIS3_PlPS5_mZN2at6native12_GLOBAL__N_124unique_dim_cuda_templateIjEESt5tupleIJNSA_6TensorESF_SF_EERKSF_lbbbEUlllE_EE10hipError_tT0_T1_T2_jT3_P12ihipStream_tbPNSt15iterator_traitsISL_E10value_typeEPNSR_ISM_E10value_typeEPSN_NS1_7vsmem_tEENKUlT_SL_SM_SN_E_clIS8_S8_S9_S9_EESK_S10_SL_SM_SN_EUlS10_E_NS1_11comp_targetILNS1_3genE0ELNS1_11target_archE4294967295ELNS1_3gpuE0ELNS1_3repE0EEENS1_48merge_mergepath_partition_config_static_selectorELNS0_4arch9wavefront6targetE0EEEvSM_.private_seg_size, 0
	.set _ZN7rocprim17ROCPRIM_400000_NS6detail17trampoline_kernelINS0_14default_configENS1_38merge_sort_block_merge_config_selectorIlNS0_10empty_typeEEEZZNS1_27merge_sort_block_merge_implIS3_PlPS5_mZN2at6native12_GLOBAL__N_124unique_dim_cuda_templateIjEESt5tupleIJNSA_6TensorESF_SF_EERKSF_lbbbEUlllE_EE10hipError_tT0_T1_T2_jT3_P12ihipStream_tbPNSt15iterator_traitsISL_E10value_typeEPNSR_ISM_E10value_typeEPSN_NS1_7vsmem_tEENKUlT_SL_SM_SN_E_clIS8_S8_S9_S9_EESK_S10_SL_SM_SN_EUlS10_E_NS1_11comp_targetILNS1_3genE0ELNS1_11target_archE4294967295ELNS1_3gpuE0ELNS1_3repE0EEENS1_48merge_mergepath_partition_config_static_selectorELNS0_4arch9wavefront6targetE0EEEvSM_.uses_vcc, 1
	.set _ZN7rocprim17ROCPRIM_400000_NS6detail17trampoline_kernelINS0_14default_configENS1_38merge_sort_block_merge_config_selectorIlNS0_10empty_typeEEEZZNS1_27merge_sort_block_merge_implIS3_PlPS5_mZN2at6native12_GLOBAL__N_124unique_dim_cuda_templateIjEESt5tupleIJNSA_6TensorESF_SF_EERKSF_lbbbEUlllE_EE10hipError_tT0_T1_T2_jT3_P12ihipStream_tbPNSt15iterator_traitsISL_E10value_typeEPNSR_ISM_E10value_typeEPSN_NS1_7vsmem_tEENKUlT_SL_SM_SN_E_clIS8_S8_S9_S9_EESK_S10_SL_SM_SN_EUlS10_E_NS1_11comp_targetILNS1_3genE0ELNS1_11target_archE4294967295ELNS1_3gpuE0ELNS1_3repE0EEENS1_48merge_mergepath_partition_config_static_selectorELNS0_4arch9wavefront6targetE0EEEvSM_.uses_flat_scratch, 0
	.set _ZN7rocprim17ROCPRIM_400000_NS6detail17trampoline_kernelINS0_14default_configENS1_38merge_sort_block_merge_config_selectorIlNS0_10empty_typeEEEZZNS1_27merge_sort_block_merge_implIS3_PlPS5_mZN2at6native12_GLOBAL__N_124unique_dim_cuda_templateIjEESt5tupleIJNSA_6TensorESF_SF_EERKSF_lbbbEUlllE_EE10hipError_tT0_T1_T2_jT3_P12ihipStream_tbPNSt15iterator_traitsISL_E10value_typeEPNSR_ISM_E10value_typeEPSN_NS1_7vsmem_tEENKUlT_SL_SM_SN_E_clIS8_S8_S9_S9_EESK_S10_SL_SM_SN_EUlS10_E_NS1_11comp_targetILNS1_3genE0ELNS1_11target_archE4294967295ELNS1_3gpuE0ELNS1_3repE0EEENS1_48merge_mergepath_partition_config_static_selectorELNS0_4arch9wavefront6targetE0EEEvSM_.has_dyn_sized_stack, 0
	.set _ZN7rocprim17ROCPRIM_400000_NS6detail17trampoline_kernelINS0_14default_configENS1_38merge_sort_block_merge_config_selectorIlNS0_10empty_typeEEEZZNS1_27merge_sort_block_merge_implIS3_PlPS5_mZN2at6native12_GLOBAL__N_124unique_dim_cuda_templateIjEESt5tupleIJNSA_6TensorESF_SF_EERKSF_lbbbEUlllE_EE10hipError_tT0_T1_T2_jT3_P12ihipStream_tbPNSt15iterator_traitsISL_E10value_typeEPNSR_ISM_E10value_typeEPSN_NS1_7vsmem_tEENKUlT_SL_SM_SN_E_clIS8_S8_S9_S9_EESK_S10_SL_SM_SN_EUlS10_E_NS1_11comp_targetILNS1_3genE0ELNS1_11target_archE4294967295ELNS1_3gpuE0ELNS1_3repE0EEENS1_48merge_mergepath_partition_config_static_selectorELNS0_4arch9wavefront6targetE0EEEvSM_.has_recursion, 0
	.set _ZN7rocprim17ROCPRIM_400000_NS6detail17trampoline_kernelINS0_14default_configENS1_38merge_sort_block_merge_config_selectorIlNS0_10empty_typeEEEZZNS1_27merge_sort_block_merge_implIS3_PlPS5_mZN2at6native12_GLOBAL__N_124unique_dim_cuda_templateIjEESt5tupleIJNSA_6TensorESF_SF_EERKSF_lbbbEUlllE_EE10hipError_tT0_T1_T2_jT3_P12ihipStream_tbPNSt15iterator_traitsISL_E10value_typeEPNSR_ISM_E10value_typeEPSN_NS1_7vsmem_tEENKUlT_SL_SM_SN_E_clIS8_S8_S9_S9_EESK_S10_SL_SM_SN_EUlS10_E_NS1_11comp_targetILNS1_3genE0ELNS1_11target_archE4294967295ELNS1_3gpuE0ELNS1_3repE0EEENS1_48merge_mergepath_partition_config_static_selectorELNS0_4arch9wavefront6targetE0EEEvSM_.has_indirect_call, 0
	.section	.AMDGPU.csdata,"",@progbits
; Kernel info:
; codeLenInByte = 744
; TotalNumSgprs: 22
; NumVgprs: 22
; ScratchSize: 0
; MemoryBound: 0
; FloatMode: 240
; IeeeMode: 1
; LDSByteSize: 0 bytes/workgroup (compile time only)
; SGPRBlocks: 0
; VGPRBlocks: 1
; NumSGPRsForWavesPerEU: 22
; NumVGPRsForWavesPerEU: 22
; NamedBarCnt: 0
; Occupancy: 16
; WaveLimiterHint : 0
; COMPUTE_PGM_RSRC2:SCRATCH_EN: 0
; COMPUTE_PGM_RSRC2:USER_SGPR: 2
; COMPUTE_PGM_RSRC2:TRAP_HANDLER: 0
; COMPUTE_PGM_RSRC2:TGID_X_EN: 1
; COMPUTE_PGM_RSRC2:TGID_Y_EN: 0
; COMPUTE_PGM_RSRC2:TGID_Z_EN: 0
; COMPUTE_PGM_RSRC2:TIDIG_COMP_CNT: 0
	.section	.text._ZN7rocprim17ROCPRIM_400000_NS6detail17trampoline_kernelINS0_14default_configENS1_38merge_sort_block_merge_config_selectorIlNS0_10empty_typeEEEZZNS1_27merge_sort_block_merge_implIS3_PlPS5_mZN2at6native12_GLOBAL__N_124unique_dim_cuda_templateIjEESt5tupleIJNSA_6TensorESF_SF_EERKSF_lbbbEUlllE_EE10hipError_tT0_T1_T2_jT3_P12ihipStream_tbPNSt15iterator_traitsISL_E10value_typeEPNSR_ISM_E10value_typeEPSN_NS1_7vsmem_tEENKUlT_SL_SM_SN_E_clIS8_S8_S9_S9_EESK_S10_SL_SM_SN_EUlS10_E_NS1_11comp_targetILNS1_3genE10ELNS1_11target_archE1201ELNS1_3gpuE5ELNS1_3repE0EEENS1_48merge_mergepath_partition_config_static_selectorELNS0_4arch9wavefront6targetE0EEEvSM_,"axG",@progbits,_ZN7rocprim17ROCPRIM_400000_NS6detail17trampoline_kernelINS0_14default_configENS1_38merge_sort_block_merge_config_selectorIlNS0_10empty_typeEEEZZNS1_27merge_sort_block_merge_implIS3_PlPS5_mZN2at6native12_GLOBAL__N_124unique_dim_cuda_templateIjEESt5tupleIJNSA_6TensorESF_SF_EERKSF_lbbbEUlllE_EE10hipError_tT0_T1_T2_jT3_P12ihipStream_tbPNSt15iterator_traitsISL_E10value_typeEPNSR_ISM_E10value_typeEPSN_NS1_7vsmem_tEENKUlT_SL_SM_SN_E_clIS8_S8_S9_S9_EESK_S10_SL_SM_SN_EUlS10_E_NS1_11comp_targetILNS1_3genE10ELNS1_11target_archE1201ELNS1_3gpuE5ELNS1_3repE0EEENS1_48merge_mergepath_partition_config_static_selectorELNS0_4arch9wavefront6targetE0EEEvSM_,comdat
	.globl	_ZN7rocprim17ROCPRIM_400000_NS6detail17trampoline_kernelINS0_14default_configENS1_38merge_sort_block_merge_config_selectorIlNS0_10empty_typeEEEZZNS1_27merge_sort_block_merge_implIS3_PlPS5_mZN2at6native12_GLOBAL__N_124unique_dim_cuda_templateIjEESt5tupleIJNSA_6TensorESF_SF_EERKSF_lbbbEUlllE_EE10hipError_tT0_T1_T2_jT3_P12ihipStream_tbPNSt15iterator_traitsISL_E10value_typeEPNSR_ISM_E10value_typeEPSN_NS1_7vsmem_tEENKUlT_SL_SM_SN_E_clIS8_S8_S9_S9_EESK_S10_SL_SM_SN_EUlS10_E_NS1_11comp_targetILNS1_3genE10ELNS1_11target_archE1201ELNS1_3gpuE5ELNS1_3repE0EEENS1_48merge_mergepath_partition_config_static_selectorELNS0_4arch9wavefront6targetE0EEEvSM_ ; -- Begin function _ZN7rocprim17ROCPRIM_400000_NS6detail17trampoline_kernelINS0_14default_configENS1_38merge_sort_block_merge_config_selectorIlNS0_10empty_typeEEEZZNS1_27merge_sort_block_merge_implIS3_PlPS5_mZN2at6native12_GLOBAL__N_124unique_dim_cuda_templateIjEESt5tupleIJNSA_6TensorESF_SF_EERKSF_lbbbEUlllE_EE10hipError_tT0_T1_T2_jT3_P12ihipStream_tbPNSt15iterator_traitsISL_E10value_typeEPNSR_ISM_E10value_typeEPSN_NS1_7vsmem_tEENKUlT_SL_SM_SN_E_clIS8_S8_S9_S9_EESK_S10_SL_SM_SN_EUlS10_E_NS1_11comp_targetILNS1_3genE10ELNS1_11target_archE1201ELNS1_3gpuE5ELNS1_3repE0EEENS1_48merge_mergepath_partition_config_static_selectorELNS0_4arch9wavefront6targetE0EEEvSM_
	.p2align	8
	.type	_ZN7rocprim17ROCPRIM_400000_NS6detail17trampoline_kernelINS0_14default_configENS1_38merge_sort_block_merge_config_selectorIlNS0_10empty_typeEEEZZNS1_27merge_sort_block_merge_implIS3_PlPS5_mZN2at6native12_GLOBAL__N_124unique_dim_cuda_templateIjEESt5tupleIJNSA_6TensorESF_SF_EERKSF_lbbbEUlllE_EE10hipError_tT0_T1_T2_jT3_P12ihipStream_tbPNSt15iterator_traitsISL_E10value_typeEPNSR_ISM_E10value_typeEPSN_NS1_7vsmem_tEENKUlT_SL_SM_SN_E_clIS8_S8_S9_S9_EESK_S10_SL_SM_SN_EUlS10_E_NS1_11comp_targetILNS1_3genE10ELNS1_11target_archE1201ELNS1_3gpuE5ELNS1_3repE0EEENS1_48merge_mergepath_partition_config_static_selectorELNS0_4arch9wavefront6targetE0EEEvSM_,@function
_ZN7rocprim17ROCPRIM_400000_NS6detail17trampoline_kernelINS0_14default_configENS1_38merge_sort_block_merge_config_selectorIlNS0_10empty_typeEEEZZNS1_27merge_sort_block_merge_implIS3_PlPS5_mZN2at6native12_GLOBAL__N_124unique_dim_cuda_templateIjEESt5tupleIJNSA_6TensorESF_SF_EERKSF_lbbbEUlllE_EE10hipError_tT0_T1_T2_jT3_P12ihipStream_tbPNSt15iterator_traitsISL_E10value_typeEPNSR_ISM_E10value_typeEPSN_NS1_7vsmem_tEENKUlT_SL_SM_SN_E_clIS8_S8_S9_S9_EESK_S10_SL_SM_SN_EUlS10_E_NS1_11comp_targetILNS1_3genE10ELNS1_11target_archE1201ELNS1_3gpuE5ELNS1_3repE0EEENS1_48merge_mergepath_partition_config_static_selectorELNS0_4arch9wavefront6targetE0EEEvSM_: ; @_ZN7rocprim17ROCPRIM_400000_NS6detail17trampoline_kernelINS0_14default_configENS1_38merge_sort_block_merge_config_selectorIlNS0_10empty_typeEEEZZNS1_27merge_sort_block_merge_implIS3_PlPS5_mZN2at6native12_GLOBAL__N_124unique_dim_cuda_templateIjEESt5tupleIJNSA_6TensorESF_SF_EERKSF_lbbbEUlllE_EE10hipError_tT0_T1_T2_jT3_P12ihipStream_tbPNSt15iterator_traitsISL_E10value_typeEPNSR_ISM_E10value_typeEPSN_NS1_7vsmem_tEENKUlT_SL_SM_SN_E_clIS8_S8_S9_S9_EESK_S10_SL_SM_SN_EUlS10_E_NS1_11comp_targetILNS1_3genE10ELNS1_11target_archE1201ELNS1_3gpuE5ELNS1_3repE0EEENS1_48merge_mergepath_partition_config_static_selectorELNS0_4arch9wavefront6targetE0EEEvSM_
; %bb.0:
	.section	.rodata,"a",@progbits
	.p2align	6, 0x0
	.amdhsa_kernel _ZN7rocprim17ROCPRIM_400000_NS6detail17trampoline_kernelINS0_14default_configENS1_38merge_sort_block_merge_config_selectorIlNS0_10empty_typeEEEZZNS1_27merge_sort_block_merge_implIS3_PlPS5_mZN2at6native12_GLOBAL__N_124unique_dim_cuda_templateIjEESt5tupleIJNSA_6TensorESF_SF_EERKSF_lbbbEUlllE_EE10hipError_tT0_T1_T2_jT3_P12ihipStream_tbPNSt15iterator_traitsISL_E10value_typeEPNSR_ISM_E10value_typeEPSN_NS1_7vsmem_tEENKUlT_SL_SM_SN_E_clIS8_S8_S9_S9_EESK_S10_SL_SM_SN_EUlS10_E_NS1_11comp_targetILNS1_3genE10ELNS1_11target_archE1201ELNS1_3gpuE5ELNS1_3repE0EEENS1_48merge_mergepath_partition_config_static_selectorELNS0_4arch9wavefront6targetE0EEEvSM_
		.amdhsa_group_segment_fixed_size 0
		.amdhsa_private_segment_fixed_size 0
		.amdhsa_kernarg_size 56
		.amdhsa_user_sgpr_count 2
		.amdhsa_user_sgpr_dispatch_ptr 0
		.amdhsa_user_sgpr_queue_ptr 0
		.amdhsa_user_sgpr_kernarg_segment_ptr 1
		.amdhsa_user_sgpr_dispatch_id 0
		.amdhsa_user_sgpr_kernarg_preload_length 0
		.amdhsa_user_sgpr_kernarg_preload_offset 0
		.amdhsa_user_sgpr_private_segment_size 0
		.amdhsa_wavefront_size32 1
		.amdhsa_uses_dynamic_stack 0
		.amdhsa_enable_private_segment 0
		.amdhsa_system_sgpr_workgroup_id_x 1
		.amdhsa_system_sgpr_workgroup_id_y 0
		.amdhsa_system_sgpr_workgroup_id_z 0
		.amdhsa_system_sgpr_workgroup_info 0
		.amdhsa_system_vgpr_workitem_id 0
		.amdhsa_next_free_vgpr 1
		.amdhsa_next_free_sgpr 1
		.amdhsa_named_barrier_count 0
		.amdhsa_reserve_vcc 0
		.amdhsa_float_round_mode_32 0
		.amdhsa_float_round_mode_16_64 0
		.amdhsa_float_denorm_mode_32 3
		.amdhsa_float_denorm_mode_16_64 3
		.amdhsa_fp16_overflow 0
		.amdhsa_memory_ordered 1
		.amdhsa_forward_progress 1
		.amdhsa_inst_pref_size 0
		.amdhsa_round_robin_scheduling 0
		.amdhsa_exception_fp_ieee_invalid_op 0
		.amdhsa_exception_fp_denorm_src 0
		.amdhsa_exception_fp_ieee_div_zero 0
		.amdhsa_exception_fp_ieee_overflow 0
		.amdhsa_exception_fp_ieee_underflow 0
		.amdhsa_exception_fp_ieee_inexact 0
		.amdhsa_exception_int_div_zero 0
	.end_amdhsa_kernel
	.section	.text._ZN7rocprim17ROCPRIM_400000_NS6detail17trampoline_kernelINS0_14default_configENS1_38merge_sort_block_merge_config_selectorIlNS0_10empty_typeEEEZZNS1_27merge_sort_block_merge_implIS3_PlPS5_mZN2at6native12_GLOBAL__N_124unique_dim_cuda_templateIjEESt5tupleIJNSA_6TensorESF_SF_EERKSF_lbbbEUlllE_EE10hipError_tT0_T1_T2_jT3_P12ihipStream_tbPNSt15iterator_traitsISL_E10value_typeEPNSR_ISM_E10value_typeEPSN_NS1_7vsmem_tEENKUlT_SL_SM_SN_E_clIS8_S8_S9_S9_EESK_S10_SL_SM_SN_EUlS10_E_NS1_11comp_targetILNS1_3genE10ELNS1_11target_archE1201ELNS1_3gpuE5ELNS1_3repE0EEENS1_48merge_mergepath_partition_config_static_selectorELNS0_4arch9wavefront6targetE0EEEvSM_,"axG",@progbits,_ZN7rocprim17ROCPRIM_400000_NS6detail17trampoline_kernelINS0_14default_configENS1_38merge_sort_block_merge_config_selectorIlNS0_10empty_typeEEEZZNS1_27merge_sort_block_merge_implIS3_PlPS5_mZN2at6native12_GLOBAL__N_124unique_dim_cuda_templateIjEESt5tupleIJNSA_6TensorESF_SF_EERKSF_lbbbEUlllE_EE10hipError_tT0_T1_T2_jT3_P12ihipStream_tbPNSt15iterator_traitsISL_E10value_typeEPNSR_ISM_E10value_typeEPSN_NS1_7vsmem_tEENKUlT_SL_SM_SN_E_clIS8_S8_S9_S9_EESK_S10_SL_SM_SN_EUlS10_E_NS1_11comp_targetILNS1_3genE10ELNS1_11target_archE1201ELNS1_3gpuE5ELNS1_3repE0EEENS1_48merge_mergepath_partition_config_static_selectorELNS0_4arch9wavefront6targetE0EEEvSM_,comdat
.Lfunc_end1493:
	.size	_ZN7rocprim17ROCPRIM_400000_NS6detail17trampoline_kernelINS0_14default_configENS1_38merge_sort_block_merge_config_selectorIlNS0_10empty_typeEEEZZNS1_27merge_sort_block_merge_implIS3_PlPS5_mZN2at6native12_GLOBAL__N_124unique_dim_cuda_templateIjEESt5tupleIJNSA_6TensorESF_SF_EERKSF_lbbbEUlllE_EE10hipError_tT0_T1_T2_jT3_P12ihipStream_tbPNSt15iterator_traitsISL_E10value_typeEPNSR_ISM_E10value_typeEPSN_NS1_7vsmem_tEENKUlT_SL_SM_SN_E_clIS8_S8_S9_S9_EESK_S10_SL_SM_SN_EUlS10_E_NS1_11comp_targetILNS1_3genE10ELNS1_11target_archE1201ELNS1_3gpuE5ELNS1_3repE0EEENS1_48merge_mergepath_partition_config_static_selectorELNS0_4arch9wavefront6targetE0EEEvSM_, .Lfunc_end1493-_ZN7rocprim17ROCPRIM_400000_NS6detail17trampoline_kernelINS0_14default_configENS1_38merge_sort_block_merge_config_selectorIlNS0_10empty_typeEEEZZNS1_27merge_sort_block_merge_implIS3_PlPS5_mZN2at6native12_GLOBAL__N_124unique_dim_cuda_templateIjEESt5tupleIJNSA_6TensorESF_SF_EERKSF_lbbbEUlllE_EE10hipError_tT0_T1_T2_jT3_P12ihipStream_tbPNSt15iterator_traitsISL_E10value_typeEPNSR_ISM_E10value_typeEPSN_NS1_7vsmem_tEENKUlT_SL_SM_SN_E_clIS8_S8_S9_S9_EESK_S10_SL_SM_SN_EUlS10_E_NS1_11comp_targetILNS1_3genE10ELNS1_11target_archE1201ELNS1_3gpuE5ELNS1_3repE0EEENS1_48merge_mergepath_partition_config_static_selectorELNS0_4arch9wavefront6targetE0EEEvSM_
                                        ; -- End function
	.set _ZN7rocprim17ROCPRIM_400000_NS6detail17trampoline_kernelINS0_14default_configENS1_38merge_sort_block_merge_config_selectorIlNS0_10empty_typeEEEZZNS1_27merge_sort_block_merge_implIS3_PlPS5_mZN2at6native12_GLOBAL__N_124unique_dim_cuda_templateIjEESt5tupleIJNSA_6TensorESF_SF_EERKSF_lbbbEUlllE_EE10hipError_tT0_T1_T2_jT3_P12ihipStream_tbPNSt15iterator_traitsISL_E10value_typeEPNSR_ISM_E10value_typeEPSN_NS1_7vsmem_tEENKUlT_SL_SM_SN_E_clIS8_S8_S9_S9_EESK_S10_SL_SM_SN_EUlS10_E_NS1_11comp_targetILNS1_3genE10ELNS1_11target_archE1201ELNS1_3gpuE5ELNS1_3repE0EEENS1_48merge_mergepath_partition_config_static_selectorELNS0_4arch9wavefront6targetE0EEEvSM_.num_vgpr, 0
	.set _ZN7rocprim17ROCPRIM_400000_NS6detail17trampoline_kernelINS0_14default_configENS1_38merge_sort_block_merge_config_selectorIlNS0_10empty_typeEEEZZNS1_27merge_sort_block_merge_implIS3_PlPS5_mZN2at6native12_GLOBAL__N_124unique_dim_cuda_templateIjEESt5tupleIJNSA_6TensorESF_SF_EERKSF_lbbbEUlllE_EE10hipError_tT0_T1_T2_jT3_P12ihipStream_tbPNSt15iterator_traitsISL_E10value_typeEPNSR_ISM_E10value_typeEPSN_NS1_7vsmem_tEENKUlT_SL_SM_SN_E_clIS8_S8_S9_S9_EESK_S10_SL_SM_SN_EUlS10_E_NS1_11comp_targetILNS1_3genE10ELNS1_11target_archE1201ELNS1_3gpuE5ELNS1_3repE0EEENS1_48merge_mergepath_partition_config_static_selectorELNS0_4arch9wavefront6targetE0EEEvSM_.num_agpr, 0
	.set _ZN7rocprim17ROCPRIM_400000_NS6detail17trampoline_kernelINS0_14default_configENS1_38merge_sort_block_merge_config_selectorIlNS0_10empty_typeEEEZZNS1_27merge_sort_block_merge_implIS3_PlPS5_mZN2at6native12_GLOBAL__N_124unique_dim_cuda_templateIjEESt5tupleIJNSA_6TensorESF_SF_EERKSF_lbbbEUlllE_EE10hipError_tT0_T1_T2_jT3_P12ihipStream_tbPNSt15iterator_traitsISL_E10value_typeEPNSR_ISM_E10value_typeEPSN_NS1_7vsmem_tEENKUlT_SL_SM_SN_E_clIS8_S8_S9_S9_EESK_S10_SL_SM_SN_EUlS10_E_NS1_11comp_targetILNS1_3genE10ELNS1_11target_archE1201ELNS1_3gpuE5ELNS1_3repE0EEENS1_48merge_mergepath_partition_config_static_selectorELNS0_4arch9wavefront6targetE0EEEvSM_.numbered_sgpr, 0
	.set _ZN7rocprim17ROCPRIM_400000_NS6detail17trampoline_kernelINS0_14default_configENS1_38merge_sort_block_merge_config_selectorIlNS0_10empty_typeEEEZZNS1_27merge_sort_block_merge_implIS3_PlPS5_mZN2at6native12_GLOBAL__N_124unique_dim_cuda_templateIjEESt5tupleIJNSA_6TensorESF_SF_EERKSF_lbbbEUlllE_EE10hipError_tT0_T1_T2_jT3_P12ihipStream_tbPNSt15iterator_traitsISL_E10value_typeEPNSR_ISM_E10value_typeEPSN_NS1_7vsmem_tEENKUlT_SL_SM_SN_E_clIS8_S8_S9_S9_EESK_S10_SL_SM_SN_EUlS10_E_NS1_11comp_targetILNS1_3genE10ELNS1_11target_archE1201ELNS1_3gpuE5ELNS1_3repE0EEENS1_48merge_mergepath_partition_config_static_selectorELNS0_4arch9wavefront6targetE0EEEvSM_.num_named_barrier, 0
	.set _ZN7rocprim17ROCPRIM_400000_NS6detail17trampoline_kernelINS0_14default_configENS1_38merge_sort_block_merge_config_selectorIlNS0_10empty_typeEEEZZNS1_27merge_sort_block_merge_implIS3_PlPS5_mZN2at6native12_GLOBAL__N_124unique_dim_cuda_templateIjEESt5tupleIJNSA_6TensorESF_SF_EERKSF_lbbbEUlllE_EE10hipError_tT0_T1_T2_jT3_P12ihipStream_tbPNSt15iterator_traitsISL_E10value_typeEPNSR_ISM_E10value_typeEPSN_NS1_7vsmem_tEENKUlT_SL_SM_SN_E_clIS8_S8_S9_S9_EESK_S10_SL_SM_SN_EUlS10_E_NS1_11comp_targetILNS1_3genE10ELNS1_11target_archE1201ELNS1_3gpuE5ELNS1_3repE0EEENS1_48merge_mergepath_partition_config_static_selectorELNS0_4arch9wavefront6targetE0EEEvSM_.private_seg_size, 0
	.set _ZN7rocprim17ROCPRIM_400000_NS6detail17trampoline_kernelINS0_14default_configENS1_38merge_sort_block_merge_config_selectorIlNS0_10empty_typeEEEZZNS1_27merge_sort_block_merge_implIS3_PlPS5_mZN2at6native12_GLOBAL__N_124unique_dim_cuda_templateIjEESt5tupleIJNSA_6TensorESF_SF_EERKSF_lbbbEUlllE_EE10hipError_tT0_T1_T2_jT3_P12ihipStream_tbPNSt15iterator_traitsISL_E10value_typeEPNSR_ISM_E10value_typeEPSN_NS1_7vsmem_tEENKUlT_SL_SM_SN_E_clIS8_S8_S9_S9_EESK_S10_SL_SM_SN_EUlS10_E_NS1_11comp_targetILNS1_3genE10ELNS1_11target_archE1201ELNS1_3gpuE5ELNS1_3repE0EEENS1_48merge_mergepath_partition_config_static_selectorELNS0_4arch9wavefront6targetE0EEEvSM_.uses_vcc, 0
	.set _ZN7rocprim17ROCPRIM_400000_NS6detail17trampoline_kernelINS0_14default_configENS1_38merge_sort_block_merge_config_selectorIlNS0_10empty_typeEEEZZNS1_27merge_sort_block_merge_implIS3_PlPS5_mZN2at6native12_GLOBAL__N_124unique_dim_cuda_templateIjEESt5tupleIJNSA_6TensorESF_SF_EERKSF_lbbbEUlllE_EE10hipError_tT0_T1_T2_jT3_P12ihipStream_tbPNSt15iterator_traitsISL_E10value_typeEPNSR_ISM_E10value_typeEPSN_NS1_7vsmem_tEENKUlT_SL_SM_SN_E_clIS8_S8_S9_S9_EESK_S10_SL_SM_SN_EUlS10_E_NS1_11comp_targetILNS1_3genE10ELNS1_11target_archE1201ELNS1_3gpuE5ELNS1_3repE0EEENS1_48merge_mergepath_partition_config_static_selectorELNS0_4arch9wavefront6targetE0EEEvSM_.uses_flat_scratch, 0
	.set _ZN7rocprim17ROCPRIM_400000_NS6detail17trampoline_kernelINS0_14default_configENS1_38merge_sort_block_merge_config_selectorIlNS0_10empty_typeEEEZZNS1_27merge_sort_block_merge_implIS3_PlPS5_mZN2at6native12_GLOBAL__N_124unique_dim_cuda_templateIjEESt5tupleIJNSA_6TensorESF_SF_EERKSF_lbbbEUlllE_EE10hipError_tT0_T1_T2_jT3_P12ihipStream_tbPNSt15iterator_traitsISL_E10value_typeEPNSR_ISM_E10value_typeEPSN_NS1_7vsmem_tEENKUlT_SL_SM_SN_E_clIS8_S8_S9_S9_EESK_S10_SL_SM_SN_EUlS10_E_NS1_11comp_targetILNS1_3genE10ELNS1_11target_archE1201ELNS1_3gpuE5ELNS1_3repE0EEENS1_48merge_mergepath_partition_config_static_selectorELNS0_4arch9wavefront6targetE0EEEvSM_.has_dyn_sized_stack, 0
	.set _ZN7rocprim17ROCPRIM_400000_NS6detail17trampoline_kernelINS0_14default_configENS1_38merge_sort_block_merge_config_selectorIlNS0_10empty_typeEEEZZNS1_27merge_sort_block_merge_implIS3_PlPS5_mZN2at6native12_GLOBAL__N_124unique_dim_cuda_templateIjEESt5tupleIJNSA_6TensorESF_SF_EERKSF_lbbbEUlllE_EE10hipError_tT0_T1_T2_jT3_P12ihipStream_tbPNSt15iterator_traitsISL_E10value_typeEPNSR_ISM_E10value_typeEPSN_NS1_7vsmem_tEENKUlT_SL_SM_SN_E_clIS8_S8_S9_S9_EESK_S10_SL_SM_SN_EUlS10_E_NS1_11comp_targetILNS1_3genE10ELNS1_11target_archE1201ELNS1_3gpuE5ELNS1_3repE0EEENS1_48merge_mergepath_partition_config_static_selectorELNS0_4arch9wavefront6targetE0EEEvSM_.has_recursion, 0
	.set _ZN7rocprim17ROCPRIM_400000_NS6detail17trampoline_kernelINS0_14default_configENS1_38merge_sort_block_merge_config_selectorIlNS0_10empty_typeEEEZZNS1_27merge_sort_block_merge_implIS3_PlPS5_mZN2at6native12_GLOBAL__N_124unique_dim_cuda_templateIjEESt5tupleIJNSA_6TensorESF_SF_EERKSF_lbbbEUlllE_EE10hipError_tT0_T1_T2_jT3_P12ihipStream_tbPNSt15iterator_traitsISL_E10value_typeEPNSR_ISM_E10value_typeEPSN_NS1_7vsmem_tEENKUlT_SL_SM_SN_E_clIS8_S8_S9_S9_EESK_S10_SL_SM_SN_EUlS10_E_NS1_11comp_targetILNS1_3genE10ELNS1_11target_archE1201ELNS1_3gpuE5ELNS1_3repE0EEENS1_48merge_mergepath_partition_config_static_selectorELNS0_4arch9wavefront6targetE0EEEvSM_.has_indirect_call, 0
	.section	.AMDGPU.csdata,"",@progbits
; Kernel info:
; codeLenInByte = 0
; TotalNumSgprs: 0
; NumVgprs: 0
; ScratchSize: 0
; MemoryBound: 0
; FloatMode: 240
; IeeeMode: 1
; LDSByteSize: 0 bytes/workgroup (compile time only)
; SGPRBlocks: 0
; VGPRBlocks: 0
; NumSGPRsForWavesPerEU: 1
; NumVGPRsForWavesPerEU: 1
; NamedBarCnt: 0
; Occupancy: 16
; WaveLimiterHint : 0
; COMPUTE_PGM_RSRC2:SCRATCH_EN: 0
; COMPUTE_PGM_RSRC2:USER_SGPR: 2
; COMPUTE_PGM_RSRC2:TRAP_HANDLER: 0
; COMPUTE_PGM_RSRC2:TGID_X_EN: 1
; COMPUTE_PGM_RSRC2:TGID_Y_EN: 0
; COMPUTE_PGM_RSRC2:TGID_Z_EN: 0
; COMPUTE_PGM_RSRC2:TIDIG_COMP_CNT: 0
	.section	.text._ZN7rocprim17ROCPRIM_400000_NS6detail17trampoline_kernelINS0_14default_configENS1_38merge_sort_block_merge_config_selectorIlNS0_10empty_typeEEEZZNS1_27merge_sort_block_merge_implIS3_PlPS5_mZN2at6native12_GLOBAL__N_124unique_dim_cuda_templateIjEESt5tupleIJNSA_6TensorESF_SF_EERKSF_lbbbEUlllE_EE10hipError_tT0_T1_T2_jT3_P12ihipStream_tbPNSt15iterator_traitsISL_E10value_typeEPNSR_ISM_E10value_typeEPSN_NS1_7vsmem_tEENKUlT_SL_SM_SN_E_clIS8_S8_S9_S9_EESK_S10_SL_SM_SN_EUlS10_E_NS1_11comp_targetILNS1_3genE5ELNS1_11target_archE942ELNS1_3gpuE9ELNS1_3repE0EEENS1_48merge_mergepath_partition_config_static_selectorELNS0_4arch9wavefront6targetE0EEEvSM_,"axG",@progbits,_ZN7rocprim17ROCPRIM_400000_NS6detail17trampoline_kernelINS0_14default_configENS1_38merge_sort_block_merge_config_selectorIlNS0_10empty_typeEEEZZNS1_27merge_sort_block_merge_implIS3_PlPS5_mZN2at6native12_GLOBAL__N_124unique_dim_cuda_templateIjEESt5tupleIJNSA_6TensorESF_SF_EERKSF_lbbbEUlllE_EE10hipError_tT0_T1_T2_jT3_P12ihipStream_tbPNSt15iterator_traitsISL_E10value_typeEPNSR_ISM_E10value_typeEPSN_NS1_7vsmem_tEENKUlT_SL_SM_SN_E_clIS8_S8_S9_S9_EESK_S10_SL_SM_SN_EUlS10_E_NS1_11comp_targetILNS1_3genE5ELNS1_11target_archE942ELNS1_3gpuE9ELNS1_3repE0EEENS1_48merge_mergepath_partition_config_static_selectorELNS0_4arch9wavefront6targetE0EEEvSM_,comdat
	.globl	_ZN7rocprim17ROCPRIM_400000_NS6detail17trampoline_kernelINS0_14default_configENS1_38merge_sort_block_merge_config_selectorIlNS0_10empty_typeEEEZZNS1_27merge_sort_block_merge_implIS3_PlPS5_mZN2at6native12_GLOBAL__N_124unique_dim_cuda_templateIjEESt5tupleIJNSA_6TensorESF_SF_EERKSF_lbbbEUlllE_EE10hipError_tT0_T1_T2_jT3_P12ihipStream_tbPNSt15iterator_traitsISL_E10value_typeEPNSR_ISM_E10value_typeEPSN_NS1_7vsmem_tEENKUlT_SL_SM_SN_E_clIS8_S8_S9_S9_EESK_S10_SL_SM_SN_EUlS10_E_NS1_11comp_targetILNS1_3genE5ELNS1_11target_archE942ELNS1_3gpuE9ELNS1_3repE0EEENS1_48merge_mergepath_partition_config_static_selectorELNS0_4arch9wavefront6targetE0EEEvSM_ ; -- Begin function _ZN7rocprim17ROCPRIM_400000_NS6detail17trampoline_kernelINS0_14default_configENS1_38merge_sort_block_merge_config_selectorIlNS0_10empty_typeEEEZZNS1_27merge_sort_block_merge_implIS3_PlPS5_mZN2at6native12_GLOBAL__N_124unique_dim_cuda_templateIjEESt5tupleIJNSA_6TensorESF_SF_EERKSF_lbbbEUlllE_EE10hipError_tT0_T1_T2_jT3_P12ihipStream_tbPNSt15iterator_traitsISL_E10value_typeEPNSR_ISM_E10value_typeEPSN_NS1_7vsmem_tEENKUlT_SL_SM_SN_E_clIS8_S8_S9_S9_EESK_S10_SL_SM_SN_EUlS10_E_NS1_11comp_targetILNS1_3genE5ELNS1_11target_archE942ELNS1_3gpuE9ELNS1_3repE0EEENS1_48merge_mergepath_partition_config_static_selectorELNS0_4arch9wavefront6targetE0EEEvSM_
	.p2align	8
	.type	_ZN7rocprim17ROCPRIM_400000_NS6detail17trampoline_kernelINS0_14default_configENS1_38merge_sort_block_merge_config_selectorIlNS0_10empty_typeEEEZZNS1_27merge_sort_block_merge_implIS3_PlPS5_mZN2at6native12_GLOBAL__N_124unique_dim_cuda_templateIjEESt5tupleIJNSA_6TensorESF_SF_EERKSF_lbbbEUlllE_EE10hipError_tT0_T1_T2_jT3_P12ihipStream_tbPNSt15iterator_traitsISL_E10value_typeEPNSR_ISM_E10value_typeEPSN_NS1_7vsmem_tEENKUlT_SL_SM_SN_E_clIS8_S8_S9_S9_EESK_S10_SL_SM_SN_EUlS10_E_NS1_11comp_targetILNS1_3genE5ELNS1_11target_archE942ELNS1_3gpuE9ELNS1_3repE0EEENS1_48merge_mergepath_partition_config_static_selectorELNS0_4arch9wavefront6targetE0EEEvSM_,@function
_ZN7rocprim17ROCPRIM_400000_NS6detail17trampoline_kernelINS0_14default_configENS1_38merge_sort_block_merge_config_selectorIlNS0_10empty_typeEEEZZNS1_27merge_sort_block_merge_implIS3_PlPS5_mZN2at6native12_GLOBAL__N_124unique_dim_cuda_templateIjEESt5tupleIJNSA_6TensorESF_SF_EERKSF_lbbbEUlllE_EE10hipError_tT0_T1_T2_jT3_P12ihipStream_tbPNSt15iterator_traitsISL_E10value_typeEPNSR_ISM_E10value_typeEPSN_NS1_7vsmem_tEENKUlT_SL_SM_SN_E_clIS8_S8_S9_S9_EESK_S10_SL_SM_SN_EUlS10_E_NS1_11comp_targetILNS1_3genE5ELNS1_11target_archE942ELNS1_3gpuE9ELNS1_3repE0EEENS1_48merge_mergepath_partition_config_static_selectorELNS0_4arch9wavefront6targetE0EEEvSM_: ; @_ZN7rocprim17ROCPRIM_400000_NS6detail17trampoline_kernelINS0_14default_configENS1_38merge_sort_block_merge_config_selectorIlNS0_10empty_typeEEEZZNS1_27merge_sort_block_merge_implIS3_PlPS5_mZN2at6native12_GLOBAL__N_124unique_dim_cuda_templateIjEESt5tupleIJNSA_6TensorESF_SF_EERKSF_lbbbEUlllE_EE10hipError_tT0_T1_T2_jT3_P12ihipStream_tbPNSt15iterator_traitsISL_E10value_typeEPNSR_ISM_E10value_typeEPSN_NS1_7vsmem_tEENKUlT_SL_SM_SN_E_clIS8_S8_S9_S9_EESK_S10_SL_SM_SN_EUlS10_E_NS1_11comp_targetILNS1_3genE5ELNS1_11target_archE942ELNS1_3gpuE9ELNS1_3repE0EEENS1_48merge_mergepath_partition_config_static_selectorELNS0_4arch9wavefront6targetE0EEEvSM_
; %bb.0:
	.section	.rodata,"a",@progbits
	.p2align	6, 0x0
	.amdhsa_kernel _ZN7rocprim17ROCPRIM_400000_NS6detail17trampoline_kernelINS0_14default_configENS1_38merge_sort_block_merge_config_selectorIlNS0_10empty_typeEEEZZNS1_27merge_sort_block_merge_implIS3_PlPS5_mZN2at6native12_GLOBAL__N_124unique_dim_cuda_templateIjEESt5tupleIJNSA_6TensorESF_SF_EERKSF_lbbbEUlllE_EE10hipError_tT0_T1_T2_jT3_P12ihipStream_tbPNSt15iterator_traitsISL_E10value_typeEPNSR_ISM_E10value_typeEPSN_NS1_7vsmem_tEENKUlT_SL_SM_SN_E_clIS8_S8_S9_S9_EESK_S10_SL_SM_SN_EUlS10_E_NS1_11comp_targetILNS1_3genE5ELNS1_11target_archE942ELNS1_3gpuE9ELNS1_3repE0EEENS1_48merge_mergepath_partition_config_static_selectorELNS0_4arch9wavefront6targetE0EEEvSM_
		.amdhsa_group_segment_fixed_size 0
		.amdhsa_private_segment_fixed_size 0
		.amdhsa_kernarg_size 56
		.amdhsa_user_sgpr_count 2
		.amdhsa_user_sgpr_dispatch_ptr 0
		.amdhsa_user_sgpr_queue_ptr 0
		.amdhsa_user_sgpr_kernarg_segment_ptr 1
		.amdhsa_user_sgpr_dispatch_id 0
		.amdhsa_user_sgpr_kernarg_preload_length 0
		.amdhsa_user_sgpr_kernarg_preload_offset 0
		.amdhsa_user_sgpr_private_segment_size 0
		.amdhsa_wavefront_size32 1
		.amdhsa_uses_dynamic_stack 0
		.amdhsa_enable_private_segment 0
		.amdhsa_system_sgpr_workgroup_id_x 1
		.amdhsa_system_sgpr_workgroup_id_y 0
		.amdhsa_system_sgpr_workgroup_id_z 0
		.amdhsa_system_sgpr_workgroup_info 0
		.amdhsa_system_vgpr_workitem_id 0
		.amdhsa_next_free_vgpr 1
		.amdhsa_next_free_sgpr 1
		.amdhsa_named_barrier_count 0
		.amdhsa_reserve_vcc 0
		.amdhsa_float_round_mode_32 0
		.amdhsa_float_round_mode_16_64 0
		.amdhsa_float_denorm_mode_32 3
		.amdhsa_float_denorm_mode_16_64 3
		.amdhsa_fp16_overflow 0
		.amdhsa_memory_ordered 1
		.amdhsa_forward_progress 1
		.amdhsa_inst_pref_size 0
		.amdhsa_round_robin_scheduling 0
		.amdhsa_exception_fp_ieee_invalid_op 0
		.amdhsa_exception_fp_denorm_src 0
		.amdhsa_exception_fp_ieee_div_zero 0
		.amdhsa_exception_fp_ieee_overflow 0
		.amdhsa_exception_fp_ieee_underflow 0
		.amdhsa_exception_fp_ieee_inexact 0
		.amdhsa_exception_int_div_zero 0
	.end_amdhsa_kernel
	.section	.text._ZN7rocprim17ROCPRIM_400000_NS6detail17trampoline_kernelINS0_14default_configENS1_38merge_sort_block_merge_config_selectorIlNS0_10empty_typeEEEZZNS1_27merge_sort_block_merge_implIS3_PlPS5_mZN2at6native12_GLOBAL__N_124unique_dim_cuda_templateIjEESt5tupleIJNSA_6TensorESF_SF_EERKSF_lbbbEUlllE_EE10hipError_tT0_T1_T2_jT3_P12ihipStream_tbPNSt15iterator_traitsISL_E10value_typeEPNSR_ISM_E10value_typeEPSN_NS1_7vsmem_tEENKUlT_SL_SM_SN_E_clIS8_S8_S9_S9_EESK_S10_SL_SM_SN_EUlS10_E_NS1_11comp_targetILNS1_3genE5ELNS1_11target_archE942ELNS1_3gpuE9ELNS1_3repE0EEENS1_48merge_mergepath_partition_config_static_selectorELNS0_4arch9wavefront6targetE0EEEvSM_,"axG",@progbits,_ZN7rocprim17ROCPRIM_400000_NS6detail17trampoline_kernelINS0_14default_configENS1_38merge_sort_block_merge_config_selectorIlNS0_10empty_typeEEEZZNS1_27merge_sort_block_merge_implIS3_PlPS5_mZN2at6native12_GLOBAL__N_124unique_dim_cuda_templateIjEESt5tupleIJNSA_6TensorESF_SF_EERKSF_lbbbEUlllE_EE10hipError_tT0_T1_T2_jT3_P12ihipStream_tbPNSt15iterator_traitsISL_E10value_typeEPNSR_ISM_E10value_typeEPSN_NS1_7vsmem_tEENKUlT_SL_SM_SN_E_clIS8_S8_S9_S9_EESK_S10_SL_SM_SN_EUlS10_E_NS1_11comp_targetILNS1_3genE5ELNS1_11target_archE942ELNS1_3gpuE9ELNS1_3repE0EEENS1_48merge_mergepath_partition_config_static_selectorELNS0_4arch9wavefront6targetE0EEEvSM_,comdat
.Lfunc_end1494:
	.size	_ZN7rocprim17ROCPRIM_400000_NS6detail17trampoline_kernelINS0_14default_configENS1_38merge_sort_block_merge_config_selectorIlNS0_10empty_typeEEEZZNS1_27merge_sort_block_merge_implIS3_PlPS5_mZN2at6native12_GLOBAL__N_124unique_dim_cuda_templateIjEESt5tupleIJNSA_6TensorESF_SF_EERKSF_lbbbEUlllE_EE10hipError_tT0_T1_T2_jT3_P12ihipStream_tbPNSt15iterator_traitsISL_E10value_typeEPNSR_ISM_E10value_typeEPSN_NS1_7vsmem_tEENKUlT_SL_SM_SN_E_clIS8_S8_S9_S9_EESK_S10_SL_SM_SN_EUlS10_E_NS1_11comp_targetILNS1_3genE5ELNS1_11target_archE942ELNS1_3gpuE9ELNS1_3repE0EEENS1_48merge_mergepath_partition_config_static_selectorELNS0_4arch9wavefront6targetE0EEEvSM_, .Lfunc_end1494-_ZN7rocprim17ROCPRIM_400000_NS6detail17trampoline_kernelINS0_14default_configENS1_38merge_sort_block_merge_config_selectorIlNS0_10empty_typeEEEZZNS1_27merge_sort_block_merge_implIS3_PlPS5_mZN2at6native12_GLOBAL__N_124unique_dim_cuda_templateIjEESt5tupleIJNSA_6TensorESF_SF_EERKSF_lbbbEUlllE_EE10hipError_tT0_T1_T2_jT3_P12ihipStream_tbPNSt15iterator_traitsISL_E10value_typeEPNSR_ISM_E10value_typeEPSN_NS1_7vsmem_tEENKUlT_SL_SM_SN_E_clIS8_S8_S9_S9_EESK_S10_SL_SM_SN_EUlS10_E_NS1_11comp_targetILNS1_3genE5ELNS1_11target_archE942ELNS1_3gpuE9ELNS1_3repE0EEENS1_48merge_mergepath_partition_config_static_selectorELNS0_4arch9wavefront6targetE0EEEvSM_
                                        ; -- End function
	.set _ZN7rocprim17ROCPRIM_400000_NS6detail17trampoline_kernelINS0_14default_configENS1_38merge_sort_block_merge_config_selectorIlNS0_10empty_typeEEEZZNS1_27merge_sort_block_merge_implIS3_PlPS5_mZN2at6native12_GLOBAL__N_124unique_dim_cuda_templateIjEESt5tupleIJNSA_6TensorESF_SF_EERKSF_lbbbEUlllE_EE10hipError_tT0_T1_T2_jT3_P12ihipStream_tbPNSt15iterator_traitsISL_E10value_typeEPNSR_ISM_E10value_typeEPSN_NS1_7vsmem_tEENKUlT_SL_SM_SN_E_clIS8_S8_S9_S9_EESK_S10_SL_SM_SN_EUlS10_E_NS1_11comp_targetILNS1_3genE5ELNS1_11target_archE942ELNS1_3gpuE9ELNS1_3repE0EEENS1_48merge_mergepath_partition_config_static_selectorELNS0_4arch9wavefront6targetE0EEEvSM_.num_vgpr, 0
	.set _ZN7rocprim17ROCPRIM_400000_NS6detail17trampoline_kernelINS0_14default_configENS1_38merge_sort_block_merge_config_selectorIlNS0_10empty_typeEEEZZNS1_27merge_sort_block_merge_implIS3_PlPS5_mZN2at6native12_GLOBAL__N_124unique_dim_cuda_templateIjEESt5tupleIJNSA_6TensorESF_SF_EERKSF_lbbbEUlllE_EE10hipError_tT0_T1_T2_jT3_P12ihipStream_tbPNSt15iterator_traitsISL_E10value_typeEPNSR_ISM_E10value_typeEPSN_NS1_7vsmem_tEENKUlT_SL_SM_SN_E_clIS8_S8_S9_S9_EESK_S10_SL_SM_SN_EUlS10_E_NS1_11comp_targetILNS1_3genE5ELNS1_11target_archE942ELNS1_3gpuE9ELNS1_3repE0EEENS1_48merge_mergepath_partition_config_static_selectorELNS0_4arch9wavefront6targetE0EEEvSM_.num_agpr, 0
	.set _ZN7rocprim17ROCPRIM_400000_NS6detail17trampoline_kernelINS0_14default_configENS1_38merge_sort_block_merge_config_selectorIlNS0_10empty_typeEEEZZNS1_27merge_sort_block_merge_implIS3_PlPS5_mZN2at6native12_GLOBAL__N_124unique_dim_cuda_templateIjEESt5tupleIJNSA_6TensorESF_SF_EERKSF_lbbbEUlllE_EE10hipError_tT0_T1_T2_jT3_P12ihipStream_tbPNSt15iterator_traitsISL_E10value_typeEPNSR_ISM_E10value_typeEPSN_NS1_7vsmem_tEENKUlT_SL_SM_SN_E_clIS8_S8_S9_S9_EESK_S10_SL_SM_SN_EUlS10_E_NS1_11comp_targetILNS1_3genE5ELNS1_11target_archE942ELNS1_3gpuE9ELNS1_3repE0EEENS1_48merge_mergepath_partition_config_static_selectorELNS0_4arch9wavefront6targetE0EEEvSM_.numbered_sgpr, 0
	.set _ZN7rocprim17ROCPRIM_400000_NS6detail17trampoline_kernelINS0_14default_configENS1_38merge_sort_block_merge_config_selectorIlNS0_10empty_typeEEEZZNS1_27merge_sort_block_merge_implIS3_PlPS5_mZN2at6native12_GLOBAL__N_124unique_dim_cuda_templateIjEESt5tupleIJNSA_6TensorESF_SF_EERKSF_lbbbEUlllE_EE10hipError_tT0_T1_T2_jT3_P12ihipStream_tbPNSt15iterator_traitsISL_E10value_typeEPNSR_ISM_E10value_typeEPSN_NS1_7vsmem_tEENKUlT_SL_SM_SN_E_clIS8_S8_S9_S9_EESK_S10_SL_SM_SN_EUlS10_E_NS1_11comp_targetILNS1_3genE5ELNS1_11target_archE942ELNS1_3gpuE9ELNS1_3repE0EEENS1_48merge_mergepath_partition_config_static_selectorELNS0_4arch9wavefront6targetE0EEEvSM_.num_named_barrier, 0
	.set _ZN7rocprim17ROCPRIM_400000_NS6detail17trampoline_kernelINS0_14default_configENS1_38merge_sort_block_merge_config_selectorIlNS0_10empty_typeEEEZZNS1_27merge_sort_block_merge_implIS3_PlPS5_mZN2at6native12_GLOBAL__N_124unique_dim_cuda_templateIjEESt5tupleIJNSA_6TensorESF_SF_EERKSF_lbbbEUlllE_EE10hipError_tT0_T1_T2_jT3_P12ihipStream_tbPNSt15iterator_traitsISL_E10value_typeEPNSR_ISM_E10value_typeEPSN_NS1_7vsmem_tEENKUlT_SL_SM_SN_E_clIS8_S8_S9_S9_EESK_S10_SL_SM_SN_EUlS10_E_NS1_11comp_targetILNS1_3genE5ELNS1_11target_archE942ELNS1_3gpuE9ELNS1_3repE0EEENS1_48merge_mergepath_partition_config_static_selectorELNS0_4arch9wavefront6targetE0EEEvSM_.private_seg_size, 0
	.set _ZN7rocprim17ROCPRIM_400000_NS6detail17trampoline_kernelINS0_14default_configENS1_38merge_sort_block_merge_config_selectorIlNS0_10empty_typeEEEZZNS1_27merge_sort_block_merge_implIS3_PlPS5_mZN2at6native12_GLOBAL__N_124unique_dim_cuda_templateIjEESt5tupleIJNSA_6TensorESF_SF_EERKSF_lbbbEUlllE_EE10hipError_tT0_T1_T2_jT3_P12ihipStream_tbPNSt15iterator_traitsISL_E10value_typeEPNSR_ISM_E10value_typeEPSN_NS1_7vsmem_tEENKUlT_SL_SM_SN_E_clIS8_S8_S9_S9_EESK_S10_SL_SM_SN_EUlS10_E_NS1_11comp_targetILNS1_3genE5ELNS1_11target_archE942ELNS1_3gpuE9ELNS1_3repE0EEENS1_48merge_mergepath_partition_config_static_selectorELNS0_4arch9wavefront6targetE0EEEvSM_.uses_vcc, 0
	.set _ZN7rocprim17ROCPRIM_400000_NS6detail17trampoline_kernelINS0_14default_configENS1_38merge_sort_block_merge_config_selectorIlNS0_10empty_typeEEEZZNS1_27merge_sort_block_merge_implIS3_PlPS5_mZN2at6native12_GLOBAL__N_124unique_dim_cuda_templateIjEESt5tupleIJNSA_6TensorESF_SF_EERKSF_lbbbEUlllE_EE10hipError_tT0_T1_T2_jT3_P12ihipStream_tbPNSt15iterator_traitsISL_E10value_typeEPNSR_ISM_E10value_typeEPSN_NS1_7vsmem_tEENKUlT_SL_SM_SN_E_clIS8_S8_S9_S9_EESK_S10_SL_SM_SN_EUlS10_E_NS1_11comp_targetILNS1_3genE5ELNS1_11target_archE942ELNS1_3gpuE9ELNS1_3repE0EEENS1_48merge_mergepath_partition_config_static_selectorELNS0_4arch9wavefront6targetE0EEEvSM_.uses_flat_scratch, 0
	.set _ZN7rocprim17ROCPRIM_400000_NS6detail17trampoline_kernelINS0_14default_configENS1_38merge_sort_block_merge_config_selectorIlNS0_10empty_typeEEEZZNS1_27merge_sort_block_merge_implIS3_PlPS5_mZN2at6native12_GLOBAL__N_124unique_dim_cuda_templateIjEESt5tupleIJNSA_6TensorESF_SF_EERKSF_lbbbEUlllE_EE10hipError_tT0_T1_T2_jT3_P12ihipStream_tbPNSt15iterator_traitsISL_E10value_typeEPNSR_ISM_E10value_typeEPSN_NS1_7vsmem_tEENKUlT_SL_SM_SN_E_clIS8_S8_S9_S9_EESK_S10_SL_SM_SN_EUlS10_E_NS1_11comp_targetILNS1_3genE5ELNS1_11target_archE942ELNS1_3gpuE9ELNS1_3repE0EEENS1_48merge_mergepath_partition_config_static_selectorELNS0_4arch9wavefront6targetE0EEEvSM_.has_dyn_sized_stack, 0
	.set _ZN7rocprim17ROCPRIM_400000_NS6detail17trampoline_kernelINS0_14default_configENS1_38merge_sort_block_merge_config_selectorIlNS0_10empty_typeEEEZZNS1_27merge_sort_block_merge_implIS3_PlPS5_mZN2at6native12_GLOBAL__N_124unique_dim_cuda_templateIjEESt5tupleIJNSA_6TensorESF_SF_EERKSF_lbbbEUlllE_EE10hipError_tT0_T1_T2_jT3_P12ihipStream_tbPNSt15iterator_traitsISL_E10value_typeEPNSR_ISM_E10value_typeEPSN_NS1_7vsmem_tEENKUlT_SL_SM_SN_E_clIS8_S8_S9_S9_EESK_S10_SL_SM_SN_EUlS10_E_NS1_11comp_targetILNS1_3genE5ELNS1_11target_archE942ELNS1_3gpuE9ELNS1_3repE0EEENS1_48merge_mergepath_partition_config_static_selectorELNS0_4arch9wavefront6targetE0EEEvSM_.has_recursion, 0
	.set _ZN7rocprim17ROCPRIM_400000_NS6detail17trampoline_kernelINS0_14default_configENS1_38merge_sort_block_merge_config_selectorIlNS0_10empty_typeEEEZZNS1_27merge_sort_block_merge_implIS3_PlPS5_mZN2at6native12_GLOBAL__N_124unique_dim_cuda_templateIjEESt5tupleIJNSA_6TensorESF_SF_EERKSF_lbbbEUlllE_EE10hipError_tT0_T1_T2_jT3_P12ihipStream_tbPNSt15iterator_traitsISL_E10value_typeEPNSR_ISM_E10value_typeEPSN_NS1_7vsmem_tEENKUlT_SL_SM_SN_E_clIS8_S8_S9_S9_EESK_S10_SL_SM_SN_EUlS10_E_NS1_11comp_targetILNS1_3genE5ELNS1_11target_archE942ELNS1_3gpuE9ELNS1_3repE0EEENS1_48merge_mergepath_partition_config_static_selectorELNS0_4arch9wavefront6targetE0EEEvSM_.has_indirect_call, 0
	.section	.AMDGPU.csdata,"",@progbits
; Kernel info:
; codeLenInByte = 0
; TotalNumSgprs: 0
; NumVgprs: 0
; ScratchSize: 0
; MemoryBound: 0
; FloatMode: 240
; IeeeMode: 1
; LDSByteSize: 0 bytes/workgroup (compile time only)
; SGPRBlocks: 0
; VGPRBlocks: 0
; NumSGPRsForWavesPerEU: 1
; NumVGPRsForWavesPerEU: 1
; NamedBarCnt: 0
; Occupancy: 16
; WaveLimiterHint : 0
; COMPUTE_PGM_RSRC2:SCRATCH_EN: 0
; COMPUTE_PGM_RSRC2:USER_SGPR: 2
; COMPUTE_PGM_RSRC2:TRAP_HANDLER: 0
; COMPUTE_PGM_RSRC2:TGID_X_EN: 1
; COMPUTE_PGM_RSRC2:TGID_Y_EN: 0
; COMPUTE_PGM_RSRC2:TGID_Z_EN: 0
; COMPUTE_PGM_RSRC2:TIDIG_COMP_CNT: 0
	.section	.text._ZN7rocprim17ROCPRIM_400000_NS6detail17trampoline_kernelINS0_14default_configENS1_38merge_sort_block_merge_config_selectorIlNS0_10empty_typeEEEZZNS1_27merge_sort_block_merge_implIS3_PlPS5_mZN2at6native12_GLOBAL__N_124unique_dim_cuda_templateIjEESt5tupleIJNSA_6TensorESF_SF_EERKSF_lbbbEUlllE_EE10hipError_tT0_T1_T2_jT3_P12ihipStream_tbPNSt15iterator_traitsISL_E10value_typeEPNSR_ISM_E10value_typeEPSN_NS1_7vsmem_tEENKUlT_SL_SM_SN_E_clIS8_S8_S9_S9_EESK_S10_SL_SM_SN_EUlS10_E_NS1_11comp_targetILNS1_3genE4ELNS1_11target_archE910ELNS1_3gpuE8ELNS1_3repE0EEENS1_48merge_mergepath_partition_config_static_selectorELNS0_4arch9wavefront6targetE0EEEvSM_,"axG",@progbits,_ZN7rocprim17ROCPRIM_400000_NS6detail17trampoline_kernelINS0_14default_configENS1_38merge_sort_block_merge_config_selectorIlNS0_10empty_typeEEEZZNS1_27merge_sort_block_merge_implIS3_PlPS5_mZN2at6native12_GLOBAL__N_124unique_dim_cuda_templateIjEESt5tupleIJNSA_6TensorESF_SF_EERKSF_lbbbEUlllE_EE10hipError_tT0_T1_T2_jT3_P12ihipStream_tbPNSt15iterator_traitsISL_E10value_typeEPNSR_ISM_E10value_typeEPSN_NS1_7vsmem_tEENKUlT_SL_SM_SN_E_clIS8_S8_S9_S9_EESK_S10_SL_SM_SN_EUlS10_E_NS1_11comp_targetILNS1_3genE4ELNS1_11target_archE910ELNS1_3gpuE8ELNS1_3repE0EEENS1_48merge_mergepath_partition_config_static_selectorELNS0_4arch9wavefront6targetE0EEEvSM_,comdat
	.globl	_ZN7rocprim17ROCPRIM_400000_NS6detail17trampoline_kernelINS0_14default_configENS1_38merge_sort_block_merge_config_selectorIlNS0_10empty_typeEEEZZNS1_27merge_sort_block_merge_implIS3_PlPS5_mZN2at6native12_GLOBAL__N_124unique_dim_cuda_templateIjEESt5tupleIJNSA_6TensorESF_SF_EERKSF_lbbbEUlllE_EE10hipError_tT0_T1_T2_jT3_P12ihipStream_tbPNSt15iterator_traitsISL_E10value_typeEPNSR_ISM_E10value_typeEPSN_NS1_7vsmem_tEENKUlT_SL_SM_SN_E_clIS8_S8_S9_S9_EESK_S10_SL_SM_SN_EUlS10_E_NS1_11comp_targetILNS1_3genE4ELNS1_11target_archE910ELNS1_3gpuE8ELNS1_3repE0EEENS1_48merge_mergepath_partition_config_static_selectorELNS0_4arch9wavefront6targetE0EEEvSM_ ; -- Begin function _ZN7rocprim17ROCPRIM_400000_NS6detail17trampoline_kernelINS0_14default_configENS1_38merge_sort_block_merge_config_selectorIlNS0_10empty_typeEEEZZNS1_27merge_sort_block_merge_implIS3_PlPS5_mZN2at6native12_GLOBAL__N_124unique_dim_cuda_templateIjEESt5tupleIJNSA_6TensorESF_SF_EERKSF_lbbbEUlllE_EE10hipError_tT0_T1_T2_jT3_P12ihipStream_tbPNSt15iterator_traitsISL_E10value_typeEPNSR_ISM_E10value_typeEPSN_NS1_7vsmem_tEENKUlT_SL_SM_SN_E_clIS8_S8_S9_S9_EESK_S10_SL_SM_SN_EUlS10_E_NS1_11comp_targetILNS1_3genE4ELNS1_11target_archE910ELNS1_3gpuE8ELNS1_3repE0EEENS1_48merge_mergepath_partition_config_static_selectorELNS0_4arch9wavefront6targetE0EEEvSM_
	.p2align	8
	.type	_ZN7rocprim17ROCPRIM_400000_NS6detail17trampoline_kernelINS0_14default_configENS1_38merge_sort_block_merge_config_selectorIlNS0_10empty_typeEEEZZNS1_27merge_sort_block_merge_implIS3_PlPS5_mZN2at6native12_GLOBAL__N_124unique_dim_cuda_templateIjEESt5tupleIJNSA_6TensorESF_SF_EERKSF_lbbbEUlllE_EE10hipError_tT0_T1_T2_jT3_P12ihipStream_tbPNSt15iterator_traitsISL_E10value_typeEPNSR_ISM_E10value_typeEPSN_NS1_7vsmem_tEENKUlT_SL_SM_SN_E_clIS8_S8_S9_S9_EESK_S10_SL_SM_SN_EUlS10_E_NS1_11comp_targetILNS1_3genE4ELNS1_11target_archE910ELNS1_3gpuE8ELNS1_3repE0EEENS1_48merge_mergepath_partition_config_static_selectorELNS0_4arch9wavefront6targetE0EEEvSM_,@function
_ZN7rocprim17ROCPRIM_400000_NS6detail17trampoline_kernelINS0_14default_configENS1_38merge_sort_block_merge_config_selectorIlNS0_10empty_typeEEEZZNS1_27merge_sort_block_merge_implIS3_PlPS5_mZN2at6native12_GLOBAL__N_124unique_dim_cuda_templateIjEESt5tupleIJNSA_6TensorESF_SF_EERKSF_lbbbEUlllE_EE10hipError_tT0_T1_T2_jT3_P12ihipStream_tbPNSt15iterator_traitsISL_E10value_typeEPNSR_ISM_E10value_typeEPSN_NS1_7vsmem_tEENKUlT_SL_SM_SN_E_clIS8_S8_S9_S9_EESK_S10_SL_SM_SN_EUlS10_E_NS1_11comp_targetILNS1_3genE4ELNS1_11target_archE910ELNS1_3gpuE8ELNS1_3repE0EEENS1_48merge_mergepath_partition_config_static_selectorELNS0_4arch9wavefront6targetE0EEEvSM_: ; @_ZN7rocprim17ROCPRIM_400000_NS6detail17trampoline_kernelINS0_14default_configENS1_38merge_sort_block_merge_config_selectorIlNS0_10empty_typeEEEZZNS1_27merge_sort_block_merge_implIS3_PlPS5_mZN2at6native12_GLOBAL__N_124unique_dim_cuda_templateIjEESt5tupleIJNSA_6TensorESF_SF_EERKSF_lbbbEUlllE_EE10hipError_tT0_T1_T2_jT3_P12ihipStream_tbPNSt15iterator_traitsISL_E10value_typeEPNSR_ISM_E10value_typeEPSN_NS1_7vsmem_tEENKUlT_SL_SM_SN_E_clIS8_S8_S9_S9_EESK_S10_SL_SM_SN_EUlS10_E_NS1_11comp_targetILNS1_3genE4ELNS1_11target_archE910ELNS1_3gpuE8ELNS1_3repE0EEENS1_48merge_mergepath_partition_config_static_selectorELNS0_4arch9wavefront6targetE0EEEvSM_
; %bb.0:
	.section	.rodata,"a",@progbits
	.p2align	6, 0x0
	.amdhsa_kernel _ZN7rocprim17ROCPRIM_400000_NS6detail17trampoline_kernelINS0_14default_configENS1_38merge_sort_block_merge_config_selectorIlNS0_10empty_typeEEEZZNS1_27merge_sort_block_merge_implIS3_PlPS5_mZN2at6native12_GLOBAL__N_124unique_dim_cuda_templateIjEESt5tupleIJNSA_6TensorESF_SF_EERKSF_lbbbEUlllE_EE10hipError_tT0_T1_T2_jT3_P12ihipStream_tbPNSt15iterator_traitsISL_E10value_typeEPNSR_ISM_E10value_typeEPSN_NS1_7vsmem_tEENKUlT_SL_SM_SN_E_clIS8_S8_S9_S9_EESK_S10_SL_SM_SN_EUlS10_E_NS1_11comp_targetILNS1_3genE4ELNS1_11target_archE910ELNS1_3gpuE8ELNS1_3repE0EEENS1_48merge_mergepath_partition_config_static_selectorELNS0_4arch9wavefront6targetE0EEEvSM_
		.amdhsa_group_segment_fixed_size 0
		.amdhsa_private_segment_fixed_size 0
		.amdhsa_kernarg_size 56
		.amdhsa_user_sgpr_count 2
		.amdhsa_user_sgpr_dispatch_ptr 0
		.amdhsa_user_sgpr_queue_ptr 0
		.amdhsa_user_sgpr_kernarg_segment_ptr 1
		.amdhsa_user_sgpr_dispatch_id 0
		.amdhsa_user_sgpr_kernarg_preload_length 0
		.amdhsa_user_sgpr_kernarg_preload_offset 0
		.amdhsa_user_sgpr_private_segment_size 0
		.amdhsa_wavefront_size32 1
		.amdhsa_uses_dynamic_stack 0
		.amdhsa_enable_private_segment 0
		.amdhsa_system_sgpr_workgroup_id_x 1
		.amdhsa_system_sgpr_workgroup_id_y 0
		.amdhsa_system_sgpr_workgroup_id_z 0
		.amdhsa_system_sgpr_workgroup_info 0
		.amdhsa_system_vgpr_workitem_id 0
		.amdhsa_next_free_vgpr 1
		.amdhsa_next_free_sgpr 1
		.amdhsa_named_barrier_count 0
		.amdhsa_reserve_vcc 0
		.amdhsa_float_round_mode_32 0
		.amdhsa_float_round_mode_16_64 0
		.amdhsa_float_denorm_mode_32 3
		.amdhsa_float_denorm_mode_16_64 3
		.amdhsa_fp16_overflow 0
		.amdhsa_memory_ordered 1
		.amdhsa_forward_progress 1
		.amdhsa_inst_pref_size 0
		.amdhsa_round_robin_scheduling 0
		.amdhsa_exception_fp_ieee_invalid_op 0
		.amdhsa_exception_fp_denorm_src 0
		.amdhsa_exception_fp_ieee_div_zero 0
		.amdhsa_exception_fp_ieee_overflow 0
		.amdhsa_exception_fp_ieee_underflow 0
		.amdhsa_exception_fp_ieee_inexact 0
		.amdhsa_exception_int_div_zero 0
	.end_amdhsa_kernel
	.section	.text._ZN7rocprim17ROCPRIM_400000_NS6detail17trampoline_kernelINS0_14default_configENS1_38merge_sort_block_merge_config_selectorIlNS0_10empty_typeEEEZZNS1_27merge_sort_block_merge_implIS3_PlPS5_mZN2at6native12_GLOBAL__N_124unique_dim_cuda_templateIjEESt5tupleIJNSA_6TensorESF_SF_EERKSF_lbbbEUlllE_EE10hipError_tT0_T1_T2_jT3_P12ihipStream_tbPNSt15iterator_traitsISL_E10value_typeEPNSR_ISM_E10value_typeEPSN_NS1_7vsmem_tEENKUlT_SL_SM_SN_E_clIS8_S8_S9_S9_EESK_S10_SL_SM_SN_EUlS10_E_NS1_11comp_targetILNS1_3genE4ELNS1_11target_archE910ELNS1_3gpuE8ELNS1_3repE0EEENS1_48merge_mergepath_partition_config_static_selectorELNS0_4arch9wavefront6targetE0EEEvSM_,"axG",@progbits,_ZN7rocprim17ROCPRIM_400000_NS6detail17trampoline_kernelINS0_14default_configENS1_38merge_sort_block_merge_config_selectorIlNS0_10empty_typeEEEZZNS1_27merge_sort_block_merge_implIS3_PlPS5_mZN2at6native12_GLOBAL__N_124unique_dim_cuda_templateIjEESt5tupleIJNSA_6TensorESF_SF_EERKSF_lbbbEUlllE_EE10hipError_tT0_T1_T2_jT3_P12ihipStream_tbPNSt15iterator_traitsISL_E10value_typeEPNSR_ISM_E10value_typeEPSN_NS1_7vsmem_tEENKUlT_SL_SM_SN_E_clIS8_S8_S9_S9_EESK_S10_SL_SM_SN_EUlS10_E_NS1_11comp_targetILNS1_3genE4ELNS1_11target_archE910ELNS1_3gpuE8ELNS1_3repE0EEENS1_48merge_mergepath_partition_config_static_selectorELNS0_4arch9wavefront6targetE0EEEvSM_,comdat
.Lfunc_end1495:
	.size	_ZN7rocprim17ROCPRIM_400000_NS6detail17trampoline_kernelINS0_14default_configENS1_38merge_sort_block_merge_config_selectorIlNS0_10empty_typeEEEZZNS1_27merge_sort_block_merge_implIS3_PlPS5_mZN2at6native12_GLOBAL__N_124unique_dim_cuda_templateIjEESt5tupleIJNSA_6TensorESF_SF_EERKSF_lbbbEUlllE_EE10hipError_tT0_T1_T2_jT3_P12ihipStream_tbPNSt15iterator_traitsISL_E10value_typeEPNSR_ISM_E10value_typeEPSN_NS1_7vsmem_tEENKUlT_SL_SM_SN_E_clIS8_S8_S9_S9_EESK_S10_SL_SM_SN_EUlS10_E_NS1_11comp_targetILNS1_3genE4ELNS1_11target_archE910ELNS1_3gpuE8ELNS1_3repE0EEENS1_48merge_mergepath_partition_config_static_selectorELNS0_4arch9wavefront6targetE0EEEvSM_, .Lfunc_end1495-_ZN7rocprim17ROCPRIM_400000_NS6detail17trampoline_kernelINS0_14default_configENS1_38merge_sort_block_merge_config_selectorIlNS0_10empty_typeEEEZZNS1_27merge_sort_block_merge_implIS3_PlPS5_mZN2at6native12_GLOBAL__N_124unique_dim_cuda_templateIjEESt5tupleIJNSA_6TensorESF_SF_EERKSF_lbbbEUlllE_EE10hipError_tT0_T1_T2_jT3_P12ihipStream_tbPNSt15iterator_traitsISL_E10value_typeEPNSR_ISM_E10value_typeEPSN_NS1_7vsmem_tEENKUlT_SL_SM_SN_E_clIS8_S8_S9_S9_EESK_S10_SL_SM_SN_EUlS10_E_NS1_11comp_targetILNS1_3genE4ELNS1_11target_archE910ELNS1_3gpuE8ELNS1_3repE0EEENS1_48merge_mergepath_partition_config_static_selectorELNS0_4arch9wavefront6targetE0EEEvSM_
                                        ; -- End function
	.set _ZN7rocprim17ROCPRIM_400000_NS6detail17trampoline_kernelINS0_14default_configENS1_38merge_sort_block_merge_config_selectorIlNS0_10empty_typeEEEZZNS1_27merge_sort_block_merge_implIS3_PlPS5_mZN2at6native12_GLOBAL__N_124unique_dim_cuda_templateIjEESt5tupleIJNSA_6TensorESF_SF_EERKSF_lbbbEUlllE_EE10hipError_tT0_T1_T2_jT3_P12ihipStream_tbPNSt15iterator_traitsISL_E10value_typeEPNSR_ISM_E10value_typeEPSN_NS1_7vsmem_tEENKUlT_SL_SM_SN_E_clIS8_S8_S9_S9_EESK_S10_SL_SM_SN_EUlS10_E_NS1_11comp_targetILNS1_3genE4ELNS1_11target_archE910ELNS1_3gpuE8ELNS1_3repE0EEENS1_48merge_mergepath_partition_config_static_selectorELNS0_4arch9wavefront6targetE0EEEvSM_.num_vgpr, 0
	.set _ZN7rocprim17ROCPRIM_400000_NS6detail17trampoline_kernelINS0_14default_configENS1_38merge_sort_block_merge_config_selectorIlNS0_10empty_typeEEEZZNS1_27merge_sort_block_merge_implIS3_PlPS5_mZN2at6native12_GLOBAL__N_124unique_dim_cuda_templateIjEESt5tupleIJNSA_6TensorESF_SF_EERKSF_lbbbEUlllE_EE10hipError_tT0_T1_T2_jT3_P12ihipStream_tbPNSt15iterator_traitsISL_E10value_typeEPNSR_ISM_E10value_typeEPSN_NS1_7vsmem_tEENKUlT_SL_SM_SN_E_clIS8_S8_S9_S9_EESK_S10_SL_SM_SN_EUlS10_E_NS1_11comp_targetILNS1_3genE4ELNS1_11target_archE910ELNS1_3gpuE8ELNS1_3repE0EEENS1_48merge_mergepath_partition_config_static_selectorELNS0_4arch9wavefront6targetE0EEEvSM_.num_agpr, 0
	.set _ZN7rocprim17ROCPRIM_400000_NS6detail17trampoline_kernelINS0_14default_configENS1_38merge_sort_block_merge_config_selectorIlNS0_10empty_typeEEEZZNS1_27merge_sort_block_merge_implIS3_PlPS5_mZN2at6native12_GLOBAL__N_124unique_dim_cuda_templateIjEESt5tupleIJNSA_6TensorESF_SF_EERKSF_lbbbEUlllE_EE10hipError_tT0_T1_T2_jT3_P12ihipStream_tbPNSt15iterator_traitsISL_E10value_typeEPNSR_ISM_E10value_typeEPSN_NS1_7vsmem_tEENKUlT_SL_SM_SN_E_clIS8_S8_S9_S9_EESK_S10_SL_SM_SN_EUlS10_E_NS1_11comp_targetILNS1_3genE4ELNS1_11target_archE910ELNS1_3gpuE8ELNS1_3repE0EEENS1_48merge_mergepath_partition_config_static_selectorELNS0_4arch9wavefront6targetE0EEEvSM_.numbered_sgpr, 0
	.set _ZN7rocprim17ROCPRIM_400000_NS6detail17trampoline_kernelINS0_14default_configENS1_38merge_sort_block_merge_config_selectorIlNS0_10empty_typeEEEZZNS1_27merge_sort_block_merge_implIS3_PlPS5_mZN2at6native12_GLOBAL__N_124unique_dim_cuda_templateIjEESt5tupleIJNSA_6TensorESF_SF_EERKSF_lbbbEUlllE_EE10hipError_tT0_T1_T2_jT3_P12ihipStream_tbPNSt15iterator_traitsISL_E10value_typeEPNSR_ISM_E10value_typeEPSN_NS1_7vsmem_tEENKUlT_SL_SM_SN_E_clIS8_S8_S9_S9_EESK_S10_SL_SM_SN_EUlS10_E_NS1_11comp_targetILNS1_3genE4ELNS1_11target_archE910ELNS1_3gpuE8ELNS1_3repE0EEENS1_48merge_mergepath_partition_config_static_selectorELNS0_4arch9wavefront6targetE0EEEvSM_.num_named_barrier, 0
	.set _ZN7rocprim17ROCPRIM_400000_NS6detail17trampoline_kernelINS0_14default_configENS1_38merge_sort_block_merge_config_selectorIlNS0_10empty_typeEEEZZNS1_27merge_sort_block_merge_implIS3_PlPS5_mZN2at6native12_GLOBAL__N_124unique_dim_cuda_templateIjEESt5tupleIJNSA_6TensorESF_SF_EERKSF_lbbbEUlllE_EE10hipError_tT0_T1_T2_jT3_P12ihipStream_tbPNSt15iterator_traitsISL_E10value_typeEPNSR_ISM_E10value_typeEPSN_NS1_7vsmem_tEENKUlT_SL_SM_SN_E_clIS8_S8_S9_S9_EESK_S10_SL_SM_SN_EUlS10_E_NS1_11comp_targetILNS1_3genE4ELNS1_11target_archE910ELNS1_3gpuE8ELNS1_3repE0EEENS1_48merge_mergepath_partition_config_static_selectorELNS0_4arch9wavefront6targetE0EEEvSM_.private_seg_size, 0
	.set _ZN7rocprim17ROCPRIM_400000_NS6detail17trampoline_kernelINS0_14default_configENS1_38merge_sort_block_merge_config_selectorIlNS0_10empty_typeEEEZZNS1_27merge_sort_block_merge_implIS3_PlPS5_mZN2at6native12_GLOBAL__N_124unique_dim_cuda_templateIjEESt5tupleIJNSA_6TensorESF_SF_EERKSF_lbbbEUlllE_EE10hipError_tT0_T1_T2_jT3_P12ihipStream_tbPNSt15iterator_traitsISL_E10value_typeEPNSR_ISM_E10value_typeEPSN_NS1_7vsmem_tEENKUlT_SL_SM_SN_E_clIS8_S8_S9_S9_EESK_S10_SL_SM_SN_EUlS10_E_NS1_11comp_targetILNS1_3genE4ELNS1_11target_archE910ELNS1_3gpuE8ELNS1_3repE0EEENS1_48merge_mergepath_partition_config_static_selectorELNS0_4arch9wavefront6targetE0EEEvSM_.uses_vcc, 0
	.set _ZN7rocprim17ROCPRIM_400000_NS6detail17trampoline_kernelINS0_14default_configENS1_38merge_sort_block_merge_config_selectorIlNS0_10empty_typeEEEZZNS1_27merge_sort_block_merge_implIS3_PlPS5_mZN2at6native12_GLOBAL__N_124unique_dim_cuda_templateIjEESt5tupleIJNSA_6TensorESF_SF_EERKSF_lbbbEUlllE_EE10hipError_tT0_T1_T2_jT3_P12ihipStream_tbPNSt15iterator_traitsISL_E10value_typeEPNSR_ISM_E10value_typeEPSN_NS1_7vsmem_tEENKUlT_SL_SM_SN_E_clIS8_S8_S9_S9_EESK_S10_SL_SM_SN_EUlS10_E_NS1_11comp_targetILNS1_3genE4ELNS1_11target_archE910ELNS1_3gpuE8ELNS1_3repE0EEENS1_48merge_mergepath_partition_config_static_selectorELNS0_4arch9wavefront6targetE0EEEvSM_.uses_flat_scratch, 0
	.set _ZN7rocprim17ROCPRIM_400000_NS6detail17trampoline_kernelINS0_14default_configENS1_38merge_sort_block_merge_config_selectorIlNS0_10empty_typeEEEZZNS1_27merge_sort_block_merge_implIS3_PlPS5_mZN2at6native12_GLOBAL__N_124unique_dim_cuda_templateIjEESt5tupleIJNSA_6TensorESF_SF_EERKSF_lbbbEUlllE_EE10hipError_tT0_T1_T2_jT3_P12ihipStream_tbPNSt15iterator_traitsISL_E10value_typeEPNSR_ISM_E10value_typeEPSN_NS1_7vsmem_tEENKUlT_SL_SM_SN_E_clIS8_S8_S9_S9_EESK_S10_SL_SM_SN_EUlS10_E_NS1_11comp_targetILNS1_3genE4ELNS1_11target_archE910ELNS1_3gpuE8ELNS1_3repE0EEENS1_48merge_mergepath_partition_config_static_selectorELNS0_4arch9wavefront6targetE0EEEvSM_.has_dyn_sized_stack, 0
	.set _ZN7rocprim17ROCPRIM_400000_NS6detail17trampoline_kernelINS0_14default_configENS1_38merge_sort_block_merge_config_selectorIlNS0_10empty_typeEEEZZNS1_27merge_sort_block_merge_implIS3_PlPS5_mZN2at6native12_GLOBAL__N_124unique_dim_cuda_templateIjEESt5tupleIJNSA_6TensorESF_SF_EERKSF_lbbbEUlllE_EE10hipError_tT0_T1_T2_jT3_P12ihipStream_tbPNSt15iterator_traitsISL_E10value_typeEPNSR_ISM_E10value_typeEPSN_NS1_7vsmem_tEENKUlT_SL_SM_SN_E_clIS8_S8_S9_S9_EESK_S10_SL_SM_SN_EUlS10_E_NS1_11comp_targetILNS1_3genE4ELNS1_11target_archE910ELNS1_3gpuE8ELNS1_3repE0EEENS1_48merge_mergepath_partition_config_static_selectorELNS0_4arch9wavefront6targetE0EEEvSM_.has_recursion, 0
	.set _ZN7rocprim17ROCPRIM_400000_NS6detail17trampoline_kernelINS0_14default_configENS1_38merge_sort_block_merge_config_selectorIlNS0_10empty_typeEEEZZNS1_27merge_sort_block_merge_implIS3_PlPS5_mZN2at6native12_GLOBAL__N_124unique_dim_cuda_templateIjEESt5tupleIJNSA_6TensorESF_SF_EERKSF_lbbbEUlllE_EE10hipError_tT0_T1_T2_jT3_P12ihipStream_tbPNSt15iterator_traitsISL_E10value_typeEPNSR_ISM_E10value_typeEPSN_NS1_7vsmem_tEENKUlT_SL_SM_SN_E_clIS8_S8_S9_S9_EESK_S10_SL_SM_SN_EUlS10_E_NS1_11comp_targetILNS1_3genE4ELNS1_11target_archE910ELNS1_3gpuE8ELNS1_3repE0EEENS1_48merge_mergepath_partition_config_static_selectorELNS0_4arch9wavefront6targetE0EEEvSM_.has_indirect_call, 0
	.section	.AMDGPU.csdata,"",@progbits
; Kernel info:
; codeLenInByte = 0
; TotalNumSgprs: 0
; NumVgprs: 0
; ScratchSize: 0
; MemoryBound: 0
; FloatMode: 240
; IeeeMode: 1
; LDSByteSize: 0 bytes/workgroup (compile time only)
; SGPRBlocks: 0
; VGPRBlocks: 0
; NumSGPRsForWavesPerEU: 1
; NumVGPRsForWavesPerEU: 1
; NamedBarCnt: 0
; Occupancy: 16
; WaveLimiterHint : 0
; COMPUTE_PGM_RSRC2:SCRATCH_EN: 0
; COMPUTE_PGM_RSRC2:USER_SGPR: 2
; COMPUTE_PGM_RSRC2:TRAP_HANDLER: 0
; COMPUTE_PGM_RSRC2:TGID_X_EN: 1
; COMPUTE_PGM_RSRC2:TGID_Y_EN: 0
; COMPUTE_PGM_RSRC2:TGID_Z_EN: 0
; COMPUTE_PGM_RSRC2:TIDIG_COMP_CNT: 0
	.section	.text._ZN7rocprim17ROCPRIM_400000_NS6detail17trampoline_kernelINS0_14default_configENS1_38merge_sort_block_merge_config_selectorIlNS0_10empty_typeEEEZZNS1_27merge_sort_block_merge_implIS3_PlPS5_mZN2at6native12_GLOBAL__N_124unique_dim_cuda_templateIjEESt5tupleIJNSA_6TensorESF_SF_EERKSF_lbbbEUlllE_EE10hipError_tT0_T1_T2_jT3_P12ihipStream_tbPNSt15iterator_traitsISL_E10value_typeEPNSR_ISM_E10value_typeEPSN_NS1_7vsmem_tEENKUlT_SL_SM_SN_E_clIS8_S8_S9_S9_EESK_S10_SL_SM_SN_EUlS10_E_NS1_11comp_targetILNS1_3genE3ELNS1_11target_archE908ELNS1_3gpuE7ELNS1_3repE0EEENS1_48merge_mergepath_partition_config_static_selectorELNS0_4arch9wavefront6targetE0EEEvSM_,"axG",@progbits,_ZN7rocprim17ROCPRIM_400000_NS6detail17trampoline_kernelINS0_14default_configENS1_38merge_sort_block_merge_config_selectorIlNS0_10empty_typeEEEZZNS1_27merge_sort_block_merge_implIS3_PlPS5_mZN2at6native12_GLOBAL__N_124unique_dim_cuda_templateIjEESt5tupleIJNSA_6TensorESF_SF_EERKSF_lbbbEUlllE_EE10hipError_tT0_T1_T2_jT3_P12ihipStream_tbPNSt15iterator_traitsISL_E10value_typeEPNSR_ISM_E10value_typeEPSN_NS1_7vsmem_tEENKUlT_SL_SM_SN_E_clIS8_S8_S9_S9_EESK_S10_SL_SM_SN_EUlS10_E_NS1_11comp_targetILNS1_3genE3ELNS1_11target_archE908ELNS1_3gpuE7ELNS1_3repE0EEENS1_48merge_mergepath_partition_config_static_selectorELNS0_4arch9wavefront6targetE0EEEvSM_,comdat
	.globl	_ZN7rocprim17ROCPRIM_400000_NS6detail17trampoline_kernelINS0_14default_configENS1_38merge_sort_block_merge_config_selectorIlNS0_10empty_typeEEEZZNS1_27merge_sort_block_merge_implIS3_PlPS5_mZN2at6native12_GLOBAL__N_124unique_dim_cuda_templateIjEESt5tupleIJNSA_6TensorESF_SF_EERKSF_lbbbEUlllE_EE10hipError_tT0_T1_T2_jT3_P12ihipStream_tbPNSt15iterator_traitsISL_E10value_typeEPNSR_ISM_E10value_typeEPSN_NS1_7vsmem_tEENKUlT_SL_SM_SN_E_clIS8_S8_S9_S9_EESK_S10_SL_SM_SN_EUlS10_E_NS1_11comp_targetILNS1_3genE3ELNS1_11target_archE908ELNS1_3gpuE7ELNS1_3repE0EEENS1_48merge_mergepath_partition_config_static_selectorELNS0_4arch9wavefront6targetE0EEEvSM_ ; -- Begin function _ZN7rocprim17ROCPRIM_400000_NS6detail17trampoline_kernelINS0_14default_configENS1_38merge_sort_block_merge_config_selectorIlNS0_10empty_typeEEEZZNS1_27merge_sort_block_merge_implIS3_PlPS5_mZN2at6native12_GLOBAL__N_124unique_dim_cuda_templateIjEESt5tupleIJNSA_6TensorESF_SF_EERKSF_lbbbEUlllE_EE10hipError_tT0_T1_T2_jT3_P12ihipStream_tbPNSt15iterator_traitsISL_E10value_typeEPNSR_ISM_E10value_typeEPSN_NS1_7vsmem_tEENKUlT_SL_SM_SN_E_clIS8_S8_S9_S9_EESK_S10_SL_SM_SN_EUlS10_E_NS1_11comp_targetILNS1_3genE3ELNS1_11target_archE908ELNS1_3gpuE7ELNS1_3repE0EEENS1_48merge_mergepath_partition_config_static_selectorELNS0_4arch9wavefront6targetE0EEEvSM_
	.p2align	8
	.type	_ZN7rocprim17ROCPRIM_400000_NS6detail17trampoline_kernelINS0_14default_configENS1_38merge_sort_block_merge_config_selectorIlNS0_10empty_typeEEEZZNS1_27merge_sort_block_merge_implIS3_PlPS5_mZN2at6native12_GLOBAL__N_124unique_dim_cuda_templateIjEESt5tupleIJNSA_6TensorESF_SF_EERKSF_lbbbEUlllE_EE10hipError_tT0_T1_T2_jT3_P12ihipStream_tbPNSt15iterator_traitsISL_E10value_typeEPNSR_ISM_E10value_typeEPSN_NS1_7vsmem_tEENKUlT_SL_SM_SN_E_clIS8_S8_S9_S9_EESK_S10_SL_SM_SN_EUlS10_E_NS1_11comp_targetILNS1_3genE3ELNS1_11target_archE908ELNS1_3gpuE7ELNS1_3repE0EEENS1_48merge_mergepath_partition_config_static_selectorELNS0_4arch9wavefront6targetE0EEEvSM_,@function
_ZN7rocprim17ROCPRIM_400000_NS6detail17trampoline_kernelINS0_14default_configENS1_38merge_sort_block_merge_config_selectorIlNS0_10empty_typeEEEZZNS1_27merge_sort_block_merge_implIS3_PlPS5_mZN2at6native12_GLOBAL__N_124unique_dim_cuda_templateIjEESt5tupleIJNSA_6TensorESF_SF_EERKSF_lbbbEUlllE_EE10hipError_tT0_T1_T2_jT3_P12ihipStream_tbPNSt15iterator_traitsISL_E10value_typeEPNSR_ISM_E10value_typeEPSN_NS1_7vsmem_tEENKUlT_SL_SM_SN_E_clIS8_S8_S9_S9_EESK_S10_SL_SM_SN_EUlS10_E_NS1_11comp_targetILNS1_3genE3ELNS1_11target_archE908ELNS1_3gpuE7ELNS1_3repE0EEENS1_48merge_mergepath_partition_config_static_selectorELNS0_4arch9wavefront6targetE0EEEvSM_: ; @_ZN7rocprim17ROCPRIM_400000_NS6detail17trampoline_kernelINS0_14default_configENS1_38merge_sort_block_merge_config_selectorIlNS0_10empty_typeEEEZZNS1_27merge_sort_block_merge_implIS3_PlPS5_mZN2at6native12_GLOBAL__N_124unique_dim_cuda_templateIjEESt5tupleIJNSA_6TensorESF_SF_EERKSF_lbbbEUlllE_EE10hipError_tT0_T1_T2_jT3_P12ihipStream_tbPNSt15iterator_traitsISL_E10value_typeEPNSR_ISM_E10value_typeEPSN_NS1_7vsmem_tEENKUlT_SL_SM_SN_E_clIS8_S8_S9_S9_EESK_S10_SL_SM_SN_EUlS10_E_NS1_11comp_targetILNS1_3genE3ELNS1_11target_archE908ELNS1_3gpuE7ELNS1_3repE0EEENS1_48merge_mergepath_partition_config_static_selectorELNS0_4arch9wavefront6targetE0EEEvSM_
; %bb.0:
	.section	.rodata,"a",@progbits
	.p2align	6, 0x0
	.amdhsa_kernel _ZN7rocprim17ROCPRIM_400000_NS6detail17trampoline_kernelINS0_14default_configENS1_38merge_sort_block_merge_config_selectorIlNS0_10empty_typeEEEZZNS1_27merge_sort_block_merge_implIS3_PlPS5_mZN2at6native12_GLOBAL__N_124unique_dim_cuda_templateIjEESt5tupleIJNSA_6TensorESF_SF_EERKSF_lbbbEUlllE_EE10hipError_tT0_T1_T2_jT3_P12ihipStream_tbPNSt15iterator_traitsISL_E10value_typeEPNSR_ISM_E10value_typeEPSN_NS1_7vsmem_tEENKUlT_SL_SM_SN_E_clIS8_S8_S9_S9_EESK_S10_SL_SM_SN_EUlS10_E_NS1_11comp_targetILNS1_3genE3ELNS1_11target_archE908ELNS1_3gpuE7ELNS1_3repE0EEENS1_48merge_mergepath_partition_config_static_selectorELNS0_4arch9wavefront6targetE0EEEvSM_
		.amdhsa_group_segment_fixed_size 0
		.amdhsa_private_segment_fixed_size 0
		.amdhsa_kernarg_size 56
		.amdhsa_user_sgpr_count 2
		.amdhsa_user_sgpr_dispatch_ptr 0
		.amdhsa_user_sgpr_queue_ptr 0
		.amdhsa_user_sgpr_kernarg_segment_ptr 1
		.amdhsa_user_sgpr_dispatch_id 0
		.amdhsa_user_sgpr_kernarg_preload_length 0
		.amdhsa_user_sgpr_kernarg_preload_offset 0
		.amdhsa_user_sgpr_private_segment_size 0
		.amdhsa_wavefront_size32 1
		.amdhsa_uses_dynamic_stack 0
		.amdhsa_enable_private_segment 0
		.amdhsa_system_sgpr_workgroup_id_x 1
		.amdhsa_system_sgpr_workgroup_id_y 0
		.amdhsa_system_sgpr_workgroup_id_z 0
		.amdhsa_system_sgpr_workgroup_info 0
		.amdhsa_system_vgpr_workitem_id 0
		.amdhsa_next_free_vgpr 1
		.amdhsa_next_free_sgpr 1
		.amdhsa_named_barrier_count 0
		.amdhsa_reserve_vcc 0
		.amdhsa_float_round_mode_32 0
		.amdhsa_float_round_mode_16_64 0
		.amdhsa_float_denorm_mode_32 3
		.amdhsa_float_denorm_mode_16_64 3
		.amdhsa_fp16_overflow 0
		.amdhsa_memory_ordered 1
		.amdhsa_forward_progress 1
		.amdhsa_inst_pref_size 0
		.amdhsa_round_robin_scheduling 0
		.amdhsa_exception_fp_ieee_invalid_op 0
		.amdhsa_exception_fp_denorm_src 0
		.amdhsa_exception_fp_ieee_div_zero 0
		.amdhsa_exception_fp_ieee_overflow 0
		.amdhsa_exception_fp_ieee_underflow 0
		.amdhsa_exception_fp_ieee_inexact 0
		.amdhsa_exception_int_div_zero 0
	.end_amdhsa_kernel
	.section	.text._ZN7rocprim17ROCPRIM_400000_NS6detail17trampoline_kernelINS0_14default_configENS1_38merge_sort_block_merge_config_selectorIlNS0_10empty_typeEEEZZNS1_27merge_sort_block_merge_implIS3_PlPS5_mZN2at6native12_GLOBAL__N_124unique_dim_cuda_templateIjEESt5tupleIJNSA_6TensorESF_SF_EERKSF_lbbbEUlllE_EE10hipError_tT0_T1_T2_jT3_P12ihipStream_tbPNSt15iterator_traitsISL_E10value_typeEPNSR_ISM_E10value_typeEPSN_NS1_7vsmem_tEENKUlT_SL_SM_SN_E_clIS8_S8_S9_S9_EESK_S10_SL_SM_SN_EUlS10_E_NS1_11comp_targetILNS1_3genE3ELNS1_11target_archE908ELNS1_3gpuE7ELNS1_3repE0EEENS1_48merge_mergepath_partition_config_static_selectorELNS0_4arch9wavefront6targetE0EEEvSM_,"axG",@progbits,_ZN7rocprim17ROCPRIM_400000_NS6detail17trampoline_kernelINS0_14default_configENS1_38merge_sort_block_merge_config_selectorIlNS0_10empty_typeEEEZZNS1_27merge_sort_block_merge_implIS3_PlPS5_mZN2at6native12_GLOBAL__N_124unique_dim_cuda_templateIjEESt5tupleIJNSA_6TensorESF_SF_EERKSF_lbbbEUlllE_EE10hipError_tT0_T1_T2_jT3_P12ihipStream_tbPNSt15iterator_traitsISL_E10value_typeEPNSR_ISM_E10value_typeEPSN_NS1_7vsmem_tEENKUlT_SL_SM_SN_E_clIS8_S8_S9_S9_EESK_S10_SL_SM_SN_EUlS10_E_NS1_11comp_targetILNS1_3genE3ELNS1_11target_archE908ELNS1_3gpuE7ELNS1_3repE0EEENS1_48merge_mergepath_partition_config_static_selectorELNS0_4arch9wavefront6targetE0EEEvSM_,comdat
.Lfunc_end1496:
	.size	_ZN7rocprim17ROCPRIM_400000_NS6detail17trampoline_kernelINS0_14default_configENS1_38merge_sort_block_merge_config_selectorIlNS0_10empty_typeEEEZZNS1_27merge_sort_block_merge_implIS3_PlPS5_mZN2at6native12_GLOBAL__N_124unique_dim_cuda_templateIjEESt5tupleIJNSA_6TensorESF_SF_EERKSF_lbbbEUlllE_EE10hipError_tT0_T1_T2_jT3_P12ihipStream_tbPNSt15iterator_traitsISL_E10value_typeEPNSR_ISM_E10value_typeEPSN_NS1_7vsmem_tEENKUlT_SL_SM_SN_E_clIS8_S8_S9_S9_EESK_S10_SL_SM_SN_EUlS10_E_NS1_11comp_targetILNS1_3genE3ELNS1_11target_archE908ELNS1_3gpuE7ELNS1_3repE0EEENS1_48merge_mergepath_partition_config_static_selectorELNS0_4arch9wavefront6targetE0EEEvSM_, .Lfunc_end1496-_ZN7rocprim17ROCPRIM_400000_NS6detail17trampoline_kernelINS0_14default_configENS1_38merge_sort_block_merge_config_selectorIlNS0_10empty_typeEEEZZNS1_27merge_sort_block_merge_implIS3_PlPS5_mZN2at6native12_GLOBAL__N_124unique_dim_cuda_templateIjEESt5tupleIJNSA_6TensorESF_SF_EERKSF_lbbbEUlllE_EE10hipError_tT0_T1_T2_jT3_P12ihipStream_tbPNSt15iterator_traitsISL_E10value_typeEPNSR_ISM_E10value_typeEPSN_NS1_7vsmem_tEENKUlT_SL_SM_SN_E_clIS8_S8_S9_S9_EESK_S10_SL_SM_SN_EUlS10_E_NS1_11comp_targetILNS1_3genE3ELNS1_11target_archE908ELNS1_3gpuE7ELNS1_3repE0EEENS1_48merge_mergepath_partition_config_static_selectorELNS0_4arch9wavefront6targetE0EEEvSM_
                                        ; -- End function
	.set _ZN7rocprim17ROCPRIM_400000_NS6detail17trampoline_kernelINS0_14default_configENS1_38merge_sort_block_merge_config_selectorIlNS0_10empty_typeEEEZZNS1_27merge_sort_block_merge_implIS3_PlPS5_mZN2at6native12_GLOBAL__N_124unique_dim_cuda_templateIjEESt5tupleIJNSA_6TensorESF_SF_EERKSF_lbbbEUlllE_EE10hipError_tT0_T1_T2_jT3_P12ihipStream_tbPNSt15iterator_traitsISL_E10value_typeEPNSR_ISM_E10value_typeEPSN_NS1_7vsmem_tEENKUlT_SL_SM_SN_E_clIS8_S8_S9_S9_EESK_S10_SL_SM_SN_EUlS10_E_NS1_11comp_targetILNS1_3genE3ELNS1_11target_archE908ELNS1_3gpuE7ELNS1_3repE0EEENS1_48merge_mergepath_partition_config_static_selectorELNS0_4arch9wavefront6targetE0EEEvSM_.num_vgpr, 0
	.set _ZN7rocprim17ROCPRIM_400000_NS6detail17trampoline_kernelINS0_14default_configENS1_38merge_sort_block_merge_config_selectorIlNS0_10empty_typeEEEZZNS1_27merge_sort_block_merge_implIS3_PlPS5_mZN2at6native12_GLOBAL__N_124unique_dim_cuda_templateIjEESt5tupleIJNSA_6TensorESF_SF_EERKSF_lbbbEUlllE_EE10hipError_tT0_T1_T2_jT3_P12ihipStream_tbPNSt15iterator_traitsISL_E10value_typeEPNSR_ISM_E10value_typeEPSN_NS1_7vsmem_tEENKUlT_SL_SM_SN_E_clIS8_S8_S9_S9_EESK_S10_SL_SM_SN_EUlS10_E_NS1_11comp_targetILNS1_3genE3ELNS1_11target_archE908ELNS1_3gpuE7ELNS1_3repE0EEENS1_48merge_mergepath_partition_config_static_selectorELNS0_4arch9wavefront6targetE0EEEvSM_.num_agpr, 0
	.set _ZN7rocprim17ROCPRIM_400000_NS6detail17trampoline_kernelINS0_14default_configENS1_38merge_sort_block_merge_config_selectorIlNS0_10empty_typeEEEZZNS1_27merge_sort_block_merge_implIS3_PlPS5_mZN2at6native12_GLOBAL__N_124unique_dim_cuda_templateIjEESt5tupleIJNSA_6TensorESF_SF_EERKSF_lbbbEUlllE_EE10hipError_tT0_T1_T2_jT3_P12ihipStream_tbPNSt15iterator_traitsISL_E10value_typeEPNSR_ISM_E10value_typeEPSN_NS1_7vsmem_tEENKUlT_SL_SM_SN_E_clIS8_S8_S9_S9_EESK_S10_SL_SM_SN_EUlS10_E_NS1_11comp_targetILNS1_3genE3ELNS1_11target_archE908ELNS1_3gpuE7ELNS1_3repE0EEENS1_48merge_mergepath_partition_config_static_selectorELNS0_4arch9wavefront6targetE0EEEvSM_.numbered_sgpr, 0
	.set _ZN7rocprim17ROCPRIM_400000_NS6detail17trampoline_kernelINS0_14default_configENS1_38merge_sort_block_merge_config_selectorIlNS0_10empty_typeEEEZZNS1_27merge_sort_block_merge_implIS3_PlPS5_mZN2at6native12_GLOBAL__N_124unique_dim_cuda_templateIjEESt5tupleIJNSA_6TensorESF_SF_EERKSF_lbbbEUlllE_EE10hipError_tT0_T1_T2_jT3_P12ihipStream_tbPNSt15iterator_traitsISL_E10value_typeEPNSR_ISM_E10value_typeEPSN_NS1_7vsmem_tEENKUlT_SL_SM_SN_E_clIS8_S8_S9_S9_EESK_S10_SL_SM_SN_EUlS10_E_NS1_11comp_targetILNS1_3genE3ELNS1_11target_archE908ELNS1_3gpuE7ELNS1_3repE0EEENS1_48merge_mergepath_partition_config_static_selectorELNS0_4arch9wavefront6targetE0EEEvSM_.num_named_barrier, 0
	.set _ZN7rocprim17ROCPRIM_400000_NS6detail17trampoline_kernelINS0_14default_configENS1_38merge_sort_block_merge_config_selectorIlNS0_10empty_typeEEEZZNS1_27merge_sort_block_merge_implIS3_PlPS5_mZN2at6native12_GLOBAL__N_124unique_dim_cuda_templateIjEESt5tupleIJNSA_6TensorESF_SF_EERKSF_lbbbEUlllE_EE10hipError_tT0_T1_T2_jT3_P12ihipStream_tbPNSt15iterator_traitsISL_E10value_typeEPNSR_ISM_E10value_typeEPSN_NS1_7vsmem_tEENKUlT_SL_SM_SN_E_clIS8_S8_S9_S9_EESK_S10_SL_SM_SN_EUlS10_E_NS1_11comp_targetILNS1_3genE3ELNS1_11target_archE908ELNS1_3gpuE7ELNS1_3repE0EEENS1_48merge_mergepath_partition_config_static_selectorELNS0_4arch9wavefront6targetE0EEEvSM_.private_seg_size, 0
	.set _ZN7rocprim17ROCPRIM_400000_NS6detail17trampoline_kernelINS0_14default_configENS1_38merge_sort_block_merge_config_selectorIlNS0_10empty_typeEEEZZNS1_27merge_sort_block_merge_implIS3_PlPS5_mZN2at6native12_GLOBAL__N_124unique_dim_cuda_templateIjEESt5tupleIJNSA_6TensorESF_SF_EERKSF_lbbbEUlllE_EE10hipError_tT0_T1_T2_jT3_P12ihipStream_tbPNSt15iterator_traitsISL_E10value_typeEPNSR_ISM_E10value_typeEPSN_NS1_7vsmem_tEENKUlT_SL_SM_SN_E_clIS8_S8_S9_S9_EESK_S10_SL_SM_SN_EUlS10_E_NS1_11comp_targetILNS1_3genE3ELNS1_11target_archE908ELNS1_3gpuE7ELNS1_3repE0EEENS1_48merge_mergepath_partition_config_static_selectorELNS0_4arch9wavefront6targetE0EEEvSM_.uses_vcc, 0
	.set _ZN7rocprim17ROCPRIM_400000_NS6detail17trampoline_kernelINS0_14default_configENS1_38merge_sort_block_merge_config_selectorIlNS0_10empty_typeEEEZZNS1_27merge_sort_block_merge_implIS3_PlPS5_mZN2at6native12_GLOBAL__N_124unique_dim_cuda_templateIjEESt5tupleIJNSA_6TensorESF_SF_EERKSF_lbbbEUlllE_EE10hipError_tT0_T1_T2_jT3_P12ihipStream_tbPNSt15iterator_traitsISL_E10value_typeEPNSR_ISM_E10value_typeEPSN_NS1_7vsmem_tEENKUlT_SL_SM_SN_E_clIS8_S8_S9_S9_EESK_S10_SL_SM_SN_EUlS10_E_NS1_11comp_targetILNS1_3genE3ELNS1_11target_archE908ELNS1_3gpuE7ELNS1_3repE0EEENS1_48merge_mergepath_partition_config_static_selectorELNS0_4arch9wavefront6targetE0EEEvSM_.uses_flat_scratch, 0
	.set _ZN7rocprim17ROCPRIM_400000_NS6detail17trampoline_kernelINS0_14default_configENS1_38merge_sort_block_merge_config_selectorIlNS0_10empty_typeEEEZZNS1_27merge_sort_block_merge_implIS3_PlPS5_mZN2at6native12_GLOBAL__N_124unique_dim_cuda_templateIjEESt5tupleIJNSA_6TensorESF_SF_EERKSF_lbbbEUlllE_EE10hipError_tT0_T1_T2_jT3_P12ihipStream_tbPNSt15iterator_traitsISL_E10value_typeEPNSR_ISM_E10value_typeEPSN_NS1_7vsmem_tEENKUlT_SL_SM_SN_E_clIS8_S8_S9_S9_EESK_S10_SL_SM_SN_EUlS10_E_NS1_11comp_targetILNS1_3genE3ELNS1_11target_archE908ELNS1_3gpuE7ELNS1_3repE0EEENS1_48merge_mergepath_partition_config_static_selectorELNS0_4arch9wavefront6targetE0EEEvSM_.has_dyn_sized_stack, 0
	.set _ZN7rocprim17ROCPRIM_400000_NS6detail17trampoline_kernelINS0_14default_configENS1_38merge_sort_block_merge_config_selectorIlNS0_10empty_typeEEEZZNS1_27merge_sort_block_merge_implIS3_PlPS5_mZN2at6native12_GLOBAL__N_124unique_dim_cuda_templateIjEESt5tupleIJNSA_6TensorESF_SF_EERKSF_lbbbEUlllE_EE10hipError_tT0_T1_T2_jT3_P12ihipStream_tbPNSt15iterator_traitsISL_E10value_typeEPNSR_ISM_E10value_typeEPSN_NS1_7vsmem_tEENKUlT_SL_SM_SN_E_clIS8_S8_S9_S9_EESK_S10_SL_SM_SN_EUlS10_E_NS1_11comp_targetILNS1_3genE3ELNS1_11target_archE908ELNS1_3gpuE7ELNS1_3repE0EEENS1_48merge_mergepath_partition_config_static_selectorELNS0_4arch9wavefront6targetE0EEEvSM_.has_recursion, 0
	.set _ZN7rocprim17ROCPRIM_400000_NS6detail17trampoline_kernelINS0_14default_configENS1_38merge_sort_block_merge_config_selectorIlNS0_10empty_typeEEEZZNS1_27merge_sort_block_merge_implIS3_PlPS5_mZN2at6native12_GLOBAL__N_124unique_dim_cuda_templateIjEESt5tupleIJNSA_6TensorESF_SF_EERKSF_lbbbEUlllE_EE10hipError_tT0_T1_T2_jT3_P12ihipStream_tbPNSt15iterator_traitsISL_E10value_typeEPNSR_ISM_E10value_typeEPSN_NS1_7vsmem_tEENKUlT_SL_SM_SN_E_clIS8_S8_S9_S9_EESK_S10_SL_SM_SN_EUlS10_E_NS1_11comp_targetILNS1_3genE3ELNS1_11target_archE908ELNS1_3gpuE7ELNS1_3repE0EEENS1_48merge_mergepath_partition_config_static_selectorELNS0_4arch9wavefront6targetE0EEEvSM_.has_indirect_call, 0
	.section	.AMDGPU.csdata,"",@progbits
; Kernel info:
; codeLenInByte = 0
; TotalNumSgprs: 0
; NumVgprs: 0
; ScratchSize: 0
; MemoryBound: 0
; FloatMode: 240
; IeeeMode: 1
; LDSByteSize: 0 bytes/workgroup (compile time only)
; SGPRBlocks: 0
; VGPRBlocks: 0
; NumSGPRsForWavesPerEU: 1
; NumVGPRsForWavesPerEU: 1
; NamedBarCnt: 0
; Occupancy: 16
; WaveLimiterHint : 0
; COMPUTE_PGM_RSRC2:SCRATCH_EN: 0
; COMPUTE_PGM_RSRC2:USER_SGPR: 2
; COMPUTE_PGM_RSRC2:TRAP_HANDLER: 0
; COMPUTE_PGM_RSRC2:TGID_X_EN: 1
; COMPUTE_PGM_RSRC2:TGID_Y_EN: 0
; COMPUTE_PGM_RSRC2:TGID_Z_EN: 0
; COMPUTE_PGM_RSRC2:TIDIG_COMP_CNT: 0
	.section	.text._ZN7rocprim17ROCPRIM_400000_NS6detail17trampoline_kernelINS0_14default_configENS1_38merge_sort_block_merge_config_selectorIlNS0_10empty_typeEEEZZNS1_27merge_sort_block_merge_implIS3_PlPS5_mZN2at6native12_GLOBAL__N_124unique_dim_cuda_templateIjEESt5tupleIJNSA_6TensorESF_SF_EERKSF_lbbbEUlllE_EE10hipError_tT0_T1_T2_jT3_P12ihipStream_tbPNSt15iterator_traitsISL_E10value_typeEPNSR_ISM_E10value_typeEPSN_NS1_7vsmem_tEENKUlT_SL_SM_SN_E_clIS8_S8_S9_S9_EESK_S10_SL_SM_SN_EUlS10_E_NS1_11comp_targetILNS1_3genE2ELNS1_11target_archE906ELNS1_3gpuE6ELNS1_3repE0EEENS1_48merge_mergepath_partition_config_static_selectorELNS0_4arch9wavefront6targetE0EEEvSM_,"axG",@progbits,_ZN7rocprim17ROCPRIM_400000_NS6detail17trampoline_kernelINS0_14default_configENS1_38merge_sort_block_merge_config_selectorIlNS0_10empty_typeEEEZZNS1_27merge_sort_block_merge_implIS3_PlPS5_mZN2at6native12_GLOBAL__N_124unique_dim_cuda_templateIjEESt5tupleIJNSA_6TensorESF_SF_EERKSF_lbbbEUlllE_EE10hipError_tT0_T1_T2_jT3_P12ihipStream_tbPNSt15iterator_traitsISL_E10value_typeEPNSR_ISM_E10value_typeEPSN_NS1_7vsmem_tEENKUlT_SL_SM_SN_E_clIS8_S8_S9_S9_EESK_S10_SL_SM_SN_EUlS10_E_NS1_11comp_targetILNS1_3genE2ELNS1_11target_archE906ELNS1_3gpuE6ELNS1_3repE0EEENS1_48merge_mergepath_partition_config_static_selectorELNS0_4arch9wavefront6targetE0EEEvSM_,comdat
	.globl	_ZN7rocprim17ROCPRIM_400000_NS6detail17trampoline_kernelINS0_14default_configENS1_38merge_sort_block_merge_config_selectorIlNS0_10empty_typeEEEZZNS1_27merge_sort_block_merge_implIS3_PlPS5_mZN2at6native12_GLOBAL__N_124unique_dim_cuda_templateIjEESt5tupleIJNSA_6TensorESF_SF_EERKSF_lbbbEUlllE_EE10hipError_tT0_T1_T2_jT3_P12ihipStream_tbPNSt15iterator_traitsISL_E10value_typeEPNSR_ISM_E10value_typeEPSN_NS1_7vsmem_tEENKUlT_SL_SM_SN_E_clIS8_S8_S9_S9_EESK_S10_SL_SM_SN_EUlS10_E_NS1_11comp_targetILNS1_3genE2ELNS1_11target_archE906ELNS1_3gpuE6ELNS1_3repE0EEENS1_48merge_mergepath_partition_config_static_selectorELNS0_4arch9wavefront6targetE0EEEvSM_ ; -- Begin function _ZN7rocprim17ROCPRIM_400000_NS6detail17trampoline_kernelINS0_14default_configENS1_38merge_sort_block_merge_config_selectorIlNS0_10empty_typeEEEZZNS1_27merge_sort_block_merge_implIS3_PlPS5_mZN2at6native12_GLOBAL__N_124unique_dim_cuda_templateIjEESt5tupleIJNSA_6TensorESF_SF_EERKSF_lbbbEUlllE_EE10hipError_tT0_T1_T2_jT3_P12ihipStream_tbPNSt15iterator_traitsISL_E10value_typeEPNSR_ISM_E10value_typeEPSN_NS1_7vsmem_tEENKUlT_SL_SM_SN_E_clIS8_S8_S9_S9_EESK_S10_SL_SM_SN_EUlS10_E_NS1_11comp_targetILNS1_3genE2ELNS1_11target_archE906ELNS1_3gpuE6ELNS1_3repE0EEENS1_48merge_mergepath_partition_config_static_selectorELNS0_4arch9wavefront6targetE0EEEvSM_
	.p2align	8
	.type	_ZN7rocprim17ROCPRIM_400000_NS6detail17trampoline_kernelINS0_14default_configENS1_38merge_sort_block_merge_config_selectorIlNS0_10empty_typeEEEZZNS1_27merge_sort_block_merge_implIS3_PlPS5_mZN2at6native12_GLOBAL__N_124unique_dim_cuda_templateIjEESt5tupleIJNSA_6TensorESF_SF_EERKSF_lbbbEUlllE_EE10hipError_tT0_T1_T2_jT3_P12ihipStream_tbPNSt15iterator_traitsISL_E10value_typeEPNSR_ISM_E10value_typeEPSN_NS1_7vsmem_tEENKUlT_SL_SM_SN_E_clIS8_S8_S9_S9_EESK_S10_SL_SM_SN_EUlS10_E_NS1_11comp_targetILNS1_3genE2ELNS1_11target_archE906ELNS1_3gpuE6ELNS1_3repE0EEENS1_48merge_mergepath_partition_config_static_selectorELNS0_4arch9wavefront6targetE0EEEvSM_,@function
_ZN7rocprim17ROCPRIM_400000_NS6detail17trampoline_kernelINS0_14default_configENS1_38merge_sort_block_merge_config_selectorIlNS0_10empty_typeEEEZZNS1_27merge_sort_block_merge_implIS3_PlPS5_mZN2at6native12_GLOBAL__N_124unique_dim_cuda_templateIjEESt5tupleIJNSA_6TensorESF_SF_EERKSF_lbbbEUlllE_EE10hipError_tT0_T1_T2_jT3_P12ihipStream_tbPNSt15iterator_traitsISL_E10value_typeEPNSR_ISM_E10value_typeEPSN_NS1_7vsmem_tEENKUlT_SL_SM_SN_E_clIS8_S8_S9_S9_EESK_S10_SL_SM_SN_EUlS10_E_NS1_11comp_targetILNS1_3genE2ELNS1_11target_archE906ELNS1_3gpuE6ELNS1_3repE0EEENS1_48merge_mergepath_partition_config_static_selectorELNS0_4arch9wavefront6targetE0EEEvSM_: ; @_ZN7rocprim17ROCPRIM_400000_NS6detail17trampoline_kernelINS0_14default_configENS1_38merge_sort_block_merge_config_selectorIlNS0_10empty_typeEEEZZNS1_27merge_sort_block_merge_implIS3_PlPS5_mZN2at6native12_GLOBAL__N_124unique_dim_cuda_templateIjEESt5tupleIJNSA_6TensorESF_SF_EERKSF_lbbbEUlllE_EE10hipError_tT0_T1_T2_jT3_P12ihipStream_tbPNSt15iterator_traitsISL_E10value_typeEPNSR_ISM_E10value_typeEPSN_NS1_7vsmem_tEENKUlT_SL_SM_SN_E_clIS8_S8_S9_S9_EESK_S10_SL_SM_SN_EUlS10_E_NS1_11comp_targetILNS1_3genE2ELNS1_11target_archE906ELNS1_3gpuE6ELNS1_3repE0EEENS1_48merge_mergepath_partition_config_static_selectorELNS0_4arch9wavefront6targetE0EEEvSM_
; %bb.0:
	.section	.rodata,"a",@progbits
	.p2align	6, 0x0
	.amdhsa_kernel _ZN7rocprim17ROCPRIM_400000_NS6detail17trampoline_kernelINS0_14default_configENS1_38merge_sort_block_merge_config_selectorIlNS0_10empty_typeEEEZZNS1_27merge_sort_block_merge_implIS3_PlPS5_mZN2at6native12_GLOBAL__N_124unique_dim_cuda_templateIjEESt5tupleIJNSA_6TensorESF_SF_EERKSF_lbbbEUlllE_EE10hipError_tT0_T1_T2_jT3_P12ihipStream_tbPNSt15iterator_traitsISL_E10value_typeEPNSR_ISM_E10value_typeEPSN_NS1_7vsmem_tEENKUlT_SL_SM_SN_E_clIS8_S8_S9_S9_EESK_S10_SL_SM_SN_EUlS10_E_NS1_11comp_targetILNS1_3genE2ELNS1_11target_archE906ELNS1_3gpuE6ELNS1_3repE0EEENS1_48merge_mergepath_partition_config_static_selectorELNS0_4arch9wavefront6targetE0EEEvSM_
		.amdhsa_group_segment_fixed_size 0
		.amdhsa_private_segment_fixed_size 0
		.amdhsa_kernarg_size 56
		.amdhsa_user_sgpr_count 2
		.amdhsa_user_sgpr_dispatch_ptr 0
		.amdhsa_user_sgpr_queue_ptr 0
		.amdhsa_user_sgpr_kernarg_segment_ptr 1
		.amdhsa_user_sgpr_dispatch_id 0
		.amdhsa_user_sgpr_kernarg_preload_length 0
		.amdhsa_user_sgpr_kernarg_preload_offset 0
		.amdhsa_user_sgpr_private_segment_size 0
		.amdhsa_wavefront_size32 1
		.amdhsa_uses_dynamic_stack 0
		.amdhsa_enable_private_segment 0
		.amdhsa_system_sgpr_workgroup_id_x 1
		.amdhsa_system_sgpr_workgroup_id_y 0
		.amdhsa_system_sgpr_workgroup_id_z 0
		.amdhsa_system_sgpr_workgroup_info 0
		.amdhsa_system_vgpr_workitem_id 0
		.amdhsa_next_free_vgpr 1
		.amdhsa_next_free_sgpr 1
		.amdhsa_named_barrier_count 0
		.amdhsa_reserve_vcc 0
		.amdhsa_float_round_mode_32 0
		.amdhsa_float_round_mode_16_64 0
		.amdhsa_float_denorm_mode_32 3
		.amdhsa_float_denorm_mode_16_64 3
		.amdhsa_fp16_overflow 0
		.amdhsa_memory_ordered 1
		.amdhsa_forward_progress 1
		.amdhsa_inst_pref_size 0
		.amdhsa_round_robin_scheduling 0
		.amdhsa_exception_fp_ieee_invalid_op 0
		.amdhsa_exception_fp_denorm_src 0
		.amdhsa_exception_fp_ieee_div_zero 0
		.amdhsa_exception_fp_ieee_overflow 0
		.amdhsa_exception_fp_ieee_underflow 0
		.amdhsa_exception_fp_ieee_inexact 0
		.amdhsa_exception_int_div_zero 0
	.end_amdhsa_kernel
	.section	.text._ZN7rocprim17ROCPRIM_400000_NS6detail17trampoline_kernelINS0_14default_configENS1_38merge_sort_block_merge_config_selectorIlNS0_10empty_typeEEEZZNS1_27merge_sort_block_merge_implIS3_PlPS5_mZN2at6native12_GLOBAL__N_124unique_dim_cuda_templateIjEESt5tupleIJNSA_6TensorESF_SF_EERKSF_lbbbEUlllE_EE10hipError_tT0_T1_T2_jT3_P12ihipStream_tbPNSt15iterator_traitsISL_E10value_typeEPNSR_ISM_E10value_typeEPSN_NS1_7vsmem_tEENKUlT_SL_SM_SN_E_clIS8_S8_S9_S9_EESK_S10_SL_SM_SN_EUlS10_E_NS1_11comp_targetILNS1_3genE2ELNS1_11target_archE906ELNS1_3gpuE6ELNS1_3repE0EEENS1_48merge_mergepath_partition_config_static_selectorELNS0_4arch9wavefront6targetE0EEEvSM_,"axG",@progbits,_ZN7rocprim17ROCPRIM_400000_NS6detail17trampoline_kernelINS0_14default_configENS1_38merge_sort_block_merge_config_selectorIlNS0_10empty_typeEEEZZNS1_27merge_sort_block_merge_implIS3_PlPS5_mZN2at6native12_GLOBAL__N_124unique_dim_cuda_templateIjEESt5tupleIJNSA_6TensorESF_SF_EERKSF_lbbbEUlllE_EE10hipError_tT0_T1_T2_jT3_P12ihipStream_tbPNSt15iterator_traitsISL_E10value_typeEPNSR_ISM_E10value_typeEPSN_NS1_7vsmem_tEENKUlT_SL_SM_SN_E_clIS8_S8_S9_S9_EESK_S10_SL_SM_SN_EUlS10_E_NS1_11comp_targetILNS1_3genE2ELNS1_11target_archE906ELNS1_3gpuE6ELNS1_3repE0EEENS1_48merge_mergepath_partition_config_static_selectorELNS0_4arch9wavefront6targetE0EEEvSM_,comdat
.Lfunc_end1497:
	.size	_ZN7rocprim17ROCPRIM_400000_NS6detail17trampoline_kernelINS0_14default_configENS1_38merge_sort_block_merge_config_selectorIlNS0_10empty_typeEEEZZNS1_27merge_sort_block_merge_implIS3_PlPS5_mZN2at6native12_GLOBAL__N_124unique_dim_cuda_templateIjEESt5tupleIJNSA_6TensorESF_SF_EERKSF_lbbbEUlllE_EE10hipError_tT0_T1_T2_jT3_P12ihipStream_tbPNSt15iterator_traitsISL_E10value_typeEPNSR_ISM_E10value_typeEPSN_NS1_7vsmem_tEENKUlT_SL_SM_SN_E_clIS8_S8_S9_S9_EESK_S10_SL_SM_SN_EUlS10_E_NS1_11comp_targetILNS1_3genE2ELNS1_11target_archE906ELNS1_3gpuE6ELNS1_3repE0EEENS1_48merge_mergepath_partition_config_static_selectorELNS0_4arch9wavefront6targetE0EEEvSM_, .Lfunc_end1497-_ZN7rocprim17ROCPRIM_400000_NS6detail17trampoline_kernelINS0_14default_configENS1_38merge_sort_block_merge_config_selectorIlNS0_10empty_typeEEEZZNS1_27merge_sort_block_merge_implIS3_PlPS5_mZN2at6native12_GLOBAL__N_124unique_dim_cuda_templateIjEESt5tupleIJNSA_6TensorESF_SF_EERKSF_lbbbEUlllE_EE10hipError_tT0_T1_T2_jT3_P12ihipStream_tbPNSt15iterator_traitsISL_E10value_typeEPNSR_ISM_E10value_typeEPSN_NS1_7vsmem_tEENKUlT_SL_SM_SN_E_clIS8_S8_S9_S9_EESK_S10_SL_SM_SN_EUlS10_E_NS1_11comp_targetILNS1_3genE2ELNS1_11target_archE906ELNS1_3gpuE6ELNS1_3repE0EEENS1_48merge_mergepath_partition_config_static_selectorELNS0_4arch9wavefront6targetE0EEEvSM_
                                        ; -- End function
	.set _ZN7rocprim17ROCPRIM_400000_NS6detail17trampoline_kernelINS0_14default_configENS1_38merge_sort_block_merge_config_selectorIlNS0_10empty_typeEEEZZNS1_27merge_sort_block_merge_implIS3_PlPS5_mZN2at6native12_GLOBAL__N_124unique_dim_cuda_templateIjEESt5tupleIJNSA_6TensorESF_SF_EERKSF_lbbbEUlllE_EE10hipError_tT0_T1_T2_jT3_P12ihipStream_tbPNSt15iterator_traitsISL_E10value_typeEPNSR_ISM_E10value_typeEPSN_NS1_7vsmem_tEENKUlT_SL_SM_SN_E_clIS8_S8_S9_S9_EESK_S10_SL_SM_SN_EUlS10_E_NS1_11comp_targetILNS1_3genE2ELNS1_11target_archE906ELNS1_3gpuE6ELNS1_3repE0EEENS1_48merge_mergepath_partition_config_static_selectorELNS0_4arch9wavefront6targetE0EEEvSM_.num_vgpr, 0
	.set _ZN7rocprim17ROCPRIM_400000_NS6detail17trampoline_kernelINS0_14default_configENS1_38merge_sort_block_merge_config_selectorIlNS0_10empty_typeEEEZZNS1_27merge_sort_block_merge_implIS3_PlPS5_mZN2at6native12_GLOBAL__N_124unique_dim_cuda_templateIjEESt5tupleIJNSA_6TensorESF_SF_EERKSF_lbbbEUlllE_EE10hipError_tT0_T1_T2_jT3_P12ihipStream_tbPNSt15iterator_traitsISL_E10value_typeEPNSR_ISM_E10value_typeEPSN_NS1_7vsmem_tEENKUlT_SL_SM_SN_E_clIS8_S8_S9_S9_EESK_S10_SL_SM_SN_EUlS10_E_NS1_11comp_targetILNS1_3genE2ELNS1_11target_archE906ELNS1_3gpuE6ELNS1_3repE0EEENS1_48merge_mergepath_partition_config_static_selectorELNS0_4arch9wavefront6targetE0EEEvSM_.num_agpr, 0
	.set _ZN7rocprim17ROCPRIM_400000_NS6detail17trampoline_kernelINS0_14default_configENS1_38merge_sort_block_merge_config_selectorIlNS0_10empty_typeEEEZZNS1_27merge_sort_block_merge_implIS3_PlPS5_mZN2at6native12_GLOBAL__N_124unique_dim_cuda_templateIjEESt5tupleIJNSA_6TensorESF_SF_EERKSF_lbbbEUlllE_EE10hipError_tT0_T1_T2_jT3_P12ihipStream_tbPNSt15iterator_traitsISL_E10value_typeEPNSR_ISM_E10value_typeEPSN_NS1_7vsmem_tEENKUlT_SL_SM_SN_E_clIS8_S8_S9_S9_EESK_S10_SL_SM_SN_EUlS10_E_NS1_11comp_targetILNS1_3genE2ELNS1_11target_archE906ELNS1_3gpuE6ELNS1_3repE0EEENS1_48merge_mergepath_partition_config_static_selectorELNS0_4arch9wavefront6targetE0EEEvSM_.numbered_sgpr, 0
	.set _ZN7rocprim17ROCPRIM_400000_NS6detail17trampoline_kernelINS0_14default_configENS1_38merge_sort_block_merge_config_selectorIlNS0_10empty_typeEEEZZNS1_27merge_sort_block_merge_implIS3_PlPS5_mZN2at6native12_GLOBAL__N_124unique_dim_cuda_templateIjEESt5tupleIJNSA_6TensorESF_SF_EERKSF_lbbbEUlllE_EE10hipError_tT0_T1_T2_jT3_P12ihipStream_tbPNSt15iterator_traitsISL_E10value_typeEPNSR_ISM_E10value_typeEPSN_NS1_7vsmem_tEENKUlT_SL_SM_SN_E_clIS8_S8_S9_S9_EESK_S10_SL_SM_SN_EUlS10_E_NS1_11comp_targetILNS1_3genE2ELNS1_11target_archE906ELNS1_3gpuE6ELNS1_3repE0EEENS1_48merge_mergepath_partition_config_static_selectorELNS0_4arch9wavefront6targetE0EEEvSM_.num_named_barrier, 0
	.set _ZN7rocprim17ROCPRIM_400000_NS6detail17trampoline_kernelINS0_14default_configENS1_38merge_sort_block_merge_config_selectorIlNS0_10empty_typeEEEZZNS1_27merge_sort_block_merge_implIS3_PlPS5_mZN2at6native12_GLOBAL__N_124unique_dim_cuda_templateIjEESt5tupleIJNSA_6TensorESF_SF_EERKSF_lbbbEUlllE_EE10hipError_tT0_T1_T2_jT3_P12ihipStream_tbPNSt15iterator_traitsISL_E10value_typeEPNSR_ISM_E10value_typeEPSN_NS1_7vsmem_tEENKUlT_SL_SM_SN_E_clIS8_S8_S9_S9_EESK_S10_SL_SM_SN_EUlS10_E_NS1_11comp_targetILNS1_3genE2ELNS1_11target_archE906ELNS1_3gpuE6ELNS1_3repE0EEENS1_48merge_mergepath_partition_config_static_selectorELNS0_4arch9wavefront6targetE0EEEvSM_.private_seg_size, 0
	.set _ZN7rocprim17ROCPRIM_400000_NS6detail17trampoline_kernelINS0_14default_configENS1_38merge_sort_block_merge_config_selectorIlNS0_10empty_typeEEEZZNS1_27merge_sort_block_merge_implIS3_PlPS5_mZN2at6native12_GLOBAL__N_124unique_dim_cuda_templateIjEESt5tupleIJNSA_6TensorESF_SF_EERKSF_lbbbEUlllE_EE10hipError_tT0_T1_T2_jT3_P12ihipStream_tbPNSt15iterator_traitsISL_E10value_typeEPNSR_ISM_E10value_typeEPSN_NS1_7vsmem_tEENKUlT_SL_SM_SN_E_clIS8_S8_S9_S9_EESK_S10_SL_SM_SN_EUlS10_E_NS1_11comp_targetILNS1_3genE2ELNS1_11target_archE906ELNS1_3gpuE6ELNS1_3repE0EEENS1_48merge_mergepath_partition_config_static_selectorELNS0_4arch9wavefront6targetE0EEEvSM_.uses_vcc, 0
	.set _ZN7rocprim17ROCPRIM_400000_NS6detail17trampoline_kernelINS0_14default_configENS1_38merge_sort_block_merge_config_selectorIlNS0_10empty_typeEEEZZNS1_27merge_sort_block_merge_implIS3_PlPS5_mZN2at6native12_GLOBAL__N_124unique_dim_cuda_templateIjEESt5tupleIJNSA_6TensorESF_SF_EERKSF_lbbbEUlllE_EE10hipError_tT0_T1_T2_jT3_P12ihipStream_tbPNSt15iterator_traitsISL_E10value_typeEPNSR_ISM_E10value_typeEPSN_NS1_7vsmem_tEENKUlT_SL_SM_SN_E_clIS8_S8_S9_S9_EESK_S10_SL_SM_SN_EUlS10_E_NS1_11comp_targetILNS1_3genE2ELNS1_11target_archE906ELNS1_3gpuE6ELNS1_3repE0EEENS1_48merge_mergepath_partition_config_static_selectorELNS0_4arch9wavefront6targetE0EEEvSM_.uses_flat_scratch, 0
	.set _ZN7rocprim17ROCPRIM_400000_NS6detail17trampoline_kernelINS0_14default_configENS1_38merge_sort_block_merge_config_selectorIlNS0_10empty_typeEEEZZNS1_27merge_sort_block_merge_implIS3_PlPS5_mZN2at6native12_GLOBAL__N_124unique_dim_cuda_templateIjEESt5tupleIJNSA_6TensorESF_SF_EERKSF_lbbbEUlllE_EE10hipError_tT0_T1_T2_jT3_P12ihipStream_tbPNSt15iterator_traitsISL_E10value_typeEPNSR_ISM_E10value_typeEPSN_NS1_7vsmem_tEENKUlT_SL_SM_SN_E_clIS8_S8_S9_S9_EESK_S10_SL_SM_SN_EUlS10_E_NS1_11comp_targetILNS1_3genE2ELNS1_11target_archE906ELNS1_3gpuE6ELNS1_3repE0EEENS1_48merge_mergepath_partition_config_static_selectorELNS0_4arch9wavefront6targetE0EEEvSM_.has_dyn_sized_stack, 0
	.set _ZN7rocprim17ROCPRIM_400000_NS6detail17trampoline_kernelINS0_14default_configENS1_38merge_sort_block_merge_config_selectorIlNS0_10empty_typeEEEZZNS1_27merge_sort_block_merge_implIS3_PlPS5_mZN2at6native12_GLOBAL__N_124unique_dim_cuda_templateIjEESt5tupleIJNSA_6TensorESF_SF_EERKSF_lbbbEUlllE_EE10hipError_tT0_T1_T2_jT3_P12ihipStream_tbPNSt15iterator_traitsISL_E10value_typeEPNSR_ISM_E10value_typeEPSN_NS1_7vsmem_tEENKUlT_SL_SM_SN_E_clIS8_S8_S9_S9_EESK_S10_SL_SM_SN_EUlS10_E_NS1_11comp_targetILNS1_3genE2ELNS1_11target_archE906ELNS1_3gpuE6ELNS1_3repE0EEENS1_48merge_mergepath_partition_config_static_selectorELNS0_4arch9wavefront6targetE0EEEvSM_.has_recursion, 0
	.set _ZN7rocprim17ROCPRIM_400000_NS6detail17trampoline_kernelINS0_14default_configENS1_38merge_sort_block_merge_config_selectorIlNS0_10empty_typeEEEZZNS1_27merge_sort_block_merge_implIS3_PlPS5_mZN2at6native12_GLOBAL__N_124unique_dim_cuda_templateIjEESt5tupleIJNSA_6TensorESF_SF_EERKSF_lbbbEUlllE_EE10hipError_tT0_T1_T2_jT3_P12ihipStream_tbPNSt15iterator_traitsISL_E10value_typeEPNSR_ISM_E10value_typeEPSN_NS1_7vsmem_tEENKUlT_SL_SM_SN_E_clIS8_S8_S9_S9_EESK_S10_SL_SM_SN_EUlS10_E_NS1_11comp_targetILNS1_3genE2ELNS1_11target_archE906ELNS1_3gpuE6ELNS1_3repE0EEENS1_48merge_mergepath_partition_config_static_selectorELNS0_4arch9wavefront6targetE0EEEvSM_.has_indirect_call, 0
	.section	.AMDGPU.csdata,"",@progbits
; Kernel info:
; codeLenInByte = 0
; TotalNumSgprs: 0
; NumVgprs: 0
; ScratchSize: 0
; MemoryBound: 0
; FloatMode: 240
; IeeeMode: 1
; LDSByteSize: 0 bytes/workgroup (compile time only)
; SGPRBlocks: 0
; VGPRBlocks: 0
; NumSGPRsForWavesPerEU: 1
; NumVGPRsForWavesPerEU: 1
; NamedBarCnt: 0
; Occupancy: 16
; WaveLimiterHint : 0
; COMPUTE_PGM_RSRC2:SCRATCH_EN: 0
; COMPUTE_PGM_RSRC2:USER_SGPR: 2
; COMPUTE_PGM_RSRC2:TRAP_HANDLER: 0
; COMPUTE_PGM_RSRC2:TGID_X_EN: 1
; COMPUTE_PGM_RSRC2:TGID_Y_EN: 0
; COMPUTE_PGM_RSRC2:TGID_Z_EN: 0
; COMPUTE_PGM_RSRC2:TIDIG_COMP_CNT: 0
	.section	.text._ZN7rocprim17ROCPRIM_400000_NS6detail17trampoline_kernelINS0_14default_configENS1_38merge_sort_block_merge_config_selectorIlNS0_10empty_typeEEEZZNS1_27merge_sort_block_merge_implIS3_PlPS5_mZN2at6native12_GLOBAL__N_124unique_dim_cuda_templateIjEESt5tupleIJNSA_6TensorESF_SF_EERKSF_lbbbEUlllE_EE10hipError_tT0_T1_T2_jT3_P12ihipStream_tbPNSt15iterator_traitsISL_E10value_typeEPNSR_ISM_E10value_typeEPSN_NS1_7vsmem_tEENKUlT_SL_SM_SN_E_clIS8_S8_S9_S9_EESK_S10_SL_SM_SN_EUlS10_E_NS1_11comp_targetILNS1_3genE9ELNS1_11target_archE1100ELNS1_3gpuE3ELNS1_3repE0EEENS1_48merge_mergepath_partition_config_static_selectorELNS0_4arch9wavefront6targetE0EEEvSM_,"axG",@progbits,_ZN7rocprim17ROCPRIM_400000_NS6detail17trampoline_kernelINS0_14default_configENS1_38merge_sort_block_merge_config_selectorIlNS0_10empty_typeEEEZZNS1_27merge_sort_block_merge_implIS3_PlPS5_mZN2at6native12_GLOBAL__N_124unique_dim_cuda_templateIjEESt5tupleIJNSA_6TensorESF_SF_EERKSF_lbbbEUlllE_EE10hipError_tT0_T1_T2_jT3_P12ihipStream_tbPNSt15iterator_traitsISL_E10value_typeEPNSR_ISM_E10value_typeEPSN_NS1_7vsmem_tEENKUlT_SL_SM_SN_E_clIS8_S8_S9_S9_EESK_S10_SL_SM_SN_EUlS10_E_NS1_11comp_targetILNS1_3genE9ELNS1_11target_archE1100ELNS1_3gpuE3ELNS1_3repE0EEENS1_48merge_mergepath_partition_config_static_selectorELNS0_4arch9wavefront6targetE0EEEvSM_,comdat
	.globl	_ZN7rocprim17ROCPRIM_400000_NS6detail17trampoline_kernelINS0_14default_configENS1_38merge_sort_block_merge_config_selectorIlNS0_10empty_typeEEEZZNS1_27merge_sort_block_merge_implIS3_PlPS5_mZN2at6native12_GLOBAL__N_124unique_dim_cuda_templateIjEESt5tupleIJNSA_6TensorESF_SF_EERKSF_lbbbEUlllE_EE10hipError_tT0_T1_T2_jT3_P12ihipStream_tbPNSt15iterator_traitsISL_E10value_typeEPNSR_ISM_E10value_typeEPSN_NS1_7vsmem_tEENKUlT_SL_SM_SN_E_clIS8_S8_S9_S9_EESK_S10_SL_SM_SN_EUlS10_E_NS1_11comp_targetILNS1_3genE9ELNS1_11target_archE1100ELNS1_3gpuE3ELNS1_3repE0EEENS1_48merge_mergepath_partition_config_static_selectorELNS0_4arch9wavefront6targetE0EEEvSM_ ; -- Begin function _ZN7rocprim17ROCPRIM_400000_NS6detail17trampoline_kernelINS0_14default_configENS1_38merge_sort_block_merge_config_selectorIlNS0_10empty_typeEEEZZNS1_27merge_sort_block_merge_implIS3_PlPS5_mZN2at6native12_GLOBAL__N_124unique_dim_cuda_templateIjEESt5tupleIJNSA_6TensorESF_SF_EERKSF_lbbbEUlllE_EE10hipError_tT0_T1_T2_jT3_P12ihipStream_tbPNSt15iterator_traitsISL_E10value_typeEPNSR_ISM_E10value_typeEPSN_NS1_7vsmem_tEENKUlT_SL_SM_SN_E_clIS8_S8_S9_S9_EESK_S10_SL_SM_SN_EUlS10_E_NS1_11comp_targetILNS1_3genE9ELNS1_11target_archE1100ELNS1_3gpuE3ELNS1_3repE0EEENS1_48merge_mergepath_partition_config_static_selectorELNS0_4arch9wavefront6targetE0EEEvSM_
	.p2align	8
	.type	_ZN7rocprim17ROCPRIM_400000_NS6detail17trampoline_kernelINS0_14default_configENS1_38merge_sort_block_merge_config_selectorIlNS0_10empty_typeEEEZZNS1_27merge_sort_block_merge_implIS3_PlPS5_mZN2at6native12_GLOBAL__N_124unique_dim_cuda_templateIjEESt5tupleIJNSA_6TensorESF_SF_EERKSF_lbbbEUlllE_EE10hipError_tT0_T1_T2_jT3_P12ihipStream_tbPNSt15iterator_traitsISL_E10value_typeEPNSR_ISM_E10value_typeEPSN_NS1_7vsmem_tEENKUlT_SL_SM_SN_E_clIS8_S8_S9_S9_EESK_S10_SL_SM_SN_EUlS10_E_NS1_11comp_targetILNS1_3genE9ELNS1_11target_archE1100ELNS1_3gpuE3ELNS1_3repE0EEENS1_48merge_mergepath_partition_config_static_selectorELNS0_4arch9wavefront6targetE0EEEvSM_,@function
_ZN7rocprim17ROCPRIM_400000_NS6detail17trampoline_kernelINS0_14default_configENS1_38merge_sort_block_merge_config_selectorIlNS0_10empty_typeEEEZZNS1_27merge_sort_block_merge_implIS3_PlPS5_mZN2at6native12_GLOBAL__N_124unique_dim_cuda_templateIjEESt5tupleIJNSA_6TensorESF_SF_EERKSF_lbbbEUlllE_EE10hipError_tT0_T1_T2_jT3_P12ihipStream_tbPNSt15iterator_traitsISL_E10value_typeEPNSR_ISM_E10value_typeEPSN_NS1_7vsmem_tEENKUlT_SL_SM_SN_E_clIS8_S8_S9_S9_EESK_S10_SL_SM_SN_EUlS10_E_NS1_11comp_targetILNS1_3genE9ELNS1_11target_archE1100ELNS1_3gpuE3ELNS1_3repE0EEENS1_48merge_mergepath_partition_config_static_selectorELNS0_4arch9wavefront6targetE0EEEvSM_: ; @_ZN7rocprim17ROCPRIM_400000_NS6detail17trampoline_kernelINS0_14default_configENS1_38merge_sort_block_merge_config_selectorIlNS0_10empty_typeEEEZZNS1_27merge_sort_block_merge_implIS3_PlPS5_mZN2at6native12_GLOBAL__N_124unique_dim_cuda_templateIjEESt5tupleIJNSA_6TensorESF_SF_EERKSF_lbbbEUlllE_EE10hipError_tT0_T1_T2_jT3_P12ihipStream_tbPNSt15iterator_traitsISL_E10value_typeEPNSR_ISM_E10value_typeEPSN_NS1_7vsmem_tEENKUlT_SL_SM_SN_E_clIS8_S8_S9_S9_EESK_S10_SL_SM_SN_EUlS10_E_NS1_11comp_targetILNS1_3genE9ELNS1_11target_archE1100ELNS1_3gpuE3ELNS1_3repE0EEENS1_48merge_mergepath_partition_config_static_selectorELNS0_4arch9wavefront6targetE0EEEvSM_
; %bb.0:
	.section	.rodata,"a",@progbits
	.p2align	6, 0x0
	.amdhsa_kernel _ZN7rocprim17ROCPRIM_400000_NS6detail17trampoline_kernelINS0_14default_configENS1_38merge_sort_block_merge_config_selectorIlNS0_10empty_typeEEEZZNS1_27merge_sort_block_merge_implIS3_PlPS5_mZN2at6native12_GLOBAL__N_124unique_dim_cuda_templateIjEESt5tupleIJNSA_6TensorESF_SF_EERKSF_lbbbEUlllE_EE10hipError_tT0_T1_T2_jT3_P12ihipStream_tbPNSt15iterator_traitsISL_E10value_typeEPNSR_ISM_E10value_typeEPSN_NS1_7vsmem_tEENKUlT_SL_SM_SN_E_clIS8_S8_S9_S9_EESK_S10_SL_SM_SN_EUlS10_E_NS1_11comp_targetILNS1_3genE9ELNS1_11target_archE1100ELNS1_3gpuE3ELNS1_3repE0EEENS1_48merge_mergepath_partition_config_static_selectorELNS0_4arch9wavefront6targetE0EEEvSM_
		.amdhsa_group_segment_fixed_size 0
		.amdhsa_private_segment_fixed_size 0
		.amdhsa_kernarg_size 56
		.amdhsa_user_sgpr_count 2
		.amdhsa_user_sgpr_dispatch_ptr 0
		.amdhsa_user_sgpr_queue_ptr 0
		.amdhsa_user_sgpr_kernarg_segment_ptr 1
		.amdhsa_user_sgpr_dispatch_id 0
		.amdhsa_user_sgpr_kernarg_preload_length 0
		.amdhsa_user_sgpr_kernarg_preload_offset 0
		.amdhsa_user_sgpr_private_segment_size 0
		.amdhsa_wavefront_size32 1
		.amdhsa_uses_dynamic_stack 0
		.amdhsa_enable_private_segment 0
		.amdhsa_system_sgpr_workgroup_id_x 1
		.amdhsa_system_sgpr_workgroup_id_y 0
		.amdhsa_system_sgpr_workgroup_id_z 0
		.amdhsa_system_sgpr_workgroup_info 0
		.amdhsa_system_vgpr_workitem_id 0
		.amdhsa_next_free_vgpr 1
		.amdhsa_next_free_sgpr 1
		.amdhsa_named_barrier_count 0
		.amdhsa_reserve_vcc 0
		.amdhsa_float_round_mode_32 0
		.amdhsa_float_round_mode_16_64 0
		.amdhsa_float_denorm_mode_32 3
		.amdhsa_float_denorm_mode_16_64 3
		.amdhsa_fp16_overflow 0
		.amdhsa_memory_ordered 1
		.amdhsa_forward_progress 1
		.amdhsa_inst_pref_size 0
		.amdhsa_round_robin_scheduling 0
		.amdhsa_exception_fp_ieee_invalid_op 0
		.amdhsa_exception_fp_denorm_src 0
		.amdhsa_exception_fp_ieee_div_zero 0
		.amdhsa_exception_fp_ieee_overflow 0
		.amdhsa_exception_fp_ieee_underflow 0
		.amdhsa_exception_fp_ieee_inexact 0
		.amdhsa_exception_int_div_zero 0
	.end_amdhsa_kernel
	.section	.text._ZN7rocprim17ROCPRIM_400000_NS6detail17trampoline_kernelINS0_14default_configENS1_38merge_sort_block_merge_config_selectorIlNS0_10empty_typeEEEZZNS1_27merge_sort_block_merge_implIS3_PlPS5_mZN2at6native12_GLOBAL__N_124unique_dim_cuda_templateIjEESt5tupleIJNSA_6TensorESF_SF_EERKSF_lbbbEUlllE_EE10hipError_tT0_T1_T2_jT3_P12ihipStream_tbPNSt15iterator_traitsISL_E10value_typeEPNSR_ISM_E10value_typeEPSN_NS1_7vsmem_tEENKUlT_SL_SM_SN_E_clIS8_S8_S9_S9_EESK_S10_SL_SM_SN_EUlS10_E_NS1_11comp_targetILNS1_3genE9ELNS1_11target_archE1100ELNS1_3gpuE3ELNS1_3repE0EEENS1_48merge_mergepath_partition_config_static_selectorELNS0_4arch9wavefront6targetE0EEEvSM_,"axG",@progbits,_ZN7rocprim17ROCPRIM_400000_NS6detail17trampoline_kernelINS0_14default_configENS1_38merge_sort_block_merge_config_selectorIlNS0_10empty_typeEEEZZNS1_27merge_sort_block_merge_implIS3_PlPS5_mZN2at6native12_GLOBAL__N_124unique_dim_cuda_templateIjEESt5tupleIJNSA_6TensorESF_SF_EERKSF_lbbbEUlllE_EE10hipError_tT0_T1_T2_jT3_P12ihipStream_tbPNSt15iterator_traitsISL_E10value_typeEPNSR_ISM_E10value_typeEPSN_NS1_7vsmem_tEENKUlT_SL_SM_SN_E_clIS8_S8_S9_S9_EESK_S10_SL_SM_SN_EUlS10_E_NS1_11comp_targetILNS1_3genE9ELNS1_11target_archE1100ELNS1_3gpuE3ELNS1_3repE0EEENS1_48merge_mergepath_partition_config_static_selectorELNS0_4arch9wavefront6targetE0EEEvSM_,comdat
.Lfunc_end1498:
	.size	_ZN7rocprim17ROCPRIM_400000_NS6detail17trampoline_kernelINS0_14default_configENS1_38merge_sort_block_merge_config_selectorIlNS0_10empty_typeEEEZZNS1_27merge_sort_block_merge_implIS3_PlPS5_mZN2at6native12_GLOBAL__N_124unique_dim_cuda_templateIjEESt5tupleIJNSA_6TensorESF_SF_EERKSF_lbbbEUlllE_EE10hipError_tT0_T1_T2_jT3_P12ihipStream_tbPNSt15iterator_traitsISL_E10value_typeEPNSR_ISM_E10value_typeEPSN_NS1_7vsmem_tEENKUlT_SL_SM_SN_E_clIS8_S8_S9_S9_EESK_S10_SL_SM_SN_EUlS10_E_NS1_11comp_targetILNS1_3genE9ELNS1_11target_archE1100ELNS1_3gpuE3ELNS1_3repE0EEENS1_48merge_mergepath_partition_config_static_selectorELNS0_4arch9wavefront6targetE0EEEvSM_, .Lfunc_end1498-_ZN7rocprim17ROCPRIM_400000_NS6detail17trampoline_kernelINS0_14default_configENS1_38merge_sort_block_merge_config_selectorIlNS0_10empty_typeEEEZZNS1_27merge_sort_block_merge_implIS3_PlPS5_mZN2at6native12_GLOBAL__N_124unique_dim_cuda_templateIjEESt5tupleIJNSA_6TensorESF_SF_EERKSF_lbbbEUlllE_EE10hipError_tT0_T1_T2_jT3_P12ihipStream_tbPNSt15iterator_traitsISL_E10value_typeEPNSR_ISM_E10value_typeEPSN_NS1_7vsmem_tEENKUlT_SL_SM_SN_E_clIS8_S8_S9_S9_EESK_S10_SL_SM_SN_EUlS10_E_NS1_11comp_targetILNS1_3genE9ELNS1_11target_archE1100ELNS1_3gpuE3ELNS1_3repE0EEENS1_48merge_mergepath_partition_config_static_selectorELNS0_4arch9wavefront6targetE0EEEvSM_
                                        ; -- End function
	.set _ZN7rocprim17ROCPRIM_400000_NS6detail17trampoline_kernelINS0_14default_configENS1_38merge_sort_block_merge_config_selectorIlNS0_10empty_typeEEEZZNS1_27merge_sort_block_merge_implIS3_PlPS5_mZN2at6native12_GLOBAL__N_124unique_dim_cuda_templateIjEESt5tupleIJNSA_6TensorESF_SF_EERKSF_lbbbEUlllE_EE10hipError_tT0_T1_T2_jT3_P12ihipStream_tbPNSt15iterator_traitsISL_E10value_typeEPNSR_ISM_E10value_typeEPSN_NS1_7vsmem_tEENKUlT_SL_SM_SN_E_clIS8_S8_S9_S9_EESK_S10_SL_SM_SN_EUlS10_E_NS1_11comp_targetILNS1_3genE9ELNS1_11target_archE1100ELNS1_3gpuE3ELNS1_3repE0EEENS1_48merge_mergepath_partition_config_static_selectorELNS0_4arch9wavefront6targetE0EEEvSM_.num_vgpr, 0
	.set _ZN7rocprim17ROCPRIM_400000_NS6detail17trampoline_kernelINS0_14default_configENS1_38merge_sort_block_merge_config_selectorIlNS0_10empty_typeEEEZZNS1_27merge_sort_block_merge_implIS3_PlPS5_mZN2at6native12_GLOBAL__N_124unique_dim_cuda_templateIjEESt5tupleIJNSA_6TensorESF_SF_EERKSF_lbbbEUlllE_EE10hipError_tT0_T1_T2_jT3_P12ihipStream_tbPNSt15iterator_traitsISL_E10value_typeEPNSR_ISM_E10value_typeEPSN_NS1_7vsmem_tEENKUlT_SL_SM_SN_E_clIS8_S8_S9_S9_EESK_S10_SL_SM_SN_EUlS10_E_NS1_11comp_targetILNS1_3genE9ELNS1_11target_archE1100ELNS1_3gpuE3ELNS1_3repE0EEENS1_48merge_mergepath_partition_config_static_selectorELNS0_4arch9wavefront6targetE0EEEvSM_.num_agpr, 0
	.set _ZN7rocprim17ROCPRIM_400000_NS6detail17trampoline_kernelINS0_14default_configENS1_38merge_sort_block_merge_config_selectorIlNS0_10empty_typeEEEZZNS1_27merge_sort_block_merge_implIS3_PlPS5_mZN2at6native12_GLOBAL__N_124unique_dim_cuda_templateIjEESt5tupleIJNSA_6TensorESF_SF_EERKSF_lbbbEUlllE_EE10hipError_tT0_T1_T2_jT3_P12ihipStream_tbPNSt15iterator_traitsISL_E10value_typeEPNSR_ISM_E10value_typeEPSN_NS1_7vsmem_tEENKUlT_SL_SM_SN_E_clIS8_S8_S9_S9_EESK_S10_SL_SM_SN_EUlS10_E_NS1_11comp_targetILNS1_3genE9ELNS1_11target_archE1100ELNS1_3gpuE3ELNS1_3repE0EEENS1_48merge_mergepath_partition_config_static_selectorELNS0_4arch9wavefront6targetE0EEEvSM_.numbered_sgpr, 0
	.set _ZN7rocprim17ROCPRIM_400000_NS6detail17trampoline_kernelINS0_14default_configENS1_38merge_sort_block_merge_config_selectorIlNS0_10empty_typeEEEZZNS1_27merge_sort_block_merge_implIS3_PlPS5_mZN2at6native12_GLOBAL__N_124unique_dim_cuda_templateIjEESt5tupleIJNSA_6TensorESF_SF_EERKSF_lbbbEUlllE_EE10hipError_tT0_T1_T2_jT3_P12ihipStream_tbPNSt15iterator_traitsISL_E10value_typeEPNSR_ISM_E10value_typeEPSN_NS1_7vsmem_tEENKUlT_SL_SM_SN_E_clIS8_S8_S9_S9_EESK_S10_SL_SM_SN_EUlS10_E_NS1_11comp_targetILNS1_3genE9ELNS1_11target_archE1100ELNS1_3gpuE3ELNS1_3repE0EEENS1_48merge_mergepath_partition_config_static_selectorELNS0_4arch9wavefront6targetE0EEEvSM_.num_named_barrier, 0
	.set _ZN7rocprim17ROCPRIM_400000_NS6detail17trampoline_kernelINS0_14default_configENS1_38merge_sort_block_merge_config_selectorIlNS0_10empty_typeEEEZZNS1_27merge_sort_block_merge_implIS3_PlPS5_mZN2at6native12_GLOBAL__N_124unique_dim_cuda_templateIjEESt5tupleIJNSA_6TensorESF_SF_EERKSF_lbbbEUlllE_EE10hipError_tT0_T1_T2_jT3_P12ihipStream_tbPNSt15iterator_traitsISL_E10value_typeEPNSR_ISM_E10value_typeEPSN_NS1_7vsmem_tEENKUlT_SL_SM_SN_E_clIS8_S8_S9_S9_EESK_S10_SL_SM_SN_EUlS10_E_NS1_11comp_targetILNS1_3genE9ELNS1_11target_archE1100ELNS1_3gpuE3ELNS1_3repE0EEENS1_48merge_mergepath_partition_config_static_selectorELNS0_4arch9wavefront6targetE0EEEvSM_.private_seg_size, 0
	.set _ZN7rocprim17ROCPRIM_400000_NS6detail17trampoline_kernelINS0_14default_configENS1_38merge_sort_block_merge_config_selectorIlNS0_10empty_typeEEEZZNS1_27merge_sort_block_merge_implIS3_PlPS5_mZN2at6native12_GLOBAL__N_124unique_dim_cuda_templateIjEESt5tupleIJNSA_6TensorESF_SF_EERKSF_lbbbEUlllE_EE10hipError_tT0_T1_T2_jT3_P12ihipStream_tbPNSt15iterator_traitsISL_E10value_typeEPNSR_ISM_E10value_typeEPSN_NS1_7vsmem_tEENKUlT_SL_SM_SN_E_clIS8_S8_S9_S9_EESK_S10_SL_SM_SN_EUlS10_E_NS1_11comp_targetILNS1_3genE9ELNS1_11target_archE1100ELNS1_3gpuE3ELNS1_3repE0EEENS1_48merge_mergepath_partition_config_static_selectorELNS0_4arch9wavefront6targetE0EEEvSM_.uses_vcc, 0
	.set _ZN7rocprim17ROCPRIM_400000_NS6detail17trampoline_kernelINS0_14default_configENS1_38merge_sort_block_merge_config_selectorIlNS0_10empty_typeEEEZZNS1_27merge_sort_block_merge_implIS3_PlPS5_mZN2at6native12_GLOBAL__N_124unique_dim_cuda_templateIjEESt5tupleIJNSA_6TensorESF_SF_EERKSF_lbbbEUlllE_EE10hipError_tT0_T1_T2_jT3_P12ihipStream_tbPNSt15iterator_traitsISL_E10value_typeEPNSR_ISM_E10value_typeEPSN_NS1_7vsmem_tEENKUlT_SL_SM_SN_E_clIS8_S8_S9_S9_EESK_S10_SL_SM_SN_EUlS10_E_NS1_11comp_targetILNS1_3genE9ELNS1_11target_archE1100ELNS1_3gpuE3ELNS1_3repE0EEENS1_48merge_mergepath_partition_config_static_selectorELNS0_4arch9wavefront6targetE0EEEvSM_.uses_flat_scratch, 0
	.set _ZN7rocprim17ROCPRIM_400000_NS6detail17trampoline_kernelINS0_14default_configENS1_38merge_sort_block_merge_config_selectorIlNS0_10empty_typeEEEZZNS1_27merge_sort_block_merge_implIS3_PlPS5_mZN2at6native12_GLOBAL__N_124unique_dim_cuda_templateIjEESt5tupleIJNSA_6TensorESF_SF_EERKSF_lbbbEUlllE_EE10hipError_tT0_T1_T2_jT3_P12ihipStream_tbPNSt15iterator_traitsISL_E10value_typeEPNSR_ISM_E10value_typeEPSN_NS1_7vsmem_tEENKUlT_SL_SM_SN_E_clIS8_S8_S9_S9_EESK_S10_SL_SM_SN_EUlS10_E_NS1_11comp_targetILNS1_3genE9ELNS1_11target_archE1100ELNS1_3gpuE3ELNS1_3repE0EEENS1_48merge_mergepath_partition_config_static_selectorELNS0_4arch9wavefront6targetE0EEEvSM_.has_dyn_sized_stack, 0
	.set _ZN7rocprim17ROCPRIM_400000_NS6detail17trampoline_kernelINS0_14default_configENS1_38merge_sort_block_merge_config_selectorIlNS0_10empty_typeEEEZZNS1_27merge_sort_block_merge_implIS3_PlPS5_mZN2at6native12_GLOBAL__N_124unique_dim_cuda_templateIjEESt5tupleIJNSA_6TensorESF_SF_EERKSF_lbbbEUlllE_EE10hipError_tT0_T1_T2_jT3_P12ihipStream_tbPNSt15iterator_traitsISL_E10value_typeEPNSR_ISM_E10value_typeEPSN_NS1_7vsmem_tEENKUlT_SL_SM_SN_E_clIS8_S8_S9_S9_EESK_S10_SL_SM_SN_EUlS10_E_NS1_11comp_targetILNS1_3genE9ELNS1_11target_archE1100ELNS1_3gpuE3ELNS1_3repE0EEENS1_48merge_mergepath_partition_config_static_selectorELNS0_4arch9wavefront6targetE0EEEvSM_.has_recursion, 0
	.set _ZN7rocprim17ROCPRIM_400000_NS6detail17trampoline_kernelINS0_14default_configENS1_38merge_sort_block_merge_config_selectorIlNS0_10empty_typeEEEZZNS1_27merge_sort_block_merge_implIS3_PlPS5_mZN2at6native12_GLOBAL__N_124unique_dim_cuda_templateIjEESt5tupleIJNSA_6TensorESF_SF_EERKSF_lbbbEUlllE_EE10hipError_tT0_T1_T2_jT3_P12ihipStream_tbPNSt15iterator_traitsISL_E10value_typeEPNSR_ISM_E10value_typeEPSN_NS1_7vsmem_tEENKUlT_SL_SM_SN_E_clIS8_S8_S9_S9_EESK_S10_SL_SM_SN_EUlS10_E_NS1_11comp_targetILNS1_3genE9ELNS1_11target_archE1100ELNS1_3gpuE3ELNS1_3repE0EEENS1_48merge_mergepath_partition_config_static_selectorELNS0_4arch9wavefront6targetE0EEEvSM_.has_indirect_call, 0
	.section	.AMDGPU.csdata,"",@progbits
; Kernel info:
; codeLenInByte = 0
; TotalNumSgprs: 0
; NumVgprs: 0
; ScratchSize: 0
; MemoryBound: 0
; FloatMode: 240
; IeeeMode: 1
; LDSByteSize: 0 bytes/workgroup (compile time only)
; SGPRBlocks: 0
; VGPRBlocks: 0
; NumSGPRsForWavesPerEU: 1
; NumVGPRsForWavesPerEU: 1
; NamedBarCnt: 0
; Occupancy: 16
; WaveLimiterHint : 0
; COMPUTE_PGM_RSRC2:SCRATCH_EN: 0
; COMPUTE_PGM_RSRC2:USER_SGPR: 2
; COMPUTE_PGM_RSRC2:TRAP_HANDLER: 0
; COMPUTE_PGM_RSRC2:TGID_X_EN: 1
; COMPUTE_PGM_RSRC2:TGID_Y_EN: 0
; COMPUTE_PGM_RSRC2:TGID_Z_EN: 0
; COMPUTE_PGM_RSRC2:TIDIG_COMP_CNT: 0
	.section	.text._ZN7rocprim17ROCPRIM_400000_NS6detail17trampoline_kernelINS0_14default_configENS1_38merge_sort_block_merge_config_selectorIlNS0_10empty_typeEEEZZNS1_27merge_sort_block_merge_implIS3_PlPS5_mZN2at6native12_GLOBAL__N_124unique_dim_cuda_templateIjEESt5tupleIJNSA_6TensorESF_SF_EERKSF_lbbbEUlllE_EE10hipError_tT0_T1_T2_jT3_P12ihipStream_tbPNSt15iterator_traitsISL_E10value_typeEPNSR_ISM_E10value_typeEPSN_NS1_7vsmem_tEENKUlT_SL_SM_SN_E_clIS8_S8_S9_S9_EESK_S10_SL_SM_SN_EUlS10_E_NS1_11comp_targetILNS1_3genE8ELNS1_11target_archE1030ELNS1_3gpuE2ELNS1_3repE0EEENS1_48merge_mergepath_partition_config_static_selectorELNS0_4arch9wavefront6targetE0EEEvSM_,"axG",@progbits,_ZN7rocprim17ROCPRIM_400000_NS6detail17trampoline_kernelINS0_14default_configENS1_38merge_sort_block_merge_config_selectorIlNS0_10empty_typeEEEZZNS1_27merge_sort_block_merge_implIS3_PlPS5_mZN2at6native12_GLOBAL__N_124unique_dim_cuda_templateIjEESt5tupleIJNSA_6TensorESF_SF_EERKSF_lbbbEUlllE_EE10hipError_tT0_T1_T2_jT3_P12ihipStream_tbPNSt15iterator_traitsISL_E10value_typeEPNSR_ISM_E10value_typeEPSN_NS1_7vsmem_tEENKUlT_SL_SM_SN_E_clIS8_S8_S9_S9_EESK_S10_SL_SM_SN_EUlS10_E_NS1_11comp_targetILNS1_3genE8ELNS1_11target_archE1030ELNS1_3gpuE2ELNS1_3repE0EEENS1_48merge_mergepath_partition_config_static_selectorELNS0_4arch9wavefront6targetE0EEEvSM_,comdat
	.globl	_ZN7rocprim17ROCPRIM_400000_NS6detail17trampoline_kernelINS0_14default_configENS1_38merge_sort_block_merge_config_selectorIlNS0_10empty_typeEEEZZNS1_27merge_sort_block_merge_implIS3_PlPS5_mZN2at6native12_GLOBAL__N_124unique_dim_cuda_templateIjEESt5tupleIJNSA_6TensorESF_SF_EERKSF_lbbbEUlllE_EE10hipError_tT0_T1_T2_jT3_P12ihipStream_tbPNSt15iterator_traitsISL_E10value_typeEPNSR_ISM_E10value_typeEPSN_NS1_7vsmem_tEENKUlT_SL_SM_SN_E_clIS8_S8_S9_S9_EESK_S10_SL_SM_SN_EUlS10_E_NS1_11comp_targetILNS1_3genE8ELNS1_11target_archE1030ELNS1_3gpuE2ELNS1_3repE0EEENS1_48merge_mergepath_partition_config_static_selectorELNS0_4arch9wavefront6targetE0EEEvSM_ ; -- Begin function _ZN7rocprim17ROCPRIM_400000_NS6detail17trampoline_kernelINS0_14default_configENS1_38merge_sort_block_merge_config_selectorIlNS0_10empty_typeEEEZZNS1_27merge_sort_block_merge_implIS3_PlPS5_mZN2at6native12_GLOBAL__N_124unique_dim_cuda_templateIjEESt5tupleIJNSA_6TensorESF_SF_EERKSF_lbbbEUlllE_EE10hipError_tT0_T1_T2_jT3_P12ihipStream_tbPNSt15iterator_traitsISL_E10value_typeEPNSR_ISM_E10value_typeEPSN_NS1_7vsmem_tEENKUlT_SL_SM_SN_E_clIS8_S8_S9_S9_EESK_S10_SL_SM_SN_EUlS10_E_NS1_11comp_targetILNS1_3genE8ELNS1_11target_archE1030ELNS1_3gpuE2ELNS1_3repE0EEENS1_48merge_mergepath_partition_config_static_selectorELNS0_4arch9wavefront6targetE0EEEvSM_
	.p2align	8
	.type	_ZN7rocprim17ROCPRIM_400000_NS6detail17trampoline_kernelINS0_14default_configENS1_38merge_sort_block_merge_config_selectorIlNS0_10empty_typeEEEZZNS1_27merge_sort_block_merge_implIS3_PlPS5_mZN2at6native12_GLOBAL__N_124unique_dim_cuda_templateIjEESt5tupleIJNSA_6TensorESF_SF_EERKSF_lbbbEUlllE_EE10hipError_tT0_T1_T2_jT3_P12ihipStream_tbPNSt15iterator_traitsISL_E10value_typeEPNSR_ISM_E10value_typeEPSN_NS1_7vsmem_tEENKUlT_SL_SM_SN_E_clIS8_S8_S9_S9_EESK_S10_SL_SM_SN_EUlS10_E_NS1_11comp_targetILNS1_3genE8ELNS1_11target_archE1030ELNS1_3gpuE2ELNS1_3repE0EEENS1_48merge_mergepath_partition_config_static_selectorELNS0_4arch9wavefront6targetE0EEEvSM_,@function
_ZN7rocprim17ROCPRIM_400000_NS6detail17trampoline_kernelINS0_14default_configENS1_38merge_sort_block_merge_config_selectorIlNS0_10empty_typeEEEZZNS1_27merge_sort_block_merge_implIS3_PlPS5_mZN2at6native12_GLOBAL__N_124unique_dim_cuda_templateIjEESt5tupleIJNSA_6TensorESF_SF_EERKSF_lbbbEUlllE_EE10hipError_tT0_T1_T2_jT3_P12ihipStream_tbPNSt15iterator_traitsISL_E10value_typeEPNSR_ISM_E10value_typeEPSN_NS1_7vsmem_tEENKUlT_SL_SM_SN_E_clIS8_S8_S9_S9_EESK_S10_SL_SM_SN_EUlS10_E_NS1_11comp_targetILNS1_3genE8ELNS1_11target_archE1030ELNS1_3gpuE2ELNS1_3repE0EEENS1_48merge_mergepath_partition_config_static_selectorELNS0_4arch9wavefront6targetE0EEEvSM_: ; @_ZN7rocprim17ROCPRIM_400000_NS6detail17trampoline_kernelINS0_14default_configENS1_38merge_sort_block_merge_config_selectorIlNS0_10empty_typeEEEZZNS1_27merge_sort_block_merge_implIS3_PlPS5_mZN2at6native12_GLOBAL__N_124unique_dim_cuda_templateIjEESt5tupleIJNSA_6TensorESF_SF_EERKSF_lbbbEUlllE_EE10hipError_tT0_T1_T2_jT3_P12ihipStream_tbPNSt15iterator_traitsISL_E10value_typeEPNSR_ISM_E10value_typeEPSN_NS1_7vsmem_tEENKUlT_SL_SM_SN_E_clIS8_S8_S9_S9_EESK_S10_SL_SM_SN_EUlS10_E_NS1_11comp_targetILNS1_3genE8ELNS1_11target_archE1030ELNS1_3gpuE2ELNS1_3repE0EEENS1_48merge_mergepath_partition_config_static_selectorELNS0_4arch9wavefront6targetE0EEEvSM_
; %bb.0:
	.section	.rodata,"a",@progbits
	.p2align	6, 0x0
	.amdhsa_kernel _ZN7rocprim17ROCPRIM_400000_NS6detail17trampoline_kernelINS0_14default_configENS1_38merge_sort_block_merge_config_selectorIlNS0_10empty_typeEEEZZNS1_27merge_sort_block_merge_implIS3_PlPS5_mZN2at6native12_GLOBAL__N_124unique_dim_cuda_templateIjEESt5tupleIJNSA_6TensorESF_SF_EERKSF_lbbbEUlllE_EE10hipError_tT0_T1_T2_jT3_P12ihipStream_tbPNSt15iterator_traitsISL_E10value_typeEPNSR_ISM_E10value_typeEPSN_NS1_7vsmem_tEENKUlT_SL_SM_SN_E_clIS8_S8_S9_S9_EESK_S10_SL_SM_SN_EUlS10_E_NS1_11comp_targetILNS1_3genE8ELNS1_11target_archE1030ELNS1_3gpuE2ELNS1_3repE0EEENS1_48merge_mergepath_partition_config_static_selectorELNS0_4arch9wavefront6targetE0EEEvSM_
		.amdhsa_group_segment_fixed_size 0
		.amdhsa_private_segment_fixed_size 0
		.amdhsa_kernarg_size 56
		.amdhsa_user_sgpr_count 2
		.amdhsa_user_sgpr_dispatch_ptr 0
		.amdhsa_user_sgpr_queue_ptr 0
		.amdhsa_user_sgpr_kernarg_segment_ptr 1
		.amdhsa_user_sgpr_dispatch_id 0
		.amdhsa_user_sgpr_kernarg_preload_length 0
		.amdhsa_user_sgpr_kernarg_preload_offset 0
		.amdhsa_user_sgpr_private_segment_size 0
		.amdhsa_wavefront_size32 1
		.amdhsa_uses_dynamic_stack 0
		.amdhsa_enable_private_segment 0
		.amdhsa_system_sgpr_workgroup_id_x 1
		.amdhsa_system_sgpr_workgroup_id_y 0
		.amdhsa_system_sgpr_workgroup_id_z 0
		.amdhsa_system_sgpr_workgroup_info 0
		.amdhsa_system_vgpr_workitem_id 0
		.amdhsa_next_free_vgpr 1
		.amdhsa_next_free_sgpr 1
		.amdhsa_named_barrier_count 0
		.amdhsa_reserve_vcc 0
		.amdhsa_float_round_mode_32 0
		.amdhsa_float_round_mode_16_64 0
		.amdhsa_float_denorm_mode_32 3
		.amdhsa_float_denorm_mode_16_64 3
		.amdhsa_fp16_overflow 0
		.amdhsa_memory_ordered 1
		.amdhsa_forward_progress 1
		.amdhsa_inst_pref_size 0
		.amdhsa_round_robin_scheduling 0
		.amdhsa_exception_fp_ieee_invalid_op 0
		.amdhsa_exception_fp_denorm_src 0
		.amdhsa_exception_fp_ieee_div_zero 0
		.amdhsa_exception_fp_ieee_overflow 0
		.amdhsa_exception_fp_ieee_underflow 0
		.amdhsa_exception_fp_ieee_inexact 0
		.amdhsa_exception_int_div_zero 0
	.end_amdhsa_kernel
	.section	.text._ZN7rocprim17ROCPRIM_400000_NS6detail17trampoline_kernelINS0_14default_configENS1_38merge_sort_block_merge_config_selectorIlNS0_10empty_typeEEEZZNS1_27merge_sort_block_merge_implIS3_PlPS5_mZN2at6native12_GLOBAL__N_124unique_dim_cuda_templateIjEESt5tupleIJNSA_6TensorESF_SF_EERKSF_lbbbEUlllE_EE10hipError_tT0_T1_T2_jT3_P12ihipStream_tbPNSt15iterator_traitsISL_E10value_typeEPNSR_ISM_E10value_typeEPSN_NS1_7vsmem_tEENKUlT_SL_SM_SN_E_clIS8_S8_S9_S9_EESK_S10_SL_SM_SN_EUlS10_E_NS1_11comp_targetILNS1_3genE8ELNS1_11target_archE1030ELNS1_3gpuE2ELNS1_3repE0EEENS1_48merge_mergepath_partition_config_static_selectorELNS0_4arch9wavefront6targetE0EEEvSM_,"axG",@progbits,_ZN7rocprim17ROCPRIM_400000_NS6detail17trampoline_kernelINS0_14default_configENS1_38merge_sort_block_merge_config_selectorIlNS0_10empty_typeEEEZZNS1_27merge_sort_block_merge_implIS3_PlPS5_mZN2at6native12_GLOBAL__N_124unique_dim_cuda_templateIjEESt5tupleIJNSA_6TensorESF_SF_EERKSF_lbbbEUlllE_EE10hipError_tT0_T1_T2_jT3_P12ihipStream_tbPNSt15iterator_traitsISL_E10value_typeEPNSR_ISM_E10value_typeEPSN_NS1_7vsmem_tEENKUlT_SL_SM_SN_E_clIS8_S8_S9_S9_EESK_S10_SL_SM_SN_EUlS10_E_NS1_11comp_targetILNS1_3genE8ELNS1_11target_archE1030ELNS1_3gpuE2ELNS1_3repE0EEENS1_48merge_mergepath_partition_config_static_selectorELNS0_4arch9wavefront6targetE0EEEvSM_,comdat
.Lfunc_end1499:
	.size	_ZN7rocprim17ROCPRIM_400000_NS6detail17trampoline_kernelINS0_14default_configENS1_38merge_sort_block_merge_config_selectorIlNS0_10empty_typeEEEZZNS1_27merge_sort_block_merge_implIS3_PlPS5_mZN2at6native12_GLOBAL__N_124unique_dim_cuda_templateIjEESt5tupleIJNSA_6TensorESF_SF_EERKSF_lbbbEUlllE_EE10hipError_tT0_T1_T2_jT3_P12ihipStream_tbPNSt15iterator_traitsISL_E10value_typeEPNSR_ISM_E10value_typeEPSN_NS1_7vsmem_tEENKUlT_SL_SM_SN_E_clIS8_S8_S9_S9_EESK_S10_SL_SM_SN_EUlS10_E_NS1_11comp_targetILNS1_3genE8ELNS1_11target_archE1030ELNS1_3gpuE2ELNS1_3repE0EEENS1_48merge_mergepath_partition_config_static_selectorELNS0_4arch9wavefront6targetE0EEEvSM_, .Lfunc_end1499-_ZN7rocprim17ROCPRIM_400000_NS6detail17trampoline_kernelINS0_14default_configENS1_38merge_sort_block_merge_config_selectorIlNS0_10empty_typeEEEZZNS1_27merge_sort_block_merge_implIS3_PlPS5_mZN2at6native12_GLOBAL__N_124unique_dim_cuda_templateIjEESt5tupleIJNSA_6TensorESF_SF_EERKSF_lbbbEUlllE_EE10hipError_tT0_T1_T2_jT3_P12ihipStream_tbPNSt15iterator_traitsISL_E10value_typeEPNSR_ISM_E10value_typeEPSN_NS1_7vsmem_tEENKUlT_SL_SM_SN_E_clIS8_S8_S9_S9_EESK_S10_SL_SM_SN_EUlS10_E_NS1_11comp_targetILNS1_3genE8ELNS1_11target_archE1030ELNS1_3gpuE2ELNS1_3repE0EEENS1_48merge_mergepath_partition_config_static_selectorELNS0_4arch9wavefront6targetE0EEEvSM_
                                        ; -- End function
	.set _ZN7rocprim17ROCPRIM_400000_NS6detail17trampoline_kernelINS0_14default_configENS1_38merge_sort_block_merge_config_selectorIlNS0_10empty_typeEEEZZNS1_27merge_sort_block_merge_implIS3_PlPS5_mZN2at6native12_GLOBAL__N_124unique_dim_cuda_templateIjEESt5tupleIJNSA_6TensorESF_SF_EERKSF_lbbbEUlllE_EE10hipError_tT0_T1_T2_jT3_P12ihipStream_tbPNSt15iterator_traitsISL_E10value_typeEPNSR_ISM_E10value_typeEPSN_NS1_7vsmem_tEENKUlT_SL_SM_SN_E_clIS8_S8_S9_S9_EESK_S10_SL_SM_SN_EUlS10_E_NS1_11comp_targetILNS1_3genE8ELNS1_11target_archE1030ELNS1_3gpuE2ELNS1_3repE0EEENS1_48merge_mergepath_partition_config_static_selectorELNS0_4arch9wavefront6targetE0EEEvSM_.num_vgpr, 0
	.set _ZN7rocprim17ROCPRIM_400000_NS6detail17trampoline_kernelINS0_14default_configENS1_38merge_sort_block_merge_config_selectorIlNS0_10empty_typeEEEZZNS1_27merge_sort_block_merge_implIS3_PlPS5_mZN2at6native12_GLOBAL__N_124unique_dim_cuda_templateIjEESt5tupleIJNSA_6TensorESF_SF_EERKSF_lbbbEUlllE_EE10hipError_tT0_T1_T2_jT3_P12ihipStream_tbPNSt15iterator_traitsISL_E10value_typeEPNSR_ISM_E10value_typeEPSN_NS1_7vsmem_tEENKUlT_SL_SM_SN_E_clIS8_S8_S9_S9_EESK_S10_SL_SM_SN_EUlS10_E_NS1_11comp_targetILNS1_3genE8ELNS1_11target_archE1030ELNS1_3gpuE2ELNS1_3repE0EEENS1_48merge_mergepath_partition_config_static_selectorELNS0_4arch9wavefront6targetE0EEEvSM_.num_agpr, 0
	.set _ZN7rocprim17ROCPRIM_400000_NS6detail17trampoline_kernelINS0_14default_configENS1_38merge_sort_block_merge_config_selectorIlNS0_10empty_typeEEEZZNS1_27merge_sort_block_merge_implIS3_PlPS5_mZN2at6native12_GLOBAL__N_124unique_dim_cuda_templateIjEESt5tupleIJNSA_6TensorESF_SF_EERKSF_lbbbEUlllE_EE10hipError_tT0_T1_T2_jT3_P12ihipStream_tbPNSt15iterator_traitsISL_E10value_typeEPNSR_ISM_E10value_typeEPSN_NS1_7vsmem_tEENKUlT_SL_SM_SN_E_clIS8_S8_S9_S9_EESK_S10_SL_SM_SN_EUlS10_E_NS1_11comp_targetILNS1_3genE8ELNS1_11target_archE1030ELNS1_3gpuE2ELNS1_3repE0EEENS1_48merge_mergepath_partition_config_static_selectorELNS0_4arch9wavefront6targetE0EEEvSM_.numbered_sgpr, 0
	.set _ZN7rocprim17ROCPRIM_400000_NS6detail17trampoline_kernelINS0_14default_configENS1_38merge_sort_block_merge_config_selectorIlNS0_10empty_typeEEEZZNS1_27merge_sort_block_merge_implIS3_PlPS5_mZN2at6native12_GLOBAL__N_124unique_dim_cuda_templateIjEESt5tupleIJNSA_6TensorESF_SF_EERKSF_lbbbEUlllE_EE10hipError_tT0_T1_T2_jT3_P12ihipStream_tbPNSt15iterator_traitsISL_E10value_typeEPNSR_ISM_E10value_typeEPSN_NS1_7vsmem_tEENKUlT_SL_SM_SN_E_clIS8_S8_S9_S9_EESK_S10_SL_SM_SN_EUlS10_E_NS1_11comp_targetILNS1_3genE8ELNS1_11target_archE1030ELNS1_3gpuE2ELNS1_3repE0EEENS1_48merge_mergepath_partition_config_static_selectorELNS0_4arch9wavefront6targetE0EEEvSM_.num_named_barrier, 0
	.set _ZN7rocprim17ROCPRIM_400000_NS6detail17trampoline_kernelINS0_14default_configENS1_38merge_sort_block_merge_config_selectorIlNS0_10empty_typeEEEZZNS1_27merge_sort_block_merge_implIS3_PlPS5_mZN2at6native12_GLOBAL__N_124unique_dim_cuda_templateIjEESt5tupleIJNSA_6TensorESF_SF_EERKSF_lbbbEUlllE_EE10hipError_tT0_T1_T2_jT3_P12ihipStream_tbPNSt15iterator_traitsISL_E10value_typeEPNSR_ISM_E10value_typeEPSN_NS1_7vsmem_tEENKUlT_SL_SM_SN_E_clIS8_S8_S9_S9_EESK_S10_SL_SM_SN_EUlS10_E_NS1_11comp_targetILNS1_3genE8ELNS1_11target_archE1030ELNS1_3gpuE2ELNS1_3repE0EEENS1_48merge_mergepath_partition_config_static_selectorELNS0_4arch9wavefront6targetE0EEEvSM_.private_seg_size, 0
	.set _ZN7rocprim17ROCPRIM_400000_NS6detail17trampoline_kernelINS0_14default_configENS1_38merge_sort_block_merge_config_selectorIlNS0_10empty_typeEEEZZNS1_27merge_sort_block_merge_implIS3_PlPS5_mZN2at6native12_GLOBAL__N_124unique_dim_cuda_templateIjEESt5tupleIJNSA_6TensorESF_SF_EERKSF_lbbbEUlllE_EE10hipError_tT0_T1_T2_jT3_P12ihipStream_tbPNSt15iterator_traitsISL_E10value_typeEPNSR_ISM_E10value_typeEPSN_NS1_7vsmem_tEENKUlT_SL_SM_SN_E_clIS8_S8_S9_S9_EESK_S10_SL_SM_SN_EUlS10_E_NS1_11comp_targetILNS1_3genE8ELNS1_11target_archE1030ELNS1_3gpuE2ELNS1_3repE0EEENS1_48merge_mergepath_partition_config_static_selectorELNS0_4arch9wavefront6targetE0EEEvSM_.uses_vcc, 0
	.set _ZN7rocprim17ROCPRIM_400000_NS6detail17trampoline_kernelINS0_14default_configENS1_38merge_sort_block_merge_config_selectorIlNS0_10empty_typeEEEZZNS1_27merge_sort_block_merge_implIS3_PlPS5_mZN2at6native12_GLOBAL__N_124unique_dim_cuda_templateIjEESt5tupleIJNSA_6TensorESF_SF_EERKSF_lbbbEUlllE_EE10hipError_tT0_T1_T2_jT3_P12ihipStream_tbPNSt15iterator_traitsISL_E10value_typeEPNSR_ISM_E10value_typeEPSN_NS1_7vsmem_tEENKUlT_SL_SM_SN_E_clIS8_S8_S9_S9_EESK_S10_SL_SM_SN_EUlS10_E_NS1_11comp_targetILNS1_3genE8ELNS1_11target_archE1030ELNS1_3gpuE2ELNS1_3repE0EEENS1_48merge_mergepath_partition_config_static_selectorELNS0_4arch9wavefront6targetE0EEEvSM_.uses_flat_scratch, 0
	.set _ZN7rocprim17ROCPRIM_400000_NS6detail17trampoline_kernelINS0_14default_configENS1_38merge_sort_block_merge_config_selectorIlNS0_10empty_typeEEEZZNS1_27merge_sort_block_merge_implIS3_PlPS5_mZN2at6native12_GLOBAL__N_124unique_dim_cuda_templateIjEESt5tupleIJNSA_6TensorESF_SF_EERKSF_lbbbEUlllE_EE10hipError_tT0_T1_T2_jT3_P12ihipStream_tbPNSt15iterator_traitsISL_E10value_typeEPNSR_ISM_E10value_typeEPSN_NS1_7vsmem_tEENKUlT_SL_SM_SN_E_clIS8_S8_S9_S9_EESK_S10_SL_SM_SN_EUlS10_E_NS1_11comp_targetILNS1_3genE8ELNS1_11target_archE1030ELNS1_3gpuE2ELNS1_3repE0EEENS1_48merge_mergepath_partition_config_static_selectorELNS0_4arch9wavefront6targetE0EEEvSM_.has_dyn_sized_stack, 0
	.set _ZN7rocprim17ROCPRIM_400000_NS6detail17trampoline_kernelINS0_14default_configENS1_38merge_sort_block_merge_config_selectorIlNS0_10empty_typeEEEZZNS1_27merge_sort_block_merge_implIS3_PlPS5_mZN2at6native12_GLOBAL__N_124unique_dim_cuda_templateIjEESt5tupleIJNSA_6TensorESF_SF_EERKSF_lbbbEUlllE_EE10hipError_tT0_T1_T2_jT3_P12ihipStream_tbPNSt15iterator_traitsISL_E10value_typeEPNSR_ISM_E10value_typeEPSN_NS1_7vsmem_tEENKUlT_SL_SM_SN_E_clIS8_S8_S9_S9_EESK_S10_SL_SM_SN_EUlS10_E_NS1_11comp_targetILNS1_3genE8ELNS1_11target_archE1030ELNS1_3gpuE2ELNS1_3repE0EEENS1_48merge_mergepath_partition_config_static_selectorELNS0_4arch9wavefront6targetE0EEEvSM_.has_recursion, 0
	.set _ZN7rocprim17ROCPRIM_400000_NS6detail17trampoline_kernelINS0_14default_configENS1_38merge_sort_block_merge_config_selectorIlNS0_10empty_typeEEEZZNS1_27merge_sort_block_merge_implIS3_PlPS5_mZN2at6native12_GLOBAL__N_124unique_dim_cuda_templateIjEESt5tupleIJNSA_6TensorESF_SF_EERKSF_lbbbEUlllE_EE10hipError_tT0_T1_T2_jT3_P12ihipStream_tbPNSt15iterator_traitsISL_E10value_typeEPNSR_ISM_E10value_typeEPSN_NS1_7vsmem_tEENKUlT_SL_SM_SN_E_clIS8_S8_S9_S9_EESK_S10_SL_SM_SN_EUlS10_E_NS1_11comp_targetILNS1_3genE8ELNS1_11target_archE1030ELNS1_3gpuE2ELNS1_3repE0EEENS1_48merge_mergepath_partition_config_static_selectorELNS0_4arch9wavefront6targetE0EEEvSM_.has_indirect_call, 0
	.section	.AMDGPU.csdata,"",@progbits
; Kernel info:
; codeLenInByte = 0
; TotalNumSgprs: 0
; NumVgprs: 0
; ScratchSize: 0
; MemoryBound: 0
; FloatMode: 240
; IeeeMode: 1
; LDSByteSize: 0 bytes/workgroup (compile time only)
; SGPRBlocks: 0
; VGPRBlocks: 0
; NumSGPRsForWavesPerEU: 1
; NumVGPRsForWavesPerEU: 1
; NamedBarCnt: 0
; Occupancy: 16
; WaveLimiterHint : 0
; COMPUTE_PGM_RSRC2:SCRATCH_EN: 0
; COMPUTE_PGM_RSRC2:USER_SGPR: 2
; COMPUTE_PGM_RSRC2:TRAP_HANDLER: 0
; COMPUTE_PGM_RSRC2:TGID_X_EN: 1
; COMPUTE_PGM_RSRC2:TGID_Y_EN: 0
; COMPUTE_PGM_RSRC2:TGID_Z_EN: 0
; COMPUTE_PGM_RSRC2:TIDIG_COMP_CNT: 0
	.section	.text._ZN7rocprim17ROCPRIM_400000_NS6detail17trampoline_kernelINS0_14default_configENS1_38merge_sort_block_merge_config_selectorIlNS0_10empty_typeEEEZZNS1_27merge_sort_block_merge_implIS3_PlPS5_mZN2at6native12_GLOBAL__N_124unique_dim_cuda_templateIjEESt5tupleIJNSA_6TensorESF_SF_EERKSF_lbbbEUlllE_EE10hipError_tT0_T1_T2_jT3_P12ihipStream_tbPNSt15iterator_traitsISL_E10value_typeEPNSR_ISM_E10value_typeEPSN_NS1_7vsmem_tEENKUlT_SL_SM_SN_E_clIS8_S8_S9_S9_EESK_S10_SL_SM_SN_EUlS10_E0_NS1_11comp_targetILNS1_3genE0ELNS1_11target_archE4294967295ELNS1_3gpuE0ELNS1_3repE0EEENS1_38merge_mergepath_config_static_selectorELNS0_4arch9wavefront6targetE0EEEvSM_,"axG",@progbits,_ZN7rocprim17ROCPRIM_400000_NS6detail17trampoline_kernelINS0_14default_configENS1_38merge_sort_block_merge_config_selectorIlNS0_10empty_typeEEEZZNS1_27merge_sort_block_merge_implIS3_PlPS5_mZN2at6native12_GLOBAL__N_124unique_dim_cuda_templateIjEESt5tupleIJNSA_6TensorESF_SF_EERKSF_lbbbEUlllE_EE10hipError_tT0_T1_T2_jT3_P12ihipStream_tbPNSt15iterator_traitsISL_E10value_typeEPNSR_ISM_E10value_typeEPSN_NS1_7vsmem_tEENKUlT_SL_SM_SN_E_clIS8_S8_S9_S9_EESK_S10_SL_SM_SN_EUlS10_E0_NS1_11comp_targetILNS1_3genE0ELNS1_11target_archE4294967295ELNS1_3gpuE0ELNS1_3repE0EEENS1_38merge_mergepath_config_static_selectorELNS0_4arch9wavefront6targetE0EEEvSM_,comdat
	.globl	_ZN7rocprim17ROCPRIM_400000_NS6detail17trampoline_kernelINS0_14default_configENS1_38merge_sort_block_merge_config_selectorIlNS0_10empty_typeEEEZZNS1_27merge_sort_block_merge_implIS3_PlPS5_mZN2at6native12_GLOBAL__N_124unique_dim_cuda_templateIjEESt5tupleIJNSA_6TensorESF_SF_EERKSF_lbbbEUlllE_EE10hipError_tT0_T1_T2_jT3_P12ihipStream_tbPNSt15iterator_traitsISL_E10value_typeEPNSR_ISM_E10value_typeEPSN_NS1_7vsmem_tEENKUlT_SL_SM_SN_E_clIS8_S8_S9_S9_EESK_S10_SL_SM_SN_EUlS10_E0_NS1_11comp_targetILNS1_3genE0ELNS1_11target_archE4294967295ELNS1_3gpuE0ELNS1_3repE0EEENS1_38merge_mergepath_config_static_selectorELNS0_4arch9wavefront6targetE0EEEvSM_ ; -- Begin function _ZN7rocprim17ROCPRIM_400000_NS6detail17trampoline_kernelINS0_14default_configENS1_38merge_sort_block_merge_config_selectorIlNS0_10empty_typeEEEZZNS1_27merge_sort_block_merge_implIS3_PlPS5_mZN2at6native12_GLOBAL__N_124unique_dim_cuda_templateIjEESt5tupleIJNSA_6TensorESF_SF_EERKSF_lbbbEUlllE_EE10hipError_tT0_T1_T2_jT3_P12ihipStream_tbPNSt15iterator_traitsISL_E10value_typeEPNSR_ISM_E10value_typeEPSN_NS1_7vsmem_tEENKUlT_SL_SM_SN_E_clIS8_S8_S9_S9_EESK_S10_SL_SM_SN_EUlS10_E0_NS1_11comp_targetILNS1_3genE0ELNS1_11target_archE4294967295ELNS1_3gpuE0ELNS1_3repE0EEENS1_38merge_mergepath_config_static_selectorELNS0_4arch9wavefront6targetE0EEEvSM_
	.p2align	8
	.type	_ZN7rocprim17ROCPRIM_400000_NS6detail17trampoline_kernelINS0_14default_configENS1_38merge_sort_block_merge_config_selectorIlNS0_10empty_typeEEEZZNS1_27merge_sort_block_merge_implIS3_PlPS5_mZN2at6native12_GLOBAL__N_124unique_dim_cuda_templateIjEESt5tupleIJNSA_6TensorESF_SF_EERKSF_lbbbEUlllE_EE10hipError_tT0_T1_T2_jT3_P12ihipStream_tbPNSt15iterator_traitsISL_E10value_typeEPNSR_ISM_E10value_typeEPSN_NS1_7vsmem_tEENKUlT_SL_SM_SN_E_clIS8_S8_S9_S9_EESK_S10_SL_SM_SN_EUlS10_E0_NS1_11comp_targetILNS1_3genE0ELNS1_11target_archE4294967295ELNS1_3gpuE0ELNS1_3repE0EEENS1_38merge_mergepath_config_static_selectorELNS0_4arch9wavefront6targetE0EEEvSM_,@function
_ZN7rocprim17ROCPRIM_400000_NS6detail17trampoline_kernelINS0_14default_configENS1_38merge_sort_block_merge_config_selectorIlNS0_10empty_typeEEEZZNS1_27merge_sort_block_merge_implIS3_PlPS5_mZN2at6native12_GLOBAL__N_124unique_dim_cuda_templateIjEESt5tupleIJNSA_6TensorESF_SF_EERKSF_lbbbEUlllE_EE10hipError_tT0_T1_T2_jT3_P12ihipStream_tbPNSt15iterator_traitsISL_E10value_typeEPNSR_ISM_E10value_typeEPSN_NS1_7vsmem_tEENKUlT_SL_SM_SN_E_clIS8_S8_S9_S9_EESK_S10_SL_SM_SN_EUlS10_E0_NS1_11comp_targetILNS1_3genE0ELNS1_11target_archE4294967295ELNS1_3gpuE0ELNS1_3repE0EEENS1_38merge_mergepath_config_static_selectorELNS0_4arch9wavefront6targetE0EEEvSM_: ; @_ZN7rocprim17ROCPRIM_400000_NS6detail17trampoline_kernelINS0_14default_configENS1_38merge_sort_block_merge_config_selectorIlNS0_10empty_typeEEEZZNS1_27merge_sort_block_merge_implIS3_PlPS5_mZN2at6native12_GLOBAL__N_124unique_dim_cuda_templateIjEESt5tupleIJNSA_6TensorESF_SF_EERKSF_lbbbEUlllE_EE10hipError_tT0_T1_T2_jT3_P12ihipStream_tbPNSt15iterator_traitsISL_E10value_typeEPNSR_ISM_E10value_typeEPSN_NS1_7vsmem_tEENKUlT_SL_SM_SN_E_clIS8_S8_S9_S9_EESK_S10_SL_SM_SN_EUlS10_E0_NS1_11comp_targetILNS1_3genE0ELNS1_11target_archE4294967295ELNS1_3gpuE0ELNS1_3repE0EEENS1_38merge_mergepath_config_static_selectorELNS0_4arch9wavefront6targetE0EEEvSM_
; %bb.0:
	s_bfe_u32 s2, ttmp6, 0x40010
	s_and_b32 s4, ttmp7, 0xffff
	s_add_co_i32 s5, s2, 1
	s_clause 0x1
	s_load_b32 s6, s[0:1], 0x38
	s_load_b64 s[2:3], s[0:1], 0x58
	s_bfe_u32 s8, ttmp6, 0x4000c
	s_mul_i32 s5, s4, s5
	s_bfe_u32 s7, ttmp6, 0x40004
	s_add_co_i32 s8, s8, 1
	s_bfe_u32 s9, ttmp6, 0x40014
	s_add_co_i32 s7, s7, s5
	s_and_b32 s5, ttmp6, 15
	s_mul_i32 s8, ttmp9, s8
	s_lshr_b32 s10, ttmp7, 16
	s_add_co_i32 s9, s9, 1
	s_add_co_i32 s5, s5, s8
	s_mul_i32 s8, s10, s9
	s_bfe_u32 s9, ttmp6, 0x40008
	s_getreg_b32 s11, hwreg(HW_REG_IB_STS2, 6, 4)
	s_add_co_i32 s9, s9, s8
	s_cmp_eq_u32 s11, 0
	s_mov_b32 s19, 0
	s_cselect_b32 s8, s10, s9
	s_cselect_b32 s4, s4, s7
	s_wait_kmcnt 0x0
	s_mul_i32 s8, s3, s8
	s_cselect_b32 s3, ttmp9, s5
	s_add_co_i32 s4, s8, s4
	s_delay_alu instid0(SALU_CYCLE_1) | instskip(NEXT) | instid1(SALU_CYCLE_1)
	s_mul_i32 s4, s4, s2
	s_add_co_i32 s18, s4, s3
	s_delay_alu instid0(SALU_CYCLE_1)
	s_cmp_ge_u32 s18, s6
	s_cbranch_scc1 .LBB1500_139
; %bb.1:
	s_clause 0x1
	s_load_b64 s[4:5], s[0:1], 0x50
	s_load_b128 s[8:11], s[0:1], 0x28
	s_lshl_b64 s[6:7], s[18:19], 3
	s_mov_b32 s23, s19
	s_add_nc_u64 s[20:21], s[0:1], 0x58
	s_wait_kmcnt 0x0
	s_add_nc_u64 s[16:17], s[4:5], s[6:7]
	s_load_b128 s[12:15], s[16:17], 0x0
	s_load_b128 s[4:7], s[0:1], 0x8
	s_wait_xcnt 0x0
	s_lshr_b64 s[16:17], s[10:11], 9
	s_delay_alu instid0(SALU_CYCLE_1) | instskip(NEXT) | instid1(SALU_CYCLE_1)
	s_and_b32 s16, s16, -2
	s_sub_co_i32 s30, 0, s16
	s_lshl_b64 s[16:17], s[18:19], 10
	s_and_b32 s22, s18, s30
	s_or_b32 s30, s18, s30
	s_lshl_b64 s[24:25], s[22:23], 10
	s_lshl_b64 s[22:23], s[22:23], 11
	s_sub_nc_u64 s[28:29], s[16:17], s[24:25]
	s_add_nc_u64 s[26:27], s[22:23], s[10:11]
	s_cmp_lg_u32 s30, -1
	s_add_nc_u64 s[22:23], s[26:27], s[28:29]
	s_mov_b32 s28, -1
	s_cbranch_scc0 .LBB1500_3
; %bb.2:
	s_wait_kmcnt 0x0
	s_sub_nc_u64 s[10:11], s[22:23], s[14:15]
	v_mov_b64_e32 v[2:3], s[14:15]
	s_add_nc_u64 s[10:11], s[10:11], 0x400
	s_branch .LBB1500_4
.LBB1500_3:
	s_wait_kmcnt 0x0
	s_sub_nc_u64 s[14:15], s[26:27], s[24:25]
	s_delay_alu instid0(SALU_CYCLE_1)
	v_min_u64 v[2:3], s[8:9], s[14:15]
	s_add_nc_u64 s[10:11], s[14:15], s[10:11]
.LBB1500_4:
	v_mov_b32_e32 v21, 0
	v_min_u64 v[4:5], s[8:9], s[10:11]
	s_sub_nc_u64 s[10:11], s[22:23], s[12:13]
	v_lshlrev_b32_e32 v20, 3, v0
	v_min_u64 v[6:7], s[8:9], s[10:11]
	global_load_b32 v1, v21, s[20:21] offset:14
	s_lshr_b64 s[10:11], s[8:9], 10
	s_delay_alu instid0(SALU_CYCLE_1)
	s_cmp_lg_u64 s[10:11], s[18:19]
	s_cselect_b32 s9, -1, 0
	s_lshl_b64 s[14:15], s[12:13], 3
	s_cmp_lt_u32 s3, s2
	s_mov_b32 s3, 0
	s_cselect_b32 s2, 12, 18
	s_cmp_eq_u64 s[10:11], s[18:19]
	s_add_nc_u64 s[2:3], s[20:21], s[2:3]
	s_add_nc_u64 s[10:11], s[4:5], s[14:15]
	s_load_u16 s2, s[2:3], 0x0
	v_lshlrev_b64_e32 v[8:9], 3, v[6:7]
	v_sub_nc_u32_e32 v24, v4, v6
	s_delay_alu instid0(VALU_DEP_2) | instskip(SKIP_3) | instid1(VALU_DEP_1)
	v_add_nc_u64_e32 v[22:23], s[4:5], v[8:9]
	s_wait_loadcnt 0x0
	v_lshrrev_b32_e32 v3, 16, v1
	v_and_b32_e32 v1, 0xffff, v1
	v_mul_lo_u32 v1, v1, v3
	s_wait_kmcnt 0x0
	s_delay_alu instid0(VALU_DEP_1)
	v_mul_lo_u32 v25, v1, s2
	v_subrev_nc_u32_e32 v1, s12, v2
	s_cbranch_scc1 .LBB1500_6
; %bb.5:
	s_delay_alu instid0(VALU_DEP_1) | instskip(SKIP_3) | instid1(VALU_DEP_3)
	v_sub_co_u32 v4, vcc_lo, v0, v1
	v_dual_mov_b32 v5, v21 :: v_dual_mov_b32 v7, v21
	v_add_nc_u64_e32 v[2:3], s[10:11], v[20:21]
	v_dual_mov_b32 v17, v21 :: v_dual_mov_b32 v19, v21
	v_lshl_add_u64 v[4:5], v[4:5], 3, v[22:23]
	v_add_nc_u32_e32 v6, v25, v0
	s_delay_alu instid0(VALU_DEP_2) | instskip(NEXT) | instid1(VALU_DEP_2)
	v_dual_add_nc_u32 v36, v1, v24 :: v_dual_cndmask_b32 v2, v4, v2, vcc_lo
	v_lshl_add_u64 v[8:9], v[6:7], 3, s[10:11]
	v_sub_co_u32 v10, s2, v6, v1
	v_dual_mov_b32 v11, v21 :: v_dual_add_nc_u32 v6, v6, v25
	v_cndmask_b32_e32 v3, v5, v3, vcc_lo
	s_delay_alu instid0(VALU_DEP_2) | instskip(NEXT) | instid1(VALU_DEP_3)
	v_lshl_add_u64 v[4:5], v[10:11], 3, v[22:23]
	v_lshl_add_u64 v[10:11], v[6:7], 3, s[10:11]
	v_sub_co_u32 v12, vcc_lo, v6, v1
	s_delay_alu instid0(VALU_DEP_3) | instskip(SKIP_3) | instid1(VALU_DEP_4)
	v_dual_mov_b32 v13, v21 :: v_dual_cndmask_b32 v4, v4, v8, s2
	v_add_nc_u32_e32 v6, v6, v25
	v_cndmask_b32_e64 v5, v5, v9, s2
	v_mov_b32_e32 v15, v21
	v_lshl_add_u64 v[8:9], v[12:13], 3, v[22:23]
	global_load_b64 v[2:3], v[2:3], off
	v_lshl_add_u64 v[12:13], v[6:7], 3, s[10:11]
	v_sub_co_u32 v14, s2, v6, v1
	v_dual_cndmask_b32 v9, v9, v11 :: v_dual_add_nc_u32 v6, v6, v25
	v_cndmask_b32_e32 v8, v8, v10, vcc_lo
	s_delay_alu instid0(VALU_DEP_3) | instskip(SKIP_4) | instid1(VALU_DEP_3)
	v_lshl_add_u64 v[10:11], v[14:15], 3, v[22:23]
	global_load_b64 v[4:5], v[4:5], off
	v_add_nc_u32_e32 v18, v6, v25
	v_sub_co_u32 v16, vcc_lo, v6, v1
	v_dual_cndmask_b32 v27, v11, v13, s2 :: v_dual_cndmask_b32 v26, v10, v12, s2
	v_dual_mov_b32 v13, v21 :: v_dual_add_nc_u32 v12, v18, v25
	v_lshl_add_u64 v[14:15], v[6:7], 3, s[10:11]
	global_load_b64 v[6:7], v[8:9], off
	s_wait_xcnt 0x0
	v_lshl_add_u64 v[8:9], v[16:17], 3, v[22:23]
	v_lshl_add_u64 v[10:11], v[18:19], 3, s[10:11]
	v_sub_co_u32 v16, s2, v18, v1
	s_delay_alu instid0(VALU_DEP_3) | instskip(SKIP_2) | instid1(VALU_DEP_3)
	v_dual_cndmask_b32 v33, v9, v15 :: v_dual_add_nc_u32 v18, v12, v25
	v_lshl_add_u64 v[28:29], v[12:13], 3, s[10:11]
	v_sub_co_u32 v12, s3, v12, v1
	v_lshl_add_u64 v[30:31], v[18:19], 3, s[10:11]
	v_sub_co_u32 v18, s4, v18, v1
	v_lshl_add_u64 v[16:17], v[16:17], 3, v[22:23]
	s_delay_alu instid0(VALU_DEP_4) | instskip(SKIP_1) | instid1(VALU_DEP_4)
	v_lshl_add_u64 v[12:13], v[12:13], 3, v[22:23]
	v_cndmask_b32_e32 v32, v8, v14, vcc_lo
	v_lshl_add_u64 v[8:9], v[18:19], 3, v[22:23]
	s_delay_alu instid0(VALU_DEP_4) | instskip(NEXT) | instid1(VALU_DEP_4)
	v_dual_cndmask_b32 v19, v17, v11, s2 :: v_dual_cndmask_b32 v18, v16, v10, s2
	v_dual_cndmask_b32 v29, v13, v29, s3 :: v_dual_cndmask_b32 v28, v12, v28, s3
	s_delay_alu instid0(VALU_DEP_3)
	v_dual_cndmask_b32 v31, v9, v31, s4 :: v_dual_cndmask_b32 v30, v8, v30, s4
	global_load_b64 v[8:9], v[26:27], off
	global_load_b64 v[10:11], v[32:33], off
	;; [unrolled: 1-line block ×5, first 2 shown]
	s_cbranch_execz .LBB1500_7
	s_branch .LBB1500_24
.LBB1500_6:
                                        ; implicit-def: $vgpr2_vgpr3_vgpr4_vgpr5_vgpr6_vgpr7_vgpr8_vgpr9_vgpr10_vgpr11_vgpr12_vgpr13_vgpr14_vgpr15_vgpr16_vgpr17
                                        ; implicit-def: $vgpr36
	s_and_not1_b32 vcc_lo, exec_lo, s28
	s_cbranch_vccnz .LBB1500_24
.LBB1500_7:
	s_wait_loadcnt 0x7
	v_dual_add_nc_u32 v36, v1, v24 :: v_dual_mov_b32 v2, 0
	s_mov_b32 s2, exec_lo
	s_wait_loadcnt 0x6
	s_delay_alu instid0(VALU_DEP_1)
	v_dual_mov_b32 v3, v2 :: v_dual_mov_b32 v4, v2
	s_wait_loadcnt 0x5
	v_dual_mov_b32 v5, v2 :: v_dual_mov_b32 v6, v2
	s_wait_loadcnt 0x4
	;; [unrolled: 2-line block ×6, first 2 shown]
	v_dual_mov_b32 v15, v2 :: v_dual_mov_b32 v16, v2
	v_mov_b32_e32 v17, v2
	v_cmpx_lt_u32_e64 v0, v36
	s_cbranch_execz .LBB1500_9
; %bb.8:
	v_dual_mov_b32 v21, v2 :: v_dual_mov_b32 v5, v2
	v_sub_co_u32 v4, vcc_lo, v0, v1
	v_dual_mov_b32 v18, v2 :: v_dual_mov_b32 v19, v2
	s_delay_alu instid0(VALU_DEP_3) | instskip(NEXT) | instid1(VALU_DEP_3)
	v_add_nc_u64_e32 v[6:7], s[10:11], v[20:21]
	v_lshl_add_u64 v[4:5], v[4:5], 3, v[22:23]
	v_dual_mov_b32 v8, v2 :: v_dual_mov_b32 v9, v2
	v_dual_mov_b32 v10, v2 :: v_dual_mov_b32 v11, v2
	;; [unrolled: 1-line block ×3, first 2 shown]
	s_delay_alu instid0(VALU_DEP_4)
	v_dual_cndmask_b32 v5, v5, v7 :: v_dual_cndmask_b32 v4, v4, v6
	v_dual_mov_b32 v6, v2 :: v_dual_mov_b32 v7, v2
	v_dual_mov_b32 v14, v2 :: v_dual_mov_b32 v15, v2
	global_load_b64 v[4:5], v[4:5], off
	v_dual_mov_b32 v16, v2 :: v_dual_mov_b32 v17, v2
	s_wait_loadcnt 0x0
	v_mov_b64_e32 v[2:3], v[4:5]
	v_mov_b64_e32 v[4:5], v[6:7]
	;; [unrolled: 1-line block ×8, first 2 shown]
.LBB1500_9:
	s_or_b32 exec_lo, exec_lo, s2
	v_add_nc_u32_e32 v18, v25, v0
	s_mov_b32 s2, exec_lo
	s_delay_alu instid0(VALU_DEP_1)
	v_cmpx_lt_u32_e64 v18, v36
	s_cbranch_execz .LBB1500_11
; %bb.10:
	v_sub_co_u32 v26, vcc_lo, v18, v1
	v_mov_b32_e32 v19, 0
	s_delay_alu instid0(VALU_DEP_1) | instskip(SKIP_1) | instid1(VALU_DEP_1)
	v_lshl_add_u64 v[4:5], v[18:19], 3, s[10:11]
	v_mov_b32_e32 v27, v19
	v_lshl_add_u64 v[26:27], v[26:27], 3, v[22:23]
	s_delay_alu instid0(VALU_DEP_1)
	v_dual_cndmask_b32 v5, v27, v5 :: v_dual_cndmask_b32 v4, v26, v4
	global_load_b64 v[4:5], v[4:5], off
.LBB1500_11:
	s_wait_xcnt 0x0
	s_or_b32 exec_lo, exec_lo, s2
	v_add_nc_u32_e32 v18, v18, v25
	s_mov_b32 s2, exec_lo
	s_delay_alu instid0(VALU_DEP_1)
	v_cmpx_lt_u32_e64 v18, v36
	s_cbranch_execz .LBB1500_13
; %bb.12:
	v_sub_co_u32 v26, vcc_lo, v18, v1
	v_mov_b32_e32 v19, 0
	s_delay_alu instid0(VALU_DEP_1) | instskip(SKIP_1) | instid1(VALU_DEP_1)
	v_lshl_add_u64 v[6:7], v[18:19], 3, s[10:11]
	v_mov_b32_e32 v27, v19
	v_lshl_add_u64 v[26:27], v[26:27], 3, v[22:23]
	s_delay_alu instid0(VALU_DEP_1)
	v_dual_cndmask_b32 v7, v27, v7 :: v_dual_cndmask_b32 v6, v26, v6
	global_load_b64 v[6:7], v[6:7], off
.LBB1500_13:
	s_wait_xcnt 0x0
	;; [unrolled: 18-line block ×6, first 2 shown]
	s_or_b32 exec_lo, exec_lo, s2
	v_add_nc_u32_e32 v18, v18, v25
	s_mov_b32 s2, exec_lo
	s_delay_alu instid0(VALU_DEP_1)
	v_cmpx_lt_u32_e64 v18, v36
	s_cbranch_execz .LBB1500_23
; %bb.22:
	v_mov_b32_e32 v19, 0
	s_delay_alu instid0(VALU_DEP_1) | instskip(SKIP_1) | instid1(VALU_DEP_1)
	v_lshl_add_u64 v[16:17], v[18:19], 3, s[10:11]
	v_sub_co_u32 v18, vcc_lo, v18, v1
	v_lshl_add_u64 v[18:19], v[18:19], 3, v[22:23]
	s_delay_alu instid0(VALU_DEP_1)
	v_dual_cndmask_b32 v17, v19, v17 :: v_dual_cndmask_b32 v16, v18, v16
	global_load_b64 v[16:17], v[16:17], off
.LBB1500_23:
	s_wait_xcnt 0x0
	s_or_b32 exec_lo, exec_lo, s2
.LBB1500_24:
	s_load_b128 s[12:15], s[0:1], 0x40
	v_min_u32_e32 v25, v36, v20
	s_wait_xcnt 0x0
	s_mov_b32 s1, exec_lo
	s_wait_loadcnt 0x0
	ds_store_2addr_stride64_b64 v20, v[2:3], v[4:5] offset1:2
	ds_store_2addr_stride64_b64 v20, v[6:7], v[8:9] offset0:4 offset1:6
	ds_store_2addr_stride64_b64 v20, v[10:11], v[12:13] offset0:8 offset1:10
	;; [unrolled: 1-line block ×3, first 2 shown]
	s_wait_dscnt 0x0
	s_barrier_signal -1
	v_sub_nc_u32_e64 v21, v25, v24 clamp
	v_min_u32_e32 v24, v25, v1
	s_barrier_wait -1
	s_delay_alu instid0(VALU_DEP_1)
	v_cmpx_lt_u32_e64 v21, v24
	s_cbranch_execz .LBB1500_34
; %bb.25:
	v_lshlrev_b32_e32 v18, 3, v25
	s_wait_kmcnt 0x0
	v_cmp_gt_i64_e64 s10, s[12:13], 0
	s_lshl_b64 s[2:3], s[12:13], 2
	s_mov_b32 s11, 0
	v_lshl_add_u32 v26, v1, 3, v18
	s_branch .LBB1500_28
.LBB1500_26:                            ;   in Loop: Header=BB1500_28 Depth=1
	s_or_b32 exec_lo, exec_lo, s19
.LBB1500_27:                            ;   in Loop: Header=BB1500_28 Depth=1
	s_delay_alu instid0(VALU_DEP_1) | instskip(NEXT) | instid1(VALU_DEP_1)
	v_dual_add_nc_u32 v18, 1, v27 :: v_dual_cndmask_b32 v24, v24, v27, s18
	v_cndmask_b32_e64 v21, v18, v21, s18
	s_delay_alu instid0(VALU_DEP_1) | instskip(SKIP_1) | instid1(SALU_CYCLE_1)
	v_cmp_ge_u32_e32 vcc_lo, v21, v24
	s_or_b32 s11, vcc_lo, s11
	s_and_not1_b32 exec_lo, exec_lo, s11
	s_cbranch_execz .LBB1500_33
.LBB1500_28:                            ; =>This Loop Header: Depth=1
                                        ;     Child Loop BB1500_31 Depth 2
	v_add_nc_u32_e32 v18, v24, v21
	s_and_not1_b32 vcc_lo, exec_lo, s10
	s_mov_b32 s18, 0
	s_delay_alu instid0(VALU_DEP_1)
	v_lshrrev_b32_e32 v27, 1, v18
	s_cbranch_vccnz .LBB1500_27
; %bb.29:                               ;   in Loop: Header=BB1500_28 Depth=1
	s_delay_alu instid0(VALU_DEP_1) | instskip(SKIP_3) | instid1(VALU_DEP_2)
	v_not_b32_e32 v18, v27
	v_lshlrev_b32_e32 v19, 3, v27
	s_mov_b32 s19, 0
	s_mov_b64 s[4:5], s[12:13]
                                        ; implicit-def: $sgpr18
                                        ; implicit-def: $sgpr20
                                        ; implicit-def: $sgpr21
                                        ; implicit-def: $sgpr22
	v_lshl_add_u32 v18, v18, 3, v26
	ds_load_b64 v[28:29], v18
	ds_load_b64 v[30:31], v19
	s_wait_dscnt 0x1
	v_mad_nc_u64_u32 v[18:19], s2, v28, s[14:15]
	s_wait_dscnt 0x0
	v_mad_nc_u64_u32 v[22:23], s2, v30, s[14:15]
	s_delay_alu instid0(VALU_DEP_2) | instskip(NEXT) | instid1(VALU_DEP_2)
	v_mad_u32 v19, s3, v28, v19
	v_mad_u32 v23, s3, v30, v23
	s_delay_alu instid0(VALU_DEP_2) | instskip(NEXT) | instid1(VALU_DEP_2)
	v_mad_u32 v19, s2, v29, v19
	v_mad_u32 v23, s2, v31, v23
	s_branch .LBB1500_31
.LBB1500_30:                            ;   in Loop: Header=BB1500_31 Depth=2
	s_or_b32 exec_lo, exec_lo, s23
	s_delay_alu instid0(SALU_CYCLE_1) | instskip(NEXT) | instid1(SALU_CYCLE_1)
	s_and_b32 s23, exec_lo, s20
	s_or_b32 s19, s23, s19
	s_and_not1_b32 s22, s22, exec_lo
	s_and_b32 s0, s0, exec_lo
	s_and_not1_b32 s18, s18, exec_lo
	s_and_b32 s23, s21, exec_lo
	s_or_b32 s22, s22, s0
	s_or_b32 s18, s18, s23
	s_and_not1_b32 exec_lo, exec_lo, s19
	s_cbranch_execz .LBB1500_26
.LBB1500_31:                            ;   Parent Loop BB1500_28 Depth=1
                                        ; =>  This Inner Loop Header: Depth=2
	global_load_b32 v28, v[18:19], off
	global_load_b32 v29, v[22:23], off
	s_and_not1_b32 s21, s21, exec_lo
	s_or_b32 s20, s20, exec_lo
	s_wait_loadcnt 0x0
	v_cmp_le_u32_e32 vcc_lo, v28, v29
	v_cmp_lt_u32_e64 s0, v28, v29
	s_and_b32 s23, vcc_lo, s22
	s_delay_alu instid0(SALU_CYCLE_1) | instskip(NEXT) | instid1(SALU_CYCLE_1)
	s_or_b32 s0, s0, s23
	s_and_b32 s23, s0, exec_lo
	s_delay_alu instid0(SALU_CYCLE_1)
	s_or_b32 s21, s21, s23
	s_mov_b32 s23, exec_lo
	v_cmpx_eq_u32_e64 v28, v29
	s_cbranch_execz .LBB1500_30
; %bb.32:                               ;   in Loop: Header=BB1500_31 Depth=2
	s_add_nc_u64 s[4:5], s[4:5], -1
	v_add_nc_u64_e32 v[18:19], 4, v[18:19]
	s_cmp_eq_u64 s[4:5], 0
	v_add_nc_u64_e32 v[22:23], 4, v[22:23]
	s_cselect_b32 s22, -1, 0
	s_and_not1_b32 s20, s20, exec_lo
	s_and_b32 s22, s22, exec_lo
	s_and_not1_b32 s21, s21, exec_lo
	s_or_b32 s20, s20, s22
                                        ; implicit-def: $sgpr22
	s_branch .LBB1500_30
.LBB1500_33:
	s_or_b32 exec_lo, exec_lo, s11
.LBB1500_34:
	s_delay_alu instid0(SALU_CYCLE_1) | instskip(SKIP_2) | instid1(VALU_DEP_2)
	s_or_b32 exec_lo, exec_lo, s1
	v_sub_nc_u32_e32 v18, v25, v21
	v_cmp_le_u32_e32 vcc_lo, v21, v1
	v_add_nc_u32_e32 v18, v18, v1
	s_delay_alu instid0(VALU_DEP_1) | instskip(SKIP_1) | instid1(SALU_CYCLE_1)
	v_cmp_le_u32_e64 s0, v18, v36
	s_or_b32 s0, vcc_lo, s0
	s_and_saveexec_b32 s1, s0
	s_cbranch_execz .LBB1500_125
; %bb.35:
	s_mov_b32 s2, exec_lo
	v_cmp_ge_u32_e32 vcc_lo, v21, v1
                                        ; implicit-def: $vgpr2_vgpr3
	v_cmpx_lt_u32_e64 v21, v1
; %bb.36:
	v_lshlrev_b32_e32 v2, 3, v21
	ds_load_b64 v[2:3], v2
; %bb.37:
	s_or_b32 exec_lo, exec_lo, s2
	v_cmp_ge_u32_e64 s5, v18, v36
	s_mov_b32 s2, exec_lo
                                        ; implicit-def: $vgpr14_vgpr15
	v_cmpx_lt_u32_e64 v18, v36
; %bb.38:
	v_lshlrev_b32_e32 v4, 3, v18
	ds_load_b64 v[14:15], v4
; %bb.39:
	s_or_b32 exec_lo, exec_lo, s2
	s_wait_kmcnt 0x0
	v_cmp_gt_i64_e64 s4, s[12:13], 0
	s_nor_b32 s0, vcc_lo, s5
	s_delay_alu instid0(SALU_CYCLE_1)
	s_and_saveexec_b32 s10, s0
	s_cbranch_execz .LBB1500_48
; %bb.40:
	s_and_not1_b32 vcc_lo, exec_lo, s4
	s_cbranch_vccnz .LBB1500_46
; %bb.41:
	s_wait_dscnt 0x0
	v_mul_u64_e32 v[4:5], s[12:13], v[14:15]
	v_mul_u64_e32 v[6:7], s[12:13], v[2:3]
	s_mov_b32 s11, 0
	s_mov_b64 s[2:3], s[12:13]
                                        ; implicit-def: $sgpr18
                                        ; implicit-def: $sgpr19
                                        ; implicit-def: $sgpr20
                                        ; implicit-def: $sgpr21
	s_delay_alu instid0(VALU_DEP_2) | instskip(NEXT) | instid1(VALU_DEP_2)
	v_lshl_add_u64 v[4:5], v[4:5], 2, s[14:15]
	v_lshl_add_u64 v[6:7], v[6:7], 2, s[14:15]
	s_branch .LBB1500_43
.LBB1500_42:                            ;   in Loop: Header=BB1500_43 Depth=1
	s_or_b32 exec_lo, exec_lo, s22
	s_delay_alu instid0(SALU_CYCLE_1) | instskip(NEXT) | instid1(SALU_CYCLE_1)
	s_and_b32 s22, exec_lo, s19
	s_or_b32 s11, s22, s11
	s_and_not1_b32 s21, s21, exec_lo
	s_and_b32 s0, s0, exec_lo
	s_and_not1_b32 s18, s18, exec_lo
	s_and_b32 s22, s20, exec_lo
	s_or_b32 s21, s21, s0
	s_or_b32 s18, s18, s22
	s_and_not1_b32 exec_lo, exec_lo, s11
	s_cbranch_execz .LBB1500_45
.LBB1500_43:                            ; =>This Inner Loop Header: Depth=1
	global_load_b32 v8, v[4:5], off
	global_load_b32 v9, v[6:7], off
	s_and_not1_b32 s20, s20, exec_lo
	s_or_b32 s19, s19, exec_lo
	s_wait_loadcnt 0x0
	v_cmp_le_u32_e32 vcc_lo, v8, v9
	v_cmp_lt_u32_e64 s0, v8, v9
	s_and_b32 s22, vcc_lo, s21
	s_delay_alu instid0(SALU_CYCLE_1) | instskip(NEXT) | instid1(SALU_CYCLE_1)
	s_or_b32 s0, s0, s22
	s_and_b32 s22, s0, exec_lo
	s_delay_alu instid0(SALU_CYCLE_1)
	s_or_b32 s20, s20, s22
	s_mov_b32 s22, exec_lo
	v_cmpx_eq_u32_e64 v8, v9
	s_cbranch_execz .LBB1500_42
; %bb.44:                               ;   in Loop: Header=BB1500_43 Depth=1
	s_add_nc_u64 s[2:3], s[2:3], -1
	v_add_nc_u64_e32 v[4:5], 4, v[4:5]
	s_cmp_eq_u64 s[2:3], 0
	v_add_nc_u64_e32 v[6:7], 4, v[6:7]
	s_cselect_b32 s21, -1, 0
	s_and_not1_b32 s19, s19, exec_lo
	s_and_b32 s21, s21, exec_lo
	s_and_not1_b32 s20, s20, exec_lo
	s_or_b32 s19, s19, s21
                                        ; implicit-def: $sgpr21
	s_branch .LBB1500_42
.LBB1500_45:
	s_or_b32 exec_lo, exec_lo, s11
	s_xor_b32 s0, s18, -1
	s_branch .LBB1500_47
.LBB1500_46:
	s_mov_b32 s0, -1
.LBB1500_47:
	s_and_not1_b32 s2, s5, exec_lo
	s_and_b32 s0, s0, exec_lo
	s_delay_alu instid0(SALU_CYCLE_1)
	s_or_b32 s5, s2, s0
.LBB1500_48:
	s_or_b32 exec_lo, exec_lo, s10
	v_cndmask_b32_e64 v4, v18, v21, s5
	v_cndmask_b32_e64 v5, v36, v1, s5
	s_mov_b32 s11, -1
	s_mov_b32 s10, -1
	s_mov_b32 s18, exec_lo
	v_add_nc_u32_e32 v4, 1, v4
	s_delay_alu instid0(VALU_DEP_1) | instskip(NEXT) | instid1(VALU_DEP_1)
	v_add_min_u32_e64 v5, v5, -1, v4
	v_dual_cndmask_b32 v10, v4, v18, s5 :: v_dual_lshlrev_b32 v5, 3, v5
	ds_load_b64 v[6:7], v5
	s_wait_dscnt 0x0
	v_dual_cndmask_b32 v11, v21, v4, s5 :: v_dual_cndmask_b32 v4, v6, v14, s5
	v_cndmask_b32_e64 v5, v7, v15, s5
	v_dual_cndmask_b32 v17, v3, v7, s5 :: v_dual_cndmask_b32 v16, v2, v6, s5
	v_cmpx_lt_u32_e64 v10, v36
	s_cbranch_execz .LBB1500_59
; %bb.49:
	s_mov_b32 s0, 0
	s_mov_b32 s10, exec_lo
	v_cmpx_lt_u32_e64 v11, v1
	s_cbranch_execz .LBB1500_58
; %bb.50:
	s_and_not1_b32 vcc_lo, exec_lo, s4
	s_cbranch_vccnz .LBB1500_56
; %bb.51:
	v_mul_u64_e32 v[6:7], s[12:13], v[4:5]
	v_mul_u64_e32 v[8:9], s[12:13], v[16:17]
	s_mov_b32 s19, 0
	s_mov_b64 s[2:3], s[12:13]
                                        ; implicit-def: $sgpr20
                                        ; implicit-def: $sgpr21
                                        ; implicit-def: $sgpr22
                                        ; implicit-def: $sgpr23
	s_delay_alu instid0(VALU_DEP_2) | instskip(NEXT) | instid1(VALU_DEP_2)
	v_lshl_add_u64 v[6:7], v[6:7], 2, s[14:15]
	v_lshl_add_u64 v[8:9], v[8:9], 2, s[14:15]
	s_branch .LBB1500_53
.LBB1500_52:                            ;   in Loop: Header=BB1500_53 Depth=1
	s_or_b32 exec_lo, exec_lo, s24
	s_delay_alu instid0(SALU_CYCLE_1) | instskip(NEXT) | instid1(SALU_CYCLE_1)
	s_and_b32 s24, exec_lo, s21
	s_or_b32 s19, s24, s19
	s_and_not1_b32 s23, s23, exec_lo
	s_and_b32 s0, s0, exec_lo
	s_and_not1_b32 s20, s20, exec_lo
	s_and_b32 s24, s22, exec_lo
	s_or_b32 s23, s23, s0
	s_or_b32 s20, s20, s24
	s_and_not1_b32 exec_lo, exec_lo, s19
	s_cbranch_execz .LBB1500_55
.LBB1500_53:                            ; =>This Inner Loop Header: Depth=1
	global_load_b32 v12, v[6:7], off
	global_load_b32 v13, v[8:9], off
	s_and_not1_b32 s22, s22, exec_lo
	s_or_b32 s21, s21, exec_lo
	s_wait_loadcnt 0x0
	v_cmp_le_u32_e32 vcc_lo, v12, v13
	v_cmp_lt_u32_e64 s0, v12, v13
	s_and_b32 s24, vcc_lo, s23
	s_delay_alu instid0(SALU_CYCLE_1) | instskip(NEXT) | instid1(SALU_CYCLE_1)
	s_or_b32 s0, s0, s24
	s_and_b32 s24, s0, exec_lo
	s_delay_alu instid0(SALU_CYCLE_1)
	s_or_b32 s22, s22, s24
	s_mov_b32 s24, exec_lo
	v_cmpx_eq_u32_e64 v12, v13
	s_cbranch_execz .LBB1500_52
; %bb.54:                               ;   in Loop: Header=BB1500_53 Depth=1
	s_add_nc_u64 s[2:3], s[2:3], -1
	v_add_nc_u64_e32 v[6:7], 4, v[6:7]
	s_cmp_eq_u64 s[2:3], 0
	v_add_nc_u64_e32 v[8:9], 4, v[8:9]
	s_cselect_b32 s23, -1, 0
	s_and_not1_b32 s21, s21, exec_lo
	s_and_b32 s23, s23, exec_lo
	s_and_not1_b32 s22, s22, exec_lo
	s_or_b32 s21, s21, s23
                                        ; implicit-def: $sgpr23
	s_branch .LBB1500_52
.LBB1500_55:
	s_or_b32 exec_lo, exec_lo, s19
	s_xor_b32 s0, s20, -1
	s_branch .LBB1500_57
.LBB1500_56:
	s_mov_b32 s0, -1
.LBB1500_57:
	s_delay_alu instid0(SALU_CYCLE_1)
	s_and_b32 s0, s0, exec_lo
.LBB1500_58:
	s_or_b32 exec_lo, exec_lo, s10
	s_delay_alu instid0(SALU_CYCLE_1)
	s_or_not1_b32 s10, s0, exec_lo
.LBB1500_59:
	s_or_b32 exec_lo, exec_lo, s18
	v_dual_cndmask_b32 v6, v10, v11, s10 :: v_dual_cndmask_b32 v7, v36, v1, s10
	s_mov_b32 s18, exec_lo
	s_delay_alu instid0(VALU_DEP_1) | instskip(NEXT) | instid1(VALU_DEP_1)
	v_add_nc_u32_e32 v6, 1, v6
	v_add_min_u32_e64 v7, v7, -1, v6
	s_delay_alu instid0(VALU_DEP_1)
	v_lshlrev_b32_e32 v7, 3, v7
	ds_load_b64 v[8:9], v7
	v_cndmask_b32_e64 v12, v6, v10, s10
	s_wait_dscnt 0x0
	v_dual_cndmask_b32 v13, v11, v6, s10 :: v_dual_cndmask_b32 v6, v8, v4, s10
	v_cndmask_b32_e64 v7, v9, v5, s10
	v_dual_cndmask_b32 v19, v17, v9, s10 :: v_dual_cndmask_b32 v18, v16, v8, s10
	v_cmpx_lt_u32_e64 v12, v36
	s_cbranch_execz .LBB1500_70
; %bb.60:
	s_mov_b32 s0, 0
	s_mov_b32 s11, exec_lo
	v_cmpx_lt_u32_e64 v13, v1
	s_cbranch_execz .LBB1500_69
; %bb.61:
	s_and_not1_b32 vcc_lo, exec_lo, s4
	s_cbranch_vccnz .LBB1500_67
; %bb.62:
	v_mul_u64_e32 v[8:9], s[12:13], v[6:7]
	v_mul_u64_e32 v[10:11], s[12:13], v[18:19]
	s_mov_b32 s19, 0
	s_mov_b64 s[2:3], s[12:13]
                                        ; implicit-def: $sgpr20
                                        ; implicit-def: $sgpr21
                                        ; implicit-def: $sgpr22
                                        ; implicit-def: $sgpr23
	s_delay_alu instid0(VALU_DEP_2) | instskip(NEXT) | instid1(VALU_DEP_2)
	v_lshl_add_u64 v[8:9], v[8:9], 2, s[14:15]
	v_lshl_add_u64 v[10:11], v[10:11], 2, s[14:15]
	s_branch .LBB1500_64
.LBB1500_63:                            ;   in Loop: Header=BB1500_64 Depth=1
	s_or_b32 exec_lo, exec_lo, s24
	s_delay_alu instid0(SALU_CYCLE_1) | instskip(NEXT) | instid1(SALU_CYCLE_1)
	s_and_b32 s24, exec_lo, s21
	s_or_b32 s19, s24, s19
	s_and_not1_b32 s23, s23, exec_lo
	s_and_b32 s0, s0, exec_lo
	s_and_not1_b32 s20, s20, exec_lo
	s_and_b32 s24, s22, exec_lo
	s_or_b32 s23, s23, s0
	s_or_b32 s20, s20, s24
	s_and_not1_b32 exec_lo, exec_lo, s19
	s_cbranch_execz .LBB1500_66
.LBB1500_64:                            ; =>This Inner Loop Header: Depth=1
	global_load_b32 v21, v[8:9], off
	global_load_b32 v22, v[10:11], off
	s_and_not1_b32 s22, s22, exec_lo
	s_or_b32 s21, s21, exec_lo
	s_wait_loadcnt 0x0
	v_cmp_le_u32_e32 vcc_lo, v21, v22
	v_cmp_lt_u32_e64 s0, v21, v22
	s_and_b32 s24, vcc_lo, s23
	s_delay_alu instid0(SALU_CYCLE_1) | instskip(NEXT) | instid1(SALU_CYCLE_1)
	s_or_b32 s0, s0, s24
	s_and_b32 s24, s0, exec_lo
	s_delay_alu instid0(SALU_CYCLE_1)
	s_or_b32 s22, s22, s24
	s_mov_b32 s24, exec_lo
	v_cmpx_eq_u32_e64 v21, v22
	s_cbranch_execz .LBB1500_63
; %bb.65:                               ;   in Loop: Header=BB1500_64 Depth=1
	s_add_nc_u64 s[2:3], s[2:3], -1
	v_add_nc_u64_e32 v[8:9], 4, v[8:9]
	s_cmp_eq_u64 s[2:3], 0
	v_add_nc_u64_e32 v[10:11], 4, v[10:11]
	s_cselect_b32 s23, -1, 0
	s_and_not1_b32 s21, s21, exec_lo
	s_and_b32 s23, s23, exec_lo
	s_and_not1_b32 s22, s22, exec_lo
	s_or_b32 s21, s21, s23
                                        ; implicit-def: $sgpr23
	s_branch .LBB1500_63
.LBB1500_66:
	s_or_b32 exec_lo, exec_lo, s19
	s_xor_b32 s0, s20, -1
	s_branch .LBB1500_68
.LBB1500_67:
	s_mov_b32 s0, -1
.LBB1500_68:
	s_delay_alu instid0(SALU_CYCLE_1)
	s_and_b32 s0, s0, exec_lo
.LBB1500_69:
	s_or_b32 exec_lo, exec_lo, s11
	s_delay_alu instid0(SALU_CYCLE_1)
	s_or_not1_b32 s11, s0, exec_lo
.LBB1500_70:
	s_or_b32 exec_lo, exec_lo, s18
	v_cndmask_b32_e64 v8, v12, v13, s11
	v_cndmask_b32_e64 v9, v36, v1, s11
	s_mov_b32 s19, -1
	s_mov_b32 s18, -1
	s_mov_b32 s20, exec_lo
	v_add_nc_u32_e32 v8, 1, v8
	s_delay_alu instid0(VALU_DEP_1) | instskip(NEXT) | instid1(VALU_DEP_1)
	v_add_min_u32_e64 v9, v9, -1, v8
	v_dual_cndmask_b32 v21, v8, v12, s11 :: v_dual_lshlrev_b32 v9, 3, v9
	ds_load_b64 v[10:11], v9
	s_wait_dscnt 0x0
	v_dual_cndmask_b32 v24, v13, v8, s11 :: v_dual_cndmask_b32 v8, v10, v6, s11
	v_cndmask_b32_e64 v9, v11, v7, s11
	v_dual_cndmask_b32 v23, v19, v11, s11 :: v_dual_cndmask_b32 v22, v18, v10, s11
	v_cmpx_lt_u32_e64 v21, v36
	s_cbranch_execz .LBB1500_81
; %bb.71:
	s_mov_b32 s0, 0
	s_mov_b32 s18, exec_lo
	v_cmpx_lt_u32_e64 v24, v1
	s_cbranch_execz .LBB1500_80
; %bb.72:
	s_and_not1_b32 vcc_lo, exec_lo, s4
	s_cbranch_vccnz .LBB1500_78
; %bb.73:
	v_mul_u64_e32 v[10:11], s[12:13], v[8:9]
	v_mul_u64_e32 v[12:13], s[12:13], v[22:23]
	s_mov_b32 s21, 0
	s_mov_b64 s[2:3], s[12:13]
                                        ; implicit-def: $sgpr22
                                        ; implicit-def: $sgpr23
                                        ; implicit-def: $sgpr24
                                        ; implicit-def: $sgpr25
	s_delay_alu instid0(VALU_DEP_2) | instskip(NEXT) | instid1(VALU_DEP_2)
	v_lshl_add_u64 v[10:11], v[10:11], 2, s[14:15]
	v_lshl_add_u64 v[12:13], v[12:13], 2, s[14:15]
	s_branch .LBB1500_75
.LBB1500_74:                            ;   in Loop: Header=BB1500_75 Depth=1
	s_or_b32 exec_lo, exec_lo, s26
	s_delay_alu instid0(SALU_CYCLE_1) | instskip(NEXT) | instid1(SALU_CYCLE_1)
	s_and_b32 s26, exec_lo, s23
	s_or_b32 s21, s26, s21
	s_and_not1_b32 s25, s25, exec_lo
	s_and_b32 s0, s0, exec_lo
	s_and_not1_b32 s22, s22, exec_lo
	s_and_b32 s26, s24, exec_lo
	s_or_b32 s25, s25, s0
	s_or_b32 s22, s22, s26
	s_and_not1_b32 exec_lo, exec_lo, s21
	s_cbranch_execz .LBB1500_77
.LBB1500_75:                            ; =>This Inner Loop Header: Depth=1
	global_load_b32 v25, v[10:11], off
	global_load_b32 v26, v[12:13], off
	s_and_not1_b32 s24, s24, exec_lo
	s_or_b32 s23, s23, exec_lo
	s_wait_loadcnt 0x0
	v_cmp_le_u32_e32 vcc_lo, v25, v26
	v_cmp_lt_u32_e64 s0, v25, v26
	s_and_b32 s26, vcc_lo, s25
	s_delay_alu instid0(SALU_CYCLE_1) | instskip(NEXT) | instid1(SALU_CYCLE_1)
	s_or_b32 s0, s0, s26
	s_and_b32 s26, s0, exec_lo
	s_delay_alu instid0(SALU_CYCLE_1)
	s_or_b32 s24, s24, s26
	s_mov_b32 s26, exec_lo
	v_cmpx_eq_u32_e64 v25, v26
	s_cbranch_execz .LBB1500_74
; %bb.76:                               ;   in Loop: Header=BB1500_75 Depth=1
	s_add_nc_u64 s[2:3], s[2:3], -1
	v_add_nc_u64_e32 v[10:11], 4, v[10:11]
	s_cmp_eq_u64 s[2:3], 0
	v_add_nc_u64_e32 v[12:13], 4, v[12:13]
	s_cselect_b32 s25, -1, 0
	s_and_not1_b32 s23, s23, exec_lo
	s_and_b32 s25, s25, exec_lo
	s_and_not1_b32 s24, s24, exec_lo
	s_or_b32 s23, s23, s25
                                        ; implicit-def: $sgpr25
	s_branch .LBB1500_74
.LBB1500_77:
	s_or_b32 exec_lo, exec_lo, s21
	s_xor_b32 s0, s22, -1
	s_branch .LBB1500_79
.LBB1500_78:
	s_mov_b32 s0, -1
.LBB1500_79:
	s_delay_alu instid0(SALU_CYCLE_1)
	s_and_b32 s0, s0, exec_lo
.LBB1500_80:
	s_or_b32 exec_lo, exec_lo, s18
	s_delay_alu instid0(SALU_CYCLE_1)
	s_or_not1_b32 s18, s0, exec_lo
.LBB1500_81:
	s_or_b32 exec_lo, exec_lo, s20
	v_dual_cndmask_b32 v10, v21, v24, s18 :: v_dual_cndmask_b32 v11, v36, v1, s18
	s_mov_b32 s20, exec_lo
	s_delay_alu instid0(VALU_DEP_1) | instskip(NEXT) | instid1(VALU_DEP_1)
	v_add_nc_u32_e32 v10, 1, v10
	v_add_min_u32_e64 v11, v11, -1, v10
	s_delay_alu instid0(VALU_DEP_1)
	v_dual_lshlrev_b32 v11, 3, v11 :: v_dual_cndmask_b32 v21, v10, v21, s18
	v_cndmask_b32_e64 v28, v24, v10, s18
	ds_load_b64 v[12:13], v11
	s_wait_dscnt 0x0
	v_dual_cndmask_b32 v11, v13, v9, s18 :: v_dual_cndmask_b32 v10, v12, v8, s18
	v_dual_cndmask_b32 v25, v23, v13, s18 :: v_dual_cndmask_b32 v24, v22, v12, s18
	v_cmpx_lt_u32_e64 v21, v36
	s_cbranch_execz .LBB1500_92
; %bb.82:
	s_mov_b32 s0, 0
	s_mov_b32 s19, exec_lo
	v_cmpx_lt_u32_e64 v28, v1
	s_cbranch_execz .LBB1500_91
; %bb.83:
	s_and_not1_b32 vcc_lo, exec_lo, s4
	s_cbranch_vccnz .LBB1500_89
; %bb.84:
	v_mul_u64_e32 v[12:13], s[12:13], v[10:11]
	v_mul_u64_e32 v[26:27], s[12:13], v[24:25]
	s_mov_b32 s21, 0
	s_mov_b64 s[2:3], s[12:13]
                                        ; implicit-def: $sgpr22
                                        ; implicit-def: $sgpr23
                                        ; implicit-def: $sgpr24
                                        ; implicit-def: $sgpr25
	s_delay_alu instid0(VALU_DEP_2) | instskip(NEXT) | instid1(VALU_DEP_2)
	v_lshl_add_u64 v[12:13], v[12:13], 2, s[14:15]
	v_lshl_add_u64 v[26:27], v[26:27], 2, s[14:15]
	s_branch .LBB1500_86
.LBB1500_85:                            ;   in Loop: Header=BB1500_86 Depth=1
	s_or_b32 exec_lo, exec_lo, s26
	s_delay_alu instid0(SALU_CYCLE_1) | instskip(NEXT) | instid1(SALU_CYCLE_1)
	s_and_b32 s26, exec_lo, s23
	s_or_b32 s21, s26, s21
	s_and_not1_b32 s25, s25, exec_lo
	s_and_b32 s0, s0, exec_lo
	s_and_not1_b32 s22, s22, exec_lo
	s_and_b32 s26, s24, exec_lo
	s_or_b32 s25, s25, s0
	s_or_b32 s22, s22, s26
	s_and_not1_b32 exec_lo, exec_lo, s21
	s_cbranch_execz .LBB1500_88
.LBB1500_86:                            ; =>This Inner Loop Header: Depth=1
	global_load_b32 v29, v[12:13], off
	global_load_b32 v30, v[26:27], off
	s_and_not1_b32 s24, s24, exec_lo
	s_or_b32 s23, s23, exec_lo
	s_wait_loadcnt 0x0
	v_cmp_le_u32_e32 vcc_lo, v29, v30
	v_cmp_lt_u32_e64 s0, v29, v30
	s_and_b32 s26, vcc_lo, s25
	s_delay_alu instid0(SALU_CYCLE_1) | instskip(NEXT) | instid1(SALU_CYCLE_1)
	s_or_b32 s0, s0, s26
	s_and_b32 s26, s0, exec_lo
	s_delay_alu instid0(SALU_CYCLE_1)
	s_or_b32 s24, s24, s26
	s_mov_b32 s26, exec_lo
	v_cmpx_eq_u32_e64 v29, v30
	s_cbranch_execz .LBB1500_85
; %bb.87:                               ;   in Loop: Header=BB1500_86 Depth=1
	s_add_nc_u64 s[2:3], s[2:3], -1
	v_add_nc_u64_e32 v[12:13], 4, v[12:13]
	s_cmp_eq_u64 s[2:3], 0
	v_add_nc_u64_e32 v[26:27], 4, v[26:27]
	s_cselect_b32 s25, -1, 0
	s_and_not1_b32 s23, s23, exec_lo
	s_and_b32 s25, s25, exec_lo
	s_and_not1_b32 s24, s24, exec_lo
	s_or_b32 s23, s23, s25
                                        ; implicit-def: $sgpr25
	s_branch .LBB1500_85
.LBB1500_88:
	s_or_b32 exec_lo, exec_lo, s21
	s_xor_b32 s0, s22, -1
	s_branch .LBB1500_90
.LBB1500_89:
	s_mov_b32 s0, -1
.LBB1500_90:
	s_delay_alu instid0(SALU_CYCLE_1)
	s_and_b32 s0, s0, exec_lo
.LBB1500_91:
	s_or_b32 exec_lo, exec_lo, s19
	s_delay_alu instid0(SALU_CYCLE_1)
	s_or_not1_b32 s19, s0, exec_lo
.LBB1500_92:
	s_or_b32 exec_lo, exec_lo, s20
	v_dual_cndmask_b32 v12, v21, v28, s19 :: v_dual_cndmask_b32 v13, v36, v1, s19
	s_mov_b32 s20, -1
	s_mov_b32 s21, -1
	s_mov_b32 s22, exec_lo
	s_delay_alu instid0(VALU_DEP_1) | instskip(NEXT) | instid1(VALU_DEP_1)
	v_add_nc_u32_e32 v12, 1, v12
	v_add_min_u32_e64 v13, v13, -1, v12
	s_delay_alu instid0(VALU_DEP_1)
	v_lshlrev_b32_e32 v13, 3, v13
	ds_load_b64 v[26:27], v13
	v_cndmask_b32_e64 v21, v12, v21, s19
	s_wait_dscnt 0x0
	v_dual_cndmask_b32 v32, v28, v12, s19 :: v_dual_cndmask_b32 v12, v26, v10, s19
	v_cndmask_b32_e64 v13, v27, v11, s19
	v_dual_cndmask_b32 v27, v25, v27, s19 :: v_dual_cndmask_b32 v26, v24, v26, s19
	v_cmpx_lt_u32_e64 v21, v36
	s_cbranch_execz .LBB1500_103
; %bb.93:
	s_mov_b32 s0, 0
	s_mov_b32 s21, exec_lo
	v_cmpx_lt_u32_e64 v32, v1
	s_cbranch_execz .LBB1500_102
; %bb.94:
	s_and_not1_b32 vcc_lo, exec_lo, s4
	s_cbranch_vccnz .LBB1500_100
; %bb.95:
	v_mul_u64_e32 v[28:29], s[12:13], v[12:13]
	v_mul_u64_e32 v[30:31], s[12:13], v[26:27]
	s_mov_b32 s23, 0
	s_mov_b64 s[2:3], s[12:13]
                                        ; implicit-def: $sgpr24
                                        ; implicit-def: $sgpr25
                                        ; implicit-def: $sgpr26
                                        ; implicit-def: $sgpr27
	s_delay_alu instid0(VALU_DEP_2) | instskip(NEXT) | instid1(VALU_DEP_2)
	v_lshl_add_u64 v[28:29], v[28:29], 2, s[14:15]
	v_lshl_add_u64 v[30:31], v[30:31], 2, s[14:15]
	s_branch .LBB1500_97
.LBB1500_96:                            ;   in Loop: Header=BB1500_97 Depth=1
	s_or_b32 exec_lo, exec_lo, s28
	s_delay_alu instid0(SALU_CYCLE_1) | instskip(NEXT) | instid1(SALU_CYCLE_1)
	s_and_b32 s28, exec_lo, s25
	s_or_b32 s23, s28, s23
	s_and_not1_b32 s27, s27, exec_lo
	s_and_b32 s0, s0, exec_lo
	s_and_not1_b32 s24, s24, exec_lo
	s_and_b32 s28, s26, exec_lo
	s_or_b32 s27, s27, s0
	s_or_b32 s24, s24, s28
	s_and_not1_b32 exec_lo, exec_lo, s23
	s_cbranch_execz .LBB1500_99
.LBB1500_97:                            ; =>This Inner Loop Header: Depth=1
	global_load_b32 v33, v[28:29], off
	global_load_b32 v34, v[30:31], off
	s_and_not1_b32 s26, s26, exec_lo
	s_or_b32 s25, s25, exec_lo
	s_wait_loadcnt 0x0
	v_cmp_le_u32_e32 vcc_lo, v33, v34
	v_cmp_lt_u32_e64 s0, v33, v34
	s_and_b32 s28, vcc_lo, s27
	s_delay_alu instid0(SALU_CYCLE_1) | instskip(NEXT) | instid1(SALU_CYCLE_1)
	s_or_b32 s0, s0, s28
	s_and_b32 s28, s0, exec_lo
	s_delay_alu instid0(SALU_CYCLE_1)
	s_or_b32 s26, s26, s28
	s_mov_b32 s28, exec_lo
	v_cmpx_eq_u32_e64 v33, v34
	s_cbranch_execz .LBB1500_96
; %bb.98:                               ;   in Loop: Header=BB1500_97 Depth=1
	s_add_nc_u64 s[2:3], s[2:3], -1
	v_add_nc_u64_e32 v[28:29], 4, v[28:29]
	s_cmp_eq_u64 s[2:3], 0
	v_add_nc_u64_e32 v[30:31], 4, v[30:31]
	s_cselect_b32 s27, -1, 0
	s_and_not1_b32 s25, s25, exec_lo
	s_and_b32 s27, s27, exec_lo
	s_and_not1_b32 s26, s26, exec_lo
	s_or_b32 s25, s25, s27
                                        ; implicit-def: $sgpr27
	s_branch .LBB1500_96
.LBB1500_99:
	s_or_b32 exec_lo, exec_lo, s23
	s_xor_b32 s0, s24, -1
	s_branch .LBB1500_101
.LBB1500_100:
	s_mov_b32 s0, -1
.LBB1500_101:
	s_delay_alu instid0(SALU_CYCLE_1)
	s_and_b32 s0, s0, exec_lo
.LBB1500_102:
	s_or_b32 exec_lo, exec_lo, s21
	s_delay_alu instid0(SALU_CYCLE_1)
	s_or_not1_b32 s21, s0, exec_lo
.LBB1500_103:
	s_or_b32 exec_lo, exec_lo, s22
	v_dual_cndmask_b32 v28, v21, v32, s21 :: v_dual_cndmask_b32 v29, v36, v1, s21
	s_mov_b32 s22, exec_lo
	s_delay_alu instid0(VALU_DEP_1) | instskip(NEXT) | instid1(VALU_DEP_1)
	v_add_nc_u32_e32 v28, 1, v28
	v_add_min_u32_e64 v29, v29, -1, v28
	s_delay_alu instid0(VALU_DEP_1)
	v_lshlrev_b32_e32 v29, 3, v29
	ds_load_b64 v[30:31], v29
	v_cndmask_b32_e64 v37, v28, v21, s21
	s_wait_dscnt 0x0
	v_dual_cndmask_b32 v21, v32, v28, s21 :: v_dual_cndmask_b32 v29, v31, v13, s21
	v_dual_cndmask_b32 v28, v30, v12, s21 :: v_dual_cndmask_b32 v31, v27, v31, s21
	v_cndmask_b32_e64 v30, v26, v30, s21
	v_cmpx_lt_u32_e64 v37, v36
	s_cbranch_execz .LBB1500_114
; %bb.104:
	s_mov_b32 s0, 0
	s_mov_b32 s20, exec_lo
	v_cmpx_lt_u32_e64 v21, v1
	s_cbranch_execz .LBB1500_113
; %bb.105:
	s_and_not1_b32 vcc_lo, exec_lo, s4
	s_cbranch_vccnz .LBB1500_111
; %bb.106:
	v_mul_u64_e32 v[32:33], s[12:13], v[28:29]
	v_mul_u64_e32 v[34:35], s[12:13], v[30:31]
	s_mov_b32 s23, 0
	s_mov_b64 s[2:3], s[12:13]
                                        ; implicit-def: $sgpr24
                                        ; implicit-def: $sgpr25
                                        ; implicit-def: $sgpr26
                                        ; implicit-def: $sgpr27
	s_delay_alu instid0(VALU_DEP_2) | instskip(NEXT) | instid1(VALU_DEP_2)
	v_lshl_add_u64 v[32:33], v[32:33], 2, s[14:15]
	v_lshl_add_u64 v[34:35], v[34:35], 2, s[14:15]
	s_branch .LBB1500_108
.LBB1500_107:                           ;   in Loop: Header=BB1500_108 Depth=1
	s_or_b32 exec_lo, exec_lo, s28
	s_delay_alu instid0(SALU_CYCLE_1) | instskip(NEXT) | instid1(SALU_CYCLE_1)
	s_and_b32 s28, exec_lo, s25
	s_or_b32 s23, s28, s23
	s_and_not1_b32 s27, s27, exec_lo
	s_and_b32 s0, s0, exec_lo
	s_and_not1_b32 s24, s24, exec_lo
	s_and_b32 s28, s26, exec_lo
	s_or_b32 s27, s27, s0
	s_or_b32 s24, s24, s28
	s_and_not1_b32 exec_lo, exec_lo, s23
	s_cbranch_execz .LBB1500_110
.LBB1500_108:                           ; =>This Inner Loop Header: Depth=1
	global_load_b32 v38, v[32:33], off
	global_load_b32 v39, v[34:35], off
	s_and_not1_b32 s26, s26, exec_lo
	s_or_b32 s25, s25, exec_lo
	s_wait_loadcnt 0x0
	v_cmp_le_u32_e32 vcc_lo, v38, v39
	v_cmp_lt_u32_e64 s0, v38, v39
	s_and_b32 s28, vcc_lo, s27
	s_delay_alu instid0(SALU_CYCLE_1) | instskip(NEXT) | instid1(SALU_CYCLE_1)
	s_or_b32 s0, s0, s28
	s_and_b32 s28, s0, exec_lo
	s_delay_alu instid0(SALU_CYCLE_1)
	s_or_b32 s26, s26, s28
	s_mov_b32 s28, exec_lo
	v_cmpx_eq_u32_e64 v38, v39
	s_cbranch_execz .LBB1500_107
; %bb.109:                              ;   in Loop: Header=BB1500_108 Depth=1
	s_add_nc_u64 s[2:3], s[2:3], -1
	v_add_nc_u64_e32 v[32:33], 4, v[32:33]
	s_cmp_eq_u64 s[2:3], 0
	v_add_nc_u64_e32 v[34:35], 4, v[34:35]
	s_cselect_b32 s27, -1, 0
	s_and_not1_b32 s25, s25, exec_lo
	s_and_b32 s27, s27, exec_lo
	s_and_not1_b32 s26, s26, exec_lo
	s_or_b32 s25, s25, s27
                                        ; implicit-def: $sgpr27
	s_branch .LBB1500_107
.LBB1500_110:
	s_or_b32 exec_lo, exec_lo, s23
	s_xor_b32 s0, s24, -1
	s_branch .LBB1500_112
.LBB1500_111:
	s_mov_b32 s0, -1
.LBB1500_112:
	s_delay_alu instid0(SALU_CYCLE_1)
	s_and_b32 s0, s0, exec_lo
.LBB1500_113:
	s_or_b32 exec_lo, exec_lo, s20
	s_delay_alu instid0(SALU_CYCLE_1)
	s_or_not1_b32 s20, s0, exec_lo
.LBB1500_114:
	s_or_b32 exec_lo, exec_lo, s22
	v_dual_cndmask_b32 v32, v37, v21, s20 :: v_dual_cndmask_b32 v12, v12, v26, s21
	v_cndmask_b32_e64 v33, v36, v1, s20
	v_dual_cndmask_b32 v11, v11, v25, s19 :: v_dual_cndmask_b32 v10, v10, v24, s19
	s_delay_alu instid0(VALU_DEP_3) | instskip(SKIP_2) | instid1(VALU_DEP_3)
	v_dual_add_nc_u32 v34, 1, v32 :: v_dual_cndmask_b32 v9, v9, v23, s18
	v_dual_cndmask_b32 v8, v8, v22, s18 :: v_dual_cndmask_b32 v7, v7, v19, s11
	v_cndmask_b32_e64 v6, v6, v18, s11
	v_add_min_u32_e64 v32, v33, -1, v34
	v_dual_cndmask_b32 v5, v5, v17, s10 :: v_dual_cndmask_b32 v4, v4, v16, s10
	v_dual_cndmask_b32 v3, v15, v3, s5 :: v_dual_cndmask_b32 v2, v14, v2, s5
	s_delay_alu instid0(VALU_DEP_3)
	v_dual_lshlrev_b32 v32, 3, v32 :: v_dual_cndmask_b32 v13, v13, v27, s21
	v_dual_cndmask_b32 v18, v34, v37, s20 :: v_dual_cndmask_b32 v15, v29, v31, s20
	s_mov_b32 s2, exec_lo
	ds_load_b64 v[32:33], v32
	s_wait_dscnt 0x0
	v_dual_cndmask_b32 v14, v28, v30, s20 :: v_dual_cndmask_b32 v17, v31, v33, s20
	v_cndmask_b32_e64 v16, v30, v32, s20
	v_cmpx_lt_u32_e64 v18, v36
	s_cbranch_execz .LBB1500_124
; %bb.115:
	v_dual_cndmask_b32 v21, v21, v34, s20 :: v_dual_cndmask_b32 v18, v32, v28, s20
	v_cndmask_b32_e64 v19, v33, v29, s20
	s_mov_b32 s3, exec_lo
	s_delay_alu instid0(VALU_DEP_2)
	v_cmpx_lt_u32_e64 v21, v1
	s_cbranch_execz .LBB1500_123
; %bb.116:
	s_and_not1_b32 vcc_lo, exec_lo, s4
	s_cbranch_vccnz .LBB1500_122
; %bb.117:
	v_mul_u64_e32 v[22:23], s[12:13], v[18:19]
	v_mul_u64_e32 v[24:25], s[12:13], v[16:17]
	s_mov_b32 s4, 0
                                        ; implicit-def: $sgpr5
                                        ; implicit-def: $sgpr10
                                        ; implicit-def: $sgpr11
	s_delay_alu instid0(VALU_DEP_2) | instskip(NEXT) | instid1(VALU_DEP_2)
	v_lshl_add_u64 v[22:23], v[22:23], 2, s[14:15]
	v_lshl_add_u64 v[24:25], v[24:25], 2, s[14:15]
                                        ; implicit-def: $sgpr14
	s_branch .LBB1500_119
.LBB1500_118:                           ;   in Loop: Header=BB1500_119 Depth=1
	s_or_b32 exec_lo, exec_lo, s15
	s_delay_alu instid0(SALU_CYCLE_1) | instskip(NEXT) | instid1(SALU_CYCLE_1)
	s_and_b32 s15, exec_lo, s10
	s_or_b32 s4, s15, s4
	s_and_not1_b32 s14, s14, exec_lo
	s_and_b32 s0, s0, exec_lo
	s_and_not1_b32 s5, s5, exec_lo
	s_and_b32 s15, s11, exec_lo
	s_or_b32 s14, s14, s0
	s_or_b32 s5, s5, s15
	s_and_not1_b32 exec_lo, exec_lo, s4
	s_cbranch_execz .LBB1500_121
.LBB1500_119:                           ; =>This Inner Loop Header: Depth=1
	global_load_b32 v1, v[22:23], off
	global_load_b32 v21, v[24:25], off
	s_and_not1_b32 s11, s11, exec_lo
	s_or_b32 s10, s10, exec_lo
	s_wait_loadcnt 0x0
	v_cmp_le_u32_e32 vcc_lo, v1, v21
	v_cmp_lt_u32_e64 s0, v1, v21
	s_and_b32 s15, vcc_lo, s14
	s_delay_alu instid0(SALU_CYCLE_1) | instskip(NEXT) | instid1(SALU_CYCLE_1)
	s_or_b32 s0, s0, s15
	s_and_b32 s15, s0, exec_lo
	s_delay_alu instid0(SALU_CYCLE_1)
	s_or_b32 s11, s11, s15
	s_mov_b32 s15, exec_lo
	v_cmpx_eq_u32_e64 v1, v21
	s_cbranch_execz .LBB1500_118
; %bb.120:                              ;   in Loop: Header=BB1500_119 Depth=1
	s_add_nc_u64 s[12:13], s[12:13], -1
	v_add_nc_u64_e32 v[22:23], 4, v[22:23]
	s_cmp_eq_u64 s[12:13], 0
	v_add_nc_u64_e32 v[24:25], 4, v[24:25]
	s_cselect_b32 s14, -1, 0
	s_and_not1_b32 s10, s10, exec_lo
	s_and_b32 s14, s14, exec_lo
	s_and_not1_b32 s11, s11, exec_lo
	s_or_b32 s10, s10, s14
                                        ; implicit-def: $sgpr14
	s_branch .LBB1500_118
.LBB1500_121:
	s_or_b32 exec_lo, exec_lo, s4
	v_dual_cndmask_b32 v17, v17, v19, s5 :: v_dual_cndmask_b32 v16, v16, v18, s5
.LBB1500_122:
	s_delay_alu instid0(VALU_DEP_1)
	v_mov_b64_e32 v[18:19], v[16:17]
.LBB1500_123:
	s_or_b32 exec_lo, exec_lo, s3
	s_delay_alu instid0(VALU_DEP_1)
	v_mov_b64_e32 v[16:17], v[18:19]
.LBB1500_124:
	s_or_b32 exec_lo, exec_lo, s2
.LBB1500_125:
	s_delay_alu instid0(SALU_CYCLE_1) | instskip(SKIP_4) | instid1(VALU_DEP_4)
	s_or_b32 exec_lo, exec_lo, s1
	v_or_b32_e32 v25, 0x80, v0
	v_lshrrev_b32_e32 v1, 2, v0
	v_or_b32_e32 v22, 0x100, v0
	v_lshlrev_b32_e32 v18, 3, v20
	v_lshrrev_b32_e32 v19, 2, v25
	s_barrier_signal -1
	s_delay_alu instid0(VALU_DEP_3) | instskip(NEXT) | instid1(VALU_DEP_3)
	v_lshrrev_b32_e32 v21, 2, v22
	v_lshl_add_u32 v18, v1, 3, v18
	s_barrier_wait -1
	s_barrier_signal -1
	s_barrier_wait -1
	ds_store_2addr_b64 v18, v[2:3], v[4:5] offset1:1
	ds_store_2addr_b64 v18, v[6:7], v[8:9] offset0:2 offset1:3
	v_and_b32_e32 v2, 56, v19
	v_and_b32_e32 v1, 24, v1
	v_or_b32_e32 v24, 0x180, v0
	v_and_b32_e32 v3, 0x58, v21
	v_or_b32_e32 v23, 0x200, v0
	s_delay_alu instid0(VALU_DEP_4) | instskip(NEXT) | instid1(VALU_DEP_4)
	v_dual_add_nc_u32 v6, v2, v20 :: v_dual_add_nc_u32 v26, v1, v20
	v_lshrrev_b32_e32 v1, 2, v24
	ds_store_2addr_b64 v18, v[10:11], v[12:13] offset0:4 offset1:5
	ds_store_2addr_b64 v18, v[14:15], v[16:17] offset0:6 offset1:7
	v_or_b32_e32 v19, 0x280, v0
	v_add_nc_u32_e32 v7, v3, v20
	v_or_b32_e32 v18, 0x300, v0
	v_lshrrev_b32_e32 v3, 2, v23
	v_and_b32_e32 v2, 0x78, v1
	v_or_b32_e32 v1, 0x380, v0
	s_delay_alu instid0(VALU_DEP_4) | instskip(NEXT) | instid1(VALU_DEP_4)
	v_dual_lshrrev_b32 v4, 2, v19 :: v_dual_lshrrev_b32 v5, 2, v18
	v_and_b32_e32 v3, 0x98, v3
	s_delay_alu instid0(VALU_DEP_3)
	v_dual_add_nc_u32 v8, v2, v20 :: v_dual_lshrrev_b32 v2, 2, v1
	v_mov_b32_e32 v21, 0
	s_lshl_b64 s[0:1], s[16:17], 3
	v_and_b32_e32 v4, 0xb8, v4
	v_and_b32_e32 v5, 0xd8, v5
	;; [unrolled: 1-line block ×3, first 2 shown]
	s_add_nc_u64 s[0:1], s[6:7], s[0:1]
	s_delay_alu instid0(VALU_DEP_3) | instskip(SKIP_1) | instid1(VALU_DEP_3)
	v_dual_add_nc_u32 v9, v3, v20 :: v_dual_add_nc_u32 v27, v4, v20
	v_add_nc_u64_e32 v[2:3], s[0:1], v[20:21]
	v_dual_add_nc_u32 v28, v5, v20 :: v_dual_add_nc_u32 v20, v10, v20
	s_and_b32 vcc_lo, exec_lo, s9
	s_wait_dscnt 0x0
	s_cbranch_vccz .LBB1500_127
; %bb.126:
	s_barrier_signal -1
	s_barrier_wait -1
	ds_load_b64 v[10:11], v26
	ds_load_b64 v[12:13], v6 offset:1024
	ds_load_b64 v[14:15], v7 offset:2048
	ds_load_b64 v[16:17], v8 offset:3072
	ds_load_b64 v[30:31], v9 offset:4096
	ds_load_b64 v[32:33], v27 offset:5120
	ds_load_b64 v[34:35], v28 offset:6144
	ds_load_b64 v[4:5], v20 offset:7168
	s_mov_b32 s0, -1
	s_wait_dscnt 0x7
	global_store_b64 v[2:3], v[10:11], off
	s_wait_dscnt 0x6
	global_store_b64 v[2:3], v[12:13], off offset:1024
	s_wait_dscnt 0x5
	global_store_b64 v[2:3], v[14:15], off offset:2048
	;; [unrolled: 2-line block ×6, first 2 shown]
	s_cbranch_execz .LBB1500_128
	s_branch .LBB1500_137
.LBB1500_127:
	s_mov_b32 s0, 0
                                        ; implicit-def: $vgpr4_vgpr5
.LBB1500_128:
	s_barrier_signal -1
	s_barrier_wait -1
	s_wait_storecnt_dscnt 0x0
	s_wait_xcnt 0x3
	ds_load_b64 v[16:17], v6 offset:1024
	ds_load_b64 v[14:15], v7 offset:2048
	;; [unrolled: 1-line block ×7, first 2 shown]
	s_sub_co_i32 s0, s8, s16
	s_mov_b32 s1, exec_lo
	s_wait_xcnt 0x0
	v_cmpx_gt_u32_e64 s0, v0
	s_cbranch_execnz .LBB1500_140
; %bb.129:
	s_or_b32 exec_lo, exec_lo, s1
	s_delay_alu instid0(SALU_CYCLE_1)
	s_mov_b32 s1, exec_lo
	v_cmpx_gt_u32_e64 s0, v25
	s_cbranch_execnz .LBB1500_141
.LBB1500_130:
	s_or_b32 exec_lo, exec_lo, s1
	s_delay_alu instid0(SALU_CYCLE_1)
	s_mov_b32 s1, exec_lo
	v_cmpx_gt_u32_e64 s0, v22
	s_cbranch_execnz .LBB1500_142
.LBB1500_131:
	s_or_b32 exec_lo, exec_lo, s1
	s_delay_alu instid0(SALU_CYCLE_1)
	s_mov_b32 s1, exec_lo
	v_cmpx_gt_u32_e64 s0, v24
	s_cbranch_execnz .LBB1500_143
.LBB1500_132:
	s_or_b32 exec_lo, exec_lo, s1
	s_delay_alu instid0(SALU_CYCLE_1)
	s_mov_b32 s1, exec_lo
	v_cmpx_gt_u32_e64 s0, v23
	s_cbranch_execnz .LBB1500_144
.LBB1500_133:
	s_or_b32 exec_lo, exec_lo, s1
	s_delay_alu instid0(SALU_CYCLE_1)
	s_mov_b32 s1, exec_lo
	v_cmpx_gt_u32_e64 s0, v19
	s_cbranch_execnz .LBB1500_145
.LBB1500_134:
	s_or_b32 exec_lo, exec_lo, s1
	s_delay_alu instid0(SALU_CYCLE_1)
	s_mov_b32 s1, exec_lo
	v_cmpx_gt_u32_e64 s0, v18
	s_cbranch_execz .LBB1500_136
.LBB1500_135:
	s_wait_dscnt 0x1
	global_store_b64 v[2:3], v[6:7], off offset:6144
.LBB1500_136:
	s_wait_xcnt 0x0
	s_or_b32 exec_lo, exec_lo, s1
	v_cmp_gt_u32_e64 s0, s0, v1
.LBB1500_137:
	s_wait_xcnt 0x0
	s_delay_alu instid0(VALU_DEP_1)
	s_and_saveexec_b32 s1, s0
	s_cbranch_execz .LBB1500_139
; %bb.138:
	s_wait_dscnt 0x0
	global_store_b64 v[2:3], v[4:5], off offset:7168
.LBB1500_139:
	s_endpgm
.LBB1500_140:
	ds_load_b64 v[20:21], v26
	s_wait_dscnt 0x0
	global_store_b64 v[2:3], v[20:21], off
	s_wait_xcnt 0x0
	s_or_b32 exec_lo, exec_lo, s1
	s_delay_alu instid0(SALU_CYCLE_1)
	s_mov_b32 s1, exec_lo
	v_cmpx_gt_u32_e64 s0, v25
	s_cbranch_execz .LBB1500_130
.LBB1500_141:
	s_wait_dscnt 0x6
	global_store_b64 v[2:3], v[16:17], off offset:1024
	s_wait_xcnt 0x0
	s_or_b32 exec_lo, exec_lo, s1
	s_delay_alu instid0(SALU_CYCLE_1)
	s_mov_b32 s1, exec_lo
	v_cmpx_gt_u32_e64 s0, v22
	s_cbranch_execz .LBB1500_131
.LBB1500_142:
	s_wait_dscnt 0x5
	global_store_b64 v[2:3], v[14:15], off offset:2048
	s_wait_xcnt 0x0
	s_or_b32 exec_lo, exec_lo, s1
	s_delay_alu instid0(SALU_CYCLE_1)
	s_mov_b32 s1, exec_lo
	v_cmpx_gt_u32_e64 s0, v24
	s_cbranch_execz .LBB1500_132
.LBB1500_143:
	s_wait_dscnt 0x4
	global_store_b64 v[2:3], v[12:13], off offset:3072
	s_wait_xcnt 0x0
	s_or_b32 exec_lo, exec_lo, s1
	s_delay_alu instid0(SALU_CYCLE_1)
	s_mov_b32 s1, exec_lo
	v_cmpx_gt_u32_e64 s0, v23
	s_cbranch_execz .LBB1500_133
.LBB1500_144:
	s_wait_dscnt 0x3
	global_store_b64 v[2:3], v[10:11], off offset:4096
	s_wait_xcnt 0x0
	s_or_b32 exec_lo, exec_lo, s1
	s_delay_alu instid0(SALU_CYCLE_1)
	s_mov_b32 s1, exec_lo
	v_cmpx_gt_u32_e64 s0, v19
	s_cbranch_execz .LBB1500_134
.LBB1500_145:
	s_wait_dscnt 0x2
	global_store_b64 v[2:3], v[8:9], off offset:5120
	s_wait_xcnt 0x0
	s_or_b32 exec_lo, exec_lo, s1
	s_delay_alu instid0(SALU_CYCLE_1)
	s_mov_b32 s1, exec_lo
	v_cmpx_gt_u32_e64 s0, v18
	s_cbranch_execnz .LBB1500_135
	s_branch .LBB1500_136
	.section	.rodata,"a",@progbits
	.p2align	6, 0x0
	.amdhsa_kernel _ZN7rocprim17ROCPRIM_400000_NS6detail17trampoline_kernelINS0_14default_configENS1_38merge_sort_block_merge_config_selectorIlNS0_10empty_typeEEEZZNS1_27merge_sort_block_merge_implIS3_PlPS5_mZN2at6native12_GLOBAL__N_124unique_dim_cuda_templateIjEESt5tupleIJNSA_6TensorESF_SF_EERKSF_lbbbEUlllE_EE10hipError_tT0_T1_T2_jT3_P12ihipStream_tbPNSt15iterator_traitsISL_E10value_typeEPNSR_ISM_E10value_typeEPSN_NS1_7vsmem_tEENKUlT_SL_SM_SN_E_clIS8_S8_S9_S9_EESK_S10_SL_SM_SN_EUlS10_E0_NS1_11comp_targetILNS1_3genE0ELNS1_11target_archE4294967295ELNS1_3gpuE0ELNS1_3repE0EEENS1_38merge_mergepath_config_static_selectorELNS0_4arch9wavefront6targetE0EEEvSM_
		.amdhsa_group_segment_fixed_size 8448
		.amdhsa_private_segment_fixed_size 0
		.amdhsa_kernarg_size 344
		.amdhsa_user_sgpr_count 2
		.amdhsa_user_sgpr_dispatch_ptr 0
		.amdhsa_user_sgpr_queue_ptr 0
		.amdhsa_user_sgpr_kernarg_segment_ptr 1
		.amdhsa_user_sgpr_dispatch_id 0
		.amdhsa_user_sgpr_kernarg_preload_length 0
		.amdhsa_user_sgpr_kernarg_preload_offset 0
		.amdhsa_user_sgpr_private_segment_size 0
		.amdhsa_wavefront_size32 1
		.amdhsa_uses_dynamic_stack 0
		.amdhsa_enable_private_segment 0
		.amdhsa_system_sgpr_workgroup_id_x 1
		.amdhsa_system_sgpr_workgroup_id_y 1
		.amdhsa_system_sgpr_workgroup_id_z 1
		.amdhsa_system_sgpr_workgroup_info 0
		.amdhsa_system_vgpr_workitem_id 0
		.amdhsa_next_free_vgpr 40
		.amdhsa_next_free_sgpr 31
		.amdhsa_named_barrier_count 0
		.amdhsa_reserve_vcc 1
		.amdhsa_float_round_mode_32 0
		.amdhsa_float_round_mode_16_64 0
		.amdhsa_float_denorm_mode_32 3
		.amdhsa_float_denorm_mode_16_64 3
		.amdhsa_fp16_overflow 0
		.amdhsa_memory_ordered 1
		.amdhsa_forward_progress 1
		.amdhsa_inst_pref_size 53
		.amdhsa_round_robin_scheduling 0
		.amdhsa_exception_fp_ieee_invalid_op 0
		.amdhsa_exception_fp_denorm_src 0
		.amdhsa_exception_fp_ieee_div_zero 0
		.amdhsa_exception_fp_ieee_overflow 0
		.amdhsa_exception_fp_ieee_underflow 0
		.amdhsa_exception_fp_ieee_inexact 0
		.amdhsa_exception_int_div_zero 0
	.end_amdhsa_kernel
	.section	.text._ZN7rocprim17ROCPRIM_400000_NS6detail17trampoline_kernelINS0_14default_configENS1_38merge_sort_block_merge_config_selectorIlNS0_10empty_typeEEEZZNS1_27merge_sort_block_merge_implIS3_PlPS5_mZN2at6native12_GLOBAL__N_124unique_dim_cuda_templateIjEESt5tupleIJNSA_6TensorESF_SF_EERKSF_lbbbEUlllE_EE10hipError_tT0_T1_T2_jT3_P12ihipStream_tbPNSt15iterator_traitsISL_E10value_typeEPNSR_ISM_E10value_typeEPSN_NS1_7vsmem_tEENKUlT_SL_SM_SN_E_clIS8_S8_S9_S9_EESK_S10_SL_SM_SN_EUlS10_E0_NS1_11comp_targetILNS1_3genE0ELNS1_11target_archE4294967295ELNS1_3gpuE0ELNS1_3repE0EEENS1_38merge_mergepath_config_static_selectorELNS0_4arch9wavefront6targetE0EEEvSM_,"axG",@progbits,_ZN7rocprim17ROCPRIM_400000_NS6detail17trampoline_kernelINS0_14default_configENS1_38merge_sort_block_merge_config_selectorIlNS0_10empty_typeEEEZZNS1_27merge_sort_block_merge_implIS3_PlPS5_mZN2at6native12_GLOBAL__N_124unique_dim_cuda_templateIjEESt5tupleIJNSA_6TensorESF_SF_EERKSF_lbbbEUlllE_EE10hipError_tT0_T1_T2_jT3_P12ihipStream_tbPNSt15iterator_traitsISL_E10value_typeEPNSR_ISM_E10value_typeEPSN_NS1_7vsmem_tEENKUlT_SL_SM_SN_E_clIS8_S8_S9_S9_EESK_S10_SL_SM_SN_EUlS10_E0_NS1_11comp_targetILNS1_3genE0ELNS1_11target_archE4294967295ELNS1_3gpuE0ELNS1_3repE0EEENS1_38merge_mergepath_config_static_selectorELNS0_4arch9wavefront6targetE0EEEvSM_,comdat
.Lfunc_end1500:
	.size	_ZN7rocprim17ROCPRIM_400000_NS6detail17trampoline_kernelINS0_14default_configENS1_38merge_sort_block_merge_config_selectorIlNS0_10empty_typeEEEZZNS1_27merge_sort_block_merge_implIS3_PlPS5_mZN2at6native12_GLOBAL__N_124unique_dim_cuda_templateIjEESt5tupleIJNSA_6TensorESF_SF_EERKSF_lbbbEUlllE_EE10hipError_tT0_T1_T2_jT3_P12ihipStream_tbPNSt15iterator_traitsISL_E10value_typeEPNSR_ISM_E10value_typeEPSN_NS1_7vsmem_tEENKUlT_SL_SM_SN_E_clIS8_S8_S9_S9_EESK_S10_SL_SM_SN_EUlS10_E0_NS1_11comp_targetILNS1_3genE0ELNS1_11target_archE4294967295ELNS1_3gpuE0ELNS1_3repE0EEENS1_38merge_mergepath_config_static_selectorELNS0_4arch9wavefront6targetE0EEEvSM_, .Lfunc_end1500-_ZN7rocprim17ROCPRIM_400000_NS6detail17trampoline_kernelINS0_14default_configENS1_38merge_sort_block_merge_config_selectorIlNS0_10empty_typeEEEZZNS1_27merge_sort_block_merge_implIS3_PlPS5_mZN2at6native12_GLOBAL__N_124unique_dim_cuda_templateIjEESt5tupleIJNSA_6TensorESF_SF_EERKSF_lbbbEUlllE_EE10hipError_tT0_T1_T2_jT3_P12ihipStream_tbPNSt15iterator_traitsISL_E10value_typeEPNSR_ISM_E10value_typeEPSN_NS1_7vsmem_tEENKUlT_SL_SM_SN_E_clIS8_S8_S9_S9_EESK_S10_SL_SM_SN_EUlS10_E0_NS1_11comp_targetILNS1_3genE0ELNS1_11target_archE4294967295ELNS1_3gpuE0ELNS1_3repE0EEENS1_38merge_mergepath_config_static_selectorELNS0_4arch9wavefront6targetE0EEEvSM_
                                        ; -- End function
	.set _ZN7rocprim17ROCPRIM_400000_NS6detail17trampoline_kernelINS0_14default_configENS1_38merge_sort_block_merge_config_selectorIlNS0_10empty_typeEEEZZNS1_27merge_sort_block_merge_implIS3_PlPS5_mZN2at6native12_GLOBAL__N_124unique_dim_cuda_templateIjEESt5tupleIJNSA_6TensorESF_SF_EERKSF_lbbbEUlllE_EE10hipError_tT0_T1_T2_jT3_P12ihipStream_tbPNSt15iterator_traitsISL_E10value_typeEPNSR_ISM_E10value_typeEPSN_NS1_7vsmem_tEENKUlT_SL_SM_SN_E_clIS8_S8_S9_S9_EESK_S10_SL_SM_SN_EUlS10_E0_NS1_11comp_targetILNS1_3genE0ELNS1_11target_archE4294967295ELNS1_3gpuE0ELNS1_3repE0EEENS1_38merge_mergepath_config_static_selectorELNS0_4arch9wavefront6targetE0EEEvSM_.num_vgpr, 40
	.set _ZN7rocprim17ROCPRIM_400000_NS6detail17trampoline_kernelINS0_14default_configENS1_38merge_sort_block_merge_config_selectorIlNS0_10empty_typeEEEZZNS1_27merge_sort_block_merge_implIS3_PlPS5_mZN2at6native12_GLOBAL__N_124unique_dim_cuda_templateIjEESt5tupleIJNSA_6TensorESF_SF_EERKSF_lbbbEUlllE_EE10hipError_tT0_T1_T2_jT3_P12ihipStream_tbPNSt15iterator_traitsISL_E10value_typeEPNSR_ISM_E10value_typeEPSN_NS1_7vsmem_tEENKUlT_SL_SM_SN_E_clIS8_S8_S9_S9_EESK_S10_SL_SM_SN_EUlS10_E0_NS1_11comp_targetILNS1_3genE0ELNS1_11target_archE4294967295ELNS1_3gpuE0ELNS1_3repE0EEENS1_38merge_mergepath_config_static_selectorELNS0_4arch9wavefront6targetE0EEEvSM_.num_agpr, 0
	.set _ZN7rocprim17ROCPRIM_400000_NS6detail17trampoline_kernelINS0_14default_configENS1_38merge_sort_block_merge_config_selectorIlNS0_10empty_typeEEEZZNS1_27merge_sort_block_merge_implIS3_PlPS5_mZN2at6native12_GLOBAL__N_124unique_dim_cuda_templateIjEESt5tupleIJNSA_6TensorESF_SF_EERKSF_lbbbEUlllE_EE10hipError_tT0_T1_T2_jT3_P12ihipStream_tbPNSt15iterator_traitsISL_E10value_typeEPNSR_ISM_E10value_typeEPSN_NS1_7vsmem_tEENKUlT_SL_SM_SN_E_clIS8_S8_S9_S9_EESK_S10_SL_SM_SN_EUlS10_E0_NS1_11comp_targetILNS1_3genE0ELNS1_11target_archE4294967295ELNS1_3gpuE0ELNS1_3repE0EEENS1_38merge_mergepath_config_static_selectorELNS0_4arch9wavefront6targetE0EEEvSM_.numbered_sgpr, 31
	.set _ZN7rocprim17ROCPRIM_400000_NS6detail17trampoline_kernelINS0_14default_configENS1_38merge_sort_block_merge_config_selectorIlNS0_10empty_typeEEEZZNS1_27merge_sort_block_merge_implIS3_PlPS5_mZN2at6native12_GLOBAL__N_124unique_dim_cuda_templateIjEESt5tupleIJNSA_6TensorESF_SF_EERKSF_lbbbEUlllE_EE10hipError_tT0_T1_T2_jT3_P12ihipStream_tbPNSt15iterator_traitsISL_E10value_typeEPNSR_ISM_E10value_typeEPSN_NS1_7vsmem_tEENKUlT_SL_SM_SN_E_clIS8_S8_S9_S9_EESK_S10_SL_SM_SN_EUlS10_E0_NS1_11comp_targetILNS1_3genE0ELNS1_11target_archE4294967295ELNS1_3gpuE0ELNS1_3repE0EEENS1_38merge_mergepath_config_static_selectorELNS0_4arch9wavefront6targetE0EEEvSM_.num_named_barrier, 0
	.set _ZN7rocprim17ROCPRIM_400000_NS6detail17trampoline_kernelINS0_14default_configENS1_38merge_sort_block_merge_config_selectorIlNS0_10empty_typeEEEZZNS1_27merge_sort_block_merge_implIS3_PlPS5_mZN2at6native12_GLOBAL__N_124unique_dim_cuda_templateIjEESt5tupleIJNSA_6TensorESF_SF_EERKSF_lbbbEUlllE_EE10hipError_tT0_T1_T2_jT3_P12ihipStream_tbPNSt15iterator_traitsISL_E10value_typeEPNSR_ISM_E10value_typeEPSN_NS1_7vsmem_tEENKUlT_SL_SM_SN_E_clIS8_S8_S9_S9_EESK_S10_SL_SM_SN_EUlS10_E0_NS1_11comp_targetILNS1_3genE0ELNS1_11target_archE4294967295ELNS1_3gpuE0ELNS1_3repE0EEENS1_38merge_mergepath_config_static_selectorELNS0_4arch9wavefront6targetE0EEEvSM_.private_seg_size, 0
	.set _ZN7rocprim17ROCPRIM_400000_NS6detail17trampoline_kernelINS0_14default_configENS1_38merge_sort_block_merge_config_selectorIlNS0_10empty_typeEEEZZNS1_27merge_sort_block_merge_implIS3_PlPS5_mZN2at6native12_GLOBAL__N_124unique_dim_cuda_templateIjEESt5tupleIJNSA_6TensorESF_SF_EERKSF_lbbbEUlllE_EE10hipError_tT0_T1_T2_jT3_P12ihipStream_tbPNSt15iterator_traitsISL_E10value_typeEPNSR_ISM_E10value_typeEPSN_NS1_7vsmem_tEENKUlT_SL_SM_SN_E_clIS8_S8_S9_S9_EESK_S10_SL_SM_SN_EUlS10_E0_NS1_11comp_targetILNS1_3genE0ELNS1_11target_archE4294967295ELNS1_3gpuE0ELNS1_3repE0EEENS1_38merge_mergepath_config_static_selectorELNS0_4arch9wavefront6targetE0EEEvSM_.uses_vcc, 1
	.set _ZN7rocprim17ROCPRIM_400000_NS6detail17trampoline_kernelINS0_14default_configENS1_38merge_sort_block_merge_config_selectorIlNS0_10empty_typeEEEZZNS1_27merge_sort_block_merge_implIS3_PlPS5_mZN2at6native12_GLOBAL__N_124unique_dim_cuda_templateIjEESt5tupleIJNSA_6TensorESF_SF_EERKSF_lbbbEUlllE_EE10hipError_tT0_T1_T2_jT3_P12ihipStream_tbPNSt15iterator_traitsISL_E10value_typeEPNSR_ISM_E10value_typeEPSN_NS1_7vsmem_tEENKUlT_SL_SM_SN_E_clIS8_S8_S9_S9_EESK_S10_SL_SM_SN_EUlS10_E0_NS1_11comp_targetILNS1_3genE0ELNS1_11target_archE4294967295ELNS1_3gpuE0ELNS1_3repE0EEENS1_38merge_mergepath_config_static_selectorELNS0_4arch9wavefront6targetE0EEEvSM_.uses_flat_scratch, 0
	.set _ZN7rocprim17ROCPRIM_400000_NS6detail17trampoline_kernelINS0_14default_configENS1_38merge_sort_block_merge_config_selectorIlNS0_10empty_typeEEEZZNS1_27merge_sort_block_merge_implIS3_PlPS5_mZN2at6native12_GLOBAL__N_124unique_dim_cuda_templateIjEESt5tupleIJNSA_6TensorESF_SF_EERKSF_lbbbEUlllE_EE10hipError_tT0_T1_T2_jT3_P12ihipStream_tbPNSt15iterator_traitsISL_E10value_typeEPNSR_ISM_E10value_typeEPSN_NS1_7vsmem_tEENKUlT_SL_SM_SN_E_clIS8_S8_S9_S9_EESK_S10_SL_SM_SN_EUlS10_E0_NS1_11comp_targetILNS1_3genE0ELNS1_11target_archE4294967295ELNS1_3gpuE0ELNS1_3repE0EEENS1_38merge_mergepath_config_static_selectorELNS0_4arch9wavefront6targetE0EEEvSM_.has_dyn_sized_stack, 0
	.set _ZN7rocprim17ROCPRIM_400000_NS6detail17trampoline_kernelINS0_14default_configENS1_38merge_sort_block_merge_config_selectorIlNS0_10empty_typeEEEZZNS1_27merge_sort_block_merge_implIS3_PlPS5_mZN2at6native12_GLOBAL__N_124unique_dim_cuda_templateIjEESt5tupleIJNSA_6TensorESF_SF_EERKSF_lbbbEUlllE_EE10hipError_tT0_T1_T2_jT3_P12ihipStream_tbPNSt15iterator_traitsISL_E10value_typeEPNSR_ISM_E10value_typeEPSN_NS1_7vsmem_tEENKUlT_SL_SM_SN_E_clIS8_S8_S9_S9_EESK_S10_SL_SM_SN_EUlS10_E0_NS1_11comp_targetILNS1_3genE0ELNS1_11target_archE4294967295ELNS1_3gpuE0ELNS1_3repE0EEENS1_38merge_mergepath_config_static_selectorELNS0_4arch9wavefront6targetE0EEEvSM_.has_recursion, 0
	.set _ZN7rocprim17ROCPRIM_400000_NS6detail17trampoline_kernelINS0_14default_configENS1_38merge_sort_block_merge_config_selectorIlNS0_10empty_typeEEEZZNS1_27merge_sort_block_merge_implIS3_PlPS5_mZN2at6native12_GLOBAL__N_124unique_dim_cuda_templateIjEESt5tupleIJNSA_6TensorESF_SF_EERKSF_lbbbEUlllE_EE10hipError_tT0_T1_T2_jT3_P12ihipStream_tbPNSt15iterator_traitsISL_E10value_typeEPNSR_ISM_E10value_typeEPSN_NS1_7vsmem_tEENKUlT_SL_SM_SN_E_clIS8_S8_S9_S9_EESK_S10_SL_SM_SN_EUlS10_E0_NS1_11comp_targetILNS1_3genE0ELNS1_11target_archE4294967295ELNS1_3gpuE0ELNS1_3repE0EEENS1_38merge_mergepath_config_static_selectorELNS0_4arch9wavefront6targetE0EEEvSM_.has_indirect_call, 0
	.section	.AMDGPU.csdata,"",@progbits
; Kernel info:
; codeLenInByte = 6748
; TotalNumSgprs: 33
; NumVgprs: 40
; ScratchSize: 0
; MemoryBound: 0
; FloatMode: 240
; IeeeMode: 1
; LDSByteSize: 8448 bytes/workgroup (compile time only)
; SGPRBlocks: 0
; VGPRBlocks: 2
; NumSGPRsForWavesPerEU: 33
; NumVGPRsForWavesPerEU: 40
; NamedBarCnt: 0
; Occupancy: 16
; WaveLimiterHint : 1
; COMPUTE_PGM_RSRC2:SCRATCH_EN: 0
; COMPUTE_PGM_RSRC2:USER_SGPR: 2
; COMPUTE_PGM_RSRC2:TRAP_HANDLER: 0
; COMPUTE_PGM_RSRC2:TGID_X_EN: 1
; COMPUTE_PGM_RSRC2:TGID_Y_EN: 1
; COMPUTE_PGM_RSRC2:TGID_Z_EN: 1
; COMPUTE_PGM_RSRC2:TIDIG_COMP_CNT: 0
	.section	.text._ZN7rocprim17ROCPRIM_400000_NS6detail17trampoline_kernelINS0_14default_configENS1_38merge_sort_block_merge_config_selectorIlNS0_10empty_typeEEEZZNS1_27merge_sort_block_merge_implIS3_PlPS5_mZN2at6native12_GLOBAL__N_124unique_dim_cuda_templateIjEESt5tupleIJNSA_6TensorESF_SF_EERKSF_lbbbEUlllE_EE10hipError_tT0_T1_T2_jT3_P12ihipStream_tbPNSt15iterator_traitsISL_E10value_typeEPNSR_ISM_E10value_typeEPSN_NS1_7vsmem_tEENKUlT_SL_SM_SN_E_clIS8_S8_S9_S9_EESK_S10_SL_SM_SN_EUlS10_E0_NS1_11comp_targetILNS1_3genE10ELNS1_11target_archE1201ELNS1_3gpuE5ELNS1_3repE0EEENS1_38merge_mergepath_config_static_selectorELNS0_4arch9wavefront6targetE0EEEvSM_,"axG",@progbits,_ZN7rocprim17ROCPRIM_400000_NS6detail17trampoline_kernelINS0_14default_configENS1_38merge_sort_block_merge_config_selectorIlNS0_10empty_typeEEEZZNS1_27merge_sort_block_merge_implIS3_PlPS5_mZN2at6native12_GLOBAL__N_124unique_dim_cuda_templateIjEESt5tupleIJNSA_6TensorESF_SF_EERKSF_lbbbEUlllE_EE10hipError_tT0_T1_T2_jT3_P12ihipStream_tbPNSt15iterator_traitsISL_E10value_typeEPNSR_ISM_E10value_typeEPSN_NS1_7vsmem_tEENKUlT_SL_SM_SN_E_clIS8_S8_S9_S9_EESK_S10_SL_SM_SN_EUlS10_E0_NS1_11comp_targetILNS1_3genE10ELNS1_11target_archE1201ELNS1_3gpuE5ELNS1_3repE0EEENS1_38merge_mergepath_config_static_selectorELNS0_4arch9wavefront6targetE0EEEvSM_,comdat
	.globl	_ZN7rocprim17ROCPRIM_400000_NS6detail17trampoline_kernelINS0_14default_configENS1_38merge_sort_block_merge_config_selectorIlNS0_10empty_typeEEEZZNS1_27merge_sort_block_merge_implIS3_PlPS5_mZN2at6native12_GLOBAL__N_124unique_dim_cuda_templateIjEESt5tupleIJNSA_6TensorESF_SF_EERKSF_lbbbEUlllE_EE10hipError_tT0_T1_T2_jT3_P12ihipStream_tbPNSt15iterator_traitsISL_E10value_typeEPNSR_ISM_E10value_typeEPSN_NS1_7vsmem_tEENKUlT_SL_SM_SN_E_clIS8_S8_S9_S9_EESK_S10_SL_SM_SN_EUlS10_E0_NS1_11comp_targetILNS1_3genE10ELNS1_11target_archE1201ELNS1_3gpuE5ELNS1_3repE0EEENS1_38merge_mergepath_config_static_selectorELNS0_4arch9wavefront6targetE0EEEvSM_ ; -- Begin function _ZN7rocprim17ROCPRIM_400000_NS6detail17trampoline_kernelINS0_14default_configENS1_38merge_sort_block_merge_config_selectorIlNS0_10empty_typeEEEZZNS1_27merge_sort_block_merge_implIS3_PlPS5_mZN2at6native12_GLOBAL__N_124unique_dim_cuda_templateIjEESt5tupleIJNSA_6TensorESF_SF_EERKSF_lbbbEUlllE_EE10hipError_tT0_T1_T2_jT3_P12ihipStream_tbPNSt15iterator_traitsISL_E10value_typeEPNSR_ISM_E10value_typeEPSN_NS1_7vsmem_tEENKUlT_SL_SM_SN_E_clIS8_S8_S9_S9_EESK_S10_SL_SM_SN_EUlS10_E0_NS1_11comp_targetILNS1_3genE10ELNS1_11target_archE1201ELNS1_3gpuE5ELNS1_3repE0EEENS1_38merge_mergepath_config_static_selectorELNS0_4arch9wavefront6targetE0EEEvSM_
	.p2align	8
	.type	_ZN7rocprim17ROCPRIM_400000_NS6detail17trampoline_kernelINS0_14default_configENS1_38merge_sort_block_merge_config_selectorIlNS0_10empty_typeEEEZZNS1_27merge_sort_block_merge_implIS3_PlPS5_mZN2at6native12_GLOBAL__N_124unique_dim_cuda_templateIjEESt5tupleIJNSA_6TensorESF_SF_EERKSF_lbbbEUlllE_EE10hipError_tT0_T1_T2_jT3_P12ihipStream_tbPNSt15iterator_traitsISL_E10value_typeEPNSR_ISM_E10value_typeEPSN_NS1_7vsmem_tEENKUlT_SL_SM_SN_E_clIS8_S8_S9_S9_EESK_S10_SL_SM_SN_EUlS10_E0_NS1_11comp_targetILNS1_3genE10ELNS1_11target_archE1201ELNS1_3gpuE5ELNS1_3repE0EEENS1_38merge_mergepath_config_static_selectorELNS0_4arch9wavefront6targetE0EEEvSM_,@function
_ZN7rocprim17ROCPRIM_400000_NS6detail17trampoline_kernelINS0_14default_configENS1_38merge_sort_block_merge_config_selectorIlNS0_10empty_typeEEEZZNS1_27merge_sort_block_merge_implIS3_PlPS5_mZN2at6native12_GLOBAL__N_124unique_dim_cuda_templateIjEESt5tupleIJNSA_6TensorESF_SF_EERKSF_lbbbEUlllE_EE10hipError_tT0_T1_T2_jT3_P12ihipStream_tbPNSt15iterator_traitsISL_E10value_typeEPNSR_ISM_E10value_typeEPSN_NS1_7vsmem_tEENKUlT_SL_SM_SN_E_clIS8_S8_S9_S9_EESK_S10_SL_SM_SN_EUlS10_E0_NS1_11comp_targetILNS1_3genE10ELNS1_11target_archE1201ELNS1_3gpuE5ELNS1_3repE0EEENS1_38merge_mergepath_config_static_selectorELNS0_4arch9wavefront6targetE0EEEvSM_: ; @_ZN7rocprim17ROCPRIM_400000_NS6detail17trampoline_kernelINS0_14default_configENS1_38merge_sort_block_merge_config_selectorIlNS0_10empty_typeEEEZZNS1_27merge_sort_block_merge_implIS3_PlPS5_mZN2at6native12_GLOBAL__N_124unique_dim_cuda_templateIjEESt5tupleIJNSA_6TensorESF_SF_EERKSF_lbbbEUlllE_EE10hipError_tT0_T1_T2_jT3_P12ihipStream_tbPNSt15iterator_traitsISL_E10value_typeEPNSR_ISM_E10value_typeEPSN_NS1_7vsmem_tEENKUlT_SL_SM_SN_E_clIS8_S8_S9_S9_EESK_S10_SL_SM_SN_EUlS10_E0_NS1_11comp_targetILNS1_3genE10ELNS1_11target_archE1201ELNS1_3gpuE5ELNS1_3repE0EEENS1_38merge_mergepath_config_static_selectorELNS0_4arch9wavefront6targetE0EEEvSM_
; %bb.0:
	.section	.rodata,"a",@progbits
	.p2align	6, 0x0
	.amdhsa_kernel _ZN7rocprim17ROCPRIM_400000_NS6detail17trampoline_kernelINS0_14default_configENS1_38merge_sort_block_merge_config_selectorIlNS0_10empty_typeEEEZZNS1_27merge_sort_block_merge_implIS3_PlPS5_mZN2at6native12_GLOBAL__N_124unique_dim_cuda_templateIjEESt5tupleIJNSA_6TensorESF_SF_EERKSF_lbbbEUlllE_EE10hipError_tT0_T1_T2_jT3_P12ihipStream_tbPNSt15iterator_traitsISL_E10value_typeEPNSR_ISM_E10value_typeEPSN_NS1_7vsmem_tEENKUlT_SL_SM_SN_E_clIS8_S8_S9_S9_EESK_S10_SL_SM_SN_EUlS10_E0_NS1_11comp_targetILNS1_3genE10ELNS1_11target_archE1201ELNS1_3gpuE5ELNS1_3repE0EEENS1_38merge_mergepath_config_static_selectorELNS0_4arch9wavefront6targetE0EEEvSM_
		.amdhsa_group_segment_fixed_size 0
		.amdhsa_private_segment_fixed_size 0
		.amdhsa_kernarg_size 88
		.amdhsa_user_sgpr_count 2
		.amdhsa_user_sgpr_dispatch_ptr 0
		.amdhsa_user_sgpr_queue_ptr 0
		.amdhsa_user_sgpr_kernarg_segment_ptr 1
		.amdhsa_user_sgpr_dispatch_id 0
		.amdhsa_user_sgpr_kernarg_preload_length 0
		.amdhsa_user_sgpr_kernarg_preload_offset 0
		.amdhsa_user_sgpr_private_segment_size 0
		.amdhsa_wavefront_size32 1
		.amdhsa_uses_dynamic_stack 0
		.amdhsa_enable_private_segment 0
		.amdhsa_system_sgpr_workgroup_id_x 1
		.amdhsa_system_sgpr_workgroup_id_y 0
		.amdhsa_system_sgpr_workgroup_id_z 0
		.amdhsa_system_sgpr_workgroup_info 0
		.amdhsa_system_vgpr_workitem_id 0
		.amdhsa_next_free_vgpr 1
		.amdhsa_next_free_sgpr 1
		.amdhsa_named_barrier_count 0
		.amdhsa_reserve_vcc 0
		.amdhsa_float_round_mode_32 0
		.amdhsa_float_round_mode_16_64 0
		.amdhsa_float_denorm_mode_32 3
		.amdhsa_float_denorm_mode_16_64 3
		.amdhsa_fp16_overflow 0
		.amdhsa_memory_ordered 1
		.amdhsa_forward_progress 1
		.amdhsa_inst_pref_size 0
		.amdhsa_round_robin_scheduling 0
		.amdhsa_exception_fp_ieee_invalid_op 0
		.amdhsa_exception_fp_denorm_src 0
		.amdhsa_exception_fp_ieee_div_zero 0
		.amdhsa_exception_fp_ieee_overflow 0
		.amdhsa_exception_fp_ieee_underflow 0
		.amdhsa_exception_fp_ieee_inexact 0
		.amdhsa_exception_int_div_zero 0
	.end_amdhsa_kernel
	.section	.text._ZN7rocprim17ROCPRIM_400000_NS6detail17trampoline_kernelINS0_14default_configENS1_38merge_sort_block_merge_config_selectorIlNS0_10empty_typeEEEZZNS1_27merge_sort_block_merge_implIS3_PlPS5_mZN2at6native12_GLOBAL__N_124unique_dim_cuda_templateIjEESt5tupleIJNSA_6TensorESF_SF_EERKSF_lbbbEUlllE_EE10hipError_tT0_T1_T2_jT3_P12ihipStream_tbPNSt15iterator_traitsISL_E10value_typeEPNSR_ISM_E10value_typeEPSN_NS1_7vsmem_tEENKUlT_SL_SM_SN_E_clIS8_S8_S9_S9_EESK_S10_SL_SM_SN_EUlS10_E0_NS1_11comp_targetILNS1_3genE10ELNS1_11target_archE1201ELNS1_3gpuE5ELNS1_3repE0EEENS1_38merge_mergepath_config_static_selectorELNS0_4arch9wavefront6targetE0EEEvSM_,"axG",@progbits,_ZN7rocprim17ROCPRIM_400000_NS6detail17trampoline_kernelINS0_14default_configENS1_38merge_sort_block_merge_config_selectorIlNS0_10empty_typeEEEZZNS1_27merge_sort_block_merge_implIS3_PlPS5_mZN2at6native12_GLOBAL__N_124unique_dim_cuda_templateIjEESt5tupleIJNSA_6TensorESF_SF_EERKSF_lbbbEUlllE_EE10hipError_tT0_T1_T2_jT3_P12ihipStream_tbPNSt15iterator_traitsISL_E10value_typeEPNSR_ISM_E10value_typeEPSN_NS1_7vsmem_tEENKUlT_SL_SM_SN_E_clIS8_S8_S9_S9_EESK_S10_SL_SM_SN_EUlS10_E0_NS1_11comp_targetILNS1_3genE10ELNS1_11target_archE1201ELNS1_3gpuE5ELNS1_3repE0EEENS1_38merge_mergepath_config_static_selectorELNS0_4arch9wavefront6targetE0EEEvSM_,comdat
.Lfunc_end1501:
	.size	_ZN7rocprim17ROCPRIM_400000_NS6detail17trampoline_kernelINS0_14default_configENS1_38merge_sort_block_merge_config_selectorIlNS0_10empty_typeEEEZZNS1_27merge_sort_block_merge_implIS3_PlPS5_mZN2at6native12_GLOBAL__N_124unique_dim_cuda_templateIjEESt5tupleIJNSA_6TensorESF_SF_EERKSF_lbbbEUlllE_EE10hipError_tT0_T1_T2_jT3_P12ihipStream_tbPNSt15iterator_traitsISL_E10value_typeEPNSR_ISM_E10value_typeEPSN_NS1_7vsmem_tEENKUlT_SL_SM_SN_E_clIS8_S8_S9_S9_EESK_S10_SL_SM_SN_EUlS10_E0_NS1_11comp_targetILNS1_3genE10ELNS1_11target_archE1201ELNS1_3gpuE5ELNS1_3repE0EEENS1_38merge_mergepath_config_static_selectorELNS0_4arch9wavefront6targetE0EEEvSM_, .Lfunc_end1501-_ZN7rocprim17ROCPRIM_400000_NS6detail17trampoline_kernelINS0_14default_configENS1_38merge_sort_block_merge_config_selectorIlNS0_10empty_typeEEEZZNS1_27merge_sort_block_merge_implIS3_PlPS5_mZN2at6native12_GLOBAL__N_124unique_dim_cuda_templateIjEESt5tupleIJNSA_6TensorESF_SF_EERKSF_lbbbEUlllE_EE10hipError_tT0_T1_T2_jT3_P12ihipStream_tbPNSt15iterator_traitsISL_E10value_typeEPNSR_ISM_E10value_typeEPSN_NS1_7vsmem_tEENKUlT_SL_SM_SN_E_clIS8_S8_S9_S9_EESK_S10_SL_SM_SN_EUlS10_E0_NS1_11comp_targetILNS1_3genE10ELNS1_11target_archE1201ELNS1_3gpuE5ELNS1_3repE0EEENS1_38merge_mergepath_config_static_selectorELNS0_4arch9wavefront6targetE0EEEvSM_
                                        ; -- End function
	.set _ZN7rocprim17ROCPRIM_400000_NS6detail17trampoline_kernelINS0_14default_configENS1_38merge_sort_block_merge_config_selectorIlNS0_10empty_typeEEEZZNS1_27merge_sort_block_merge_implIS3_PlPS5_mZN2at6native12_GLOBAL__N_124unique_dim_cuda_templateIjEESt5tupleIJNSA_6TensorESF_SF_EERKSF_lbbbEUlllE_EE10hipError_tT0_T1_T2_jT3_P12ihipStream_tbPNSt15iterator_traitsISL_E10value_typeEPNSR_ISM_E10value_typeEPSN_NS1_7vsmem_tEENKUlT_SL_SM_SN_E_clIS8_S8_S9_S9_EESK_S10_SL_SM_SN_EUlS10_E0_NS1_11comp_targetILNS1_3genE10ELNS1_11target_archE1201ELNS1_3gpuE5ELNS1_3repE0EEENS1_38merge_mergepath_config_static_selectorELNS0_4arch9wavefront6targetE0EEEvSM_.num_vgpr, 0
	.set _ZN7rocprim17ROCPRIM_400000_NS6detail17trampoline_kernelINS0_14default_configENS1_38merge_sort_block_merge_config_selectorIlNS0_10empty_typeEEEZZNS1_27merge_sort_block_merge_implIS3_PlPS5_mZN2at6native12_GLOBAL__N_124unique_dim_cuda_templateIjEESt5tupleIJNSA_6TensorESF_SF_EERKSF_lbbbEUlllE_EE10hipError_tT0_T1_T2_jT3_P12ihipStream_tbPNSt15iterator_traitsISL_E10value_typeEPNSR_ISM_E10value_typeEPSN_NS1_7vsmem_tEENKUlT_SL_SM_SN_E_clIS8_S8_S9_S9_EESK_S10_SL_SM_SN_EUlS10_E0_NS1_11comp_targetILNS1_3genE10ELNS1_11target_archE1201ELNS1_3gpuE5ELNS1_3repE0EEENS1_38merge_mergepath_config_static_selectorELNS0_4arch9wavefront6targetE0EEEvSM_.num_agpr, 0
	.set _ZN7rocprim17ROCPRIM_400000_NS6detail17trampoline_kernelINS0_14default_configENS1_38merge_sort_block_merge_config_selectorIlNS0_10empty_typeEEEZZNS1_27merge_sort_block_merge_implIS3_PlPS5_mZN2at6native12_GLOBAL__N_124unique_dim_cuda_templateIjEESt5tupleIJNSA_6TensorESF_SF_EERKSF_lbbbEUlllE_EE10hipError_tT0_T1_T2_jT3_P12ihipStream_tbPNSt15iterator_traitsISL_E10value_typeEPNSR_ISM_E10value_typeEPSN_NS1_7vsmem_tEENKUlT_SL_SM_SN_E_clIS8_S8_S9_S9_EESK_S10_SL_SM_SN_EUlS10_E0_NS1_11comp_targetILNS1_3genE10ELNS1_11target_archE1201ELNS1_3gpuE5ELNS1_3repE0EEENS1_38merge_mergepath_config_static_selectorELNS0_4arch9wavefront6targetE0EEEvSM_.numbered_sgpr, 0
	.set _ZN7rocprim17ROCPRIM_400000_NS6detail17trampoline_kernelINS0_14default_configENS1_38merge_sort_block_merge_config_selectorIlNS0_10empty_typeEEEZZNS1_27merge_sort_block_merge_implIS3_PlPS5_mZN2at6native12_GLOBAL__N_124unique_dim_cuda_templateIjEESt5tupleIJNSA_6TensorESF_SF_EERKSF_lbbbEUlllE_EE10hipError_tT0_T1_T2_jT3_P12ihipStream_tbPNSt15iterator_traitsISL_E10value_typeEPNSR_ISM_E10value_typeEPSN_NS1_7vsmem_tEENKUlT_SL_SM_SN_E_clIS8_S8_S9_S9_EESK_S10_SL_SM_SN_EUlS10_E0_NS1_11comp_targetILNS1_3genE10ELNS1_11target_archE1201ELNS1_3gpuE5ELNS1_3repE0EEENS1_38merge_mergepath_config_static_selectorELNS0_4arch9wavefront6targetE0EEEvSM_.num_named_barrier, 0
	.set _ZN7rocprim17ROCPRIM_400000_NS6detail17trampoline_kernelINS0_14default_configENS1_38merge_sort_block_merge_config_selectorIlNS0_10empty_typeEEEZZNS1_27merge_sort_block_merge_implIS3_PlPS5_mZN2at6native12_GLOBAL__N_124unique_dim_cuda_templateIjEESt5tupleIJNSA_6TensorESF_SF_EERKSF_lbbbEUlllE_EE10hipError_tT0_T1_T2_jT3_P12ihipStream_tbPNSt15iterator_traitsISL_E10value_typeEPNSR_ISM_E10value_typeEPSN_NS1_7vsmem_tEENKUlT_SL_SM_SN_E_clIS8_S8_S9_S9_EESK_S10_SL_SM_SN_EUlS10_E0_NS1_11comp_targetILNS1_3genE10ELNS1_11target_archE1201ELNS1_3gpuE5ELNS1_3repE0EEENS1_38merge_mergepath_config_static_selectorELNS0_4arch9wavefront6targetE0EEEvSM_.private_seg_size, 0
	.set _ZN7rocprim17ROCPRIM_400000_NS6detail17trampoline_kernelINS0_14default_configENS1_38merge_sort_block_merge_config_selectorIlNS0_10empty_typeEEEZZNS1_27merge_sort_block_merge_implIS3_PlPS5_mZN2at6native12_GLOBAL__N_124unique_dim_cuda_templateIjEESt5tupleIJNSA_6TensorESF_SF_EERKSF_lbbbEUlllE_EE10hipError_tT0_T1_T2_jT3_P12ihipStream_tbPNSt15iterator_traitsISL_E10value_typeEPNSR_ISM_E10value_typeEPSN_NS1_7vsmem_tEENKUlT_SL_SM_SN_E_clIS8_S8_S9_S9_EESK_S10_SL_SM_SN_EUlS10_E0_NS1_11comp_targetILNS1_3genE10ELNS1_11target_archE1201ELNS1_3gpuE5ELNS1_3repE0EEENS1_38merge_mergepath_config_static_selectorELNS0_4arch9wavefront6targetE0EEEvSM_.uses_vcc, 0
	.set _ZN7rocprim17ROCPRIM_400000_NS6detail17trampoline_kernelINS0_14default_configENS1_38merge_sort_block_merge_config_selectorIlNS0_10empty_typeEEEZZNS1_27merge_sort_block_merge_implIS3_PlPS5_mZN2at6native12_GLOBAL__N_124unique_dim_cuda_templateIjEESt5tupleIJNSA_6TensorESF_SF_EERKSF_lbbbEUlllE_EE10hipError_tT0_T1_T2_jT3_P12ihipStream_tbPNSt15iterator_traitsISL_E10value_typeEPNSR_ISM_E10value_typeEPSN_NS1_7vsmem_tEENKUlT_SL_SM_SN_E_clIS8_S8_S9_S9_EESK_S10_SL_SM_SN_EUlS10_E0_NS1_11comp_targetILNS1_3genE10ELNS1_11target_archE1201ELNS1_3gpuE5ELNS1_3repE0EEENS1_38merge_mergepath_config_static_selectorELNS0_4arch9wavefront6targetE0EEEvSM_.uses_flat_scratch, 0
	.set _ZN7rocprim17ROCPRIM_400000_NS6detail17trampoline_kernelINS0_14default_configENS1_38merge_sort_block_merge_config_selectorIlNS0_10empty_typeEEEZZNS1_27merge_sort_block_merge_implIS3_PlPS5_mZN2at6native12_GLOBAL__N_124unique_dim_cuda_templateIjEESt5tupleIJNSA_6TensorESF_SF_EERKSF_lbbbEUlllE_EE10hipError_tT0_T1_T2_jT3_P12ihipStream_tbPNSt15iterator_traitsISL_E10value_typeEPNSR_ISM_E10value_typeEPSN_NS1_7vsmem_tEENKUlT_SL_SM_SN_E_clIS8_S8_S9_S9_EESK_S10_SL_SM_SN_EUlS10_E0_NS1_11comp_targetILNS1_3genE10ELNS1_11target_archE1201ELNS1_3gpuE5ELNS1_3repE0EEENS1_38merge_mergepath_config_static_selectorELNS0_4arch9wavefront6targetE0EEEvSM_.has_dyn_sized_stack, 0
	.set _ZN7rocprim17ROCPRIM_400000_NS6detail17trampoline_kernelINS0_14default_configENS1_38merge_sort_block_merge_config_selectorIlNS0_10empty_typeEEEZZNS1_27merge_sort_block_merge_implIS3_PlPS5_mZN2at6native12_GLOBAL__N_124unique_dim_cuda_templateIjEESt5tupleIJNSA_6TensorESF_SF_EERKSF_lbbbEUlllE_EE10hipError_tT0_T1_T2_jT3_P12ihipStream_tbPNSt15iterator_traitsISL_E10value_typeEPNSR_ISM_E10value_typeEPSN_NS1_7vsmem_tEENKUlT_SL_SM_SN_E_clIS8_S8_S9_S9_EESK_S10_SL_SM_SN_EUlS10_E0_NS1_11comp_targetILNS1_3genE10ELNS1_11target_archE1201ELNS1_3gpuE5ELNS1_3repE0EEENS1_38merge_mergepath_config_static_selectorELNS0_4arch9wavefront6targetE0EEEvSM_.has_recursion, 0
	.set _ZN7rocprim17ROCPRIM_400000_NS6detail17trampoline_kernelINS0_14default_configENS1_38merge_sort_block_merge_config_selectorIlNS0_10empty_typeEEEZZNS1_27merge_sort_block_merge_implIS3_PlPS5_mZN2at6native12_GLOBAL__N_124unique_dim_cuda_templateIjEESt5tupleIJNSA_6TensorESF_SF_EERKSF_lbbbEUlllE_EE10hipError_tT0_T1_T2_jT3_P12ihipStream_tbPNSt15iterator_traitsISL_E10value_typeEPNSR_ISM_E10value_typeEPSN_NS1_7vsmem_tEENKUlT_SL_SM_SN_E_clIS8_S8_S9_S9_EESK_S10_SL_SM_SN_EUlS10_E0_NS1_11comp_targetILNS1_3genE10ELNS1_11target_archE1201ELNS1_3gpuE5ELNS1_3repE0EEENS1_38merge_mergepath_config_static_selectorELNS0_4arch9wavefront6targetE0EEEvSM_.has_indirect_call, 0
	.section	.AMDGPU.csdata,"",@progbits
; Kernel info:
; codeLenInByte = 0
; TotalNumSgprs: 0
; NumVgprs: 0
; ScratchSize: 0
; MemoryBound: 0
; FloatMode: 240
; IeeeMode: 1
; LDSByteSize: 0 bytes/workgroup (compile time only)
; SGPRBlocks: 0
; VGPRBlocks: 0
; NumSGPRsForWavesPerEU: 1
; NumVGPRsForWavesPerEU: 1
; NamedBarCnt: 0
; Occupancy: 16
; WaveLimiterHint : 0
; COMPUTE_PGM_RSRC2:SCRATCH_EN: 0
; COMPUTE_PGM_RSRC2:USER_SGPR: 2
; COMPUTE_PGM_RSRC2:TRAP_HANDLER: 0
; COMPUTE_PGM_RSRC2:TGID_X_EN: 1
; COMPUTE_PGM_RSRC2:TGID_Y_EN: 0
; COMPUTE_PGM_RSRC2:TGID_Z_EN: 0
; COMPUTE_PGM_RSRC2:TIDIG_COMP_CNT: 0
	.section	.text._ZN7rocprim17ROCPRIM_400000_NS6detail17trampoline_kernelINS0_14default_configENS1_38merge_sort_block_merge_config_selectorIlNS0_10empty_typeEEEZZNS1_27merge_sort_block_merge_implIS3_PlPS5_mZN2at6native12_GLOBAL__N_124unique_dim_cuda_templateIjEESt5tupleIJNSA_6TensorESF_SF_EERKSF_lbbbEUlllE_EE10hipError_tT0_T1_T2_jT3_P12ihipStream_tbPNSt15iterator_traitsISL_E10value_typeEPNSR_ISM_E10value_typeEPSN_NS1_7vsmem_tEENKUlT_SL_SM_SN_E_clIS8_S8_S9_S9_EESK_S10_SL_SM_SN_EUlS10_E0_NS1_11comp_targetILNS1_3genE5ELNS1_11target_archE942ELNS1_3gpuE9ELNS1_3repE0EEENS1_38merge_mergepath_config_static_selectorELNS0_4arch9wavefront6targetE0EEEvSM_,"axG",@progbits,_ZN7rocprim17ROCPRIM_400000_NS6detail17trampoline_kernelINS0_14default_configENS1_38merge_sort_block_merge_config_selectorIlNS0_10empty_typeEEEZZNS1_27merge_sort_block_merge_implIS3_PlPS5_mZN2at6native12_GLOBAL__N_124unique_dim_cuda_templateIjEESt5tupleIJNSA_6TensorESF_SF_EERKSF_lbbbEUlllE_EE10hipError_tT0_T1_T2_jT3_P12ihipStream_tbPNSt15iterator_traitsISL_E10value_typeEPNSR_ISM_E10value_typeEPSN_NS1_7vsmem_tEENKUlT_SL_SM_SN_E_clIS8_S8_S9_S9_EESK_S10_SL_SM_SN_EUlS10_E0_NS1_11comp_targetILNS1_3genE5ELNS1_11target_archE942ELNS1_3gpuE9ELNS1_3repE0EEENS1_38merge_mergepath_config_static_selectorELNS0_4arch9wavefront6targetE0EEEvSM_,comdat
	.globl	_ZN7rocprim17ROCPRIM_400000_NS6detail17trampoline_kernelINS0_14default_configENS1_38merge_sort_block_merge_config_selectorIlNS0_10empty_typeEEEZZNS1_27merge_sort_block_merge_implIS3_PlPS5_mZN2at6native12_GLOBAL__N_124unique_dim_cuda_templateIjEESt5tupleIJNSA_6TensorESF_SF_EERKSF_lbbbEUlllE_EE10hipError_tT0_T1_T2_jT3_P12ihipStream_tbPNSt15iterator_traitsISL_E10value_typeEPNSR_ISM_E10value_typeEPSN_NS1_7vsmem_tEENKUlT_SL_SM_SN_E_clIS8_S8_S9_S9_EESK_S10_SL_SM_SN_EUlS10_E0_NS1_11comp_targetILNS1_3genE5ELNS1_11target_archE942ELNS1_3gpuE9ELNS1_3repE0EEENS1_38merge_mergepath_config_static_selectorELNS0_4arch9wavefront6targetE0EEEvSM_ ; -- Begin function _ZN7rocprim17ROCPRIM_400000_NS6detail17trampoline_kernelINS0_14default_configENS1_38merge_sort_block_merge_config_selectorIlNS0_10empty_typeEEEZZNS1_27merge_sort_block_merge_implIS3_PlPS5_mZN2at6native12_GLOBAL__N_124unique_dim_cuda_templateIjEESt5tupleIJNSA_6TensorESF_SF_EERKSF_lbbbEUlllE_EE10hipError_tT0_T1_T2_jT3_P12ihipStream_tbPNSt15iterator_traitsISL_E10value_typeEPNSR_ISM_E10value_typeEPSN_NS1_7vsmem_tEENKUlT_SL_SM_SN_E_clIS8_S8_S9_S9_EESK_S10_SL_SM_SN_EUlS10_E0_NS1_11comp_targetILNS1_3genE5ELNS1_11target_archE942ELNS1_3gpuE9ELNS1_3repE0EEENS1_38merge_mergepath_config_static_selectorELNS0_4arch9wavefront6targetE0EEEvSM_
	.p2align	8
	.type	_ZN7rocprim17ROCPRIM_400000_NS6detail17trampoline_kernelINS0_14default_configENS1_38merge_sort_block_merge_config_selectorIlNS0_10empty_typeEEEZZNS1_27merge_sort_block_merge_implIS3_PlPS5_mZN2at6native12_GLOBAL__N_124unique_dim_cuda_templateIjEESt5tupleIJNSA_6TensorESF_SF_EERKSF_lbbbEUlllE_EE10hipError_tT0_T1_T2_jT3_P12ihipStream_tbPNSt15iterator_traitsISL_E10value_typeEPNSR_ISM_E10value_typeEPSN_NS1_7vsmem_tEENKUlT_SL_SM_SN_E_clIS8_S8_S9_S9_EESK_S10_SL_SM_SN_EUlS10_E0_NS1_11comp_targetILNS1_3genE5ELNS1_11target_archE942ELNS1_3gpuE9ELNS1_3repE0EEENS1_38merge_mergepath_config_static_selectorELNS0_4arch9wavefront6targetE0EEEvSM_,@function
_ZN7rocprim17ROCPRIM_400000_NS6detail17trampoline_kernelINS0_14default_configENS1_38merge_sort_block_merge_config_selectorIlNS0_10empty_typeEEEZZNS1_27merge_sort_block_merge_implIS3_PlPS5_mZN2at6native12_GLOBAL__N_124unique_dim_cuda_templateIjEESt5tupleIJNSA_6TensorESF_SF_EERKSF_lbbbEUlllE_EE10hipError_tT0_T1_T2_jT3_P12ihipStream_tbPNSt15iterator_traitsISL_E10value_typeEPNSR_ISM_E10value_typeEPSN_NS1_7vsmem_tEENKUlT_SL_SM_SN_E_clIS8_S8_S9_S9_EESK_S10_SL_SM_SN_EUlS10_E0_NS1_11comp_targetILNS1_3genE5ELNS1_11target_archE942ELNS1_3gpuE9ELNS1_3repE0EEENS1_38merge_mergepath_config_static_selectorELNS0_4arch9wavefront6targetE0EEEvSM_: ; @_ZN7rocprim17ROCPRIM_400000_NS6detail17trampoline_kernelINS0_14default_configENS1_38merge_sort_block_merge_config_selectorIlNS0_10empty_typeEEEZZNS1_27merge_sort_block_merge_implIS3_PlPS5_mZN2at6native12_GLOBAL__N_124unique_dim_cuda_templateIjEESt5tupleIJNSA_6TensorESF_SF_EERKSF_lbbbEUlllE_EE10hipError_tT0_T1_T2_jT3_P12ihipStream_tbPNSt15iterator_traitsISL_E10value_typeEPNSR_ISM_E10value_typeEPSN_NS1_7vsmem_tEENKUlT_SL_SM_SN_E_clIS8_S8_S9_S9_EESK_S10_SL_SM_SN_EUlS10_E0_NS1_11comp_targetILNS1_3genE5ELNS1_11target_archE942ELNS1_3gpuE9ELNS1_3repE0EEENS1_38merge_mergepath_config_static_selectorELNS0_4arch9wavefront6targetE0EEEvSM_
; %bb.0:
	.section	.rodata,"a",@progbits
	.p2align	6, 0x0
	.amdhsa_kernel _ZN7rocprim17ROCPRIM_400000_NS6detail17trampoline_kernelINS0_14default_configENS1_38merge_sort_block_merge_config_selectorIlNS0_10empty_typeEEEZZNS1_27merge_sort_block_merge_implIS3_PlPS5_mZN2at6native12_GLOBAL__N_124unique_dim_cuda_templateIjEESt5tupleIJNSA_6TensorESF_SF_EERKSF_lbbbEUlllE_EE10hipError_tT0_T1_T2_jT3_P12ihipStream_tbPNSt15iterator_traitsISL_E10value_typeEPNSR_ISM_E10value_typeEPSN_NS1_7vsmem_tEENKUlT_SL_SM_SN_E_clIS8_S8_S9_S9_EESK_S10_SL_SM_SN_EUlS10_E0_NS1_11comp_targetILNS1_3genE5ELNS1_11target_archE942ELNS1_3gpuE9ELNS1_3repE0EEENS1_38merge_mergepath_config_static_selectorELNS0_4arch9wavefront6targetE0EEEvSM_
		.amdhsa_group_segment_fixed_size 0
		.amdhsa_private_segment_fixed_size 0
		.amdhsa_kernarg_size 88
		.amdhsa_user_sgpr_count 2
		.amdhsa_user_sgpr_dispatch_ptr 0
		.amdhsa_user_sgpr_queue_ptr 0
		.amdhsa_user_sgpr_kernarg_segment_ptr 1
		.amdhsa_user_sgpr_dispatch_id 0
		.amdhsa_user_sgpr_kernarg_preload_length 0
		.amdhsa_user_sgpr_kernarg_preload_offset 0
		.amdhsa_user_sgpr_private_segment_size 0
		.amdhsa_wavefront_size32 1
		.amdhsa_uses_dynamic_stack 0
		.amdhsa_enable_private_segment 0
		.amdhsa_system_sgpr_workgroup_id_x 1
		.amdhsa_system_sgpr_workgroup_id_y 0
		.amdhsa_system_sgpr_workgroup_id_z 0
		.amdhsa_system_sgpr_workgroup_info 0
		.amdhsa_system_vgpr_workitem_id 0
		.amdhsa_next_free_vgpr 1
		.amdhsa_next_free_sgpr 1
		.amdhsa_named_barrier_count 0
		.amdhsa_reserve_vcc 0
		.amdhsa_float_round_mode_32 0
		.amdhsa_float_round_mode_16_64 0
		.amdhsa_float_denorm_mode_32 3
		.amdhsa_float_denorm_mode_16_64 3
		.amdhsa_fp16_overflow 0
		.amdhsa_memory_ordered 1
		.amdhsa_forward_progress 1
		.amdhsa_inst_pref_size 0
		.amdhsa_round_robin_scheduling 0
		.amdhsa_exception_fp_ieee_invalid_op 0
		.amdhsa_exception_fp_denorm_src 0
		.amdhsa_exception_fp_ieee_div_zero 0
		.amdhsa_exception_fp_ieee_overflow 0
		.amdhsa_exception_fp_ieee_underflow 0
		.amdhsa_exception_fp_ieee_inexact 0
		.amdhsa_exception_int_div_zero 0
	.end_amdhsa_kernel
	.section	.text._ZN7rocprim17ROCPRIM_400000_NS6detail17trampoline_kernelINS0_14default_configENS1_38merge_sort_block_merge_config_selectorIlNS0_10empty_typeEEEZZNS1_27merge_sort_block_merge_implIS3_PlPS5_mZN2at6native12_GLOBAL__N_124unique_dim_cuda_templateIjEESt5tupleIJNSA_6TensorESF_SF_EERKSF_lbbbEUlllE_EE10hipError_tT0_T1_T2_jT3_P12ihipStream_tbPNSt15iterator_traitsISL_E10value_typeEPNSR_ISM_E10value_typeEPSN_NS1_7vsmem_tEENKUlT_SL_SM_SN_E_clIS8_S8_S9_S9_EESK_S10_SL_SM_SN_EUlS10_E0_NS1_11comp_targetILNS1_3genE5ELNS1_11target_archE942ELNS1_3gpuE9ELNS1_3repE0EEENS1_38merge_mergepath_config_static_selectorELNS0_4arch9wavefront6targetE0EEEvSM_,"axG",@progbits,_ZN7rocprim17ROCPRIM_400000_NS6detail17trampoline_kernelINS0_14default_configENS1_38merge_sort_block_merge_config_selectorIlNS0_10empty_typeEEEZZNS1_27merge_sort_block_merge_implIS3_PlPS5_mZN2at6native12_GLOBAL__N_124unique_dim_cuda_templateIjEESt5tupleIJNSA_6TensorESF_SF_EERKSF_lbbbEUlllE_EE10hipError_tT0_T1_T2_jT3_P12ihipStream_tbPNSt15iterator_traitsISL_E10value_typeEPNSR_ISM_E10value_typeEPSN_NS1_7vsmem_tEENKUlT_SL_SM_SN_E_clIS8_S8_S9_S9_EESK_S10_SL_SM_SN_EUlS10_E0_NS1_11comp_targetILNS1_3genE5ELNS1_11target_archE942ELNS1_3gpuE9ELNS1_3repE0EEENS1_38merge_mergepath_config_static_selectorELNS0_4arch9wavefront6targetE0EEEvSM_,comdat
.Lfunc_end1502:
	.size	_ZN7rocprim17ROCPRIM_400000_NS6detail17trampoline_kernelINS0_14default_configENS1_38merge_sort_block_merge_config_selectorIlNS0_10empty_typeEEEZZNS1_27merge_sort_block_merge_implIS3_PlPS5_mZN2at6native12_GLOBAL__N_124unique_dim_cuda_templateIjEESt5tupleIJNSA_6TensorESF_SF_EERKSF_lbbbEUlllE_EE10hipError_tT0_T1_T2_jT3_P12ihipStream_tbPNSt15iterator_traitsISL_E10value_typeEPNSR_ISM_E10value_typeEPSN_NS1_7vsmem_tEENKUlT_SL_SM_SN_E_clIS8_S8_S9_S9_EESK_S10_SL_SM_SN_EUlS10_E0_NS1_11comp_targetILNS1_3genE5ELNS1_11target_archE942ELNS1_3gpuE9ELNS1_3repE0EEENS1_38merge_mergepath_config_static_selectorELNS0_4arch9wavefront6targetE0EEEvSM_, .Lfunc_end1502-_ZN7rocprim17ROCPRIM_400000_NS6detail17trampoline_kernelINS0_14default_configENS1_38merge_sort_block_merge_config_selectorIlNS0_10empty_typeEEEZZNS1_27merge_sort_block_merge_implIS3_PlPS5_mZN2at6native12_GLOBAL__N_124unique_dim_cuda_templateIjEESt5tupleIJNSA_6TensorESF_SF_EERKSF_lbbbEUlllE_EE10hipError_tT0_T1_T2_jT3_P12ihipStream_tbPNSt15iterator_traitsISL_E10value_typeEPNSR_ISM_E10value_typeEPSN_NS1_7vsmem_tEENKUlT_SL_SM_SN_E_clIS8_S8_S9_S9_EESK_S10_SL_SM_SN_EUlS10_E0_NS1_11comp_targetILNS1_3genE5ELNS1_11target_archE942ELNS1_3gpuE9ELNS1_3repE0EEENS1_38merge_mergepath_config_static_selectorELNS0_4arch9wavefront6targetE0EEEvSM_
                                        ; -- End function
	.set _ZN7rocprim17ROCPRIM_400000_NS6detail17trampoline_kernelINS0_14default_configENS1_38merge_sort_block_merge_config_selectorIlNS0_10empty_typeEEEZZNS1_27merge_sort_block_merge_implIS3_PlPS5_mZN2at6native12_GLOBAL__N_124unique_dim_cuda_templateIjEESt5tupleIJNSA_6TensorESF_SF_EERKSF_lbbbEUlllE_EE10hipError_tT0_T1_T2_jT3_P12ihipStream_tbPNSt15iterator_traitsISL_E10value_typeEPNSR_ISM_E10value_typeEPSN_NS1_7vsmem_tEENKUlT_SL_SM_SN_E_clIS8_S8_S9_S9_EESK_S10_SL_SM_SN_EUlS10_E0_NS1_11comp_targetILNS1_3genE5ELNS1_11target_archE942ELNS1_3gpuE9ELNS1_3repE0EEENS1_38merge_mergepath_config_static_selectorELNS0_4arch9wavefront6targetE0EEEvSM_.num_vgpr, 0
	.set _ZN7rocprim17ROCPRIM_400000_NS6detail17trampoline_kernelINS0_14default_configENS1_38merge_sort_block_merge_config_selectorIlNS0_10empty_typeEEEZZNS1_27merge_sort_block_merge_implIS3_PlPS5_mZN2at6native12_GLOBAL__N_124unique_dim_cuda_templateIjEESt5tupleIJNSA_6TensorESF_SF_EERKSF_lbbbEUlllE_EE10hipError_tT0_T1_T2_jT3_P12ihipStream_tbPNSt15iterator_traitsISL_E10value_typeEPNSR_ISM_E10value_typeEPSN_NS1_7vsmem_tEENKUlT_SL_SM_SN_E_clIS8_S8_S9_S9_EESK_S10_SL_SM_SN_EUlS10_E0_NS1_11comp_targetILNS1_3genE5ELNS1_11target_archE942ELNS1_3gpuE9ELNS1_3repE0EEENS1_38merge_mergepath_config_static_selectorELNS0_4arch9wavefront6targetE0EEEvSM_.num_agpr, 0
	.set _ZN7rocprim17ROCPRIM_400000_NS6detail17trampoline_kernelINS0_14default_configENS1_38merge_sort_block_merge_config_selectorIlNS0_10empty_typeEEEZZNS1_27merge_sort_block_merge_implIS3_PlPS5_mZN2at6native12_GLOBAL__N_124unique_dim_cuda_templateIjEESt5tupleIJNSA_6TensorESF_SF_EERKSF_lbbbEUlllE_EE10hipError_tT0_T1_T2_jT3_P12ihipStream_tbPNSt15iterator_traitsISL_E10value_typeEPNSR_ISM_E10value_typeEPSN_NS1_7vsmem_tEENKUlT_SL_SM_SN_E_clIS8_S8_S9_S9_EESK_S10_SL_SM_SN_EUlS10_E0_NS1_11comp_targetILNS1_3genE5ELNS1_11target_archE942ELNS1_3gpuE9ELNS1_3repE0EEENS1_38merge_mergepath_config_static_selectorELNS0_4arch9wavefront6targetE0EEEvSM_.numbered_sgpr, 0
	.set _ZN7rocprim17ROCPRIM_400000_NS6detail17trampoline_kernelINS0_14default_configENS1_38merge_sort_block_merge_config_selectorIlNS0_10empty_typeEEEZZNS1_27merge_sort_block_merge_implIS3_PlPS5_mZN2at6native12_GLOBAL__N_124unique_dim_cuda_templateIjEESt5tupleIJNSA_6TensorESF_SF_EERKSF_lbbbEUlllE_EE10hipError_tT0_T1_T2_jT3_P12ihipStream_tbPNSt15iterator_traitsISL_E10value_typeEPNSR_ISM_E10value_typeEPSN_NS1_7vsmem_tEENKUlT_SL_SM_SN_E_clIS8_S8_S9_S9_EESK_S10_SL_SM_SN_EUlS10_E0_NS1_11comp_targetILNS1_3genE5ELNS1_11target_archE942ELNS1_3gpuE9ELNS1_3repE0EEENS1_38merge_mergepath_config_static_selectorELNS0_4arch9wavefront6targetE0EEEvSM_.num_named_barrier, 0
	.set _ZN7rocprim17ROCPRIM_400000_NS6detail17trampoline_kernelINS0_14default_configENS1_38merge_sort_block_merge_config_selectorIlNS0_10empty_typeEEEZZNS1_27merge_sort_block_merge_implIS3_PlPS5_mZN2at6native12_GLOBAL__N_124unique_dim_cuda_templateIjEESt5tupleIJNSA_6TensorESF_SF_EERKSF_lbbbEUlllE_EE10hipError_tT0_T1_T2_jT3_P12ihipStream_tbPNSt15iterator_traitsISL_E10value_typeEPNSR_ISM_E10value_typeEPSN_NS1_7vsmem_tEENKUlT_SL_SM_SN_E_clIS8_S8_S9_S9_EESK_S10_SL_SM_SN_EUlS10_E0_NS1_11comp_targetILNS1_3genE5ELNS1_11target_archE942ELNS1_3gpuE9ELNS1_3repE0EEENS1_38merge_mergepath_config_static_selectorELNS0_4arch9wavefront6targetE0EEEvSM_.private_seg_size, 0
	.set _ZN7rocprim17ROCPRIM_400000_NS6detail17trampoline_kernelINS0_14default_configENS1_38merge_sort_block_merge_config_selectorIlNS0_10empty_typeEEEZZNS1_27merge_sort_block_merge_implIS3_PlPS5_mZN2at6native12_GLOBAL__N_124unique_dim_cuda_templateIjEESt5tupleIJNSA_6TensorESF_SF_EERKSF_lbbbEUlllE_EE10hipError_tT0_T1_T2_jT3_P12ihipStream_tbPNSt15iterator_traitsISL_E10value_typeEPNSR_ISM_E10value_typeEPSN_NS1_7vsmem_tEENKUlT_SL_SM_SN_E_clIS8_S8_S9_S9_EESK_S10_SL_SM_SN_EUlS10_E0_NS1_11comp_targetILNS1_3genE5ELNS1_11target_archE942ELNS1_3gpuE9ELNS1_3repE0EEENS1_38merge_mergepath_config_static_selectorELNS0_4arch9wavefront6targetE0EEEvSM_.uses_vcc, 0
	.set _ZN7rocprim17ROCPRIM_400000_NS6detail17trampoline_kernelINS0_14default_configENS1_38merge_sort_block_merge_config_selectorIlNS0_10empty_typeEEEZZNS1_27merge_sort_block_merge_implIS3_PlPS5_mZN2at6native12_GLOBAL__N_124unique_dim_cuda_templateIjEESt5tupleIJNSA_6TensorESF_SF_EERKSF_lbbbEUlllE_EE10hipError_tT0_T1_T2_jT3_P12ihipStream_tbPNSt15iterator_traitsISL_E10value_typeEPNSR_ISM_E10value_typeEPSN_NS1_7vsmem_tEENKUlT_SL_SM_SN_E_clIS8_S8_S9_S9_EESK_S10_SL_SM_SN_EUlS10_E0_NS1_11comp_targetILNS1_3genE5ELNS1_11target_archE942ELNS1_3gpuE9ELNS1_3repE0EEENS1_38merge_mergepath_config_static_selectorELNS0_4arch9wavefront6targetE0EEEvSM_.uses_flat_scratch, 0
	.set _ZN7rocprim17ROCPRIM_400000_NS6detail17trampoline_kernelINS0_14default_configENS1_38merge_sort_block_merge_config_selectorIlNS0_10empty_typeEEEZZNS1_27merge_sort_block_merge_implIS3_PlPS5_mZN2at6native12_GLOBAL__N_124unique_dim_cuda_templateIjEESt5tupleIJNSA_6TensorESF_SF_EERKSF_lbbbEUlllE_EE10hipError_tT0_T1_T2_jT3_P12ihipStream_tbPNSt15iterator_traitsISL_E10value_typeEPNSR_ISM_E10value_typeEPSN_NS1_7vsmem_tEENKUlT_SL_SM_SN_E_clIS8_S8_S9_S9_EESK_S10_SL_SM_SN_EUlS10_E0_NS1_11comp_targetILNS1_3genE5ELNS1_11target_archE942ELNS1_3gpuE9ELNS1_3repE0EEENS1_38merge_mergepath_config_static_selectorELNS0_4arch9wavefront6targetE0EEEvSM_.has_dyn_sized_stack, 0
	.set _ZN7rocprim17ROCPRIM_400000_NS6detail17trampoline_kernelINS0_14default_configENS1_38merge_sort_block_merge_config_selectorIlNS0_10empty_typeEEEZZNS1_27merge_sort_block_merge_implIS3_PlPS5_mZN2at6native12_GLOBAL__N_124unique_dim_cuda_templateIjEESt5tupleIJNSA_6TensorESF_SF_EERKSF_lbbbEUlllE_EE10hipError_tT0_T1_T2_jT3_P12ihipStream_tbPNSt15iterator_traitsISL_E10value_typeEPNSR_ISM_E10value_typeEPSN_NS1_7vsmem_tEENKUlT_SL_SM_SN_E_clIS8_S8_S9_S9_EESK_S10_SL_SM_SN_EUlS10_E0_NS1_11comp_targetILNS1_3genE5ELNS1_11target_archE942ELNS1_3gpuE9ELNS1_3repE0EEENS1_38merge_mergepath_config_static_selectorELNS0_4arch9wavefront6targetE0EEEvSM_.has_recursion, 0
	.set _ZN7rocprim17ROCPRIM_400000_NS6detail17trampoline_kernelINS0_14default_configENS1_38merge_sort_block_merge_config_selectorIlNS0_10empty_typeEEEZZNS1_27merge_sort_block_merge_implIS3_PlPS5_mZN2at6native12_GLOBAL__N_124unique_dim_cuda_templateIjEESt5tupleIJNSA_6TensorESF_SF_EERKSF_lbbbEUlllE_EE10hipError_tT0_T1_T2_jT3_P12ihipStream_tbPNSt15iterator_traitsISL_E10value_typeEPNSR_ISM_E10value_typeEPSN_NS1_7vsmem_tEENKUlT_SL_SM_SN_E_clIS8_S8_S9_S9_EESK_S10_SL_SM_SN_EUlS10_E0_NS1_11comp_targetILNS1_3genE5ELNS1_11target_archE942ELNS1_3gpuE9ELNS1_3repE0EEENS1_38merge_mergepath_config_static_selectorELNS0_4arch9wavefront6targetE0EEEvSM_.has_indirect_call, 0
	.section	.AMDGPU.csdata,"",@progbits
; Kernel info:
; codeLenInByte = 0
; TotalNumSgprs: 0
; NumVgprs: 0
; ScratchSize: 0
; MemoryBound: 0
; FloatMode: 240
; IeeeMode: 1
; LDSByteSize: 0 bytes/workgroup (compile time only)
; SGPRBlocks: 0
; VGPRBlocks: 0
; NumSGPRsForWavesPerEU: 1
; NumVGPRsForWavesPerEU: 1
; NamedBarCnt: 0
; Occupancy: 16
; WaveLimiterHint : 0
; COMPUTE_PGM_RSRC2:SCRATCH_EN: 0
; COMPUTE_PGM_RSRC2:USER_SGPR: 2
; COMPUTE_PGM_RSRC2:TRAP_HANDLER: 0
; COMPUTE_PGM_RSRC2:TGID_X_EN: 1
; COMPUTE_PGM_RSRC2:TGID_Y_EN: 0
; COMPUTE_PGM_RSRC2:TGID_Z_EN: 0
; COMPUTE_PGM_RSRC2:TIDIG_COMP_CNT: 0
	.section	.text._ZN7rocprim17ROCPRIM_400000_NS6detail17trampoline_kernelINS0_14default_configENS1_38merge_sort_block_merge_config_selectorIlNS0_10empty_typeEEEZZNS1_27merge_sort_block_merge_implIS3_PlPS5_mZN2at6native12_GLOBAL__N_124unique_dim_cuda_templateIjEESt5tupleIJNSA_6TensorESF_SF_EERKSF_lbbbEUlllE_EE10hipError_tT0_T1_T2_jT3_P12ihipStream_tbPNSt15iterator_traitsISL_E10value_typeEPNSR_ISM_E10value_typeEPSN_NS1_7vsmem_tEENKUlT_SL_SM_SN_E_clIS8_S8_S9_S9_EESK_S10_SL_SM_SN_EUlS10_E0_NS1_11comp_targetILNS1_3genE4ELNS1_11target_archE910ELNS1_3gpuE8ELNS1_3repE0EEENS1_38merge_mergepath_config_static_selectorELNS0_4arch9wavefront6targetE0EEEvSM_,"axG",@progbits,_ZN7rocprim17ROCPRIM_400000_NS6detail17trampoline_kernelINS0_14default_configENS1_38merge_sort_block_merge_config_selectorIlNS0_10empty_typeEEEZZNS1_27merge_sort_block_merge_implIS3_PlPS5_mZN2at6native12_GLOBAL__N_124unique_dim_cuda_templateIjEESt5tupleIJNSA_6TensorESF_SF_EERKSF_lbbbEUlllE_EE10hipError_tT0_T1_T2_jT3_P12ihipStream_tbPNSt15iterator_traitsISL_E10value_typeEPNSR_ISM_E10value_typeEPSN_NS1_7vsmem_tEENKUlT_SL_SM_SN_E_clIS8_S8_S9_S9_EESK_S10_SL_SM_SN_EUlS10_E0_NS1_11comp_targetILNS1_3genE4ELNS1_11target_archE910ELNS1_3gpuE8ELNS1_3repE0EEENS1_38merge_mergepath_config_static_selectorELNS0_4arch9wavefront6targetE0EEEvSM_,comdat
	.globl	_ZN7rocprim17ROCPRIM_400000_NS6detail17trampoline_kernelINS0_14default_configENS1_38merge_sort_block_merge_config_selectorIlNS0_10empty_typeEEEZZNS1_27merge_sort_block_merge_implIS3_PlPS5_mZN2at6native12_GLOBAL__N_124unique_dim_cuda_templateIjEESt5tupleIJNSA_6TensorESF_SF_EERKSF_lbbbEUlllE_EE10hipError_tT0_T1_T2_jT3_P12ihipStream_tbPNSt15iterator_traitsISL_E10value_typeEPNSR_ISM_E10value_typeEPSN_NS1_7vsmem_tEENKUlT_SL_SM_SN_E_clIS8_S8_S9_S9_EESK_S10_SL_SM_SN_EUlS10_E0_NS1_11comp_targetILNS1_3genE4ELNS1_11target_archE910ELNS1_3gpuE8ELNS1_3repE0EEENS1_38merge_mergepath_config_static_selectorELNS0_4arch9wavefront6targetE0EEEvSM_ ; -- Begin function _ZN7rocprim17ROCPRIM_400000_NS6detail17trampoline_kernelINS0_14default_configENS1_38merge_sort_block_merge_config_selectorIlNS0_10empty_typeEEEZZNS1_27merge_sort_block_merge_implIS3_PlPS5_mZN2at6native12_GLOBAL__N_124unique_dim_cuda_templateIjEESt5tupleIJNSA_6TensorESF_SF_EERKSF_lbbbEUlllE_EE10hipError_tT0_T1_T2_jT3_P12ihipStream_tbPNSt15iterator_traitsISL_E10value_typeEPNSR_ISM_E10value_typeEPSN_NS1_7vsmem_tEENKUlT_SL_SM_SN_E_clIS8_S8_S9_S9_EESK_S10_SL_SM_SN_EUlS10_E0_NS1_11comp_targetILNS1_3genE4ELNS1_11target_archE910ELNS1_3gpuE8ELNS1_3repE0EEENS1_38merge_mergepath_config_static_selectorELNS0_4arch9wavefront6targetE0EEEvSM_
	.p2align	8
	.type	_ZN7rocprim17ROCPRIM_400000_NS6detail17trampoline_kernelINS0_14default_configENS1_38merge_sort_block_merge_config_selectorIlNS0_10empty_typeEEEZZNS1_27merge_sort_block_merge_implIS3_PlPS5_mZN2at6native12_GLOBAL__N_124unique_dim_cuda_templateIjEESt5tupleIJNSA_6TensorESF_SF_EERKSF_lbbbEUlllE_EE10hipError_tT0_T1_T2_jT3_P12ihipStream_tbPNSt15iterator_traitsISL_E10value_typeEPNSR_ISM_E10value_typeEPSN_NS1_7vsmem_tEENKUlT_SL_SM_SN_E_clIS8_S8_S9_S9_EESK_S10_SL_SM_SN_EUlS10_E0_NS1_11comp_targetILNS1_3genE4ELNS1_11target_archE910ELNS1_3gpuE8ELNS1_3repE0EEENS1_38merge_mergepath_config_static_selectorELNS0_4arch9wavefront6targetE0EEEvSM_,@function
_ZN7rocprim17ROCPRIM_400000_NS6detail17trampoline_kernelINS0_14default_configENS1_38merge_sort_block_merge_config_selectorIlNS0_10empty_typeEEEZZNS1_27merge_sort_block_merge_implIS3_PlPS5_mZN2at6native12_GLOBAL__N_124unique_dim_cuda_templateIjEESt5tupleIJNSA_6TensorESF_SF_EERKSF_lbbbEUlllE_EE10hipError_tT0_T1_T2_jT3_P12ihipStream_tbPNSt15iterator_traitsISL_E10value_typeEPNSR_ISM_E10value_typeEPSN_NS1_7vsmem_tEENKUlT_SL_SM_SN_E_clIS8_S8_S9_S9_EESK_S10_SL_SM_SN_EUlS10_E0_NS1_11comp_targetILNS1_3genE4ELNS1_11target_archE910ELNS1_3gpuE8ELNS1_3repE0EEENS1_38merge_mergepath_config_static_selectorELNS0_4arch9wavefront6targetE0EEEvSM_: ; @_ZN7rocprim17ROCPRIM_400000_NS6detail17trampoline_kernelINS0_14default_configENS1_38merge_sort_block_merge_config_selectorIlNS0_10empty_typeEEEZZNS1_27merge_sort_block_merge_implIS3_PlPS5_mZN2at6native12_GLOBAL__N_124unique_dim_cuda_templateIjEESt5tupleIJNSA_6TensorESF_SF_EERKSF_lbbbEUlllE_EE10hipError_tT0_T1_T2_jT3_P12ihipStream_tbPNSt15iterator_traitsISL_E10value_typeEPNSR_ISM_E10value_typeEPSN_NS1_7vsmem_tEENKUlT_SL_SM_SN_E_clIS8_S8_S9_S9_EESK_S10_SL_SM_SN_EUlS10_E0_NS1_11comp_targetILNS1_3genE4ELNS1_11target_archE910ELNS1_3gpuE8ELNS1_3repE0EEENS1_38merge_mergepath_config_static_selectorELNS0_4arch9wavefront6targetE0EEEvSM_
; %bb.0:
	.section	.rodata,"a",@progbits
	.p2align	6, 0x0
	.amdhsa_kernel _ZN7rocprim17ROCPRIM_400000_NS6detail17trampoline_kernelINS0_14default_configENS1_38merge_sort_block_merge_config_selectorIlNS0_10empty_typeEEEZZNS1_27merge_sort_block_merge_implIS3_PlPS5_mZN2at6native12_GLOBAL__N_124unique_dim_cuda_templateIjEESt5tupleIJNSA_6TensorESF_SF_EERKSF_lbbbEUlllE_EE10hipError_tT0_T1_T2_jT3_P12ihipStream_tbPNSt15iterator_traitsISL_E10value_typeEPNSR_ISM_E10value_typeEPSN_NS1_7vsmem_tEENKUlT_SL_SM_SN_E_clIS8_S8_S9_S9_EESK_S10_SL_SM_SN_EUlS10_E0_NS1_11comp_targetILNS1_3genE4ELNS1_11target_archE910ELNS1_3gpuE8ELNS1_3repE0EEENS1_38merge_mergepath_config_static_selectorELNS0_4arch9wavefront6targetE0EEEvSM_
		.amdhsa_group_segment_fixed_size 0
		.amdhsa_private_segment_fixed_size 0
		.amdhsa_kernarg_size 88
		.amdhsa_user_sgpr_count 2
		.amdhsa_user_sgpr_dispatch_ptr 0
		.amdhsa_user_sgpr_queue_ptr 0
		.amdhsa_user_sgpr_kernarg_segment_ptr 1
		.amdhsa_user_sgpr_dispatch_id 0
		.amdhsa_user_sgpr_kernarg_preload_length 0
		.amdhsa_user_sgpr_kernarg_preload_offset 0
		.amdhsa_user_sgpr_private_segment_size 0
		.amdhsa_wavefront_size32 1
		.amdhsa_uses_dynamic_stack 0
		.amdhsa_enable_private_segment 0
		.amdhsa_system_sgpr_workgroup_id_x 1
		.amdhsa_system_sgpr_workgroup_id_y 0
		.amdhsa_system_sgpr_workgroup_id_z 0
		.amdhsa_system_sgpr_workgroup_info 0
		.amdhsa_system_vgpr_workitem_id 0
		.amdhsa_next_free_vgpr 1
		.amdhsa_next_free_sgpr 1
		.amdhsa_named_barrier_count 0
		.amdhsa_reserve_vcc 0
		.amdhsa_float_round_mode_32 0
		.amdhsa_float_round_mode_16_64 0
		.amdhsa_float_denorm_mode_32 3
		.amdhsa_float_denorm_mode_16_64 3
		.amdhsa_fp16_overflow 0
		.amdhsa_memory_ordered 1
		.amdhsa_forward_progress 1
		.amdhsa_inst_pref_size 0
		.amdhsa_round_robin_scheduling 0
		.amdhsa_exception_fp_ieee_invalid_op 0
		.amdhsa_exception_fp_denorm_src 0
		.amdhsa_exception_fp_ieee_div_zero 0
		.amdhsa_exception_fp_ieee_overflow 0
		.amdhsa_exception_fp_ieee_underflow 0
		.amdhsa_exception_fp_ieee_inexact 0
		.amdhsa_exception_int_div_zero 0
	.end_amdhsa_kernel
	.section	.text._ZN7rocprim17ROCPRIM_400000_NS6detail17trampoline_kernelINS0_14default_configENS1_38merge_sort_block_merge_config_selectorIlNS0_10empty_typeEEEZZNS1_27merge_sort_block_merge_implIS3_PlPS5_mZN2at6native12_GLOBAL__N_124unique_dim_cuda_templateIjEESt5tupleIJNSA_6TensorESF_SF_EERKSF_lbbbEUlllE_EE10hipError_tT0_T1_T2_jT3_P12ihipStream_tbPNSt15iterator_traitsISL_E10value_typeEPNSR_ISM_E10value_typeEPSN_NS1_7vsmem_tEENKUlT_SL_SM_SN_E_clIS8_S8_S9_S9_EESK_S10_SL_SM_SN_EUlS10_E0_NS1_11comp_targetILNS1_3genE4ELNS1_11target_archE910ELNS1_3gpuE8ELNS1_3repE0EEENS1_38merge_mergepath_config_static_selectorELNS0_4arch9wavefront6targetE0EEEvSM_,"axG",@progbits,_ZN7rocprim17ROCPRIM_400000_NS6detail17trampoline_kernelINS0_14default_configENS1_38merge_sort_block_merge_config_selectorIlNS0_10empty_typeEEEZZNS1_27merge_sort_block_merge_implIS3_PlPS5_mZN2at6native12_GLOBAL__N_124unique_dim_cuda_templateIjEESt5tupleIJNSA_6TensorESF_SF_EERKSF_lbbbEUlllE_EE10hipError_tT0_T1_T2_jT3_P12ihipStream_tbPNSt15iterator_traitsISL_E10value_typeEPNSR_ISM_E10value_typeEPSN_NS1_7vsmem_tEENKUlT_SL_SM_SN_E_clIS8_S8_S9_S9_EESK_S10_SL_SM_SN_EUlS10_E0_NS1_11comp_targetILNS1_3genE4ELNS1_11target_archE910ELNS1_3gpuE8ELNS1_3repE0EEENS1_38merge_mergepath_config_static_selectorELNS0_4arch9wavefront6targetE0EEEvSM_,comdat
.Lfunc_end1503:
	.size	_ZN7rocprim17ROCPRIM_400000_NS6detail17trampoline_kernelINS0_14default_configENS1_38merge_sort_block_merge_config_selectorIlNS0_10empty_typeEEEZZNS1_27merge_sort_block_merge_implIS3_PlPS5_mZN2at6native12_GLOBAL__N_124unique_dim_cuda_templateIjEESt5tupleIJNSA_6TensorESF_SF_EERKSF_lbbbEUlllE_EE10hipError_tT0_T1_T2_jT3_P12ihipStream_tbPNSt15iterator_traitsISL_E10value_typeEPNSR_ISM_E10value_typeEPSN_NS1_7vsmem_tEENKUlT_SL_SM_SN_E_clIS8_S8_S9_S9_EESK_S10_SL_SM_SN_EUlS10_E0_NS1_11comp_targetILNS1_3genE4ELNS1_11target_archE910ELNS1_3gpuE8ELNS1_3repE0EEENS1_38merge_mergepath_config_static_selectorELNS0_4arch9wavefront6targetE0EEEvSM_, .Lfunc_end1503-_ZN7rocprim17ROCPRIM_400000_NS6detail17trampoline_kernelINS0_14default_configENS1_38merge_sort_block_merge_config_selectorIlNS0_10empty_typeEEEZZNS1_27merge_sort_block_merge_implIS3_PlPS5_mZN2at6native12_GLOBAL__N_124unique_dim_cuda_templateIjEESt5tupleIJNSA_6TensorESF_SF_EERKSF_lbbbEUlllE_EE10hipError_tT0_T1_T2_jT3_P12ihipStream_tbPNSt15iterator_traitsISL_E10value_typeEPNSR_ISM_E10value_typeEPSN_NS1_7vsmem_tEENKUlT_SL_SM_SN_E_clIS8_S8_S9_S9_EESK_S10_SL_SM_SN_EUlS10_E0_NS1_11comp_targetILNS1_3genE4ELNS1_11target_archE910ELNS1_3gpuE8ELNS1_3repE0EEENS1_38merge_mergepath_config_static_selectorELNS0_4arch9wavefront6targetE0EEEvSM_
                                        ; -- End function
	.set _ZN7rocprim17ROCPRIM_400000_NS6detail17trampoline_kernelINS0_14default_configENS1_38merge_sort_block_merge_config_selectorIlNS0_10empty_typeEEEZZNS1_27merge_sort_block_merge_implIS3_PlPS5_mZN2at6native12_GLOBAL__N_124unique_dim_cuda_templateIjEESt5tupleIJNSA_6TensorESF_SF_EERKSF_lbbbEUlllE_EE10hipError_tT0_T1_T2_jT3_P12ihipStream_tbPNSt15iterator_traitsISL_E10value_typeEPNSR_ISM_E10value_typeEPSN_NS1_7vsmem_tEENKUlT_SL_SM_SN_E_clIS8_S8_S9_S9_EESK_S10_SL_SM_SN_EUlS10_E0_NS1_11comp_targetILNS1_3genE4ELNS1_11target_archE910ELNS1_3gpuE8ELNS1_3repE0EEENS1_38merge_mergepath_config_static_selectorELNS0_4arch9wavefront6targetE0EEEvSM_.num_vgpr, 0
	.set _ZN7rocprim17ROCPRIM_400000_NS6detail17trampoline_kernelINS0_14default_configENS1_38merge_sort_block_merge_config_selectorIlNS0_10empty_typeEEEZZNS1_27merge_sort_block_merge_implIS3_PlPS5_mZN2at6native12_GLOBAL__N_124unique_dim_cuda_templateIjEESt5tupleIJNSA_6TensorESF_SF_EERKSF_lbbbEUlllE_EE10hipError_tT0_T1_T2_jT3_P12ihipStream_tbPNSt15iterator_traitsISL_E10value_typeEPNSR_ISM_E10value_typeEPSN_NS1_7vsmem_tEENKUlT_SL_SM_SN_E_clIS8_S8_S9_S9_EESK_S10_SL_SM_SN_EUlS10_E0_NS1_11comp_targetILNS1_3genE4ELNS1_11target_archE910ELNS1_3gpuE8ELNS1_3repE0EEENS1_38merge_mergepath_config_static_selectorELNS0_4arch9wavefront6targetE0EEEvSM_.num_agpr, 0
	.set _ZN7rocprim17ROCPRIM_400000_NS6detail17trampoline_kernelINS0_14default_configENS1_38merge_sort_block_merge_config_selectorIlNS0_10empty_typeEEEZZNS1_27merge_sort_block_merge_implIS3_PlPS5_mZN2at6native12_GLOBAL__N_124unique_dim_cuda_templateIjEESt5tupleIJNSA_6TensorESF_SF_EERKSF_lbbbEUlllE_EE10hipError_tT0_T1_T2_jT3_P12ihipStream_tbPNSt15iterator_traitsISL_E10value_typeEPNSR_ISM_E10value_typeEPSN_NS1_7vsmem_tEENKUlT_SL_SM_SN_E_clIS8_S8_S9_S9_EESK_S10_SL_SM_SN_EUlS10_E0_NS1_11comp_targetILNS1_3genE4ELNS1_11target_archE910ELNS1_3gpuE8ELNS1_3repE0EEENS1_38merge_mergepath_config_static_selectorELNS0_4arch9wavefront6targetE0EEEvSM_.numbered_sgpr, 0
	.set _ZN7rocprim17ROCPRIM_400000_NS6detail17trampoline_kernelINS0_14default_configENS1_38merge_sort_block_merge_config_selectorIlNS0_10empty_typeEEEZZNS1_27merge_sort_block_merge_implIS3_PlPS5_mZN2at6native12_GLOBAL__N_124unique_dim_cuda_templateIjEESt5tupleIJNSA_6TensorESF_SF_EERKSF_lbbbEUlllE_EE10hipError_tT0_T1_T2_jT3_P12ihipStream_tbPNSt15iterator_traitsISL_E10value_typeEPNSR_ISM_E10value_typeEPSN_NS1_7vsmem_tEENKUlT_SL_SM_SN_E_clIS8_S8_S9_S9_EESK_S10_SL_SM_SN_EUlS10_E0_NS1_11comp_targetILNS1_3genE4ELNS1_11target_archE910ELNS1_3gpuE8ELNS1_3repE0EEENS1_38merge_mergepath_config_static_selectorELNS0_4arch9wavefront6targetE0EEEvSM_.num_named_barrier, 0
	.set _ZN7rocprim17ROCPRIM_400000_NS6detail17trampoline_kernelINS0_14default_configENS1_38merge_sort_block_merge_config_selectorIlNS0_10empty_typeEEEZZNS1_27merge_sort_block_merge_implIS3_PlPS5_mZN2at6native12_GLOBAL__N_124unique_dim_cuda_templateIjEESt5tupleIJNSA_6TensorESF_SF_EERKSF_lbbbEUlllE_EE10hipError_tT0_T1_T2_jT3_P12ihipStream_tbPNSt15iterator_traitsISL_E10value_typeEPNSR_ISM_E10value_typeEPSN_NS1_7vsmem_tEENKUlT_SL_SM_SN_E_clIS8_S8_S9_S9_EESK_S10_SL_SM_SN_EUlS10_E0_NS1_11comp_targetILNS1_3genE4ELNS1_11target_archE910ELNS1_3gpuE8ELNS1_3repE0EEENS1_38merge_mergepath_config_static_selectorELNS0_4arch9wavefront6targetE0EEEvSM_.private_seg_size, 0
	.set _ZN7rocprim17ROCPRIM_400000_NS6detail17trampoline_kernelINS0_14default_configENS1_38merge_sort_block_merge_config_selectorIlNS0_10empty_typeEEEZZNS1_27merge_sort_block_merge_implIS3_PlPS5_mZN2at6native12_GLOBAL__N_124unique_dim_cuda_templateIjEESt5tupleIJNSA_6TensorESF_SF_EERKSF_lbbbEUlllE_EE10hipError_tT0_T1_T2_jT3_P12ihipStream_tbPNSt15iterator_traitsISL_E10value_typeEPNSR_ISM_E10value_typeEPSN_NS1_7vsmem_tEENKUlT_SL_SM_SN_E_clIS8_S8_S9_S9_EESK_S10_SL_SM_SN_EUlS10_E0_NS1_11comp_targetILNS1_3genE4ELNS1_11target_archE910ELNS1_3gpuE8ELNS1_3repE0EEENS1_38merge_mergepath_config_static_selectorELNS0_4arch9wavefront6targetE0EEEvSM_.uses_vcc, 0
	.set _ZN7rocprim17ROCPRIM_400000_NS6detail17trampoline_kernelINS0_14default_configENS1_38merge_sort_block_merge_config_selectorIlNS0_10empty_typeEEEZZNS1_27merge_sort_block_merge_implIS3_PlPS5_mZN2at6native12_GLOBAL__N_124unique_dim_cuda_templateIjEESt5tupleIJNSA_6TensorESF_SF_EERKSF_lbbbEUlllE_EE10hipError_tT0_T1_T2_jT3_P12ihipStream_tbPNSt15iterator_traitsISL_E10value_typeEPNSR_ISM_E10value_typeEPSN_NS1_7vsmem_tEENKUlT_SL_SM_SN_E_clIS8_S8_S9_S9_EESK_S10_SL_SM_SN_EUlS10_E0_NS1_11comp_targetILNS1_3genE4ELNS1_11target_archE910ELNS1_3gpuE8ELNS1_3repE0EEENS1_38merge_mergepath_config_static_selectorELNS0_4arch9wavefront6targetE0EEEvSM_.uses_flat_scratch, 0
	.set _ZN7rocprim17ROCPRIM_400000_NS6detail17trampoline_kernelINS0_14default_configENS1_38merge_sort_block_merge_config_selectorIlNS0_10empty_typeEEEZZNS1_27merge_sort_block_merge_implIS3_PlPS5_mZN2at6native12_GLOBAL__N_124unique_dim_cuda_templateIjEESt5tupleIJNSA_6TensorESF_SF_EERKSF_lbbbEUlllE_EE10hipError_tT0_T1_T2_jT3_P12ihipStream_tbPNSt15iterator_traitsISL_E10value_typeEPNSR_ISM_E10value_typeEPSN_NS1_7vsmem_tEENKUlT_SL_SM_SN_E_clIS8_S8_S9_S9_EESK_S10_SL_SM_SN_EUlS10_E0_NS1_11comp_targetILNS1_3genE4ELNS1_11target_archE910ELNS1_3gpuE8ELNS1_3repE0EEENS1_38merge_mergepath_config_static_selectorELNS0_4arch9wavefront6targetE0EEEvSM_.has_dyn_sized_stack, 0
	.set _ZN7rocprim17ROCPRIM_400000_NS6detail17trampoline_kernelINS0_14default_configENS1_38merge_sort_block_merge_config_selectorIlNS0_10empty_typeEEEZZNS1_27merge_sort_block_merge_implIS3_PlPS5_mZN2at6native12_GLOBAL__N_124unique_dim_cuda_templateIjEESt5tupleIJNSA_6TensorESF_SF_EERKSF_lbbbEUlllE_EE10hipError_tT0_T1_T2_jT3_P12ihipStream_tbPNSt15iterator_traitsISL_E10value_typeEPNSR_ISM_E10value_typeEPSN_NS1_7vsmem_tEENKUlT_SL_SM_SN_E_clIS8_S8_S9_S9_EESK_S10_SL_SM_SN_EUlS10_E0_NS1_11comp_targetILNS1_3genE4ELNS1_11target_archE910ELNS1_3gpuE8ELNS1_3repE0EEENS1_38merge_mergepath_config_static_selectorELNS0_4arch9wavefront6targetE0EEEvSM_.has_recursion, 0
	.set _ZN7rocprim17ROCPRIM_400000_NS6detail17trampoline_kernelINS0_14default_configENS1_38merge_sort_block_merge_config_selectorIlNS0_10empty_typeEEEZZNS1_27merge_sort_block_merge_implIS3_PlPS5_mZN2at6native12_GLOBAL__N_124unique_dim_cuda_templateIjEESt5tupleIJNSA_6TensorESF_SF_EERKSF_lbbbEUlllE_EE10hipError_tT0_T1_T2_jT3_P12ihipStream_tbPNSt15iterator_traitsISL_E10value_typeEPNSR_ISM_E10value_typeEPSN_NS1_7vsmem_tEENKUlT_SL_SM_SN_E_clIS8_S8_S9_S9_EESK_S10_SL_SM_SN_EUlS10_E0_NS1_11comp_targetILNS1_3genE4ELNS1_11target_archE910ELNS1_3gpuE8ELNS1_3repE0EEENS1_38merge_mergepath_config_static_selectorELNS0_4arch9wavefront6targetE0EEEvSM_.has_indirect_call, 0
	.section	.AMDGPU.csdata,"",@progbits
; Kernel info:
; codeLenInByte = 0
; TotalNumSgprs: 0
; NumVgprs: 0
; ScratchSize: 0
; MemoryBound: 0
; FloatMode: 240
; IeeeMode: 1
; LDSByteSize: 0 bytes/workgroup (compile time only)
; SGPRBlocks: 0
; VGPRBlocks: 0
; NumSGPRsForWavesPerEU: 1
; NumVGPRsForWavesPerEU: 1
; NamedBarCnt: 0
; Occupancy: 16
; WaveLimiterHint : 0
; COMPUTE_PGM_RSRC2:SCRATCH_EN: 0
; COMPUTE_PGM_RSRC2:USER_SGPR: 2
; COMPUTE_PGM_RSRC2:TRAP_HANDLER: 0
; COMPUTE_PGM_RSRC2:TGID_X_EN: 1
; COMPUTE_PGM_RSRC2:TGID_Y_EN: 0
; COMPUTE_PGM_RSRC2:TGID_Z_EN: 0
; COMPUTE_PGM_RSRC2:TIDIG_COMP_CNT: 0
	.section	.text._ZN7rocprim17ROCPRIM_400000_NS6detail17trampoline_kernelINS0_14default_configENS1_38merge_sort_block_merge_config_selectorIlNS0_10empty_typeEEEZZNS1_27merge_sort_block_merge_implIS3_PlPS5_mZN2at6native12_GLOBAL__N_124unique_dim_cuda_templateIjEESt5tupleIJNSA_6TensorESF_SF_EERKSF_lbbbEUlllE_EE10hipError_tT0_T1_T2_jT3_P12ihipStream_tbPNSt15iterator_traitsISL_E10value_typeEPNSR_ISM_E10value_typeEPSN_NS1_7vsmem_tEENKUlT_SL_SM_SN_E_clIS8_S8_S9_S9_EESK_S10_SL_SM_SN_EUlS10_E0_NS1_11comp_targetILNS1_3genE3ELNS1_11target_archE908ELNS1_3gpuE7ELNS1_3repE0EEENS1_38merge_mergepath_config_static_selectorELNS0_4arch9wavefront6targetE0EEEvSM_,"axG",@progbits,_ZN7rocprim17ROCPRIM_400000_NS6detail17trampoline_kernelINS0_14default_configENS1_38merge_sort_block_merge_config_selectorIlNS0_10empty_typeEEEZZNS1_27merge_sort_block_merge_implIS3_PlPS5_mZN2at6native12_GLOBAL__N_124unique_dim_cuda_templateIjEESt5tupleIJNSA_6TensorESF_SF_EERKSF_lbbbEUlllE_EE10hipError_tT0_T1_T2_jT3_P12ihipStream_tbPNSt15iterator_traitsISL_E10value_typeEPNSR_ISM_E10value_typeEPSN_NS1_7vsmem_tEENKUlT_SL_SM_SN_E_clIS8_S8_S9_S9_EESK_S10_SL_SM_SN_EUlS10_E0_NS1_11comp_targetILNS1_3genE3ELNS1_11target_archE908ELNS1_3gpuE7ELNS1_3repE0EEENS1_38merge_mergepath_config_static_selectorELNS0_4arch9wavefront6targetE0EEEvSM_,comdat
	.globl	_ZN7rocprim17ROCPRIM_400000_NS6detail17trampoline_kernelINS0_14default_configENS1_38merge_sort_block_merge_config_selectorIlNS0_10empty_typeEEEZZNS1_27merge_sort_block_merge_implIS3_PlPS5_mZN2at6native12_GLOBAL__N_124unique_dim_cuda_templateIjEESt5tupleIJNSA_6TensorESF_SF_EERKSF_lbbbEUlllE_EE10hipError_tT0_T1_T2_jT3_P12ihipStream_tbPNSt15iterator_traitsISL_E10value_typeEPNSR_ISM_E10value_typeEPSN_NS1_7vsmem_tEENKUlT_SL_SM_SN_E_clIS8_S8_S9_S9_EESK_S10_SL_SM_SN_EUlS10_E0_NS1_11comp_targetILNS1_3genE3ELNS1_11target_archE908ELNS1_3gpuE7ELNS1_3repE0EEENS1_38merge_mergepath_config_static_selectorELNS0_4arch9wavefront6targetE0EEEvSM_ ; -- Begin function _ZN7rocprim17ROCPRIM_400000_NS6detail17trampoline_kernelINS0_14default_configENS1_38merge_sort_block_merge_config_selectorIlNS0_10empty_typeEEEZZNS1_27merge_sort_block_merge_implIS3_PlPS5_mZN2at6native12_GLOBAL__N_124unique_dim_cuda_templateIjEESt5tupleIJNSA_6TensorESF_SF_EERKSF_lbbbEUlllE_EE10hipError_tT0_T1_T2_jT3_P12ihipStream_tbPNSt15iterator_traitsISL_E10value_typeEPNSR_ISM_E10value_typeEPSN_NS1_7vsmem_tEENKUlT_SL_SM_SN_E_clIS8_S8_S9_S9_EESK_S10_SL_SM_SN_EUlS10_E0_NS1_11comp_targetILNS1_3genE3ELNS1_11target_archE908ELNS1_3gpuE7ELNS1_3repE0EEENS1_38merge_mergepath_config_static_selectorELNS0_4arch9wavefront6targetE0EEEvSM_
	.p2align	8
	.type	_ZN7rocprim17ROCPRIM_400000_NS6detail17trampoline_kernelINS0_14default_configENS1_38merge_sort_block_merge_config_selectorIlNS0_10empty_typeEEEZZNS1_27merge_sort_block_merge_implIS3_PlPS5_mZN2at6native12_GLOBAL__N_124unique_dim_cuda_templateIjEESt5tupleIJNSA_6TensorESF_SF_EERKSF_lbbbEUlllE_EE10hipError_tT0_T1_T2_jT3_P12ihipStream_tbPNSt15iterator_traitsISL_E10value_typeEPNSR_ISM_E10value_typeEPSN_NS1_7vsmem_tEENKUlT_SL_SM_SN_E_clIS8_S8_S9_S9_EESK_S10_SL_SM_SN_EUlS10_E0_NS1_11comp_targetILNS1_3genE3ELNS1_11target_archE908ELNS1_3gpuE7ELNS1_3repE0EEENS1_38merge_mergepath_config_static_selectorELNS0_4arch9wavefront6targetE0EEEvSM_,@function
_ZN7rocprim17ROCPRIM_400000_NS6detail17trampoline_kernelINS0_14default_configENS1_38merge_sort_block_merge_config_selectorIlNS0_10empty_typeEEEZZNS1_27merge_sort_block_merge_implIS3_PlPS5_mZN2at6native12_GLOBAL__N_124unique_dim_cuda_templateIjEESt5tupleIJNSA_6TensorESF_SF_EERKSF_lbbbEUlllE_EE10hipError_tT0_T1_T2_jT3_P12ihipStream_tbPNSt15iterator_traitsISL_E10value_typeEPNSR_ISM_E10value_typeEPSN_NS1_7vsmem_tEENKUlT_SL_SM_SN_E_clIS8_S8_S9_S9_EESK_S10_SL_SM_SN_EUlS10_E0_NS1_11comp_targetILNS1_3genE3ELNS1_11target_archE908ELNS1_3gpuE7ELNS1_3repE0EEENS1_38merge_mergepath_config_static_selectorELNS0_4arch9wavefront6targetE0EEEvSM_: ; @_ZN7rocprim17ROCPRIM_400000_NS6detail17trampoline_kernelINS0_14default_configENS1_38merge_sort_block_merge_config_selectorIlNS0_10empty_typeEEEZZNS1_27merge_sort_block_merge_implIS3_PlPS5_mZN2at6native12_GLOBAL__N_124unique_dim_cuda_templateIjEESt5tupleIJNSA_6TensorESF_SF_EERKSF_lbbbEUlllE_EE10hipError_tT0_T1_T2_jT3_P12ihipStream_tbPNSt15iterator_traitsISL_E10value_typeEPNSR_ISM_E10value_typeEPSN_NS1_7vsmem_tEENKUlT_SL_SM_SN_E_clIS8_S8_S9_S9_EESK_S10_SL_SM_SN_EUlS10_E0_NS1_11comp_targetILNS1_3genE3ELNS1_11target_archE908ELNS1_3gpuE7ELNS1_3repE0EEENS1_38merge_mergepath_config_static_selectorELNS0_4arch9wavefront6targetE0EEEvSM_
; %bb.0:
	.section	.rodata,"a",@progbits
	.p2align	6, 0x0
	.amdhsa_kernel _ZN7rocprim17ROCPRIM_400000_NS6detail17trampoline_kernelINS0_14default_configENS1_38merge_sort_block_merge_config_selectorIlNS0_10empty_typeEEEZZNS1_27merge_sort_block_merge_implIS3_PlPS5_mZN2at6native12_GLOBAL__N_124unique_dim_cuda_templateIjEESt5tupleIJNSA_6TensorESF_SF_EERKSF_lbbbEUlllE_EE10hipError_tT0_T1_T2_jT3_P12ihipStream_tbPNSt15iterator_traitsISL_E10value_typeEPNSR_ISM_E10value_typeEPSN_NS1_7vsmem_tEENKUlT_SL_SM_SN_E_clIS8_S8_S9_S9_EESK_S10_SL_SM_SN_EUlS10_E0_NS1_11comp_targetILNS1_3genE3ELNS1_11target_archE908ELNS1_3gpuE7ELNS1_3repE0EEENS1_38merge_mergepath_config_static_selectorELNS0_4arch9wavefront6targetE0EEEvSM_
		.amdhsa_group_segment_fixed_size 0
		.amdhsa_private_segment_fixed_size 0
		.amdhsa_kernarg_size 88
		.amdhsa_user_sgpr_count 2
		.amdhsa_user_sgpr_dispatch_ptr 0
		.amdhsa_user_sgpr_queue_ptr 0
		.amdhsa_user_sgpr_kernarg_segment_ptr 1
		.amdhsa_user_sgpr_dispatch_id 0
		.amdhsa_user_sgpr_kernarg_preload_length 0
		.amdhsa_user_sgpr_kernarg_preload_offset 0
		.amdhsa_user_sgpr_private_segment_size 0
		.amdhsa_wavefront_size32 1
		.amdhsa_uses_dynamic_stack 0
		.amdhsa_enable_private_segment 0
		.amdhsa_system_sgpr_workgroup_id_x 1
		.amdhsa_system_sgpr_workgroup_id_y 0
		.amdhsa_system_sgpr_workgroup_id_z 0
		.amdhsa_system_sgpr_workgroup_info 0
		.amdhsa_system_vgpr_workitem_id 0
		.amdhsa_next_free_vgpr 1
		.amdhsa_next_free_sgpr 1
		.amdhsa_named_barrier_count 0
		.amdhsa_reserve_vcc 0
		.amdhsa_float_round_mode_32 0
		.amdhsa_float_round_mode_16_64 0
		.amdhsa_float_denorm_mode_32 3
		.amdhsa_float_denorm_mode_16_64 3
		.amdhsa_fp16_overflow 0
		.amdhsa_memory_ordered 1
		.amdhsa_forward_progress 1
		.amdhsa_inst_pref_size 0
		.amdhsa_round_robin_scheduling 0
		.amdhsa_exception_fp_ieee_invalid_op 0
		.amdhsa_exception_fp_denorm_src 0
		.amdhsa_exception_fp_ieee_div_zero 0
		.amdhsa_exception_fp_ieee_overflow 0
		.amdhsa_exception_fp_ieee_underflow 0
		.amdhsa_exception_fp_ieee_inexact 0
		.amdhsa_exception_int_div_zero 0
	.end_amdhsa_kernel
	.section	.text._ZN7rocprim17ROCPRIM_400000_NS6detail17trampoline_kernelINS0_14default_configENS1_38merge_sort_block_merge_config_selectorIlNS0_10empty_typeEEEZZNS1_27merge_sort_block_merge_implIS3_PlPS5_mZN2at6native12_GLOBAL__N_124unique_dim_cuda_templateIjEESt5tupleIJNSA_6TensorESF_SF_EERKSF_lbbbEUlllE_EE10hipError_tT0_T1_T2_jT3_P12ihipStream_tbPNSt15iterator_traitsISL_E10value_typeEPNSR_ISM_E10value_typeEPSN_NS1_7vsmem_tEENKUlT_SL_SM_SN_E_clIS8_S8_S9_S9_EESK_S10_SL_SM_SN_EUlS10_E0_NS1_11comp_targetILNS1_3genE3ELNS1_11target_archE908ELNS1_3gpuE7ELNS1_3repE0EEENS1_38merge_mergepath_config_static_selectorELNS0_4arch9wavefront6targetE0EEEvSM_,"axG",@progbits,_ZN7rocprim17ROCPRIM_400000_NS6detail17trampoline_kernelINS0_14default_configENS1_38merge_sort_block_merge_config_selectorIlNS0_10empty_typeEEEZZNS1_27merge_sort_block_merge_implIS3_PlPS5_mZN2at6native12_GLOBAL__N_124unique_dim_cuda_templateIjEESt5tupleIJNSA_6TensorESF_SF_EERKSF_lbbbEUlllE_EE10hipError_tT0_T1_T2_jT3_P12ihipStream_tbPNSt15iterator_traitsISL_E10value_typeEPNSR_ISM_E10value_typeEPSN_NS1_7vsmem_tEENKUlT_SL_SM_SN_E_clIS8_S8_S9_S9_EESK_S10_SL_SM_SN_EUlS10_E0_NS1_11comp_targetILNS1_3genE3ELNS1_11target_archE908ELNS1_3gpuE7ELNS1_3repE0EEENS1_38merge_mergepath_config_static_selectorELNS0_4arch9wavefront6targetE0EEEvSM_,comdat
.Lfunc_end1504:
	.size	_ZN7rocprim17ROCPRIM_400000_NS6detail17trampoline_kernelINS0_14default_configENS1_38merge_sort_block_merge_config_selectorIlNS0_10empty_typeEEEZZNS1_27merge_sort_block_merge_implIS3_PlPS5_mZN2at6native12_GLOBAL__N_124unique_dim_cuda_templateIjEESt5tupleIJNSA_6TensorESF_SF_EERKSF_lbbbEUlllE_EE10hipError_tT0_T1_T2_jT3_P12ihipStream_tbPNSt15iterator_traitsISL_E10value_typeEPNSR_ISM_E10value_typeEPSN_NS1_7vsmem_tEENKUlT_SL_SM_SN_E_clIS8_S8_S9_S9_EESK_S10_SL_SM_SN_EUlS10_E0_NS1_11comp_targetILNS1_3genE3ELNS1_11target_archE908ELNS1_3gpuE7ELNS1_3repE0EEENS1_38merge_mergepath_config_static_selectorELNS0_4arch9wavefront6targetE0EEEvSM_, .Lfunc_end1504-_ZN7rocprim17ROCPRIM_400000_NS6detail17trampoline_kernelINS0_14default_configENS1_38merge_sort_block_merge_config_selectorIlNS0_10empty_typeEEEZZNS1_27merge_sort_block_merge_implIS3_PlPS5_mZN2at6native12_GLOBAL__N_124unique_dim_cuda_templateIjEESt5tupleIJNSA_6TensorESF_SF_EERKSF_lbbbEUlllE_EE10hipError_tT0_T1_T2_jT3_P12ihipStream_tbPNSt15iterator_traitsISL_E10value_typeEPNSR_ISM_E10value_typeEPSN_NS1_7vsmem_tEENKUlT_SL_SM_SN_E_clIS8_S8_S9_S9_EESK_S10_SL_SM_SN_EUlS10_E0_NS1_11comp_targetILNS1_3genE3ELNS1_11target_archE908ELNS1_3gpuE7ELNS1_3repE0EEENS1_38merge_mergepath_config_static_selectorELNS0_4arch9wavefront6targetE0EEEvSM_
                                        ; -- End function
	.set _ZN7rocprim17ROCPRIM_400000_NS6detail17trampoline_kernelINS0_14default_configENS1_38merge_sort_block_merge_config_selectorIlNS0_10empty_typeEEEZZNS1_27merge_sort_block_merge_implIS3_PlPS5_mZN2at6native12_GLOBAL__N_124unique_dim_cuda_templateIjEESt5tupleIJNSA_6TensorESF_SF_EERKSF_lbbbEUlllE_EE10hipError_tT0_T1_T2_jT3_P12ihipStream_tbPNSt15iterator_traitsISL_E10value_typeEPNSR_ISM_E10value_typeEPSN_NS1_7vsmem_tEENKUlT_SL_SM_SN_E_clIS8_S8_S9_S9_EESK_S10_SL_SM_SN_EUlS10_E0_NS1_11comp_targetILNS1_3genE3ELNS1_11target_archE908ELNS1_3gpuE7ELNS1_3repE0EEENS1_38merge_mergepath_config_static_selectorELNS0_4arch9wavefront6targetE0EEEvSM_.num_vgpr, 0
	.set _ZN7rocprim17ROCPRIM_400000_NS6detail17trampoline_kernelINS0_14default_configENS1_38merge_sort_block_merge_config_selectorIlNS0_10empty_typeEEEZZNS1_27merge_sort_block_merge_implIS3_PlPS5_mZN2at6native12_GLOBAL__N_124unique_dim_cuda_templateIjEESt5tupleIJNSA_6TensorESF_SF_EERKSF_lbbbEUlllE_EE10hipError_tT0_T1_T2_jT3_P12ihipStream_tbPNSt15iterator_traitsISL_E10value_typeEPNSR_ISM_E10value_typeEPSN_NS1_7vsmem_tEENKUlT_SL_SM_SN_E_clIS8_S8_S9_S9_EESK_S10_SL_SM_SN_EUlS10_E0_NS1_11comp_targetILNS1_3genE3ELNS1_11target_archE908ELNS1_3gpuE7ELNS1_3repE0EEENS1_38merge_mergepath_config_static_selectorELNS0_4arch9wavefront6targetE0EEEvSM_.num_agpr, 0
	.set _ZN7rocprim17ROCPRIM_400000_NS6detail17trampoline_kernelINS0_14default_configENS1_38merge_sort_block_merge_config_selectorIlNS0_10empty_typeEEEZZNS1_27merge_sort_block_merge_implIS3_PlPS5_mZN2at6native12_GLOBAL__N_124unique_dim_cuda_templateIjEESt5tupleIJNSA_6TensorESF_SF_EERKSF_lbbbEUlllE_EE10hipError_tT0_T1_T2_jT3_P12ihipStream_tbPNSt15iterator_traitsISL_E10value_typeEPNSR_ISM_E10value_typeEPSN_NS1_7vsmem_tEENKUlT_SL_SM_SN_E_clIS8_S8_S9_S9_EESK_S10_SL_SM_SN_EUlS10_E0_NS1_11comp_targetILNS1_3genE3ELNS1_11target_archE908ELNS1_3gpuE7ELNS1_3repE0EEENS1_38merge_mergepath_config_static_selectorELNS0_4arch9wavefront6targetE0EEEvSM_.numbered_sgpr, 0
	.set _ZN7rocprim17ROCPRIM_400000_NS6detail17trampoline_kernelINS0_14default_configENS1_38merge_sort_block_merge_config_selectorIlNS0_10empty_typeEEEZZNS1_27merge_sort_block_merge_implIS3_PlPS5_mZN2at6native12_GLOBAL__N_124unique_dim_cuda_templateIjEESt5tupleIJNSA_6TensorESF_SF_EERKSF_lbbbEUlllE_EE10hipError_tT0_T1_T2_jT3_P12ihipStream_tbPNSt15iterator_traitsISL_E10value_typeEPNSR_ISM_E10value_typeEPSN_NS1_7vsmem_tEENKUlT_SL_SM_SN_E_clIS8_S8_S9_S9_EESK_S10_SL_SM_SN_EUlS10_E0_NS1_11comp_targetILNS1_3genE3ELNS1_11target_archE908ELNS1_3gpuE7ELNS1_3repE0EEENS1_38merge_mergepath_config_static_selectorELNS0_4arch9wavefront6targetE0EEEvSM_.num_named_barrier, 0
	.set _ZN7rocprim17ROCPRIM_400000_NS6detail17trampoline_kernelINS0_14default_configENS1_38merge_sort_block_merge_config_selectorIlNS0_10empty_typeEEEZZNS1_27merge_sort_block_merge_implIS3_PlPS5_mZN2at6native12_GLOBAL__N_124unique_dim_cuda_templateIjEESt5tupleIJNSA_6TensorESF_SF_EERKSF_lbbbEUlllE_EE10hipError_tT0_T1_T2_jT3_P12ihipStream_tbPNSt15iterator_traitsISL_E10value_typeEPNSR_ISM_E10value_typeEPSN_NS1_7vsmem_tEENKUlT_SL_SM_SN_E_clIS8_S8_S9_S9_EESK_S10_SL_SM_SN_EUlS10_E0_NS1_11comp_targetILNS1_3genE3ELNS1_11target_archE908ELNS1_3gpuE7ELNS1_3repE0EEENS1_38merge_mergepath_config_static_selectorELNS0_4arch9wavefront6targetE0EEEvSM_.private_seg_size, 0
	.set _ZN7rocprim17ROCPRIM_400000_NS6detail17trampoline_kernelINS0_14default_configENS1_38merge_sort_block_merge_config_selectorIlNS0_10empty_typeEEEZZNS1_27merge_sort_block_merge_implIS3_PlPS5_mZN2at6native12_GLOBAL__N_124unique_dim_cuda_templateIjEESt5tupleIJNSA_6TensorESF_SF_EERKSF_lbbbEUlllE_EE10hipError_tT0_T1_T2_jT3_P12ihipStream_tbPNSt15iterator_traitsISL_E10value_typeEPNSR_ISM_E10value_typeEPSN_NS1_7vsmem_tEENKUlT_SL_SM_SN_E_clIS8_S8_S9_S9_EESK_S10_SL_SM_SN_EUlS10_E0_NS1_11comp_targetILNS1_3genE3ELNS1_11target_archE908ELNS1_3gpuE7ELNS1_3repE0EEENS1_38merge_mergepath_config_static_selectorELNS0_4arch9wavefront6targetE0EEEvSM_.uses_vcc, 0
	.set _ZN7rocprim17ROCPRIM_400000_NS6detail17trampoline_kernelINS0_14default_configENS1_38merge_sort_block_merge_config_selectorIlNS0_10empty_typeEEEZZNS1_27merge_sort_block_merge_implIS3_PlPS5_mZN2at6native12_GLOBAL__N_124unique_dim_cuda_templateIjEESt5tupleIJNSA_6TensorESF_SF_EERKSF_lbbbEUlllE_EE10hipError_tT0_T1_T2_jT3_P12ihipStream_tbPNSt15iterator_traitsISL_E10value_typeEPNSR_ISM_E10value_typeEPSN_NS1_7vsmem_tEENKUlT_SL_SM_SN_E_clIS8_S8_S9_S9_EESK_S10_SL_SM_SN_EUlS10_E0_NS1_11comp_targetILNS1_3genE3ELNS1_11target_archE908ELNS1_3gpuE7ELNS1_3repE0EEENS1_38merge_mergepath_config_static_selectorELNS0_4arch9wavefront6targetE0EEEvSM_.uses_flat_scratch, 0
	.set _ZN7rocprim17ROCPRIM_400000_NS6detail17trampoline_kernelINS0_14default_configENS1_38merge_sort_block_merge_config_selectorIlNS0_10empty_typeEEEZZNS1_27merge_sort_block_merge_implIS3_PlPS5_mZN2at6native12_GLOBAL__N_124unique_dim_cuda_templateIjEESt5tupleIJNSA_6TensorESF_SF_EERKSF_lbbbEUlllE_EE10hipError_tT0_T1_T2_jT3_P12ihipStream_tbPNSt15iterator_traitsISL_E10value_typeEPNSR_ISM_E10value_typeEPSN_NS1_7vsmem_tEENKUlT_SL_SM_SN_E_clIS8_S8_S9_S9_EESK_S10_SL_SM_SN_EUlS10_E0_NS1_11comp_targetILNS1_3genE3ELNS1_11target_archE908ELNS1_3gpuE7ELNS1_3repE0EEENS1_38merge_mergepath_config_static_selectorELNS0_4arch9wavefront6targetE0EEEvSM_.has_dyn_sized_stack, 0
	.set _ZN7rocprim17ROCPRIM_400000_NS6detail17trampoline_kernelINS0_14default_configENS1_38merge_sort_block_merge_config_selectorIlNS0_10empty_typeEEEZZNS1_27merge_sort_block_merge_implIS3_PlPS5_mZN2at6native12_GLOBAL__N_124unique_dim_cuda_templateIjEESt5tupleIJNSA_6TensorESF_SF_EERKSF_lbbbEUlllE_EE10hipError_tT0_T1_T2_jT3_P12ihipStream_tbPNSt15iterator_traitsISL_E10value_typeEPNSR_ISM_E10value_typeEPSN_NS1_7vsmem_tEENKUlT_SL_SM_SN_E_clIS8_S8_S9_S9_EESK_S10_SL_SM_SN_EUlS10_E0_NS1_11comp_targetILNS1_3genE3ELNS1_11target_archE908ELNS1_3gpuE7ELNS1_3repE0EEENS1_38merge_mergepath_config_static_selectorELNS0_4arch9wavefront6targetE0EEEvSM_.has_recursion, 0
	.set _ZN7rocprim17ROCPRIM_400000_NS6detail17trampoline_kernelINS0_14default_configENS1_38merge_sort_block_merge_config_selectorIlNS0_10empty_typeEEEZZNS1_27merge_sort_block_merge_implIS3_PlPS5_mZN2at6native12_GLOBAL__N_124unique_dim_cuda_templateIjEESt5tupleIJNSA_6TensorESF_SF_EERKSF_lbbbEUlllE_EE10hipError_tT0_T1_T2_jT3_P12ihipStream_tbPNSt15iterator_traitsISL_E10value_typeEPNSR_ISM_E10value_typeEPSN_NS1_7vsmem_tEENKUlT_SL_SM_SN_E_clIS8_S8_S9_S9_EESK_S10_SL_SM_SN_EUlS10_E0_NS1_11comp_targetILNS1_3genE3ELNS1_11target_archE908ELNS1_3gpuE7ELNS1_3repE0EEENS1_38merge_mergepath_config_static_selectorELNS0_4arch9wavefront6targetE0EEEvSM_.has_indirect_call, 0
	.section	.AMDGPU.csdata,"",@progbits
; Kernel info:
; codeLenInByte = 0
; TotalNumSgprs: 0
; NumVgprs: 0
; ScratchSize: 0
; MemoryBound: 0
; FloatMode: 240
; IeeeMode: 1
; LDSByteSize: 0 bytes/workgroup (compile time only)
; SGPRBlocks: 0
; VGPRBlocks: 0
; NumSGPRsForWavesPerEU: 1
; NumVGPRsForWavesPerEU: 1
; NamedBarCnt: 0
; Occupancy: 16
; WaveLimiterHint : 0
; COMPUTE_PGM_RSRC2:SCRATCH_EN: 0
; COMPUTE_PGM_RSRC2:USER_SGPR: 2
; COMPUTE_PGM_RSRC2:TRAP_HANDLER: 0
; COMPUTE_PGM_RSRC2:TGID_X_EN: 1
; COMPUTE_PGM_RSRC2:TGID_Y_EN: 0
; COMPUTE_PGM_RSRC2:TGID_Z_EN: 0
; COMPUTE_PGM_RSRC2:TIDIG_COMP_CNT: 0
	.section	.text._ZN7rocprim17ROCPRIM_400000_NS6detail17trampoline_kernelINS0_14default_configENS1_38merge_sort_block_merge_config_selectorIlNS0_10empty_typeEEEZZNS1_27merge_sort_block_merge_implIS3_PlPS5_mZN2at6native12_GLOBAL__N_124unique_dim_cuda_templateIjEESt5tupleIJNSA_6TensorESF_SF_EERKSF_lbbbEUlllE_EE10hipError_tT0_T1_T2_jT3_P12ihipStream_tbPNSt15iterator_traitsISL_E10value_typeEPNSR_ISM_E10value_typeEPSN_NS1_7vsmem_tEENKUlT_SL_SM_SN_E_clIS8_S8_S9_S9_EESK_S10_SL_SM_SN_EUlS10_E0_NS1_11comp_targetILNS1_3genE2ELNS1_11target_archE906ELNS1_3gpuE6ELNS1_3repE0EEENS1_38merge_mergepath_config_static_selectorELNS0_4arch9wavefront6targetE0EEEvSM_,"axG",@progbits,_ZN7rocprim17ROCPRIM_400000_NS6detail17trampoline_kernelINS0_14default_configENS1_38merge_sort_block_merge_config_selectorIlNS0_10empty_typeEEEZZNS1_27merge_sort_block_merge_implIS3_PlPS5_mZN2at6native12_GLOBAL__N_124unique_dim_cuda_templateIjEESt5tupleIJNSA_6TensorESF_SF_EERKSF_lbbbEUlllE_EE10hipError_tT0_T1_T2_jT3_P12ihipStream_tbPNSt15iterator_traitsISL_E10value_typeEPNSR_ISM_E10value_typeEPSN_NS1_7vsmem_tEENKUlT_SL_SM_SN_E_clIS8_S8_S9_S9_EESK_S10_SL_SM_SN_EUlS10_E0_NS1_11comp_targetILNS1_3genE2ELNS1_11target_archE906ELNS1_3gpuE6ELNS1_3repE0EEENS1_38merge_mergepath_config_static_selectorELNS0_4arch9wavefront6targetE0EEEvSM_,comdat
	.globl	_ZN7rocprim17ROCPRIM_400000_NS6detail17trampoline_kernelINS0_14default_configENS1_38merge_sort_block_merge_config_selectorIlNS0_10empty_typeEEEZZNS1_27merge_sort_block_merge_implIS3_PlPS5_mZN2at6native12_GLOBAL__N_124unique_dim_cuda_templateIjEESt5tupleIJNSA_6TensorESF_SF_EERKSF_lbbbEUlllE_EE10hipError_tT0_T1_T2_jT3_P12ihipStream_tbPNSt15iterator_traitsISL_E10value_typeEPNSR_ISM_E10value_typeEPSN_NS1_7vsmem_tEENKUlT_SL_SM_SN_E_clIS8_S8_S9_S9_EESK_S10_SL_SM_SN_EUlS10_E0_NS1_11comp_targetILNS1_3genE2ELNS1_11target_archE906ELNS1_3gpuE6ELNS1_3repE0EEENS1_38merge_mergepath_config_static_selectorELNS0_4arch9wavefront6targetE0EEEvSM_ ; -- Begin function _ZN7rocprim17ROCPRIM_400000_NS6detail17trampoline_kernelINS0_14default_configENS1_38merge_sort_block_merge_config_selectorIlNS0_10empty_typeEEEZZNS1_27merge_sort_block_merge_implIS3_PlPS5_mZN2at6native12_GLOBAL__N_124unique_dim_cuda_templateIjEESt5tupleIJNSA_6TensorESF_SF_EERKSF_lbbbEUlllE_EE10hipError_tT0_T1_T2_jT3_P12ihipStream_tbPNSt15iterator_traitsISL_E10value_typeEPNSR_ISM_E10value_typeEPSN_NS1_7vsmem_tEENKUlT_SL_SM_SN_E_clIS8_S8_S9_S9_EESK_S10_SL_SM_SN_EUlS10_E0_NS1_11comp_targetILNS1_3genE2ELNS1_11target_archE906ELNS1_3gpuE6ELNS1_3repE0EEENS1_38merge_mergepath_config_static_selectorELNS0_4arch9wavefront6targetE0EEEvSM_
	.p2align	8
	.type	_ZN7rocprim17ROCPRIM_400000_NS6detail17trampoline_kernelINS0_14default_configENS1_38merge_sort_block_merge_config_selectorIlNS0_10empty_typeEEEZZNS1_27merge_sort_block_merge_implIS3_PlPS5_mZN2at6native12_GLOBAL__N_124unique_dim_cuda_templateIjEESt5tupleIJNSA_6TensorESF_SF_EERKSF_lbbbEUlllE_EE10hipError_tT0_T1_T2_jT3_P12ihipStream_tbPNSt15iterator_traitsISL_E10value_typeEPNSR_ISM_E10value_typeEPSN_NS1_7vsmem_tEENKUlT_SL_SM_SN_E_clIS8_S8_S9_S9_EESK_S10_SL_SM_SN_EUlS10_E0_NS1_11comp_targetILNS1_3genE2ELNS1_11target_archE906ELNS1_3gpuE6ELNS1_3repE0EEENS1_38merge_mergepath_config_static_selectorELNS0_4arch9wavefront6targetE0EEEvSM_,@function
_ZN7rocprim17ROCPRIM_400000_NS6detail17trampoline_kernelINS0_14default_configENS1_38merge_sort_block_merge_config_selectorIlNS0_10empty_typeEEEZZNS1_27merge_sort_block_merge_implIS3_PlPS5_mZN2at6native12_GLOBAL__N_124unique_dim_cuda_templateIjEESt5tupleIJNSA_6TensorESF_SF_EERKSF_lbbbEUlllE_EE10hipError_tT0_T1_T2_jT3_P12ihipStream_tbPNSt15iterator_traitsISL_E10value_typeEPNSR_ISM_E10value_typeEPSN_NS1_7vsmem_tEENKUlT_SL_SM_SN_E_clIS8_S8_S9_S9_EESK_S10_SL_SM_SN_EUlS10_E0_NS1_11comp_targetILNS1_3genE2ELNS1_11target_archE906ELNS1_3gpuE6ELNS1_3repE0EEENS1_38merge_mergepath_config_static_selectorELNS0_4arch9wavefront6targetE0EEEvSM_: ; @_ZN7rocprim17ROCPRIM_400000_NS6detail17trampoline_kernelINS0_14default_configENS1_38merge_sort_block_merge_config_selectorIlNS0_10empty_typeEEEZZNS1_27merge_sort_block_merge_implIS3_PlPS5_mZN2at6native12_GLOBAL__N_124unique_dim_cuda_templateIjEESt5tupleIJNSA_6TensorESF_SF_EERKSF_lbbbEUlllE_EE10hipError_tT0_T1_T2_jT3_P12ihipStream_tbPNSt15iterator_traitsISL_E10value_typeEPNSR_ISM_E10value_typeEPSN_NS1_7vsmem_tEENKUlT_SL_SM_SN_E_clIS8_S8_S9_S9_EESK_S10_SL_SM_SN_EUlS10_E0_NS1_11comp_targetILNS1_3genE2ELNS1_11target_archE906ELNS1_3gpuE6ELNS1_3repE0EEENS1_38merge_mergepath_config_static_selectorELNS0_4arch9wavefront6targetE0EEEvSM_
; %bb.0:
	.section	.rodata,"a",@progbits
	.p2align	6, 0x0
	.amdhsa_kernel _ZN7rocprim17ROCPRIM_400000_NS6detail17trampoline_kernelINS0_14default_configENS1_38merge_sort_block_merge_config_selectorIlNS0_10empty_typeEEEZZNS1_27merge_sort_block_merge_implIS3_PlPS5_mZN2at6native12_GLOBAL__N_124unique_dim_cuda_templateIjEESt5tupleIJNSA_6TensorESF_SF_EERKSF_lbbbEUlllE_EE10hipError_tT0_T1_T2_jT3_P12ihipStream_tbPNSt15iterator_traitsISL_E10value_typeEPNSR_ISM_E10value_typeEPSN_NS1_7vsmem_tEENKUlT_SL_SM_SN_E_clIS8_S8_S9_S9_EESK_S10_SL_SM_SN_EUlS10_E0_NS1_11comp_targetILNS1_3genE2ELNS1_11target_archE906ELNS1_3gpuE6ELNS1_3repE0EEENS1_38merge_mergepath_config_static_selectorELNS0_4arch9wavefront6targetE0EEEvSM_
		.amdhsa_group_segment_fixed_size 0
		.amdhsa_private_segment_fixed_size 0
		.amdhsa_kernarg_size 88
		.amdhsa_user_sgpr_count 2
		.amdhsa_user_sgpr_dispatch_ptr 0
		.amdhsa_user_sgpr_queue_ptr 0
		.amdhsa_user_sgpr_kernarg_segment_ptr 1
		.amdhsa_user_sgpr_dispatch_id 0
		.amdhsa_user_sgpr_kernarg_preload_length 0
		.amdhsa_user_sgpr_kernarg_preload_offset 0
		.amdhsa_user_sgpr_private_segment_size 0
		.amdhsa_wavefront_size32 1
		.amdhsa_uses_dynamic_stack 0
		.amdhsa_enable_private_segment 0
		.amdhsa_system_sgpr_workgroup_id_x 1
		.amdhsa_system_sgpr_workgroup_id_y 0
		.amdhsa_system_sgpr_workgroup_id_z 0
		.amdhsa_system_sgpr_workgroup_info 0
		.amdhsa_system_vgpr_workitem_id 0
		.amdhsa_next_free_vgpr 1
		.amdhsa_next_free_sgpr 1
		.amdhsa_named_barrier_count 0
		.amdhsa_reserve_vcc 0
		.amdhsa_float_round_mode_32 0
		.amdhsa_float_round_mode_16_64 0
		.amdhsa_float_denorm_mode_32 3
		.amdhsa_float_denorm_mode_16_64 3
		.amdhsa_fp16_overflow 0
		.amdhsa_memory_ordered 1
		.amdhsa_forward_progress 1
		.amdhsa_inst_pref_size 0
		.amdhsa_round_robin_scheduling 0
		.amdhsa_exception_fp_ieee_invalid_op 0
		.amdhsa_exception_fp_denorm_src 0
		.amdhsa_exception_fp_ieee_div_zero 0
		.amdhsa_exception_fp_ieee_overflow 0
		.amdhsa_exception_fp_ieee_underflow 0
		.amdhsa_exception_fp_ieee_inexact 0
		.amdhsa_exception_int_div_zero 0
	.end_amdhsa_kernel
	.section	.text._ZN7rocprim17ROCPRIM_400000_NS6detail17trampoline_kernelINS0_14default_configENS1_38merge_sort_block_merge_config_selectorIlNS0_10empty_typeEEEZZNS1_27merge_sort_block_merge_implIS3_PlPS5_mZN2at6native12_GLOBAL__N_124unique_dim_cuda_templateIjEESt5tupleIJNSA_6TensorESF_SF_EERKSF_lbbbEUlllE_EE10hipError_tT0_T1_T2_jT3_P12ihipStream_tbPNSt15iterator_traitsISL_E10value_typeEPNSR_ISM_E10value_typeEPSN_NS1_7vsmem_tEENKUlT_SL_SM_SN_E_clIS8_S8_S9_S9_EESK_S10_SL_SM_SN_EUlS10_E0_NS1_11comp_targetILNS1_3genE2ELNS1_11target_archE906ELNS1_3gpuE6ELNS1_3repE0EEENS1_38merge_mergepath_config_static_selectorELNS0_4arch9wavefront6targetE0EEEvSM_,"axG",@progbits,_ZN7rocprim17ROCPRIM_400000_NS6detail17trampoline_kernelINS0_14default_configENS1_38merge_sort_block_merge_config_selectorIlNS0_10empty_typeEEEZZNS1_27merge_sort_block_merge_implIS3_PlPS5_mZN2at6native12_GLOBAL__N_124unique_dim_cuda_templateIjEESt5tupleIJNSA_6TensorESF_SF_EERKSF_lbbbEUlllE_EE10hipError_tT0_T1_T2_jT3_P12ihipStream_tbPNSt15iterator_traitsISL_E10value_typeEPNSR_ISM_E10value_typeEPSN_NS1_7vsmem_tEENKUlT_SL_SM_SN_E_clIS8_S8_S9_S9_EESK_S10_SL_SM_SN_EUlS10_E0_NS1_11comp_targetILNS1_3genE2ELNS1_11target_archE906ELNS1_3gpuE6ELNS1_3repE0EEENS1_38merge_mergepath_config_static_selectorELNS0_4arch9wavefront6targetE0EEEvSM_,comdat
.Lfunc_end1505:
	.size	_ZN7rocprim17ROCPRIM_400000_NS6detail17trampoline_kernelINS0_14default_configENS1_38merge_sort_block_merge_config_selectorIlNS0_10empty_typeEEEZZNS1_27merge_sort_block_merge_implIS3_PlPS5_mZN2at6native12_GLOBAL__N_124unique_dim_cuda_templateIjEESt5tupleIJNSA_6TensorESF_SF_EERKSF_lbbbEUlllE_EE10hipError_tT0_T1_T2_jT3_P12ihipStream_tbPNSt15iterator_traitsISL_E10value_typeEPNSR_ISM_E10value_typeEPSN_NS1_7vsmem_tEENKUlT_SL_SM_SN_E_clIS8_S8_S9_S9_EESK_S10_SL_SM_SN_EUlS10_E0_NS1_11comp_targetILNS1_3genE2ELNS1_11target_archE906ELNS1_3gpuE6ELNS1_3repE0EEENS1_38merge_mergepath_config_static_selectorELNS0_4arch9wavefront6targetE0EEEvSM_, .Lfunc_end1505-_ZN7rocprim17ROCPRIM_400000_NS6detail17trampoline_kernelINS0_14default_configENS1_38merge_sort_block_merge_config_selectorIlNS0_10empty_typeEEEZZNS1_27merge_sort_block_merge_implIS3_PlPS5_mZN2at6native12_GLOBAL__N_124unique_dim_cuda_templateIjEESt5tupleIJNSA_6TensorESF_SF_EERKSF_lbbbEUlllE_EE10hipError_tT0_T1_T2_jT3_P12ihipStream_tbPNSt15iterator_traitsISL_E10value_typeEPNSR_ISM_E10value_typeEPSN_NS1_7vsmem_tEENKUlT_SL_SM_SN_E_clIS8_S8_S9_S9_EESK_S10_SL_SM_SN_EUlS10_E0_NS1_11comp_targetILNS1_3genE2ELNS1_11target_archE906ELNS1_3gpuE6ELNS1_3repE0EEENS1_38merge_mergepath_config_static_selectorELNS0_4arch9wavefront6targetE0EEEvSM_
                                        ; -- End function
	.set _ZN7rocprim17ROCPRIM_400000_NS6detail17trampoline_kernelINS0_14default_configENS1_38merge_sort_block_merge_config_selectorIlNS0_10empty_typeEEEZZNS1_27merge_sort_block_merge_implIS3_PlPS5_mZN2at6native12_GLOBAL__N_124unique_dim_cuda_templateIjEESt5tupleIJNSA_6TensorESF_SF_EERKSF_lbbbEUlllE_EE10hipError_tT0_T1_T2_jT3_P12ihipStream_tbPNSt15iterator_traitsISL_E10value_typeEPNSR_ISM_E10value_typeEPSN_NS1_7vsmem_tEENKUlT_SL_SM_SN_E_clIS8_S8_S9_S9_EESK_S10_SL_SM_SN_EUlS10_E0_NS1_11comp_targetILNS1_3genE2ELNS1_11target_archE906ELNS1_3gpuE6ELNS1_3repE0EEENS1_38merge_mergepath_config_static_selectorELNS0_4arch9wavefront6targetE0EEEvSM_.num_vgpr, 0
	.set _ZN7rocprim17ROCPRIM_400000_NS6detail17trampoline_kernelINS0_14default_configENS1_38merge_sort_block_merge_config_selectorIlNS0_10empty_typeEEEZZNS1_27merge_sort_block_merge_implIS3_PlPS5_mZN2at6native12_GLOBAL__N_124unique_dim_cuda_templateIjEESt5tupleIJNSA_6TensorESF_SF_EERKSF_lbbbEUlllE_EE10hipError_tT0_T1_T2_jT3_P12ihipStream_tbPNSt15iterator_traitsISL_E10value_typeEPNSR_ISM_E10value_typeEPSN_NS1_7vsmem_tEENKUlT_SL_SM_SN_E_clIS8_S8_S9_S9_EESK_S10_SL_SM_SN_EUlS10_E0_NS1_11comp_targetILNS1_3genE2ELNS1_11target_archE906ELNS1_3gpuE6ELNS1_3repE0EEENS1_38merge_mergepath_config_static_selectorELNS0_4arch9wavefront6targetE0EEEvSM_.num_agpr, 0
	.set _ZN7rocprim17ROCPRIM_400000_NS6detail17trampoline_kernelINS0_14default_configENS1_38merge_sort_block_merge_config_selectorIlNS0_10empty_typeEEEZZNS1_27merge_sort_block_merge_implIS3_PlPS5_mZN2at6native12_GLOBAL__N_124unique_dim_cuda_templateIjEESt5tupleIJNSA_6TensorESF_SF_EERKSF_lbbbEUlllE_EE10hipError_tT0_T1_T2_jT3_P12ihipStream_tbPNSt15iterator_traitsISL_E10value_typeEPNSR_ISM_E10value_typeEPSN_NS1_7vsmem_tEENKUlT_SL_SM_SN_E_clIS8_S8_S9_S9_EESK_S10_SL_SM_SN_EUlS10_E0_NS1_11comp_targetILNS1_3genE2ELNS1_11target_archE906ELNS1_3gpuE6ELNS1_3repE0EEENS1_38merge_mergepath_config_static_selectorELNS0_4arch9wavefront6targetE0EEEvSM_.numbered_sgpr, 0
	.set _ZN7rocprim17ROCPRIM_400000_NS6detail17trampoline_kernelINS0_14default_configENS1_38merge_sort_block_merge_config_selectorIlNS0_10empty_typeEEEZZNS1_27merge_sort_block_merge_implIS3_PlPS5_mZN2at6native12_GLOBAL__N_124unique_dim_cuda_templateIjEESt5tupleIJNSA_6TensorESF_SF_EERKSF_lbbbEUlllE_EE10hipError_tT0_T1_T2_jT3_P12ihipStream_tbPNSt15iterator_traitsISL_E10value_typeEPNSR_ISM_E10value_typeEPSN_NS1_7vsmem_tEENKUlT_SL_SM_SN_E_clIS8_S8_S9_S9_EESK_S10_SL_SM_SN_EUlS10_E0_NS1_11comp_targetILNS1_3genE2ELNS1_11target_archE906ELNS1_3gpuE6ELNS1_3repE0EEENS1_38merge_mergepath_config_static_selectorELNS0_4arch9wavefront6targetE0EEEvSM_.num_named_barrier, 0
	.set _ZN7rocprim17ROCPRIM_400000_NS6detail17trampoline_kernelINS0_14default_configENS1_38merge_sort_block_merge_config_selectorIlNS0_10empty_typeEEEZZNS1_27merge_sort_block_merge_implIS3_PlPS5_mZN2at6native12_GLOBAL__N_124unique_dim_cuda_templateIjEESt5tupleIJNSA_6TensorESF_SF_EERKSF_lbbbEUlllE_EE10hipError_tT0_T1_T2_jT3_P12ihipStream_tbPNSt15iterator_traitsISL_E10value_typeEPNSR_ISM_E10value_typeEPSN_NS1_7vsmem_tEENKUlT_SL_SM_SN_E_clIS8_S8_S9_S9_EESK_S10_SL_SM_SN_EUlS10_E0_NS1_11comp_targetILNS1_3genE2ELNS1_11target_archE906ELNS1_3gpuE6ELNS1_3repE0EEENS1_38merge_mergepath_config_static_selectorELNS0_4arch9wavefront6targetE0EEEvSM_.private_seg_size, 0
	.set _ZN7rocprim17ROCPRIM_400000_NS6detail17trampoline_kernelINS0_14default_configENS1_38merge_sort_block_merge_config_selectorIlNS0_10empty_typeEEEZZNS1_27merge_sort_block_merge_implIS3_PlPS5_mZN2at6native12_GLOBAL__N_124unique_dim_cuda_templateIjEESt5tupleIJNSA_6TensorESF_SF_EERKSF_lbbbEUlllE_EE10hipError_tT0_T1_T2_jT3_P12ihipStream_tbPNSt15iterator_traitsISL_E10value_typeEPNSR_ISM_E10value_typeEPSN_NS1_7vsmem_tEENKUlT_SL_SM_SN_E_clIS8_S8_S9_S9_EESK_S10_SL_SM_SN_EUlS10_E0_NS1_11comp_targetILNS1_3genE2ELNS1_11target_archE906ELNS1_3gpuE6ELNS1_3repE0EEENS1_38merge_mergepath_config_static_selectorELNS0_4arch9wavefront6targetE0EEEvSM_.uses_vcc, 0
	.set _ZN7rocprim17ROCPRIM_400000_NS6detail17trampoline_kernelINS0_14default_configENS1_38merge_sort_block_merge_config_selectorIlNS0_10empty_typeEEEZZNS1_27merge_sort_block_merge_implIS3_PlPS5_mZN2at6native12_GLOBAL__N_124unique_dim_cuda_templateIjEESt5tupleIJNSA_6TensorESF_SF_EERKSF_lbbbEUlllE_EE10hipError_tT0_T1_T2_jT3_P12ihipStream_tbPNSt15iterator_traitsISL_E10value_typeEPNSR_ISM_E10value_typeEPSN_NS1_7vsmem_tEENKUlT_SL_SM_SN_E_clIS8_S8_S9_S9_EESK_S10_SL_SM_SN_EUlS10_E0_NS1_11comp_targetILNS1_3genE2ELNS1_11target_archE906ELNS1_3gpuE6ELNS1_3repE0EEENS1_38merge_mergepath_config_static_selectorELNS0_4arch9wavefront6targetE0EEEvSM_.uses_flat_scratch, 0
	.set _ZN7rocprim17ROCPRIM_400000_NS6detail17trampoline_kernelINS0_14default_configENS1_38merge_sort_block_merge_config_selectorIlNS0_10empty_typeEEEZZNS1_27merge_sort_block_merge_implIS3_PlPS5_mZN2at6native12_GLOBAL__N_124unique_dim_cuda_templateIjEESt5tupleIJNSA_6TensorESF_SF_EERKSF_lbbbEUlllE_EE10hipError_tT0_T1_T2_jT3_P12ihipStream_tbPNSt15iterator_traitsISL_E10value_typeEPNSR_ISM_E10value_typeEPSN_NS1_7vsmem_tEENKUlT_SL_SM_SN_E_clIS8_S8_S9_S9_EESK_S10_SL_SM_SN_EUlS10_E0_NS1_11comp_targetILNS1_3genE2ELNS1_11target_archE906ELNS1_3gpuE6ELNS1_3repE0EEENS1_38merge_mergepath_config_static_selectorELNS0_4arch9wavefront6targetE0EEEvSM_.has_dyn_sized_stack, 0
	.set _ZN7rocprim17ROCPRIM_400000_NS6detail17trampoline_kernelINS0_14default_configENS1_38merge_sort_block_merge_config_selectorIlNS0_10empty_typeEEEZZNS1_27merge_sort_block_merge_implIS3_PlPS5_mZN2at6native12_GLOBAL__N_124unique_dim_cuda_templateIjEESt5tupleIJNSA_6TensorESF_SF_EERKSF_lbbbEUlllE_EE10hipError_tT0_T1_T2_jT3_P12ihipStream_tbPNSt15iterator_traitsISL_E10value_typeEPNSR_ISM_E10value_typeEPSN_NS1_7vsmem_tEENKUlT_SL_SM_SN_E_clIS8_S8_S9_S9_EESK_S10_SL_SM_SN_EUlS10_E0_NS1_11comp_targetILNS1_3genE2ELNS1_11target_archE906ELNS1_3gpuE6ELNS1_3repE0EEENS1_38merge_mergepath_config_static_selectorELNS0_4arch9wavefront6targetE0EEEvSM_.has_recursion, 0
	.set _ZN7rocprim17ROCPRIM_400000_NS6detail17trampoline_kernelINS0_14default_configENS1_38merge_sort_block_merge_config_selectorIlNS0_10empty_typeEEEZZNS1_27merge_sort_block_merge_implIS3_PlPS5_mZN2at6native12_GLOBAL__N_124unique_dim_cuda_templateIjEESt5tupleIJNSA_6TensorESF_SF_EERKSF_lbbbEUlllE_EE10hipError_tT0_T1_T2_jT3_P12ihipStream_tbPNSt15iterator_traitsISL_E10value_typeEPNSR_ISM_E10value_typeEPSN_NS1_7vsmem_tEENKUlT_SL_SM_SN_E_clIS8_S8_S9_S9_EESK_S10_SL_SM_SN_EUlS10_E0_NS1_11comp_targetILNS1_3genE2ELNS1_11target_archE906ELNS1_3gpuE6ELNS1_3repE0EEENS1_38merge_mergepath_config_static_selectorELNS0_4arch9wavefront6targetE0EEEvSM_.has_indirect_call, 0
	.section	.AMDGPU.csdata,"",@progbits
; Kernel info:
; codeLenInByte = 0
; TotalNumSgprs: 0
; NumVgprs: 0
; ScratchSize: 0
; MemoryBound: 0
; FloatMode: 240
; IeeeMode: 1
; LDSByteSize: 0 bytes/workgroup (compile time only)
; SGPRBlocks: 0
; VGPRBlocks: 0
; NumSGPRsForWavesPerEU: 1
; NumVGPRsForWavesPerEU: 1
; NamedBarCnt: 0
; Occupancy: 16
; WaveLimiterHint : 0
; COMPUTE_PGM_RSRC2:SCRATCH_EN: 0
; COMPUTE_PGM_RSRC2:USER_SGPR: 2
; COMPUTE_PGM_RSRC2:TRAP_HANDLER: 0
; COMPUTE_PGM_RSRC2:TGID_X_EN: 1
; COMPUTE_PGM_RSRC2:TGID_Y_EN: 0
; COMPUTE_PGM_RSRC2:TGID_Z_EN: 0
; COMPUTE_PGM_RSRC2:TIDIG_COMP_CNT: 0
	.section	.text._ZN7rocprim17ROCPRIM_400000_NS6detail17trampoline_kernelINS0_14default_configENS1_38merge_sort_block_merge_config_selectorIlNS0_10empty_typeEEEZZNS1_27merge_sort_block_merge_implIS3_PlPS5_mZN2at6native12_GLOBAL__N_124unique_dim_cuda_templateIjEESt5tupleIJNSA_6TensorESF_SF_EERKSF_lbbbEUlllE_EE10hipError_tT0_T1_T2_jT3_P12ihipStream_tbPNSt15iterator_traitsISL_E10value_typeEPNSR_ISM_E10value_typeEPSN_NS1_7vsmem_tEENKUlT_SL_SM_SN_E_clIS8_S8_S9_S9_EESK_S10_SL_SM_SN_EUlS10_E0_NS1_11comp_targetILNS1_3genE9ELNS1_11target_archE1100ELNS1_3gpuE3ELNS1_3repE0EEENS1_38merge_mergepath_config_static_selectorELNS0_4arch9wavefront6targetE0EEEvSM_,"axG",@progbits,_ZN7rocprim17ROCPRIM_400000_NS6detail17trampoline_kernelINS0_14default_configENS1_38merge_sort_block_merge_config_selectorIlNS0_10empty_typeEEEZZNS1_27merge_sort_block_merge_implIS3_PlPS5_mZN2at6native12_GLOBAL__N_124unique_dim_cuda_templateIjEESt5tupleIJNSA_6TensorESF_SF_EERKSF_lbbbEUlllE_EE10hipError_tT0_T1_T2_jT3_P12ihipStream_tbPNSt15iterator_traitsISL_E10value_typeEPNSR_ISM_E10value_typeEPSN_NS1_7vsmem_tEENKUlT_SL_SM_SN_E_clIS8_S8_S9_S9_EESK_S10_SL_SM_SN_EUlS10_E0_NS1_11comp_targetILNS1_3genE9ELNS1_11target_archE1100ELNS1_3gpuE3ELNS1_3repE0EEENS1_38merge_mergepath_config_static_selectorELNS0_4arch9wavefront6targetE0EEEvSM_,comdat
	.globl	_ZN7rocprim17ROCPRIM_400000_NS6detail17trampoline_kernelINS0_14default_configENS1_38merge_sort_block_merge_config_selectorIlNS0_10empty_typeEEEZZNS1_27merge_sort_block_merge_implIS3_PlPS5_mZN2at6native12_GLOBAL__N_124unique_dim_cuda_templateIjEESt5tupleIJNSA_6TensorESF_SF_EERKSF_lbbbEUlllE_EE10hipError_tT0_T1_T2_jT3_P12ihipStream_tbPNSt15iterator_traitsISL_E10value_typeEPNSR_ISM_E10value_typeEPSN_NS1_7vsmem_tEENKUlT_SL_SM_SN_E_clIS8_S8_S9_S9_EESK_S10_SL_SM_SN_EUlS10_E0_NS1_11comp_targetILNS1_3genE9ELNS1_11target_archE1100ELNS1_3gpuE3ELNS1_3repE0EEENS1_38merge_mergepath_config_static_selectorELNS0_4arch9wavefront6targetE0EEEvSM_ ; -- Begin function _ZN7rocprim17ROCPRIM_400000_NS6detail17trampoline_kernelINS0_14default_configENS1_38merge_sort_block_merge_config_selectorIlNS0_10empty_typeEEEZZNS1_27merge_sort_block_merge_implIS3_PlPS5_mZN2at6native12_GLOBAL__N_124unique_dim_cuda_templateIjEESt5tupleIJNSA_6TensorESF_SF_EERKSF_lbbbEUlllE_EE10hipError_tT0_T1_T2_jT3_P12ihipStream_tbPNSt15iterator_traitsISL_E10value_typeEPNSR_ISM_E10value_typeEPSN_NS1_7vsmem_tEENKUlT_SL_SM_SN_E_clIS8_S8_S9_S9_EESK_S10_SL_SM_SN_EUlS10_E0_NS1_11comp_targetILNS1_3genE9ELNS1_11target_archE1100ELNS1_3gpuE3ELNS1_3repE0EEENS1_38merge_mergepath_config_static_selectorELNS0_4arch9wavefront6targetE0EEEvSM_
	.p2align	8
	.type	_ZN7rocprim17ROCPRIM_400000_NS6detail17trampoline_kernelINS0_14default_configENS1_38merge_sort_block_merge_config_selectorIlNS0_10empty_typeEEEZZNS1_27merge_sort_block_merge_implIS3_PlPS5_mZN2at6native12_GLOBAL__N_124unique_dim_cuda_templateIjEESt5tupleIJNSA_6TensorESF_SF_EERKSF_lbbbEUlllE_EE10hipError_tT0_T1_T2_jT3_P12ihipStream_tbPNSt15iterator_traitsISL_E10value_typeEPNSR_ISM_E10value_typeEPSN_NS1_7vsmem_tEENKUlT_SL_SM_SN_E_clIS8_S8_S9_S9_EESK_S10_SL_SM_SN_EUlS10_E0_NS1_11comp_targetILNS1_3genE9ELNS1_11target_archE1100ELNS1_3gpuE3ELNS1_3repE0EEENS1_38merge_mergepath_config_static_selectorELNS0_4arch9wavefront6targetE0EEEvSM_,@function
_ZN7rocprim17ROCPRIM_400000_NS6detail17trampoline_kernelINS0_14default_configENS1_38merge_sort_block_merge_config_selectorIlNS0_10empty_typeEEEZZNS1_27merge_sort_block_merge_implIS3_PlPS5_mZN2at6native12_GLOBAL__N_124unique_dim_cuda_templateIjEESt5tupleIJNSA_6TensorESF_SF_EERKSF_lbbbEUlllE_EE10hipError_tT0_T1_T2_jT3_P12ihipStream_tbPNSt15iterator_traitsISL_E10value_typeEPNSR_ISM_E10value_typeEPSN_NS1_7vsmem_tEENKUlT_SL_SM_SN_E_clIS8_S8_S9_S9_EESK_S10_SL_SM_SN_EUlS10_E0_NS1_11comp_targetILNS1_3genE9ELNS1_11target_archE1100ELNS1_3gpuE3ELNS1_3repE0EEENS1_38merge_mergepath_config_static_selectorELNS0_4arch9wavefront6targetE0EEEvSM_: ; @_ZN7rocprim17ROCPRIM_400000_NS6detail17trampoline_kernelINS0_14default_configENS1_38merge_sort_block_merge_config_selectorIlNS0_10empty_typeEEEZZNS1_27merge_sort_block_merge_implIS3_PlPS5_mZN2at6native12_GLOBAL__N_124unique_dim_cuda_templateIjEESt5tupleIJNSA_6TensorESF_SF_EERKSF_lbbbEUlllE_EE10hipError_tT0_T1_T2_jT3_P12ihipStream_tbPNSt15iterator_traitsISL_E10value_typeEPNSR_ISM_E10value_typeEPSN_NS1_7vsmem_tEENKUlT_SL_SM_SN_E_clIS8_S8_S9_S9_EESK_S10_SL_SM_SN_EUlS10_E0_NS1_11comp_targetILNS1_3genE9ELNS1_11target_archE1100ELNS1_3gpuE3ELNS1_3repE0EEENS1_38merge_mergepath_config_static_selectorELNS0_4arch9wavefront6targetE0EEEvSM_
; %bb.0:
	.section	.rodata,"a",@progbits
	.p2align	6, 0x0
	.amdhsa_kernel _ZN7rocprim17ROCPRIM_400000_NS6detail17trampoline_kernelINS0_14default_configENS1_38merge_sort_block_merge_config_selectorIlNS0_10empty_typeEEEZZNS1_27merge_sort_block_merge_implIS3_PlPS5_mZN2at6native12_GLOBAL__N_124unique_dim_cuda_templateIjEESt5tupleIJNSA_6TensorESF_SF_EERKSF_lbbbEUlllE_EE10hipError_tT0_T1_T2_jT3_P12ihipStream_tbPNSt15iterator_traitsISL_E10value_typeEPNSR_ISM_E10value_typeEPSN_NS1_7vsmem_tEENKUlT_SL_SM_SN_E_clIS8_S8_S9_S9_EESK_S10_SL_SM_SN_EUlS10_E0_NS1_11comp_targetILNS1_3genE9ELNS1_11target_archE1100ELNS1_3gpuE3ELNS1_3repE0EEENS1_38merge_mergepath_config_static_selectorELNS0_4arch9wavefront6targetE0EEEvSM_
		.amdhsa_group_segment_fixed_size 0
		.amdhsa_private_segment_fixed_size 0
		.amdhsa_kernarg_size 88
		.amdhsa_user_sgpr_count 2
		.amdhsa_user_sgpr_dispatch_ptr 0
		.amdhsa_user_sgpr_queue_ptr 0
		.amdhsa_user_sgpr_kernarg_segment_ptr 1
		.amdhsa_user_sgpr_dispatch_id 0
		.amdhsa_user_sgpr_kernarg_preload_length 0
		.amdhsa_user_sgpr_kernarg_preload_offset 0
		.amdhsa_user_sgpr_private_segment_size 0
		.amdhsa_wavefront_size32 1
		.amdhsa_uses_dynamic_stack 0
		.amdhsa_enable_private_segment 0
		.amdhsa_system_sgpr_workgroup_id_x 1
		.amdhsa_system_sgpr_workgroup_id_y 0
		.amdhsa_system_sgpr_workgroup_id_z 0
		.amdhsa_system_sgpr_workgroup_info 0
		.amdhsa_system_vgpr_workitem_id 0
		.amdhsa_next_free_vgpr 1
		.amdhsa_next_free_sgpr 1
		.amdhsa_named_barrier_count 0
		.amdhsa_reserve_vcc 0
		.amdhsa_float_round_mode_32 0
		.amdhsa_float_round_mode_16_64 0
		.amdhsa_float_denorm_mode_32 3
		.amdhsa_float_denorm_mode_16_64 3
		.amdhsa_fp16_overflow 0
		.amdhsa_memory_ordered 1
		.amdhsa_forward_progress 1
		.amdhsa_inst_pref_size 0
		.amdhsa_round_robin_scheduling 0
		.amdhsa_exception_fp_ieee_invalid_op 0
		.amdhsa_exception_fp_denorm_src 0
		.amdhsa_exception_fp_ieee_div_zero 0
		.amdhsa_exception_fp_ieee_overflow 0
		.amdhsa_exception_fp_ieee_underflow 0
		.amdhsa_exception_fp_ieee_inexact 0
		.amdhsa_exception_int_div_zero 0
	.end_amdhsa_kernel
	.section	.text._ZN7rocprim17ROCPRIM_400000_NS6detail17trampoline_kernelINS0_14default_configENS1_38merge_sort_block_merge_config_selectorIlNS0_10empty_typeEEEZZNS1_27merge_sort_block_merge_implIS3_PlPS5_mZN2at6native12_GLOBAL__N_124unique_dim_cuda_templateIjEESt5tupleIJNSA_6TensorESF_SF_EERKSF_lbbbEUlllE_EE10hipError_tT0_T1_T2_jT3_P12ihipStream_tbPNSt15iterator_traitsISL_E10value_typeEPNSR_ISM_E10value_typeEPSN_NS1_7vsmem_tEENKUlT_SL_SM_SN_E_clIS8_S8_S9_S9_EESK_S10_SL_SM_SN_EUlS10_E0_NS1_11comp_targetILNS1_3genE9ELNS1_11target_archE1100ELNS1_3gpuE3ELNS1_3repE0EEENS1_38merge_mergepath_config_static_selectorELNS0_4arch9wavefront6targetE0EEEvSM_,"axG",@progbits,_ZN7rocprim17ROCPRIM_400000_NS6detail17trampoline_kernelINS0_14default_configENS1_38merge_sort_block_merge_config_selectorIlNS0_10empty_typeEEEZZNS1_27merge_sort_block_merge_implIS3_PlPS5_mZN2at6native12_GLOBAL__N_124unique_dim_cuda_templateIjEESt5tupleIJNSA_6TensorESF_SF_EERKSF_lbbbEUlllE_EE10hipError_tT0_T1_T2_jT3_P12ihipStream_tbPNSt15iterator_traitsISL_E10value_typeEPNSR_ISM_E10value_typeEPSN_NS1_7vsmem_tEENKUlT_SL_SM_SN_E_clIS8_S8_S9_S9_EESK_S10_SL_SM_SN_EUlS10_E0_NS1_11comp_targetILNS1_3genE9ELNS1_11target_archE1100ELNS1_3gpuE3ELNS1_3repE0EEENS1_38merge_mergepath_config_static_selectorELNS0_4arch9wavefront6targetE0EEEvSM_,comdat
.Lfunc_end1506:
	.size	_ZN7rocprim17ROCPRIM_400000_NS6detail17trampoline_kernelINS0_14default_configENS1_38merge_sort_block_merge_config_selectorIlNS0_10empty_typeEEEZZNS1_27merge_sort_block_merge_implIS3_PlPS5_mZN2at6native12_GLOBAL__N_124unique_dim_cuda_templateIjEESt5tupleIJNSA_6TensorESF_SF_EERKSF_lbbbEUlllE_EE10hipError_tT0_T1_T2_jT3_P12ihipStream_tbPNSt15iterator_traitsISL_E10value_typeEPNSR_ISM_E10value_typeEPSN_NS1_7vsmem_tEENKUlT_SL_SM_SN_E_clIS8_S8_S9_S9_EESK_S10_SL_SM_SN_EUlS10_E0_NS1_11comp_targetILNS1_3genE9ELNS1_11target_archE1100ELNS1_3gpuE3ELNS1_3repE0EEENS1_38merge_mergepath_config_static_selectorELNS0_4arch9wavefront6targetE0EEEvSM_, .Lfunc_end1506-_ZN7rocprim17ROCPRIM_400000_NS6detail17trampoline_kernelINS0_14default_configENS1_38merge_sort_block_merge_config_selectorIlNS0_10empty_typeEEEZZNS1_27merge_sort_block_merge_implIS3_PlPS5_mZN2at6native12_GLOBAL__N_124unique_dim_cuda_templateIjEESt5tupleIJNSA_6TensorESF_SF_EERKSF_lbbbEUlllE_EE10hipError_tT0_T1_T2_jT3_P12ihipStream_tbPNSt15iterator_traitsISL_E10value_typeEPNSR_ISM_E10value_typeEPSN_NS1_7vsmem_tEENKUlT_SL_SM_SN_E_clIS8_S8_S9_S9_EESK_S10_SL_SM_SN_EUlS10_E0_NS1_11comp_targetILNS1_3genE9ELNS1_11target_archE1100ELNS1_3gpuE3ELNS1_3repE0EEENS1_38merge_mergepath_config_static_selectorELNS0_4arch9wavefront6targetE0EEEvSM_
                                        ; -- End function
	.set _ZN7rocprim17ROCPRIM_400000_NS6detail17trampoline_kernelINS0_14default_configENS1_38merge_sort_block_merge_config_selectorIlNS0_10empty_typeEEEZZNS1_27merge_sort_block_merge_implIS3_PlPS5_mZN2at6native12_GLOBAL__N_124unique_dim_cuda_templateIjEESt5tupleIJNSA_6TensorESF_SF_EERKSF_lbbbEUlllE_EE10hipError_tT0_T1_T2_jT3_P12ihipStream_tbPNSt15iterator_traitsISL_E10value_typeEPNSR_ISM_E10value_typeEPSN_NS1_7vsmem_tEENKUlT_SL_SM_SN_E_clIS8_S8_S9_S9_EESK_S10_SL_SM_SN_EUlS10_E0_NS1_11comp_targetILNS1_3genE9ELNS1_11target_archE1100ELNS1_3gpuE3ELNS1_3repE0EEENS1_38merge_mergepath_config_static_selectorELNS0_4arch9wavefront6targetE0EEEvSM_.num_vgpr, 0
	.set _ZN7rocprim17ROCPRIM_400000_NS6detail17trampoline_kernelINS0_14default_configENS1_38merge_sort_block_merge_config_selectorIlNS0_10empty_typeEEEZZNS1_27merge_sort_block_merge_implIS3_PlPS5_mZN2at6native12_GLOBAL__N_124unique_dim_cuda_templateIjEESt5tupleIJNSA_6TensorESF_SF_EERKSF_lbbbEUlllE_EE10hipError_tT0_T1_T2_jT3_P12ihipStream_tbPNSt15iterator_traitsISL_E10value_typeEPNSR_ISM_E10value_typeEPSN_NS1_7vsmem_tEENKUlT_SL_SM_SN_E_clIS8_S8_S9_S9_EESK_S10_SL_SM_SN_EUlS10_E0_NS1_11comp_targetILNS1_3genE9ELNS1_11target_archE1100ELNS1_3gpuE3ELNS1_3repE0EEENS1_38merge_mergepath_config_static_selectorELNS0_4arch9wavefront6targetE0EEEvSM_.num_agpr, 0
	.set _ZN7rocprim17ROCPRIM_400000_NS6detail17trampoline_kernelINS0_14default_configENS1_38merge_sort_block_merge_config_selectorIlNS0_10empty_typeEEEZZNS1_27merge_sort_block_merge_implIS3_PlPS5_mZN2at6native12_GLOBAL__N_124unique_dim_cuda_templateIjEESt5tupleIJNSA_6TensorESF_SF_EERKSF_lbbbEUlllE_EE10hipError_tT0_T1_T2_jT3_P12ihipStream_tbPNSt15iterator_traitsISL_E10value_typeEPNSR_ISM_E10value_typeEPSN_NS1_7vsmem_tEENKUlT_SL_SM_SN_E_clIS8_S8_S9_S9_EESK_S10_SL_SM_SN_EUlS10_E0_NS1_11comp_targetILNS1_3genE9ELNS1_11target_archE1100ELNS1_3gpuE3ELNS1_3repE0EEENS1_38merge_mergepath_config_static_selectorELNS0_4arch9wavefront6targetE0EEEvSM_.numbered_sgpr, 0
	.set _ZN7rocprim17ROCPRIM_400000_NS6detail17trampoline_kernelINS0_14default_configENS1_38merge_sort_block_merge_config_selectorIlNS0_10empty_typeEEEZZNS1_27merge_sort_block_merge_implIS3_PlPS5_mZN2at6native12_GLOBAL__N_124unique_dim_cuda_templateIjEESt5tupleIJNSA_6TensorESF_SF_EERKSF_lbbbEUlllE_EE10hipError_tT0_T1_T2_jT3_P12ihipStream_tbPNSt15iterator_traitsISL_E10value_typeEPNSR_ISM_E10value_typeEPSN_NS1_7vsmem_tEENKUlT_SL_SM_SN_E_clIS8_S8_S9_S9_EESK_S10_SL_SM_SN_EUlS10_E0_NS1_11comp_targetILNS1_3genE9ELNS1_11target_archE1100ELNS1_3gpuE3ELNS1_3repE0EEENS1_38merge_mergepath_config_static_selectorELNS0_4arch9wavefront6targetE0EEEvSM_.num_named_barrier, 0
	.set _ZN7rocprim17ROCPRIM_400000_NS6detail17trampoline_kernelINS0_14default_configENS1_38merge_sort_block_merge_config_selectorIlNS0_10empty_typeEEEZZNS1_27merge_sort_block_merge_implIS3_PlPS5_mZN2at6native12_GLOBAL__N_124unique_dim_cuda_templateIjEESt5tupleIJNSA_6TensorESF_SF_EERKSF_lbbbEUlllE_EE10hipError_tT0_T1_T2_jT3_P12ihipStream_tbPNSt15iterator_traitsISL_E10value_typeEPNSR_ISM_E10value_typeEPSN_NS1_7vsmem_tEENKUlT_SL_SM_SN_E_clIS8_S8_S9_S9_EESK_S10_SL_SM_SN_EUlS10_E0_NS1_11comp_targetILNS1_3genE9ELNS1_11target_archE1100ELNS1_3gpuE3ELNS1_3repE0EEENS1_38merge_mergepath_config_static_selectorELNS0_4arch9wavefront6targetE0EEEvSM_.private_seg_size, 0
	.set _ZN7rocprim17ROCPRIM_400000_NS6detail17trampoline_kernelINS0_14default_configENS1_38merge_sort_block_merge_config_selectorIlNS0_10empty_typeEEEZZNS1_27merge_sort_block_merge_implIS3_PlPS5_mZN2at6native12_GLOBAL__N_124unique_dim_cuda_templateIjEESt5tupleIJNSA_6TensorESF_SF_EERKSF_lbbbEUlllE_EE10hipError_tT0_T1_T2_jT3_P12ihipStream_tbPNSt15iterator_traitsISL_E10value_typeEPNSR_ISM_E10value_typeEPSN_NS1_7vsmem_tEENKUlT_SL_SM_SN_E_clIS8_S8_S9_S9_EESK_S10_SL_SM_SN_EUlS10_E0_NS1_11comp_targetILNS1_3genE9ELNS1_11target_archE1100ELNS1_3gpuE3ELNS1_3repE0EEENS1_38merge_mergepath_config_static_selectorELNS0_4arch9wavefront6targetE0EEEvSM_.uses_vcc, 0
	.set _ZN7rocprim17ROCPRIM_400000_NS6detail17trampoline_kernelINS0_14default_configENS1_38merge_sort_block_merge_config_selectorIlNS0_10empty_typeEEEZZNS1_27merge_sort_block_merge_implIS3_PlPS5_mZN2at6native12_GLOBAL__N_124unique_dim_cuda_templateIjEESt5tupleIJNSA_6TensorESF_SF_EERKSF_lbbbEUlllE_EE10hipError_tT0_T1_T2_jT3_P12ihipStream_tbPNSt15iterator_traitsISL_E10value_typeEPNSR_ISM_E10value_typeEPSN_NS1_7vsmem_tEENKUlT_SL_SM_SN_E_clIS8_S8_S9_S9_EESK_S10_SL_SM_SN_EUlS10_E0_NS1_11comp_targetILNS1_3genE9ELNS1_11target_archE1100ELNS1_3gpuE3ELNS1_3repE0EEENS1_38merge_mergepath_config_static_selectorELNS0_4arch9wavefront6targetE0EEEvSM_.uses_flat_scratch, 0
	.set _ZN7rocprim17ROCPRIM_400000_NS6detail17trampoline_kernelINS0_14default_configENS1_38merge_sort_block_merge_config_selectorIlNS0_10empty_typeEEEZZNS1_27merge_sort_block_merge_implIS3_PlPS5_mZN2at6native12_GLOBAL__N_124unique_dim_cuda_templateIjEESt5tupleIJNSA_6TensorESF_SF_EERKSF_lbbbEUlllE_EE10hipError_tT0_T1_T2_jT3_P12ihipStream_tbPNSt15iterator_traitsISL_E10value_typeEPNSR_ISM_E10value_typeEPSN_NS1_7vsmem_tEENKUlT_SL_SM_SN_E_clIS8_S8_S9_S9_EESK_S10_SL_SM_SN_EUlS10_E0_NS1_11comp_targetILNS1_3genE9ELNS1_11target_archE1100ELNS1_3gpuE3ELNS1_3repE0EEENS1_38merge_mergepath_config_static_selectorELNS0_4arch9wavefront6targetE0EEEvSM_.has_dyn_sized_stack, 0
	.set _ZN7rocprim17ROCPRIM_400000_NS6detail17trampoline_kernelINS0_14default_configENS1_38merge_sort_block_merge_config_selectorIlNS0_10empty_typeEEEZZNS1_27merge_sort_block_merge_implIS3_PlPS5_mZN2at6native12_GLOBAL__N_124unique_dim_cuda_templateIjEESt5tupleIJNSA_6TensorESF_SF_EERKSF_lbbbEUlllE_EE10hipError_tT0_T1_T2_jT3_P12ihipStream_tbPNSt15iterator_traitsISL_E10value_typeEPNSR_ISM_E10value_typeEPSN_NS1_7vsmem_tEENKUlT_SL_SM_SN_E_clIS8_S8_S9_S9_EESK_S10_SL_SM_SN_EUlS10_E0_NS1_11comp_targetILNS1_3genE9ELNS1_11target_archE1100ELNS1_3gpuE3ELNS1_3repE0EEENS1_38merge_mergepath_config_static_selectorELNS0_4arch9wavefront6targetE0EEEvSM_.has_recursion, 0
	.set _ZN7rocprim17ROCPRIM_400000_NS6detail17trampoline_kernelINS0_14default_configENS1_38merge_sort_block_merge_config_selectorIlNS0_10empty_typeEEEZZNS1_27merge_sort_block_merge_implIS3_PlPS5_mZN2at6native12_GLOBAL__N_124unique_dim_cuda_templateIjEESt5tupleIJNSA_6TensorESF_SF_EERKSF_lbbbEUlllE_EE10hipError_tT0_T1_T2_jT3_P12ihipStream_tbPNSt15iterator_traitsISL_E10value_typeEPNSR_ISM_E10value_typeEPSN_NS1_7vsmem_tEENKUlT_SL_SM_SN_E_clIS8_S8_S9_S9_EESK_S10_SL_SM_SN_EUlS10_E0_NS1_11comp_targetILNS1_3genE9ELNS1_11target_archE1100ELNS1_3gpuE3ELNS1_3repE0EEENS1_38merge_mergepath_config_static_selectorELNS0_4arch9wavefront6targetE0EEEvSM_.has_indirect_call, 0
	.section	.AMDGPU.csdata,"",@progbits
; Kernel info:
; codeLenInByte = 0
; TotalNumSgprs: 0
; NumVgprs: 0
; ScratchSize: 0
; MemoryBound: 0
; FloatMode: 240
; IeeeMode: 1
; LDSByteSize: 0 bytes/workgroup (compile time only)
; SGPRBlocks: 0
; VGPRBlocks: 0
; NumSGPRsForWavesPerEU: 1
; NumVGPRsForWavesPerEU: 1
; NamedBarCnt: 0
; Occupancy: 16
; WaveLimiterHint : 0
; COMPUTE_PGM_RSRC2:SCRATCH_EN: 0
; COMPUTE_PGM_RSRC2:USER_SGPR: 2
; COMPUTE_PGM_RSRC2:TRAP_HANDLER: 0
; COMPUTE_PGM_RSRC2:TGID_X_EN: 1
; COMPUTE_PGM_RSRC2:TGID_Y_EN: 0
; COMPUTE_PGM_RSRC2:TGID_Z_EN: 0
; COMPUTE_PGM_RSRC2:TIDIG_COMP_CNT: 0
	.section	.text._ZN7rocprim17ROCPRIM_400000_NS6detail17trampoline_kernelINS0_14default_configENS1_38merge_sort_block_merge_config_selectorIlNS0_10empty_typeEEEZZNS1_27merge_sort_block_merge_implIS3_PlPS5_mZN2at6native12_GLOBAL__N_124unique_dim_cuda_templateIjEESt5tupleIJNSA_6TensorESF_SF_EERKSF_lbbbEUlllE_EE10hipError_tT0_T1_T2_jT3_P12ihipStream_tbPNSt15iterator_traitsISL_E10value_typeEPNSR_ISM_E10value_typeEPSN_NS1_7vsmem_tEENKUlT_SL_SM_SN_E_clIS8_S8_S9_S9_EESK_S10_SL_SM_SN_EUlS10_E0_NS1_11comp_targetILNS1_3genE8ELNS1_11target_archE1030ELNS1_3gpuE2ELNS1_3repE0EEENS1_38merge_mergepath_config_static_selectorELNS0_4arch9wavefront6targetE0EEEvSM_,"axG",@progbits,_ZN7rocprim17ROCPRIM_400000_NS6detail17trampoline_kernelINS0_14default_configENS1_38merge_sort_block_merge_config_selectorIlNS0_10empty_typeEEEZZNS1_27merge_sort_block_merge_implIS3_PlPS5_mZN2at6native12_GLOBAL__N_124unique_dim_cuda_templateIjEESt5tupleIJNSA_6TensorESF_SF_EERKSF_lbbbEUlllE_EE10hipError_tT0_T1_T2_jT3_P12ihipStream_tbPNSt15iterator_traitsISL_E10value_typeEPNSR_ISM_E10value_typeEPSN_NS1_7vsmem_tEENKUlT_SL_SM_SN_E_clIS8_S8_S9_S9_EESK_S10_SL_SM_SN_EUlS10_E0_NS1_11comp_targetILNS1_3genE8ELNS1_11target_archE1030ELNS1_3gpuE2ELNS1_3repE0EEENS1_38merge_mergepath_config_static_selectorELNS0_4arch9wavefront6targetE0EEEvSM_,comdat
	.globl	_ZN7rocprim17ROCPRIM_400000_NS6detail17trampoline_kernelINS0_14default_configENS1_38merge_sort_block_merge_config_selectorIlNS0_10empty_typeEEEZZNS1_27merge_sort_block_merge_implIS3_PlPS5_mZN2at6native12_GLOBAL__N_124unique_dim_cuda_templateIjEESt5tupleIJNSA_6TensorESF_SF_EERKSF_lbbbEUlllE_EE10hipError_tT0_T1_T2_jT3_P12ihipStream_tbPNSt15iterator_traitsISL_E10value_typeEPNSR_ISM_E10value_typeEPSN_NS1_7vsmem_tEENKUlT_SL_SM_SN_E_clIS8_S8_S9_S9_EESK_S10_SL_SM_SN_EUlS10_E0_NS1_11comp_targetILNS1_3genE8ELNS1_11target_archE1030ELNS1_3gpuE2ELNS1_3repE0EEENS1_38merge_mergepath_config_static_selectorELNS0_4arch9wavefront6targetE0EEEvSM_ ; -- Begin function _ZN7rocprim17ROCPRIM_400000_NS6detail17trampoline_kernelINS0_14default_configENS1_38merge_sort_block_merge_config_selectorIlNS0_10empty_typeEEEZZNS1_27merge_sort_block_merge_implIS3_PlPS5_mZN2at6native12_GLOBAL__N_124unique_dim_cuda_templateIjEESt5tupleIJNSA_6TensorESF_SF_EERKSF_lbbbEUlllE_EE10hipError_tT0_T1_T2_jT3_P12ihipStream_tbPNSt15iterator_traitsISL_E10value_typeEPNSR_ISM_E10value_typeEPSN_NS1_7vsmem_tEENKUlT_SL_SM_SN_E_clIS8_S8_S9_S9_EESK_S10_SL_SM_SN_EUlS10_E0_NS1_11comp_targetILNS1_3genE8ELNS1_11target_archE1030ELNS1_3gpuE2ELNS1_3repE0EEENS1_38merge_mergepath_config_static_selectorELNS0_4arch9wavefront6targetE0EEEvSM_
	.p2align	8
	.type	_ZN7rocprim17ROCPRIM_400000_NS6detail17trampoline_kernelINS0_14default_configENS1_38merge_sort_block_merge_config_selectorIlNS0_10empty_typeEEEZZNS1_27merge_sort_block_merge_implIS3_PlPS5_mZN2at6native12_GLOBAL__N_124unique_dim_cuda_templateIjEESt5tupleIJNSA_6TensorESF_SF_EERKSF_lbbbEUlllE_EE10hipError_tT0_T1_T2_jT3_P12ihipStream_tbPNSt15iterator_traitsISL_E10value_typeEPNSR_ISM_E10value_typeEPSN_NS1_7vsmem_tEENKUlT_SL_SM_SN_E_clIS8_S8_S9_S9_EESK_S10_SL_SM_SN_EUlS10_E0_NS1_11comp_targetILNS1_3genE8ELNS1_11target_archE1030ELNS1_3gpuE2ELNS1_3repE0EEENS1_38merge_mergepath_config_static_selectorELNS0_4arch9wavefront6targetE0EEEvSM_,@function
_ZN7rocprim17ROCPRIM_400000_NS6detail17trampoline_kernelINS0_14default_configENS1_38merge_sort_block_merge_config_selectorIlNS0_10empty_typeEEEZZNS1_27merge_sort_block_merge_implIS3_PlPS5_mZN2at6native12_GLOBAL__N_124unique_dim_cuda_templateIjEESt5tupleIJNSA_6TensorESF_SF_EERKSF_lbbbEUlllE_EE10hipError_tT0_T1_T2_jT3_P12ihipStream_tbPNSt15iterator_traitsISL_E10value_typeEPNSR_ISM_E10value_typeEPSN_NS1_7vsmem_tEENKUlT_SL_SM_SN_E_clIS8_S8_S9_S9_EESK_S10_SL_SM_SN_EUlS10_E0_NS1_11comp_targetILNS1_3genE8ELNS1_11target_archE1030ELNS1_3gpuE2ELNS1_3repE0EEENS1_38merge_mergepath_config_static_selectorELNS0_4arch9wavefront6targetE0EEEvSM_: ; @_ZN7rocprim17ROCPRIM_400000_NS6detail17trampoline_kernelINS0_14default_configENS1_38merge_sort_block_merge_config_selectorIlNS0_10empty_typeEEEZZNS1_27merge_sort_block_merge_implIS3_PlPS5_mZN2at6native12_GLOBAL__N_124unique_dim_cuda_templateIjEESt5tupleIJNSA_6TensorESF_SF_EERKSF_lbbbEUlllE_EE10hipError_tT0_T1_T2_jT3_P12ihipStream_tbPNSt15iterator_traitsISL_E10value_typeEPNSR_ISM_E10value_typeEPSN_NS1_7vsmem_tEENKUlT_SL_SM_SN_E_clIS8_S8_S9_S9_EESK_S10_SL_SM_SN_EUlS10_E0_NS1_11comp_targetILNS1_3genE8ELNS1_11target_archE1030ELNS1_3gpuE2ELNS1_3repE0EEENS1_38merge_mergepath_config_static_selectorELNS0_4arch9wavefront6targetE0EEEvSM_
; %bb.0:
	.section	.rodata,"a",@progbits
	.p2align	6, 0x0
	.amdhsa_kernel _ZN7rocprim17ROCPRIM_400000_NS6detail17trampoline_kernelINS0_14default_configENS1_38merge_sort_block_merge_config_selectorIlNS0_10empty_typeEEEZZNS1_27merge_sort_block_merge_implIS3_PlPS5_mZN2at6native12_GLOBAL__N_124unique_dim_cuda_templateIjEESt5tupleIJNSA_6TensorESF_SF_EERKSF_lbbbEUlllE_EE10hipError_tT0_T1_T2_jT3_P12ihipStream_tbPNSt15iterator_traitsISL_E10value_typeEPNSR_ISM_E10value_typeEPSN_NS1_7vsmem_tEENKUlT_SL_SM_SN_E_clIS8_S8_S9_S9_EESK_S10_SL_SM_SN_EUlS10_E0_NS1_11comp_targetILNS1_3genE8ELNS1_11target_archE1030ELNS1_3gpuE2ELNS1_3repE0EEENS1_38merge_mergepath_config_static_selectorELNS0_4arch9wavefront6targetE0EEEvSM_
		.amdhsa_group_segment_fixed_size 0
		.amdhsa_private_segment_fixed_size 0
		.amdhsa_kernarg_size 88
		.amdhsa_user_sgpr_count 2
		.amdhsa_user_sgpr_dispatch_ptr 0
		.amdhsa_user_sgpr_queue_ptr 0
		.amdhsa_user_sgpr_kernarg_segment_ptr 1
		.amdhsa_user_sgpr_dispatch_id 0
		.amdhsa_user_sgpr_kernarg_preload_length 0
		.amdhsa_user_sgpr_kernarg_preload_offset 0
		.amdhsa_user_sgpr_private_segment_size 0
		.amdhsa_wavefront_size32 1
		.amdhsa_uses_dynamic_stack 0
		.amdhsa_enable_private_segment 0
		.amdhsa_system_sgpr_workgroup_id_x 1
		.amdhsa_system_sgpr_workgroup_id_y 0
		.amdhsa_system_sgpr_workgroup_id_z 0
		.amdhsa_system_sgpr_workgroup_info 0
		.amdhsa_system_vgpr_workitem_id 0
		.amdhsa_next_free_vgpr 1
		.amdhsa_next_free_sgpr 1
		.amdhsa_named_barrier_count 0
		.amdhsa_reserve_vcc 0
		.amdhsa_float_round_mode_32 0
		.amdhsa_float_round_mode_16_64 0
		.amdhsa_float_denorm_mode_32 3
		.amdhsa_float_denorm_mode_16_64 3
		.amdhsa_fp16_overflow 0
		.amdhsa_memory_ordered 1
		.amdhsa_forward_progress 1
		.amdhsa_inst_pref_size 0
		.amdhsa_round_robin_scheduling 0
		.amdhsa_exception_fp_ieee_invalid_op 0
		.amdhsa_exception_fp_denorm_src 0
		.amdhsa_exception_fp_ieee_div_zero 0
		.amdhsa_exception_fp_ieee_overflow 0
		.amdhsa_exception_fp_ieee_underflow 0
		.amdhsa_exception_fp_ieee_inexact 0
		.amdhsa_exception_int_div_zero 0
	.end_amdhsa_kernel
	.section	.text._ZN7rocprim17ROCPRIM_400000_NS6detail17trampoline_kernelINS0_14default_configENS1_38merge_sort_block_merge_config_selectorIlNS0_10empty_typeEEEZZNS1_27merge_sort_block_merge_implIS3_PlPS5_mZN2at6native12_GLOBAL__N_124unique_dim_cuda_templateIjEESt5tupleIJNSA_6TensorESF_SF_EERKSF_lbbbEUlllE_EE10hipError_tT0_T1_T2_jT3_P12ihipStream_tbPNSt15iterator_traitsISL_E10value_typeEPNSR_ISM_E10value_typeEPSN_NS1_7vsmem_tEENKUlT_SL_SM_SN_E_clIS8_S8_S9_S9_EESK_S10_SL_SM_SN_EUlS10_E0_NS1_11comp_targetILNS1_3genE8ELNS1_11target_archE1030ELNS1_3gpuE2ELNS1_3repE0EEENS1_38merge_mergepath_config_static_selectorELNS0_4arch9wavefront6targetE0EEEvSM_,"axG",@progbits,_ZN7rocprim17ROCPRIM_400000_NS6detail17trampoline_kernelINS0_14default_configENS1_38merge_sort_block_merge_config_selectorIlNS0_10empty_typeEEEZZNS1_27merge_sort_block_merge_implIS3_PlPS5_mZN2at6native12_GLOBAL__N_124unique_dim_cuda_templateIjEESt5tupleIJNSA_6TensorESF_SF_EERKSF_lbbbEUlllE_EE10hipError_tT0_T1_T2_jT3_P12ihipStream_tbPNSt15iterator_traitsISL_E10value_typeEPNSR_ISM_E10value_typeEPSN_NS1_7vsmem_tEENKUlT_SL_SM_SN_E_clIS8_S8_S9_S9_EESK_S10_SL_SM_SN_EUlS10_E0_NS1_11comp_targetILNS1_3genE8ELNS1_11target_archE1030ELNS1_3gpuE2ELNS1_3repE0EEENS1_38merge_mergepath_config_static_selectorELNS0_4arch9wavefront6targetE0EEEvSM_,comdat
.Lfunc_end1507:
	.size	_ZN7rocprim17ROCPRIM_400000_NS6detail17trampoline_kernelINS0_14default_configENS1_38merge_sort_block_merge_config_selectorIlNS0_10empty_typeEEEZZNS1_27merge_sort_block_merge_implIS3_PlPS5_mZN2at6native12_GLOBAL__N_124unique_dim_cuda_templateIjEESt5tupleIJNSA_6TensorESF_SF_EERKSF_lbbbEUlllE_EE10hipError_tT0_T1_T2_jT3_P12ihipStream_tbPNSt15iterator_traitsISL_E10value_typeEPNSR_ISM_E10value_typeEPSN_NS1_7vsmem_tEENKUlT_SL_SM_SN_E_clIS8_S8_S9_S9_EESK_S10_SL_SM_SN_EUlS10_E0_NS1_11comp_targetILNS1_3genE8ELNS1_11target_archE1030ELNS1_3gpuE2ELNS1_3repE0EEENS1_38merge_mergepath_config_static_selectorELNS0_4arch9wavefront6targetE0EEEvSM_, .Lfunc_end1507-_ZN7rocprim17ROCPRIM_400000_NS6detail17trampoline_kernelINS0_14default_configENS1_38merge_sort_block_merge_config_selectorIlNS0_10empty_typeEEEZZNS1_27merge_sort_block_merge_implIS3_PlPS5_mZN2at6native12_GLOBAL__N_124unique_dim_cuda_templateIjEESt5tupleIJNSA_6TensorESF_SF_EERKSF_lbbbEUlllE_EE10hipError_tT0_T1_T2_jT3_P12ihipStream_tbPNSt15iterator_traitsISL_E10value_typeEPNSR_ISM_E10value_typeEPSN_NS1_7vsmem_tEENKUlT_SL_SM_SN_E_clIS8_S8_S9_S9_EESK_S10_SL_SM_SN_EUlS10_E0_NS1_11comp_targetILNS1_3genE8ELNS1_11target_archE1030ELNS1_3gpuE2ELNS1_3repE0EEENS1_38merge_mergepath_config_static_selectorELNS0_4arch9wavefront6targetE0EEEvSM_
                                        ; -- End function
	.set _ZN7rocprim17ROCPRIM_400000_NS6detail17trampoline_kernelINS0_14default_configENS1_38merge_sort_block_merge_config_selectorIlNS0_10empty_typeEEEZZNS1_27merge_sort_block_merge_implIS3_PlPS5_mZN2at6native12_GLOBAL__N_124unique_dim_cuda_templateIjEESt5tupleIJNSA_6TensorESF_SF_EERKSF_lbbbEUlllE_EE10hipError_tT0_T1_T2_jT3_P12ihipStream_tbPNSt15iterator_traitsISL_E10value_typeEPNSR_ISM_E10value_typeEPSN_NS1_7vsmem_tEENKUlT_SL_SM_SN_E_clIS8_S8_S9_S9_EESK_S10_SL_SM_SN_EUlS10_E0_NS1_11comp_targetILNS1_3genE8ELNS1_11target_archE1030ELNS1_3gpuE2ELNS1_3repE0EEENS1_38merge_mergepath_config_static_selectorELNS0_4arch9wavefront6targetE0EEEvSM_.num_vgpr, 0
	.set _ZN7rocprim17ROCPRIM_400000_NS6detail17trampoline_kernelINS0_14default_configENS1_38merge_sort_block_merge_config_selectorIlNS0_10empty_typeEEEZZNS1_27merge_sort_block_merge_implIS3_PlPS5_mZN2at6native12_GLOBAL__N_124unique_dim_cuda_templateIjEESt5tupleIJNSA_6TensorESF_SF_EERKSF_lbbbEUlllE_EE10hipError_tT0_T1_T2_jT3_P12ihipStream_tbPNSt15iterator_traitsISL_E10value_typeEPNSR_ISM_E10value_typeEPSN_NS1_7vsmem_tEENKUlT_SL_SM_SN_E_clIS8_S8_S9_S9_EESK_S10_SL_SM_SN_EUlS10_E0_NS1_11comp_targetILNS1_3genE8ELNS1_11target_archE1030ELNS1_3gpuE2ELNS1_3repE0EEENS1_38merge_mergepath_config_static_selectorELNS0_4arch9wavefront6targetE0EEEvSM_.num_agpr, 0
	.set _ZN7rocprim17ROCPRIM_400000_NS6detail17trampoline_kernelINS0_14default_configENS1_38merge_sort_block_merge_config_selectorIlNS0_10empty_typeEEEZZNS1_27merge_sort_block_merge_implIS3_PlPS5_mZN2at6native12_GLOBAL__N_124unique_dim_cuda_templateIjEESt5tupleIJNSA_6TensorESF_SF_EERKSF_lbbbEUlllE_EE10hipError_tT0_T1_T2_jT3_P12ihipStream_tbPNSt15iterator_traitsISL_E10value_typeEPNSR_ISM_E10value_typeEPSN_NS1_7vsmem_tEENKUlT_SL_SM_SN_E_clIS8_S8_S9_S9_EESK_S10_SL_SM_SN_EUlS10_E0_NS1_11comp_targetILNS1_3genE8ELNS1_11target_archE1030ELNS1_3gpuE2ELNS1_3repE0EEENS1_38merge_mergepath_config_static_selectorELNS0_4arch9wavefront6targetE0EEEvSM_.numbered_sgpr, 0
	.set _ZN7rocprim17ROCPRIM_400000_NS6detail17trampoline_kernelINS0_14default_configENS1_38merge_sort_block_merge_config_selectorIlNS0_10empty_typeEEEZZNS1_27merge_sort_block_merge_implIS3_PlPS5_mZN2at6native12_GLOBAL__N_124unique_dim_cuda_templateIjEESt5tupleIJNSA_6TensorESF_SF_EERKSF_lbbbEUlllE_EE10hipError_tT0_T1_T2_jT3_P12ihipStream_tbPNSt15iterator_traitsISL_E10value_typeEPNSR_ISM_E10value_typeEPSN_NS1_7vsmem_tEENKUlT_SL_SM_SN_E_clIS8_S8_S9_S9_EESK_S10_SL_SM_SN_EUlS10_E0_NS1_11comp_targetILNS1_3genE8ELNS1_11target_archE1030ELNS1_3gpuE2ELNS1_3repE0EEENS1_38merge_mergepath_config_static_selectorELNS0_4arch9wavefront6targetE0EEEvSM_.num_named_barrier, 0
	.set _ZN7rocprim17ROCPRIM_400000_NS6detail17trampoline_kernelINS0_14default_configENS1_38merge_sort_block_merge_config_selectorIlNS0_10empty_typeEEEZZNS1_27merge_sort_block_merge_implIS3_PlPS5_mZN2at6native12_GLOBAL__N_124unique_dim_cuda_templateIjEESt5tupleIJNSA_6TensorESF_SF_EERKSF_lbbbEUlllE_EE10hipError_tT0_T1_T2_jT3_P12ihipStream_tbPNSt15iterator_traitsISL_E10value_typeEPNSR_ISM_E10value_typeEPSN_NS1_7vsmem_tEENKUlT_SL_SM_SN_E_clIS8_S8_S9_S9_EESK_S10_SL_SM_SN_EUlS10_E0_NS1_11comp_targetILNS1_3genE8ELNS1_11target_archE1030ELNS1_3gpuE2ELNS1_3repE0EEENS1_38merge_mergepath_config_static_selectorELNS0_4arch9wavefront6targetE0EEEvSM_.private_seg_size, 0
	.set _ZN7rocprim17ROCPRIM_400000_NS6detail17trampoline_kernelINS0_14default_configENS1_38merge_sort_block_merge_config_selectorIlNS0_10empty_typeEEEZZNS1_27merge_sort_block_merge_implIS3_PlPS5_mZN2at6native12_GLOBAL__N_124unique_dim_cuda_templateIjEESt5tupleIJNSA_6TensorESF_SF_EERKSF_lbbbEUlllE_EE10hipError_tT0_T1_T2_jT3_P12ihipStream_tbPNSt15iterator_traitsISL_E10value_typeEPNSR_ISM_E10value_typeEPSN_NS1_7vsmem_tEENKUlT_SL_SM_SN_E_clIS8_S8_S9_S9_EESK_S10_SL_SM_SN_EUlS10_E0_NS1_11comp_targetILNS1_3genE8ELNS1_11target_archE1030ELNS1_3gpuE2ELNS1_3repE0EEENS1_38merge_mergepath_config_static_selectorELNS0_4arch9wavefront6targetE0EEEvSM_.uses_vcc, 0
	.set _ZN7rocprim17ROCPRIM_400000_NS6detail17trampoline_kernelINS0_14default_configENS1_38merge_sort_block_merge_config_selectorIlNS0_10empty_typeEEEZZNS1_27merge_sort_block_merge_implIS3_PlPS5_mZN2at6native12_GLOBAL__N_124unique_dim_cuda_templateIjEESt5tupleIJNSA_6TensorESF_SF_EERKSF_lbbbEUlllE_EE10hipError_tT0_T1_T2_jT3_P12ihipStream_tbPNSt15iterator_traitsISL_E10value_typeEPNSR_ISM_E10value_typeEPSN_NS1_7vsmem_tEENKUlT_SL_SM_SN_E_clIS8_S8_S9_S9_EESK_S10_SL_SM_SN_EUlS10_E0_NS1_11comp_targetILNS1_3genE8ELNS1_11target_archE1030ELNS1_3gpuE2ELNS1_3repE0EEENS1_38merge_mergepath_config_static_selectorELNS0_4arch9wavefront6targetE0EEEvSM_.uses_flat_scratch, 0
	.set _ZN7rocprim17ROCPRIM_400000_NS6detail17trampoline_kernelINS0_14default_configENS1_38merge_sort_block_merge_config_selectorIlNS0_10empty_typeEEEZZNS1_27merge_sort_block_merge_implIS3_PlPS5_mZN2at6native12_GLOBAL__N_124unique_dim_cuda_templateIjEESt5tupleIJNSA_6TensorESF_SF_EERKSF_lbbbEUlllE_EE10hipError_tT0_T1_T2_jT3_P12ihipStream_tbPNSt15iterator_traitsISL_E10value_typeEPNSR_ISM_E10value_typeEPSN_NS1_7vsmem_tEENKUlT_SL_SM_SN_E_clIS8_S8_S9_S9_EESK_S10_SL_SM_SN_EUlS10_E0_NS1_11comp_targetILNS1_3genE8ELNS1_11target_archE1030ELNS1_3gpuE2ELNS1_3repE0EEENS1_38merge_mergepath_config_static_selectorELNS0_4arch9wavefront6targetE0EEEvSM_.has_dyn_sized_stack, 0
	.set _ZN7rocprim17ROCPRIM_400000_NS6detail17trampoline_kernelINS0_14default_configENS1_38merge_sort_block_merge_config_selectorIlNS0_10empty_typeEEEZZNS1_27merge_sort_block_merge_implIS3_PlPS5_mZN2at6native12_GLOBAL__N_124unique_dim_cuda_templateIjEESt5tupleIJNSA_6TensorESF_SF_EERKSF_lbbbEUlllE_EE10hipError_tT0_T1_T2_jT3_P12ihipStream_tbPNSt15iterator_traitsISL_E10value_typeEPNSR_ISM_E10value_typeEPSN_NS1_7vsmem_tEENKUlT_SL_SM_SN_E_clIS8_S8_S9_S9_EESK_S10_SL_SM_SN_EUlS10_E0_NS1_11comp_targetILNS1_3genE8ELNS1_11target_archE1030ELNS1_3gpuE2ELNS1_3repE0EEENS1_38merge_mergepath_config_static_selectorELNS0_4arch9wavefront6targetE0EEEvSM_.has_recursion, 0
	.set _ZN7rocprim17ROCPRIM_400000_NS6detail17trampoline_kernelINS0_14default_configENS1_38merge_sort_block_merge_config_selectorIlNS0_10empty_typeEEEZZNS1_27merge_sort_block_merge_implIS3_PlPS5_mZN2at6native12_GLOBAL__N_124unique_dim_cuda_templateIjEESt5tupleIJNSA_6TensorESF_SF_EERKSF_lbbbEUlllE_EE10hipError_tT0_T1_T2_jT3_P12ihipStream_tbPNSt15iterator_traitsISL_E10value_typeEPNSR_ISM_E10value_typeEPSN_NS1_7vsmem_tEENKUlT_SL_SM_SN_E_clIS8_S8_S9_S9_EESK_S10_SL_SM_SN_EUlS10_E0_NS1_11comp_targetILNS1_3genE8ELNS1_11target_archE1030ELNS1_3gpuE2ELNS1_3repE0EEENS1_38merge_mergepath_config_static_selectorELNS0_4arch9wavefront6targetE0EEEvSM_.has_indirect_call, 0
	.section	.AMDGPU.csdata,"",@progbits
; Kernel info:
; codeLenInByte = 0
; TotalNumSgprs: 0
; NumVgprs: 0
; ScratchSize: 0
; MemoryBound: 0
; FloatMode: 240
; IeeeMode: 1
; LDSByteSize: 0 bytes/workgroup (compile time only)
; SGPRBlocks: 0
; VGPRBlocks: 0
; NumSGPRsForWavesPerEU: 1
; NumVGPRsForWavesPerEU: 1
; NamedBarCnt: 0
; Occupancy: 16
; WaveLimiterHint : 0
; COMPUTE_PGM_RSRC2:SCRATCH_EN: 0
; COMPUTE_PGM_RSRC2:USER_SGPR: 2
; COMPUTE_PGM_RSRC2:TRAP_HANDLER: 0
; COMPUTE_PGM_RSRC2:TGID_X_EN: 1
; COMPUTE_PGM_RSRC2:TGID_Y_EN: 0
; COMPUTE_PGM_RSRC2:TGID_Z_EN: 0
; COMPUTE_PGM_RSRC2:TIDIG_COMP_CNT: 0
	.section	.text._ZN7rocprim17ROCPRIM_400000_NS6detail17trampoline_kernelINS0_14default_configENS1_38merge_sort_block_merge_config_selectorIlNS0_10empty_typeEEEZZNS1_27merge_sort_block_merge_implIS3_PlPS5_mZN2at6native12_GLOBAL__N_124unique_dim_cuda_templateIjEESt5tupleIJNSA_6TensorESF_SF_EERKSF_lbbbEUlllE_EE10hipError_tT0_T1_T2_jT3_P12ihipStream_tbPNSt15iterator_traitsISL_E10value_typeEPNSR_ISM_E10value_typeEPSN_NS1_7vsmem_tEENKUlT_SL_SM_SN_E_clIS8_S8_S9_S9_EESK_S10_SL_SM_SN_EUlS10_E1_NS1_11comp_targetILNS1_3genE0ELNS1_11target_archE4294967295ELNS1_3gpuE0ELNS1_3repE0EEENS1_36merge_oddeven_config_static_selectorELNS0_4arch9wavefront6targetE0EEEvSM_,"axG",@progbits,_ZN7rocprim17ROCPRIM_400000_NS6detail17trampoline_kernelINS0_14default_configENS1_38merge_sort_block_merge_config_selectorIlNS0_10empty_typeEEEZZNS1_27merge_sort_block_merge_implIS3_PlPS5_mZN2at6native12_GLOBAL__N_124unique_dim_cuda_templateIjEESt5tupleIJNSA_6TensorESF_SF_EERKSF_lbbbEUlllE_EE10hipError_tT0_T1_T2_jT3_P12ihipStream_tbPNSt15iterator_traitsISL_E10value_typeEPNSR_ISM_E10value_typeEPSN_NS1_7vsmem_tEENKUlT_SL_SM_SN_E_clIS8_S8_S9_S9_EESK_S10_SL_SM_SN_EUlS10_E1_NS1_11comp_targetILNS1_3genE0ELNS1_11target_archE4294967295ELNS1_3gpuE0ELNS1_3repE0EEENS1_36merge_oddeven_config_static_selectorELNS0_4arch9wavefront6targetE0EEEvSM_,comdat
	.globl	_ZN7rocprim17ROCPRIM_400000_NS6detail17trampoline_kernelINS0_14default_configENS1_38merge_sort_block_merge_config_selectorIlNS0_10empty_typeEEEZZNS1_27merge_sort_block_merge_implIS3_PlPS5_mZN2at6native12_GLOBAL__N_124unique_dim_cuda_templateIjEESt5tupleIJNSA_6TensorESF_SF_EERKSF_lbbbEUlllE_EE10hipError_tT0_T1_T2_jT3_P12ihipStream_tbPNSt15iterator_traitsISL_E10value_typeEPNSR_ISM_E10value_typeEPSN_NS1_7vsmem_tEENKUlT_SL_SM_SN_E_clIS8_S8_S9_S9_EESK_S10_SL_SM_SN_EUlS10_E1_NS1_11comp_targetILNS1_3genE0ELNS1_11target_archE4294967295ELNS1_3gpuE0ELNS1_3repE0EEENS1_36merge_oddeven_config_static_selectorELNS0_4arch9wavefront6targetE0EEEvSM_ ; -- Begin function _ZN7rocprim17ROCPRIM_400000_NS6detail17trampoline_kernelINS0_14default_configENS1_38merge_sort_block_merge_config_selectorIlNS0_10empty_typeEEEZZNS1_27merge_sort_block_merge_implIS3_PlPS5_mZN2at6native12_GLOBAL__N_124unique_dim_cuda_templateIjEESt5tupleIJNSA_6TensorESF_SF_EERKSF_lbbbEUlllE_EE10hipError_tT0_T1_T2_jT3_P12ihipStream_tbPNSt15iterator_traitsISL_E10value_typeEPNSR_ISM_E10value_typeEPSN_NS1_7vsmem_tEENKUlT_SL_SM_SN_E_clIS8_S8_S9_S9_EESK_S10_SL_SM_SN_EUlS10_E1_NS1_11comp_targetILNS1_3genE0ELNS1_11target_archE4294967295ELNS1_3gpuE0ELNS1_3repE0EEENS1_36merge_oddeven_config_static_selectorELNS0_4arch9wavefront6targetE0EEEvSM_
	.p2align	8
	.type	_ZN7rocprim17ROCPRIM_400000_NS6detail17trampoline_kernelINS0_14default_configENS1_38merge_sort_block_merge_config_selectorIlNS0_10empty_typeEEEZZNS1_27merge_sort_block_merge_implIS3_PlPS5_mZN2at6native12_GLOBAL__N_124unique_dim_cuda_templateIjEESt5tupleIJNSA_6TensorESF_SF_EERKSF_lbbbEUlllE_EE10hipError_tT0_T1_T2_jT3_P12ihipStream_tbPNSt15iterator_traitsISL_E10value_typeEPNSR_ISM_E10value_typeEPSN_NS1_7vsmem_tEENKUlT_SL_SM_SN_E_clIS8_S8_S9_S9_EESK_S10_SL_SM_SN_EUlS10_E1_NS1_11comp_targetILNS1_3genE0ELNS1_11target_archE4294967295ELNS1_3gpuE0ELNS1_3repE0EEENS1_36merge_oddeven_config_static_selectorELNS0_4arch9wavefront6targetE0EEEvSM_,@function
_ZN7rocprim17ROCPRIM_400000_NS6detail17trampoline_kernelINS0_14default_configENS1_38merge_sort_block_merge_config_selectorIlNS0_10empty_typeEEEZZNS1_27merge_sort_block_merge_implIS3_PlPS5_mZN2at6native12_GLOBAL__N_124unique_dim_cuda_templateIjEESt5tupleIJNSA_6TensorESF_SF_EERKSF_lbbbEUlllE_EE10hipError_tT0_T1_T2_jT3_P12ihipStream_tbPNSt15iterator_traitsISL_E10value_typeEPNSR_ISM_E10value_typeEPSN_NS1_7vsmem_tEENKUlT_SL_SM_SN_E_clIS8_S8_S9_S9_EESK_S10_SL_SM_SN_EUlS10_E1_NS1_11comp_targetILNS1_3genE0ELNS1_11target_archE4294967295ELNS1_3gpuE0ELNS1_3repE0EEENS1_36merge_oddeven_config_static_selectorELNS0_4arch9wavefront6targetE0EEEvSM_: ; @_ZN7rocprim17ROCPRIM_400000_NS6detail17trampoline_kernelINS0_14default_configENS1_38merge_sort_block_merge_config_selectorIlNS0_10empty_typeEEEZZNS1_27merge_sort_block_merge_implIS3_PlPS5_mZN2at6native12_GLOBAL__N_124unique_dim_cuda_templateIjEESt5tupleIJNSA_6TensorESF_SF_EERKSF_lbbbEUlllE_EE10hipError_tT0_T1_T2_jT3_P12ihipStream_tbPNSt15iterator_traitsISL_E10value_typeEPNSR_ISM_E10value_typeEPSN_NS1_7vsmem_tEENKUlT_SL_SM_SN_E_clIS8_S8_S9_S9_EESK_S10_SL_SM_SN_EUlS10_E1_NS1_11comp_targetILNS1_3genE0ELNS1_11target_archE4294967295ELNS1_3gpuE0ELNS1_3repE0EEENS1_36merge_oddeven_config_static_selectorELNS0_4arch9wavefront6targetE0EEEvSM_
; %bb.0:
	s_load_b32 s3, s[0:1], 0x20
	s_bfe_u32 s2, ttmp6, 0x4000c
	s_and_b32 s4, ttmp6, 15
	s_add_co_i32 s2, s2, 1
	s_getreg_b32 s5, hwreg(HW_REG_IB_STS2, 6, 4)
	s_mul_i32 s2, ttmp9, s2
	s_mov_b32 s13, 0
	s_add_co_i32 s4, s4, s2
	s_cmp_eq_u32 s5, 0
	s_cselect_b32 s9, ttmp9, s4
	s_wait_kmcnt 0x0
	s_lshr_b32 s2, s3, 8
	s_delay_alu instid0(SALU_CYCLE_1) | instskip(SKIP_4) | instid1(SALU_CYCLE_1)
	s_cmp_lg_u32 s9, s2
	s_cselect_b32 s8, -1, 0
	s_cmp_eq_u32 s9, s2
	s_cselect_b32 s14, -1, 0
	s_lshl_b32 s12, s9, 8
	s_sub_co_i32 s2, s3, s12
	s_delay_alu instid0(SALU_CYCLE_1) | instskip(SKIP_1) | instid1(SALU_CYCLE_1)
	v_cmp_gt_u32_e64 s2, s2, v0
	s_or_b32 s4, s8, s2
	s_and_saveexec_b32 s5, s4
	s_cbranch_execz .LBB1508_54
; %bb.1:
	s_clause 0x1
	s_load_b128 s[4:7], s[0:1], 0x0
	s_load_b32 s15, s[0:1], 0x28
	s_lshl_b64 s[10:11], s[12:13], 3
	s_wait_kmcnt 0x0
	s_add_nc_u64 s[10:11], s[4:5], s[10:11]
	global_load_b64 v[2:3], v0, s[10:11] scale_offset
	s_wait_xcnt 0x0
	s_lshr_b32 s10, s15, 8
	s_delay_alu instid0(SALU_CYCLE_1) | instskip(NEXT) | instid1(SALU_CYCLE_1)
	s_sub_co_i32 s11, 0, s10
	s_and_b32 s9, s9, s11
	s_delay_alu instid0(SALU_CYCLE_1) | instskip(NEXT) | instid1(SALU_CYCLE_1)
	s_and_b32 s10, s9, s10
	s_cmp_lg_u32 s10, 0
	s_cselect_b32 s16, -1, 0
	s_lshl_b32 s18, s9, 8
	s_sub_co_i32 s9, 0, s15
	s_cmp_eq_u32 s10, 0
	s_cselect_b32 s17, s15, s9
	s_delay_alu instid0(SALU_CYCLE_1) | instskip(NEXT) | instid1(SALU_CYCLE_1)
	s_add_co_i32 s17, s17, s18
	s_cmp_lt_u32 s17, s3
	s_cbranch_scc1 .LBB1508_3
; %bb.2:
	v_add_nc_u32_e32 v1, s12, v0
	s_delay_alu instid0(VALU_DEP_1) | instskip(SKIP_1) | instid1(SALU_CYCLE_1)
	v_cmp_gt_u32_e32 vcc_lo, s3, v1
	s_or_b32 s9, vcc_lo, s8
	s_and_b32 s13, s9, exec_lo
	s_cbranch_execz .LBB1508_4
	s_branch .LBB1508_52
.LBB1508_3:
                                        ; implicit-def: $vgpr1
.LBB1508_4:
	s_load_b128 s[8:11], s[0:1], 0x30
	v_add_nc_u32_e32 v0, s12, v0
	s_min_u32 s12, s17, s3
	s_and_b32 vcc_lo, exec_lo, s14
	s_wait_xcnt 0x0
	s_add_co_i32 s0, s18, s12
	s_delay_alu instid0(SALU_CYCLE_1) | instskip(SKIP_3) | instid1(VALU_DEP_1)
	v_subrev_nc_u32_e32 v0, s0, v0
	s_add_co_i32 s0, s12, s15
	s_min_u32 s15, s18, s12
	s_min_u32 s18, s0, s3
	v_add_nc_u32_e32 v10, s15, v0
	s_wait_kmcnt 0x0
	v_cmp_gt_i64_e64 s1, s[8:9], 0
	s_cbranch_vccz .LBB1508_26
; %bb.5:
                                        ; implicit-def: $vgpr1
	s_and_saveexec_b32 s19, s2
	s_cbranch_execz .LBB1508_29
; %bb.6:
	v_mov_b32_e32 v11, s12
	s_cmp_ge_u32 s17, s18
	s_cbranch_scc1 .LBB1508_28
; %bb.7:
	s_wait_loadcnt 0x0
	v_mul_u64_e32 v[0:1], s[8:9], v[2:3]
	v_dual_mov_b32 v12, s18 :: v_dual_mov_b32 v11, s12
	s_lshl_b64 s[2:3], s[8:9], 2
	s_mov_b32 s20, 0
	s_delay_alu instid0(VALU_DEP_2)
	v_lshl_add_u64 v[0:1], v[0:1], 2, s[10:11]
	s_branch .LBB1508_10
.LBB1508_8:                             ;   in Loop: Header=BB1508_10 Depth=1
	s_or_b32 exec_lo, exec_lo, s22
.LBB1508_9:                             ;   in Loop: Header=BB1508_10 Depth=1
	s_wait_loadcnt 0x0
	v_dual_add_nc_u32 v4, 1, v13 :: v_dual_cndmask_b32 v12, v13, v12, s21
	s_delay_alu instid0(VALU_DEP_1) | instskip(NEXT) | instid1(VALU_DEP_1)
	v_cndmask_b32_e64 v11, v11, v4, s21
	v_cmp_ge_u32_e32 vcc_lo, v11, v12
	s_or_b32 s20, vcc_lo, s20
	s_delay_alu instid0(SALU_CYCLE_1)
	s_and_not1_b32 exec_lo, exec_lo, s20
	s_cbranch_execz .LBB1508_27
.LBB1508_10:                            ; =>This Loop Header: Depth=1
                                        ;     Child Loop BB1508_14 Depth 2
                                        ;     Child Loop BB1508_23 Depth 2
	v_add_nc_u32_e32 v4, v11, v12
	s_and_not1_b32 vcc_lo, exec_lo, s16
	s_mov_b32 s0, -1
                                        ; implicit-def: $sgpr21
	s_delay_alu instid0(VALU_DEP_1)
	v_lshrrev_b32_e32 v13, 1, v4
	global_load_b64 v[4:5], v13, s[4:5] scale_offset
	s_cbranch_vccnz .LBB1508_19
; %bb.11:                               ;   in Loop: Header=BB1508_10 Depth=1
	s_and_not1_b32 vcc_lo, exec_lo, s1
	s_cbranch_vccnz .LBB1508_17
; %bb.12:                               ;   in Loop: Header=BB1508_10 Depth=1
	s_wait_loadcnt 0x0
	v_mad_nc_u64_u32 v[6:7], s2, v4, s[10:11]
	v_mov_b64_e32 v[8:9], v[0:1]
	s_mov_b32 s21, 0
	s_mov_b64 s[14:15], s[8:9]
                                        ; implicit-def: $sgpr22
                                        ; implicit-def: $sgpr23
                                        ; implicit-def: $sgpr24
                                        ; implicit-def: $sgpr25
	s_delay_alu instid0(VALU_DEP_2) | instskip(NEXT) | instid1(VALU_DEP_1)
	v_mad_u32 v7, s3, v4, v7
	v_mad_u32 v7, s2, v5, v7
	s_branch .LBB1508_14
.LBB1508_13:                            ;   in Loop: Header=BB1508_14 Depth=2
	s_or_b32 exec_lo, exec_lo, s26
	s_delay_alu instid0(SALU_CYCLE_1) | instskip(NEXT) | instid1(SALU_CYCLE_1)
	s_and_b32 s26, exec_lo, s23
	s_or_b32 s21, s26, s21
	s_and_not1_b32 s25, s25, exec_lo
	s_and_b32 s0, s0, exec_lo
	s_and_not1_b32 s22, s22, exec_lo
	s_and_b32 s26, s24, exec_lo
	s_or_b32 s25, s25, s0
	s_or_b32 s22, s22, s26
	s_and_not1_b32 exec_lo, exec_lo, s21
	s_cbranch_execz .LBB1508_16
.LBB1508_14:                            ;   Parent Loop BB1508_10 Depth=1
                                        ; =>  This Inner Loop Header: Depth=2
	global_load_b32 v14, v[8:9], off
	global_load_b32 v15, v[6:7], off
	s_and_not1_b32 s24, s24, exec_lo
	s_or_b32 s23, s23, exec_lo
	s_wait_loadcnt 0x0
	v_cmp_le_u32_e32 vcc_lo, v14, v15
	v_cmp_lt_u32_e64 s0, v14, v15
	s_and_b32 s26, vcc_lo, s25
	s_delay_alu instid0(SALU_CYCLE_1) | instskip(NEXT) | instid1(SALU_CYCLE_1)
	s_or_b32 s0, s0, s26
	s_and_b32 s26, s0, exec_lo
	s_delay_alu instid0(SALU_CYCLE_1)
	s_or_b32 s24, s24, s26
	s_mov_b32 s26, exec_lo
	v_cmpx_eq_u32_e64 v14, v15
	s_cbranch_execz .LBB1508_13
; %bb.15:                               ;   in Loop: Header=BB1508_14 Depth=2
	s_add_nc_u64 s[14:15], s[14:15], -1
	v_add_nc_u64_e32 v[8:9], 4, v[8:9]
	s_cmp_eq_u64 s[14:15], 0
	v_add_nc_u64_e32 v[6:7], 4, v[6:7]
	s_cselect_b32 s25, -1, 0
	s_and_not1_b32 s23, s23, exec_lo
	s_and_b32 s25, s25, exec_lo
	s_and_not1_b32 s24, s24, exec_lo
	s_or_b32 s23, s23, s25
                                        ; implicit-def: $sgpr25
	s_branch .LBB1508_13
.LBB1508_16:                            ;   in Loop: Header=BB1508_10 Depth=1
	s_or_b32 exec_lo, exec_lo, s21
	s_xor_b32 s21, s22, -1
	s_branch .LBB1508_18
.LBB1508_17:                            ;   in Loop: Header=BB1508_10 Depth=1
	s_mov_b32 s21, -1
.LBB1508_18:                            ;   in Loop: Header=BB1508_10 Depth=1
	s_mov_b32 s0, 0
.LBB1508_19:                            ;   in Loop: Header=BB1508_10 Depth=1
	s_delay_alu instid0(SALU_CYCLE_1)
	s_and_not1_b32 vcc_lo, exec_lo, s0
	s_cbranch_vccnz .LBB1508_9
; %bb.20:                               ;   in Loop: Header=BB1508_10 Depth=1
	s_and_not1_b32 vcc_lo, exec_lo, s1
	s_cbranch_vccnz .LBB1508_25
; %bb.21:                               ;   in Loop: Header=BB1508_10 Depth=1
	s_wait_loadcnt 0x0
	v_mad_nc_u64_u32 v[6:7], s2, v4, s[10:11]
	s_mov_b32 s22, 0
	s_mov_b64 s[14:15], s[8:9]
                                        ; implicit-def: $sgpr21
                                        ; implicit-def: $sgpr23
                                        ; implicit-def: $sgpr24
                                        ; implicit-def: $sgpr25
	s_delay_alu instid0(VALU_DEP_1) | instskip(NEXT) | instid1(VALU_DEP_1)
	v_mad_u32 v4, s3, v4, v7
	v_mad_u32 v7, s2, v5, v4
	v_mov_b64_e32 v[4:5], v[0:1]
	s_branch .LBB1508_23
.LBB1508_22:                            ;   in Loop: Header=BB1508_23 Depth=2
	s_or_b32 exec_lo, exec_lo, s26
	s_delay_alu instid0(SALU_CYCLE_1) | instskip(NEXT) | instid1(SALU_CYCLE_1)
	s_and_b32 s26, exec_lo, s23
	s_or_b32 s22, s26, s22
	s_and_not1_b32 s25, s25, exec_lo
	s_and_b32 s0, s0, exec_lo
	s_and_not1_b32 s21, s21, exec_lo
	s_and_b32 s26, s24, exec_lo
	s_or_b32 s25, s25, s0
	s_or_b32 s21, s21, s26
	s_and_not1_b32 exec_lo, exec_lo, s22
	s_cbranch_execz .LBB1508_8
.LBB1508_23:                            ;   Parent Loop BB1508_10 Depth=1
                                        ; =>  This Inner Loop Header: Depth=2
	global_load_b32 v8, v[6:7], off
	global_load_b32 v9, v[4:5], off
	s_and_not1_b32 s24, s24, exec_lo
	s_or_b32 s23, s23, exec_lo
	s_wait_loadcnt 0x0
	v_cmp_le_u32_e32 vcc_lo, v8, v9
	v_cmp_lt_u32_e64 s0, v8, v9
	s_and_b32 s26, vcc_lo, s25
	s_delay_alu instid0(SALU_CYCLE_1) | instskip(NEXT) | instid1(SALU_CYCLE_1)
	s_or_b32 s0, s0, s26
	s_and_b32 s26, s0, exec_lo
	s_delay_alu instid0(SALU_CYCLE_1)
	s_or_b32 s24, s24, s26
	s_mov_b32 s26, exec_lo
	v_cmpx_eq_u32_e64 v8, v9
	s_cbranch_execz .LBB1508_22
; %bb.24:                               ;   in Loop: Header=BB1508_23 Depth=2
	s_add_nc_u64 s[14:15], s[14:15], -1
	v_add_nc_u64_e32 v[6:7], 4, v[6:7]
	s_cmp_eq_u64 s[14:15], 0
	v_add_nc_u64_e32 v[4:5], 4, v[4:5]
	s_cselect_b32 s25, -1, 0
	s_and_not1_b32 s23, s23, exec_lo
	s_and_b32 s25, s25, exec_lo
	s_and_not1_b32 s24, s24, exec_lo
	s_or_b32 s23, s23, s25
                                        ; implicit-def: $sgpr25
	s_branch .LBB1508_22
.LBB1508_25:                            ;   in Loop: Header=BB1508_10 Depth=1
	s_mov_b32 s21, 0
	s_branch .LBB1508_9
.LBB1508_26:
                                        ; implicit-def: $vgpr1
	s_cbranch_execnz .LBB1508_30
	s_branch .LBB1508_52
.LBB1508_27:
	s_or_b32 exec_lo, exec_lo, s20
.LBB1508_28:
	s_delay_alu instid0(VALU_DEP_1)
	v_add_nc_u32_e32 v1, v11, v10
	s_or_b32 s13, s13, exec_lo
.LBB1508_29:
	s_or_b32 exec_lo, exec_lo, s19
	s_branch .LBB1508_52
.LBB1508_30:
	v_mov_b32_e32 v11, s12
	s_cmp_ge_u32 s17, s18
	s_cbranch_scc1 .LBB1508_51
; %bb.31:
	s_wait_loadcnt 0x0
	v_mul_u64_e32 v[0:1], s[8:9], v[2:3]
	v_dual_mov_b32 v12, s18 :: v_dual_mov_b32 v11, s12
	v_cndmask_b32_e64 v13, 0, 1, s1
	s_lshl_b64 s[2:3], s[8:9], 2
	s_mov_b32 s14, 0
	s_delay_alu instid0(VALU_DEP_3)
	v_lshl_add_u64 v[0:1], v[0:1], 2, s[10:11]
	s_branch .LBB1508_34
.LBB1508_32:                            ;   in Loop: Header=BB1508_34 Depth=1
	s_or_b32 exec_lo, exec_lo, s17
.LBB1508_33:                            ;   in Loop: Header=BB1508_34 Depth=1
	s_wait_loadcnt 0x0
	v_dual_add_nc_u32 v4, 1, v14 :: v_dual_cndmask_b32 v12, v14, v12, s15
	s_delay_alu instid0(VALU_DEP_1) | instskip(NEXT) | instid1(VALU_DEP_1)
	v_cndmask_b32_e64 v11, v11, v4, s15
	v_cmp_ge_u32_e32 vcc_lo, v11, v12
	s_or_b32 s14, vcc_lo, s14
	s_delay_alu instid0(SALU_CYCLE_1)
	s_and_not1_b32 exec_lo, exec_lo, s14
	s_cbranch_execz .LBB1508_50
.LBB1508_34:                            ; =>This Loop Header: Depth=1
                                        ;     Child Loop BB1508_38 Depth 2
                                        ;     Child Loop BB1508_47 Depth 2
	v_add_nc_u32_e32 v4, v11, v12
	v_cmp_ne_u32_e64 s0, 1, v13
	s_and_not1_b32 vcc_lo, exec_lo, s16
	s_mov_b32 s12, -1
                                        ; implicit-def: $sgpr15
	v_lshrrev_b32_e32 v14, 1, v4
	global_load_b64 v[4:5], v14, s[4:5] scale_offset
	s_cbranch_vccnz .LBB1508_43
; %bb.35:                               ;   in Loop: Header=BB1508_34 Depth=1
	s_and_b32 vcc_lo, exec_lo, s0
	s_cbranch_vccnz .LBB1508_41
; %bb.36:                               ;   in Loop: Header=BB1508_34 Depth=1
	s_wait_loadcnt 0x0
	v_mad_nc_u64_u32 v[6:7], s2, v4, s[10:11]
	v_mov_b64_e32 v[8:9], v[0:1]
	s_mov_b32 s15, 0
	s_mov_b64 s[12:13], s[8:9]
                                        ; implicit-def: $sgpr17
                                        ; implicit-def: $sgpr18
                                        ; implicit-def: $sgpr19
                                        ; implicit-def: $sgpr20
	s_delay_alu instid0(VALU_DEP_2) | instskip(NEXT) | instid1(VALU_DEP_1)
	v_mad_u32 v7, s3, v4, v7
	v_mad_u32 v7, s2, v5, v7
	s_branch .LBB1508_38
.LBB1508_37:                            ;   in Loop: Header=BB1508_38 Depth=2
	s_or_b32 exec_lo, exec_lo, s21
	s_delay_alu instid0(SALU_CYCLE_1) | instskip(NEXT) | instid1(SALU_CYCLE_1)
	s_and_b32 s21, exec_lo, s18
	s_or_b32 s15, s21, s15
	s_and_not1_b32 s20, s20, exec_lo
	s_and_b32 s0, s0, exec_lo
	s_and_not1_b32 s17, s17, exec_lo
	s_and_b32 s21, s19, exec_lo
	s_or_b32 s20, s20, s0
	s_or_b32 s17, s17, s21
	s_and_not1_b32 exec_lo, exec_lo, s15
	s_cbranch_execz .LBB1508_40
.LBB1508_38:                            ;   Parent Loop BB1508_34 Depth=1
                                        ; =>  This Inner Loop Header: Depth=2
	global_load_b32 v15, v[8:9], off
	global_load_b32 v16, v[6:7], off
	s_and_not1_b32 s19, s19, exec_lo
	s_or_b32 s18, s18, exec_lo
	s_wait_loadcnt 0x0
	v_cmp_le_u32_e32 vcc_lo, v15, v16
	v_cmp_lt_u32_e64 s0, v15, v16
	s_and_b32 s21, vcc_lo, s20
	s_delay_alu instid0(SALU_CYCLE_1) | instskip(NEXT) | instid1(SALU_CYCLE_1)
	s_or_b32 s0, s0, s21
	s_and_b32 s21, s0, exec_lo
	s_delay_alu instid0(SALU_CYCLE_1)
	s_or_b32 s19, s19, s21
	s_mov_b32 s21, exec_lo
	v_cmpx_eq_u32_e64 v15, v16
	s_cbranch_execz .LBB1508_37
; %bb.39:                               ;   in Loop: Header=BB1508_38 Depth=2
	s_add_nc_u64 s[12:13], s[12:13], -1
	v_add_nc_u64_e32 v[8:9], 4, v[8:9]
	s_cmp_eq_u64 s[12:13], 0
	v_add_nc_u64_e32 v[6:7], 4, v[6:7]
	s_cselect_b32 s20, -1, 0
	s_and_not1_b32 s18, s18, exec_lo
	s_and_b32 s20, s20, exec_lo
	s_and_not1_b32 s19, s19, exec_lo
	s_or_b32 s18, s18, s20
                                        ; implicit-def: $sgpr20
	s_branch .LBB1508_37
.LBB1508_40:                            ;   in Loop: Header=BB1508_34 Depth=1
	s_or_b32 exec_lo, exec_lo, s15
	s_xor_b32 s15, s17, -1
	s_branch .LBB1508_42
.LBB1508_41:                            ;   in Loop: Header=BB1508_34 Depth=1
	s_mov_b32 s15, -1
.LBB1508_42:                            ;   in Loop: Header=BB1508_34 Depth=1
	s_mov_b32 s12, 0
.LBB1508_43:                            ;   in Loop: Header=BB1508_34 Depth=1
	s_delay_alu instid0(SALU_CYCLE_1)
	s_and_not1_b32 vcc_lo, exec_lo, s12
	s_cbranch_vccnz .LBB1508_33
; %bb.44:                               ;   in Loop: Header=BB1508_34 Depth=1
	s_and_not1_b32 vcc_lo, exec_lo, s1
	s_cbranch_vccnz .LBB1508_49
; %bb.45:                               ;   in Loop: Header=BB1508_34 Depth=1
	s_wait_loadcnt 0x0
	v_mad_nc_u64_u32 v[6:7], s2, v4, s[10:11]
	s_mov_b32 s17, 0
	s_mov_b64 s[12:13], s[8:9]
                                        ; implicit-def: $sgpr15
                                        ; implicit-def: $sgpr18
                                        ; implicit-def: $sgpr19
                                        ; implicit-def: $sgpr20
	s_delay_alu instid0(VALU_DEP_1) | instskip(NEXT) | instid1(VALU_DEP_1)
	v_mad_u32 v4, s3, v4, v7
	v_mad_u32 v7, s2, v5, v4
	v_mov_b64_e32 v[4:5], v[0:1]
	s_branch .LBB1508_47
.LBB1508_46:                            ;   in Loop: Header=BB1508_47 Depth=2
	s_or_b32 exec_lo, exec_lo, s21
	s_delay_alu instid0(SALU_CYCLE_1) | instskip(NEXT) | instid1(SALU_CYCLE_1)
	s_and_b32 s21, exec_lo, s18
	s_or_b32 s17, s21, s17
	s_and_not1_b32 s20, s20, exec_lo
	s_and_b32 s0, s0, exec_lo
	s_and_not1_b32 s15, s15, exec_lo
	s_and_b32 s21, s19, exec_lo
	s_or_b32 s20, s20, s0
	s_or_b32 s15, s15, s21
	s_and_not1_b32 exec_lo, exec_lo, s17
	s_cbranch_execz .LBB1508_32
.LBB1508_47:                            ;   Parent Loop BB1508_34 Depth=1
                                        ; =>  This Inner Loop Header: Depth=2
	global_load_b32 v8, v[6:7], off
	global_load_b32 v9, v[4:5], off
	s_and_not1_b32 s19, s19, exec_lo
	s_or_b32 s18, s18, exec_lo
	s_wait_loadcnt 0x0
	v_cmp_le_u32_e32 vcc_lo, v8, v9
	v_cmp_lt_u32_e64 s0, v8, v9
	s_and_b32 s21, vcc_lo, s20
	s_delay_alu instid0(SALU_CYCLE_1) | instskip(NEXT) | instid1(SALU_CYCLE_1)
	s_or_b32 s0, s0, s21
	s_and_b32 s21, s0, exec_lo
	s_delay_alu instid0(SALU_CYCLE_1)
	s_or_b32 s19, s19, s21
	s_mov_b32 s21, exec_lo
	v_cmpx_eq_u32_e64 v8, v9
	s_cbranch_execz .LBB1508_46
; %bb.48:                               ;   in Loop: Header=BB1508_47 Depth=2
	s_add_nc_u64 s[12:13], s[12:13], -1
	v_add_nc_u64_e32 v[6:7], 4, v[6:7]
	s_cmp_eq_u64 s[12:13], 0
	v_add_nc_u64_e32 v[4:5], 4, v[4:5]
	s_cselect_b32 s20, -1, 0
	s_and_not1_b32 s18, s18, exec_lo
	s_and_b32 s20, s20, exec_lo
	s_and_not1_b32 s19, s19, exec_lo
	s_or_b32 s18, s18, s20
                                        ; implicit-def: $sgpr20
	s_branch .LBB1508_46
.LBB1508_49:                            ;   in Loop: Header=BB1508_34 Depth=1
	s_mov_b32 s15, 0
	s_branch .LBB1508_33
.LBB1508_50:
	s_or_b32 exec_lo, exec_lo, s14
.LBB1508_51:
	s_delay_alu instid0(VALU_DEP_1)
	v_add_nc_u32_e32 v1, v11, v10
	s_mov_b32 s13, -1
.LBB1508_52:
	s_delay_alu instid0(SALU_CYCLE_1)
	s_and_b32 exec_lo, exec_lo, s13
	s_cbranch_execz .LBB1508_54
; %bb.53:
	s_wait_loadcnt 0x0
	global_store_b64 v1, v[2:3], s[6:7] scale_offset
.LBB1508_54:
	s_endpgm
	.section	.rodata,"a",@progbits
	.p2align	6, 0x0
	.amdhsa_kernel _ZN7rocprim17ROCPRIM_400000_NS6detail17trampoline_kernelINS0_14default_configENS1_38merge_sort_block_merge_config_selectorIlNS0_10empty_typeEEEZZNS1_27merge_sort_block_merge_implIS3_PlPS5_mZN2at6native12_GLOBAL__N_124unique_dim_cuda_templateIjEESt5tupleIJNSA_6TensorESF_SF_EERKSF_lbbbEUlllE_EE10hipError_tT0_T1_T2_jT3_P12ihipStream_tbPNSt15iterator_traitsISL_E10value_typeEPNSR_ISM_E10value_typeEPSN_NS1_7vsmem_tEENKUlT_SL_SM_SN_E_clIS8_S8_S9_S9_EESK_S10_SL_SM_SN_EUlS10_E1_NS1_11comp_targetILNS1_3genE0ELNS1_11target_archE4294967295ELNS1_3gpuE0ELNS1_3repE0EEENS1_36merge_oddeven_config_static_selectorELNS0_4arch9wavefront6targetE0EEEvSM_
		.amdhsa_group_segment_fixed_size 0
		.amdhsa_private_segment_fixed_size 0
		.amdhsa_kernarg_size 64
		.amdhsa_user_sgpr_count 2
		.amdhsa_user_sgpr_dispatch_ptr 0
		.amdhsa_user_sgpr_queue_ptr 0
		.amdhsa_user_sgpr_kernarg_segment_ptr 1
		.amdhsa_user_sgpr_dispatch_id 0
		.amdhsa_user_sgpr_kernarg_preload_length 0
		.amdhsa_user_sgpr_kernarg_preload_offset 0
		.amdhsa_user_sgpr_private_segment_size 0
		.amdhsa_wavefront_size32 1
		.amdhsa_uses_dynamic_stack 0
		.amdhsa_enable_private_segment 0
		.amdhsa_system_sgpr_workgroup_id_x 1
		.amdhsa_system_sgpr_workgroup_id_y 0
		.amdhsa_system_sgpr_workgroup_id_z 0
		.amdhsa_system_sgpr_workgroup_info 0
		.amdhsa_system_vgpr_workitem_id 0
		.amdhsa_next_free_vgpr 17
		.amdhsa_next_free_sgpr 27
		.amdhsa_named_barrier_count 0
		.amdhsa_reserve_vcc 1
		.amdhsa_float_round_mode_32 0
		.amdhsa_float_round_mode_16_64 0
		.amdhsa_float_denorm_mode_32 3
		.amdhsa_float_denorm_mode_16_64 3
		.amdhsa_fp16_overflow 0
		.amdhsa_memory_ordered 1
		.amdhsa_forward_progress 1
		.amdhsa_inst_pref_size 14
		.amdhsa_round_robin_scheduling 0
		.amdhsa_exception_fp_ieee_invalid_op 0
		.amdhsa_exception_fp_denorm_src 0
		.amdhsa_exception_fp_ieee_div_zero 0
		.amdhsa_exception_fp_ieee_overflow 0
		.amdhsa_exception_fp_ieee_underflow 0
		.amdhsa_exception_fp_ieee_inexact 0
		.amdhsa_exception_int_div_zero 0
	.end_amdhsa_kernel
	.section	.text._ZN7rocprim17ROCPRIM_400000_NS6detail17trampoline_kernelINS0_14default_configENS1_38merge_sort_block_merge_config_selectorIlNS0_10empty_typeEEEZZNS1_27merge_sort_block_merge_implIS3_PlPS5_mZN2at6native12_GLOBAL__N_124unique_dim_cuda_templateIjEESt5tupleIJNSA_6TensorESF_SF_EERKSF_lbbbEUlllE_EE10hipError_tT0_T1_T2_jT3_P12ihipStream_tbPNSt15iterator_traitsISL_E10value_typeEPNSR_ISM_E10value_typeEPSN_NS1_7vsmem_tEENKUlT_SL_SM_SN_E_clIS8_S8_S9_S9_EESK_S10_SL_SM_SN_EUlS10_E1_NS1_11comp_targetILNS1_3genE0ELNS1_11target_archE4294967295ELNS1_3gpuE0ELNS1_3repE0EEENS1_36merge_oddeven_config_static_selectorELNS0_4arch9wavefront6targetE0EEEvSM_,"axG",@progbits,_ZN7rocprim17ROCPRIM_400000_NS6detail17trampoline_kernelINS0_14default_configENS1_38merge_sort_block_merge_config_selectorIlNS0_10empty_typeEEEZZNS1_27merge_sort_block_merge_implIS3_PlPS5_mZN2at6native12_GLOBAL__N_124unique_dim_cuda_templateIjEESt5tupleIJNSA_6TensorESF_SF_EERKSF_lbbbEUlllE_EE10hipError_tT0_T1_T2_jT3_P12ihipStream_tbPNSt15iterator_traitsISL_E10value_typeEPNSR_ISM_E10value_typeEPSN_NS1_7vsmem_tEENKUlT_SL_SM_SN_E_clIS8_S8_S9_S9_EESK_S10_SL_SM_SN_EUlS10_E1_NS1_11comp_targetILNS1_3genE0ELNS1_11target_archE4294967295ELNS1_3gpuE0ELNS1_3repE0EEENS1_36merge_oddeven_config_static_selectorELNS0_4arch9wavefront6targetE0EEEvSM_,comdat
.Lfunc_end1508:
	.size	_ZN7rocprim17ROCPRIM_400000_NS6detail17trampoline_kernelINS0_14default_configENS1_38merge_sort_block_merge_config_selectorIlNS0_10empty_typeEEEZZNS1_27merge_sort_block_merge_implIS3_PlPS5_mZN2at6native12_GLOBAL__N_124unique_dim_cuda_templateIjEESt5tupleIJNSA_6TensorESF_SF_EERKSF_lbbbEUlllE_EE10hipError_tT0_T1_T2_jT3_P12ihipStream_tbPNSt15iterator_traitsISL_E10value_typeEPNSR_ISM_E10value_typeEPSN_NS1_7vsmem_tEENKUlT_SL_SM_SN_E_clIS8_S8_S9_S9_EESK_S10_SL_SM_SN_EUlS10_E1_NS1_11comp_targetILNS1_3genE0ELNS1_11target_archE4294967295ELNS1_3gpuE0ELNS1_3repE0EEENS1_36merge_oddeven_config_static_selectorELNS0_4arch9wavefront6targetE0EEEvSM_, .Lfunc_end1508-_ZN7rocprim17ROCPRIM_400000_NS6detail17trampoline_kernelINS0_14default_configENS1_38merge_sort_block_merge_config_selectorIlNS0_10empty_typeEEEZZNS1_27merge_sort_block_merge_implIS3_PlPS5_mZN2at6native12_GLOBAL__N_124unique_dim_cuda_templateIjEESt5tupleIJNSA_6TensorESF_SF_EERKSF_lbbbEUlllE_EE10hipError_tT0_T1_T2_jT3_P12ihipStream_tbPNSt15iterator_traitsISL_E10value_typeEPNSR_ISM_E10value_typeEPSN_NS1_7vsmem_tEENKUlT_SL_SM_SN_E_clIS8_S8_S9_S9_EESK_S10_SL_SM_SN_EUlS10_E1_NS1_11comp_targetILNS1_3genE0ELNS1_11target_archE4294967295ELNS1_3gpuE0ELNS1_3repE0EEENS1_36merge_oddeven_config_static_selectorELNS0_4arch9wavefront6targetE0EEEvSM_
                                        ; -- End function
	.set _ZN7rocprim17ROCPRIM_400000_NS6detail17trampoline_kernelINS0_14default_configENS1_38merge_sort_block_merge_config_selectorIlNS0_10empty_typeEEEZZNS1_27merge_sort_block_merge_implIS3_PlPS5_mZN2at6native12_GLOBAL__N_124unique_dim_cuda_templateIjEESt5tupleIJNSA_6TensorESF_SF_EERKSF_lbbbEUlllE_EE10hipError_tT0_T1_T2_jT3_P12ihipStream_tbPNSt15iterator_traitsISL_E10value_typeEPNSR_ISM_E10value_typeEPSN_NS1_7vsmem_tEENKUlT_SL_SM_SN_E_clIS8_S8_S9_S9_EESK_S10_SL_SM_SN_EUlS10_E1_NS1_11comp_targetILNS1_3genE0ELNS1_11target_archE4294967295ELNS1_3gpuE0ELNS1_3repE0EEENS1_36merge_oddeven_config_static_selectorELNS0_4arch9wavefront6targetE0EEEvSM_.num_vgpr, 17
	.set _ZN7rocprim17ROCPRIM_400000_NS6detail17trampoline_kernelINS0_14default_configENS1_38merge_sort_block_merge_config_selectorIlNS0_10empty_typeEEEZZNS1_27merge_sort_block_merge_implIS3_PlPS5_mZN2at6native12_GLOBAL__N_124unique_dim_cuda_templateIjEESt5tupleIJNSA_6TensorESF_SF_EERKSF_lbbbEUlllE_EE10hipError_tT0_T1_T2_jT3_P12ihipStream_tbPNSt15iterator_traitsISL_E10value_typeEPNSR_ISM_E10value_typeEPSN_NS1_7vsmem_tEENKUlT_SL_SM_SN_E_clIS8_S8_S9_S9_EESK_S10_SL_SM_SN_EUlS10_E1_NS1_11comp_targetILNS1_3genE0ELNS1_11target_archE4294967295ELNS1_3gpuE0ELNS1_3repE0EEENS1_36merge_oddeven_config_static_selectorELNS0_4arch9wavefront6targetE0EEEvSM_.num_agpr, 0
	.set _ZN7rocprim17ROCPRIM_400000_NS6detail17trampoline_kernelINS0_14default_configENS1_38merge_sort_block_merge_config_selectorIlNS0_10empty_typeEEEZZNS1_27merge_sort_block_merge_implIS3_PlPS5_mZN2at6native12_GLOBAL__N_124unique_dim_cuda_templateIjEESt5tupleIJNSA_6TensorESF_SF_EERKSF_lbbbEUlllE_EE10hipError_tT0_T1_T2_jT3_P12ihipStream_tbPNSt15iterator_traitsISL_E10value_typeEPNSR_ISM_E10value_typeEPSN_NS1_7vsmem_tEENKUlT_SL_SM_SN_E_clIS8_S8_S9_S9_EESK_S10_SL_SM_SN_EUlS10_E1_NS1_11comp_targetILNS1_3genE0ELNS1_11target_archE4294967295ELNS1_3gpuE0ELNS1_3repE0EEENS1_36merge_oddeven_config_static_selectorELNS0_4arch9wavefront6targetE0EEEvSM_.numbered_sgpr, 27
	.set _ZN7rocprim17ROCPRIM_400000_NS6detail17trampoline_kernelINS0_14default_configENS1_38merge_sort_block_merge_config_selectorIlNS0_10empty_typeEEEZZNS1_27merge_sort_block_merge_implIS3_PlPS5_mZN2at6native12_GLOBAL__N_124unique_dim_cuda_templateIjEESt5tupleIJNSA_6TensorESF_SF_EERKSF_lbbbEUlllE_EE10hipError_tT0_T1_T2_jT3_P12ihipStream_tbPNSt15iterator_traitsISL_E10value_typeEPNSR_ISM_E10value_typeEPSN_NS1_7vsmem_tEENKUlT_SL_SM_SN_E_clIS8_S8_S9_S9_EESK_S10_SL_SM_SN_EUlS10_E1_NS1_11comp_targetILNS1_3genE0ELNS1_11target_archE4294967295ELNS1_3gpuE0ELNS1_3repE0EEENS1_36merge_oddeven_config_static_selectorELNS0_4arch9wavefront6targetE0EEEvSM_.num_named_barrier, 0
	.set _ZN7rocprim17ROCPRIM_400000_NS6detail17trampoline_kernelINS0_14default_configENS1_38merge_sort_block_merge_config_selectorIlNS0_10empty_typeEEEZZNS1_27merge_sort_block_merge_implIS3_PlPS5_mZN2at6native12_GLOBAL__N_124unique_dim_cuda_templateIjEESt5tupleIJNSA_6TensorESF_SF_EERKSF_lbbbEUlllE_EE10hipError_tT0_T1_T2_jT3_P12ihipStream_tbPNSt15iterator_traitsISL_E10value_typeEPNSR_ISM_E10value_typeEPSN_NS1_7vsmem_tEENKUlT_SL_SM_SN_E_clIS8_S8_S9_S9_EESK_S10_SL_SM_SN_EUlS10_E1_NS1_11comp_targetILNS1_3genE0ELNS1_11target_archE4294967295ELNS1_3gpuE0ELNS1_3repE0EEENS1_36merge_oddeven_config_static_selectorELNS0_4arch9wavefront6targetE0EEEvSM_.private_seg_size, 0
	.set _ZN7rocprim17ROCPRIM_400000_NS6detail17trampoline_kernelINS0_14default_configENS1_38merge_sort_block_merge_config_selectorIlNS0_10empty_typeEEEZZNS1_27merge_sort_block_merge_implIS3_PlPS5_mZN2at6native12_GLOBAL__N_124unique_dim_cuda_templateIjEESt5tupleIJNSA_6TensorESF_SF_EERKSF_lbbbEUlllE_EE10hipError_tT0_T1_T2_jT3_P12ihipStream_tbPNSt15iterator_traitsISL_E10value_typeEPNSR_ISM_E10value_typeEPSN_NS1_7vsmem_tEENKUlT_SL_SM_SN_E_clIS8_S8_S9_S9_EESK_S10_SL_SM_SN_EUlS10_E1_NS1_11comp_targetILNS1_3genE0ELNS1_11target_archE4294967295ELNS1_3gpuE0ELNS1_3repE0EEENS1_36merge_oddeven_config_static_selectorELNS0_4arch9wavefront6targetE0EEEvSM_.uses_vcc, 1
	.set _ZN7rocprim17ROCPRIM_400000_NS6detail17trampoline_kernelINS0_14default_configENS1_38merge_sort_block_merge_config_selectorIlNS0_10empty_typeEEEZZNS1_27merge_sort_block_merge_implIS3_PlPS5_mZN2at6native12_GLOBAL__N_124unique_dim_cuda_templateIjEESt5tupleIJNSA_6TensorESF_SF_EERKSF_lbbbEUlllE_EE10hipError_tT0_T1_T2_jT3_P12ihipStream_tbPNSt15iterator_traitsISL_E10value_typeEPNSR_ISM_E10value_typeEPSN_NS1_7vsmem_tEENKUlT_SL_SM_SN_E_clIS8_S8_S9_S9_EESK_S10_SL_SM_SN_EUlS10_E1_NS1_11comp_targetILNS1_3genE0ELNS1_11target_archE4294967295ELNS1_3gpuE0ELNS1_3repE0EEENS1_36merge_oddeven_config_static_selectorELNS0_4arch9wavefront6targetE0EEEvSM_.uses_flat_scratch, 0
	.set _ZN7rocprim17ROCPRIM_400000_NS6detail17trampoline_kernelINS0_14default_configENS1_38merge_sort_block_merge_config_selectorIlNS0_10empty_typeEEEZZNS1_27merge_sort_block_merge_implIS3_PlPS5_mZN2at6native12_GLOBAL__N_124unique_dim_cuda_templateIjEESt5tupleIJNSA_6TensorESF_SF_EERKSF_lbbbEUlllE_EE10hipError_tT0_T1_T2_jT3_P12ihipStream_tbPNSt15iterator_traitsISL_E10value_typeEPNSR_ISM_E10value_typeEPSN_NS1_7vsmem_tEENKUlT_SL_SM_SN_E_clIS8_S8_S9_S9_EESK_S10_SL_SM_SN_EUlS10_E1_NS1_11comp_targetILNS1_3genE0ELNS1_11target_archE4294967295ELNS1_3gpuE0ELNS1_3repE0EEENS1_36merge_oddeven_config_static_selectorELNS0_4arch9wavefront6targetE0EEEvSM_.has_dyn_sized_stack, 0
	.set _ZN7rocprim17ROCPRIM_400000_NS6detail17trampoline_kernelINS0_14default_configENS1_38merge_sort_block_merge_config_selectorIlNS0_10empty_typeEEEZZNS1_27merge_sort_block_merge_implIS3_PlPS5_mZN2at6native12_GLOBAL__N_124unique_dim_cuda_templateIjEESt5tupleIJNSA_6TensorESF_SF_EERKSF_lbbbEUlllE_EE10hipError_tT0_T1_T2_jT3_P12ihipStream_tbPNSt15iterator_traitsISL_E10value_typeEPNSR_ISM_E10value_typeEPSN_NS1_7vsmem_tEENKUlT_SL_SM_SN_E_clIS8_S8_S9_S9_EESK_S10_SL_SM_SN_EUlS10_E1_NS1_11comp_targetILNS1_3genE0ELNS1_11target_archE4294967295ELNS1_3gpuE0ELNS1_3repE0EEENS1_36merge_oddeven_config_static_selectorELNS0_4arch9wavefront6targetE0EEEvSM_.has_recursion, 0
	.set _ZN7rocprim17ROCPRIM_400000_NS6detail17trampoline_kernelINS0_14default_configENS1_38merge_sort_block_merge_config_selectorIlNS0_10empty_typeEEEZZNS1_27merge_sort_block_merge_implIS3_PlPS5_mZN2at6native12_GLOBAL__N_124unique_dim_cuda_templateIjEESt5tupleIJNSA_6TensorESF_SF_EERKSF_lbbbEUlllE_EE10hipError_tT0_T1_T2_jT3_P12ihipStream_tbPNSt15iterator_traitsISL_E10value_typeEPNSR_ISM_E10value_typeEPSN_NS1_7vsmem_tEENKUlT_SL_SM_SN_E_clIS8_S8_S9_S9_EESK_S10_SL_SM_SN_EUlS10_E1_NS1_11comp_targetILNS1_3genE0ELNS1_11target_archE4294967295ELNS1_3gpuE0ELNS1_3repE0EEENS1_36merge_oddeven_config_static_selectorELNS0_4arch9wavefront6targetE0EEEvSM_.has_indirect_call, 0
	.section	.AMDGPU.csdata,"",@progbits
; Kernel info:
; codeLenInByte = 1704
; TotalNumSgprs: 29
; NumVgprs: 17
; ScratchSize: 0
; MemoryBound: 0
; FloatMode: 240
; IeeeMode: 1
; LDSByteSize: 0 bytes/workgroup (compile time only)
; SGPRBlocks: 0
; VGPRBlocks: 1
; NumSGPRsForWavesPerEU: 29
; NumVGPRsForWavesPerEU: 17
; NamedBarCnt: 0
; Occupancy: 16
; WaveLimiterHint : 0
; COMPUTE_PGM_RSRC2:SCRATCH_EN: 0
; COMPUTE_PGM_RSRC2:USER_SGPR: 2
; COMPUTE_PGM_RSRC2:TRAP_HANDLER: 0
; COMPUTE_PGM_RSRC2:TGID_X_EN: 1
; COMPUTE_PGM_RSRC2:TGID_Y_EN: 0
; COMPUTE_PGM_RSRC2:TGID_Z_EN: 0
; COMPUTE_PGM_RSRC2:TIDIG_COMP_CNT: 0
	.section	.text._ZN7rocprim17ROCPRIM_400000_NS6detail17trampoline_kernelINS0_14default_configENS1_38merge_sort_block_merge_config_selectorIlNS0_10empty_typeEEEZZNS1_27merge_sort_block_merge_implIS3_PlPS5_mZN2at6native12_GLOBAL__N_124unique_dim_cuda_templateIjEESt5tupleIJNSA_6TensorESF_SF_EERKSF_lbbbEUlllE_EE10hipError_tT0_T1_T2_jT3_P12ihipStream_tbPNSt15iterator_traitsISL_E10value_typeEPNSR_ISM_E10value_typeEPSN_NS1_7vsmem_tEENKUlT_SL_SM_SN_E_clIS8_S8_S9_S9_EESK_S10_SL_SM_SN_EUlS10_E1_NS1_11comp_targetILNS1_3genE10ELNS1_11target_archE1201ELNS1_3gpuE5ELNS1_3repE0EEENS1_36merge_oddeven_config_static_selectorELNS0_4arch9wavefront6targetE0EEEvSM_,"axG",@progbits,_ZN7rocprim17ROCPRIM_400000_NS6detail17trampoline_kernelINS0_14default_configENS1_38merge_sort_block_merge_config_selectorIlNS0_10empty_typeEEEZZNS1_27merge_sort_block_merge_implIS3_PlPS5_mZN2at6native12_GLOBAL__N_124unique_dim_cuda_templateIjEESt5tupleIJNSA_6TensorESF_SF_EERKSF_lbbbEUlllE_EE10hipError_tT0_T1_T2_jT3_P12ihipStream_tbPNSt15iterator_traitsISL_E10value_typeEPNSR_ISM_E10value_typeEPSN_NS1_7vsmem_tEENKUlT_SL_SM_SN_E_clIS8_S8_S9_S9_EESK_S10_SL_SM_SN_EUlS10_E1_NS1_11comp_targetILNS1_3genE10ELNS1_11target_archE1201ELNS1_3gpuE5ELNS1_3repE0EEENS1_36merge_oddeven_config_static_selectorELNS0_4arch9wavefront6targetE0EEEvSM_,comdat
	.globl	_ZN7rocprim17ROCPRIM_400000_NS6detail17trampoline_kernelINS0_14default_configENS1_38merge_sort_block_merge_config_selectorIlNS0_10empty_typeEEEZZNS1_27merge_sort_block_merge_implIS3_PlPS5_mZN2at6native12_GLOBAL__N_124unique_dim_cuda_templateIjEESt5tupleIJNSA_6TensorESF_SF_EERKSF_lbbbEUlllE_EE10hipError_tT0_T1_T2_jT3_P12ihipStream_tbPNSt15iterator_traitsISL_E10value_typeEPNSR_ISM_E10value_typeEPSN_NS1_7vsmem_tEENKUlT_SL_SM_SN_E_clIS8_S8_S9_S9_EESK_S10_SL_SM_SN_EUlS10_E1_NS1_11comp_targetILNS1_3genE10ELNS1_11target_archE1201ELNS1_3gpuE5ELNS1_3repE0EEENS1_36merge_oddeven_config_static_selectorELNS0_4arch9wavefront6targetE0EEEvSM_ ; -- Begin function _ZN7rocprim17ROCPRIM_400000_NS6detail17trampoline_kernelINS0_14default_configENS1_38merge_sort_block_merge_config_selectorIlNS0_10empty_typeEEEZZNS1_27merge_sort_block_merge_implIS3_PlPS5_mZN2at6native12_GLOBAL__N_124unique_dim_cuda_templateIjEESt5tupleIJNSA_6TensorESF_SF_EERKSF_lbbbEUlllE_EE10hipError_tT0_T1_T2_jT3_P12ihipStream_tbPNSt15iterator_traitsISL_E10value_typeEPNSR_ISM_E10value_typeEPSN_NS1_7vsmem_tEENKUlT_SL_SM_SN_E_clIS8_S8_S9_S9_EESK_S10_SL_SM_SN_EUlS10_E1_NS1_11comp_targetILNS1_3genE10ELNS1_11target_archE1201ELNS1_3gpuE5ELNS1_3repE0EEENS1_36merge_oddeven_config_static_selectorELNS0_4arch9wavefront6targetE0EEEvSM_
	.p2align	8
	.type	_ZN7rocprim17ROCPRIM_400000_NS6detail17trampoline_kernelINS0_14default_configENS1_38merge_sort_block_merge_config_selectorIlNS0_10empty_typeEEEZZNS1_27merge_sort_block_merge_implIS3_PlPS5_mZN2at6native12_GLOBAL__N_124unique_dim_cuda_templateIjEESt5tupleIJNSA_6TensorESF_SF_EERKSF_lbbbEUlllE_EE10hipError_tT0_T1_T2_jT3_P12ihipStream_tbPNSt15iterator_traitsISL_E10value_typeEPNSR_ISM_E10value_typeEPSN_NS1_7vsmem_tEENKUlT_SL_SM_SN_E_clIS8_S8_S9_S9_EESK_S10_SL_SM_SN_EUlS10_E1_NS1_11comp_targetILNS1_3genE10ELNS1_11target_archE1201ELNS1_3gpuE5ELNS1_3repE0EEENS1_36merge_oddeven_config_static_selectorELNS0_4arch9wavefront6targetE0EEEvSM_,@function
_ZN7rocprim17ROCPRIM_400000_NS6detail17trampoline_kernelINS0_14default_configENS1_38merge_sort_block_merge_config_selectorIlNS0_10empty_typeEEEZZNS1_27merge_sort_block_merge_implIS3_PlPS5_mZN2at6native12_GLOBAL__N_124unique_dim_cuda_templateIjEESt5tupleIJNSA_6TensorESF_SF_EERKSF_lbbbEUlllE_EE10hipError_tT0_T1_T2_jT3_P12ihipStream_tbPNSt15iterator_traitsISL_E10value_typeEPNSR_ISM_E10value_typeEPSN_NS1_7vsmem_tEENKUlT_SL_SM_SN_E_clIS8_S8_S9_S9_EESK_S10_SL_SM_SN_EUlS10_E1_NS1_11comp_targetILNS1_3genE10ELNS1_11target_archE1201ELNS1_3gpuE5ELNS1_3repE0EEENS1_36merge_oddeven_config_static_selectorELNS0_4arch9wavefront6targetE0EEEvSM_: ; @_ZN7rocprim17ROCPRIM_400000_NS6detail17trampoline_kernelINS0_14default_configENS1_38merge_sort_block_merge_config_selectorIlNS0_10empty_typeEEEZZNS1_27merge_sort_block_merge_implIS3_PlPS5_mZN2at6native12_GLOBAL__N_124unique_dim_cuda_templateIjEESt5tupleIJNSA_6TensorESF_SF_EERKSF_lbbbEUlllE_EE10hipError_tT0_T1_T2_jT3_P12ihipStream_tbPNSt15iterator_traitsISL_E10value_typeEPNSR_ISM_E10value_typeEPSN_NS1_7vsmem_tEENKUlT_SL_SM_SN_E_clIS8_S8_S9_S9_EESK_S10_SL_SM_SN_EUlS10_E1_NS1_11comp_targetILNS1_3genE10ELNS1_11target_archE1201ELNS1_3gpuE5ELNS1_3repE0EEENS1_36merge_oddeven_config_static_selectorELNS0_4arch9wavefront6targetE0EEEvSM_
; %bb.0:
	.section	.rodata,"a",@progbits
	.p2align	6, 0x0
	.amdhsa_kernel _ZN7rocprim17ROCPRIM_400000_NS6detail17trampoline_kernelINS0_14default_configENS1_38merge_sort_block_merge_config_selectorIlNS0_10empty_typeEEEZZNS1_27merge_sort_block_merge_implIS3_PlPS5_mZN2at6native12_GLOBAL__N_124unique_dim_cuda_templateIjEESt5tupleIJNSA_6TensorESF_SF_EERKSF_lbbbEUlllE_EE10hipError_tT0_T1_T2_jT3_P12ihipStream_tbPNSt15iterator_traitsISL_E10value_typeEPNSR_ISM_E10value_typeEPSN_NS1_7vsmem_tEENKUlT_SL_SM_SN_E_clIS8_S8_S9_S9_EESK_S10_SL_SM_SN_EUlS10_E1_NS1_11comp_targetILNS1_3genE10ELNS1_11target_archE1201ELNS1_3gpuE5ELNS1_3repE0EEENS1_36merge_oddeven_config_static_selectorELNS0_4arch9wavefront6targetE0EEEvSM_
		.amdhsa_group_segment_fixed_size 0
		.amdhsa_private_segment_fixed_size 0
		.amdhsa_kernarg_size 64
		.amdhsa_user_sgpr_count 2
		.amdhsa_user_sgpr_dispatch_ptr 0
		.amdhsa_user_sgpr_queue_ptr 0
		.amdhsa_user_sgpr_kernarg_segment_ptr 1
		.amdhsa_user_sgpr_dispatch_id 0
		.amdhsa_user_sgpr_kernarg_preload_length 0
		.amdhsa_user_sgpr_kernarg_preload_offset 0
		.amdhsa_user_sgpr_private_segment_size 0
		.amdhsa_wavefront_size32 1
		.amdhsa_uses_dynamic_stack 0
		.amdhsa_enable_private_segment 0
		.amdhsa_system_sgpr_workgroup_id_x 1
		.amdhsa_system_sgpr_workgroup_id_y 0
		.amdhsa_system_sgpr_workgroup_id_z 0
		.amdhsa_system_sgpr_workgroup_info 0
		.amdhsa_system_vgpr_workitem_id 0
		.amdhsa_next_free_vgpr 1
		.amdhsa_next_free_sgpr 1
		.amdhsa_named_barrier_count 0
		.amdhsa_reserve_vcc 0
		.amdhsa_float_round_mode_32 0
		.amdhsa_float_round_mode_16_64 0
		.amdhsa_float_denorm_mode_32 3
		.amdhsa_float_denorm_mode_16_64 3
		.amdhsa_fp16_overflow 0
		.amdhsa_memory_ordered 1
		.amdhsa_forward_progress 1
		.amdhsa_inst_pref_size 0
		.amdhsa_round_robin_scheduling 0
		.amdhsa_exception_fp_ieee_invalid_op 0
		.amdhsa_exception_fp_denorm_src 0
		.amdhsa_exception_fp_ieee_div_zero 0
		.amdhsa_exception_fp_ieee_overflow 0
		.amdhsa_exception_fp_ieee_underflow 0
		.amdhsa_exception_fp_ieee_inexact 0
		.amdhsa_exception_int_div_zero 0
	.end_amdhsa_kernel
	.section	.text._ZN7rocprim17ROCPRIM_400000_NS6detail17trampoline_kernelINS0_14default_configENS1_38merge_sort_block_merge_config_selectorIlNS0_10empty_typeEEEZZNS1_27merge_sort_block_merge_implIS3_PlPS5_mZN2at6native12_GLOBAL__N_124unique_dim_cuda_templateIjEESt5tupleIJNSA_6TensorESF_SF_EERKSF_lbbbEUlllE_EE10hipError_tT0_T1_T2_jT3_P12ihipStream_tbPNSt15iterator_traitsISL_E10value_typeEPNSR_ISM_E10value_typeEPSN_NS1_7vsmem_tEENKUlT_SL_SM_SN_E_clIS8_S8_S9_S9_EESK_S10_SL_SM_SN_EUlS10_E1_NS1_11comp_targetILNS1_3genE10ELNS1_11target_archE1201ELNS1_3gpuE5ELNS1_3repE0EEENS1_36merge_oddeven_config_static_selectorELNS0_4arch9wavefront6targetE0EEEvSM_,"axG",@progbits,_ZN7rocprim17ROCPRIM_400000_NS6detail17trampoline_kernelINS0_14default_configENS1_38merge_sort_block_merge_config_selectorIlNS0_10empty_typeEEEZZNS1_27merge_sort_block_merge_implIS3_PlPS5_mZN2at6native12_GLOBAL__N_124unique_dim_cuda_templateIjEESt5tupleIJNSA_6TensorESF_SF_EERKSF_lbbbEUlllE_EE10hipError_tT0_T1_T2_jT3_P12ihipStream_tbPNSt15iterator_traitsISL_E10value_typeEPNSR_ISM_E10value_typeEPSN_NS1_7vsmem_tEENKUlT_SL_SM_SN_E_clIS8_S8_S9_S9_EESK_S10_SL_SM_SN_EUlS10_E1_NS1_11comp_targetILNS1_3genE10ELNS1_11target_archE1201ELNS1_3gpuE5ELNS1_3repE0EEENS1_36merge_oddeven_config_static_selectorELNS0_4arch9wavefront6targetE0EEEvSM_,comdat
.Lfunc_end1509:
	.size	_ZN7rocprim17ROCPRIM_400000_NS6detail17trampoline_kernelINS0_14default_configENS1_38merge_sort_block_merge_config_selectorIlNS0_10empty_typeEEEZZNS1_27merge_sort_block_merge_implIS3_PlPS5_mZN2at6native12_GLOBAL__N_124unique_dim_cuda_templateIjEESt5tupleIJNSA_6TensorESF_SF_EERKSF_lbbbEUlllE_EE10hipError_tT0_T1_T2_jT3_P12ihipStream_tbPNSt15iterator_traitsISL_E10value_typeEPNSR_ISM_E10value_typeEPSN_NS1_7vsmem_tEENKUlT_SL_SM_SN_E_clIS8_S8_S9_S9_EESK_S10_SL_SM_SN_EUlS10_E1_NS1_11comp_targetILNS1_3genE10ELNS1_11target_archE1201ELNS1_3gpuE5ELNS1_3repE0EEENS1_36merge_oddeven_config_static_selectorELNS0_4arch9wavefront6targetE0EEEvSM_, .Lfunc_end1509-_ZN7rocprim17ROCPRIM_400000_NS6detail17trampoline_kernelINS0_14default_configENS1_38merge_sort_block_merge_config_selectorIlNS0_10empty_typeEEEZZNS1_27merge_sort_block_merge_implIS3_PlPS5_mZN2at6native12_GLOBAL__N_124unique_dim_cuda_templateIjEESt5tupleIJNSA_6TensorESF_SF_EERKSF_lbbbEUlllE_EE10hipError_tT0_T1_T2_jT3_P12ihipStream_tbPNSt15iterator_traitsISL_E10value_typeEPNSR_ISM_E10value_typeEPSN_NS1_7vsmem_tEENKUlT_SL_SM_SN_E_clIS8_S8_S9_S9_EESK_S10_SL_SM_SN_EUlS10_E1_NS1_11comp_targetILNS1_3genE10ELNS1_11target_archE1201ELNS1_3gpuE5ELNS1_3repE0EEENS1_36merge_oddeven_config_static_selectorELNS0_4arch9wavefront6targetE0EEEvSM_
                                        ; -- End function
	.set _ZN7rocprim17ROCPRIM_400000_NS6detail17trampoline_kernelINS0_14default_configENS1_38merge_sort_block_merge_config_selectorIlNS0_10empty_typeEEEZZNS1_27merge_sort_block_merge_implIS3_PlPS5_mZN2at6native12_GLOBAL__N_124unique_dim_cuda_templateIjEESt5tupleIJNSA_6TensorESF_SF_EERKSF_lbbbEUlllE_EE10hipError_tT0_T1_T2_jT3_P12ihipStream_tbPNSt15iterator_traitsISL_E10value_typeEPNSR_ISM_E10value_typeEPSN_NS1_7vsmem_tEENKUlT_SL_SM_SN_E_clIS8_S8_S9_S9_EESK_S10_SL_SM_SN_EUlS10_E1_NS1_11comp_targetILNS1_3genE10ELNS1_11target_archE1201ELNS1_3gpuE5ELNS1_3repE0EEENS1_36merge_oddeven_config_static_selectorELNS0_4arch9wavefront6targetE0EEEvSM_.num_vgpr, 0
	.set _ZN7rocprim17ROCPRIM_400000_NS6detail17trampoline_kernelINS0_14default_configENS1_38merge_sort_block_merge_config_selectorIlNS0_10empty_typeEEEZZNS1_27merge_sort_block_merge_implIS3_PlPS5_mZN2at6native12_GLOBAL__N_124unique_dim_cuda_templateIjEESt5tupleIJNSA_6TensorESF_SF_EERKSF_lbbbEUlllE_EE10hipError_tT0_T1_T2_jT3_P12ihipStream_tbPNSt15iterator_traitsISL_E10value_typeEPNSR_ISM_E10value_typeEPSN_NS1_7vsmem_tEENKUlT_SL_SM_SN_E_clIS8_S8_S9_S9_EESK_S10_SL_SM_SN_EUlS10_E1_NS1_11comp_targetILNS1_3genE10ELNS1_11target_archE1201ELNS1_3gpuE5ELNS1_3repE0EEENS1_36merge_oddeven_config_static_selectorELNS0_4arch9wavefront6targetE0EEEvSM_.num_agpr, 0
	.set _ZN7rocprim17ROCPRIM_400000_NS6detail17trampoline_kernelINS0_14default_configENS1_38merge_sort_block_merge_config_selectorIlNS0_10empty_typeEEEZZNS1_27merge_sort_block_merge_implIS3_PlPS5_mZN2at6native12_GLOBAL__N_124unique_dim_cuda_templateIjEESt5tupleIJNSA_6TensorESF_SF_EERKSF_lbbbEUlllE_EE10hipError_tT0_T1_T2_jT3_P12ihipStream_tbPNSt15iterator_traitsISL_E10value_typeEPNSR_ISM_E10value_typeEPSN_NS1_7vsmem_tEENKUlT_SL_SM_SN_E_clIS8_S8_S9_S9_EESK_S10_SL_SM_SN_EUlS10_E1_NS1_11comp_targetILNS1_3genE10ELNS1_11target_archE1201ELNS1_3gpuE5ELNS1_3repE0EEENS1_36merge_oddeven_config_static_selectorELNS0_4arch9wavefront6targetE0EEEvSM_.numbered_sgpr, 0
	.set _ZN7rocprim17ROCPRIM_400000_NS6detail17trampoline_kernelINS0_14default_configENS1_38merge_sort_block_merge_config_selectorIlNS0_10empty_typeEEEZZNS1_27merge_sort_block_merge_implIS3_PlPS5_mZN2at6native12_GLOBAL__N_124unique_dim_cuda_templateIjEESt5tupleIJNSA_6TensorESF_SF_EERKSF_lbbbEUlllE_EE10hipError_tT0_T1_T2_jT3_P12ihipStream_tbPNSt15iterator_traitsISL_E10value_typeEPNSR_ISM_E10value_typeEPSN_NS1_7vsmem_tEENKUlT_SL_SM_SN_E_clIS8_S8_S9_S9_EESK_S10_SL_SM_SN_EUlS10_E1_NS1_11comp_targetILNS1_3genE10ELNS1_11target_archE1201ELNS1_3gpuE5ELNS1_3repE0EEENS1_36merge_oddeven_config_static_selectorELNS0_4arch9wavefront6targetE0EEEvSM_.num_named_barrier, 0
	.set _ZN7rocprim17ROCPRIM_400000_NS6detail17trampoline_kernelINS0_14default_configENS1_38merge_sort_block_merge_config_selectorIlNS0_10empty_typeEEEZZNS1_27merge_sort_block_merge_implIS3_PlPS5_mZN2at6native12_GLOBAL__N_124unique_dim_cuda_templateIjEESt5tupleIJNSA_6TensorESF_SF_EERKSF_lbbbEUlllE_EE10hipError_tT0_T1_T2_jT3_P12ihipStream_tbPNSt15iterator_traitsISL_E10value_typeEPNSR_ISM_E10value_typeEPSN_NS1_7vsmem_tEENKUlT_SL_SM_SN_E_clIS8_S8_S9_S9_EESK_S10_SL_SM_SN_EUlS10_E1_NS1_11comp_targetILNS1_3genE10ELNS1_11target_archE1201ELNS1_3gpuE5ELNS1_3repE0EEENS1_36merge_oddeven_config_static_selectorELNS0_4arch9wavefront6targetE0EEEvSM_.private_seg_size, 0
	.set _ZN7rocprim17ROCPRIM_400000_NS6detail17trampoline_kernelINS0_14default_configENS1_38merge_sort_block_merge_config_selectorIlNS0_10empty_typeEEEZZNS1_27merge_sort_block_merge_implIS3_PlPS5_mZN2at6native12_GLOBAL__N_124unique_dim_cuda_templateIjEESt5tupleIJNSA_6TensorESF_SF_EERKSF_lbbbEUlllE_EE10hipError_tT0_T1_T2_jT3_P12ihipStream_tbPNSt15iterator_traitsISL_E10value_typeEPNSR_ISM_E10value_typeEPSN_NS1_7vsmem_tEENKUlT_SL_SM_SN_E_clIS8_S8_S9_S9_EESK_S10_SL_SM_SN_EUlS10_E1_NS1_11comp_targetILNS1_3genE10ELNS1_11target_archE1201ELNS1_3gpuE5ELNS1_3repE0EEENS1_36merge_oddeven_config_static_selectorELNS0_4arch9wavefront6targetE0EEEvSM_.uses_vcc, 0
	.set _ZN7rocprim17ROCPRIM_400000_NS6detail17trampoline_kernelINS0_14default_configENS1_38merge_sort_block_merge_config_selectorIlNS0_10empty_typeEEEZZNS1_27merge_sort_block_merge_implIS3_PlPS5_mZN2at6native12_GLOBAL__N_124unique_dim_cuda_templateIjEESt5tupleIJNSA_6TensorESF_SF_EERKSF_lbbbEUlllE_EE10hipError_tT0_T1_T2_jT3_P12ihipStream_tbPNSt15iterator_traitsISL_E10value_typeEPNSR_ISM_E10value_typeEPSN_NS1_7vsmem_tEENKUlT_SL_SM_SN_E_clIS8_S8_S9_S9_EESK_S10_SL_SM_SN_EUlS10_E1_NS1_11comp_targetILNS1_3genE10ELNS1_11target_archE1201ELNS1_3gpuE5ELNS1_3repE0EEENS1_36merge_oddeven_config_static_selectorELNS0_4arch9wavefront6targetE0EEEvSM_.uses_flat_scratch, 0
	.set _ZN7rocprim17ROCPRIM_400000_NS6detail17trampoline_kernelINS0_14default_configENS1_38merge_sort_block_merge_config_selectorIlNS0_10empty_typeEEEZZNS1_27merge_sort_block_merge_implIS3_PlPS5_mZN2at6native12_GLOBAL__N_124unique_dim_cuda_templateIjEESt5tupleIJNSA_6TensorESF_SF_EERKSF_lbbbEUlllE_EE10hipError_tT0_T1_T2_jT3_P12ihipStream_tbPNSt15iterator_traitsISL_E10value_typeEPNSR_ISM_E10value_typeEPSN_NS1_7vsmem_tEENKUlT_SL_SM_SN_E_clIS8_S8_S9_S9_EESK_S10_SL_SM_SN_EUlS10_E1_NS1_11comp_targetILNS1_3genE10ELNS1_11target_archE1201ELNS1_3gpuE5ELNS1_3repE0EEENS1_36merge_oddeven_config_static_selectorELNS0_4arch9wavefront6targetE0EEEvSM_.has_dyn_sized_stack, 0
	.set _ZN7rocprim17ROCPRIM_400000_NS6detail17trampoline_kernelINS0_14default_configENS1_38merge_sort_block_merge_config_selectorIlNS0_10empty_typeEEEZZNS1_27merge_sort_block_merge_implIS3_PlPS5_mZN2at6native12_GLOBAL__N_124unique_dim_cuda_templateIjEESt5tupleIJNSA_6TensorESF_SF_EERKSF_lbbbEUlllE_EE10hipError_tT0_T1_T2_jT3_P12ihipStream_tbPNSt15iterator_traitsISL_E10value_typeEPNSR_ISM_E10value_typeEPSN_NS1_7vsmem_tEENKUlT_SL_SM_SN_E_clIS8_S8_S9_S9_EESK_S10_SL_SM_SN_EUlS10_E1_NS1_11comp_targetILNS1_3genE10ELNS1_11target_archE1201ELNS1_3gpuE5ELNS1_3repE0EEENS1_36merge_oddeven_config_static_selectorELNS0_4arch9wavefront6targetE0EEEvSM_.has_recursion, 0
	.set _ZN7rocprim17ROCPRIM_400000_NS6detail17trampoline_kernelINS0_14default_configENS1_38merge_sort_block_merge_config_selectorIlNS0_10empty_typeEEEZZNS1_27merge_sort_block_merge_implIS3_PlPS5_mZN2at6native12_GLOBAL__N_124unique_dim_cuda_templateIjEESt5tupleIJNSA_6TensorESF_SF_EERKSF_lbbbEUlllE_EE10hipError_tT0_T1_T2_jT3_P12ihipStream_tbPNSt15iterator_traitsISL_E10value_typeEPNSR_ISM_E10value_typeEPSN_NS1_7vsmem_tEENKUlT_SL_SM_SN_E_clIS8_S8_S9_S9_EESK_S10_SL_SM_SN_EUlS10_E1_NS1_11comp_targetILNS1_3genE10ELNS1_11target_archE1201ELNS1_3gpuE5ELNS1_3repE0EEENS1_36merge_oddeven_config_static_selectorELNS0_4arch9wavefront6targetE0EEEvSM_.has_indirect_call, 0
	.section	.AMDGPU.csdata,"",@progbits
; Kernel info:
; codeLenInByte = 0
; TotalNumSgprs: 0
; NumVgprs: 0
; ScratchSize: 0
; MemoryBound: 0
; FloatMode: 240
; IeeeMode: 1
; LDSByteSize: 0 bytes/workgroup (compile time only)
; SGPRBlocks: 0
; VGPRBlocks: 0
; NumSGPRsForWavesPerEU: 1
; NumVGPRsForWavesPerEU: 1
; NamedBarCnt: 0
; Occupancy: 16
; WaveLimiterHint : 0
; COMPUTE_PGM_RSRC2:SCRATCH_EN: 0
; COMPUTE_PGM_RSRC2:USER_SGPR: 2
; COMPUTE_PGM_RSRC2:TRAP_HANDLER: 0
; COMPUTE_PGM_RSRC2:TGID_X_EN: 1
; COMPUTE_PGM_RSRC2:TGID_Y_EN: 0
; COMPUTE_PGM_RSRC2:TGID_Z_EN: 0
; COMPUTE_PGM_RSRC2:TIDIG_COMP_CNT: 0
	.section	.text._ZN7rocprim17ROCPRIM_400000_NS6detail17trampoline_kernelINS0_14default_configENS1_38merge_sort_block_merge_config_selectorIlNS0_10empty_typeEEEZZNS1_27merge_sort_block_merge_implIS3_PlPS5_mZN2at6native12_GLOBAL__N_124unique_dim_cuda_templateIjEESt5tupleIJNSA_6TensorESF_SF_EERKSF_lbbbEUlllE_EE10hipError_tT0_T1_T2_jT3_P12ihipStream_tbPNSt15iterator_traitsISL_E10value_typeEPNSR_ISM_E10value_typeEPSN_NS1_7vsmem_tEENKUlT_SL_SM_SN_E_clIS8_S8_S9_S9_EESK_S10_SL_SM_SN_EUlS10_E1_NS1_11comp_targetILNS1_3genE5ELNS1_11target_archE942ELNS1_3gpuE9ELNS1_3repE0EEENS1_36merge_oddeven_config_static_selectorELNS0_4arch9wavefront6targetE0EEEvSM_,"axG",@progbits,_ZN7rocprim17ROCPRIM_400000_NS6detail17trampoline_kernelINS0_14default_configENS1_38merge_sort_block_merge_config_selectorIlNS0_10empty_typeEEEZZNS1_27merge_sort_block_merge_implIS3_PlPS5_mZN2at6native12_GLOBAL__N_124unique_dim_cuda_templateIjEESt5tupleIJNSA_6TensorESF_SF_EERKSF_lbbbEUlllE_EE10hipError_tT0_T1_T2_jT3_P12ihipStream_tbPNSt15iterator_traitsISL_E10value_typeEPNSR_ISM_E10value_typeEPSN_NS1_7vsmem_tEENKUlT_SL_SM_SN_E_clIS8_S8_S9_S9_EESK_S10_SL_SM_SN_EUlS10_E1_NS1_11comp_targetILNS1_3genE5ELNS1_11target_archE942ELNS1_3gpuE9ELNS1_3repE0EEENS1_36merge_oddeven_config_static_selectorELNS0_4arch9wavefront6targetE0EEEvSM_,comdat
	.globl	_ZN7rocprim17ROCPRIM_400000_NS6detail17trampoline_kernelINS0_14default_configENS1_38merge_sort_block_merge_config_selectorIlNS0_10empty_typeEEEZZNS1_27merge_sort_block_merge_implIS3_PlPS5_mZN2at6native12_GLOBAL__N_124unique_dim_cuda_templateIjEESt5tupleIJNSA_6TensorESF_SF_EERKSF_lbbbEUlllE_EE10hipError_tT0_T1_T2_jT3_P12ihipStream_tbPNSt15iterator_traitsISL_E10value_typeEPNSR_ISM_E10value_typeEPSN_NS1_7vsmem_tEENKUlT_SL_SM_SN_E_clIS8_S8_S9_S9_EESK_S10_SL_SM_SN_EUlS10_E1_NS1_11comp_targetILNS1_3genE5ELNS1_11target_archE942ELNS1_3gpuE9ELNS1_3repE0EEENS1_36merge_oddeven_config_static_selectorELNS0_4arch9wavefront6targetE0EEEvSM_ ; -- Begin function _ZN7rocprim17ROCPRIM_400000_NS6detail17trampoline_kernelINS0_14default_configENS1_38merge_sort_block_merge_config_selectorIlNS0_10empty_typeEEEZZNS1_27merge_sort_block_merge_implIS3_PlPS5_mZN2at6native12_GLOBAL__N_124unique_dim_cuda_templateIjEESt5tupleIJNSA_6TensorESF_SF_EERKSF_lbbbEUlllE_EE10hipError_tT0_T1_T2_jT3_P12ihipStream_tbPNSt15iterator_traitsISL_E10value_typeEPNSR_ISM_E10value_typeEPSN_NS1_7vsmem_tEENKUlT_SL_SM_SN_E_clIS8_S8_S9_S9_EESK_S10_SL_SM_SN_EUlS10_E1_NS1_11comp_targetILNS1_3genE5ELNS1_11target_archE942ELNS1_3gpuE9ELNS1_3repE0EEENS1_36merge_oddeven_config_static_selectorELNS0_4arch9wavefront6targetE0EEEvSM_
	.p2align	8
	.type	_ZN7rocprim17ROCPRIM_400000_NS6detail17trampoline_kernelINS0_14default_configENS1_38merge_sort_block_merge_config_selectorIlNS0_10empty_typeEEEZZNS1_27merge_sort_block_merge_implIS3_PlPS5_mZN2at6native12_GLOBAL__N_124unique_dim_cuda_templateIjEESt5tupleIJNSA_6TensorESF_SF_EERKSF_lbbbEUlllE_EE10hipError_tT0_T1_T2_jT3_P12ihipStream_tbPNSt15iterator_traitsISL_E10value_typeEPNSR_ISM_E10value_typeEPSN_NS1_7vsmem_tEENKUlT_SL_SM_SN_E_clIS8_S8_S9_S9_EESK_S10_SL_SM_SN_EUlS10_E1_NS1_11comp_targetILNS1_3genE5ELNS1_11target_archE942ELNS1_3gpuE9ELNS1_3repE0EEENS1_36merge_oddeven_config_static_selectorELNS0_4arch9wavefront6targetE0EEEvSM_,@function
_ZN7rocprim17ROCPRIM_400000_NS6detail17trampoline_kernelINS0_14default_configENS1_38merge_sort_block_merge_config_selectorIlNS0_10empty_typeEEEZZNS1_27merge_sort_block_merge_implIS3_PlPS5_mZN2at6native12_GLOBAL__N_124unique_dim_cuda_templateIjEESt5tupleIJNSA_6TensorESF_SF_EERKSF_lbbbEUlllE_EE10hipError_tT0_T1_T2_jT3_P12ihipStream_tbPNSt15iterator_traitsISL_E10value_typeEPNSR_ISM_E10value_typeEPSN_NS1_7vsmem_tEENKUlT_SL_SM_SN_E_clIS8_S8_S9_S9_EESK_S10_SL_SM_SN_EUlS10_E1_NS1_11comp_targetILNS1_3genE5ELNS1_11target_archE942ELNS1_3gpuE9ELNS1_3repE0EEENS1_36merge_oddeven_config_static_selectorELNS0_4arch9wavefront6targetE0EEEvSM_: ; @_ZN7rocprim17ROCPRIM_400000_NS6detail17trampoline_kernelINS0_14default_configENS1_38merge_sort_block_merge_config_selectorIlNS0_10empty_typeEEEZZNS1_27merge_sort_block_merge_implIS3_PlPS5_mZN2at6native12_GLOBAL__N_124unique_dim_cuda_templateIjEESt5tupleIJNSA_6TensorESF_SF_EERKSF_lbbbEUlllE_EE10hipError_tT0_T1_T2_jT3_P12ihipStream_tbPNSt15iterator_traitsISL_E10value_typeEPNSR_ISM_E10value_typeEPSN_NS1_7vsmem_tEENKUlT_SL_SM_SN_E_clIS8_S8_S9_S9_EESK_S10_SL_SM_SN_EUlS10_E1_NS1_11comp_targetILNS1_3genE5ELNS1_11target_archE942ELNS1_3gpuE9ELNS1_3repE0EEENS1_36merge_oddeven_config_static_selectorELNS0_4arch9wavefront6targetE0EEEvSM_
; %bb.0:
	.section	.rodata,"a",@progbits
	.p2align	6, 0x0
	.amdhsa_kernel _ZN7rocprim17ROCPRIM_400000_NS6detail17trampoline_kernelINS0_14default_configENS1_38merge_sort_block_merge_config_selectorIlNS0_10empty_typeEEEZZNS1_27merge_sort_block_merge_implIS3_PlPS5_mZN2at6native12_GLOBAL__N_124unique_dim_cuda_templateIjEESt5tupleIJNSA_6TensorESF_SF_EERKSF_lbbbEUlllE_EE10hipError_tT0_T1_T2_jT3_P12ihipStream_tbPNSt15iterator_traitsISL_E10value_typeEPNSR_ISM_E10value_typeEPSN_NS1_7vsmem_tEENKUlT_SL_SM_SN_E_clIS8_S8_S9_S9_EESK_S10_SL_SM_SN_EUlS10_E1_NS1_11comp_targetILNS1_3genE5ELNS1_11target_archE942ELNS1_3gpuE9ELNS1_3repE0EEENS1_36merge_oddeven_config_static_selectorELNS0_4arch9wavefront6targetE0EEEvSM_
		.amdhsa_group_segment_fixed_size 0
		.amdhsa_private_segment_fixed_size 0
		.amdhsa_kernarg_size 64
		.amdhsa_user_sgpr_count 2
		.amdhsa_user_sgpr_dispatch_ptr 0
		.amdhsa_user_sgpr_queue_ptr 0
		.amdhsa_user_sgpr_kernarg_segment_ptr 1
		.amdhsa_user_sgpr_dispatch_id 0
		.amdhsa_user_sgpr_kernarg_preload_length 0
		.amdhsa_user_sgpr_kernarg_preload_offset 0
		.amdhsa_user_sgpr_private_segment_size 0
		.amdhsa_wavefront_size32 1
		.amdhsa_uses_dynamic_stack 0
		.amdhsa_enable_private_segment 0
		.amdhsa_system_sgpr_workgroup_id_x 1
		.amdhsa_system_sgpr_workgroup_id_y 0
		.amdhsa_system_sgpr_workgroup_id_z 0
		.amdhsa_system_sgpr_workgroup_info 0
		.amdhsa_system_vgpr_workitem_id 0
		.amdhsa_next_free_vgpr 1
		.amdhsa_next_free_sgpr 1
		.amdhsa_named_barrier_count 0
		.amdhsa_reserve_vcc 0
		.amdhsa_float_round_mode_32 0
		.amdhsa_float_round_mode_16_64 0
		.amdhsa_float_denorm_mode_32 3
		.amdhsa_float_denorm_mode_16_64 3
		.amdhsa_fp16_overflow 0
		.amdhsa_memory_ordered 1
		.amdhsa_forward_progress 1
		.amdhsa_inst_pref_size 0
		.amdhsa_round_robin_scheduling 0
		.amdhsa_exception_fp_ieee_invalid_op 0
		.amdhsa_exception_fp_denorm_src 0
		.amdhsa_exception_fp_ieee_div_zero 0
		.amdhsa_exception_fp_ieee_overflow 0
		.amdhsa_exception_fp_ieee_underflow 0
		.amdhsa_exception_fp_ieee_inexact 0
		.amdhsa_exception_int_div_zero 0
	.end_amdhsa_kernel
	.section	.text._ZN7rocprim17ROCPRIM_400000_NS6detail17trampoline_kernelINS0_14default_configENS1_38merge_sort_block_merge_config_selectorIlNS0_10empty_typeEEEZZNS1_27merge_sort_block_merge_implIS3_PlPS5_mZN2at6native12_GLOBAL__N_124unique_dim_cuda_templateIjEESt5tupleIJNSA_6TensorESF_SF_EERKSF_lbbbEUlllE_EE10hipError_tT0_T1_T2_jT3_P12ihipStream_tbPNSt15iterator_traitsISL_E10value_typeEPNSR_ISM_E10value_typeEPSN_NS1_7vsmem_tEENKUlT_SL_SM_SN_E_clIS8_S8_S9_S9_EESK_S10_SL_SM_SN_EUlS10_E1_NS1_11comp_targetILNS1_3genE5ELNS1_11target_archE942ELNS1_3gpuE9ELNS1_3repE0EEENS1_36merge_oddeven_config_static_selectorELNS0_4arch9wavefront6targetE0EEEvSM_,"axG",@progbits,_ZN7rocprim17ROCPRIM_400000_NS6detail17trampoline_kernelINS0_14default_configENS1_38merge_sort_block_merge_config_selectorIlNS0_10empty_typeEEEZZNS1_27merge_sort_block_merge_implIS3_PlPS5_mZN2at6native12_GLOBAL__N_124unique_dim_cuda_templateIjEESt5tupleIJNSA_6TensorESF_SF_EERKSF_lbbbEUlllE_EE10hipError_tT0_T1_T2_jT3_P12ihipStream_tbPNSt15iterator_traitsISL_E10value_typeEPNSR_ISM_E10value_typeEPSN_NS1_7vsmem_tEENKUlT_SL_SM_SN_E_clIS8_S8_S9_S9_EESK_S10_SL_SM_SN_EUlS10_E1_NS1_11comp_targetILNS1_3genE5ELNS1_11target_archE942ELNS1_3gpuE9ELNS1_3repE0EEENS1_36merge_oddeven_config_static_selectorELNS0_4arch9wavefront6targetE0EEEvSM_,comdat
.Lfunc_end1510:
	.size	_ZN7rocprim17ROCPRIM_400000_NS6detail17trampoline_kernelINS0_14default_configENS1_38merge_sort_block_merge_config_selectorIlNS0_10empty_typeEEEZZNS1_27merge_sort_block_merge_implIS3_PlPS5_mZN2at6native12_GLOBAL__N_124unique_dim_cuda_templateIjEESt5tupleIJNSA_6TensorESF_SF_EERKSF_lbbbEUlllE_EE10hipError_tT0_T1_T2_jT3_P12ihipStream_tbPNSt15iterator_traitsISL_E10value_typeEPNSR_ISM_E10value_typeEPSN_NS1_7vsmem_tEENKUlT_SL_SM_SN_E_clIS8_S8_S9_S9_EESK_S10_SL_SM_SN_EUlS10_E1_NS1_11comp_targetILNS1_3genE5ELNS1_11target_archE942ELNS1_3gpuE9ELNS1_3repE0EEENS1_36merge_oddeven_config_static_selectorELNS0_4arch9wavefront6targetE0EEEvSM_, .Lfunc_end1510-_ZN7rocprim17ROCPRIM_400000_NS6detail17trampoline_kernelINS0_14default_configENS1_38merge_sort_block_merge_config_selectorIlNS0_10empty_typeEEEZZNS1_27merge_sort_block_merge_implIS3_PlPS5_mZN2at6native12_GLOBAL__N_124unique_dim_cuda_templateIjEESt5tupleIJNSA_6TensorESF_SF_EERKSF_lbbbEUlllE_EE10hipError_tT0_T1_T2_jT3_P12ihipStream_tbPNSt15iterator_traitsISL_E10value_typeEPNSR_ISM_E10value_typeEPSN_NS1_7vsmem_tEENKUlT_SL_SM_SN_E_clIS8_S8_S9_S9_EESK_S10_SL_SM_SN_EUlS10_E1_NS1_11comp_targetILNS1_3genE5ELNS1_11target_archE942ELNS1_3gpuE9ELNS1_3repE0EEENS1_36merge_oddeven_config_static_selectorELNS0_4arch9wavefront6targetE0EEEvSM_
                                        ; -- End function
	.set _ZN7rocprim17ROCPRIM_400000_NS6detail17trampoline_kernelINS0_14default_configENS1_38merge_sort_block_merge_config_selectorIlNS0_10empty_typeEEEZZNS1_27merge_sort_block_merge_implIS3_PlPS5_mZN2at6native12_GLOBAL__N_124unique_dim_cuda_templateIjEESt5tupleIJNSA_6TensorESF_SF_EERKSF_lbbbEUlllE_EE10hipError_tT0_T1_T2_jT3_P12ihipStream_tbPNSt15iterator_traitsISL_E10value_typeEPNSR_ISM_E10value_typeEPSN_NS1_7vsmem_tEENKUlT_SL_SM_SN_E_clIS8_S8_S9_S9_EESK_S10_SL_SM_SN_EUlS10_E1_NS1_11comp_targetILNS1_3genE5ELNS1_11target_archE942ELNS1_3gpuE9ELNS1_3repE0EEENS1_36merge_oddeven_config_static_selectorELNS0_4arch9wavefront6targetE0EEEvSM_.num_vgpr, 0
	.set _ZN7rocprim17ROCPRIM_400000_NS6detail17trampoline_kernelINS0_14default_configENS1_38merge_sort_block_merge_config_selectorIlNS0_10empty_typeEEEZZNS1_27merge_sort_block_merge_implIS3_PlPS5_mZN2at6native12_GLOBAL__N_124unique_dim_cuda_templateIjEESt5tupleIJNSA_6TensorESF_SF_EERKSF_lbbbEUlllE_EE10hipError_tT0_T1_T2_jT3_P12ihipStream_tbPNSt15iterator_traitsISL_E10value_typeEPNSR_ISM_E10value_typeEPSN_NS1_7vsmem_tEENKUlT_SL_SM_SN_E_clIS8_S8_S9_S9_EESK_S10_SL_SM_SN_EUlS10_E1_NS1_11comp_targetILNS1_3genE5ELNS1_11target_archE942ELNS1_3gpuE9ELNS1_3repE0EEENS1_36merge_oddeven_config_static_selectorELNS0_4arch9wavefront6targetE0EEEvSM_.num_agpr, 0
	.set _ZN7rocprim17ROCPRIM_400000_NS6detail17trampoline_kernelINS0_14default_configENS1_38merge_sort_block_merge_config_selectorIlNS0_10empty_typeEEEZZNS1_27merge_sort_block_merge_implIS3_PlPS5_mZN2at6native12_GLOBAL__N_124unique_dim_cuda_templateIjEESt5tupleIJNSA_6TensorESF_SF_EERKSF_lbbbEUlllE_EE10hipError_tT0_T1_T2_jT3_P12ihipStream_tbPNSt15iterator_traitsISL_E10value_typeEPNSR_ISM_E10value_typeEPSN_NS1_7vsmem_tEENKUlT_SL_SM_SN_E_clIS8_S8_S9_S9_EESK_S10_SL_SM_SN_EUlS10_E1_NS1_11comp_targetILNS1_3genE5ELNS1_11target_archE942ELNS1_3gpuE9ELNS1_3repE0EEENS1_36merge_oddeven_config_static_selectorELNS0_4arch9wavefront6targetE0EEEvSM_.numbered_sgpr, 0
	.set _ZN7rocprim17ROCPRIM_400000_NS6detail17trampoline_kernelINS0_14default_configENS1_38merge_sort_block_merge_config_selectorIlNS0_10empty_typeEEEZZNS1_27merge_sort_block_merge_implIS3_PlPS5_mZN2at6native12_GLOBAL__N_124unique_dim_cuda_templateIjEESt5tupleIJNSA_6TensorESF_SF_EERKSF_lbbbEUlllE_EE10hipError_tT0_T1_T2_jT3_P12ihipStream_tbPNSt15iterator_traitsISL_E10value_typeEPNSR_ISM_E10value_typeEPSN_NS1_7vsmem_tEENKUlT_SL_SM_SN_E_clIS8_S8_S9_S9_EESK_S10_SL_SM_SN_EUlS10_E1_NS1_11comp_targetILNS1_3genE5ELNS1_11target_archE942ELNS1_3gpuE9ELNS1_3repE0EEENS1_36merge_oddeven_config_static_selectorELNS0_4arch9wavefront6targetE0EEEvSM_.num_named_barrier, 0
	.set _ZN7rocprim17ROCPRIM_400000_NS6detail17trampoline_kernelINS0_14default_configENS1_38merge_sort_block_merge_config_selectorIlNS0_10empty_typeEEEZZNS1_27merge_sort_block_merge_implIS3_PlPS5_mZN2at6native12_GLOBAL__N_124unique_dim_cuda_templateIjEESt5tupleIJNSA_6TensorESF_SF_EERKSF_lbbbEUlllE_EE10hipError_tT0_T1_T2_jT3_P12ihipStream_tbPNSt15iterator_traitsISL_E10value_typeEPNSR_ISM_E10value_typeEPSN_NS1_7vsmem_tEENKUlT_SL_SM_SN_E_clIS8_S8_S9_S9_EESK_S10_SL_SM_SN_EUlS10_E1_NS1_11comp_targetILNS1_3genE5ELNS1_11target_archE942ELNS1_3gpuE9ELNS1_3repE0EEENS1_36merge_oddeven_config_static_selectorELNS0_4arch9wavefront6targetE0EEEvSM_.private_seg_size, 0
	.set _ZN7rocprim17ROCPRIM_400000_NS6detail17trampoline_kernelINS0_14default_configENS1_38merge_sort_block_merge_config_selectorIlNS0_10empty_typeEEEZZNS1_27merge_sort_block_merge_implIS3_PlPS5_mZN2at6native12_GLOBAL__N_124unique_dim_cuda_templateIjEESt5tupleIJNSA_6TensorESF_SF_EERKSF_lbbbEUlllE_EE10hipError_tT0_T1_T2_jT3_P12ihipStream_tbPNSt15iterator_traitsISL_E10value_typeEPNSR_ISM_E10value_typeEPSN_NS1_7vsmem_tEENKUlT_SL_SM_SN_E_clIS8_S8_S9_S9_EESK_S10_SL_SM_SN_EUlS10_E1_NS1_11comp_targetILNS1_3genE5ELNS1_11target_archE942ELNS1_3gpuE9ELNS1_3repE0EEENS1_36merge_oddeven_config_static_selectorELNS0_4arch9wavefront6targetE0EEEvSM_.uses_vcc, 0
	.set _ZN7rocprim17ROCPRIM_400000_NS6detail17trampoline_kernelINS0_14default_configENS1_38merge_sort_block_merge_config_selectorIlNS0_10empty_typeEEEZZNS1_27merge_sort_block_merge_implIS3_PlPS5_mZN2at6native12_GLOBAL__N_124unique_dim_cuda_templateIjEESt5tupleIJNSA_6TensorESF_SF_EERKSF_lbbbEUlllE_EE10hipError_tT0_T1_T2_jT3_P12ihipStream_tbPNSt15iterator_traitsISL_E10value_typeEPNSR_ISM_E10value_typeEPSN_NS1_7vsmem_tEENKUlT_SL_SM_SN_E_clIS8_S8_S9_S9_EESK_S10_SL_SM_SN_EUlS10_E1_NS1_11comp_targetILNS1_3genE5ELNS1_11target_archE942ELNS1_3gpuE9ELNS1_3repE0EEENS1_36merge_oddeven_config_static_selectorELNS0_4arch9wavefront6targetE0EEEvSM_.uses_flat_scratch, 0
	.set _ZN7rocprim17ROCPRIM_400000_NS6detail17trampoline_kernelINS0_14default_configENS1_38merge_sort_block_merge_config_selectorIlNS0_10empty_typeEEEZZNS1_27merge_sort_block_merge_implIS3_PlPS5_mZN2at6native12_GLOBAL__N_124unique_dim_cuda_templateIjEESt5tupleIJNSA_6TensorESF_SF_EERKSF_lbbbEUlllE_EE10hipError_tT0_T1_T2_jT3_P12ihipStream_tbPNSt15iterator_traitsISL_E10value_typeEPNSR_ISM_E10value_typeEPSN_NS1_7vsmem_tEENKUlT_SL_SM_SN_E_clIS8_S8_S9_S9_EESK_S10_SL_SM_SN_EUlS10_E1_NS1_11comp_targetILNS1_3genE5ELNS1_11target_archE942ELNS1_3gpuE9ELNS1_3repE0EEENS1_36merge_oddeven_config_static_selectorELNS0_4arch9wavefront6targetE0EEEvSM_.has_dyn_sized_stack, 0
	.set _ZN7rocprim17ROCPRIM_400000_NS6detail17trampoline_kernelINS0_14default_configENS1_38merge_sort_block_merge_config_selectorIlNS0_10empty_typeEEEZZNS1_27merge_sort_block_merge_implIS3_PlPS5_mZN2at6native12_GLOBAL__N_124unique_dim_cuda_templateIjEESt5tupleIJNSA_6TensorESF_SF_EERKSF_lbbbEUlllE_EE10hipError_tT0_T1_T2_jT3_P12ihipStream_tbPNSt15iterator_traitsISL_E10value_typeEPNSR_ISM_E10value_typeEPSN_NS1_7vsmem_tEENKUlT_SL_SM_SN_E_clIS8_S8_S9_S9_EESK_S10_SL_SM_SN_EUlS10_E1_NS1_11comp_targetILNS1_3genE5ELNS1_11target_archE942ELNS1_3gpuE9ELNS1_3repE0EEENS1_36merge_oddeven_config_static_selectorELNS0_4arch9wavefront6targetE0EEEvSM_.has_recursion, 0
	.set _ZN7rocprim17ROCPRIM_400000_NS6detail17trampoline_kernelINS0_14default_configENS1_38merge_sort_block_merge_config_selectorIlNS0_10empty_typeEEEZZNS1_27merge_sort_block_merge_implIS3_PlPS5_mZN2at6native12_GLOBAL__N_124unique_dim_cuda_templateIjEESt5tupleIJNSA_6TensorESF_SF_EERKSF_lbbbEUlllE_EE10hipError_tT0_T1_T2_jT3_P12ihipStream_tbPNSt15iterator_traitsISL_E10value_typeEPNSR_ISM_E10value_typeEPSN_NS1_7vsmem_tEENKUlT_SL_SM_SN_E_clIS8_S8_S9_S9_EESK_S10_SL_SM_SN_EUlS10_E1_NS1_11comp_targetILNS1_3genE5ELNS1_11target_archE942ELNS1_3gpuE9ELNS1_3repE0EEENS1_36merge_oddeven_config_static_selectorELNS0_4arch9wavefront6targetE0EEEvSM_.has_indirect_call, 0
	.section	.AMDGPU.csdata,"",@progbits
; Kernel info:
; codeLenInByte = 0
; TotalNumSgprs: 0
; NumVgprs: 0
; ScratchSize: 0
; MemoryBound: 0
; FloatMode: 240
; IeeeMode: 1
; LDSByteSize: 0 bytes/workgroup (compile time only)
; SGPRBlocks: 0
; VGPRBlocks: 0
; NumSGPRsForWavesPerEU: 1
; NumVGPRsForWavesPerEU: 1
; NamedBarCnt: 0
; Occupancy: 16
; WaveLimiterHint : 0
; COMPUTE_PGM_RSRC2:SCRATCH_EN: 0
; COMPUTE_PGM_RSRC2:USER_SGPR: 2
; COMPUTE_PGM_RSRC2:TRAP_HANDLER: 0
; COMPUTE_PGM_RSRC2:TGID_X_EN: 1
; COMPUTE_PGM_RSRC2:TGID_Y_EN: 0
; COMPUTE_PGM_RSRC2:TGID_Z_EN: 0
; COMPUTE_PGM_RSRC2:TIDIG_COMP_CNT: 0
	.section	.text._ZN7rocprim17ROCPRIM_400000_NS6detail17trampoline_kernelINS0_14default_configENS1_38merge_sort_block_merge_config_selectorIlNS0_10empty_typeEEEZZNS1_27merge_sort_block_merge_implIS3_PlPS5_mZN2at6native12_GLOBAL__N_124unique_dim_cuda_templateIjEESt5tupleIJNSA_6TensorESF_SF_EERKSF_lbbbEUlllE_EE10hipError_tT0_T1_T2_jT3_P12ihipStream_tbPNSt15iterator_traitsISL_E10value_typeEPNSR_ISM_E10value_typeEPSN_NS1_7vsmem_tEENKUlT_SL_SM_SN_E_clIS8_S8_S9_S9_EESK_S10_SL_SM_SN_EUlS10_E1_NS1_11comp_targetILNS1_3genE4ELNS1_11target_archE910ELNS1_3gpuE8ELNS1_3repE0EEENS1_36merge_oddeven_config_static_selectorELNS0_4arch9wavefront6targetE0EEEvSM_,"axG",@progbits,_ZN7rocprim17ROCPRIM_400000_NS6detail17trampoline_kernelINS0_14default_configENS1_38merge_sort_block_merge_config_selectorIlNS0_10empty_typeEEEZZNS1_27merge_sort_block_merge_implIS3_PlPS5_mZN2at6native12_GLOBAL__N_124unique_dim_cuda_templateIjEESt5tupleIJNSA_6TensorESF_SF_EERKSF_lbbbEUlllE_EE10hipError_tT0_T1_T2_jT3_P12ihipStream_tbPNSt15iterator_traitsISL_E10value_typeEPNSR_ISM_E10value_typeEPSN_NS1_7vsmem_tEENKUlT_SL_SM_SN_E_clIS8_S8_S9_S9_EESK_S10_SL_SM_SN_EUlS10_E1_NS1_11comp_targetILNS1_3genE4ELNS1_11target_archE910ELNS1_3gpuE8ELNS1_3repE0EEENS1_36merge_oddeven_config_static_selectorELNS0_4arch9wavefront6targetE0EEEvSM_,comdat
	.globl	_ZN7rocprim17ROCPRIM_400000_NS6detail17trampoline_kernelINS0_14default_configENS1_38merge_sort_block_merge_config_selectorIlNS0_10empty_typeEEEZZNS1_27merge_sort_block_merge_implIS3_PlPS5_mZN2at6native12_GLOBAL__N_124unique_dim_cuda_templateIjEESt5tupleIJNSA_6TensorESF_SF_EERKSF_lbbbEUlllE_EE10hipError_tT0_T1_T2_jT3_P12ihipStream_tbPNSt15iterator_traitsISL_E10value_typeEPNSR_ISM_E10value_typeEPSN_NS1_7vsmem_tEENKUlT_SL_SM_SN_E_clIS8_S8_S9_S9_EESK_S10_SL_SM_SN_EUlS10_E1_NS1_11comp_targetILNS1_3genE4ELNS1_11target_archE910ELNS1_3gpuE8ELNS1_3repE0EEENS1_36merge_oddeven_config_static_selectorELNS0_4arch9wavefront6targetE0EEEvSM_ ; -- Begin function _ZN7rocprim17ROCPRIM_400000_NS6detail17trampoline_kernelINS0_14default_configENS1_38merge_sort_block_merge_config_selectorIlNS0_10empty_typeEEEZZNS1_27merge_sort_block_merge_implIS3_PlPS5_mZN2at6native12_GLOBAL__N_124unique_dim_cuda_templateIjEESt5tupleIJNSA_6TensorESF_SF_EERKSF_lbbbEUlllE_EE10hipError_tT0_T1_T2_jT3_P12ihipStream_tbPNSt15iterator_traitsISL_E10value_typeEPNSR_ISM_E10value_typeEPSN_NS1_7vsmem_tEENKUlT_SL_SM_SN_E_clIS8_S8_S9_S9_EESK_S10_SL_SM_SN_EUlS10_E1_NS1_11comp_targetILNS1_3genE4ELNS1_11target_archE910ELNS1_3gpuE8ELNS1_3repE0EEENS1_36merge_oddeven_config_static_selectorELNS0_4arch9wavefront6targetE0EEEvSM_
	.p2align	8
	.type	_ZN7rocprim17ROCPRIM_400000_NS6detail17trampoline_kernelINS0_14default_configENS1_38merge_sort_block_merge_config_selectorIlNS0_10empty_typeEEEZZNS1_27merge_sort_block_merge_implIS3_PlPS5_mZN2at6native12_GLOBAL__N_124unique_dim_cuda_templateIjEESt5tupleIJNSA_6TensorESF_SF_EERKSF_lbbbEUlllE_EE10hipError_tT0_T1_T2_jT3_P12ihipStream_tbPNSt15iterator_traitsISL_E10value_typeEPNSR_ISM_E10value_typeEPSN_NS1_7vsmem_tEENKUlT_SL_SM_SN_E_clIS8_S8_S9_S9_EESK_S10_SL_SM_SN_EUlS10_E1_NS1_11comp_targetILNS1_3genE4ELNS1_11target_archE910ELNS1_3gpuE8ELNS1_3repE0EEENS1_36merge_oddeven_config_static_selectorELNS0_4arch9wavefront6targetE0EEEvSM_,@function
_ZN7rocprim17ROCPRIM_400000_NS6detail17trampoline_kernelINS0_14default_configENS1_38merge_sort_block_merge_config_selectorIlNS0_10empty_typeEEEZZNS1_27merge_sort_block_merge_implIS3_PlPS5_mZN2at6native12_GLOBAL__N_124unique_dim_cuda_templateIjEESt5tupleIJNSA_6TensorESF_SF_EERKSF_lbbbEUlllE_EE10hipError_tT0_T1_T2_jT3_P12ihipStream_tbPNSt15iterator_traitsISL_E10value_typeEPNSR_ISM_E10value_typeEPSN_NS1_7vsmem_tEENKUlT_SL_SM_SN_E_clIS8_S8_S9_S9_EESK_S10_SL_SM_SN_EUlS10_E1_NS1_11comp_targetILNS1_3genE4ELNS1_11target_archE910ELNS1_3gpuE8ELNS1_3repE0EEENS1_36merge_oddeven_config_static_selectorELNS0_4arch9wavefront6targetE0EEEvSM_: ; @_ZN7rocprim17ROCPRIM_400000_NS6detail17trampoline_kernelINS0_14default_configENS1_38merge_sort_block_merge_config_selectorIlNS0_10empty_typeEEEZZNS1_27merge_sort_block_merge_implIS3_PlPS5_mZN2at6native12_GLOBAL__N_124unique_dim_cuda_templateIjEESt5tupleIJNSA_6TensorESF_SF_EERKSF_lbbbEUlllE_EE10hipError_tT0_T1_T2_jT3_P12ihipStream_tbPNSt15iterator_traitsISL_E10value_typeEPNSR_ISM_E10value_typeEPSN_NS1_7vsmem_tEENKUlT_SL_SM_SN_E_clIS8_S8_S9_S9_EESK_S10_SL_SM_SN_EUlS10_E1_NS1_11comp_targetILNS1_3genE4ELNS1_11target_archE910ELNS1_3gpuE8ELNS1_3repE0EEENS1_36merge_oddeven_config_static_selectorELNS0_4arch9wavefront6targetE0EEEvSM_
; %bb.0:
	.section	.rodata,"a",@progbits
	.p2align	6, 0x0
	.amdhsa_kernel _ZN7rocprim17ROCPRIM_400000_NS6detail17trampoline_kernelINS0_14default_configENS1_38merge_sort_block_merge_config_selectorIlNS0_10empty_typeEEEZZNS1_27merge_sort_block_merge_implIS3_PlPS5_mZN2at6native12_GLOBAL__N_124unique_dim_cuda_templateIjEESt5tupleIJNSA_6TensorESF_SF_EERKSF_lbbbEUlllE_EE10hipError_tT0_T1_T2_jT3_P12ihipStream_tbPNSt15iterator_traitsISL_E10value_typeEPNSR_ISM_E10value_typeEPSN_NS1_7vsmem_tEENKUlT_SL_SM_SN_E_clIS8_S8_S9_S9_EESK_S10_SL_SM_SN_EUlS10_E1_NS1_11comp_targetILNS1_3genE4ELNS1_11target_archE910ELNS1_3gpuE8ELNS1_3repE0EEENS1_36merge_oddeven_config_static_selectorELNS0_4arch9wavefront6targetE0EEEvSM_
		.amdhsa_group_segment_fixed_size 0
		.amdhsa_private_segment_fixed_size 0
		.amdhsa_kernarg_size 64
		.amdhsa_user_sgpr_count 2
		.amdhsa_user_sgpr_dispatch_ptr 0
		.amdhsa_user_sgpr_queue_ptr 0
		.amdhsa_user_sgpr_kernarg_segment_ptr 1
		.amdhsa_user_sgpr_dispatch_id 0
		.amdhsa_user_sgpr_kernarg_preload_length 0
		.amdhsa_user_sgpr_kernarg_preload_offset 0
		.amdhsa_user_sgpr_private_segment_size 0
		.amdhsa_wavefront_size32 1
		.amdhsa_uses_dynamic_stack 0
		.amdhsa_enable_private_segment 0
		.amdhsa_system_sgpr_workgroup_id_x 1
		.amdhsa_system_sgpr_workgroup_id_y 0
		.amdhsa_system_sgpr_workgroup_id_z 0
		.amdhsa_system_sgpr_workgroup_info 0
		.amdhsa_system_vgpr_workitem_id 0
		.amdhsa_next_free_vgpr 1
		.amdhsa_next_free_sgpr 1
		.amdhsa_named_barrier_count 0
		.amdhsa_reserve_vcc 0
		.amdhsa_float_round_mode_32 0
		.amdhsa_float_round_mode_16_64 0
		.amdhsa_float_denorm_mode_32 3
		.amdhsa_float_denorm_mode_16_64 3
		.amdhsa_fp16_overflow 0
		.amdhsa_memory_ordered 1
		.amdhsa_forward_progress 1
		.amdhsa_inst_pref_size 0
		.amdhsa_round_robin_scheduling 0
		.amdhsa_exception_fp_ieee_invalid_op 0
		.amdhsa_exception_fp_denorm_src 0
		.amdhsa_exception_fp_ieee_div_zero 0
		.amdhsa_exception_fp_ieee_overflow 0
		.amdhsa_exception_fp_ieee_underflow 0
		.amdhsa_exception_fp_ieee_inexact 0
		.amdhsa_exception_int_div_zero 0
	.end_amdhsa_kernel
	.section	.text._ZN7rocprim17ROCPRIM_400000_NS6detail17trampoline_kernelINS0_14default_configENS1_38merge_sort_block_merge_config_selectorIlNS0_10empty_typeEEEZZNS1_27merge_sort_block_merge_implIS3_PlPS5_mZN2at6native12_GLOBAL__N_124unique_dim_cuda_templateIjEESt5tupleIJNSA_6TensorESF_SF_EERKSF_lbbbEUlllE_EE10hipError_tT0_T1_T2_jT3_P12ihipStream_tbPNSt15iterator_traitsISL_E10value_typeEPNSR_ISM_E10value_typeEPSN_NS1_7vsmem_tEENKUlT_SL_SM_SN_E_clIS8_S8_S9_S9_EESK_S10_SL_SM_SN_EUlS10_E1_NS1_11comp_targetILNS1_3genE4ELNS1_11target_archE910ELNS1_3gpuE8ELNS1_3repE0EEENS1_36merge_oddeven_config_static_selectorELNS0_4arch9wavefront6targetE0EEEvSM_,"axG",@progbits,_ZN7rocprim17ROCPRIM_400000_NS6detail17trampoline_kernelINS0_14default_configENS1_38merge_sort_block_merge_config_selectorIlNS0_10empty_typeEEEZZNS1_27merge_sort_block_merge_implIS3_PlPS5_mZN2at6native12_GLOBAL__N_124unique_dim_cuda_templateIjEESt5tupleIJNSA_6TensorESF_SF_EERKSF_lbbbEUlllE_EE10hipError_tT0_T1_T2_jT3_P12ihipStream_tbPNSt15iterator_traitsISL_E10value_typeEPNSR_ISM_E10value_typeEPSN_NS1_7vsmem_tEENKUlT_SL_SM_SN_E_clIS8_S8_S9_S9_EESK_S10_SL_SM_SN_EUlS10_E1_NS1_11comp_targetILNS1_3genE4ELNS1_11target_archE910ELNS1_3gpuE8ELNS1_3repE0EEENS1_36merge_oddeven_config_static_selectorELNS0_4arch9wavefront6targetE0EEEvSM_,comdat
.Lfunc_end1511:
	.size	_ZN7rocprim17ROCPRIM_400000_NS6detail17trampoline_kernelINS0_14default_configENS1_38merge_sort_block_merge_config_selectorIlNS0_10empty_typeEEEZZNS1_27merge_sort_block_merge_implIS3_PlPS5_mZN2at6native12_GLOBAL__N_124unique_dim_cuda_templateIjEESt5tupleIJNSA_6TensorESF_SF_EERKSF_lbbbEUlllE_EE10hipError_tT0_T1_T2_jT3_P12ihipStream_tbPNSt15iterator_traitsISL_E10value_typeEPNSR_ISM_E10value_typeEPSN_NS1_7vsmem_tEENKUlT_SL_SM_SN_E_clIS8_S8_S9_S9_EESK_S10_SL_SM_SN_EUlS10_E1_NS1_11comp_targetILNS1_3genE4ELNS1_11target_archE910ELNS1_3gpuE8ELNS1_3repE0EEENS1_36merge_oddeven_config_static_selectorELNS0_4arch9wavefront6targetE0EEEvSM_, .Lfunc_end1511-_ZN7rocprim17ROCPRIM_400000_NS6detail17trampoline_kernelINS0_14default_configENS1_38merge_sort_block_merge_config_selectorIlNS0_10empty_typeEEEZZNS1_27merge_sort_block_merge_implIS3_PlPS5_mZN2at6native12_GLOBAL__N_124unique_dim_cuda_templateIjEESt5tupleIJNSA_6TensorESF_SF_EERKSF_lbbbEUlllE_EE10hipError_tT0_T1_T2_jT3_P12ihipStream_tbPNSt15iterator_traitsISL_E10value_typeEPNSR_ISM_E10value_typeEPSN_NS1_7vsmem_tEENKUlT_SL_SM_SN_E_clIS8_S8_S9_S9_EESK_S10_SL_SM_SN_EUlS10_E1_NS1_11comp_targetILNS1_3genE4ELNS1_11target_archE910ELNS1_3gpuE8ELNS1_3repE0EEENS1_36merge_oddeven_config_static_selectorELNS0_4arch9wavefront6targetE0EEEvSM_
                                        ; -- End function
	.set _ZN7rocprim17ROCPRIM_400000_NS6detail17trampoline_kernelINS0_14default_configENS1_38merge_sort_block_merge_config_selectorIlNS0_10empty_typeEEEZZNS1_27merge_sort_block_merge_implIS3_PlPS5_mZN2at6native12_GLOBAL__N_124unique_dim_cuda_templateIjEESt5tupleIJNSA_6TensorESF_SF_EERKSF_lbbbEUlllE_EE10hipError_tT0_T1_T2_jT3_P12ihipStream_tbPNSt15iterator_traitsISL_E10value_typeEPNSR_ISM_E10value_typeEPSN_NS1_7vsmem_tEENKUlT_SL_SM_SN_E_clIS8_S8_S9_S9_EESK_S10_SL_SM_SN_EUlS10_E1_NS1_11comp_targetILNS1_3genE4ELNS1_11target_archE910ELNS1_3gpuE8ELNS1_3repE0EEENS1_36merge_oddeven_config_static_selectorELNS0_4arch9wavefront6targetE0EEEvSM_.num_vgpr, 0
	.set _ZN7rocprim17ROCPRIM_400000_NS6detail17trampoline_kernelINS0_14default_configENS1_38merge_sort_block_merge_config_selectorIlNS0_10empty_typeEEEZZNS1_27merge_sort_block_merge_implIS3_PlPS5_mZN2at6native12_GLOBAL__N_124unique_dim_cuda_templateIjEESt5tupleIJNSA_6TensorESF_SF_EERKSF_lbbbEUlllE_EE10hipError_tT0_T1_T2_jT3_P12ihipStream_tbPNSt15iterator_traitsISL_E10value_typeEPNSR_ISM_E10value_typeEPSN_NS1_7vsmem_tEENKUlT_SL_SM_SN_E_clIS8_S8_S9_S9_EESK_S10_SL_SM_SN_EUlS10_E1_NS1_11comp_targetILNS1_3genE4ELNS1_11target_archE910ELNS1_3gpuE8ELNS1_3repE0EEENS1_36merge_oddeven_config_static_selectorELNS0_4arch9wavefront6targetE0EEEvSM_.num_agpr, 0
	.set _ZN7rocprim17ROCPRIM_400000_NS6detail17trampoline_kernelINS0_14default_configENS1_38merge_sort_block_merge_config_selectorIlNS0_10empty_typeEEEZZNS1_27merge_sort_block_merge_implIS3_PlPS5_mZN2at6native12_GLOBAL__N_124unique_dim_cuda_templateIjEESt5tupleIJNSA_6TensorESF_SF_EERKSF_lbbbEUlllE_EE10hipError_tT0_T1_T2_jT3_P12ihipStream_tbPNSt15iterator_traitsISL_E10value_typeEPNSR_ISM_E10value_typeEPSN_NS1_7vsmem_tEENKUlT_SL_SM_SN_E_clIS8_S8_S9_S9_EESK_S10_SL_SM_SN_EUlS10_E1_NS1_11comp_targetILNS1_3genE4ELNS1_11target_archE910ELNS1_3gpuE8ELNS1_3repE0EEENS1_36merge_oddeven_config_static_selectorELNS0_4arch9wavefront6targetE0EEEvSM_.numbered_sgpr, 0
	.set _ZN7rocprim17ROCPRIM_400000_NS6detail17trampoline_kernelINS0_14default_configENS1_38merge_sort_block_merge_config_selectorIlNS0_10empty_typeEEEZZNS1_27merge_sort_block_merge_implIS3_PlPS5_mZN2at6native12_GLOBAL__N_124unique_dim_cuda_templateIjEESt5tupleIJNSA_6TensorESF_SF_EERKSF_lbbbEUlllE_EE10hipError_tT0_T1_T2_jT3_P12ihipStream_tbPNSt15iterator_traitsISL_E10value_typeEPNSR_ISM_E10value_typeEPSN_NS1_7vsmem_tEENKUlT_SL_SM_SN_E_clIS8_S8_S9_S9_EESK_S10_SL_SM_SN_EUlS10_E1_NS1_11comp_targetILNS1_3genE4ELNS1_11target_archE910ELNS1_3gpuE8ELNS1_3repE0EEENS1_36merge_oddeven_config_static_selectorELNS0_4arch9wavefront6targetE0EEEvSM_.num_named_barrier, 0
	.set _ZN7rocprim17ROCPRIM_400000_NS6detail17trampoline_kernelINS0_14default_configENS1_38merge_sort_block_merge_config_selectorIlNS0_10empty_typeEEEZZNS1_27merge_sort_block_merge_implIS3_PlPS5_mZN2at6native12_GLOBAL__N_124unique_dim_cuda_templateIjEESt5tupleIJNSA_6TensorESF_SF_EERKSF_lbbbEUlllE_EE10hipError_tT0_T1_T2_jT3_P12ihipStream_tbPNSt15iterator_traitsISL_E10value_typeEPNSR_ISM_E10value_typeEPSN_NS1_7vsmem_tEENKUlT_SL_SM_SN_E_clIS8_S8_S9_S9_EESK_S10_SL_SM_SN_EUlS10_E1_NS1_11comp_targetILNS1_3genE4ELNS1_11target_archE910ELNS1_3gpuE8ELNS1_3repE0EEENS1_36merge_oddeven_config_static_selectorELNS0_4arch9wavefront6targetE0EEEvSM_.private_seg_size, 0
	.set _ZN7rocprim17ROCPRIM_400000_NS6detail17trampoline_kernelINS0_14default_configENS1_38merge_sort_block_merge_config_selectorIlNS0_10empty_typeEEEZZNS1_27merge_sort_block_merge_implIS3_PlPS5_mZN2at6native12_GLOBAL__N_124unique_dim_cuda_templateIjEESt5tupleIJNSA_6TensorESF_SF_EERKSF_lbbbEUlllE_EE10hipError_tT0_T1_T2_jT3_P12ihipStream_tbPNSt15iterator_traitsISL_E10value_typeEPNSR_ISM_E10value_typeEPSN_NS1_7vsmem_tEENKUlT_SL_SM_SN_E_clIS8_S8_S9_S9_EESK_S10_SL_SM_SN_EUlS10_E1_NS1_11comp_targetILNS1_3genE4ELNS1_11target_archE910ELNS1_3gpuE8ELNS1_3repE0EEENS1_36merge_oddeven_config_static_selectorELNS0_4arch9wavefront6targetE0EEEvSM_.uses_vcc, 0
	.set _ZN7rocprim17ROCPRIM_400000_NS6detail17trampoline_kernelINS0_14default_configENS1_38merge_sort_block_merge_config_selectorIlNS0_10empty_typeEEEZZNS1_27merge_sort_block_merge_implIS3_PlPS5_mZN2at6native12_GLOBAL__N_124unique_dim_cuda_templateIjEESt5tupleIJNSA_6TensorESF_SF_EERKSF_lbbbEUlllE_EE10hipError_tT0_T1_T2_jT3_P12ihipStream_tbPNSt15iterator_traitsISL_E10value_typeEPNSR_ISM_E10value_typeEPSN_NS1_7vsmem_tEENKUlT_SL_SM_SN_E_clIS8_S8_S9_S9_EESK_S10_SL_SM_SN_EUlS10_E1_NS1_11comp_targetILNS1_3genE4ELNS1_11target_archE910ELNS1_3gpuE8ELNS1_3repE0EEENS1_36merge_oddeven_config_static_selectorELNS0_4arch9wavefront6targetE0EEEvSM_.uses_flat_scratch, 0
	.set _ZN7rocprim17ROCPRIM_400000_NS6detail17trampoline_kernelINS0_14default_configENS1_38merge_sort_block_merge_config_selectorIlNS0_10empty_typeEEEZZNS1_27merge_sort_block_merge_implIS3_PlPS5_mZN2at6native12_GLOBAL__N_124unique_dim_cuda_templateIjEESt5tupleIJNSA_6TensorESF_SF_EERKSF_lbbbEUlllE_EE10hipError_tT0_T1_T2_jT3_P12ihipStream_tbPNSt15iterator_traitsISL_E10value_typeEPNSR_ISM_E10value_typeEPSN_NS1_7vsmem_tEENKUlT_SL_SM_SN_E_clIS8_S8_S9_S9_EESK_S10_SL_SM_SN_EUlS10_E1_NS1_11comp_targetILNS1_3genE4ELNS1_11target_archE910ELNS1_3gpuE8ELNS1_3repE0EEENS1_36merge_oddeven_config_static_selectorELNS0_4arch9wavefront6targetE0EEEvSM_.has_dyn_sized_stack, 0
	.set _ZN7rocprim17ROCPRIM_400000_NS6detail17trampoline_kernelINS0_14default_configENS1_38merge_sort_block_merge_config_selectorIlNS0_10empty_typeEEEZZNS1_27merge_sort_block_merge_implIS3_PlPS5_mZN2at6native12_GLOBAL__N_124unique_dim_cuda_templateIjEESt5tupleIJNSA_6TensorESF_SF_EERKSF_lbbbEUlllE_EE10hipError_tT0_T1_T2_jT3_P12ihipStream_tbPNSt15iterator_traitsISL_E10value_typeEPNSR_ISM_E10value_typeEPSN_NS1_7vsmem_tEENKUlT_SL_SM_SN_E_clIS8_S8_S9_S9_EESK_S10_SL_SM_SN_EUlS10_E1_NS1_11comp_targetILNS1_3genE4ELNS1_11target_archE910ELNS1_3gpuE8ELNS1_3repE0EEENS1_36merge_oddeven_config_static_selectorELNS0_4arch9wavefront6targetE0EEEvSM_.has_recursion, 0
	.set _ZN7rocprim17ROCPRIM_400000_NS6detail17trampoline_kernelINS0_14default_configENS1_38merge_sort_block_merge_config_selectorIlNS0_10empty_typeEEEZZNS1_27merge_sort_block_merge_implIS3_PlPS5_mZN2at6native12_GLOBAL__N_124unique_dim_cuda_templateIjEESt5tupleIJNSA_6TensorESF_SF_EERKSF_lbbbEUlllE_EE10hipError_tT0_T1_T2_jT3_P12ihipStream_tbPNSt15iterator_traitsISL_E10value_typeEPNSR_ISM_E10value_typeEPSN_NS1_7vsmem_tEENKUlT_SL_SM_SN_E_clIS8_S8_S9_S9_EESK_S10_SL_SM_SN_EUlS10_E1_NS1_11comp_targetILNS1_3genE4ELNS1_11target_archE910ELNS1_3gpuE8ELNS1_3repE0EEENS1_36merge_oddeven_config_static_selectorELNS0_4arch9wavefront6targetE0EEEvSM_.has_indirect_call, 0
	.section	.AMDGPU.csdata,"",@progbits
; Kernel info:
; codeLenInByte = 0
; TotalNumSgprs: 0
; NumVgprs: 0
; ScratchSize: 0
; MemoryBound: 0
; FloatMode: 240
; IeeeMode: 1
; LDSByteSize: 0 bytes/workgroup (compile time only)
; SGPRBlocks: 0
; VGPRBlocks: 0
; NumSGPRsForWavesPerEU: 1
; NumVGPRsForWavesPerEU: 1
; NamedBarCnt: 0
; Occupancy: 16
; WaveLimiterHint : 0
; COMPUTE_PGM_RSRC2:SCRATCH_EN: 0
; COMPUTE_PGM_RSRC2:USER_SGPR: 2
; COMPUTE_PGM_RSRC2:TRAP_HANDLER: 0
; COMPUTE_PGM_RSRC2:TGID_X_EN: 1
; COMPUTE_PGM_RSRC2:TGID_Y_EN: 0
; COMPUTE_PGM_RSRC2:TGID_Z_EN: 0
; COMPUTE_PGM_RSRC2:TIDIG_COMP_CNT: 0
	.section	.text._ZN7rocprim17ROCPRIM_400000_NS6detail17trampoline_kernelINS0_14default_configENS1_38merge_sort_block_merge_config_selectorIlNS0_10empty_typeEEEZZNS1_27merge_sort_block_merge_implIS3_PlPS5_mZN2at6native12_GLOBAL__N_124unique_dim_cuda_templateIjEESt5tupleIJNSA_6TensorESF_SF_EERKSF_lbbbEUlllE_EE10hipError_tT0_T1_T2_jT3_P12ihipStream_tbPNSt15iterator_traitsISL_E10value_typeEPNSR_ISM_E10value_typeEPSN_NS1_7vsmem_tEENKUlT_SL_SM_SN_E_clIS8_S8_S9_S9_EESK_S10_SL_SM_SN_EUlS10_E1_NS1_11comp_targetILNS1_3genE3ELNS1_11target_archE908ELNS1_3gpuE7ELNS1_3repE0EEENS1_36merge_oddeven_config_static_selectorELNS0_4arch9wavefront6targetE0EEEvSM_,"axG",@progbits,_ZN7rocprim17ROCPRIM_400000_NS6detail17trampoline_kernelINS0_14default_configENS1_38merge_sort_block_merge_config_selectorIlNS0_10empty_typeEEEZZNS1_27merge_sort_block_merge_implIS3_PlPS5_mZN2at6native12_GLOBAL__N_124unique_dim_cuda_templateIjEESt5tupleIJNSA_6TensorESF_SF_EERKSF_lbbbEUlllE_EE10hipError_tT0_T1_T2_jT3_P12ihipStream_tbPNSt15iterator_traitsISL_E10value_typeEPNSR_ISM_E10value_typeEPSN_NS1_7vsmem_tEENKUlT_SL_SM_SN_E_clIS8_S8_S9_S9_EESK_S10_SL_SM_SN_EUlS10_E1_NS1_11comp_targetILNS1_3genE3ELNS1_11target_archE908ELNS1_3gpuE7ELNS1_3repE0EEENS1_36merge_oddeven_config_static_selectorELNS0_4arch9wavefront6targetE0EEEvSM_,comdat
	.globl	_ZN7rocprim17ROCPRIM_400000_NS6detail17trampoline_kernelINS0_14default_configENS1_38merge_sort_block_merge_config_selectorIlNS0_10empty_typeEEEZZNS1_27merge_sort_block_merge_implIS3_PlPS5_mZN2at6native12_GLOBAL__N_124unique_dim_cuda_templateIjEESt5tupleIJNSA_6TensorESF_SF_EERKSF_lbbbEUlllE_EE10hipError_tT0_T1_T2_jT3_P12ihipStream_tbPNSt15iterator_traitsISL_E10value_typeEPNSR_ISM_E10value_typeEPSN_NS1_7vsmem_tEENKUlT_SL_SM_SN_E_clIS8_S8_S9_S9_EESK_S10_SL_SM_SN_EUlS10_E1_NS1_11comp_targetILNS1_3genE3ELNS1_11target_archE908ELNS1_3gpuE7ELNS1_3repE0EEENS1_36merge_oddeven_config_static_selectorELNS0_4arch9wavefront6targetE0EEEvSM_ ; -- Begin function _ZN7rocprim17ROCPRIM_400000_NS6detail17trampoline_kernelINS0_14default_configENS1_38merge_sort_block_merge_config_selectorIlNS0_10empty_typeEEEZZNS1_27merge_sort_block_merge_implIS3_PlPS5_mZN2at6native12_GLOBAL__N_124unique_dim_cuda_templateIjEESt5tupleIJNSA_6TensorESF_SF_EERKSF_lbbbEUlllE_EE10hipError_tT0_T1_T2_jT3_P12ihipStream_tbPNSt15iterator_traitsISL_E10value_typeEPNSR_ISM_E10value_typeEPSN_NS1_7vsmem_tEENKUlT_SL_SM_SN_E_clIS8_S8_S9_S9_EESK_S10_SL_SM_SN_EUlS10_E1_NS1_11comp_targetILNS1_3genE3ELNS1_11target_archE908ELNS1_3gpuE7ELNS1_3repE0EEENS1_36merge_oddeven_config_static_selectorELNS0_4arch9wavefront6targetE0EEEvSM_
	.p2align	8
	.type	_ZN7rocprim17ROCPRIM_400000_NS6detail17trampoline_kernelINS0_14default_configENS1_38merge_sort_block_merge_config_selectorIlNS0_10empty_typeEEEZZNS1_27merge_sort_block_merge_implIS3_PlPS5_mZN2at6native12_GLOBAL__N_124unique_dim_cuda_templateIjEESt5tupleIJNSA_6TensorESF_SF_EERKSF_lbbbEUlllE_EE10hipError_tT0_T1_T2_jT3_P12ihipStream_tbPNSt15iterator_traitsISL_E10value_typeEPNSR_ISM_E10value_typeEPSN_NS1_7vsmem_tEENKUlT_SL_SM_SN_E_clIS8_S8_S9_S9_EESK_S10_SL_SM_SN_EUlS10_E1_NS1_11comp_targetILNS1_3genE3ELNS1_11target_archE908ELNS1_3gpuE7ELNS1_3repE0EEENS1_36merge_oddeven_config_static_selectorELNS0_4arch9wavefront6targetE0EEEvSM_,@function
_ZN7rocprim17ROCPRIM_400000_NS6detail17trampoline_kernelINS0_14default_configENS1_38merge_sort_block_merge_config_selectorIlNS0_10empty_typeEEEZZNS1_27merge_sort_block_merge_implIS3_PlPS5_mZN2at6native12_GLOBAL__N_124unique_dim_cuda_templateIjEESt5tupleIJNSA_6TensorESF_SF_EERKSF_lbbbEUlllE_EE10hipError_tT0_T1_T2_jT3_P12ihipStream_tbPNSt15iterator_traitsISL_E10value_typeEPNSR_ISM_E10value_typeEPSN_NS1_7vsmem_tEENKUlT_SL_SM_SN_E_clIS8_S8_S9_S9_EESK_S10_SL_SM_SN_EUlS10_E1_NS1_11comp_targetILNS1_3genE3ELNS1_11target_archE908ELNS1_3gpuE7ELNS1_3repE0EEENS1_36merge_oddeven_config_static_selectorELNS0_4arch9wavefront6targetE0EEEvSM_: ; @_ZN7rocprim17ROCPRIM_400000_NS6detail17trampoline_kernelINS0_14default_configENS1_38merge_sort_block_merge_config_selectorIlNS0_10empty_typeEEEZZNS1_27merge_sort_block_merge_implIS3_PlPS5_mZN2at6native12_GLOBAL__N_124unique_dim_cuda_templateIjEESt5tupleIJNSA_6TensorESF_SF_EERKSF_lbbbEUlllE_EE10hipError_tT0_T1_T2_jT3_P12ihipStream_tbPNSt15iterator_traitsISL_E10value_typeEPNSR_ISM_E10value_typeEPSN_NS1_7vsmem_tEENKUlT_SL_SM_SN_E_clIS8_S8_S9_S9_EESK_S10_SL_SM_SN_EUlS10_E1_NS1_11comp_targetILNS1_3genE3ELNS1_11target_archE908ELNS1_3gpuE7ELNS1_3repE0EEENS1_36merge_oddeven_config_static_selectorELNS0_4arch9wavefront6targetE0EEEvSM_
; %bb.0:
	.section	.rodata,"a",@progbits
	.p2align	6, 0x0
	.amdhsa_kernel _ZN7rocprim17ROCPRIM_400000_NS6detail17trampoline_kernelINS0_14default_configENS1_38merge_sort_block_merge_config_selectorIlNS0_10empty_typeEEEZZNS1_27merge_sort_block_merge_implIS3_PlPS5_mZN2at6native12_GLOBAL__N_124unique_dim_cuda_templateIjEESt5tupleIJNSA_6TensorESF_SF_EERKSF_lbbbEUlllE_EE10hipError_tT0_T1_T2_jT3_P12ihipStream_tbPNSt15iterator_traitsISL_E10value_typeEPNSR_ISM_E10value_typeEPSN_NS1_7vsmem_tEENKUlT_SL_SM_SN_E_clIS8_S8_S9_S9_EESK_S10_SL_SM_SN_EUlS10_E1_NS1_11comp_targetILNS1_3genE3ELNS1_11target_archE908ELNS1_3gpuE7ELNS1_3repE0EEENS1_36merge_oddeven_config_static_selectorELNS0_4arch9wavefront6targetE0EEEvSM_
		.amdhsa_group_segment_fixed_size 0
		.amdhsa_private_segment_fixed_size 0
		.amdhsa_kernarg_size 64
		.amdhsa_user_sgpr_count 2
		.amdhsa_user_sgpr_dispatch_ptr 0
		.amdhsa_user_sgpr_queue_ptr 0
		.amdhsa_user_sgpr_kernarg_segment_ptr 1
		.amdhsa_user_sgpr_dispatch_id 0
		.amdhsa_user_sgpr_kernarg_preload_length 0
		.amdhsa_user_sgpr_kernarg_preload_offset 0
		.amdhsa_user_sgpr_private_segment_size 0
		.amdhsa_wavefront_size32 1
		.amdhsa_uses_dynamic_stack 0
		.amdhsa_enable_private_segment 0
		.amdhsa_system_sgpr_workgroup_id_x 1
		.amdhsa_system_sgpr_workgroup_id_y 0
		.amdhsa_system_sgpr_workgroup_id_z 0
		.amdhsa_system_sgpr_workgroup_info 0
		.amdhsa_system_vgpr_workitem_id 0
		.amdhsa_next_free_vgpr 1
		.amdhsa_next_free_sgpr 1
		.amdhsa_named_barrier_count 0
		.amdhsa_reserve_vcc 0
		.amdhsa_float_round_mode_32 0
		.amdhsa_float_round_mode_16_64 0
		.amdhsa_float_denorm_mode_32 3
		.amdhsa_float_denorm_mode_16_64 3
		.amdhsa_fp16_overflow 0
		.amdhsa_memory_ordered 1
		.amdhsa_forward_progress 1
		.amdhsa_inst_pref_size 0
		.amdhsa_round_robin_scheduling 0
		.amdhsa_exception_fp_ieee_invalid_op 0
		.amdhsa_exception_fp_denorm_src 0
		.amdhsa_exception_fp_ieee_div_zero 0
		.amdhsa_exception_fp_ieee_overflow 0
		.amdhsa_exception_fp_ieee_underflow 0
		.amdhsa_exception_fp_ieee_inexact 0
		.amdhsa_exception_int_div_zero 0
	.end_amdhsa_kernel
	.section	.text._ZN7rocprim17ROCPRIM_400000_NS6detail17trampoline_kernelINS0_14default_configENS1_38merge_sort_block_merge_config_selectorIlNS0_10empty_typeEEEZZNS1_27merge_sort_block_merge_implIS3_PlPS5_mZN2at6native12_GLOBAL__N_124unique_dim_cuda_templateIjEESt5tupleIJNSA_6TensorESF_SF_EERKSF_lbbbEUlllE_EE10hipError_tT0_T1_T2_jT3_P12ihipStream_tbPNSt15iterator_traitsISL_E10value_typeEPNSR_ISM_E10value_typeEPSN_NS1_7vsmem_tEENKUlT_SL_SM_SN_E_clIS8_S8_S9_S9_EESK_S10_SL_SM_SN_EUlS10_E1_NS1_11comp_targetILNS1_3genE3ELNS1_11target_archE908ELNS1_3gpuE7ELNS1_3repE0EEENS1_36merge_oddeven_config_static_selectorELNS0_4arch9wavefront6targetE0EEEvSM_,"axG",@progbits,_ZN7rocprim17ROCPRIM_400000_NS6detail17trampoline_kernelINS0_14default_configENS1_38merge_sort_block_merge_config_selectorIlNS0_10empty_typeEEEZZNS1_27merge_sort_block_merge_implIS3_PlPS5_mZN2at6native12_GLOBAL__N_124unique_dim_cuda_templateIjEESt5tupleIJNSA_6TensorESF_SF_EERKSF_lbbbEUlllE_EE10hipError_tT0_T1_T2_jT3_P12ihipStream_tbPNSt15iterator_traitsISL_E10value_typeEPNSR_ISM_E10value_typeEPSN_NS1_7vsmem_tEENKUlT_SL_SM_SN_E_clIS8_S8_S9_S9_EESK_S10_SL_SM_SN_EUlS10_E1_NS1_11comp_targetILNS1_3genE3ELNS1_11target_archE908ELNS1_3gpuE7ELNS1_3repE0EEENS1_36merge_oddeven_config_static_selectorELNS0_4arch9wavefront6targetE0EEEvSM_,comdat
.Lfunc_end1512:
	.size	_ZN7rocprim17ROCPRIM_400000_NS6detail17trampoline_kernelINS0_14default_configENS1_38merge_sort_block_merge_config_selectorIlNS0_10empty_typeEEEZZNS1_27merge_sort_block_merge_implIS3_PlPS5_mZN2at6native12_GLOBAL__N_124unique_dim_cuda_templateIjEESt5tupleIJNSA_6TensorESF_SF_EERKSF_lbbbEUlllE_EE10hipError_tT0_T1_T2_jT3_P12ihipStream_tbPNSt15iterator_traitsISL_E10value_typeEPNSR_ISM_E10value_typeEPSN_NS1_7vsmem_tEENKUlT_SL_SM_SN_E_clIS8_S8_S9_S9_EESK_S10_SL_SM_SN_EUlS10_E1_NS1_11comp_targetILNS1_3genE3ELNS1_11target_archE908ELNS1_3gpuE7ELNS1_3repE0EEENS1_36merge_oddeven_config_static_selectorELNS0_4arch9wavefront6targetE0EEEvSM_, .Lfunc_end1512-_ZN7rocprim17ROCPRIM_400000_NS6detail17trampoline_kernelINS0_14default_configENS1_38merge_sort_block_merge_config_selectorIlNS0_10empty_typeEEEZZNS1_27merge_sort_block_merge_implIS3_PlPS5_mZN2at6native12_GLOBAL__N_124unique_dim_cuda_templateIjEESt5tupleIJNSA_6TensorESF_SF_EERKSF_lbbbEUlllE_EE10hipError_tT0_T1_T2_jT3_P12ihipStream_tbPNSt15iterator_traitsISL_E10value_typeEPNSR_ISM_E10value_typeEPSN_NS1_7vsmem_tEENKUlT_SL_SM_SN_E_clIS8_S8_S9_S9_EESK_S10_SL_SM_SN_EUlS10_E1_NS1_11comp_targetILNS1_3genE3ELNS1_11target_archE908ELNS1_3gpuE7ELNS1_3repE0EEENS1_36merge_oddeven_config_static_selectorELNS0_4arch9wavefront6targetE0EEEvSM_
                                        ; -- End function
	.set _ZN7rocprim17ROCPRIM_400000_NS6detail17trampoline_kernelINS0_14default_configENS1_38merge_sort_block_merge_config_selectorIlNS0_10empty_typeEEEZZNS1_27merge_sort_block_merge_implIS3_PlPS5_mZN2at6native12_GLOBAL__N_124unique_dim_cuda_templateIjEESt5tupleIJNSA_6TensorESF_SF_EERKSF_lbbbEUlllE_EE10hipError_tT0_T1_T2_jT3_P12ihipStream_tbPNSt15iterator_traitsISL_E10value_typeEPNSR_ISM_E10value_typeEPSN_NS1_7vsmem_tEENKUlT_SL_SM_SN_E_clIS8_S8_S9_S9_EESK_S10_SL_SM_SN_EUlS10_E1_NS1_11comp_targetILNS1_3genE3ELNS1_11target_archE908ELNS1_3gpuE7ELNS1_3repE0EEENS1_36merge_oddeven_config_static_selectorELNS0_4arch9wavefront6targetE0EEEvSM_.num_vgpr, 0
	.set _ZN7rocprim17ROCPRIM_400000_NS6detail17trampoline_kernelINS0_14default_configENS1_38merge_sort_block_merge_config_selectorIlNS0_10empty_typeEEEZZNS1_27merge_sort_block_merge_implIS3_PlPS5_mZN2at6native12_GLOBAL__N_124unique_dim_cuda_templateIjEESt5tupleIJNSA_6TensorESF_SF_EERKSF_lbbbEUlllE_EE10hipError_tT0_T1_T2_jT3_P12ihipStream_tbPNSt15iterator_traitsISL_E10value_typeEPNSR_ISM_E10value_typeEPSN_NS1_7vsmem_tEENKUlT_SL_SM_SN_E_clIS8_S8_S9_S9_EESK_S10_SL_SM_SN_EUlS10_E1_NS1_11comp_targetILNS1_3genE3ELNS1_11target_archE908ELNS1_3gpuE7ELNS1_3repE0EEENS1_36merge_oddeven_config_static_selectorELNS0_4arch9wavefront6targetE0EEEvSM_.num_agpr, 0
	.set _ZN7rocprim17ROCPRIM_400000_NS6detail17trampoline_kernelINS0_14default_configENS1_38merge_sort_block_merge_config_selectorIlNS0_10empty_typeEEEZZNS1_27merge_sort_block_merge_implIS3_PlPS5_mZN2at6native12_GLOBAL__N_124unique_dim_cuda_templateIjEESt5tupleIJNSA_6TensorESF_SF_EERKSF_lbbbEUlllE_EE10hipError_tT0_T1_T2_jT3_P12ihipStream_tbPNSt15iterator_traitsISL_E10value_typeEPNSR_ISM_E10value_typeEPSN_NS1_7vsmem_tEENKUlT_SL_SM_SN_E_clIS8_S8_S9_S9_EESK_S10_SL_SM_SN_EUlS10_E1_NS1_11comp_targetILNS1_3genE3ELNS1_11target_archE908ELNS1_3gpuE7ELNS1_3repE0EEENS1_36merge_oddeven_config_static_selectorELNS0_4arch9wavefront6targetE0EEEvSM_.numbered_sgpr, 0
	.set _ZN7rocprim17ROCPRIM_400000_NS6detail17trampoline_kernelINS0_14default_configENS1_38merge_sort_block_merge_config_selectorIlNS0_10empty_typeEEEZZNS1_27merge_sort_block_merge_implIS3_PlPS5_mZN2at6native12_GLOBAL__N_124unique_dim_cuda_templateIjEESt5tupleIJNSA_6TensorESF_SF_EERKSF_lbbbEUlllE_EE10hipError_tT0_T1_T2_jT3_P12ihipStream_tbPNSt15iterator_traitsISL_E10value_typeEPNSR_ISM_E10value_typeEPSN_NS1_7vsmem_tEENKUlT_SL_SM_SN_E_clIS8_S8_S9_S9_EESK_S10_SL_SM_SN_EUlS10_E1_NS1_11comp_targetILNS1_3genE3ELNS1_11target_archE908ELNS1_3gpuE7ELNS1_3repE0EEENS1_36merge_oddeven_config_static_selectorELNS0_4arch9wavefront6targetE0EEEvSM_.num_named_barrier, 0
	.set _ZN7rocprim17ROCPRIM_400000_NS6detail17trampoline_kernelINS0_14default_configENS1_38merge_sort_block_merge_config_selectorIlNS0_10empty_typeEEEZZNS1_27merge_sort_block_merge_implIS3_PlPS5_mZN2at6native12_GLOBAL__N_124unique_dim_cuda_templateIjEESt5tupleIJNSA_6TensorESF_SF_EERKSF_lbbbEUlllE_EE10hipError_tT0_T1_T2_jT3_P12ihipStream_tbPNSt15iterator_traitsISL_E10value_typeEPNSR_ISM_E10value_typeEPSN_NS1_7vsmem_tEENKUlT_SL_SM_SN_E_clIS8_S8_S9_S9_EESK_S10_SL_SM_SN_EUlS10_E1_NS1_11comp_targetILNS1_3genE3ELNS1_11target_archE908ELNS1_3gpuE7ELNS1_3repE0EEENS1_36merge_oddeven_config_static_selectorELNS0_4arch9wavefront6targetE0EEEvSM_.private_seg_size, 0
	.set _ZN7rocprim17ROCPRIM_400000_NS6detail17trampoline_kernelINS0_14default_configENS1_38merge_sort_block_merge_config_selectorIlNS0_10empty_typeEEEZZNS1_27merge_sort_block_merge_implIS3_PlPS5_mZN2at6native12_GLOBAL__N_124unique_dim_cuda_templateIjEESt5tupleIJNSA_6TensorESF_SF_EERKSF_lbbbEUlllE_EE10hipError_tT0_T1_T2_jT3_P12ihipStream_tbPNSt15iterator_traitsISL_E10value_typeEPNSR_ISM_E10value_typeEPSN_NS1_7vsmem_tEENKUlT_SL_SM_SN_E_clIS8_S8_S9_S9_EESK_S10_SL_SM_SN_EUlS10_E1_NS1_11comp_targetILNS1_3genE3ELNS1_11target_archE908ELNS1_3gpuE7ELNS1_3repE0EEENS1_36merge_oddeven_config_static_selectorELNS0_4arch9wavefront6targetE0EEEvSM_.uses_vcc, 0
	.set _ZN7rocprim17ROCPRIM_400000_NS6detail17trampoline_kernelINS0_14default_configENS1_38merge_sort_block_merge_config_selectorIlNS0_10empty_typeEEEZZNS1_27merge_sort_block_merge_implIS3_PlPS5_mZN2at6native12_GLOBAL__N_124unique_dim_cuda_templateIjEESt5tupleIJNSA_6TensorESF_SF_EERKSF_lbbbEUlllE_EE10hipError_tT0_T1_T2_jT3_P12ihipStream_tbPNSt15iterator_traitsISL_E10value_typeEPNSR_ISM_E10value_typeEPSN_NS1_7vsmem_tEENKUlT_SL_SM_SN_E_clIS8_S8_S9_S9_EESK_S10_SL_SM_SN_EUlS10_E1_NS1_11comp_targetILNS1_3genE3ELNS1_11target_archE908ELNS1_3gpuE7ELNS1_3repE0EEENS1_36merge_oddeven_config_static_selectorELNS0_4arch9wavefront6targetE0EEEvSM_.uses_flat_scratch, 0
	.set _ZN7rocprim17ROCPRIM_400000_NS6detail17trampoline_kernelINS0_14default_configENS1_38merge_sort_block_merge_config_selectorIlNS0_10empty_typeEEEZZNS1_27merge_sort_block_merge_implIS3_PlPS5_mZN2at6native12_GLOBAL__N_124unique_dim_cuda_templateIjEESt5tupleIJNSA_6TensorESF_SF_EERKSF_lbbbEUlllE_EE10hipError_tT0_T1_T2_jT3_P12ihipStream_tbPNSt15iterator_traitsISL_E10value_typeEPNSR_ISM_E10value_typeEPSN_NS1_7vsmem_tEENKUlT_SL_SM_SN_E_clIS8_S8_S9_S9_EESK_S10_SL_SM_SN_EUlS10_E1_NS1_11comp_targetILNS1_3genE3ELNS1_11target_archE908ELNS1_3gpuE7ELNS1_3repE0EEENS1_36merge_oddeven_config_static_selectorELNS0_4arch9wavefront6targetE0EEEvSM_.has_dyn_sized_stack, 0
	.set _ZN7rocprim17ROCPRIM_400000_NS6detail17trampoline_kernelINS0_14default_configENS1_38merge_sort_block_merge_config_selectorIlNS0_10empty_typeEEEZZNS1_27merge_sort_block_merge_implIS3_PlPS5_mZN2at6native12_GLOBAL__N_124unique_dim_cuda_templateIjEESt5tupleIJNSA_6TensorESF_SF_EERKSF_lbbbEUlllE_EE10hipError_tT0_T1_T2_jT3_P12ihipStream_tbPNSt15iterator_traitsISL_E10value_typeEPNSR_ISM_E10value_typeEPSN_NS1_7vsmem_tEENKUlT_SL_SM_SN_E_clIS8_S8_S9_S9_EESK_S10_SL_SM_SN_EUlS10_E1_NS1_11comp_targetILNS1_3genE3ELNS1_11target_archE908ELNS1_3gpuE7ELNS1_3repE0EEENS1_36merge_oddeven_config_static_selectorELNS0_4arch9wavefront6targetE0EEEvSM_.has_recursion, 0
	.set _ZN7rocprim17ROCPRIM_400000_NS6detail17trampoline_kernelINS0_14default_configENS1_38merge_sort_block_merge_config_selectorIlNS0_10empty_typeEEEZZNS1_27merge_sort_block_merge_implIS3_PlPS5_mZN2at6native12_GLOBAL__N_124unique_dim_cuda_templateIjEESt5tupleIJNSA_6TensorESF_SF_EERKSF_lbbbEUlllE_EE10hipError_tT0_T1_T2_jT3_P12ihipStream_tbPNSt15iterator_traitsISL_E10value_typeEPNSR_ISM_E10value_typeEPSN_NS1_7vsmem_tEENKUlT_SL_SM_SN_E_clIS8_S8_S9_S9_EESK_S10_SL_SM_SN_EUlS10_E1_NS1_11comp_targetILNS1_3genE3ELNS1_11target_archE908ELNS1_3gpuE7ELNS1_3repE0EEENS1_36merge_oddeven_config_static_selectorELNS0_4arch9wavefront6targetE0EEEvSM_.has_indirect_call, 0
	.section	.AMDGPU.csdata,"",@progbits
; Kernel info:
; codeLenInByte = 0
; TotalNumSgprs: 0
; NumVgprs: 0
; ScratchSize: 0
; MemoryBound: 0
; FloatMode: 240
; IeeeMode: 1
; LDSByteSize: 0 bytes/workgroup (compile time only)
; SGPRBlocks: 0
; VGPRBlocks: 0
; NumSGPRsForWavesPerEU: 1
; NumVGPRsForWavesPerEU: 1
; NamedBarCnt: 0
; Occupancy: 16
; WaveLimiterHint : 0
; COMPUTE_PGM_RSRC2:SCRATCH_EN: 0
; COMPUTE_PGM_RSRC2:USER_SGPR: 2
; COMPUTE_PGM_RSRC2:TRAP_HANDLER: 0
; COMPUTE_PGM_RSRC2:TGID_X_EN: 1
; COMPUTE_PGM_RSRC2:TGID_Y_EN: 0
; COMPUTE_PGM_RSRC2:TGID_Z_EN: 0
; COMPUTE_PGM_RSRC2:TIDIG_COMP_CNT: 0
	.section	.text._ZN7rocprim17ROCPRIM_400000_NS6detail17trampoline_kernelINS0_14default_configENS1_38merge_sort_block_merge_config_selectorIlNS0_10empty_typeEEEZZNS1_27merge_sort_block_merge_implIS3_PlPS5_mZN2at6native12_GLOBAL__N_124unique_dim_cuda_templateIjEESt5tupleIJNSA_6TensorESF_SF_EERKSF_lbbbEUlllE_EE10hipError_tT0_T1_T2_jT3_P12ihipStream_tbPNSt15iterator_traitsISL_E10value_typeEPNSR_ISM_E10value_typeEPSN_NS1_7vsmem_tEENKUlT_SL_SM_SN_E_clIS8_S8_S9_S9_EESK_S10_SL_SM_SN_EUlS10_E1_NS1_11comp_targetILNS1_3genE2ELNS1_11target_archE906ELNS1_3gpuE6ELNS1_3repE0EEENS1_36merge_oddeven_config_static_selectorELNS0_4arch9wavefront6targetE0EEEvSM_,"axG",@progbits,_ZN7rocprim17ROCPRIM_400000_NS6detail17trampoline_kernelINS0_14default_configENS1_38merge_sort_block_merge_config_selectorIlNS0_10empty_typeEEEZZNS1_27merge_sort_block_merge_implIS3_PlPS5_mZN2at6native12_GLOBAL__N_124unique_dim_cuda_templateIjEESt5tupleIJNSA_6TensorESF_SF_EERKSF_lbbbEUlllE_EE10hipError_tT0_T1_T2_jT3_P12ihipStream_tbPNSt15iterator_traitsISL_E10value_typeEPNSR_ISM_E10value_typeEPSN_NS1_7vsmem_tEENKUlT_SL_SM_SN_E_clIS8_S8_S9_S9_EESK_S10_SL_SM_SN_EUlS10_E1_NS1_11comp_targetILNS1_3genE2ELNS1_11target_archE906ELNS1_3gpuE6ELNS1_3repE0EEENS1_36merge_oddeven_config_static_selectorELNS0_4arch9wavefront6targetE0EEEvSM_,comdat
	.globl	_ZN7rocprim17ROCPRIM_400000_NS6detail17trampoline_kernelINS0_14default_configENS1_38merge_sort_block_merge_config_selectorIlNS0_10empty_typeEEEZZNS1_27merge_sort_block_merge_implIS3_PlPS5_mZN2at6native12_GLOBAL__N_124unique_dim_cuda_templateIjEESt5tupleIJNSA_6TensorESF_SF_EERKSF_lbbbEUlllE_EE10hipError_tT0_T1_T2_jT3_P12ihipStream_tbPNSt15iterator_traitsISL_E10value_typeEPNSR_ISM_E10value_typeEPSN_NS1_7vsmem_tEENKUlT_SL_SM_SN_E_clIS8_S8_S9_S9_EESK_S10_SL_SM_SN_EUlS10_E1_NS1_11comp_targetILNS1_3genE2ELNS1_11target_archE906ELNS1_3gpuE6ELNS1_3repE0EEENS1_36merge_oddeven_config_static_selectorELNS0_4arch9wavefront6targetE0EEEvSM_ ; -- Begin function _ZN7rocprim17ROCPRIM_400000_NS6detail17trampoline_kernelINS0_14default_configENS1_38merge_sort_block_merge_config_selectorIlNS0_10empty_typeEEEZZNS1_27merge_sort_block_merge_implIS3_PlPS5_mZN2at6native12_GLOBAL__N_124unique_dim_cuda_templateIjEESt5tupleIJNSA_6TensorESF_SF_EERKSF_lbbbEUlllE_EE10hipError_tT0_T1_T2_jT3_P12ihipStream_tbPNSt15iterator_traitsISL_E10value_typeEPNSR_ISM_E10value_typeEPSN_NS1_7vsmem_tEENKUlT_SL_SM_SN_E_clIS8_S8_S9_S9_EESK_S10_SL_SM_SN_EUlS10_E1_NS1_11comp_targetILNS1_3genE2ELNS1_11target_archE906ELNS1_3gpuE6ELNS1_3repE0EEENS1_36merge_oddeven_config_static_selectorELNS0_4arch9wavefront6targetE0EEEvSM_
	.p2align	8
	.type	_ZN7rocprim17ROCPRIM_400000_NS6detail17trampoline_kernelINS0_14default_configENS1_38merge_sort_block_merge_config_selectorIlNS0_10empty_typeEEEZZNS1_27merge_sort_block_merge_implIS3_PlPS5_mZN2at6native12_GLOBAL__N_124unique_dim_cuda_templateIjEESt5tupleIJNSA_6TensorESF_SF_EERKSF_lbbbEUlllE_EE10hipError_tT0_T1_T2_jT3_P12ihipStream_tbPNSt15iterator_traitsISL_E10value_typeEPNSR_ISM_E10value_typeEPSN_NS1_7vsmem_tEENKUlT_SL_SM_SN_E_clIS8_S8_S9_S9_EESK_S10_SL_SM_SN_EUlS10_E1_NS1_11comp_targetILNS1_3genE2ELNS1_11target_archE906ELNS1_3gpuE6ELNS1_3repE0EEENS1_36merge_oddeven_config_static_selectorELNS0_4arch9wavefront6targetE0EEEvSM_,@function
_ZN7rocprim17ROCPRIM_400000_NS6detail17trampoline_kernelINS0_14default_configENS1_38merge_sort_block_merge_config_selectorIlNS0_10empty_typeEEEZZNS1_27merge_sort_block_merge_implIS3_PlPS5_mZN2at6native12_GLOBAL__N_124unique_dim_cuda_templateIjEESt5tupleIJNSA_6TensorESF_SF_EERKSF_lbbbEUlllE_EE10hipError_tT0_T1_T2_jT3_P12ihipStream_tbPNSt15iterator_traitsISL_E10value_typeEPNSR_ISM_E10value_typeEPSN_NS1_7vsmem_tEENKUlT_SL_SM_SN_E_clIS8_S8_S9_S9_EESK_S10_SL_SM_SN_EUlS10_E1_NS1_11comp_targetILNS1_3genE2ELNS1_11target_archE906ELNS1_3gpuE6ELNS1_3repE0EEENS1_36merge_oddeven_config_static_selectorELNS0_4arch9wavefront6targetE0EEEvSM_: ; @_ZN7rocprim17ROCPRIM_400000_NS6detail17trampoline_kernelINS0_14default_configENS1_38merge_sort_block_merge_config_selectorIlNS0_10empty_typeEEEZZNS1_27merge_sort_block_merge_implIS3_PlPS5_mZN2at6native12_GLOBAL__N_124unique_dim_cuda_templateIjEESt5tupleIJNSA_6TensorESF_SF_EERKSF_lbbbEUlllE_EE10hipError_tT0_T1_T2_jT3_P12ihipStream_tbPNSt15iterator_traitsISL_E10value_typeEPNSR_ISM_E10value_typeEPSN_NS1_7vsmem_tEENKUlT_SL_SM_SN_E_clIS8_S8_S9_S9_EESK_S10_SL_SM_SN_EUlS10_E1_NS1_11comp_targetILNS1_3genE2ELNS1_11target_archE906ELNS1_3gpuE6ELNS1_3repE0EEENS1_36merge_oddeven_config_static_selectorELNS0_4arch9wavefront6targetE0EEEvSM_
; %bb.0:
	.section	.rodata,"a",@progbits
	.p2align	6, 0x0
	.amdhsa_kernel _ZN7rocprim17ROCPRIM_400000_NS6detail17trampoline_kernelINS0_14default_configENS1_38merge_sort_block_merge_config_selectorIlNS0_10empty_typeEEEZZNS1_27merge_sort_block_merge_implIS3_PlPS5_mZN2at6native12_GLOBAL__N_124unique_dim_cuda_templateIjEESt5tupleIJNSA_6TensorESF_SF_EERKSF_lbbbEUlllE_EE10hipError_tT0_T1_T2_jT3_P12ihipStream_tbPNSt15iterator_traitsISL_E10value_typeEPNSR_ISM_E10value_typeEPSN_NS1_7vsmem_tEENKUlT_SL_SM_SN_E_clIS8_S8_S9_S9_EESK_S10_SL_SM_SN_EUlS10_E1_NS1_11comp_targetILNS1_3genE2ELNS1_11target_archE906ELNS1_3gpuE6ELNS1_3repE0EEENS1_36merge_oddeven_config_static_selectorELNS0_4arch9wavefront6targetE0EEEvSM_
		.amdhsa_group_segment_fixed_size 0
		.amdhsa_private_segment_fixed_size 0
		.amdhsa_kernarg_size 64
		.amdhsa_user_sgpr_count 2
		.amdhsa_user_sgpr_dispatch_ptr 0
		.amdhsa_user_sgpr_queue_ptr 0
		.amdhsa_user_sgpr_kernarg_segment_ptr 1
		.amdhsa_user_sgpr_dispatch_id 0
		.amdhsa_user_sgpr_kernarg_preload_length 0
		.amdhsa_user_sgpr_kernarg_preload_offset 0
		.amdhsa_user_sgpr_private_segment_size 0
		.amdhsa_wavefront_size32 1
		.amdhsa_uses_dynamic_stack 0
		.amdhsa_enable_private_segment 0
		.amdhsa_system_sgpr_workgroup_id_x 1
		.amdhsa_system_sgpr_workgroup_id_y 0
		.amdhsa_system_sgpr_workgroup_id_z 0
		.amdhsa_system_sgpr_workgroup_info 0
		.amdhsa_system_vgpr_workitem_id 0
		.amdhsa_next_free_vgpr 1
		.amdhsa_next_free_sgpr 1
		.amdhsa_named_barrier_count 0
		.amdhsa_reserve_vcc 0
		.amdhsa_float_round_mode_32 0
		.amdhsa_float_round_mode_16_64 0
		.amdhsa_float_denorm_mode_32 3
		.amdhsa_float_denorm_mode_16_64 3
		.amdhsa_fp16_overflow 0
		.amdhsa_memory_ordered 1
		.amdhsa_forward_progress 1
		.amdhsa_inst_pref_size 0
		.amdhsa_round_robin_scheduling 0
		.amdhsa_exception_fp_ieee_invalid_op 0
		.amdhsa_exception_fp_denorm_src 0
		.amdhsa_exception_fp_ieee_div_zero 0
		.amdhsa_exception_fp_ieee_overflow 0
		.amdhsa_exception_fp_ieee_underflow 0
		.amdhsa_exception_fp_ieee_inexact 0
		.amdhsa_exception_int_div_zero 0
	.end_amdhsa_kernel
	.section	.text._ZN7rocprim17ROCPRIM_400000_NS6detail17trampoline_kernelINS0_14default_configENS1_38merge_sort_block_merge_config_selectorIlNS0_10empty_typeEEEZZNS1_27merge_sort_block_merge_implIS3_PlPS5_mZN2at6native12_GLOBAL__N_124unique_dim_cuda_templateIjEESt5tupleIJNSA_6TensorESF_SF_EERKSF_lbbbEUlllE_EE10hipError_tT0_T1_T2_jT3_P12ihipStream_tbPNSt15iterator_traitsISL_E10value_typeEPNSR_ISM_E10value_typeEPSN_NS1_7vsmem_tEENKUlT_SL_SM_SN_E_clIS8_S8_S9_S9_EESK_S10_SL_SM_SN_EUlS10_E1_NS1_11comp_targetILNS1_3genE2ELNS1_11target_archE906ELNS1_3gpuE6ELNS1_3repE0EEENS1_36merge_oddeven_config_static_selectorELNS0_4arch9wavefront6targetE0EEEvSM_,"axG",@progbits,_ZN7rocprim17ROCPRIM_400000_NS6detail17trampoline_kernelINS0_14default_configENS1_38merge_sort_block_merge_config_selectorIlNS0_10empty_typeEEEZZNS1_27merge_sort_block_merge_implIS3_PlPS5_mZN2at6native12_GLOBAL__N_124unique_dim_cuda_templateIjEESt5tupleIJNSA_6TensorESF_SF_EERKSF_lbbbEUlllE_EE10hipError_tT0_T1_T2_jT3_P12ihipStream_tbPNSt15iterator_traitsISL_E10value_typeEPNSR_ISM_E10value_typeEPSN_NS1_7vsmem_tEENKUlT_SL_SM_SN_E_clIS8_S8_S9_S9_EESK_S10_SL_SM_SN_EUlS10_E1_NS1_11comp_targetILNS1_3genE2ELNS1_11target_archE906ELNS1_3gpuE6ELNS1_3repE0EEENS1_36merge_oddeven_config_static_selectorELNS0_4arch9wavefront6targetE0EEEvSM_,comdat
.Lfunc_end1513:
	.size	_ZN7rocprim17ROCPRIM_400000_NS6detail17trampoline_kernelINS0_14default_configENS1_38merge_sort_block_merge_config_selectorIlNS0_10empty_typeEEEZZNS1_27merge_sort_block_merge_implIS3_PlPS5_mZN2at6native12_GLOBAL__N_124unique_dim_cuda_templateIjEESt5tupleIJNSA_6TensorESF_SF_EERKSF_lbbbEUlllE_EE10hipError_tT0_T1_T2_jT3_P12ihipStream_tbPNSt15iterator_traitsISL_E10value_typeEPNSR_ISM_E10value_typeEPSN_NS1_7vsmem_tEENKUlT_SL_SM_SN_E_clIS8_S8_S9_S9_EESK_S10_SL_SM_SN_EUlS10_E1_NS1_11comp_targetILNS1_3genE2ELNS1_11target_archE906ELNS1_3gpuE6ELNS1_3repE0EEENS1_36merge_oddeven_config_static_selectorELNS0_4arch9wavefront6targetE0EEEvSM_, .Lfunc_end1513-_ZN7rocprim17ROCPRIM_400000_NS6detail17trampoline_kernelINS0_14default_configENS1_38merge_sort_block_merge_config_selectorIlNS0_10empty_typeEEEZZNS1_27merge_sort_block_merge_implIS3_PlPS5_mZN2at6native12_GLOBAL__N_124unique_dim_cuda_templateIjEESt5tupleIJNSA_6TensorESF_SF_EERKSF_lbbbEUlllE_EE10hipError_tT0_T1_T2_jT3_P12ihipStream_tbPNSt15iterator_traitsISL_E10value_typeEPNSR_ISM_E10value_typeEPSN_NS1_7vsmem_tEENKUlT_SL_SM_SN_E_clIS8_S8_S9_S9_EESK_S10_SL_SM_SN_EUlS10_E1_NS1_11comp_targetILNS1_3genE2ELNS1_11target_archE906ELNS1_3gpuE6ELNS1_3repE0EEENS1_36merge_oddeven_config_static_selectorELNS0_4arch9wavefront6targetE0EEEvSM_
                                        ; -- End function
	.set _ZN7rocprim17ROCPRIM_400000_NS6detail17trampoline_kernelINS0_14default_configENS1_38merge_sort_block_merge_config_selectorIlNS0_10empty_typeEEEZZNS1_27merge_sort_block_merge_implIS3_PlPS5_mZN2at6native12_GLOBAL__N_124unique_dim_cuda_templateIjEESt5tupleIJNSA_6TensorESF_SF_EERKSF_lbbbEUlllE_EE10hipError_tT0_T1_T2_jT3_P12ihipStream_tbPNSt15iterator_traitsISL_E10value_typeEPNSR_ISM_E10value_typeEPSN_NS1_7vsmem_tEENKUlT_SL_SM_SN_E_clIS8_S8_S9_S9_EESK_S10_SL_SM_SN_EUlS10_E1_NS1_11comp_targetILNS1_3genE2ELNS1_11target_archE906ELNS1_3gpuE6ELNS1_3repE0EEENS1_36merge_oddeven_config_static_selectorELNS0_4arch9wavefront6targetE0EEEvSM_.num_vgpr, 0
	.set _ZN7rocprim17ROCPRIM_400000_NS6detail17trampoline_kernelINS0_14default_configENS1_38merge_sort_block_merge_config_selectorIlNS0_10empty_typeEEEZZNS1_27merge_sort_block_merge_implIS3_PlPS5_mZN2at6native12_GLOBAL__N_124unique_dim_cuda_templateIjEESt5tupleIJNSA_6TensorESF_SF_EERKSF_lbbbEUlllE_EE10hipError_tT0_T1_T2_jT3_P12ihipStream_tbPNSt15iterator_traitsISL_E10value_typeEPNSR_ISM_E10value_typeEPSN_NS1_7vsmem_tEENKUlT_SL_SM_SN_E_clIS8_S8_S9_S9_EESK_S10_SL_SM_SN_EUlS10_E1_NS1_11comp_targetILNS1_3genE2ELNS1_11target_archE906ELNS1_3gpuE6ELNS1_3repE0EEENS1_36merge_oddeven_config_static_selectorELNS0_4arch9wavefront6targetE0EEEvSM_.num_agpr, 0
	.set _ZN7rocprim17ROCPRIM_400000_NS6detail17trampoline_kernelINS0_14default_configENS1_38merge_sort_block_merge_config_selectorIlNS0_10empty_typeEEEZZNS1_27merge_sort_block_merge_implIS3_PlPS5_mZN2at6native12_GLOBAL__N_124unique_dim_cuda_templateIjEESt5tupleIJNSA_6TensorESF_SF_EERKSF_lbbbEUlllE_EE10hipError_tT0_T1_T2_jT3_P12ihipStream_tbPNSt15iterator_traitsISL_E10value_typeEPNSR_ISM_E10value_typeEPSN_NS1_7vsmem_tEENKUlT_SL_SM_SN_E_clIS8_S8_S9_S9_EESK_S10_SL_SM_SN_EUlS10_E1_NS1_11comp_targetILNS1_3genE2ELNS1_11target_archE906ELNS1_3gpuE6ELNS1_3repE0EEENS1_36merge_oddeven_config_static_selectorELNS0_4arch9wavefront6targetE0EEEvSM_.numbered_sgpr, 0
	.set _ZN7rocprim17ROCPRIM_400000_NS6detail17trampoline_kernelINS0_14default_configENS1_38merge_sort_block_merge_config_selectorIlNS0_10empty_typeEEEZZNS1_27merge_sort_block_merge_implIS3_PlPS5_mZN2at6native12_GLOBAL__N_124unique_dim_cuda_templateIjEESt5tupleIJNSA_6TensorESF_SF_EERKSF_lbbbEUlllE_EE10hipError_tT0_T1_T2_jT3_P12ihipStream_tbPNSt15iterator_traitsISL_E10value_typeEPNSR_ISM_E10value_typeEPSN_NS1_7vsmem_tEENKUlT_SL_SM_SN_E_clIS8_S8_S9_S9_EESK_S10_SL_SM_SN_EUlS10_E1_NS1_11comp_targetILNS1_3genE2ELNS1_11target_archE906ELNS1_3gpuE6ELNS1_3repE0EEENS1_36merge_oddeven_config_static_selectorELNS0_4arch9wavefront6targetE0EEEvSM_.num_named_barrier, 0
	.set _ZN7rocprim17ROCPRIM_400000_NS6detail17trampoline_kernelINS0_14default_configENS1_38merge_sort_block_merge_config_selectorIlNS0_10empty_typeEEEZZNS1_27merge_sort_block_merge_implIS3_PlPS5_mZN2at6native12_GLOBAL__N_124unique_dim_cuda_templateIjEESt5tupleIJNSA_6TensorESF_SF_EERKSF_lbbbEUlllE_EE10hipError_tT0_T1_T2_jT3_P12ihipStream_tbPNSt15iterator_traitsISL_E10value_typeEPNSR_ISM_E10value_typeEPSN_NS1_7vsmem_tEENKUlT_SL_SM_SN_E_clIS8_S8_S9_S9_EESK_S10_SL_SM_SN_EUlS10_E1_NS1_11comp_targetILNS1_3genE2ELNS1_11target_archE906ELNS1_3gpuE6ELNS1_3repE0EEENS1_36merge_oddeven_config_static_selectorELNS0_4arch9wavefront6targetE0EEEvSM_.private_seg_size, 0
	.set _ZN7rocprim17ROCPRIM_400000_NS6detail17trampoline_kernelINS0_14default_configENS1_38merge_sort_block_merge_config_selectorIlNS0_10empty_typeEEEZZNS1_27merge_sort_block_merge_implIS3_PlPS5_mZN2at6native12_GLOBAL__N_124unique_dim_cuda_templateIjEESt5tupleIJNSA_6TensorESF_SF_EERKSF_lbbbEUlllE_EE10hipError_tT0_T1_T2_jT3_P12ihipStream_tbPNSt15iterator_traitsISL_E10value_typeEPNSR_ISM_E10value_typeEPSN_NS1_7vsmem_tEENKUlT_SL_SM_SN_E_clIS8_S8_S9_S9_EESK_S10_SL_SM_SN_EUlS10_E1_NS1_11comp_targetILNS1_3genE2ELNS1_11target_archE906ELNS1_3gpuE6ELNS1_3repE0EEENS1_36merge_oddeven_config_static_selectorELNS0_4arch9wavefront6targetE0EEEvSM_.uses_vcc, 0
	.set _ZN7rocprim17ROCPRIM_400000_NS6detail17trampoline_kernelINS0_14default_configENS1_38merge_sort_block_merge_config_selectorIlNS0_10empty_typeEEEZZNS1_27merge_sort_block_merge_implIS3_PlPS5_mZN2at6native12_GLOBAL__N_124unique_dim_cuda_templateIjEESt5tupleIJNSA_6TensorESF_SF_EERKSF_lbbbEUlllE_EE10hipError_tT0_T1_T2_jT3_P12ihipStream_tbPNSt15iterator_traitsISL_E10value_typeEPNSR_ISM_E10value_typeEPSN_NS1_7vsmem_tEENKUlT_SL_SM_SN_E_clIS8_S8_S9_S9_EESK_S10_SL_SM_SN_EUlS10_E1_NS1_11comp_targetILNS1_3genE2ELNS1_11target_archE906ELNS1_3gpuE6ELNS1_3repE0EEENS1_36merge_oddeven_config_static_selectorELNS0_4arch9wavefront6targetE0EEEvSM_.uses_flat_scratch, 0
	.set _ZN7rocprim17ROCPRIM_400000_NS6detail17trampoline_kernelINS0_14default_configENS1_38merge_sort_block_merge_config_selectorIlNS0_10empty_typeEEEZZNS1_27merge_sort_block_merge_implIS3_PlPS5_mZN2at6native12_GLOBAL__N_124unique_dim_cuda_templateIjEESt5tupleIJNSA_6TensorESF_SF_EERKSF_lbbbEUlllE_EE10hipError_tT0_T1_T2_jT3_P12ihipStream_tbPNSt15iterator_traitsISL_E10value_typeEPNSR_ISM_E10value_typeEPSN_NS1_7vsmem_tEENKUlT_SL_SM_SN_E_clIS8_S8_S9_S9_EESK_S10_SL_SM_SN_EUlS10_E1_NS1_11comp_targetILNS1_3genE2ELNS1_11target_archE906ELNS1_3gpuE6ELNS1_3repE0EEENS1_36merge_oddeven_config_static_selectorELNS0_4arch9wavefront6targetE0EEEvSM_.has_dyn_sized_stack, 0
	.set _ZN7rocprim17ROCPRIM_400000_NS6detail17trampoline_kernelINS0_14default_configENS1_38merge_sort_block_merge_config_selectorIlNS0_10empty_typeEEEZZNS1_27merge_sort_block_merge_implIS3_PlPS5_mZN2at6native12_GLOBAL__N_124unique_dim_cuda_templateIjEESt5tupleIJNSA_6TensorESF_SF_EERKSF_lbbbEUlllE_EE10hipError_tT0_T1_T2_jT3_P12ihipStream_tbPNSt15iterator_traitsISL_E10value_typeEPNSR_ISM_E10value_typeEPSN_NS1_7vsmem_tEENKUlT_SL_SM_SN_E_clIS8_S8_S9_S9_EESK_S10_SL_SM_SN_EUlS10_E1_NS1_11comp_targetILNS1_3genE2ELNS1_11target_archE906ELNS1_3gpuE6ELNS1_3repE0EEENS1_36merge_oddeven_config_static_selectorELNS0_4arch9wavefront6targetE0EEEvSM_.has_recursion, 0
	.set _ZN7rocprim17ROCPRIM_400000_NS6detail17trampoline_kernelINS0_14default_configENS1_38merge_sort_block_merge_config_selectorIlNS0_10empty_typeEEEZZNS1_27merge_sort_block_merge_implIS3_PlPS5_mZN2at6native12_GLOBAL__N_124unique_dim_cuda_templateIjEESt5tupleIJNSA_6TensorESF_SF_EERKSF_lbbbEUlllE_EE10hipError_tT0_T1_T2_jT3_P12ihipStream_tbPNSt15iterator_traitsISL_E10value_typeEPNSR_ISM_E10value_typeEPSN_NS1_7vsmem_tEENKUlT_SL_SM_SN_E_clIS8_S8_S9_S9_EESK_S10_SL_SM_SN_EUlS10_E1_NS1_11comp_targetILNS1_3genE2ELNS1_11target_archE906ELNS1_3gpuE6ELNS1_3repE0EEENS1_36merge_oddeven_config_static_selectorELNS0_4arch9wavefront6targetE0EEEvSM_.has_indirect_call, 0
	.section	.AMDGPU.csdata,"",@progbits
; Kernel info:
; codeLenInByte = 0
; TotalNumSgprs: 0
; NumVgprs: 0
; ScratchSize: 0
; MemoryBound: 0
; FloatMode: 240
; IeeeMode: 1
; LDSByteSize: 0 bytes/workgroup (compile time only)
; SGPRBlocks: 0
; VGPRBlocks: 0
; NumSGPRsForWavesPerEU: 1
; NumVGPRsForWavesPerEU: 1
; NamedBarCnt: 0
; Occupancy: 16
; WaveLimiterHint : 0
; COMPUTE_PGM_RSRC2:SCRATCH_EN: 0
; COMPUTE_PGM_RSRC2:USER_SGPR: 2
; COMPUTE_PGM_RSRC2:TRAP_HANDLER: 0
; COMPUTE_PGM_RSRC2:TGID_X_EN: 1
; COMPUTE_PGM_RSRC2:TGID_Y_EN: 0
; COMPUTE_PGM_RSRC2:TGID_Z_EN: 0
; COMPUTE_PGM_RSRC2:TIDIG_COMP_CNT: 0
	.section	.text._ZN7rocprim17ROCPRIM_400000_NS6detail17trampoline_kernelINS0_14default_configENS1_38merge_sort_block_merge_config_selectorIlNS0_10empty_typeEEEZZNS1_27merge_sort_block_merge_implIS3_PlPS5_mZN2at6native12_GLOBAL__N_124unique_dim_cuda_templateIjEESt5tupleIJNSA_6TensorESF_SF_EERKSF_lbbbEUlllE_EE10hipError_tT0_T1_T2_jT3_P12ihipStream_tbPNSt15iterator_traitsISL_E10value_typeEPNSR_ISM_E10value_typeEPSN_NS1_7vsmem_tEENKUlT_SL_SM_SN_E_clIS8_S8_S9_S9_EESK_S10_SL_SM_SN_EUlS10_E1_NS1_11comp_targetILNS1_3genE9ELNS1_11target_archE1100ELNS1_3gpuE3ELNS1_3repE0EEENS1_36merge_oddeven_config_static_selectorELNS0_4arch9wavefront6targetE0EEEvSM_,"axG",@progbits,_ZN7rocprim17ROCPRIM_400000_NS6detail17trampoline_kernelINS0_14default_configENS1_38merge_sort_block_merge_config_selectorIlNS0_10empty_typeEEEZZNS1_27merge_sort_block_merge_implIS3_PlPS5_mZN2at6native12_GLOBAL__N_124unique_dim_cuda_templateIjEESt5tupleIJNSA_6TensorESF_SF_EERKSF_lbbbEUlllE_EE10hipError_tT0_T1_T2_jT3_P12ihipStream_tbPNSt15iterator_traitsISL_E10value_typeEPNSR_ISM_E10value_typeEPSN_NS1_7vsmem_tEENKUlT_SL_SM_SN_E_clIS8_S8_S9_S9_EESK_S10_SL_SM_SN_EUlS10_E1_NS1_11comp_targetILNS1_3genE9ELNS1_11target_archE1100ELNS1_3gpuE3ELNS1_3repE0EEENS1_36merge_oddeven_config_static_selectorELNS0_4arch9wavefront6targetE0EEEvSM_,comdat
	.globl	_ZN7rocprim17ROCPRIM_400000_NS6detail17trampoline_kernelINS0_14default_configENS1_38merge_sort_block_merge_config_selectorIlNS0_10empty_typeEEEZZNS1_27merge_sort_block_merge_implIS3_PlPS5_mZN2at6native12_GLOBAL__N_124unique_dim_cuda_templateIjEESt5tupleIJNSA_6TensorESF_SF_EERKSF_lbbbEUlllE_EE10hipError_tT0_T1_T2_jT3_P12ihipStream_tbPNSt15iterator_traitsISL_E10value_typeEPNSR_ISM_E10value_typeEPSN_NS1_7vsmem_tEENKUlT_SL_SM_SN_E_clIS8_S8_S9_S9_EESK_S10_SL_SM_SN_EUlS10_E1_NS1_11comp_targetILNS1_3genE9ELNS1_11target_archE1100ELNS1_3gpuE3ELNS1_3repE0EEENS1_36merge_oddeven_config_static_selectorELNS0_4arch9wavefront6targetE0EEEvSM_ ; -- Begin function _ZN7rocprim17ROCPRIM_400000_NS6detail17trampoline_kernelINS0_14default_configENS1_38merge_sort_block_merge_config_selectorIlNS0_10empty_typeEEEZZNS1_27merge_sort_block_merge_implIS3_PlPS5_mZN2at6native12_GLOBAL__N_124unique_dim_cuda_templateIjEESt5tupleIJNSA_6TensorESF_SF_EERKSF_lbbbEUlllE_EE10hipError_tT0_T1_T2_jT3_P12ihipStream_tbPNSt15iterator_traitsISL_E10value_typeEPNSR_ISM_E10value_typeEPSN_NS1_7vsmem_tEENKUlT_SL_SM_SN_E_clIS8_S8_S9_S9_EESK_S10_SL_SM_SN_EUlS10_E1_NS1_11comp_targetILNS1_3genE9ELNS1_11target_archE1100ELNS1_3gpuE3ELNS1_3repE0EEENS1_36merge_oddeven_config_static_selectorELNS0_4arch9wavefront6targetE0EEEvSM_
	.p2align	8
	.type	_ZN7rocprim17ROCPRIM_400000_NS6detail17trampoline_kernelINS0_14default_configENS1_38merge_sort_block_merge_config_selectorIlNS0_10empty_typeEEEZZNS1_27merge_sort_block_merge_implIS3_PlPS5_mZN2at6native12_GLOBAL__N_124unique_dim_cuda_templateIjEESt5tupleIJNSA_6TensorESF_SF_EERKSF_lbbbEUlllE_EE10hipError_tT0_T1_T2_jT3_P12ihipStream_tbPNSt15iterator_traitsISL_E10value_typeEPNSR_ISM_E10value_typeEPSN_NS1_7vsmem_tEENKUlT_SL_SM_SN_E_clIS8_S8_S9_S9_EESK_S10_SL_SM_SN_EUlS10_E1_NS1_11comp_targetILNS1_3genE9ELNS1_11target_archE1100ELNS1_3gpuE3ELNS1_3repE0EEENS1_36merge_oddeven_config_static_selectorELNS0_4arch9wavefront6targetE0EEEvSM_,@function
_ZN7rocprim17ROCPRIM_400000_NS6detail17trampoline_kernelINS0_14default_configENS1_38merge_sort_block_merge_config_selectorIlNS0_10empty_typeEEEZZNS1_27merge_sort_block_merge_implIS3_PlPS5_mZN2at6native12_GLOBAL__N_124unique_dim_cuda_templateIjEESt5tupleIJNSA_6TensorESF_SF_EERKSF_lbbbEUlllE_EE10hipError_tT0_T1_T2_jT3_P12ihipStream_tbPNSt15iterator_traitsISL_E10value_typeEPNSR_ISM_E10value_typeEPSN_NS1_7vsmem_tEENKUlT_SL_SM_SN_E_clIS8_S8_S9_S9_EESK_S10_SL_SM_SN_EUlS10_E1_NS1_11comp_targetILNS1_3genE9ELNS1_11target_archE1100ELNS1_3gpuE3ELNS1_3repE0EEENS1_36merge_oddeven_config_static_selectorELNS0_4arch9wavefront6targetE0EEEvSM_: ; @_ZN7rocprim17ROCPRIM_400000_NS6detail17trampoline_kernelINS0_14default_configENS1_38merge_sort_block_merge_config_selectorIlNS0_10empty_typeEEEZZNS1_27merge_sort_block_merge_implIS3_PlPS5_mZN2at6native12_GLOBAL__N_124unique_dim_cuda_templateIjEESt5tupleIJNSA_6TensorESF_SF_EERKSF_lbbbEUlllE_EE10hipError_tT0_T1_T2_jT3_P12ihipStream_tbPNSt15iterator_traitsISL_E10value_typeEPNSR_ISM_E10value_typeEPSN_NS1_7vsmem_tEENKUlT_SL_SM_SN_E_clIS8_S8_S9_S9_EESK_S10_SL_SM_SN_EUlS10_E1_NS1_11comp_targetILNS1_3genE9ELNS1_11target_archE1100ELNS1_3gpuE3ELNS1_3repE0EEENS1_36merge_oddeven_config_static_selectorELNS0_4arch9wavefront6targetE0EEEvSM_
; %bb.0:
	.section	.rodata,"a",@progbits
	.p2align	6, 0x0
	.amdhsa_kernel _ZN7rocprim17ROCPRIM_400000_NS6detail17trampoline_kernelINS0_14default_configENS1_38merge_sort_block_merge_config_selectorIlNS0_10empty_typeEEEZZNS1_27merge_sort_block_merge_implIS3_PlPS5_mZN2at6native12_GLOBAL__N_124unique_dim_cuda_templateIjEESt5tupleIJNSA_6TensorESF_SF_EERKSF_lbbbEUlllE_EE10hipError_tT0_T1_T2_jT3_P12ihipStream_tbPNSt15iterator_traitsISL_E10value_typeEPNSR_ISM_E10value_typeEPSN_NS1_7vsmem_tEENKUlT_SL_SM_SN_E_clIS8_S8_S9_S9_EESK_S10_SL_SM_SN_EUlS10_E1_NS1_11comp_targetILNS1_3genE9ELNS1_11target_archE1100ELNS1_3gpuE3ELNS1_3repE0EEENS1_36merge_oddeven_config_static_selectorELNS0_4arch9wavefront6targetE0EEEvSM_
		.amdhsa_group_segment_fixed_size 0
		.amdhsa_private_segment_fixed_size 0
		.amdhsa_kernarg_size 64
		.amdhsa_user_sgpr_count 2
		.amdhsa_user_sgpr_dispatch_ptr 0
		.amdhsa_user_sgpr_queue_ptr 0
		.amdhsa_user_sgpr_kernarg_segment_ptr 1
		.amdhsa_user_sgpr_dispatch_id 0
		.amdhsa_user_sgpr_kernarg_preload_length 0
		.amdhsa_user_sgpr_kernarg_preload_offset 0
		.amdhsa_user_sgpr_private_segment_size 0
		.amdhsa_wavefront_size32 1
		.amdhsa_uses_dynamic_stack 0
		.amdhsa_enable_private_segment 0
		.amdhsa_system_sgpr_workgroup_id_x 1
		.amdhsa_system_sgpr_workgroup_id_y 0
		.amdhsa_system_sgpr_workgroup_id_z 0
		.amdhsa_system_sgpr_workgroup_info 0
		.amdhsa_system_vgpr_workitem_id 0
		.amdhsa_next_free_vgpr 1
		.amdhsa_next_free_sgpr 1
		.amdhsa_named_barrier_count 0
		.amdhsa_reserve_vcc 0
		.amdhsa_float_round_mode_32 0
		.amdhsa_float_round_mode_16_64 0
		.amdhsa_float_denorm_mode_32 3
		.amdhsa_float_denorm_mode_16_64 3
		.amdhsa_fp16_overflow 0
		.amdhsa_memory_ordered 1
		.amdhsa_forward_progress 1
		.amdhsa_inst_pref_size 0
		.amdhsa_round_robin_scheduling 0
		.amdhsa_exception_fp_ieee_invalid_op 0
		.amdhsa_exception_fp_denorm_src 0
		.amdhsa_exception_fp_ieee_div_zero 0
		.amdhsa_exception_fp_ieee_overflow 0
		.amdhsa_exception_fp_ieee_underflow 0
		.amdhsa_exception_fp_ieee_inexact 0
		.amdhsa_exception_int_div_zero 0
	.end_amdhsa_kernel
	.section	.text._ZN7rocprim17ROCPRIM_400000_NS6detail17trampoline_kernelINS0_14default_configENS1_38merge_sort_block_merge_config_selectorIlNS0_10empty_typeEEEZZNS1_27merge_sort_block_merge_implIS3_PlPS5_mZN2at6native12_GLOBAL__N_124unique_dim_cuda_templateIjEESt5tupleIJNSA_6TensorESF_SF_EERKSF_lbbbEUlllE_EE10hipError_tT0_T1_T2_jT3_P12ihipStream_tbPNSt15iterator_traitsISL_E10value_typeEPNSR_ISM_E10value_typeEPSN_NS1_7vsmem_tEENKUlT_SL_SM_SN_E_clIS8_S8_S9_S9_EESK_S10_SL_SM_SN_EUlS10_E1_NS1_11comp_targetILNS1_3genE9ELNS1_11target_archE1100ELNS1_3gpuE3ELNS1_3repE0EEENS1_36merge_oddeven_config_static_selectorELNS0_4arch9wavefront6targetE0EEEvSM_,"axG",@progbits,_ZN7rocprim17ROCPRIM_400000_NS6detail17trampoline_kernelINS0_14default_configENS1_38merge_sort_block_merge_config_selectorIlNS0_10empty_typeEEEZZNS1_27merge_sort_block_merge_implIS3_PlPS5_mZN2at6native12_GLOBAL__N_124unique_dim_cuda_templateIjEESt5tupleIJNSA_6TensorESF_SF_EERKSF_lbbbEUlllE_EE10hipError_tT0_T1_T2_jT3_P12ihipStream_tbPNSt15iterator_traitsISL_E10value_typeEPNSR_ISM_E10value_typeEPSN_NS1_7vsmem_tEENKUlT_SL_SM_SN_E_clIS8_S8_S9_S9_EESK_S10_SL_SM_SN_EUlS10_E1_NS1_11comp_targetILNS1_3genE9ELNS1_11target_archE1100ELNS1_3gpuE3ELNS1_3repE0EEENS1_36merge_oddeven_config_static_selectorELNS0_4arch9wavefront6targetE0EEEvSM_,comdat
.Lfunc_end1514:
	.size	_ZN7rocprim17ROCPRIM_400000_NS6detail17trampoline_kernelINS0_14default_configENS1_38merge_sort_block_merge_config_selectorIlNS0_10empty_typeEEEZZNS1_27merge_sort_block_merge_implIS3_PlPS5_mZN2at6native12_GLOBAL__N_124unique_dim_cuda_templateIjEESt5tupleIJNSA_6TensorESF_SF_EERKSF_lbbbEUlllE_EE10hipError_tT0_T1_T2_jT3_P12ihipStream_tbPNSt15iterator_traitsISL_E10value_typeEPNSR_ISM_E10value_typeEPSN_NS1_7vsmem_tEENKUlT_SL_SM_SN_E_clIS8_S8_S9_S9_EESK_S10_SL_SM_SN_EUlS10_E1_NS1_11comp_targetILNS1_3genE9ELNS1_11target_archE1100ELNS1_3gpuE3ELNS1_3repE0EEENS1_36merge_oddeven_config_static_selectorELNS0_4arch9wavefront6targetE0EEEvSM_, .Lfunc_end1514-_ZN7rocprim17ROCPRIM_400000_NS6detail17trampoline_kernelINS0_14default_configENS1_38merge_sort_block_merge_config_selectorIlNS0_10empty_typeEEEZZNS1_27merge_sort_block_merge_implIS3_PlPS5_mZN2at6native12_GLOBAL__N_124unique_dim_cuda_templateIjEESt5tupleIJNSA_6TensorESF_SF_EERKSF_lbbbEUlllE_EE10hipError_tT0_T1_T2_jT3_P12ihipStream_tbPNSt15iterator_traitsISL_E10value_typeEPNSR_ISM_E10value_typeEPSN_NS1_7vsmem_tEENKUlT_SL_SM_SN_E_clIS8_S8_S9_S9_EESK_S10_SL_SM_SN_EUlS10_E1_NS1_11comp_targetILNS1_3genE9ELNS1_11target_archE1100ELNS1_3gpuE3ELNS1_3repE0EEENS1_36merge_oddeven_config_static_selectorELNS0_4arch9wavefront6targetE0EEEvSM_
                                        ; -- End function
	.set _ZN7rocprim17ROCPRIM_400000_NS6detail17trampoline_kernelINS0_14default_configENS1_38merge_sort_block_merge_config_selectorIlNS0_10empty_typeEEEZZNS1_27merge_sort_block_merge_implIS3_PlPS5_mZN2at6native12_GLOBAL__N_124unique_dim_cuda_templateIjEESt5tupleIJNSA_6TensorESF_SF_EERKSF_lbbbEUlllE_EE10hipError_tT0_T1_T2_jT3_P12ihipStream_tbPNSt15iterator_traitsISL_E10value_typeEPNSR_ISM_E10value_typeEPSN_NS1_7vsmem_tEENKUlT_SL_SM_SN_E_clIS8_S8_S9_S9_EESK_S10_SL_SM_SN_EUlS10_E1_NS1_11comp_targetILNS1_3genE9ELNS1_11target_archE1100ELNS1_3gpuE3ELNS1_3repE0EEENS1_36merge_oddeven_config_static_selectorELNS0_4arch9wavefront6targetE0EEEvSM_.num_vgpr, 0
	.set _ZN7rocprim17ROCPRIM_400000_NS6detail17trampoline_kernelINS0_14default_configENS1_38merge_sort_block_merge_config_selectorIlNS0_10empty_typeEEEZZNS1_27merge_sort_block_merge_implIS3_PlPS5_mZN2at6native12_GLOBAL__N_124unique_dim_cuda_templateIjEESt5tupleIJNSA_6TensorESF_SF_EERKSF_lbbbEUlllE_EE10hipError_tT0_T1_T2_jT3_P12ihipStream_tbPNSt15iterator_traitsISL_E10value_typeEPNSR_ISM_E10value_typeEPSN_NS1_7vsmem_tEENKUlT_SL_SM_SN_E_clIS8_S8_S9_S9_EESK_S10_SL_SM_SN_EUlS10_E1_NS1_11comp_targetILNS1_3genE9ELNS1_11target_archE1100ELNS1_3gpuE3ELNS1_3repE0EEENS1_36merge_oddeven_config_static_selectorELNS0_4arch9wavefront6targetE0EEEvSM_.num_agpr, 0
	.set _ZN7rocprim17ROCPRIM_400000_NS6detail17trampoline_kernelINS0_14default_configENS1_38merge_sort_block_merge_config_selectorIlNS0_10empty_typeEEEZZNS1_27merge_sort_block_merge_implIS3_PlPS5_mZN2at6native12_GLOBAL__N_124unique_dim_cuda_templateIjEESt5tupleIJNSA_6TensorESF_SF_EERKSF_lbbbEUlllE_EE10hipError_tT0_T1_T2_jT3_P12ihipStream_tbPNSt15iterator_traitsISL_E10value_typeEPNSR_ISM_E10value_typeEPSN_NS1_7vsmem_tEENKUlT_SL_SM_SN_E_clIS8_S8_S9_S9_EESK_S10_SL_SM_SN_EUlS10_E1_NS1_11comp_targetILNS1_3genE9ELNS1_11target_archE1100ELNS1_3gpuE3ELNS1_3repE0EEENS1_36merge_oddeven_config_static_selectorELNS0_4arch9wavefront6targetE0EEEvSM_.numbered_sgpr, 0
	.set _ZN7rocprim17ROCPRIM_400000_NS6detail17trampoline_kernelINS0_14default_configENS1_38merge_sort_block_merge_config_selectorIlNS0_10empty_typeEEEZZNS1_27merge_sort_block_merge_implIS3_PlPS5_mZN2at6native12_GLOBAL__N_124unique_dim_cuda_templateIjEESt5tupleIJNSA_6TensorESF_SF_EERKSF_lbbbEUlllE_EE10hipError_tT0_T1_T2_jT3_P12ihipStream_tbPNSt15iterator_traitsISL_E10value_typeEPNSR_ISM_E10value_typeEPSN_NS1_7vsmem_tEENKUlT_SL_SM_SN_E_clIS8_S8_S9_S9_EESK_S10_SL_SM_SN_EUlS10_E1_NS1_11comp_targetILNS1_3genE9ELNS1_11target_archE1100ELNS1_3gpuE3ELNS1_3repE0EEENS1_36merge_oddeven_config_static_selectorELNS0_4arch9wavefront6targetE0EEEvSM_.num_named_barrier, 0
	.set _ZN7rocprim17ROCPRIM_400000_NS6detail17trampoline_kernelINS0_14default_configENS1_38merge_sort_block_merge_config_selectorIlNS0_10empty_typeEEEZZNS1_27merge_sort_block_merge_implIS3_PlPS5_mZN2at6native12_GLOBAL__N_124unique_dim_cuda_templateIjEESt5tupleIJNSA_6TensorESF_SF_EERKSF_lbbbEUlllE_EE10hipError_tT0_T1_T2_jT3_P12ihipStream_tbPNSt15iterator_traitsISL_E10value_typeEPNSR_ISM_E10value_typeEPSN_NS1_7vsmem_tEENKUlT_SL_SM_SN_E_clIS8_S8_S9_S9_EESK_S10_SL_SM_SN_EUlS10_E1_NS1_11comp_targetILNS1_3genE9ELNS1_11target_archE1100ELNS1_3gpuE3ELNS1_3repE0EEENS1_36merge_oddeven_config_static_selectorELNS0_4arch9wavefront6targetE0EEEvSM_.private_seg_size, 0
	.set _ZN7rocprim17ROCPRIM_400000_NS6detail17trampoline_kernelINS0_14default_configENS1_38merge_sort_block_merge_config_selectorIlNS0_10empty_typeEEEZZNS1_27merge_sort_block_merge_implIS3_PlPS5_mZN2at6native12_GLOBAL__N_124unique_dim_cuda_templateIjEESt5tupleIJNSA_6TensorESF_SF_EERKSF_lbbbEUlllE_EE10hipError_tT0_T1_T2_jT3_P12ihipStream_tbPNSt15iterator_traitsISL_E10value_typeEPNSR_ISM_E10value_typeEPSN_NS1_7vsmem_tEENKUlT_SL_SM_SN_E_clIS8_S8_S9_S9_EESK_S10_SL_SM_SN_EUlS10_E1_NS1_11comp_targetILNS1_3genE9ELNS1_11target_archE1100ELNS1_3gpuE3ELNS1_3repE0EEENS1_36merge_oddeven_config_static_selectorELNS0_4arch9wavefront6targetE0EEEvSM_.uses_vcc, 0
	.set _ZN7rocprim17ROCPRIM_400000_NS6detail17trampoline_kernelINS0_14default_configENS1_38merge_sort_block_merge_config_selectorIlNS0_10empty_typeEEEZZNS1_27merge_sort_block_merge_implIS3_PlPS5_mZN2at6native12_GLOBAL__N_124unique_dim_cuda_templateIjEESt5tupleIJNSA_6TensorESF_SF_EERKSF_lbbbEUlllE_EE10hipError_tT0_T1_T2_jT3_P12ihipStream_tbPNSt15iterator_traitsISL_E10value_typeEPNSR_ISM_E10value_typeEPSN_NS1_7vsmem_tEENKUlT_SL_SM_SN_E_clIS8_S8_S9_S9_EESK_S10_SL_SM_SN_EUlS10_E1_NS1_11comp_targetILNS1_3genE9ELNS1_11target_archE1100ELNS1_3gpuE3ELNS1_3repE0EEENS1_36merge_oddeven_config_static_selectorELNS0_4arch9wavefront6targetE0EEEvSM_.uses_flat_scratch, 0
	.set _ZN7rocprim17ROCPRIM_400000_NS6detail17trampoline_kernelINS0_14default_configENS1_38merge_sort_block_merge_config_selectorIlNS0_10empty_typeEEEZZNS1_27merge_sort_block_merge_implIS3_PlPS5_mZN2at6native12_GLOBAL__N_124unique_dim_cuda_templateIjEESt5tupleIJNSA_6TensorESF_SF_EERKSF_lbbbEUlllE_EE10hipError_tT0_T1_T2_jT3_P12ihipStream_tbPNSt15iterator_traitsISL_E10value_typeEPNSR_ISM_E10value_typeEPSN_NS1_7vsmem_tEENKUlT_SL_SM_SN_E_clIS8_S8_S9_S9_EESK_S10_SL_SM_SN_EUlS10_E1_NS1_11comp_targetILNS1_3genE9ELNS1_11target_archE1100ELNS1_3gpuE3ELNS1_3repE0EEENS1_36merge_oddeven_config_static_selectorELNS0_4arch9wavefront6targetE0EEEvSM_.has_dyn_sized_stack, 0
	.set _ZN7rocprim17ROCPRIM_400000_NS6detail17trampoline_kernelINS0_14default_configENS1_38merge_sort_block_merge_config_selectorIlNS0_10empty_typeEEEZZNS1_27merge_sort_block_merge_implIS3_PlPS5_mZN2at6native12_GLOBAL__N_124unique_dim_cuda_templateIjEESt5tupleIJNSA_6TensorESF_SF_EERKSF_lbbbEUlllE_EE10hipError_tT0_T1_T2_jT3_P12ihipStream_tbPNSt15iterator_traitsISL_E10value_typeEPNSR_ISM_E10value_typeEPSN_NS1_7vsmem_tEENKUlT_SL_SM_SN_E_clIS8_S8_S9_S9_EESK_S10_SL_SM_SN_EUlS10_E1_NS1_11comp_targetILNS1_3genE9ELNS1_11target_archE1100ELNS1_3gpuE3ELNS1_3repE0EEENS1_36merge_oddeven_config_static_selectorELNS0_4arch9wavefront6targetE0EEEvSM_.has_recursion, 0
	.set _ZN7rocprim17ROCPRIM_400000_NS6detail17trampoline_kernelINS0_14default_configENS1_38merge_sort_block_merge_config_selectorIlNS0_10empty_typeEEEZZNS1_27merge_sort_block_merge_implIS3_PlPS5_mZN2at6native12_GLOBAL__N_124unique_dim_cuda_templateIjEESt5tupleIJNSA_6TensorESF_SF_EERKSF_lbbbEUlllE_EE10hipError_tT0_T1_T2_jT3_P12ihipStream_tbPNSt15iterator_traitsISL_E10value_typeEPNSR_ISM_E10value_typeEPSN_NS1_7vsmem_tEENKUlT_SL_SM_SN_E_clIS8_S8_S9_S9_EESK_S10_SL_SM_SN_EUlS10_E1_NS1_11comp_targetILNS1_3genE9ELNS1_11target_archE1100ELNS1_3gpuE3ELNS1_3repE0EEENS1_36merge_oddeven_config_static_selectorELNS0_4arch9wavefront6targetE0EEEvSM_.has_indirect_call, 0
	.section	.AMDGPU.csdata,"",@progbits
; Kernel info:
; codeLenInByte = 0
; TotalNumSgprs: 0
; NumVgprs: 0
; ScratchSize: 0
; MemoryBound: 0
; FloatMode: 240
; IeeeMode: 1
; LDSByteSize: 0 bytes/workgroup (compile time only)
; SGPRBlocks: 0
; VGPRBlocks: 0
; NumSGPRsForWavesPerEU: 1
; NumVGPRsForWavesPerEU: 1
; NamedBarCnt: 0
; Occupancy: 16
; WaveLimiterHint : 0
; COMPUTE_PGM_RSRC2:SCRATCH_EN: 0
; COMPUTE_PGM_RSRC2:USER_SGPR: 2
; COMPUTE_PGM_RSRC2:TRAP_HANDLER: 0
; COMPUTE_PGM_RSRC2:TGID_X_EN: 1
; COMPUTE_PGM_RSRC2:TGID_Y_EN: 0
; COMPUTE_PGM_RSRC2:TGID_Z_EN: 0
; COMPUTE_PGM_RSRC2:TIDIG_COMP_CNT: 0
	.section	.text._ZN7rocprim17ROCPRIM_400000_NS6detail17trampoline_kernelINS0_14default_configENS1_38merge_sort_block_merge_config_selectorIlNS0_10empty_typeEEEZZNS1_27merge_sort_block_merge_implIS3_PlPS5_mZN2at6native12_GLOBAL__N_124unique_dim_cuda_templateIjEESt5tupleIJNSA_6TensorESF_SF_EERKSF_lbbbEUlllE_EE10hipError_tT0_T1_T2_jT3_P12ihipStream_tbPNSt15iterator_traitsISL_E10value_typeEPNSR_ISM_E10value_typeEPSN_NS1_7vsmem_tEENKUlT_SL_SM_SN_E_clIS8_S8_S9_S9_EESK_S10_SL_SM_SN_EUlS10_E1_NS1_11comp_targetILNS1_3genE8ELNS1_11target_archE1030ELNS1_3gpuE2ELNS1_3repE0EEENS1_36merge_oddeven_config_static_selectorELNS0_4arch9wavefront6targetE0EEEvSM_,"axG",@progbits,_ZN7rocprim17ROCPRIM_400000_NS6detail17trampoline_kernelINS0_14default_configENS1_38merge_sort_block_merge_config_selectorIlNS0_10empty_typeEEEZZNS1_27merge_sort_block_merge_implIS3_PlPS5_mZN2at6native12_GLOBAL__N_124unique_dim_cuda_templateIjEESt5tupleIJNSA_6TensorESF_SF_EERKSF_lbbbEUlllE_EE10hipError_tT0_T1_T2_jT3_P12ihipStream_tbPNSt15iterator_traitsISL_E10value_typeEPNSR_ISM_E10value_typeEPSN_NS1_7vsmem_tEENKUlT_SL_SM_SN_E_clIS8_S8_S9_S9_EESK_S10_SL_SM_SN_EUlS10_E1_NS1_11comp_targetILNS1_3genE8ELNS1_11target_archE1030ELNS1_3gpuE2ELNS1_3repE0EEENS1_36merge_oddeven_config_static_selectorELNS0_4arch9wavefront6targetE0EEEvSM_,comdat
	.globl	_ZN7rocprim17ROCPRIM_400000_NS6detail17trampoline_kernelINS0_14default_configENS1_38merge_sort_block_merge_config_selectorIlNS0_10empty_typeEEEZZNS1_27merge_sort_block_merge_implIS3_PlPS5_mZN2at6native12_GLOBAL__N_124unique_dim_cuda_templateIjEESt5tupleIJNSA_6TensorESF_SF_EERKSF_lbbbEUlllE_EE10hipError_tT0_T1_T2_jT3_P12ihipStream_tbPNSt15iterator_traitsISL_E10value_typeEPNSR_ISM_E10value_typeEPSN_NS1_7vsmem_tEENKUlT_SL_SM_SN_E_clIS8_S8_S9_S9_EESK_S10_SL_SM_SN_EUlS10_E1_NS1_11comp_targetILNS1_3genE8ELNS1_11target_archE1030ELNS1_3gpuE2ELNS1_3repE0EEENS1_36merge_oddeven_config_static_selectorELNS0_4arch9wavefront6targetE0EEEvSM_ ; -- Begin function _ZN7rocprim17ROCPRIM_400000_NS6detail17trampoline_kernelINS0_14default_configENS1_38merge_sort_block_merge_config_selectorIlNS0_10empty_typeEEEZZNS1_27merge_sort_block_merge_implIS3_PlPS5_mZN2at6native12_GLOBAL__N_124unique_dim_cuda_templateIjEESt5tupleIJNSA_6TensorESF_SF_EERKSF_lbbbEUlllE_EE10hipError_tT0_T1_T2_jT3_P12ihipStream_tbPNSt15iterator_traitsISL_E10value_typeEPNSR_ISM_E10value_typeEPSN_NS1_7vsmem_tEENKUlT_SL_SM_SN_E_clIS8_S8_S9_S9_EESK_S10_SL_SM_SN_EUlS10_E1_NS1_11comp_targetILNS1_3genE8ELNS1_11target_archE1030ELNS1_3gpuE2ELNS1_3repE0EEENS1_36merge_oddeven_config_static_selectorELNS0_4arch9wavefront6targetE0EEEvSM_
	.p2align	8
	.type	_ZN7rocprim17ROCPRIM_400000_NS6detail17trampoline_kernelINS0_14default_configENS1_38merge_sort_block_merge_config_selectorIlNS0_10empty_typeEEEZZNS1_27merge_sort_block_merge_implIS3_PlPS5_mZN2at6native12_GLOBAL__N_124unique_dim_cuda_templateIjEESt5tupleIJNSA_6TensorESF_SF_EERKSF_lbbbEUlllE_EE10hipError_tT0_T1_T2_jT3_P12ihipStream_tbPNSt15iterator_traitsISL_E10value_typeEPNSR_ISM_E10value_typeEPSN_NS1_7vsmem_tEENKUlT_SL_SM_SN_E_clIS8_S8_S9_S9_EESK_S10_SL_SM_SN_EUlS10_E1_NS1_11comp_targetILNS1_3genE8ELNS1_11target_archE1030ELNS1_3gpuE2ELNS1_3repE0EEENS1_36merge_oddeven_config_static_selectorELNS0_4arch9wavefront6targetE0EEEvSM_,@function
_ZN7rocprim17ROCPRIM_400000_NS6detail17trampoline_kernelINS0_14default_configENS1_38merge_sort_block_merge_config_selectorIlNS0_10empty_typeEEEZZNS1_27merge_sort_block_merge_implIS3_PlPS5_mZN2at6native12_GLOBAL__N_124unique_dim_cuda_templateIjEESt5tupleIJNSA_6TensorESF_SF_EERKSF_lbbbEUlllE_EE10hipError_tT0_T1_T2_jT3_P12ihipStream_tbPNSt15iterator_traitsISL_E10value_typeEPNSR_ISM_E10value_typeEPSN_NS1_7vsmem_tEENKUlT_SL_SM_SN_E_clIS8_S8_S9_S9_EESK_S10_SL_SM_SN_EUlS10_E1_NS1_11comp_targetILNS1_3genE8ELNS1_11target_archE1030ELNS1_3gpuE2ELNS1_3repE0EEENS1_36merge_oddeven_config_static_selectorELNS0_4arch9wavefront6targetE0EEEvSM_: ; @_ZN7rocprim17ROCPRIM_400000_NS6detail17trampoline_kernelINS0_14default_configENS1_38merge_sort_block_merge_config_selectorIlNS0_10empty_typeEEEZZNS1_27merge_sort_block_merge_implIS3_PlPS5_mZN2at6native12_GLOBAL__N_124unique_dim_cuda_templateIjEESt5tupleIJNSA_6TensorESF_SF_EERKSF_lbbbEUlllE_EE10hipError_tT0_T1_T2_jT3_P12ihipStream_tbPNSt15iterator_traitsISL_E10value_typeEPNSR_ISM_E10value_typeEPSN_NS1_7vsmem_tEENKUlT_SL_SM_SN_E_clIS8_S8_S9_S9_EESK_S10_SL_SM_SN_EUlS10_E1_NS1_11comp_targetILNS1_3genE8ELNS1_11target_archE1030ELNS1_3gpuE2ELNS1_3repE0EEENS1_36merge_oddeven_config_static_selectorELNS0_4arch9wavefront6targetE0EEEvSM_
; %bb.0:
	.section	.rodata,"a",@progbits
	.p2align	6, 0x0
	.amdhsa_kernel _ZN7rocprim17ROCPRIM_400000_NS6detail17trampoline_kernelINS0_14default_configENS1_38merge_sort_block_merge_config_selectorIlNS0_10empty_typeEEEZZNS1_27merge_sort_block_merge_implIS3_PlPS5_mZN2at6native12_GLOBAL__N_124unique_dim_cuda_templateIjEESt5tupleIJNSA_6TensorESF_SF_EERKSF_lbbbEUlllE_EE10hipError_tT0_T1_T2_jT3_P12ihipStream_tbPNSt15iterator_traitsISL_E10value_typeEPNSR_ISM_E10value_typeEPSN_NS1_7vsmem_tEENKUlT_SL_SM_SN_E_clIS8_S8_S9_S9_EESK_S10_SL_SM_SN_EUlS10_E1_NS1_11comp_targetILNS1_3genE8ELNS1_11target_archE1030ELNS1_3gpuE2ELNS1_3repE0EEENS1_36merge_oddeven_config_static_selectorELNS0_4arch9wavefront6targetE0EEEvSM_
		.amdhsa_group_segment_fixed_size 0
		.amdhsa_private_segment_fixed_size 0
		.amdhsa_kernarg_size 64
		.amdhsa_user_sgpr_count 2
		.amdhsa_user_sgpr_dispatch_ptr 0
		.amdhsa_user_sgpr_queue_ptr 0
		.amdhsa_user_sgpr_kernarg_segment_ptr 1
		.amdhsa_user_sgpr_dispatch_id 0
		.amdhsa_user_sgpr_kernarg_preload_length 0
		.amdhsa_user_sgpr_kernarg_preload_offset 0
		.amdhsa_user_sgpr_private_segment_size 0
		.amdhsa_wavefront_size32 1
		.amdhsa_uses_dynamic_stack 0
		.amdhsa_enable_private_segment 0
		.amdhsa_system_sgpr_workgroup_id_x 1
		.amdhsa_system_sgpr_workgroup_id_y 0
		.amdhsa_system_sgpr_workgroup_id_z 0
		.amdhsa_system_sgpr_workgroup_info 0
		.amdhsa_system_vgpr_workitem_id 0
		.amdhsa_next_free_vgpr 1
		.amdhsa_next_free_sgpr 1
		.amdhsa_named_barrier_count 0
		.amdhsa_reserve_vcc 0
		.amdhsa_float_round_mode_32 0
		.amdhsa_float_round_mode_16_64 0
		.amdhsa_float_denorm_mode_32 3
		.amdhsa_float_denorm_mode_16_64 3
		.amdhsa_fp16_overflow 0
		.amdhsa_memory_ordered 1
		.amdhsa_forward_progress 1
		.amdhsa_inst_pref_size 0
		.amdhsa_round_robin_scheduling 0
		.amdhsa_exception_fp_ieee_invalid_op 0
		.amdhsa_exception_fp_denorm_src 0
		.amdhsa_exception_fp_ieee_div_zero 0
		.amdhsa_exception_fp_ieee_overflow 0
		.amdhsa_exception_fp_ieee_underflow 0
		.amdhsa_exception_fp_ieee_inexact 0
		.amdhsa_exception_int_div_zero 0
	.end_amdhsa_kernel
	.section	.text._ZN7rocprim17ROCPRIM_400000_NS6detail17trampoline_kernelINS0_14default_configENS1_38merge_sort_block_merge_config_selectorIlNS0_10empty_typeEEEZZNS1_27merge_sort_block_merge_implIS3_PlPS5_mZN2at6native12_GLOBAL__N_124unique_dim_cuda_templateIjEESt5tupleIJNSA_6TensorESF_SF_EERKSF_lbbbEUlllE_EE10hipError_tT0_T1_T2_jT3_P12ihipStream_tbPNSt15iterator_traitsISL_E10value_typeEPNSR_ISM_E10value_typeEPSN_NS1_7vsmem_tEENKUlT_SL_SM_SN_E_clIS8_S8_S9_S9_EESK_S10_SL_SM_SN_EUlS10_E1_NS1_11comp_targetILNS1_3genE8ELNS1_11target_archE1030ELNS1_3gpuE2ELNS1_3repE0EEENS1_36merge_oddeven_config_static_selectorELNS0_4arch9wavefront6targetE0EEEvSM_,"axG",@progbits,_ZN7rocprim17ROCPRIM_400000_NS6detail17trampoline_kernelINS0_14default_configENS1_38merge_sort_block_merge_config_selectorIlNS0_10empty_typeEEEZZNS1_27merge_sort_block_merge_implIS3_PlPS5_mZN2at6native12_GLOBAL__N_124unique_dim_cuda_templateIjEESt5tupleIJNSA_6TensorESF_SF_EERKSF_lbbbEUlllE_EE10hipError_tT0_T1_T2_jT3_P12ihipStream_tbPNSt15iterator_traitsISL_E10value_typeEPNSR_ISM_E10value_typeEPSN_NS1_7vsmem_tEENKUlT_SL_SM_SN_E_clIS8_S8_S9_S9_EESK_S10_SL_SM_SN_EUlS10_E1_NS1_11comp_targetILNS1_3genE8ELNS1_11target_archE1030ELNS1_3gpuE2ELNS1_3repE0EEENS1_36merge_oddeven_config_static_selectorELNS0_4arch9wavefront6targetE0EEEvSM_,comdat
.Lfunc_end1515:
	.size	_ZN7rocprim17ROCPRIM_400000_NS6detail17trampoline_kernelINS0_14default_configENS1_38merge_sort_block_merge_config_selectorIlNS0_10empty_typeEEEZZNS1_27merge_sort_block_merge_implIS3_PlPS5_mZN2at6native12_GLOBAL__N_124unique_dim_cuda_templateIjEESt5tupleIJNSA_6TensorESF_SF_EERKSF_lbbbEUlllE_EE10hipError_tT0_T1_T2_jT3_P12ihipStream_tbPNSt15iterator_traitsISL_E10value_typeEPNSR_ISM_E10value_typeEPSN_NS1_7vsmem_tEENKUlT_SL_SM_SN_E_clIS8_S8_S9_S9_EESK_S10_SL_SM_SN_EUlS10_E1_NS1_11comp_targetILNS1_3genE8ELNS1_11target_archE1030ELNS1_3gpuE2ELNS1_3repE0EEENS1_36merge_oddeven_config_static_selectorELNS0_4arch9wavefront6targetE0EEEvSM_, .Lfunc_end1515-_ZN7rocprim17ROCPRIM_400000_NS6detail17trampoline_kernelINS0_14default_configENS1_38merge_sort_block_merge_config_selectorIlNS0_10empty_typeEEEZZNS1_27merge_sort_block_merge_implIS3_PlPS5_mZN2at6native12_GLOBAL__N_124unique_dim_cuda_templateIjEESt5tupleIJNSA_6TensorESF_SF_EERKSF_lbbbEUlllE_EE10hipError_tT0_T1_T2_jT3_P12ihipStream_tbPNSt15iterator_traitsISL_E10value_typeEPNSR_ISM_E10value_typeEPSN_NS1_7vsmem_tEENKUlT_SL_SM_SN_E_clIS8_S8_S9_S9_EESK_S10_SL_SM_SN_EUlS10_E1_NS1_11comp_targetILNS1_3genE8ELNS1_11target_archE1030ELNS1_3gpuE2ELNS1_3repE0EEENS1_36merge_oddeven_config_static_selectorELNS0_4arch9wavefront6targetE0EEEvSM_
                                        ; -- End function
	.set _ZN7rocprim17ROCPRIM_400000_NS6detail17trampoline_kernelINS0_14default_configENS1_38merge_sort_block_merge_config_selectorIlNS0_10empty_typeEEEZZNS1_27merge_sort_block_merge_implIS3_PlPS5_mZN2at6native12_GLOBAL__N_124unique_dim_cuda_templateIjEESt5tupleIJNSA_6TensorESF_SF_EERKSF_lbbbEUlllE_EE10hipError_tT0_T1_T2_jT3_P12ihipStream_tbPNSt15iterator_traitsISL_E10value_typeEPNSR_ISM_E10value_typeEPSN_NS1_7vsmem_tEENKUlT_SL_SM_SN_E_clIS8_S8_S9_S9_EESK_S10_SL_SM_SN_EUlS10_E1_NS1_11comp_targetILNS1_3genE8ELNS1_11target_archE1030ELNS1_3gpuE2ELNS1_3repE0EEENS1_36merge_oddeven_config_static_selectorELNS0_4arch9wavefront6targetE0EEEvSM_.num_vgpr, 0
	.set _ZN7rocprim17ROCPRIM_400000_NS6detail17trampoline_kernelINS0_14default_configENS1_38merge_sort_block_merge_config_selectorIlNS0_10empty_typeEEEZZNS1_27merge_sort_block_merge_implIS3_PlPS5_mZN2at6native12_GLOBAL__N_124unique_dim_cuda_templateIjEESt5tupleIJNSA_6TensorESF_SF_EERKSF_lbbbEUlllE_EE10hipError_tT0_T1_T2_jT3_P12ihipStream_tbPNSt15iterator_traitsISL_E10value_typeEPNSR_ISM_E10value_typeEPSN_NS1_7vsmem_tEENKUlT_SL_SM_SN_E_clIS8_S8_S9_S9_EESK_S10_SL_SM_SN_EUlS10_E1_NS1_11comp_targetILNS1_3genE8ELNS1_11target_archE1030ELNS1_3gpuE2ELNS1_3repE0EEENS1_36merge_oddeven_config_static_selectorELNS0_4arch9wavefront6targetE0EEEvSM_.num_agpr, 0
	.set _ZN7rocprim17ROCPRIM_400000_NS6detail17trampoline_kernelINS0_14default_configENS1_38merge_sort_block_merge_config_selectorIlNS0_10empty_typeEEEZZNS1_27merge_sort_block_merge_implIS3_PlPS5_mZN2at6native12_GLOBAL__N_124unique_dim_cuda_templateIjEESt5tupleIJNSA_6TensorESF_SF_EERKSF_lbbbEUlllE_EE10hipError_tT0_T1_T2_jT3_P12ihipStream_tbPNSt15iterator_traitsISL_E10value_typeEPNSR_ISM_E10value_typeEPSN_NS1_7vsmem_tEENKUlT_SL_SM_SN_E_clIS8_S8_S9_S9_EESK_S10_SL_SM_SN_EUlS10_E1_NS1_11comp_targetILNS1_3genE8ELNS1_11target_archE1030ELNS1_3gpuE2ELNS1_3repE0EEENS1_36merge_oddeven_config_static_selectorELNS0_4arch9wavefront6targetE0EEEvSM_.numbered_sgpr, 0
	.set _ZN7rocprim17ROCPRIM_400000_NS6detail17trampoline_kernelINS0_14default_configENS1_38merge_sort_block_merge_config_selectorIlNS0_10empty_typeEEEZZNS1_27merge_sort_block_merge_implIS3_PlPS5_mZN2at6native12_GLOBAL__N_124unique_dim_cuda_templateIjEESt5tupleIJNSA_6TensorESF_SF_EERKSF_lbbbEUlllE_EE10hipError_tT0_T1_T2_jT3_P12ihipStream_tbPNSt15iterator_traitsISL_E10value_typeEPNSR_ISM_E10value_typeEPSN_NS1_7vsmem_tEENKUlT_SL_SM_SN_E_clIS8_S8_S9_S9_EESK_S10_SL_SM_SN_EUlS10_E1_NS1_11comp_targetILNS1_3genE8ELNS1_11target_archE1030ELNS1_3gpuE2ELNS1_3repE0EEENS1_36merge_oddeven_config_static_selectorELNS0_4arch9wavefront6targetE0EEEvSM_.num_named_barrier, 0
	.set _ZN7rocprim17ROCPRIM_400000_NS6detail17trampoline_kernelINS0_14default_configENS1_38merge_sort_block_merge_config_selectorIlNS0_10empty_typeEEEZZNS1_27merge_sort_block_merge_implIS3_PlPS5_mZN2at6native12_GLOBAL__N_124unique_dim_cuda_templateIjEESt5tupleIJNSA_6TensorESF_SF_EERKSF_lbbbEUlllE_EE10hipError_tT0_T1_T2_jT3_P12ihipStream_tbPNSt15iterator_traitsISL_E10value_typeEPNSR_ISM_E10value_typeEPSN_NS1_7vsmem_tEENKUlT_SL_SM_SN_E_clIS8_S8_S9_S9_EESK_S10_SL_SM_SN_EUlS10_E1_NS1_11comp_targetILNS1_3genE8ELNS1_11target_archE1030ELNS1_3gpuE2ELNS1_3repE0EEENS1_36merge_oddeven_config_static_selectorELNS0_4arch9wavefront6targetE0EEEvSM_.private_seg_size, 0
	.set _ZN7rocprim17ROCPRIM_400000_NS6detail17trampoline_kernelINS0_14default_configENS1_38merge_sort_block_merge_config_selectorIlNS0_10empty_typeEEEZZNS1_27merge_sort_block_merge_implIS3_PlPS5_mZN2at6native12_GLOBAL__N_124unique_dim_cuda_templateIjEESt5tupleIJNSA_6TensorESF_SF_EERKSF_lbbbEUlllE_EE10hipError_tT0_T1_T2_jT3_P12ihipStream_tbPNSt15iterator_traitsISL_E10value_typeEPNSR_ISM_E10value_typeEPSN_NS1_7vsmem_tEENKUlT_SL_SM_SN_E_clIS8_S8_S9_S9_EESK_S10_SL_SM_SN_EUlS10_E1_NS1_11comp_targetILNS1_3genE8ELNS1_11target_archE1030ELNS1_3gpuE2ELNS1_3repE0EEENS1_36merge_oddeven_config_static_selectorELNS0_4arch9wavefront6targetE0EEEvSM_.uses_vcc, 0
	.set _ZN7rocprim17ROCPRIM_400000_NS6detail17trampoline_kernelINS0_14default_configENS1_38merge_sort_block_merge_config_selectorIlNS0_10empty_typeEEEZZNS1_27merge_sort_block_merge_implIS3_PlPS5_mZN2at6native12_GLOBAL__N_124unique_dim_cuda_templateIjEESt5tupleIJNSA_6TensorESF_SF_EERKSF_lbbbEUlllE_EE10hipError_tT0_T1_T2_jT3_P12ihipStream_tbPNSt15iterator_traitsISL_E10value_typeEPNSR_ISM_E10value_typeEPSN_NS1_7vsmem_tEENKUlT_SL_SM_SN_E_clIS8_S8_S9_S9_EESK_S10_SL_SM_SN_EUlS10_E1_NS1_11comp_targetILNS1_3genE8ELNS1_11target_archE1030ELNS1_3gpuE2ELNS1_3repE0EEENS1_36merge_oddeven_config_static_selectorELNS0_4arch9wavefront6targetE0EEEvSM_.uses_flat_scratch, 0
	.set _ZN7rocprim17ROCPRIM_400000_NS6detail17trampoline_kernelINS0_14default_configENS1_38merge_sort_block_merge_config_selectorIlNS0_10empty_typeEEEZZNS1_27merge_sort_block_merge_implIS3_PlPS5_mZN2at6native12_GLOBAL__N_124unique_dim_cuda_templateIjEESt5tupleIJNSA_6TensorESF_SF_EERKSF_lbbbEUlllE_EE10hipError_tT0_T1_T2_jT3_P12ihipStream_tbPNSt15iterator_traitsISL_E10value_typeEPNSR_ISM_E10value_typeEPSN_NS1_7vsmem_tEENKUlT_SL_SM_SN_E_clIS8_S8_S9_S9_EESK_S10_SL_SM_SN_EUlS10_E1_NS1_11comp_targetILNS1_3genE8ELNS1_11target_archE1030ELNS1_3gpuE2ELNS1_3repE0EEENS1_36merge_oddeven_config_static_selectorELNS0_4arch9wavefront6targetE0EEEvSM_.has_dyn_sized_stack, 0
	.set _ZN7rocprim17ROCPRIM_400000_NS6detail17trampoline_kernelINS0_14default_configENS1_38merge_sort_block_merge_config_selectorIlNS0_10empty_typeEEEZZNS1_27merge_sort_block_merge_implIS3_PlPS5_mZN2at6native12_GLOBAL__N_124unique_dim_cuda_templateIjEESt5tupleIJNSA_6TensorESF_SF_EERKSF_lbbbEUlllE_EE10hipError_tT0_T1_T2_jT3_P12ihipStream_tbPNSt15iterator_traitsISL_E10value_typeEPNSR_ISM_E10value_typeEPSN_NS1_7vsmem_tEENKUlT_SL_SM_SN_E_clIS8_S8_S9_S9_EESK_S10_SL_SM_SN_EUlS10_E1_NS1_11comp_targetILNS1_3genE8ELNS1_11target_archE1030ELNS1_3gpuE2ELNS1_3repE0EEENS1_36merge_oddeven_config_static_selectorELNS0_4arch9wavefront6targetE0EEEvSM_.has_recursion, 0
	.set _ZN7rocprim17ROCPRIM_400000_NS6detail17trampoline_kernelINS0_14default_configENS1_38merge_sort_block_merge_config_selectorIlNS0_10empty_typeEEEZZNS1_27merge_sort_block_merge_implIS3_PlPS5_mZN2at6native12_GLOBAL__N_124unique_dim_cuda_templateIjEESt5tupleIJNSA_6TensorESF_SF_EERKSF_lbbbEUlllE_EE10hipError_tT0_T1_T2_jT3_P12ihipStream_tbPNSt15iterator_traitsISL_E10value_typeEPNSR_ISM_E10value_typeEPSN_NS1_7vsmem_tEENKUlT_SL_SM_SN_E_clIS8_S8_S9_S9_EESK_S10_SL_SM_SN_EUlS10_E1_NS1_11comp_targetILNS1_3genE8ELNS1_11target_archE1030ELNS1_3gpuE2ELNS1_3repE0EEENS1_36merge_oddeven_config_static_selectorELNS0_4arch9wavefront6targetE0EEEvSM_.has_indirect_call, 0
	.section	.AMDGPU.csdata,"",@progbits
; Kernel info:
; codeLenInByte = 0
; TotalNumSgprs: 0
; NumVgprs: 0
; ScratchSize: 0
; MemoryBound: 0
; FloatMode: 240
; IeeeMode: 1
; LDSByteSize: 0 bytes/workgroup (compile time only)
; SGPRBlocks: 0
; VGPRBlocks: 0
; NumSGPRsForWavesPerEU: 1
; NumVGPRsForWavesPerEU: 1
; NamedBarCnt: 0
; Occupancy: 16
; WaveLimiterHint : 0
; COMPUTE_PGM_RSRC2:SCRATCH_EN: 0
; COMPUTE_PGM_RSRC2:USER_SGPR: 2
; COMPUTE_PGM_RSRC2:TRAP_HANDLER: 0
; COMPUTE_PGM_RSRC2:TGID_X_EN: 1
; COMPUTE_PGM_RSRC2:TGID_Y_EN: 0
; COMPUTE_PGM_RSRC2:TGID_Z_EN: 0
; COMPUTE_PGM_RSRC2:TIDIG_COMP_CNT: 0
	.section	.text._ZN7rocprim17ROCPRIM_400000_NS6detail17trampoline_kernelINS0_14default_configENS1_35adjacent_difference_config_selectorILb0ElEEZNS1_24adjacent_difference_implIS3_Lb0ELb0EPlS7_ZN2at6native12_GLOBAL__N_124unique_dim_cuda_templateIjEESt5tupleIJNS8_6TensorESD_SD_EERKSD_lbbbEUlllE1_EE10hipError_tPvRmT2_T3_mT4_P12ihipStream_tbEUlT_E_NS1_11comp_targetILNS1_3genE0ELNS1_11target_archE4294967295ELNS1_3gpuE0ELNS1_3repE0EEENS1_30default_config_static_selectorELNS0_4arch9wavefront6targetE0EEEvT1_,"axG",@progbits,_ZN7rocprim17ROCPRIM_400000_NS6detail17trampoline_kernelINS0_14default_configENS1_35adjacent_difference_config_selectorILb0ElEEZNS1_24adjacent_difference_implIS3_Lb0ELb0EPlS7_ZN2at6native12_GLOBAL__N_124unique_dim_cuda_templateIjEESt5tupleIJNS8_6TensorESD_SD_EERKSD_lbbbEUlllE1_EE10hipError_tPvRmT2_T3_mT4_P12ihipStream_tbEUlT_E_NS1_11comp_targetILNS1_3genE0ELNS1_11target_archE4294967295ELNS1_3gpuE0ELNS1_3repE0EEENS1_30default_config_static_selectorELNS0_4arch9wavefront6targetE0EEEvT1_,comdat
	.globl	_ZN7rocprim17ROCPRIM_400000_NS6detail17trampoline_kernelINS0_14default_configENS1_35adjacent_difference_config_selectorILb0ElEEZNS1_24adjacent_difference_implIS3_Lb0ELb0EPlS7_ZN2at6native12_GLOBAL__N_124unique_dim_cuda_templateIjEESt5tupleIJNS8_6TensorESD_SD_EERKSD_lbbbEUlllE1_EE10hipError_tPvRmT2_T3_mT4_P12ihipStream_tbEUlT_E_NS1_11comp_targetILNS1_3genE0ELNS1_11target_archE4294967295ELNS1_3gpuE0ELNS1_3repE0EEENS1_30default_config_static_selectorELNS0_4arch9wavefront6targetE0EEEvT1_ ; -- Begin function _ZN7rocprim17ROCPRIM_400000_NS6detail17trampoline_kernelINS0_14default_configENS1_35adjacent_difference_config_selectorILb0ElEEZNS1_24adjacent_difference_implIS3_Lb0ELb0EPlS7_ZN2at6native12_GLOBAL__N_124unique_dim_cuda_templateIjEESt5tupleIJNS8_6TensorESD_SD_EERKSD_lbbbEUlllE1_EE10hipError_tPvRmT2_T3_mT4_P12ihipStream_tbEUlT_E_NS1_11comp_targetILNS1_3genE0ELNS1_11target_archE4294967295ELNS1_3gpuE0ELNS1_3repE0EEENS1_30default_config_static_selectorELNS0_4arch9wavefront6targetE0EEEvT1_
	.p2align	8
	.type	_ZN7rocprim17ROCPRIM_400000_NS6detail17trampoline_kernelINS0_14default_configENS1_35adjacent_difference_config_selectorILb0ElEEZNS1_24adjacent_difference_implIS3_Lb0ELb0EPlS7_ZN2at6native12_GLOBAL__N_124unique_dim_cuda_templateIjEESt5tupleIJNS8_6TensorESD_SD_EERKSD_lbbbEUlllE1_EE10hipError_tPvRmT2_T3_mT4_P12ihipStream_tbEUlT_E_NS1_11comp_targetILNS1_3genE0ELNS1_11target_archE4294967295ELNS1_3gpuE0ELNS1_3repE0EEENS1_30default_config_static_selectorELNS0_4arch9wavefront6targetE0EEEvT1_,@function
_ZN7rocprim17ROCPRIM_400000_NS6detail17trampoline_kernelINS0_14default_configENS1_35adjacent_difference_config_selectorILb0ElEEZNS1_24adjacent_difference_implIS3_Lb0ELb0EPlS7_ZN2at6native12_GLOBAL__N_124unique_dim_cuda_templateIjEESt5tupleIJNS8_6TensorESD_SD_EERKSD_lbbbEUlllE1_EE10hipError_tPvRmT2_T3_mT4_P12ihipStream_tbEUlT_E_NS1_11comp_targetILNS1_3genE0ELNS1_11target_archE4294967295ELNS1_3gpuE0ELNS1_3repE0EEENS1_30default_config_static_selectorELNS0_4arch9wavefront6targetE0EEEvT1_: ; @_ZN7rocprim17ROCPRIM_400000_NS6detail17trampoline_kernelINS0_14default_configENS1_35adjacent_difference_config_selectorILb0ElEEZNS1_24adjacent_difference_implIS3_Lb0ELb0EPlS7_ZN2at6native12_GLOBAL__N_124unique_dim_cuda_templateIjEESt5tupleIJNS8_6TensorESD_SD_EERKSD_lbbbEUlllE1_EE10hipError_tPvRmT2_T3_mT4_P12ihipStream_tbEUlT_E_NS1_11comp_targetILNS1_3genE0ELNS1_11target_archE4294967295ELNS1_3gpuE0ELNS1_3repE0EEENS1_30default_config_static_selectorELNS0_4arch9wavefront6targetE0EEEvT1_
; %bb.0:
	s_load_b256 s[4:11], s[0:1], 0x0
	s_bfe_u32 s2, ttmp6, 0x4000c
	s_and_b32 s3, ttmp6, 15
	s_add_co_i32 s2, s2, 1
	s_getreg_b32 s12, hwreg(HW_REG_IB_STS2, 6, 4)
	s_mul_i32 s2, ttmp9, s2
	s_load_b64 s[16:17], s[0:1], 0x38
	s_add_co_i32 s3, s3, s2
	s_mov_b32 s23, 0
	s_delay_alu instid0(SALU_CYCLE_1)
	s_mov_b32 s19, s23
	s_wait_kmcnt 0x0
	s_lshl_b64 s[6:7], s[6:7], 3
	s_cmp_eq_u32 s12, 0
	s_add_nc_u64 s[4:5], s[4:5], s[6:7]
	s_cselect_b32 s18, ttmp9, s3
	s_and_b64 s[12:13], s[10:11], 0x7f
	s_lshr_b64 s[20:21], s[10:11], 7
	s_lshl_b32 s2, s18, 7
	s_cmp_lg_u64 s[12:13], 0
	s_load_b128 s[12:15], s[0:1], 0x20
	s_cselect_b32 s3, -1, 0
	s_add_nc_u64 s[18:19], s[16:17], s[18:19]
	v_cndmask_b32_e64 v1, 0, 1, s3
	s_delay_alu instid0(VALU_DEP_1) | instskip(SKIP_2) | instid1(SALU_CYCLE_1)
	v_readfirstlane_b32 s22, v1
	s_wait_xcnt 0x0
	s_add_nc_u64 s[0:1], s[20:21], s[22:23]
	s_add_nc_u64 s[16:17], s[0:1], -1
	s_delay_alu instid0(SALU_CYCLE_1)
	v_cmp_ge_u64_e64 s11, s[18:19], s[16:17]
	s_and_b32 vcc_lo, exec_lo, s11
	s_cbranch_vccz .LBB1516_4
; %bb.1:
	s_lshl_b32 s3, s16, 7
	s_mov_b32 s20, exec_lo
	s_sub_co_i32 s3, s10, s3
                                        ; implicit-def: $vgpr2_vgpr3
	s_delay_alu instid0(SALU_CYCLE_1)
	v_cmpx_gt_u32_e64 s3, v0
	s_cbranch_execz .LBB1516_3
; %bb.2:
	s_mov_b32 s3, 0
	s_delay_alu instid0(SALU_CYCLE_1) | instskip(NEXT) | instid1(SALU_CYCLE_1)
	s_lshl_b64 s[22:23], s[2:3], 3
	s_add_nc_u64 s[22:23], s[4:5], s[22:23]
	global_load_b64 v[2:3], v0, s[22:23] scale_offset
.LBB1516_3:
	s_wait_xcnt 0x0
	s_or_b32 exec_lo, exec_lo, s20
	v_lshlrev_b32_e32 v1, 3, v0
	s_wait_loadcnt 0x0
	ds_store_b64 v1, v[2:3]
	s_wait_dscnt 0x0
	s_barrier_signal -1
	s_barrier_wait -1
	s_branch .LBB1516_6
.LBB1516_4:
                                        ; implicit-def: $vgpr1
	s_cbranch_execz .LBB1516_6
; %bb.5:
	s_mov_b32 s3, 0
	v_lshlrev_b32_e32 v1, 3, v0
	s_lshl_b64 s[20:21], s[2:3], 3
	s_delay_alu instid0(SALU_CYCLE_1)
	s_add_nc_u64 s[20:21], s[4:5], s[20:21]
	global_load_b64 v[2:3], v0, s[20:21] scale_offset
	s_wait_loadcnt 0x0
	ds_store_b64 v1, v[2:3]
	s_wait_dscnt 0x0
	s_barrier_signal -1
	s_barrier_wait -1
.LBB1516_6:
	ds_load_b64 v[2:3], v1
	s_cmp_eq_u64 s[18:19], 0
	s_wait_dscnt 0x0
	s_barrier_signal -1
	s_barrier_wait -1
	s_cbranch_scc1 .LBB1516_15
; %bb.7:
	s_mov_b32 s3, 0
	s_delay_alu instid0(SALU_CYCLE_1) | instskip(SKIP_2) | instid1(SALU_CYCLE_1)
	s_lshl_b64 s[20:21], s[2:3], 3
	s_cmp_eq_u64 s[18:19], s[16:17]
	s_add_nc_u64 s[4:5], s[4:5], s[20:21]
	s_add_nc_u64 s[4:5], s[4:5], -8
	s_load_b64 s[4:5], s[4:5], 0x0
	s_cbranch_scc1 .LBB1516_16
; %bb.8:
	s_wait_kmcnt 0x0
	v_mov_b64_e32 v[4:5], s[4:5]
	v_lshlrev_b32_e32 v1, 3, v0
	s_mov_b32 s3, exec_lo
	ds_store_b64 v1, v[2:3]
	s_wait_dscnt 0x0
	s_barrier_signal -1
	s_barrier_wait -1
	v_cmpx_ne_u32_e32 0, v0
; %bb.9:
	v_add_nc_u32_e32 v1, -8, v1
	ds_load_b64 v[4:5], v1
; %bb.10:
	s_or_b32 exec_lo, exec_lo, s3
	v_cmp_lt_i64_e64 s3, s[12:13], 1
	s_and_b32 vcc_lo, exec_lo, s3
	s_cbranch_vccnz .LBB1516_18
; %bb.11:
	v_mul_u64_e32 v[6:7], s[12:13], v[2:3]
	s_wait_dscnt 0x0
	v_mul_u64_e32 v[4:5], s[12:13], v[4:5]
	s_mov_b32 s3, 0
	s_mov_b64 s[20:21], s[12:13]
                                        ; implicit-def: $sgpr17
	s_delay_alu instid0(VALU_DEP_2) | instskip(NEXT) | instid1(VALU_DEP_2)
	v_lshl_add_u64 v[6:7], v[6:7], 2, s[14:15]
	v_lshl_add_u64 v[8:9], v[4:5], 2, s[14:15]
	s_branch .LBB1516_13
.LBB1516_12:                            ;   in Loop: Header=BB1516_13 Depth=1
	s_or_b32 exec_lo, exec_lo, s19
	s_delay_alu instid0(SALU_CYCLE_1) | instskip(NEXT) | instid1(SALU_CYCLE_1)
	s_and_b32 s19, exec_lo, s17
	s_or_b32 s3, s19, s3
	s_delay_alu instid0(SALU_CYCLE_1)
	s_and_not1_b32 exec_lo, exec_lo, s3
	s_cbranch_execz .LBB1516_17
.LBB1516_13:                            ; =>This Inner Loop Header: Depth=1
	global_load_b32 v1, v[6:7], off
	global_load_b32 v10, v[8:9], off
	v_mov_b64_e32 v[4:5], 1
	s_or_b32 s17, s17, exec_lo
	s_mov_b32 s19, exec_lo
	s_wait_loadcnt 0x0
	v_cmpx_eq_u32_e64 v1, v10
	s_cbranch_execz .LBB1516_12
; %bb.14:                               ;   in Loop: Header=BB1516_13 Depth=1
	s_add_nc_u64 s[20:21], s[20:21], -1
	v_add_nc_u64_e32 v[6:7], 4, v[6:7]
	s_cmp_eq_u64 s[20:21], 0
	v_add_nc_u64_e32 v[8:9], 4, v[8:9]
	v_mov_b64_e32 v[4:5], 0
	s_cselect_b32 s22, -1, 0
	s_and_not1_b32 s17, s17, exec_lo
	s_and_b32 s22, s22, exec_lo
	s_delay_alu instid0(SALU_CYCLE_1)
	s_or_b32 s17, s17, s22
	s_branch .LBB1516_12
.LBB1516_15:
                                        ; implicit-def: $vgpr4_vgpr5
	s_branch .LBB1516_31
.LBB1516_16:
                                        ; implicit-def: $vgpr4_vgpr5
	s_cbranch_execnz .LBB1516_19
	s_branch .LBB1516_30
.LBB1516_17:
	s_or_b32 exec_lo, exec_lo, s3
	s_branch .LBB1516_30
.LBB1516_18:
	s_wait_dscnt 0x0
	v_mov_b64_e32 v[4:5], 0
	s_branch .LBB1516_30
.LBB1516_19:
	s_wait_kmcnt 0x0
	v_mov_b64_e32 v[6:7], s[4:5]
	v_lshlrev_b32_e32 v1, 3, v0
	s_mov_b32 s3, exec_lo
	ds_store_b64 v1, v[2:3]
	s_wait_dscnt 0x0
	s_barrier_signal -1
	s_barrier_wait -1
	v_cmpx_ne_u32_e32 0, v0
; %bb.20:
	v_add_nc_u32_e32 v1, -8, v1
	ds_load_b64 v[6:7], v1
; %bb.21:
	s_or_b32 exec_lo, exec_lo, s3
	s_lshl_b32 s3, s18, 7
	v_mov_b64_e32 v[4:5], v[2:3]
	s_sub_co_i32 s3, s10, s3
	s_delay_alu instid0(SALU_CYCLE_1)
	v_cmp_gt_u32_e32 vcc_lo, s3, v0
	s_and_saveexec_b32 s3, vcc_lo
	s_cbranch_execz .LBB1516_29
; %bb.22:
	v_cmp_lt_i64_e64 s4, s[12:13], 1
	s_and_b32 vcc_lo, exec_lo, s4
	s_cbranch_vccnz .LBB1516_28
; %bb.23:
	v_mul_u64_e32 v[4:5], s[12:13], v[2:3]
	s_wait_dscnt 0x0
	v_mul_u64_e32 v[8:9], s[12:13], v[6:7]
	s_mov_b32 s17, 0
	s_mov_b64 s[4:5], s[12:13]
                                        ; implicit-def: $sgpr18
	s_delay_alu instid0(VALU_DEP_2) | instskip(NEXT) | instid1(VALU_DEP_2)
	v_lshl_add_u64 v[6:7], v[4:5], 2, s[14:15]
	v_lshl_add_u64 v[8:9], v[8:9], 2, s[14:15]
	s_branch .LBB1516_25
.LBB1516_24:                            ;   in Loop: Header=BB1516_25 Depth=1
	s_or_b32 exec_lo, exec_lo, s19
	s_delay_alu instid0(SALU_CYCLE_1) | instskip(NEXT) | instid1(SALU_CYCLE_1)
	s_and_b32 s19, exec_lo, s18
	s_or_b32 s17, s19, s17
	s_delay_alu instid0(SALU_CYCLE_1)
	s_and_not1_b32 exec_lo, exec_lo, s17
	s_cbranch_execz .LBB1516_27
.LBB1516_25:                            ; =>This Inner Loop Header: Depth=1
	global_load_b32 v1, v[6:7], off
	global_load_b32 v10, v[8:9], off
	v_mov_b64_e32 v[4:5], 1
	s_or_b32 s18, s18, exec_lo
	s_mov_b32 s19, exec_lo
	s_wait_loadcnt 0x0
	v_cmpx_eq_u32_e64 v1, v10
	s_cbranch_execz .LBB1516_24
; %bb.26:                               ;   in Loop: Header=BB1516_25 Depth=1
	s_add_nc_u64 s[4:5], s[4:5], -1
	v_add_nc_u64_e32 v[6:7], 4, v[6:7]
	s_cmp_eq_u64 s[4:5], 0
	v_add_nc_u64_e32 v[8:9], 4, v[8:9]
	v_mov_b64_e32 v[4:5], 0
	s_cselect_b32 s20, -1, 0
	s_and_not1_b32 s18, s18, exec_lo
	s_and_b32 s20, s20, exec_lo
	s_delay_alu instid0(SALU_CYCLE_1)
	s_or_b32 s18, s18, s20
	s_branch .LBB1516_24
.LBB1516_27:
	s_or_b32 exec_lo, exec_lo, s17
	s_branch .LBB1516_29
.LBB1516_28:
	v_mov_b64_e32 v[4:5], 0
.LBB1516_29:
	s_or_b32 exec_lo, exec_lo, s3
.LBB1516_30:
	s_cbranch_execnz .LBB1516_51
.LBB1516_31:
	s_cmp_eq_u64 s[0:1], 1
	v_cmp_ne_u32_e32 vcc_lo, 0, v0
	s_cbranch_scc1 .LBB1516_38
; %bb.32:
	v_mov_b64_e32 v[4:5], v[2:3]
	v_lshlrev_b32_e32 v1, 3, v0
	s_mov_b32 s3, 0
	ds_store_b64 v1, v[2:3]
	s_wait_dscnt 0x0
	s_barrier_signal -1
	s_barrier_wait -1
	s_wait_kmcnt 0x0
	s_and_saveexec_b32 s4, vcc_lo
	s_cbranch_execz .LBB1516_40
; %bb.33:
	v_cmp_lt_i64_e64 s0, s[12:13], 1
	s_and_b32 vcc_lo, exec_lo, s0
	s_cbranch_vccnz .LBB1516_48
; %bb.34:
	v_add_nc_u32_e32 v1, -8, v1
	v_mul_u64_e32 v[6:7], s[12:13], v[2:3]
	s_mov_b32 s5, 0
	s_mov_b64 s[0:1], s[12:13]
                                        ; implicit-def: $sgpr17
	ds_load_b64 v[4:5], v1
	s_wait_dscnt 0x0
	v_mul_u64_e32 v[4:5], s[12:13], v[4:5]
	v_lshl_add_u64 v[6:7], v[6:7], 2, s[14:15]
	s_delay_alu instid0(VALU_DEP_2)
	v_lshl_add_u64 v[8:9], v[4:5], 2, s[14:15]
	s_branch .LBB1516_36
.LBB1516_35:                            ;   in Loop: Header=BB1516_36 Depth=1
	s_or_b32 exec_lo, exec_lo, s18
	s_delay_alu instid0(SALU_CYCLE_1) | instskip(NEXT) | instid1(SALU_CYCLE_1)
	s_and_b32 s18, exec_lo, s17
	s_or_b32 s5, s18, s5
	s_delay_alu instid0(SALU_CYCLE_1)
	s_and_not1_b32 exec_lo, exec_lo, s5
	s_cbranch_execz .LBB1516_39
.LBB1516_36:                            ; =>This Inner Loop Header: Depth=1
	global_load_b32 v1, v[6:7], off
	global_load_b32 v10, v[8:9], off
	v_mov_b64_e32 v[4:5], 1
	s_or_b32 s17, s17, exec_lo
	s_mov_b32 s18, exec_lo
	s_wait_loadcnt 0x0
	v_cmpx_eq_u32_e64 v1, v10
	s_cbranch_execz .LBB1516_35
; %bb.37:                               ;   in Loop: Header=BB1516_36 Depth=1
	s_add_nc_u64 s[0:1], s[0:1], -1
	v_add_nc_u64_e32 v[6:7], 4, v[6:7]
	s_cmp_eq_u64 s[0:1], 0
	v_add_nc_u64_e32 v[8:9], 4, v[8:9]
	v_mov_b64_e32 v[4:5], 0
	s_cselect_b32 s19, -1, 0
	s_and_not1_b32 s17, s17, exec_lo
	s_and_b32 s19, s19, exec_lo
	s_delay_alu instid0(SALU_CYCLE_1)
	s_or_b32 s17, s17, s19
	s_branch .LBB1516_35
.LBB1516_38:
                                        ; implicit-def: $vgpr4_vgpr5
	s_branch .LBB1516_41
.LBB1516_39:
	s_or_b32 exec_lo, exec_lo, s5
.LBB1516_40:
	s_delay_alu instid0(SALU_CYCLE_1) | instskip(NEXT) | instid1(SALU_CYCLE_1)
	s_or_b32 exec_lo, exec_lo, s4
	s_and_not1_b32 vcc_lo, exec_lo, s3
	s_cbranch_vccnz .LBB1516_51
.LBB1516_41:
	v_cmp_ne_u32_e32 vcc_lo, 0, v0
	v_cmp_gt_u32_e64 s0, s10, v0
	v_lshlrev_b32_e32 v1, 3, v0
	s_and_b32 s1, vcc_lo, s0
	ds_store_b64 v1, v[2:3]
	s_wait_dscnt 0x0
	s_barrier_signal -1
	s_barrier_wait -1
	s_and_saveexec_b32 s0, s1
	s_cbranch_execz .LBB1516_50
; %bb.42:
	s_wait_kmcnt 0x0
	v_cmp_lt_i64_e64 s1, s[12:13], 1
	s_and_b32 vcc_lo, exec_lo, s1
	s_cbranch_vccnz .LBB1516_49
; %bb.43:
	v_add_nc_u32_e32 v1, -8, v1
	v_mul_u64_e32 v[2:3], s[12:13], v[2:3]
	s_mov_b32 s1, 0
                                        ; implicit-def: $sgpr3
	ds_load_b64 v[4:5], v1
	s_wait_dscnt 0x0
	v_mul_u64_e32 v[6:7], s[12:13], v[4:5]
	v_lshl_add_u64 v[4:5], v[2:3], 2, s[14:15]
	s_delay_alu instid0(VALU_DEP_2)
	v_lshl_add_u64 v[6:7], v[6:7], 2, s[14:15]
	s_branch .LBB1516_45
.LBB1516_44:                            ;   in Loop: Header=BB1516_45 Depth=1
	s_or_b32 exec_lo, exec_lo, s4
	s_delay_alu instid0(SALU_CYCLE_1) | instskip(NEXT) | instid1(SALU_CYCLE_1)
	s_and_b32 s4, exec_lo, s3
	s_or_b32 s1, s4, s1
	s_delay_alu instid0(SALU_CYCLE_1)
	s_and_not1_b32 exec_lo, exec_lo, s1
	s_cbranch_execz .LBB1516_47
.LBB1516_45:                            ; =>This Inner Loop Header: Depth=1
	global_load_b32 v1, v[4:5], off
	global_load_b32 v8, v[6:7], off
	v_mov_b64_e32 v[2:3], 1
	s_or_b32 s3, s3, exec_lo
	s_mov_b32 s4, exec_lo
	s_wait_loadcnt 0x0
	v_cmpx_eq_u32_e64 v1, v8
	s_cbranch_execz .LBB1516_44
; %bb.46:                               ;   in Loop: Header=BB1516_45 Depth=1
	s_add_nc_u64 s[12:13], s[12:13], -1
	v_add_nc_u64_e32 v[4:5], 4, v[4:5]
	s_cmp_eq_u64 s[12:13], 0
	v_add_nc_u64_e32 v[6:7], 4, v[6:7]
	v_mov_b64_e32 v[2:3], 0
	s_cselect_b32 s5, -1, 0
	s_and_not1_b32 s3, s3, exec_lo
	s_and_b32 s5, s5, exec_lo
	s_delay_alu instid0(SALU_CYCLE_1)
	s_or_b32 s3, s3, s5
	s_branch .LBB1516_44
.LBB1516_47:
	s_or_b32 exec_lo, exec_lo, s1
	s_branch .LBB1516_50
.LBB1516_48:
	v_mov_b64_e32 v[4:5], 0
	s_or_b32 exec_lo, exec_lo, s4
	s_delay_alu instid0(SALU_CYCLE_1)
	s_and_not1_b32 vcc_lo, exec_lo, s3
	s_cbranch_vccz .LBB1516_41
	s_branch .LBB1516_51
.LBB1516_49:
	v_mov_b64_e32 v[2:3], 0
.LBB1516_50:
	s_or_b32 exec_lo, exec_lo, s0
	s_delay_alu instid0(VALU_DEP_1)
	v_mov_b64_e32 v[4:5], v[2:3]
.LBB1516_51:
	s_add_nc_u64 s[0:1], s[8:9], s[6:7]
	s_and_b32 vcc_lo, exec_lo, s11
	s_mov_b32 s3, -1
	s_wait_dscnt 0x0
	s_barrier_signal -1
	s_barrier_wait -1
	s_cbranch_vccnz .LBB1516_54
; %bb.52:
	s_and_not1_b32 vcc_lo, exec_lo, s3
	s_cbranch_vccz .LBB1516_57
.LBB1516_53:
	s_endpgm
.LBB1516_54:
	v_lshlrev_b32_e32 v1, 3, v0
	s_lshl_b32 s3, s16, 7
	s_wait_kmcnt 0x0
	s_mov_b32 s4, exec_lo
	s_sub_co_i32 s3, s10, s3
	ds_store_b64 v1, v[4:5]
	s_wait_dscnt 0x0
	s_barrier_signal -1
	s_barrier_wait -1
	v_cmpx_gt_u32_e64 s3, v0
	s_cbranch_execz .LBB1516_56
; %bb.55:
	ds_load_b64 v[2:3], v1
	s_mov_b32 s3, 0
	s_delay_alu instid0(SALU_CYCLE_1) | instskip(NEXT) | instid1(SALU_CYCLE_1)
	s_lshl_b64 s[6:7], s[2:3], 3
	s_add_nc_u64 s[6:7], s[0:1], s[6:7]
	s_wait_dscnt 0x0
	global_store_b64 v0, v[2:3], s[6:7] scale_offset
.LBB1516_56:
	s_wait_xcnt 0x0
	s_or_b32 exec_lo, exec_lo, s4
	s_cbranch_execnz .LBB1516_53
.LBB1516_57:
	v_lshlrev_b32_e32 v1, 3, v0
	s_mov_b32 s3, 0
	s_delay_alu instid0(SALU_CYCLE_1) | instskip(NEXT) | instid1(SALU_CYCLE_1)
	s_lshl_b64 s[2:3], s[2:3], 3
	s_add_nc_u64 s[0:1], s[0:1], s[2:3]
	ds_store_b64 v1, v[4:5]
	s_wait_storecnt_dscnt 0x0
	s_barrier_signal -1
	s_barrier_wait -1
	ds_load_b64 v[2:3], v1
	s_wait_dscnt 0x0
	global_store_b64 v0, v[2:3], s[0:1] scale_offset
	s_endpgm
	.section	.rodata,"a",@progbits
	.p2align	6, 0x0
	.amdhsa_kernel _ZN7rocprim17ROCPRIM_400000_NS6detail17trampoline_kernelINS0_14default_configENS1_35adjacent_difference_config_selectorILb0ElEEZNS1_24adjacent_difference_implIS3_Lb0ELb0EPlS7_ZN2at6native12_GLOBAL__N_124unique_dim_cuda_templateIjEESt5tupleIJNS8_6TensorESD_SD_EERKSD_lbbbEUlllE1_EE10hipError_tPvRmT2_T3_mT4_P12ihipStream_tbEUlT_E_NS1_11comp_targetILNS1_3genE0ELNS1_11target_archE4294967295ELNS1_3gpuE0ELNS1_3repE0EEENS1_30default_config_static_selectorELNS0_4arch9wavefront6targetE0EEEvT1_
		.amdhsa_group_segment_fixed_size 2048
		.amdhsa_private_segment_fixed_size 0
		.amdhsa_kernarg_size 64
		.amdhsa_user_sgpr_count 2
		.amdhsa_user_sgpr_dispatch_ptr 0
		.amdhsa_user_sgpr_queue_ptr 0
		.amdhsa_user_sgpr_kernarg_segment_ptr 1
		.amdhsa_user_sgpr_dispatch_id 0
		.amdhsa_user_sgpr_kernarg_preload_length 0
		.amdhsa_user_sgpr_kernarg_preload_offset 0
		.amdhsa_user_sgpr_private_segment_size 0
		.amdhsa_wavefront_size32 1
		.amdhsa_uses_dynamic_stack 0
		.amdhsa_enable_private_segment 0
		.amdhsa_system_sgpr_workgroup_id_x 1
		.amdhsa_system_sgpr_workgroup_id_y 0
		.amdhsa_system_sgpr_workgroup_id_z 0
		.amdhsa_system_sgpr_workgroup_info 0
		.amdhsa_system_vgpr_workitem_id 0
		.amdhsa_next_free_vgpr 11
		.amdhsa_next_free_sgpr 24
		.amdhsa_named_barrier_count 0
		.amdhsa_reserve_vcc 1
		.amdhsa_float_round_mode_32 0
		.amdhsa_float_round_mode_16_64 0
		.amdhsa_float_denorm_mode_32 3
		.amdhsa_float_denorm_mode_16_64 3
		.amdhsa_fp16_overflow 0
		.amdhsa_memory_ordered 1
		.amdhsa_forward_progress 1
		.amdhsa_inst_pref_size 14
		.amdhsa_round_robin_scheduling 0
		.amdhsa_exception_fp_ieee_invalid_op 0
		.amdhsa_exception_fp_denorm_src 0
		.amdhsa_exception_fp_ieee_div_zero 0
		.amdhsa_exception_fp_ieee_overflow 0
		.amdhsa_exception_fp_ieee_underflow 0
		.amdhsa_exception_fp_ieee_inexact 0
		.amdhsa_exception_int_div_zero 0
	.end_amdhsa_kernel
	.section	.text._ZN7rocprim17ROCPRIM_400000_NS6detail17trampoline_kernelINS0_14default_configENS1_35adjacent_difference_config_selectorILb0ElEEZNS1_24adjacent_difference_implIS3_Lb0ELb0EPlS7_ZN2at6native12_GLOBAL__N_124unique_dim_cuda_templateIjEESt5tupleIJNS8_6TensorESD_SD_EERKSD_lbbbEUlllE1_EE10hipError_tPvRmT2_T3_mT4_P12ihipStream_tbEUlT_E_NS1_11comp_targetILNS1_3genE0ELNS1_11target_archE4294967295ELNS1_3gpuE0ELNS1_3repE0EEENS1_30default_config_static_selectorELNS0_4arch9wavefront6targetE0EEEvT1_,"axG",@progbits,_ZN7rocprim17ROCPRIM_400000_NS6detail17trampoline_kernelINS0_14default_configENS1_35adjacent_difference_config_selectorILb0ElEEZNS1_24adjacent_difference_implIS3_Lb0ELb0EPlS7_ZN2at6native12_GLOBAL__N_124unique_dim_cuda_templateIjEESt5tupleIJNS8_6TensorESD_SD_EERKSD_lbbbEUlllE1_EE10hipError_tPvRmT2_T3_mT4_P12ihipStream_tbEUlT_E_NS1_11comp_targetILNS1_3genE0ELNS1_11target_archE4294967295ELNS1_3gpuE0ELNS1_3repE0EEENS1_30default_config_static_selectorELNS0_4arch9wavefront6targetE0EEEvT1_,comdat
.Lfunc_end1516:
	.size	_ZN7rocprim17ROCPRIM_400000_NS6detail17trampoline_kernelINS0_14default_configENS1_35adjacent_difference_config_selectorILb0ElEEZNS1_24adjacent_difference_implIS3_Lb0ELb0EPlS7_ZN2at6native12_GLOBAL__N_124unique_dim_cuda_templateIjEESt5tupleIJNS8_6TensorESD_SD_EERKSD_lbbbEUlllE1_EE10hipError_tPvRmT2_T3_mT4_P12ihipStream_tbEUlT_E_NS1_11comp_targetILNS1_3genE0ELNS1_11target_archE4294967295ELNS1_3gpuE0ELNS1_3repE0EEENS1_30default_config_static_selectorELNS0_4arch9wavefront6targetE0EEEvT1_, .Lfunc_end1516-_ZN7rocprim17ROCPRIM_400000_NS6detail17trampoline_kernelINS0_14default_configENS1_35adjacent_difference_config_selectorILb0ElEEZNS1_24adjacent_difference_implIS3_Lb0ELb0EPlS7_ZN2at6native12_GLOBAL__N_124unique_dim_cuda_templateIjEESt5tupleIJNS8_6TensorESD_SD_EERKSD_lbbbEUlllE1_EE10hipError_tPvRmT2_T3_mT4_P12ihipStream_tbEUlT_E_NS1_11comp_targetILNS1_3genE0ELNS1_11target_archE4294967295ELNS1_3gpuE0ELNS1_3repE0EEENS1_30default_config_static_selectorELNS0_4arch9wavefront6targetE0EEEvT1_
                                        ; -- End function
	.set _ZN7rocprim17ROCPRIM_400000_NS6detail17trampoline_kernelINS0_14default_configENS1_35adjacent_difference_config_selectorILb0ElEEZNS1_24adjacent_difference_implIS3_Lb0ELb0EPlS7_ZN2at6native12_GLOBAL__N_124unique_dim_cuda_templateIjEESt5tupleIJNS8_6TensorESD_SD_EERKSD_lbbbEUlllE1_EE10hipError_tPvRmT2_T3_mT4_P12ihipStream_tbEUlT_E_NS1_11comp_targetILNS1_3genE0ELNS1_11target_archE4294967295ELNS1_3gpuE0ELNS1_3repE0EEENS1_30default_config_static_selectorELNS0_4arch9wavefront6targetE0EEEvT1_.num_vgpr, 11
	.set _ZN7rocprim17ROCPRIM_400000_NS6detail17trampoline_kernelINS0_14default_configENS1_35adjacent_difference_config_selectorILb0ElEEZNS1_24adjacent_difference_implIS3_Lb0ELb0EPlS7_ZN2at6native12_GLOBAL__N_124unique_dim_cuda_templateIjEESt5tupleIJNS8_6TensorESD_SD_EERKSD_lbbbEUlllE1_EE10hipError_tPvRmT2_T3_mT4_P12ihipStream_tbEUlT_E_NS1_11comp_targetILNS1_3genE0ELNS1_11target_archE4294967295ELNS1_3gpuE0ELNS1_3repE0EEENS1_30default_config_static_selectorELNS0_4arch9wavefront6targetE0EEEvT1_.num_agpr, 0
	.set _ZN7rocprim17ROCPRIM_400000_NS6detail17trampoline_kernelINS0_14default_configENS1_35adjacent_difference_config_selectorILb0ElEEZNS1_24adjacent_difference_implIS3_Lb0ELb0EPlS7_ZN2at6native12_GLOBAL__N_124unique_dim_cuda_templateIjEESt5tupleIJNS8_6TensorESD_SD_EERKSD_lbbbEUlllE1_EE10hipError_tPvRmT2_T3_mT4_P12ihipStream_tbEUlT_E_NS1_11comp_targetILNS1_3genE0ELNS1_11target_archE4294967295ELNS1_3gpuE0ELNS1_3repE0EEENS1_30default_config_static_selectorELNS0_4arch9wavefront6targetE0EEEvT1_.numbered_sgpr, 24
	.set _ZN7rocprim17ROCPRIM_400000_NS6detail17trampoline_kernelINS0_14default_configENS1_35adjacent_difference_config_selectorILb0ElEEZNS1_24adjacent_difference_implIS3_Lb0ELb0EPlS7_ZN2at6native12_GLOBAL__N_124unique_dim_cuda_templateIjEESt5tupleIJNS8_6TensorESD_SD_EERKSD_lbbbEUlllE1_EE10hipError_tPvRmT2_T3_mT4_P12ihipStream_tbEUlT_E_NS1_11comp_targetILNS1_3genE0ELNS1_11target_archE4294967295ELNS1_3gpuE0ELNS1_3repE0EEENS1_30default_config_static_selectorELNS0_4arch9wavefront6targetE0EEEvT1_.num_named_barrier, 0
	.set _ZN7rocprim17ROCPRIM_400000_NS6detail17trampoline_kernelINS0_14default_configENS1_35adjacent_difference_config_selectorILb0ElEEZNS1_24adjacent_difference_implIS3_Lb0ELb0EPlS7_ZN2at6native12_GLOBAL__N_124unique_dim_cuda_templateIjEESt5tupleIJNS8_6TensorESD_SD_EERKSD_lbbbEUlllE1_EE10hipError_tPvRmT2_T3_mT4_P12ihipStream_tbEUlT_E_NS1_11comp_targetILNS1_3genE0ELNS1_11target_archE4294967295ELNS1_3gpuE0ELNS1_3repE0EEENS1_30default_config_static_selectorELNS0_4arch9wavefront6targetE0EEEvT1_.private_seg_size, 0
	.set _ZN7rocprim17ROCPRIM_400000_NS6detail17trampoline_kernelINS0_14default_configENS1_35adjacent_difference_config_selectorILb0ElEEZNS1_24adjacent_difference_implIS3_Lb0ELb0EPlS7_ZN2at6native12_GLOBAL__N_124unique_dim_cuda_templateIjEESt5tupleIJNS8_6TensorESD_SD_EERKSD_lbbbEUlllE1_EE10hipError_tPvRmT2_T3_mT4_P12ihipStream_tbEUlT_E_NS1_11comp_targetILNS1_3genE0ELNS1_11target_archE4294967295ELNS1_3gpuE0ELNS1_3repE0EEENS1_30default_config_static_selectorELNS0_4arch9wavefront6targetE0EEEvT1_.uses_vcc, 1
	.set _ZN7rocprim17ROCPRIM_400000_NS6detail17trampoline_kernelINS0_14default_configENS1_35adjacent_difference_config_selectorILb0ElEEZNS1_24adjacent_difference_implIS3_Lb0ELb0EPlS7_ZN2at6native12_GLOBAL__N_124unique_dim_cuda_templateIjEESt5tupleIJNS8_6TensorESD_SD_EERKSD_lbbbEUlllE1_EE10hipError_tPvRmT2_T3_mT4_P12ihipStream_tbEUlT_E_NS1_11comp_targetILNS1_3genE0ELNS1_11target_archE4294967295ELNS1_3gpuE0ELNS1_3repE0EEENS1_30default_config_static_selectorELNS0_4arch9wavefront6targetE0EEEvT1_.uses_flat_scratch, 0
	.set _ZN7rocprim17ROCPRIM_400000_NS6detail17trampoline_kernelINS0_14default_configENS1_35adjacent_difference_config_selectorILb0ElEEZNS1_24adjacent_difference_implIS3_Lb0ELb0EPlS7_ZN2at6native12_GLOBAL__N_124unique_dim_cuda_templateIjEESt5tupleIJNS8_6TensorESD_SD_EERKSD_lbbbEUlllE1_EE10hipError_tPvRmT2_T3_mT4_P12ihipStream_tbEUlT_E_NS1_11comp_targetILNS1_3genE0ELNS1_11target_archE4294967295ELNS1_3gpuE0ELNS1_3repE0EEENS1_30default_config_static_selectorELNS0_4arch9wavefront6targetE0EEEvT1_.has_dyn_sized_stack, 0
	.set _ZN7rocprim17ROCPRIM_400000_NS6detail17trampoline_kernelINS0_14default_configENS1_35adjacent_difference_config_selectorILb0ElEEZNS1_24adjacent_difference_implIS3_Lb0ELb0EPlS7_ZN2at6native12_GLOBAL__N_124unique_dim_cuda_templateIjEESt5tupleIJNS8_6TensorESD_SD_EERKSD_lbbbEUlllE1_EE10hipError_tPvRmT2_T3_mT4_P12ihipStream_tbEUlT_E_NS1_11comp_targetILNS1_3genE0ELNS1_11target_archE4294967295ELNS1_3gpuE0ELNS1_3repE0EEENS1_30default_config_static_selectorELNS0_4arch9wavefront6targetE0EEEvT1_.has_recursion, 0
	.set _ZN7rocprim17ROCPRIM_400000_NS6detail17trampoline_kernelINS0_14default_configENS1_35adjacent_difference_config_selectorILb0ElEEZNS1_24adjacent_difference_implIS3_Lb0ELb0EPlS7_ZN2at6native12_GLOBAL__N_124unique_dim_cuda_templateIjEESt5tupleIJNS8_6TensorESD_SD_EERKSD_lbbbEUlllE1_EE10hipError_tPvRmT2_T3_mT4_P12ihipStream_tbEUlT_E_NS1_11comp_targetILNS1_3genE0ELNS1_11target_archE4294967295ELNS1_3gpuE0ELNS1_3repE0EEENS1_30default_config_static_selectorELNS0_4arch9wavefront6targetE0EEEvT1_.has_indirect_call, 0
	.section	.AMDGPU.csdata,"",@progbits
; Kernel info:
; codeLenInByte = 1720
; TotalNumSgprs: 26
; NumVgprs: 11
; ScratchSize: 0
; MemoryBound: 0
; FloatMode: 240
; IeeeMode: 1
; LDSByteSize: 2048 bytes/workgroup (compile time only)
; SGPRBlocks: 0
; VGPRBlocks: 0
; NumSGPRsForWavesPerEU: 26
; NumVGPRsForWavesPerEU: 11
; NamedBarCnt: 0
; Occupancy: 16
; WaveLimiterHint : 0
; COMPUTE_PGM_RSRC2:SCRATCH_EN: 0
; COMPUTE_PGM_RSRC2:USER_SGPR: 2
; COMPUTE_PGM_RSRC2:TRAP_HANDLER: 0
; COMPUTE_PGM_RSRC2:TGID_X_EN: 1
; COMPUTE_PGM_RSRC2:TGID_Y_EN: 0
; COMPUTE_PGM_RSRC2:TGID_Z_EN: 0
; COMPUTE_PGM_RSRC2:TIDIG_COMP_CNT: 0
	.section	.text._ZN7rocprim17ROCPRIM_400000_NS6detail17trampoline_kernelINS0_14default_configENS1_35adjacent_difference_config_selectorILb0ElEEZNS1_24adjacent_difference_implIS3_Lb0ELb0EPlS7_ZN2at6native12_GLOBAL__N_124unique_dim_cuda_templateIjEESt5tupleIJNS8_6TensorESD_SD_EERKSD_lbbbEUlllE1_EE10hipError_tPvRmT2_T3_mT4_P12ihipStream_tbEUlT_E_NS1_11comp_targetILNS1_3genE10ELNS1_11target_archE1201ELNS1_3gpuE5ELNS1_3repE0EEENS1_30default_config_static_selectorELNS0_4arch9wavefront6targetE0EEEvT1_,"axG",@progbits,_ZN7rocprim17ROCPRIM_400000_NS6detail17trampoline_kernelINS0_14default_configENS1_35adjacent_difference_config_selectorILb0ElEEZNS1_24adjacent_difference_implIS3_Lb0ELb0EPlS7_ZN2at6native12_GLOBAL__N_124unique_dim_cuda_templateIjEESt5tupleIJNS8_6TensorESD_SD_EERKSD_lbbbEUlllE1_EE10hipError_tPvRmT2_T3_mT4_P12ihipStream_tbEUlT_E_NS1_11comp_targetILNS1_3genE10ELNS1_11target_archE1201ELNS1_3gpuE5ELNS1_3repE0EEENS1_30default_config_static_selectorELNS0_4arch9wavefront6targetE0EEEvT1_,comdat
	.globl	_ZN7rocprim17ROCPRIM_400000_NS6detail17trampoline_kernelINS0_14default_configENS1_35adjacent_difference_config_selectorILb0ElEEZNS1_24adjacent_difference_implIS3_Lb0ELb0EPlS7_ZN2at6native12_GLOBAL__N_124unique_dim_cuda_templateIjEESt5tupleIJNS8_6TensorESD_SD_EERKSD_lbbbEUlllE1_EE10hipError_tPvRmT2_T3_mT4_P12ihipStream_tbEUlT_E_NS1_11comp_targetILNS1_3genE10ELNS1_11target_archE1201ELNS1_3gpuE5ELNS1_3repE0EEENS1_30default_config_static_selectorELNS0_4arch9wavefront6targetE0EEEvT1_ ; -- Begin function _ZN7rocprim17ROCPRIM_400000_NS6detail17trampoline_kernelINS0_14default_configENS1_35adjacent_difference_config_selectorILb0ElEEZNS1_24adjacent_difference_implIS3_Lb0ELb0EPlS7_ZN2at6native12_GLOBAL__N_124unique_dim_cuda_templateIjEESt5tupleIJNS8_6TensorESD_SD_EERKSD_lbbbEUlllE1_EE10hipError_tPvRmT2_T3_mT4_P12ihipStream_tbEUlT_E_NS1_11comp_targetILNS1_3genE10ELNS1_11target_archE1201ELNS1_3gpuE5ELNS1_3repE0EEENS1_30default_config_static_selectorELNS0_4arch9wavefront6targetE0EEEvT1_
	.p2align	8
	.type	_ZN7rocprim17ROCPRIM_400000_NS6detail17trampoline_kernelINS0_14default_configENS1_35adjacent_difference_config_selectorILb0ElEEZNS1_24adjacent_difference_implIS3_Lb0ELb0EPlS7_ZN2at6native12_GLOBAL__N_124unique_dim_cuda_templateIjEESt5tupleIJNS8_6TensorESD_SD_EERKSD_lbbbEUlllE1_EE10hipError_tPvRmT2_T3_mT4_P12ihipStream_tbEUlT_E_NS1_11comp_targetILNS1_3genE10ELNS1_11target_archE1201ELNS1_3gpuE5ELNS1_3repE0EEENS1_30default_config_static_selectorELNS0_4arch9wavefront6targetE0EEEvT1_,@function
_ZN7rocprim17ROCPRIM_400000_NS6detail17trampoline_kernelINS0_14default_configENS1_35adjacent_difference_config_selectorILb0ElEEZNS1_24adjacent_difference_implIS3_Lb0ELb0EPlS7_ZN2at6native12_GLOBAL__N_124unique_dim_cuda_templateIjEESt5tupleIJNS8_6TensorESD_SD_EERKSD_lbbbEUlllE1_EE10hipError_tPvRmT2_T3_mT4_P12ihipStream_tbEUlT_E_NS1_11comp_targetILNS1_3genE10ELNS1_11target_archE1201ELNS1_3gpuE5ELNS1_3repE0EEENS1_30default_config_static_selectorELNS0_4arch9wavefront6targetE0EEEvT1_: ; @_ZN7rocprim17ROCPRIM_400000_NS6detail17trampoline_kernelINS0_14default_configENS1_35adjacent_difference_config_selectorILb0ElEEZNS1_24adjacent_difference_implIS3_Lb0ELb0EPlS7_ZN2at6native12_GLOBAL__N_124unique_dim_cuda_templateIjEESt5tupleIJNS8_6TensorESD_SD_EERKSD_lbbbEUlllE1_EE10hipError_tPvRmT2_T3_mT4_P12ihipStream_tbEUlT_E_NS1_11comp_targetILNS1_3genE10ELNS1_11target_archE1201ELNS1_3gpuE5ELNS1_3repE0EEENS1_30default_config_static_selectorELNS0_4arch9wavefront6targetE0EEEvT1_
; %bb.0:
	.section	.rodata,"a",@progbits
	.p2align	6, 0x0
	.amdhsa_kernel _ZN7rocprim17ROCPRIM_400000_NS6detail17trampoline_kernelINS0_14default_configENS1_35adjacent_difference_config_selectorILb0ElEEZNS1_24adjacent_difference_implIS3_Lb0ELb0EPlS7_ZN2at6native12_GLOBAL__N_124unique_dim_cuda_templateIjEESt5tupleIJNS8_6TensorESD_SD_EERKSD_lbbbEUlllE1_EE10hipError_tPvRmT2_T3_mT4_P12ihipStream_tbEUlT_E_NS1_11comp_targetILNS1_3genE10ELNS1_11target_archE1201ELNS1_3gpuE5ELNS1_3repE0EEENS1_30default_config_static_selectorELNS0_4arch9wavefront6targetE0EEEvT1_
		.amdhsa_group_segment_fixed_size 0
		.amdhsa_private_segment_fixed_size 0
		.amdhsa_kernarg_size 64
		.amdhsa_user_sgpr_count 2
		.amdhsa_user_sgpr_dispatch_ptr 0
		.amdhsa_user_sgpr_queue_ptr 0
		.amdhsa_user_sgpr_kernarg_segment_ptr 1
		.amdhsa_user_sgpr_dispatch_id 0
		.amdhsa_user_sgpr_kernarg_preload_length 0
		.amdhsa_user_sgpr_kernarg_preload_offset 0
		.amdhsa_user_sgpr_private_segment_size 0
		.amdhsa_wavefront_size32 1
		.amdhsa_uses_dynamic_stack 0
		.amdhsa_enable_private_segment 0
		.amdhsa_system_sgpr_workgroup_id_x 1
		.amdhsa_system_sgpr_workgroup_id_y 0
		.amdhsa_system_sgpr_workgroup_id_z 0
		.amdhsa_system_sgpr_workgroup_info 0
		.amdhsa_system_vgpr_workitem_id 0
		.amdhsa_next_free_vgpr 1
		.amdhsa_next_free_sgpr 1
		.amdhsa_named_barrier_count 0
		.amdhsa_reserve_vcc 0
		.amdhsa_float_round_mode_32 0
		.amdhsa_float_round_mode_16_64 0
		.amdhsa_float_denorm_mode_32 3
		.amdhsa_float_denorm_mode_16_64 3
		.amdhsa_fp16_overflow 0
		.amdhsa_memory_ordered 1
		.amdhsa_forward_progress 1
		.amdhsa_inst_pref_size 0
		.amdhsa_round_robin_scheduling 0
		.amdhsa_exception_fp_ieee_invalid_op 0
		.amdhsa_exception_fp_denorm_src 0
		.amdhsa_exception_fp_ieee_div_zero 0
		.amdhsa_exception_fp_ieee_overflow 0
		.amdhsa_exception_fp_ieee_underflow 0
		.amdhsa_exception_fp_ieee_inexact 0
		.amdhsa_exception_int_div_zero 0
	.end_amdhsa_kernel
	.section	.text._ZN7rocprim17ROCPRIM_400000_NS6detail17trampoline_kernelINS0_14default_configENS1_35adjacent_difference_config_selectorILb0ElEEZNS1_24adjacent_difference_implIS3_Lb0ELb0EPlS7_ZN2at6native12_GLOBAL__N_124unique_dim_cuda_templateIjEESt5tupleIJNS8_6TensorESD_SD_EERKSD_lbbbEUlllE1_EE10hipError_tPvRmT2_T3_mT4_P12ihipStream_tbEUlT_E_NS1_11comp_targetILNS1_3genE10ELNS1_11target_archE1201ELNS1_3gpuE5ELNS1_3repE0EEENS1_30default_config_static_selectorELNS0_4arch9wavefront6targetE0EEEvT1_,"axG",@progbits,_ZN7rocprim17ROCPRIM_400000_NS6detail17trampoline_kernelINS0_14default_configENS1_35adjacent_difference_config_selectorILb0ElEEZNS1_24adjacent_difference_implIS3_Lb0ELb0EPlS7_ZN2at6native12_GLOBAL__N_124unique_dim_cuda_templateIjEESt5tupleIJNS8_6TensorESD_SD_EERKSD_lbbbEUlllE1_EE10hipError_tPvRmT2_T3_mT4_P12ihipStream_tbEUlT_E_NS1_11comp_targetILNS1_3genE10ELNS1_11target_archE1201ELNS1_3gpuE5ELNS1_3repE0EEENS1_30default_config_static_selectorELNS0_4arch9wavefront6targetE0EEEvT1_,comdat
.Lfunc_end1517:
	.size	_ZN7rocprim17ROCPRIM_400000_NS6detail17trampoline_kernelINS0_14default_configENS1_35adjacent_difference_config_selectorILb0ElEEZNS1_24adjacent_difference_implIS3_Lb0ELb0EPlS7_ZN2at6native12_GLOBAL__N_124unique_dim_cuda_templateIjEESt5tupleIJNS8_6TensorESD_SD_EERKSD_lbbbEUlllE1_EE10hipError_tPvRmT2_T3_mT4_P12ihipStream_tbEUlT_E_NS1_11comp_targetILNS1_3genE10ELNS1_11target_archE1201ELNS1_3gpuE5ELNS1_3repE0EEENS1_30default_config_static_selectorELNS0_4arch9wavefront6targetE0EEEvT1_, .Lfunc_end1517-_ZN7rocprim17ROCPRIM_400000_NS6detail17trampoline_kernelINS0_14default_configENS1_35adjacent_difference_config_selectorILb0ElEEZNS1_24adjacent_difference_implIS3_Lb0ELb0EPlS7_ZN2at6native12_GLOBAL__N_124unique_dim_cuda_templateIjEESt5tupleIJNS8_6TensorESD_SD_EERKSD_lbbbEUlllE1_EE10hipError_tPvRmT2_T3_mT4_P12ihipStream_tbEUlT_E_NS1_11comp_targetILNS1_3genE10ELNS1_11target_archE1201ELNS1_3gpuE5ELNS1_3repE0EEENS1_30default_config_static_selectorELNS0_4arch9wavefront6targetE0EEEvT1_
                                        ; -- End function
	.set _ZN7rocprim17ROCPRIM_400000_NS6detail17trampoline_kernelINS0_14default_configENS1_35adjacent_difference_config_selectorILb0ElEEZNS1_24adjacent_difference_implIS3_Lb0ELb0EPlS7_ZN2at6native12_GLOBAL__N_124unique_dim_cuda_templateIjEESt5tupleIJNS8_6TensorESD_SD_EERKSD_lbbbEUlllE1_EE10hipError_tPvRmT2_T3_mT4_P12ihipStream_tbEUlT_E_NS1_11comp_targetILNS1_3genE10ELNS1_11target_archE1201ELNS1_3gpuE5ELNS1_3repE0EEENS1_30default_config_static_selectorELNS0_4arch9wavefront6targetE0EEEvT1_.num_vgpr, 0
	.set _ZN7rocprim17ROCPRIM_400000_NS6detail17trampoline_kernelINS0_14default_configENS1_35adjacent_difference_config_selectorILb0ElEEZNS1_24adjacent_difference_implIS3_Lb0ELb0EPlS7_ZN2at6native12_GLOBAL__N_124unique_dim_cuda_templateIjEESt5tupleIJNS8_6TensorESD_SD_EERKSD_lbbbEUlllE1_EE10hipError_tPvRmT2_T3_mT4_P12ihipStream_tbEUlT_E_NS1_11comp_targetILNS1_3genE10ELNS1_11target_archE1201ELNS1_3gpuE5ELNS1_3repE0EEENS1_30default_config_static_selectorELNS0_4arch9wavefront6targetE0EEEvT1_.num_agpr, 0
	.set _ZN7rocprim17ROCPRIM_400000_NS6detail17trampoline_kernelINS0_14default_configENS1_35adjacent_difference_config_selectorILb0ElEEZNS1_24adjacent_difference_implIS3_Lb0ELb0EPlS7_ZN2at6native12_GLOBAL__N_124unique_dim_cuda_templateIjEESt5tupleIJNS8_6TensorESD_SD_EERKSD_lbbbEUlllE1_EE10hipError_tPvRmT2_T3_mT4_P12ihipStream_tbEUlT_E_NS1_11comp_targetILNS1_3genE10ELNS1_11target_archE1201ELNS1_3gpuE5ELNS1_3repE0EEENS1_30default_config_static_selectorELNS0_4arch9wavefront6targetE0EEEvT1_.numbered_sgpr, 0
	.set _ZN7rocprim17ROCPRIM_400000_NS6detail17trampoline_kernelINS0_14default_configENS1_35adjacent_difference_config_selectorILb0ElEEZNS1_24adjacent_difference_implIS3_Lb0ELb0EPlS7_ZN2at6native12_GLOBAL__N_124unique_dim_cuda_templateIjEESt5tupleIJNS8_6TensorESD_SD_EERKSD_lbbbEUlllE1_EE10hipError_tPvRmT2_T3_mT4_P12ihipStream_tbEUlT_E_NS1_11comp_targetILNS1_3genE10ELNS1_11target_archE1201ELNS1_3gpuE5ELNS1_3repE0EEENS1_30default_config_static_selectorELNS0_4arch9wavefront6targetE0EEEvT1_.num_named_barrier, 0
	.set _ZN7rocprim17ROCPRIM_400000_NS6detail17trampoline_kernelINS0_14default_configENS1_35adjacent_difference_config_selectorILb0ElEEZNS1_24adjacent_difference_implIS3_Lb0ELb0EPlS7_ZN2at6native12_GLOBAL__N_124unique_dim_cuda_templateIjEESt5tupleIJNS8_6TensorESD_SD_EERKSD_lbbbEUlllE1_EE10hipError_tPvRmT2_T3_mT4_P12ihipStream_tbEUlT_E_NS1_11comp_targetILNS1_3genE10ELNS1_11target_archE1201ELNS1_3gpuE5ELNS1_3repE0EEENS1_30default_config_static_selectorELNS0_4arch9wavefront6targetE0EEEvT1_.private_seg_size, 0
	.set _ZN7rocprim17ROCPRIM_400000_NS6detail17trampoline_kernelINS0_14default_configENS1_35adjacent_difference_config_selectorILb0ElEEZNS1_24adjacent_difference_implIS3_Lb0ELb0EPlS7_ZN2at6native12_GLOBAL__N_124unique_dim_cuda_templateIjEESt5tupleIJNS8_6TensorESD_SD_EERKSD_lbbbEUlllE1_EE10hipError_tPvRmT2_T3_mT4_P12ihipStream_tbEUlT_E_NS1_11comp_targetILNS1_3genE10ELNS1_11target_archE1201ELNS1_3gpuE5ELNS1_3repE0EEENS1_30default_config_static_selectorELNS0_4arch9wavefront6targetE0EEEvT1_.uses_vcc, 0
	.set _ZN7rocprim17ROCPRIM_400000_NS6detail17trampoline_kernelINS0_14default_configENS1_35adjacent_difference_config_selectorILb0ElEEZNS1_24adjacent_difference_implIS3_Lb0ELb0EPlS7_ZN2at6native12_GLOBAL__N_124unique_dim_cuda_templateIjEESt5tupleIJNS8_6TensorESD_SD_EERKSD_lbbbEUlllE1_EE10hipError_tPvRmT2_T3_mT4_P12ihipStream_tbEUlT_E_NS1_11comp_targetILNS1_3genE10ELNS1_11target_archE1201ELNS1_3gpuE5ELNS1_3repE0EEENS1_30default_config_static_selectorELNS0_4arch9wavefront6targetE0EEEvT1_.uses_flat_scratch, 0
	.set _ZN7rocprim17ROCPRIM_400000_NS6detail17trampoline_kernelINS0_14default_configENS1_35adjacent_difference_config_selectorILb0ElEEZNS1_24adjacent_difference_implIS3_Lb0ELb0EPlS7_ZN2at6native12_GLOBAL__N_124unique_dim_cuda_templateIjEESt5tupleIJNS8_6TensorESD_SD_EERKSD_lbbbEUlllE1_EE10hipError_tPvRmT2_T3_mT4_P12ihipStream_tbEUlT_E_NS1_11comp_targetILNS1_3genE10ELNS1_11target_archE1201ELNS1_3gpuE5ELNS1_3repE0EEENS1_30default_config_static_selectorELNS0_4arch9wavefront6targetE0EEEvT1_.has_dyn_sized_stack, 0
	.set _ZN7rocprim17ROCPRIM_400000_NS6detail17trampoline_kernelINS0_14default_configENS1_35adjacent_difference_config_selectorILb0ElEEZNS1_24adjacent_difference_implIS3_Lb0ELb0EPlS7_ZN2at6native12_GLOBAL__N_124unique_dim_cuda_templateIjEESt5tupleIJNS8_6TensorESD_SD_EERKSD_lbbbEUlllE1_EE10hipError_tPvRmT2_T3_mT4_P12ihipStream_tbEUlT_E_NS1_11comp_targetILNS1_3genE10ELNS1_11target_archE1201ELNS1_3gpuE5ELNS1_3repE0EEENS1_30default_config_static_selectorELNS0_4arch9wavefront6targetE0EEEvT1_.has_recursion, 0
	.set _ZN7rocprim17ROCPRIM_400000_NS6detail17trampoline_kernelINS0_14default_configENS1_35adjacent_difference_config_selectorILb0ElEEZNS1_24adjacent_difference_implIS3_Lb0ELb0EPlS7_ZN2at6native12_GLOBAL__N_124unique_dim_cuda_templateIjEESt5tupleIJNS8_6TensorESD_SD_EERKSD_lbbbEUlllE1_EE10hipError_tPvRmT2_T3_mT4_P12ihipStream_tbEUlT_E_NS1_11comp_targetILNS1_3genE10ELNS1_11target_archE1201ELNS1_3gpuE5ELNS1_3repE0EEENS1_30default_config_static_selectorELNS0_4arch9wavefront6targetE0EEEvT1_.has_indirect_call, 0
	.section	.AMDGPU.csdata,"",@progbits
; Kernel info:
; codeLenInByte = 0
; TotalNumSgprs: 0
; NumVgprs: 0
; ScratchSize: 0
; MemoryBound: 0
; FloatMode: 240
; IeeeMode: 1
; LDSByteSize: 0 bytes/workgroup (compile time only)
; SGPRBlocks: 0
; VGPRBlocks: 0
; NumSGPRsForWavesPerEU: 1
; NumVGPRsForWavesPerEU: 1
; NamedBarCnt: 0
; Occupancy: 16
; WaveLimiterHint : 0
; COMPUTE_PGM_RSRC2:SCRATCH_EN: 0
; COMPUTE_PGM_RSRC2:USER_SGPR: 2
; COMPUTE_PGM_RSRC2:TRAP_HANDLER: 0
; COMPUTE_PGM_RSRC2:TGID_X_EN: 1
; COMPUTE_PGM_RSRC2:TGID_Y_EN: 0
; COMPUTE_PGM_RSRC2:TGID_Z_EN: 0
; COMPUTE_PGM_RSRC2:TIDIG_COMP_CNT: 0
	.section	.text._ZN7rocprim17ROCPRIM_400000_NS6detail17trampoline_kernelINS0_14default_configENS1_35adjacent_difference_config_selectorILb0ElEEZNS1_24adjacent_difference_implIS3_Lb0ELb0EPlS7_ZN2at6native12_GLOBAL__N_124unique_dim_cuda_templateIjEESt5tupleIJNS8_6TensorESD_SD_EERKSD_lbbbEUlllE1_EE10hipError_tPvRmT2_T3_mT4_P12ihipStream_tbEUlT_E_NS1_11comp_targetILNS1_3genE5ELNS1_11target_archE942ELNS1_3gpuE9ELNS1_3repE0EEENS1_30default_config_static_selectorELNS0_4arch9wavefront6targetE0EEEvT1_,"axG",@progbits,_ZN7rocprim17ROCPRIM_400000_NS6detail17trampoline_kernelINS0_14default_configENS1_35adjacent_difference_config_selectorILb0ElEEZNS1_24adjacent_difference_implIS3_Lb0ELb0EPlS7_ZN2at6native12_GLOBAL__N_124unique_dim_cuda_templateIjEESt5tupleIJNS8_6TensorESD_SD_EERKSD_lbbbEUlllE1_EE10hipError_tPvRmT2_T3_mT4_P12ihipStream_tbEUlT_E_NS1_11comp_targetILNS1_3genE5ELNS1_11target_archE942ELNS1_3gpuE9ELNS1_3repE0EEENS1_30default_config_static_selectorELNS0_4arch9wavefront6targetE0EEEvT1_,comdat
	.globl	_ZN7rocprim17ROCPRIM_400000_NS6detail17trampoline_kernelINS0_14default_configENS1_35adjacent_difference_config_selectorILb0ElEEZNS1_24adjacent_difference_implIS3_Lb0ELb0EPlS7_ZN2at6native12_GLOBAL__N_124unique_dim_cuda_templateIjEESt5tupleIJNS8_6TensorESD_SD_EERKSD_lbbbEUlllE1_EE10hipError_tPvRmT2_T3_mT4_P12ihipStream_tbEUlT_E_NS1_11comp_targetILNS1_3genE5ELNS1_11target_archE942ELNS1_3gpuE9ELNS1_3repE0EEENS1_30default_config_static_selectorELNS0_4arch9wavefront6targetE0EEEvT1_ ; -- Begin function _ZN7rocprim17ROCPRIM_400000_NS6detail17trampoline_kernelINS0_14default_configENS1_35adjacent_difference_config_selectorILb0ElEEZNS1_24adjacent_difference_implIS3_Lb0ELb0EPlS7_ZN2at6native12_GLOBAL__N_124unique_dim_cuda_templateIjEESt5tupleIJNS8_6TensorESD_SD_EERKSD_lbbbEUlllE1_EE10hipError_tPvRmT2_T3_mT4_P12ihipStream_tbEUlT_E_NS1_11comp_targetILNS1_3genE5ELNS1_11target_archE942ELNS1_3gpuE9ELNS1_3repE0EEENS1_30default_config_static_selectorELNS0_4arch9wavefront6targetE0EEEvT1_
	.p2align	8
	.type	_ZN7rocprim17ROCPRIM_400000_NS6detail17trampoline_kernelINS0_14default_configENS1_35adjacent_difference_config_selectorILb0ElEEZNS1_24adjacent_difference_implIS3_Lb0ELb0EPlS7_ZN2at6native12_GLOBAL__N_124unique_dim_cuda_templateIjEESt5tupleIJNS8_6TensorESD_SD_EERKSD_lbbbEUlllE1_EE10hipError_tPvRmT2_T3_mT4_P12ihipStream_tbEUlT_E_NS1_11comp_targetILNS1_3genE5ELNS1_11target_archE942ELNS1_3gpuE9ELNS1_3repE0EEENS1_30default_config_static_selectorELNS0_4arch9wavefront6targetE0EEEvT1_,@function
_ZN7rocprim17ROCPRIM_400000_NS6detail17trampoline_kernelINS0_14default_configENS1_35adjacent_difference_config_selectorILb0ElEEZNS1_24adjacent_difference_implIS3_Lb0ELb0EPlS7_ZN2at6native12_GLOBAL__N_124unique_dim_cuda_templateIjEESt5tupleIJNS8_6TensorESD_SD_EERKSD_lbbbEUlllE1_EE10hipError_tPvRmT2_T3_mT4_P12ihipStream_tbEUlT_E_NS1_11comp_targetILNS1_3genE5ELNS1_11target_archE942ELNS1_3gpuE9ELNS1_3repE0EEENS1_30default_config_static_selectorELNS0_4arch9wavefront6targetE0EEEvT1_: ; @_ZN7rocprim17ROCPRIM_400000_NS6detail17trampoline_kernelINS0_14default_configENS1_35adjacent_difference_config_selectorILb0ElEEZNS1_24adjacent_difference_implIS3_Lb0ELb0EPlS7_ZN2at6native12_GLOBAL__N_124unique_dim_cuda_templateIjEESt5tupleIJNS8_6TensorESD_SD_EERKSD_lbbbEUlllE1_EE10hipError_tPvRmT2_T3_mT4_P12ihipStream_tbEUlT_E_NS1_11comp_targetILNS1_3genE5ELNS1_11target_archE942ELNS1_3gpuE9ELNS1_3repE0EEENS1_30default_config_static_selectorELNS0_4arch9wavefront6targetE0EEEvT1_
; %bb.0:
	.section	.rodata,"a",@progbits
	.p2align	6, 0x0
	.amdhsa_kernel _ZN7rocprim17ROCPRIM_400000_NS6detail17trampoline_kernelINS0_14default_configENS1_35adjacent_difference_config_selectorILb0ElEEZNS1_24adjacent_difference_implIS3_Lb0ELb0EPlS7_ZN2at6native12_GLOBAL__N_124unique_dim_cuda_templateIjEESt5tupleIJNS8_6TensorESD_SD_EERKSD_lbbbEUlllE1_EE10hipError_tPvRmT2_T3_mT4_P12ihipStream_tbEUlT_E_NS1_11comp_targetILNS1_3genE5ELNS1_11target_archE942ELNS1_3gpuE9ELNS1_3repE0EEENS1_30default_config_static_selectorELNS0_4arch9wavefront6targetE0EEEvT1_
		.amdhsa_group_segment_fixed_size 0
		.amdhsa_private_segment_fixed_size 0
		.amdhsa_kernarg_size 64
		.amdhsa_user_sgpr_count 2
		.amdhsa_user_sgpr_dispatch_ptr 0
		.amdhsa_user_sgpr_queue_ptr 0
		.amdhsa_user_sgpr_kernarg_segment_ptr 1
		.amdhsa_user_sgpr_dispatch_id 0
		.amdhsa_user_sgpr_kernarg_preload_length 0
		.amdhsa_user_sgpr_kernarg_preload_offset 0
		.amdhsa_user_sgpr_private_segment_size 0
		.amdhsa_wavefront_size32 1
		.amdhsa_uses_dynamic_stack 0
		.amdhsa_enable_private_segment 0
		.amdhsa_system_sgpr_workgroup_id_x 1
		.amdhsa_system_sgpr_workgroup_id_y 0
		.amdhsa_system_sgpr_workgroup_id_z 0
		.amdhsa_system_sgpr_workgroup_info 0
		.amdhsa_system_vgpr_workitem_id 0
		.amdhsa_next_free_vgpr 1
		.amdhsa_next_free_sgpr 1
		.amdhsa_named_barrier_count 0
		.amdhsa_reserve_vcc 0
		.amdhsa_float_round_mode_32 0
		.amdhsa_float_round_mode_16_64 0
		.amdhsa_float_denorm_mode_32 3
		.amdhsa_float_denorm_mode_16_64 3
		.amdhsa_fp16_overflow 0
		.amdhsa_memory_ordered 1
		.amdhsa_forward_progress 1
		.amdhsa_inst_pref_size 0
		.amdhsa_round_robin_scheduling 0
		.amdhsa_exception_fp_ieee_invalid_op 0
		.amdhsa_exception_fp_denorm_src 0
		.amdhsa_exception_fp_ieee_div_zero 0
		.amdhsa_exception_fp_ieee_overflow 0
		.amdhsa_exception_fp_ieee_underflow 0
		.amdhsa_exception_fp_ieee_inexact 0
		.amdhsa_exception_int_div_zero 0
	.end_amdhsa_kernel
	.section	.text._ZN7rocprim17ROCPRIM_400000_NS6detail17trampoline_kernelINS0_14default_configENS1_35adjacent_difference_config_selectorILb0ElEEZNS1_24adjacent_difference_implIS3_Lb0ELb0EPlS7_ZN2at6native12_GLOBAL__N_124unique_dim_cuda_templateIjEESt5tupleIJNS8_6TensorESD_SD_EERKSD_lbbbEUlllE1_EE10hipError_tPvRmT2_T3_mT4_P12ihipStream_tbEUlT_E_NS1_11comp_targetILNS1_3genE5ELNS1_11target_archE942ELNS1_3gpuE9ELNS1_3repE0EEENS1_30default_config_static_selectorELNS0_4arch9wavefront6targetE0EEEvT1_,"axG",@progbits,_ZN7rocprim17ROCPRIM_400000_NS6detail17trampoline_kernelINS0_14default_configENS1_35adjacent_difference_config_selectorILb0ElEEZNS1_24adjacent_difference_implIS3_Lb0ELb0EPlS7_ZN2at6native12_GLOBAL__N_124unique_dim_cuda_templateIjEESt5tupleIJNS8_6TensorESD_SD_EERKSD_lbbbEUlllE1_EE10hipError_tPvRmT2_T3_mT4_P12ihipStream_tbEUlT_E_NS1_11comp_targetILNS1_3genE5ELNS1_11target_archE942ELNS1_3gpuE9ELNS1_3repE0EEENS1_30default_config_static_selectorELNS0_4arch9wavefront6targetE0EEEvT1_,comdat
.Lfunc_end1518:
	.size	_ZN7rocprim17ROCPRIM_400000_NS6detail17trampoline_kernelINS0_14default_configENS1_35adjacent_difference_config_selectorILb0ElEEZNS1_24adjacent_difference_implIS3_Lb0ELb0EPlS7_ZN2at6native12_GLOBAL__N_124unique_dim_cuda_templateIjEESt5tupleIJNS8_6TensorESD_SD_EERKSD_lbbbEUlllE1_EE10hipError_tPvRmT2_T3_mT4_P12ihipStream_tbEUlT_E_NS1_11comp_targetILNS1_3genE5ELNS1_11target_archE942ELNS1_3gpuE9ELNS1_3repE0EEENS1_30default_config_static_selectorELNS0_4arch9wavefront6targetE0EEEvT1_, .Lfunc_end1518-_ZN7rocprim17ROCPRIM_400000_NS6detail17trampoline_kernelINS0_14default_configENS1_35adjacent_difference_config_selectorILb0ElEEZNS1_24adjacent_difference_implIS3_Lb0ELb0EPlS7_ZN2at6native12_GLOBAL__N_124unique_dim_cuda_templateIjEESt5tupleIJNS8_6TensorESD_SD_EERKSD_lbbbEUlllE1_EE10hipError_tPvRmT2_T3_mT4_P12ihipStream_tbEUlT_E_NS1_11comp_targetILNS1_3genE5ELNS1_11target_archE942ELNS1_3gpuE9ELNS1_3repE0EEENS1_30default_config_static_selectorELNS0_4arch9wavefront6targetE0EEEvT1_
                                        ; -- End function
	.set _ZN7rocprim17ROCPRIM_400000_NS6detail17trampoline_kernelINS0_14default_configENS1_35adjacent_difference_config_selectorILb0ElEEZNS1_24adjacent_difference_implIS3_Lb0ELb0EPlS7_ZN2at6native12_GLOBAL__N_124unique_dim_cuda_templateIjEESt5tupleIJNS8_6TensorESD_SD_EERKSD_lbbbEUlllE1_EE10hipError_tPvRmT2_T3_mT4_P12ihipStream_tbEUlT_E_NS1_11comp_targetILNS1_3genE5ELNS1_11target_archE942ELNS1_3gpuE9ELNS1_3repE0EEENS1_30default_config_static_selectorELNS0_4arch9wavefront6targetE0EEEvT1_.num_vgpr, 0
	.set _ZN7rocprim17ROCPRIM_400000_NS6detail17trampoline_kernelINS0_14default_configENS1_35adjacent_difference_config_selectorILb0ElEEZNS1_24adjacent_difference_implIS3_Lb0ELb0EPlS7_ZN2at6native12_GLOBAL__N_124unique_dim_cuda_templateIjEESt5tupleIJNS8_6TensorESD_SD_EERKSD_lbbbEUlllE1_EE10hipError_tPvRmT2_T3_mT4_P12ihipStream_tbEUlT_E_NS1_11comp_targetILNS1_3genE5ELNS1_11target_archE942ELNS1_3gpuE9ELNS1_3repE0EEENS1_30default_config_static_selectorELNS0_4arch9wavefront6targetE0EEEvT1_.num_agpr, 0
	.set _ZN7rocprim17ROCPRIM_400000_NS6detail17trampoline_kernelINS0_14default_configENS1_35adjacent_difference_config_selectorILb0ElEEZNS1_24adjacent_difference_implIS3_Lb0ELb0EPlS7_ZN2at6native12_GLOBAL__N_124unique_dim_cuda_templateIjEESt5tupleIJNS8_6TensorESD_SD_EERKSD_lbbbEUlllE1_EE10hipError_tPvRmT2_T3_mT4_P12ihipStream_tbEUlT_E_NS1_11comp_targetILNS1_3genE5ELNS1_11target_archE942ELNS1_3gpuE9ELNS1_3repE0EEENS1_30default_config_static_selectorELNS0_4arch9wavefront6targetE0EEEvT1_.numbered_sgpr, 0
	.set _ZN7rocprim17ROCPRIM_400000_NS6detail17trampoline_kernelINS0_14default_configENS1_35adjacent_difference_config_selectorILb0ElEEZNS1_24adjacent_difference_implIS3_Lb0ELb0EPlS7_ZN2at6native12_GLOBAL__N_124unique_dim_cuda_templateIjEESt5tupleIJNS8_6TensorESD_SD_EERKSD_lbbbEUlllE1_EE10hipError_tPvRmT2_T3_mT4_P12ihipStream_tbEUlT_E_NS1_11comp_targetILNS1_3genE5ELNS1_11target_archE942ELNS1_3gpuE9ELNS1_3repE0EEENS1_30default_config_static_selectorELNS0_4arch9wavefront6targetE0EEEvT1_.num_named_barrier, 0
	.set _ZN7rocprim17ROCPRIM_400000_NS6detail17trampoline_kernelINS0_14default_configENS1_35adjacent_difference_config_selectorILb0ElEEZNS1_24adjacent_difference_implIS3_Lb0ELb0EPlS7_ZN2at6native12_GLOBAL__N_124unique_dim_cuda_templateIjEESt5tupleIJNS8_6TensorESD_SD_EERKSD_lbbbEUlllE1_EE10hipError_tPvRmT2_T3_mT4_P12ihipStream_tbEUlT_E_NS1_11comp_targetILNS1_3genE5ELNS1_11target_archE942ELNS1_3gpuE9ELNS1_3repE0EEENS1_30default_config_static_selectorELNS0_4arch9wavefront6targetE0EEEvT1_.private_seg_size, 0
	.set _ZN7rocprim17ROCPRIM_400000_NS6detail17trampoline_kernelINS0_14default_configENS1_35adjacent_difference_config_selectorILb0ElEEZNS1_24adjacent_difference_implIS3_Lb0ELb0EPlS7_ZN2at6native12_GLOBAL__N_124unique_dim_cuda_templateIjEESt5tupleIJNS8_6TensorESD_SD_EERKSD_lbbbEUlllE1_EE10hipError_tPvRmT2_T3_mT4_P12ihipStream_tbEUlT_E_NS1_11comp_targetILNS1_3genE5ELNS1_11target_archE942ELNS1_3gpuE9ELNS1_3repE0EEENS1_30default_config_static_selectorELNS0_4arch9wavefront6targetE0EEEvT1_.uses_vcc, 0
	.set _ZN7rocprim17ROCPRIM_400000_NS6detail17trampoline_kernelINS0_14default_configENS1_35adjacent_difference_config_selectorILb0ElEEZNS1_24adjacent_difference_implIS3_Lb0ELb0EPlS7_ZN2at6native12_GLOBAL__N_124unique_dim_cuda_templateIjEESt5tupleIJNS8_6TensorESD_SD_EERKSD_lbbbEUlllE1_EE10hipError_tPvRmT2_T3_mT4_P12ihipStream_tbEUlT_E_NS1_11comp_targetILNS1_3genE5ELNS1_11target_archE942ELNS1_3gpuE9ELNS1_3repE0EEENS1_30default_config_static_selectorELNS0_4arch9wavefront6targetE0EEEvT1_.uses_flat_scratch, 0
	.set _ZN7rocprim17ROCPRIM_400000_NS6detail17trampoline_kernelINS0_14default_configENS1_35adjacent_difference_config_selectorILb0ElEEZNS1_24adjacent_difference_implIS3_Lb0ELb0EPlS7_ZN2at6native12_GLOBAL__N_124unique_dim_cuda_templateIjEESt5tupleIJNS8_6TensorESD_SD_EERKSD_lbbbEUlllE1_EE10hipError_tPvRmT2_T3_mT4_P12ihipStream_tbEUlT_E_NS1_11comp_targetILNS1_3genE5ELNS1_11target_archE942ELNS1_3gpuE9ELNS1_3repE0EEENS1_30default_config_static_selectorELNS0_4arch9wavefront6targetE0EEEvT1_.has_dyn_sized_stack, 0
	.set _ZN7rocprim17ROCPRIM_400000_NS6detail17trampoline_kernelINS0_14default_configENS1_35adjacent_difference_config_selectorILb0ElEEZNS1_24adjacent_difference_implIS3_Lb0ELb0EPlS7_ZN2at6native12_GLOBAL__N_124unique_dim_cuda_templateIjEESt5tupleIJNS8_6TensorESD_SD_EERKSD_lbbbEUlllE1_EE10hipError_tPvRmT2_T3_mT4_P12ihipStream_tbEUlT_E_NS1_11comp_targetILNS1_3genE5ELNS1_11target_archE942ELNS1_3gpuE9ELNS1_3repE0EEENS1_30default_config_static_selectorELNS0_4arch9wavefront6targetE0EEEvT1_.has_recursion, 0
	.set _ZN7rocprim17ROCPRIM_400000_NS6detail17trampoline_kernelINS0_14default_configENS1_35adjacent_difference_config_selectorILb0ElEEZNS1_24adjacent_difference_implIS3_Lb0ELb0EPlS7_ZN2at6native12_GLOBAL__N_124unique_dim_cuda_templateIjEESt5tupleIJNS8_6TensorESD_SD_EERKSD_lbbbEUlllE1_EE10hipError_tPvRmT2_T3_mT4_P12ihipStream_tbEUlT_E_NS1_11comp_targetILNS1_3genE5ELNS1_11target_archE942ELNS1_3gpuE9ELNS1_3repE0EEENS1_30default_config_static_selectorELNS0_4arch9wavefront6targetE0EEEvT1_.has_indirect_call, 0
	.section	.AMDGPU.csdata,"",@progbits
; Kernel info:
; codeLenInByte = 0
; TotalNumSgprs: 0
; NumVgprs: 0
; ScratchSize: 0
; MemoryBound: 0
; FloatMode: 240
; IeeeMode: 1
; LDSByteSize: 0 bytes/workgroup (compile time only)
; SGPRBlocks: 0
; VGPRBlocks: 0
; NumSGPRsForWavesPerEU: 1
; NumVGPRsForWavesPerEU: 1
; NamedBarCnt: 0
; Occupancy: 16
; WaveLimiterHint : 0
; COMPUTE_PGM_RSRC2:SCRATCH_EN: 0
; COMPUTE_PGM_RSRC2:USER_SGPR: 2
; COMPUTE_PGM_RSRC2:TRAP_HANDLER: 0
; COMPUTE_PGM_RSRC2:TGID_X_EN: 1
; COMPUTE_PGM_RSRC2:TGID_Y_EN: 0
; COMPUTE_PGM_RSRC2:TGID_Z_EN: 0
; COMPUTE_PGM_RSRC2:TIDIG_COMP_CNT: 0
	.section	.text._ZN7rocprim17ROCPRIM_400000_NS6detail17trampoline_kernelINS0_14default_configENS1_35adjacent_difference_config_selectorILb0ElEEZNS1_24adjacent_difference_implIS3_Lb0ELb0EPlS7_ZN2at6native12_GLOBAL__N_124unique_dim_cuda_templateIjEESt5tupleIJNS8_6TensorESD_SD_EERKSD_lbbbEUlllE1_EE10hipError_tPvRmT2_T3_mT4_P12ihipStream_tbEUlT_E_NS1_11comp_targetILNS1_3genE4ELNS1_11target_archE910ELNS1_3gpuE8ELNS1_3repE0EEENS1_30default_config_static_selectorELNS0_4arch9wavefront6targetE0EEEvT1_,"axG",@progbits,_ZN7rocprim17ROCPRIM_400000_NS6detail17trampoline_kernelINS0_14default_configENS1_35adjacent_difference_config_selectorILb0ElEEZNS1_24adjacent_difference_implIS3_Lb0ELb0EPlS7_ZN2at6native12_GLOBAL__N_124unique_dim_cuda_templateIjEESt5tupleIJNS8_6TensorESD_SD_EERKSD_lbbbEUlllE1_EE10hipError_tPvRmT2_T3_mT4_P12ihipStream_tbEUlT_E_NS1_11comp_targetILNS1_3genE4ELNS1_11target_archE910ELNS1_3gpuE8ELNS1_3repE0EEENS1_30default_config_static_selectorELNS0_4arch9wavefront6targetE0EEEvT1_,comdat
	.globl	_ZN7rocprim17ROCPRIM_400000_NS6detail17trampoline_kernelINS0_14default_configENS1_35adjacent_difference_config_selectorILb0ElEEZNS1_24adjacent_difference_implIS3_Lb0ELb0EPlS7_ZN2at6native12_GLOBAL__N_124unique_dim_cuda_templateIjEESt5tupleIJNS8_6TensorESD_SD_EERKSD_lbbbEUlllE1_EE10hipError_tPvRmT2_T3_mT4_P12ihipStream_tbEUlT_E_NS1_11comp_targetILNS1_3genE4ELNS1_11target_archE910ELNS1_3gpuE8ELNS1_3repE0EEENS1_30default_config_static_selectorELNS0_4arch9wavefront6targetE0EEEvT1_ ; -- Begin function _ZN7rocprim17ROCPRIM_400000_NS6detail17trampoline_kernelINS0_14default_configENS1_35adjacent_difference_config_selectorILb0ElEEZNS1_24adjacent_difference_implIS3_Lb0ELb0EPlS7_ZN2at6native12_GLOBAL__N_124unique_dim_cuda_templateIjEESt5tupleIJNS8_6TensorESD_SD_EERKSD_lbbbEUlllE1_EE10hipError_tPvRmT2_T3_mT4_P12ihipStream_tbEUlT_E_NS1_11comp_targetILNS1_3genE4ELNS1_11target_archE910ELNS1_3gpuE8ELNS1_3repE0EEENS1_30default_config_static_selectorELNS0_4arch9wavefront6targetE0EEEvT1_
	.p2align	8
	.type	_ZN7rocprim17ROCPRIM_400000_NS6detail17trampoline_kernelINS0_14default_configENS1_35adjacent_difference_config_selectorILb0ElEEZNS1_24adjacent_difference_implIS3_Lb0ELb0EPlS7_ZN2at6native12_GLOBAL__N_124unique_dim_cuda_templateIjEESt5tupleIJNS8_6TensorESD_SD_EERKSD_lbbbEUlllE1_EE10hipError_tPvRmT2_T3_mT4_P12ihipStream_tbEUlT_E_NS1_11comp_targetILNS1_3genE4ELNS1_11target_archE910ELNS1_3gpuE8ELNS1_3repE0EEENS1_30default_config_static_selectorELNS0_4arch9wavefront6targetE0EEEvT1_,@function
_ZN7rocprim17ROCPRIM_400000_NS6detail17trampoline_kernelINS0_14default_configENS1_35adjacent_difference_config_selectorILb0ElEEZNS1_24adjacent_difference_implIS3_Lb0ELb0EPlS7_ZN2at6native12_GLOBAL__N_124unique_dim_cuda_templateIjEESt5tupleIJNS8_6TensorESD_SD_EERKSD_lbbbEUlllE1_EE10hipError_tPvRmT2_T3_mT4_P12ihipStream_tbEUlT_E_NS1_11comp_targetILNS1_3genE4ELNS1_11target_archE910ELNS1_3gpuE8ELNS1_3repE0EEENS1_30default_config_static_selectorELNS0_4arch9wavefront6targetE0EEEvT1_: ; @_ZN7rocprim17ROCPRIM_400000_NS6detail17trampoline_kernelINS0_14default_configENS1_35adjacent_difference_config_selectorILb0ElEEZNS1_24adjacent_difference_implIS3_Lb0ELb0EPlS7_ZN2at6native12_GLOBAL__N_124unique_dim_cuda_templateIjEESt5tupleIJNS8_6TensorESD_SD_EERKSD_lbbbEUlllE1_EE10hipError_tPvRmT2_T3_mT4_P12ihipStream_tbEUlT_E_NS1_11comp_targetILNS1_3genE4ELNS1_11target_archE910ELNS1_3gpuE8ELNS1_3repE0EEENS1_30default_config_static_selectorELNS0_4arch9wavefront6targetE0EEEvT1_
; %bb.0:
	.section	.rodata,"a",@progbits
	.p2align	6, 0x0
	.amdhsa_kernel _ZN7rocprim17ROCPRIM_400000_NS6detail17trampoline_kernelINS0_14default_configENS1_35adjacent_difference_config_selectorILb0ElEEZNS1_24adjacent_difference_implIS3_Lb0ELb0EPlS7_ZN2at6native12_GLOBAL__N_124unique_dim_cuda_templateIjEESt5tupleIJNS8_6TensorESD_SD_EERKSD_lbbbEUlllE1_EE10hipError_tPvRmT2_T3_mT4_P12ihipStream_tbEUlT_E_NS1_11comp_targetILNS1_3genE4ELNS1_11target_archE910ELNS1_3gpuE8ELNS1_3repE0EEENS1_30default_config_static_selectorELNS0_4arch9wavefront6targetE0EEEvT1_
		.amdhsa_group_segment_fixed_size 0
		.amdhsa_private_segment_fixed_size 0
		.amdhsa_kernarg_size 64
		.amdhsa_user_sgpr_count 2
		.amdhsa_user_sgpr_dispatch_ptr 0
		.amdhsa_user_sgpr_queue_ptr 0
		.amdhsa_user_sgpr_kernarg_segment_ptr 1
		.amdhsa_user_sgpr_dispatch_id 0
		.amdhsa_user_sgpr_kernarg_preload_length 0
		.amdhsa_user_sgpr_kernarg_preload_offset 0
		.amdhsa_user_sgpr_private_segment_size 0
		.amdhsa_wavefront_size32 1
		.amdhsa_uses_dynamic_stack 0
		.amdhsa_enable_private_segment 0
		.amdhsa_system_sgpr_workgroup_id_x 1
		.amdhsa_system_sgpr_workgroup_id_y 0
		.amdhsa_system_sgpr_workgroup_id_z 0
		.amdhsa_system_sgpr_workgroup_info 0
		.amdhsa_system_vgpr_workitem_id 0
		.amdhsa_next_free_vgpr 1
		.amdhsa_next_free_sgpr 1
		.amdhsa_named_barrier_count 0
		.amdhsa_reserve_vcc 0
		.amdhsa_float_round_mode_32 0
		.amdhsa_float_round_mode_16_64 0
		.amdhsa_float_denorm_mode_32 3
		.amdhsa_float_denorm_mode_16_64 3
		.amdhsa_fp16_overflow 0
		.amdhsa_memory_ordered 1
		.amdhsa_forward_progress 1
		.amdhsa_inst_pref_size 0
		.amdhsa_round_robin_scheduling 0
		.amdhsa_exception_fp_ieee_invalid_op 0
		.amdhsa_exception_fp_denorm_src 0
		.amdhsa_exception_fp_ieee_div_zero 0
		.amdhsa_exception_fp_ieee_overflow 0
		.amdhsa_exception_fp_ieee_underflow 0
		.amdhsa_exception_fp_ieee_inexact 0
		.amdhsa_exception_int_div_zero 0
	.end_amdhsa_kernel
	.section	.text._ZN7rocprim17ROCPRIM_400000_NS6detail17trampoline_kernelINS0_14default_configENS1_35adjacent_difference_config_selectorILb0ElEEZNS1_24adjacent_difference_implIS3_Lb0ELb0EPlS7_ZN2at6native12_GLOBAL__N_124unique_dim_cuda_templateIjEESt5tupleIJNS8_6TensorESD_SD_EERKSD_lbbbEUlllE1_EE10hipError_tPvRmT2_T3_mT4_P12ihipStream_tbEUlT_E_NS1_11comp_targetILNS1_3genE4ELNS1_11target_archE910ELNS1_3gpuE8ELNS1_3repE0EEENS1_30default_config_static_selectorELNS0_4arch9wavefront6targetE0EEEvT1_,"axG",@progbits,_ZN7rocprim17ROCPRIM_400000_NS6detail17trampoline_kernelINS0_14default_configENS1_35adjacent_difference_config_selectorILb0ElEEZNS1_24adjacent_difference_implIS3_Lb0ELb0EPlS7_ZN2at6native12_GLOBAL__N_124unique_dim_cuda_templateIjEESt5tupleIJNS8_6TensorESD_SD_EERKSD_lbbbEUlllE1_EE10hipError_tPvRmT2_T3_mT4_P12ihipStream_tbEUlT_E_NS1_11comp_targetILNS1_3genE4ELNS1_11target_archE910ELNS1_3gpuE8ELNS1_3repE0EEENS1_30default_config_static_selectorELNS0_4arch9wavefront6targetE0EEEvT1_,comdat
.Lfunc_end1519:
	.size	_ZN7rocprim17ROCPRIM_400000_NS6detail17trampoline_kernelINS0_14default_configENS1_35adjacent_difference_config_selectorILb0ElEEZNS1_24adjacent_difference_implIS3_Lb0ELb0EPlS7_ZN2at6native12_GLOBAL__N_124unique_dim_cuda_templateIjEESt5tupleIJNS8_6TensorESD_SD_EERKSD_lbbbEUlllE1_EE10hipError_tPvRmT2_T3_mT4_P12ihipStream_tbEUlT_E_NS1_11comp_targetILNS1_3genE4ELNS1_11target_archE910ELNS1_3gpuE8ELNS1_3repE0EEENS1_30default_config_static_selectorELNS0_4arch9wavefront6targetE0EEEvT1_, .Lfunc_end1519-_ZN7rocprim17ROCPRIM_400000_NS6detail17trampoline_kernelINS0_14default_configENS1_35adjacent_difference_config_selectorILb0ElEEZNS1_24adjacent_difference_implIS3_Lb0ELb0EPlS7_ZN2at6native12_GLOBAL__N_124unique_dim_cuda_templateIjEESt5tupleIJNS8_6TensorESD_SD_EERKSD_lbbbEUlllE1_EE10hipError_tPvRmT2_T3_mT4_P12ihipStream_tbEUlT_E_NS1_11comp_targetILNS1_3genE4ELNS1_11target_archE910ELNS1_3gpuE8ELNS1_3repE0EEENS1_30default_config_static_selectorELNS0_4arch9wavefront6targetE0EEEvT1_
                                        ; -- End function
	.set _ZN7rocprim17ROCPRIM_400000_NS6detail17trampoline_kernelINS0_14default_configENS1_35adjacent_difference_config_selectorILb0ElEEZNS1_24adjacent_difference_implIS3_Lb0ELb0EPlS7_ZN2at6native12_GLOBAL__N_124unique_dim_cuda_templateIjEESt5tupleIJNS8_6TensorESD_SD_EERKSD_lbbbEUlllE1_EE10hipError_tPvRmT2_T3_mT4_P12ihipStream_tbEUlT_E_NS1_11comp_targetILNS1_3genE4ELNS1_11target_archE910ELNS1_3gpuE8ELNS1_3repE0EEENS1_30default_config_static_selectorELNS0_4arch9wavefront6targetE0EEEvT1_.num_vgpr, 0
	.set _ZN7rocprim17ROCPRIM_400000_NS6detail17trampoline_kernelINS0_14default_configENS1_35adjacent_difference_config_selectorILb0ElEEZNS1_24adjacent_difference_implIS3_Lb0ELb0EPlS7_ZN2at6native12_GLOBAL__N_124unique_dim_cuda_templateIjEESt5tupleIJNS8_6TensorESD_SD_EERKSD_lbbbEUlllE1_EE10hipError_tPvRmT2_T3_mT4_P12ihipStream_tbEUlT_E_NS1_11comp_targetILNS1_3genE4ELNS1_11target_archE910ELNS1_3gpuE8ELNS1_3repE0EEENS1_30default_config_static_selectorELNS0_4arch9wavefront6targetE0EEEvT1_.num_agpr, 0
	.set _ZN7rocprim17ROCPRIM_400000_NS6detail17trampoline_kernelINS0_14default_configENS1_35adjacent_difference_config_selectorILb0ElEEZNS1_24adjacent_difference_implIS3_Lb0ELb0EPlS7_ZN2at6native12_GLOBAL__N_124unique_dim_cuda_templateIjEESt5tupleIJNS8_6TensorESD_SD_EERKSD_lbbbEUlllE1_EE10hipError_tPvRmT2_T3_mT4_P12ihipStream_tbEUlT_E_NS1_11comp_targetILNS1_3genE4ELNS1_11target_archE910ELNS1_3gpuE8ELNS1_3repE0EEENS1_30default_config_static_selectorELNS0_4arch9wavefront6targetE0EEEvT1_.numbered_sgpr, 0
	.set _ZN7rocprim17ROCPRIM_400000_NS6detail17trampoline_kernelINS0_14default_configENS1_35adjacent_difference_config_selectorILb0ElEEZNS1_24adjacent_difference_implIS3_Lb0ELb0EPlS7_ZN2at6native12_GLOBAL__N_124unique_dim_cuda_templateIjEESt5tupleIJNS8_6TensorESD_SD_EERKSD_lbbbEUlllE1_EE10hipError_tPvRmT2_T3_mT4_P12ihipStream_tbEUlT_E_NS1_11comp_targetILNS1_3genE4ELNS1_11target_archE910ELNS1_3gpuE8ELNS1_3repE0EEENS1_30default_config_static_selectorELNS0_4arch9wavefront6targetE0EEEvT1_.num_named_barrier, 0
	.set _ZN7rocprim17ROCPRIM_400000_NS6detail17trampoline_kernelINS0_14default_configENS1_35adjacent_difference_config_selectorILb0ElEEZNS1_24adjacent_difference_implIS3_Lb0ELb0EPlS7_ZN2at6native12_GLOBAL__N_124unique_dim_cuda_templateIjEESt5tupleIJNS8_6TensorESD_SD_EERKSD_lbbbEUlllE1_EE10hipError_tPvRmT2_T3_mT4_P12ihipStream_tbEUlT_E_NS1_11comp_targetILNS1_3genE4ELNS1_11target_archE910ELNS1_3gpuE8ELNS1_3repE0EEENS1_30default_config_static_selectorELNS0_4arch9wavefront6targetE0EEEvT1_.private_seg_size, 0
	.set _ZN7rocprim17ROCPRIM_400000_NS6detail17trampoline_kernelINS0_14default_configENS1_35adjacent_difference_config_selectorILb0ElEEZNS1_24adjacent_difference_implIS3_Lb0ELb0EPlS7_ZN2at6native12_GLOBAL__N_124unique_dim_cuda_templateIjEESt5tupleIJNS8_6TensorESD_SD_EERKSD_lbbbEUlllE1_EE10hipError_tPvRmT2_T3_mT4_P12ihipStream_tbEUlT_E_NS1_11comp_targetILNS1_3genE4ELNS1_11target_archE910ELNS1_3gpuE8ELNS1_3repE0EEENS1_30default_config_static_selectorELNS0_4arch9wavefront6targetE0EEEvT1_.uses_vcc, 0
	.set _ZN7rocprim17ROCPRIM_400000_NS6detail17trampoline_kernelINS0_14default_configENS1_35adjacent_difference_config_selectorILb0ElEEZNS1_24adjacent_difference_implIS3_Lb0ELb0EPlS7_ZN2at6native12_GLOBAL__N_124unique_dim_cuda_templateIjEESt5tupleIJNS8_6TensorESD_SD_EERKSD_lbbbEUlllE1_EE10hipError_tPvRmT2_T3_mT4_P12ihipStream_tbEUlT_E_NS1_11comp_targetILNS1_3genE4ELNS1_11target_archE910ELNS1_3gpuE8ELNS1_3repE0EEENS1_30default_config_static_selectorELNS0_4arch9wavefront6targetE0EEEvT1_.uses_flat_scratch, 0
	.set _ZN7rocprim17ROCPRIM_400000_NS6detail17trampoline_kernelINS0_14default_configENS1_35adjacent_difference_config_selectorILb0ElEEZNS1_24adjacent_difference_implIS3_Lb0ELb0EPlS7_ZN2at6native12_GLOBAL__N_124unique_dim_cuda_templateIjEESt5tupleIJNS8_6TensorESD_SD_EERKSD_lbbbEUlllE1_EE10hipError_tPvRmT2_T3_mT4_P12ihipStream_tbEUlT_E_NS1_11comp_targetILNS1_3genE4ELNS1_11target_archE910ELNS1_3gpuE8ELNS1_3repE0EEENS1_30default_config_static_selectorELNS0_4arch9wavefront6targetE0EEEvT1_.has_dyn_sized_stack, 0
	.set _ZN7rocprim17ROCPRIM_400000_NS6detail17trampoline_kernelINS0_14default_configENS1_35adjacent_difference_config_selectorILb0ElEEZNS1_24adjacent_difference_implIS3_Lb0ELb0EPlS7_ZN2at6native12_GLOBAL__N_124unique_dim_cuda_templateIjEESt5tupleIJNS8_6TensorESD_SD_EERKSD_lbbbEUlllE1_EE10hipError_tPvRmT2_T3_mT4_P12ihipStream_tbEUlT_E_NS1_11comp_targetILNS1_3genE4ELNS1_11target_archE910ELNS1_3gpuE8ELNS1_3repE0EEENS1_30default_config_static_selectorELNS0_4arch9wavefront6targetE0EEEvT1_.has_recursion, 0
	.set _ZN7rocprim17ROCPRIM_400000_NS6detail17trampoline_kernelINS0_14default_configENS1_35adjacent_difference_config_selectorILb0ElEEZNS1_24adjacent_difference_implIS3_Lb0ELb0EPlS7_ZN2at6native12_GLOBAL__N_124unique_dim_cuda_templateIjEESt5tupleIJNS8_6TensorESD_SD_EERKSD_lbbbEUlllE1_EE10hipError_tPvRmT2_T3_mT4_P12ihipStream_tbEUlT_E_NS1_11comp_targetILNS1_3genE4ELNS1_11target_archE910ELNS1_3gpuE8ELNS1_3repE0EEENS1_30default_config_static_selectorELNS0_4arch9wavefront6targetE0EEEvT1_.has_indirect_call, 0
	.section	.AMDGPU.csdata,"",@progbits
; Kernel info:
; codeLenInByte = 0
; TotalNumSgprs: 0
; NumVgprs: 0
; ScratchSize: 0
; MemoryBound: 0
; FloatMode: 240
; IeeeMode: 1
; LDSByteSize: 0 bytes/workgroup (compile time only)
; SGPRBlocks: 0
; VGPRBlocks: 0
; NumSGPRsForWavesPerEU: 1
; NumVGPRsForWavesPerEU: 1
; NamedBarCnt: 0
; Occupancy: 16
; WaveLimiterHint : 0
; COMPUTE_PGM_RSRC2:SCRATCH_EN: 0
; COMPUTE_PGM_RSRC2:USER_SGPR: 2
; COMPUTE_PGM_RSRC2:TRAP_HANDLER: 0
; COMPUTE_PGM_RSRC2:TGID_X_EN: 1
; COMPUTE_PGM_RSRC2:TGID_Y_EN: 0
; COMPUTE_PGM_RSRC2:TGID_Z_EN: 0
; COMPUTE_PGM_RSRC2:TIDIG_COMP_CNT: 0
	.section	.text._ZN7rocprim17ROCPRIM_400000_NS6detail17trampoline_kernelINS0_14default_configENS1_35adjacent_difference_config_selectorILb0ElEEZNS1_24adjacent_difference_implIS3_Lb0ELb0EPlS7_ZN2at6native12_GLOBAL__N_124unique_dim_cuda_templateIjEESt5tupleIJNS8_6TensorESD_SD_EERKSD_lbbbEUlllE1_EE10hipError_tPvRmT2_T3_mT4_P12ihipStream_tbEUlT_E_NS1_11comp_targetILNS1_3genE3ELNS1_11target_archE908ELNS1_3gpuE7ELNS1_3repE0EEENS1_30default_config_static_selectorELNS0_4arch9wavefront6targetE0EEEvT1_,"axG",@progbits,_ZN7rocprim17ROCPRIM_400000_NS6detail17trampoline_kernelINS0_14default_configENS1_35adjacent_difference_config_selectorILb0ElEEZNS1_24adjacent_difference_implIS3_Lb0ELb0EPlS7_ZN2at6native12_GLOBAL__N_124unique_dim_cuda_templateIjEESt5tupleIJNS8_6TensorESD_SD_EERKSD_lbbbEUlllE1_EE10hipError_tPvRmT2_T3_mT4_P12ihipStream_tbEUlT_E_NS1_11comp_targetILNS1_3genE3ELNS1_11target_archE908ELNS1_3gpuE7ELNS1_3repE0EEENS1_30default_config_static_selectorELNS0_4arch9wavefront6targetE0EEEvT1_,comdat
	.globl	_ZN7rocprim17ROCPRIM_400000_NS6detail17trampoline_kernelINS0_14default_configENS1_35adjacent_difference_config_selectorILb0ElEEZNS1_24adjacent_difference_implIS3_Lb0ELb0EPlS7_ZN2at6native12_GLOBAL__N_124unique_dim_cuda_templateIjEESt5tupleIJNS8_6TensorESD_SD_EERKSD_lbbbEUlllE1_EE10hipError_tPvRmT2_T3_mT4_P12ihipStream_tbEUlT_E_NS1_11comp_targetILNS1_3genE3ELNS1_11target_archE908ELNS1_3gpuE7ELNS1_3repE0EEENS1_30default_config_static_selectorELNS0_4arch9wavefront6targetE0EEEvT1_ ; -- Begin function _ZN7rocprim17ROCPRIM_400000_NS6detail17trampoline_kernelINS0_14default_configENS1_35adjacent_difference_config_selectorILb0ElEEZNS1_24adjacent_difference_implIS3_Lb0ELb0EPlS7_ZN2at6native12_GLOBAL__N_124unique_dim_cuda_templateIjEESt5tupleIJNS8_6TensorESD_SD_EERKSD_lbbbEUlllE1_EE10hipError_tPvRmT2_T3_mT4_P12ihipStream_tbEUlT_E_NS1_11comp_targetILNS1_3genE3ELNS1_11target_archE908ELNS1_3gpuE7ELNS1_3repE0EEENS1_30default_config_static_selectorELNS0_4arch9wavefront6targetE0EEEvT1_
	.p2align	8
	.type	_ZN7rocprim17ROCPRIM_400000_NS6detail17trampoline_kernelINS0_14default_configENS1_35adjacent_difference_config_selectorILb0ElEEZNS1_24adjacent_difference_implIS3_Lb0ELb0EPlS7_ZN2at6native12_GLOBAL__N_124unique_dim_cuda_templateIjEESt5tupleIJNS8_6TensorESD_SD_EERKSD_lbbbEUlllE1_EE10hipError_tPvRmT2_T3_mT4_P12ihipStream_tbEUlT_E_NS1_11comp_targetILNS1_3genE3ELNS1_11target_archE908ELNS1_3gpuE7ELNS1_3repE0EEENS1_30default_config_static_selectorELNS0_4arch9wavefront6targetE0EEEvT1_,@function
_ZN7rocprim17ROCPRIM_400000_NS6detail17trampoline_kernelINS0_14default_configENS1_35adjacent_difference_config_selectorILb0ElEEZNS1_24adjacent_difference_implIS3_Lb0ELb0EPlS7_ZN2at6native12_GLOBAL__N_124unique_dim_cuda_templateIjEESt5tupleIJNS8_6TensorESD_SD_EERKSD_lbbbEUlllE1_EE10hipError_tPvRmT2_T3_mT4_P12ihipStream_tbEUlT_E_NS1_11comp_targetILNS1_3genE3ELNS1_11target_archE908ELNS1_3gpuE7ELNS1_3repE0EEENS1_30default_config_static_selectorELNS0_4arch9wavefront6targetE0EEEvT1_: ; @_ZN7rocprim17ROCPRIM_400000_NS6detail17trampoline_kernelINS0_14default_configENS1_35adjacent_difference_config_selectorILb0ElEEZNS1_24adjacent_difference_implIS3_Lb0ELb0EPlS7_ZN2at6native12_GLOBAL__N_124unique_dim_cuda_templateIjEESt5tupleIJNS8_6TensorESD_SD_EERKSD_lbbbEUlllE1_EE10hipError_tPvRmT2_T3_mT4_P12ihipStream_tbEUlT_E_NS1_11comp_targetILNS1_3genE3ELNS1_11target_archE908ELNS1_3gpuE7ELNS1_3repE0EEENS1_30default_config_static_selectorELNS0_4arch9wavefront6targetE0EEEvT1_
; %bb.0:
	.section	.rodata,"a",@progbits
	.p2align	6, 0x0
	.amdhsa_kernel _ZN7rocprim17ROCPRIM_400000_NS6detail17trampoline_kernelINS0_14default_configENS1_35adjacent_difference_config_selectorILb0ElEEZNS1_24adjacent_difference_implIS3_Lb0ELb0EPlS7_ZN2at6native12_GLOBAL__N_124unique_dim_cuda_templateIjEESt5tupleIJNS8_6TensorESD_SD_EERKSD_lbbbEUlllE1_EE10hipError_tPvRmT2_T3_mT4_P12ihipStream_tbEUlT_E_NS1_11comp_targetILNS1_3genE3ELNS1_11target_archE908ELNS1_3gpuE7ELNS1_3repE0EEENS1_30default_config_static_selectorELNS0_4arch9wavefront6targetE0EEEvT1_
		.amdhsa_group_segment_fixed_size 0
		.amdhsa_private_segment_fixed_size 0
		.amdhsa_kernarg_size 64
		.amdhsa_user_sgpr_count 2
		.amdhsa_user_sgpr_dispatch_ptr 0
		.amdhsa_user_sgpr_queue_ptr 0
		.amdhsa_user_sgpr_kernarg_segment_ptr 1
		.amdhsa_user_sgpr_dispatch_id 0
		.amdhsa_user_sgpr_kernarg_preload_length 0
		.amdhsa_user_sgpr_kernarg_preload_offset 0
		.amdhsa_user_sgpr_private_segment_size 0
		.amdhsa_wavefront_size32 1
		.amdhsa_uses_dynamic_stack 0
		.amdhsa_enable_private_segment 0
		.amdhsa_system_sgpr_workgroup_id_x 1
		.amdhsa_system_sgpr_workgroup_id_y 0
		.amdhsa_system_sgpr_workgroup_id_z 0
		.amdhsa_system_sgpr_workgroup_info 0
		.amdhsa_system_vgpr_workitem_id 0
		.amdhsa_next_free_vgpr 1
		.amdhsa_next_free_sgpr 1
		.amdhsa_named_barrier_count 0
		.amdhsa_reserve_vcc 0
		.amdhsa_float_round_mode_32 0
		.amdhsa_float_round_mode_16_64 0
		.amdhsa_float_denorm_mode_32 3
		.amdhsa_float_denorm_mode_16_64 3
		.amdhsa_fp16_overflow 0
		.amdhsa_memory_ordered 1
		.amdhsa_forward_progress 1
		.amdhsa_inst_pref_size 0
		.amdhsa_round_robin_scheduling 0
		.amdhsa_exception_fp_ieee_invalid_op 0
		.amdhsa_exception_fp_denorm_src 0
		.amdhsa_exception_fp_ieee_div_zero 0
		.amdhsa_exception_fp_ieee_overflow 0
		.amdhsa_exception_fp_ieee_underflow 0
		.amdhsa_exception_fp_ieee_inexact 0
		.amdhsa_exception_int_div_zero 0
	.end_amdhsa_kernel
	.section	.text._ZN7rocprim17ROCPRIM_400000_NS6detail17trampoline_kernelINS0_14default_configENS1_35adjacent_difference_config_selectorILb0ElEEZNS1_24adjacent_difference_implIS3_Lb0ELb0EPlS7_ZN2at6native12_GLOBAL__N_124unique_dim_cuda_templateIjEESt5tupleIJNS8_6TensorESD_SD_EERKSD_lbbbEUlllE1_EE10hipError_tPvRmT2_T3_mT4_P12ihipStream_tbEUlT_E_NS1_11comp_targetILNS1_3genE3ELNS1_11target_archE908ELNS1_3gpuE7ELNS1_3repE0EEENS1_30default_config_static_selectorELNS0_4arch9wavefront6targetE0EEEvT1_,"axG",@progbits,_ZN7rocprim17ROCPRIM_400000_NS6detail17trampoline_kernelINS0_14default_configENS1_35adjacent_difference_config_selectorILb0ElEEZNS1_24adjacent_difference_implIS3_Lb0ELb0EPlS7_ZN2at6native12_GLOBAL__N_124unique_dim_cuda_templateIjEESt5tupleIJNS8_6TensorESD_SD_EERKSD_lbbbEUlllE1_EE10hipError_tPvRmT2_T3_mT4_P12ihipStream_tbEUlT_E_NS1_11comp_targetILNS1_3genE3ELNS1_11target_archE908ELNS1_3gpuE7ELNS1_3repE0EEENS1_30default_config_static_selectorELNS0_4arch9wavefront6targetE0EEEvT1_,comdat
.Lfunc_end1520:
	.size	_ZN7rocprim17ROCPRIM_400000_NS6detail17trampoline_kernelINS0_14default_configENS1_35adjacent_difference_config_selectorILb0ElEEZNS1_24adjacent_difference_implIS3_Lb0ELb0EPlS7_ZN2at6native12_GLOBAL__N_124unique_dim_cuda_templateIjEESt5tupleIJNS8_6TensorESD_SD_EERKSD_lbbbEUlllE1_EE10hipError_tPvRmT2_T3_mT4_P12ihipStream_tbEUlT_E_NS1_11comp_targetILNS1_3genE3ELNS1_11target_archE908ELNS1_3gpuE7ELNS1_3repE0EEENS1_30default_config_static_selectorELNS0_4arch9wavefront6targetE0EEEvT1_, .Lfunc_end1520-_ZN7rocprim17ROCPRIM_400000_NS6detail17trampoline_kernelINS0_14default_configENS1_35adjacent_difference_config_selectorILb0ElEEZNS1_24adjacent_difference_implIS3_Lb0ELb0EPlS7_ZN2at6native12_GLOBAL__N_124unique_dim_cuda_templateIjEESt5tupleIJNS8_6TensorESD_SD_EERKSD_lbbbEUlllE1_EE10hipError_tPvRmT2_T3_mT4_P12ihipStream_tbEUlT_E_NS1_11comp_targetILNS1_3genE3ELNS1_11target_archE908ELNS1_3gpuE7ELNS1_3repE0EEENS1_30default_config_static_selectorELNS0_4arch9wavefront6targetE0EEEvT1_
                                        ; -- End function
	.set _ZN7rocprim17ROCPRIM_400000_NS6detail17trampoline_kernelINS0_14default_configENS1_35adjacent_difference_config_selectorILb0ElEEZNS1_24adjacent_difference_implIS3_Lb0ELb0EPlS7_ZN2at6native12_GLOBAL__N_124unique_dim_cuda_templateIjEESt5tupleIJNS8_6TensorESD_SD_EERKSD_lbbbEUlllE1_EE10hipError_tPvRmT2_T3_mT4_P12ihipStream_tbEUlT_E_NS1_11comp_targetILNS1_3genE3ELNS1_11target_archE908ELNS1_3gpuE7ELNS1_3repE0EEENS1_30default_config_static_selectorELNS0_4arch9wavefront6targetE0EEEvT1_.num_vgpr, 0
	.set _ZN7rocprim17ROCPRIM_400000_NS6detail17trampoline_kernelINS0_14default_configENS1_35adjacent_difference_config_selectorILb0ElEEZNS1_24adjacent_difference_implIS3_Lb0ELb0EPlS7_ZN2at6native12_GLOBAL__N_124unique_dim_cuda_templateIjEESt5tupleIJNS8_6TensorESD_SD_EERKSD_lbbbEUlllE1_EE10hipError_tPvRmT2_T3_mT4_P12ihipStream_tbEUlT_E_NS1_11comp_targetILNS1_3genE3ELNS1_11target_archE908ELNS1_3gpuE7ELNS1_3repE0EEENS1_30default_config_static_selectorELNS0_4arch9wavefront6targetE0EEEvT1_.num_agpr, 0
	.set _ZN7rocprim17ROCPRIM_400000_NS6detail17trampoline_kernelINS0_14default_configENS1_35adjacent_difference_config_selectorILb0ElEEZNS1_24adjacent_difference_implIS3_Lb0ELb0EPlS7_ZN2at6native12_GLOBAL__N_124unique_dim_cuda_templateIjEESt5tupleIJNS8_6TensorESD_SD_EERKSD_lbbbEUlllE1_EE10hipError_tPvRmT2_T3_mT4_P12ihipStream_tbEUlT_E_NS1_11comp_targetILNS1_3genE3ELNS1_11target_archE908ELNS1_3gpuE7ELNS1_3repE0EEENS1_30default_config_static_selectorELNS0_4arch9wavefront6targetE0EEEvT1_.numbered_sgpr, 0
	.set _ZN7rocprim17ROCPRIM_400000_NS6detail17trampoline_kernelINS0_14default_configENS1_35adjacent_difference_config_selectorILb0ElEEZNS1_24adjacent_difference_implIS3_Lb0ELb0EPlS7_ZN2at6native12_GLOBAL__N_124unique_dim_cuda_templateIjEESt5tupleIJNS8_6TensorESD_SD_EERKSD_lbbbEUlllE1_EE10hipError_tPvRmT2_T3_mT4_P12ihipStream_tbEUlT_E_NS1_11comp_targetILNS1_3genE3ELNS1_11target_archE908ELNS1_3gpuE7ELNS1_3repE0EEENS1_30default_config_static_selectorELNS0_4arch9wavefront6targetE0EEEvT1_.num_named_barrier, 0
	.set _ZN7rocprim17ROCPRIM_400000_NS6detail17trampoline_kernelINS0_14default_configENS1_35adjacent_difference_config_selectorILb0ElEEZNS1_24adjacent_difference_implIS3_Lb0ELb0EPlS7_ZN2at6native12_GLOBAL__N_124unique_dim_cuda_templateIjEESt5tupleIJNS8_6TensorESD_SD_EERKSD_lbbbEUlllE1_EE10hipError_tPvRmT2_T3_mT4_P12ihipStream_tbEUlT_E_NS1_11comp_targetILNS1_3genE3ELNS1_11target_archE908ELNS1_3gpuE7ELNS1_3repE0EEENS1_30default_config_static_selectorELNS0_4arch9wavefront6targetE0EEEvT1_.private_seg_size, 0
	.set _ZN7rocprim17ROCPRIM_400000_NS6detail17trampoline_kernelINS0_14default_configENS1_35adjacent_difference_config_selectorILb0ElEEZNS1_24adjacent_difference_implIS3_Lb0ELb0EPlS7_ZN2at6native12_GLOBAL__N_124unique_dim_cuda_templateIjEESt5tupleIJNS8_6TensorESD_SD_EERKSD_lbbbEUlllE1_EE10hipError_tPvRmT2_T3_mT4_P12ihipStream_tbEUlT_E_NS1_11comp_targetILNS1_3genE3ELNS1_11target_archE908ELNS1_3gpuE7ELNS1_3repE0EEENS1_30default_config_static_selectorELNS0_4arch9wavefront6targetE0EEEvT1_.uses_vcc, 0
	.set _ZN7rocprim17ROCPRIM_400000_NS6detail17trampoline_kernelINS0_14default_configENS1_35adjacent_difference_config_selectorILb0ElEEZNS1_24adjacent_difference_implIS3_Lb0ELb0EPlS7_ZN2at6native12_GLOBAL__N_124unique_dim_cuda_templateIjEESt5tupleIJNS8_6TensorESD_SD_EERKSD_lbbbEUlllE1_EE10hipError_tPvRmT2_T3_mT4_P12ihipStream_tbEUlT_E_NS1_11comp_targetILNS1_3genE3ELNS1_11target_archE908ELNS1_3gpuE7ELNS1_3repE0EEENS1_30default_config_static_selectorELNS0_4arch9wavefront6targetE0EEEvT1_.uses_flat_scratch, 0
	.set _ZN7rocprim17ROCPRIM_400000_NS6detail17trampoline_kernelINS0_14default_configENS1_35adjacent_difference_config_selectorILb0ElEEZNS1_24adjacent_difference_implIS3_Lb0ELb0EPlS7_ZN2at6native12_GLOBAL__N_124unique_dim_cuda_templateIjEESt5tupleIJNS8_6TensorESD_SD_EERKSD_lbbbEUlllE1_EE10hipError_tPvRmT2_T3_mT4_P12ihipStream_tbEUlT_E_NS1_11comp_targetILNS1_3genE3ELNS1_11target_archE908ELNS1_3gpuE7ELNS1_3repE0EEENS1_30default_config_static_selectorELNS0_4arch9wavefront6targetE0EEEvT1_.has_dyn_sized_stack, 0
	.set _ZN7rocprim17ROCPRIM_400000_NS6detail17trampoline_kernelINS0_14default_configENS1_35adjacent_difference_config_selectorILb0ElEEZNS1_24adjacent_difference_implIS3_Lb0ELb0EPlS7_ZN2at6native12_GLOBAL__N_124unique_dim_cuda_templateIjEESt5tupleIJNS8_6TensorESD_SD_EERKSD_lbbbEUlllE1_EE10hipError_tPvRmT2_T3_mT4_P12ihipStream_tbEUlT_E_NS1_11comp_targetILNS1_3genE3ELNS1_11target_archE908ELNS1_3gpuE7ELNS1_3repE0EEENS1_30default_config_static_selectorELNS0_4arch9wavefront6targetE0EEEvT1_.has_recursion, 0
	.set _ZN7rocprim17ROCPRIM_400000_NS6detail17trampoline_kernelINS0_14default_configENS1_35adjacent_difference_config_selectorILb0ElEEZNS1_24adjacent_difference_implIS3_Lb0ELb0EPlS7_ZN2at6native12_GLOBAL__N_124unique_dim_cuda_templateIjEESt5tupleIJNS8_6TensorESD_SD_EERKSD_lbbbEUlllE1_EE10hipError_tPvRmT2_T3_mT4_P12ihipStream_tbEUlT_E_NS1_11comp_targetILNS1_3genE3ELNS1_11target_archE908ELNS1_3gpuE7ELNS1_3repE0EEENS1_30default_config_static_selectorELNS0_4arch9wavefront6targetE0EEEvT1_.has_indirect_call, 0
	.section	.AMDGPU.csdata,"",@progbits
; Kernel info:
; codeLenInByte = 0
; TotalNumSgprs: 0
; NumVgprs: 0
; ScratchSize: 0
; MemoryBound: 0
; FloatMode: 240
; IeeeMode: 1
; LDSByteSize: 0 bytes/workgroup (compile time only)
; SGPRBlocks: 0
; VGPRBlocks: 0
; NumSGPRsForWavesPerEU: 1
; NumVGPRsForWavesPerEU: 1
; NamedBarCnt: 0
; Occupancy: 16
; WaveLimiterHint : 0
; COMPUTE_PGM_RSRC2:SCRATCH_EN: 0
; COMPUTE_PGM_RSRC2:USER_SGPR: 2
; COMPUTE_PGM_RSRC2:TRAP_HANDLER: 0
; COMPUTE_PGM_RSRC2:TGID_X_EN: 1
; COMPUTE_PGM_RSRC2:TGID_Y_EN: 0
; COMPUTE_PGM_RSRC2:TGID_Z_EN: 0
; COMPUTE_PGM_RSRC2:TIDIG_COMP_CNT: 0
	.section	.text._ZN7rocprim17ROCPRIM_400000_NS6detail17trampoline_kernelINS0_14default_configENS1_35adjacent_difference_config_selectorILb0ElEEZNS1_24adjacent_difference_implIS3_Lb0ELb0EPlS7_ZN2at6native12_GLOBAL__N_124unique_dim_cuda_templateIjEESt5tupleIJNS8_6TensorESD_SD_EERKSD_lbbbEUlllE1_EE10hipError_tPvRmT2_T3_mT4_P12ihipStream_tbEUlT_E_NS1_11comp_targetILNS1_3genE2ELNS1_11target_archE906ELNS1_3gpuE6ELNS1_3repE0EEENS1_30default_config_static_selectorELNS0_4arch9wavefront6targetE0EEEvT1_,"axG",@progbits,_ZN7rocprim17ROCPRIM_400000_NS6detail17trampoline_kernelINS0_14default_configENS1_35adjacent_difference_config_selectorILb0ElEEZNS1_24adjacent_difference_implIS3_Lb0ELb0EPlS7_ZN2at6native12_GLOBAL__N_124unique_dim_cuda_templateIjEESt5tupleIJNS8_6TensorESD_SD_EERKSD_lbbbEUlllE1_EE10hipError_tPvRmT2_T3_mT4_P12ihipStream_tbEUlT_E_NS1_11comp_targetILNS1_3genE2ELNS1_11target_archE906ELNS1_3gpuE6ELNS1_3repE0EEENS1_30default_config_static_selectorELNS0_4arch9wavefront6targetE0EEEvT1_,comdat
	.globl	_ZN7rocprim17ROCPRIM_400000_NS6detail17trampoline_kernelINS0_14default_configENS1_35adjacent_difference_config_selectorILb0ElEEZNS1_24adjacent_difference_implIS3_Lb0ELb0EPlS7_ZN2at6native12_GLOBAL__N_124unique_dim_cuda_templateIjEESt5tupleIJNS8_6TensorESD_SD_EERKSD_lbbbEUlllE1_EE10hipError_tPvRmT2_T3_mT4_P12ihipStream_tbEUlT_E_NS1_11comp_targetILNS1_3genE2ELNS1_11target_archE906ELNS1_3gpuE6ELNS1_3repE0EEENS1_30default_config_static_selectorELNS0_4arch9wavefront6targetE0EEEvT1_ ; -- Begin function _ZN7rocprim17ROCPRIM_400000_NS6detail17trampoline_kernelINS0_14default_configENS1_35adjacent_difference_config_selectorILb0ElEEZNS1_24adjacent_difference_implIS3_Lb0ELb0EPlS7_ZN2at6native12_GLOBAL__N_124unique_dim_cuda_templateIjEESt5tupleIJNS8_6TensorESD_SD_EERKSD_lbbbEUlllE1_EE10hipError_tPvRmT2_T3_mT4_P12ihipStream_tbEUlT_E_NS1_11comp_targetILNS1_3genE2ELNS1_11target_archE906ELNS1_3gpuE6ELNS1_3repE0EEENS1_30default_config_static_selectorELNS0_4arch9wavefront6targetE0EEEvT1_
	.p2align	8
	.type	_ZN7rocprim17ROCPRIM_400000_NS6detail17trampoline_kernelINS0_14default_configENS1_35adjacent_difference_config_selectorILb0ElEEZNS1_24adjacent_difference_implIS3_Lb0ELb0EPlS7_ZN2at6native12_GLOBAL__N_124unique_dim_cuda_templateIjEESt5tupleIJNS8_6TensorESD_SD_EERKSD_lbbbEUlllE1_EE10hipError_tPvRmT2_T3_mT4_P12ihipStream_tbEUlT_E_NS1_11comp_targetILNS1_3genE2ELNS1_11target_archE906ELNS1_3gpuE6ELNS1_3repE0EEENS1_30default_config_static_selectorELNS0_4arch9wavefront6targetE0EEEvT1_,@function
_ZN7rocprim17ROCPRIM_400000_NS6detail17trampoline_kernelINS0_14default_configENS1_35adjacent_difference_config_selectorILb0ElEEZNS1_24adjacent_difference_implIS3_Lb0ELb0EPlS7_ZN2at6native12_GLOBAL__N_124unique_dim_cuda_templateIjEESt5tupleIJNS8_6TensorESD_SD_EERKSD_lbbbEUlllE1_EE10hipError_tPvRmT2_T3_mT4_P12ihipStream_tbEUlT_E_NS1_11comp_targetILNS1_3genE2ELNS1_11target_archE906ELNS1_3gpuE6ELNS1_3repE0EEENS1_30default_config_static_selectorELNS0_4arch9wavefront6targetE0EEEvT1_: ; @_ZN7rocprim17ROCPRIM_400000_NS6detail17trampoline_kernelINS0_14default_configENS1_35adjacent_difference_config_selectorILb0ElEEZNS1_24adjacent_difference_implIS3_Lb0ELb0EPlS7_ZN2at6native12_GLOBAL__N_124unique_dim_cuda_templateIjEESt5tupleIJNS8_6TensorESD_SD_EERKSD_lbbbEUlllE1_EE10hipError_tPvRmT2_T3_mT4_P12ihipStream_tbEUlT_E_NS1_11comp_targetILNS1_3genE2ELNS1_11target_archE906ELNS1_3gpuE6ELNS1_3repE0EEENS1_30default_config_static_selectorELNS0_4arch9wavefront6targetE0EEEvT1_
; %bb.0:
	.section	.rodata,"a",@progbits
	.p2align	6, 0x0
	.amdhsa_kernel _ZN7rocprim17ROCPRIM_400000_NS6detail17trampoline_kernelINS0_14default_configENS1_35adjacent_difference_config_selectorILb0ElEEZNS1_24adjacent_difference_implIS3_Lb0ELb0EPlS7_ZN2at6native12_GLOBAL__N_124unique_dim_cuda_templateIjEESt5tupleIJNS8_6TensorESD_SD_EERKSD_lbbbEUlllE1_EE10hipError_tPvRmT2_T3_mT4_P12ihipStream_tbEUlT_E_NS1_11comp_targetILNS1_3genE2ELNS1_11target_archE906ELNS1_3gpuE6ELNS1_3repE0EEENS1_30default_config_static_selectorELNS0_4arch9wavefront6targetE0EEEvT1_
		.amdhsa_group_segment_fixed_size 0
		.amdhsa_private_segment_fixed_size 0
		.amdhsa_kernarg_size 64
		.amdhsa_user_sgpr_count 2
		.amdhsa_user_sgpr_dispatch_ptr 0
		.amdhsa_user_sgpr_queue_ptr 0
		.amdhsa_user_sgpr_kernarg_segment_ptr 1
		.amdhsa_user_sgpr_dispatch_id 0
		.amdhsa_user_sgpr_kernarg_preload_length 0
		.amdhsa_user_sgpr_kernarg_preload_offset 0
		.amdhsa_user_sgpr_private_segment_size 0
		.amdhsa_wavefront_size32 1
		.amdhsa_uses_dynamic_stack 0
		.amdhsa_enable_private_segment 0
		.amdhsa_system_sgpr_workgroup_id_x 1
		.amdhsa_system_sgpr_workgroup_id_y 0
		.amdhsa_system_sgpr_workgroup_id_z 0
		.amdhsa_system_sgpr_workgroup_info 0
		.amdhsa_system_vgpr_workitem_id 0
		.amdhsa_next_free_vgpr 1
		.amdhsa_next_free_sgpr 1
		.amdhsa_named_barrier_count 0
		.amdhsa_reserve_vcc 0
		.amdhsa_float_round_mode_32 0
		.amdhsa_float_round_mode_16_64 0
		.amdhsa_float_denorm_mode_32 3
		.amdhsa_float_denorm_mode_16_64 3
		.amdhsa_fp16_overflow 0
		.amdhsa_memory_ordered 1
		.amdhsa_forward_progress 1
		.amdhsa_inst_pref_size 0
		.amdhsa_round_robin_scheduling 0
		.amdhsa_exception_fp_ieee_invalid_op 0
		.amdhsa_exception_fp_denorm_src 0
		.amdhsa_exception_fp_ieee_div_zero 0
		.amdhsa_exception_fp_ieee_overflow 0
		.amdhsa_exception_fp_ieee_underflow 0
		.amdhsa_exception_fp_ieee_inexact 0
		.amdhsa_exception_int_div_zero 0
	.end_amdhsa_kernel
	.section	.text._ZN7rocprim17ROCPRIM_400000_NS6detail17trampoline_kernelINS0_14default_configENS1_35adjacent_difference_config_selectorILb0ElEEZNS1_24adjacent_difference_implIS3_Lb0ELb0EPlS7_ZN2at6native12_GLOBAL__N_124unique_dim_cuda_templateIjEESt5tupleIJNS8_6TensorESD_SD_EERKSD_lbbbEUlllE1_EE10hipError_tPvRmT2_T3_mT4_P12ihipStream_tbEUlT_E_NS1_11comp_targetILNS1_3genE2ELNS1_11target_archE906ELNS1_3gpuE6ELNS1_3repE0EEENS1_30default_config_static_selectorELNS0_4arch9wavefront6targetE0EEEvT1_,"axG",@progbits,_ZN7rocprim17ROCPRIM_400000_NS6detail17trampoline_kernelINS0_14default_configENS1_35adjacent_difference_config_selectorILb0ElEEZNS1_24adjacent_difference_implIS3_Lb0ELb0EPlS7_ZN2at6native12_GLOBAL__N_124unique_dim_cuda_templateIjEESt5tupleIJNS8_6TensorESD_SD_EERKSD_lbbbEUlllE1_EE10hipError_tPvRmT2_T3_mT4_P12ihipStream_tbEUlT_E_NS1_11comp_targetILNS1_3genE2ELNS1_11target_archE906ELNS1_3gpuE6ELNS1_3repE0EEENS1_30default_config_static_selectorELNS0_4arch9wavefront6targetE0EEEvT1_,comdat
.Lfunc_end1521:
	.size	_ZN7rocprim17ROCPRIM_400000_NS6detail17trampoline_kernelINS0_14default_configENS1_35adjacent_difference_config_selectorILb0ElEEZNS1_24adjacent_difference_implIS3_Lb0ELb0EPlS7_ZN2at6native12_GLOBAL__N_124unique_dim_cuda_templateIjEESt5tupleIJNS8_6TensorESD_SD_EERKSD_lbbbEUlllE1_EE10hipError_tPvRmT2_T3_mT4_P12ihipStream_tbEUlT_E_NS1_11comp_targetILNS1_3genE2ELNS1_11target_archE906ELNS1_3gpuE6ELNS1_3repE0EEENS1_30default_config_static_selectorELNS0_4arch9wavefront6targetE0EEEvT1_, .Lfunc_end1521-_ZN7rocprim17ROCPRIM_400000_NS6detail17trampoline_kernelINS0_14default_configENS1_35adjacent_difference_config_selectorILb0ElEEZNS1_24adjacent_difference_implIS3_Lb0ELb0EPlS7_ZN2at6native12_GLOBAL__N_124unique_dim_cuda_templateIjEESt5tupleIJNS8_6TensorESD_SD_EERKSD_lbbbEUlllE1_EE10hipError_tPvRmT2_T3_mT4_P12ihipStream_tbEUlT_E_NS1_11comp_targetILNS1_3genE2ELNS1_11target_archE906ELNS1_3gpuE6ELNS1_3repE0EEENS1_30default_config_static_selectorELNS0_4arch9wavefront6targetE0EEEvT1_
                                        ; -- End function
	.set _ZN7rocprim17ROCPRIM_400000_NS6detail17trampoline_kernelINS0_14default_configENS1_35adjacent_difference_config_selectorILb0ElEEZNS1_24adjacent_difference_implIS3_Lb0ELb0EPlS7_ZN2at6native12_GLOBAL__N_124unique_dim_cuda_templateIjEESt5tupleIJNS8_6TensorESD_SD_EERKSD_lbbbEUlllE1_EE10hipError_tPvRmT2_T3_mT4_P12ihipStream_tbEUlT_E_NS1_11comp_targetILNS1_3genE2ELNS1_11target_archE906ELNS1_3gpuE6ELNS1_3repE0EEENS1_30default_config_static_selectorELNS0_4arch9wavefront6targetE0EEEvT1_.num_vgpr, 0
	.set _ZN7rocprim17ROCPRIM_400000_NS6detail17trampoline_kernelINS0_14default_configENS1_35adjacent_difference_config_selectorILb0ElEEZNS1_24adjacent_difference_implIS3_Lb0ELb0EPlS7_ZN2at6native12_GLOBAL__N_124unique_dim_cuda_templateIjEESt5tupleIJNS8_6TensorESD_SD_EERKSD_lbbbEUlllE1_EE10hipError_tPvRmT2_T3_mT4_P12ihipStream_tbEUlT_E_NS1_11comp_targetILNS1_3genE2ELNS1_11target_archE906ELNS1_3gpuE6ELNS1_3repE0EEENS1_30default_config_static_selectorELNS0_4arch9wavefront6targetE0EEEvT1_.num_agpr, 0
	.set _ZN7rocprim17ROCPRIM_400000_NS6detail17trampoline_kernelINS0_14default_configENS1_35adjacent_difference_config_selectorILb0ElEEZNS1_24adjacent_difference_implIS3_Lb0ELb0EPlS7_ZN2at6native12_GLOBAL__N_124unique_dim_cuda_templateIjEESt5tupleIJNS8_6TensorESD_SD_EERKSD_lbbbEUlllE1_EE10hipError_tPvRmT2_T3_mT4_P12ihipStream_tbEUlT_E_NS1_11comp_targetILNS1_3genE2ELNS1_11target_archE906ELNS1_3gpuE6ELNS1_3repE0EEENS1_30default_config_static_selectorELNS0_4arch9wavefront6targetE0EEEvT1_.numbered_sgpr, 0
	.set _ZN7rocprim17ROCPRIM_400000_NS6detail17trampoline_kernelINS0_14default_configENS1_35adjacent_difference_config_selectorILb0ElEEZNS1_24adjacent_difference_implIS3_Lb0ELb0EPlS7_ZN2at6native12_GLOBAL__N_124unique_dim_cuda_templateIjEESt5tupleIJNS8_6TensorESD_SD_EERKSD_lbbbEUlllE1_EE10hipError_tPvRmT2_T3_mT4_P12ihipStream_tbEUlT_E_NS1_11comp_targetILNS1_3genE2ELNS1_11target_archE906ELNS1_3gpuE6ELNS1_3repE0EEENS1_30default_config_static_selectorELNS0_4arch9wavefront6targetE0EEEvT1_.num_named_barrier, 0
	.set _ZN7rocprim17ROCPRIM_400000_NS6detail17trampoline_kernelINS0_14default_configENS1_35adjacent_difference_config_selectorILb0ElEEZNS1_24adjacent_difference_implIS3_Lb0ELb0EPlS7_ZN2at6native12_GLOBAL__N_124unique_dim_cuda_templateIjEESt5tupleIJNS8_6TensorESD_SD_EERKSD_lbbbEUlllE1_EE10hipError_tPvRmT2_T3_mT4_P12ihipStream_tbEUlT_E_NS1_11comp_targetILNS1_3genE2ELNS1_11target_archE906ELNS1_3gpuE6ELNS1_3repE0EEENS1_30default_config_static_selectorELNS0_4arch9wavefront6targetE0EEEvT1_.private_seg_size, 0
	.set _ZN7rocprim17ROCPRIM_400000_NS6detail17trampoline_kernelINS0_14default_configENS1_35adjacent_difference_config_selectorILb0ElEEZNS1_24adjacent_difference_implIS3_Lb0ELb0EPlS7_ZN2at6native12_GLOBAL__N_124unique_dim_cuda_templateIjEESt5tupleIJNS8_6TensorESD_SD_EERKSD_lbbbEUlllE1_EE10hipError_tPvRmT2_T3_mT4_P12ihipStream_tbEUlT_E_NS1_11comp_targetILNS1_3genE2ELNS1_11target_archE906ELNS1_3gpuE6ELNS1_3repE0EEENS1_30default_config_static_selectorELNS0_4arch9wavefront6targetE0EEEvT1_.uses_vcc, 0
	.set _ZN7rocprim17ROCPRIM_400000_NS6detail17trampoline_kernelINS0_14default_configENS1_35adjacent_difference_config_selectorILb0ElEEZNS1_24adjacent_difference_implIS3_Lb0ELb0EPlS7_ZN2at6native12_GLOBAL__N_124unique_dim_cuda_templateIjEESt5tupleIJNS8_6TensorESD_SD_EERKSD_lbbbEUlllE1_EE10hipError_tPvRmT2_T3_mT4_P12ihipStream_tbEUlT_E_NS1_11comp_targetILNS1_3genE2ELNS1_11target_archE906ELNS1_3gpuE6ELNS1_3repE0EEENS1_30default_config_static_selectorELNS0_4arch9wavefront6targetE0EEEvT1_.uses_flat_scratch, 0
	.set _ZN7rocprim17ROCPRIM_400000_NS6detail17trampoline_kernelINS0_14default_configENS1_35adjacent_difference_config_selectorILb0ElEEZNS1_24adjacent_difference_implIS3_Lb0ELb0EPlS7_ZN2at6native12_GLOBAL__N_124unique_dim_cuda_templateIjEESt5tupleIJNS8_6TensorESD_SD_EERKSD_lbbbEUlllE1_EE10hipError_tPvRmT2_T3_mT4_P12ihipStream_tbEUlT_E_NS1_11comp_targetILNS1_3genE2ELNS1_11target_archE906ELNS1_3gpuE6ELNS1_3repE0EEENS1_30default_config_static_selectorELNS0_4arch9wavefront6targetE0EEEvT1_.has_dyn_sized_stack, 0
	.set _ZN7rocprim17ROCPRIM_400000_NS6detail17trampoline_kernelINS0_14default_configENS1_35adjacent_difference_config_selectorILb0ElEEZNS1_24adjacent_difference_implIS3_Lb0ELb0EPlS7_ZN2at6native12_GLOBAL__N_124unique_dim_cuda_templateIjEESt5tupleIJNS8_6TensorESD_SD_EERKSD_lbbbEUlllE1_EE10hipError_tPvRmT2_T3_mT4_P12ihipStream_tbEUlT_E_NS1_11comp_targetILNS1_3genE2ELNS1_11target_archE906ELNS1_3gpuE6ELNS1_3repE0EEENS1_30default_config_static_selectorELNS0_4arch9wavefront6targetE0EEEvT1_.has_recursion, 0
	.set _ZN7rocprim17ROCPRIM_400000_NS6detail17trampoline_kernelINS0_14default_configENS1_35adjacent_difference_config_selectorILb0ElEEZNS1_24adjacent_difference_implIS3_Lb0ELb0EPlS7_ZN2at6native12_GLOBAL__N_124unique_dim_cuda_templateIjEESt5tupleIJNS8_6TensorESD_SD_EERKSD_lbbbEUlllE1_EE10hipError_tPvRmT2_T3_mT4_P12ihipStream_tbEUlT_E_NS1_11comp_targetILNS1_3genE2ELNS1_11target_archE906ELNS1_3gpuE6ELNS1_3repE0EEENS1_30default_config_static_selectorELNS0_4arch9wavefront6targetE0EEEvT1_.has_indirect_call, 0
	.section	.AMDGPU.csdata,"",@progbits
; Kernel info:
; codeLenInByte = 0
; TotalNumSgprs: 0
; NumVgprs: 0
; ScratchSize: 0
; MemoryBound: 0
; FloatMode: 240
; IeeeMode: 1
; LDSByteSize: 0 bytes/workgroup (compile time only)
; SGPRBlocks: 0
; VGPRBlocks: 0
; NumSGPRsForWavesPerEU: 1
; NumVGPRsForWavesPerEU: 1
; NamedBarCnt: 0
; Occupancy: 16
; WaveLimiterHint : 0
; COMPUTE_PGM_RSRC2:SCRATCH_EN: 0
; COMPUTE_PGM_RSRC2:USER_SGPR: 2
; COMPUTE_PGM_RSRC2:TRAP_HANDLER: 0
; COMPUTE_PGM_RSRC2:TGID_X_EN: 1
; COMPUTE_PGM_RSRC2:TGID_Y_EN: 0
; COMPUTE_PGM_RSRC2:TGID_Z_EN: 0
; COMPUTE_PGM_RSRC2:TIDIG_COMP_CNT: 0
	.section	.text._ZN7rocprim17ROCPRIM_400000_NS6detail17trampoline_kernelINS0_14default_configENS1_35adjacent_difference_config_selectorILb0ElEEZNS1_24adjacent_difference_implIS3_Lb0ELb0EPlS7_ZN2at6native12_GLOBAL__N_124unique_dim_cuda_templateIjEESt5tupleIJNS8_6TensorESD_SD_EERKSD_lbbbEUlllE1_EE10hipError_tPvRmT2_T3_mT4_P12ihipStream_tbEUlT_E_NS1_11comp_targetILNS1_3genE9ELNS1_11target_archE1100ELNS1_3gpuE3ELNS1_3repE0EEENS1_30default_config_static_selectorELNS0_4arch9wavefront6targetE0EEEvT1_,"axG",@progbits,_ZN7rocprim17ROCPRIM_400000_NS6detail17trampoline_kernelINS0_14default_configENS1_35adjacent_difference_config_selectorILb0ElEEZNS1_24adjacent_difference_implIS3_Lb0ELb0EPlS7_ZN2at6native12_GLOBAL__N_124unique_dim_cuda_templateIjEESt5tupleIJNS8_6TensorESD_SD_EERKSD_lbbbEUlllE1_EE10hipError_tPvRmT2_T3_mT4_P12ihipStream_tbEUlT_E_NS1_11comp_targetILNS1_3genE9ELNS1_11target_archE1100ELNS1_3gpuE3ELNS1_3repE0EEENS1_30default_config_static_selectorELNS0_4arch9wavefront6targetE0EEEvT1_,comdat
	.globl	_ZN7rocprim17ROCPRIM_400000_NS6detail17trampoline_kernelINS0_14default_configENS1_35adjacent_difference_config_selectorILb0ElEEZNS1_24adjacent_difference_implIS3_Lb0ELb0EPlS7_ZN2at6native12_GLOBAL__N_124unique_dim_cuda_templateIjEESt5tupleIJNS8_6TensorESD_SD_EERKSD_lbbbEUlllE1_EE10hipError_tPvRmT2_T3_mT4_P12ihipStream_tbEUlT_E_NS1_11comp_targetILNS1_3genE9ELNS1_11target_archE1100ELNS1_3gpuE3ELNS1_3repE0EEENS1_30default_config_static_selectorELNS0_4arch9wavefront6targetE0EEEvT1_ ; -- Begin function _ZN7rocprim17ROCPRIM_400000_NS6detail17trampoline_kernelINS0_14default_configENS1_35adjacent_difference_config_selectorILb0ElEEZNS1_24adjacent_difference_implIS3_Lb0ELb0EPlS7_ZN2at6native12_GLOBAL__N_124unique_dim_cuda_templateIjEESt5tupleIJNS8_6TensorESD_SD_EERKSD_lbbbEUlllE1_EE10hipError_tPvRmT2_T3_mT4_P12ihipStream_tbEUlT_E_NS1_11comp_targetILNS1_3genE9ELNS1_11target_archE1100ELNS1_3gpuE3ELNS1_3repE0EEENS1_30default_config_static_selectorELNS0_4arch9wavefront6targetE0EEEvT1_
	.p2align	8
	.type	_ZN7rocprim17ROCPRIM_400000_NS6detail17trampoline_kernelINS0_14default_configENS1_35adjacent_difference_config_selectorILb0ElEEZNS1_24adjacent_difference_implIS3_Lb0ELb0EPlS7_ZN2at6native12_GLOBAL__N_124unique_dim_cuda_templateIjEESt5tupleIJNS8_6TensorESD_SD_EERKSD_lbbbEUlllE1_EE10hipError_tPvRmT2_T3_mT4_P12ihipStream_tbEUlT_E_NS1_11comp_targetILNS1_3genE9ELNS1_11target_archE1100ELNS1_3gpuE3ELNS1_3repE0EEENS1_30default_config_static_selectorELNS0_4arch9wavefront6targetE0EEEvT1_,@function
_ZN7rocprim17ROCPRIM_400000_NS6detail17trampoline_kernelINS0_14default_configENS1_35adjacent_difference_config_selectorILb0ElEEZNS1_24adjacent_difference_implIS3_Lb0ELb0EPlS7_ZN2at6native12_GLOBAL__N_124unique_dim_cuda_templateIjEESt5tupleIJNS8_6TensorESD_SD_EERKSD_lbbbEUlllE1_EE10hipError_tPvRmT2_T3_mT4_P12ihipStream_tbEUlT_E_NS1_11comp_targetILNS1_3genE9ELNS1_11target_archE1100ELNS1_3gpuE3ELNS1_3repE0EEENS1_30default_config_static_selectorELNS0_4arch9wavefront6targetE0EEEvT1_: ; @_ZN7rocprim17ROCPRIM_400000_NS6detail17trampoline_kernelINS0_14default_configENS1_35adjacent_difference_config_selectorILb0ElEEZNS1_24adjacent_difference_implIS3_Lb0ELb0EPlS7_ZN2at6native12_GLOBAL__N_124unique_dim_cuda_templateIjEESt5tupleIJNS8_6TensorESD_SD_EERKSD_lbbbEUlllE1_EE10hipError_tPvRmT2_T3_mT4_P12ihipStream_tbEUlT_E_NS1_11comp_targetILNS1_3genE9ELNS1_11target_archE1100ELNS1_3gpuE3ELNS1_3repE0EEENS1_30default_config_static_selectorELNS0_4arch9wavefront6targetE0EEEvT1_
; %bb.0:
	.section	.rodata,"a",@progbits
	.p2align	6, 0x0
	.amdhsa_kernel _ZN7rocprim17ROCPRIM_400000_NS6detail17trampoline_kernelINS0_14default_configENS1_35adjacent_difference_config_selectorILb0ElEEZNS1_24adjacent_difference_implIS3_Lb0ELb0EPlS7_ZN2at6native12_GLOBAL__N_124unique_dim_cuda_templateIjEESt5tupleIJNS8_6TensorESD_SD_EERKSD_lbbbEUlllE1_EE10hipError_tPvRmT2_T3_mT4_P12ihipStream_tbEUlT_E_NS1_11comp_targetILNS1_3genE9ELNS1_11target_archE1100ELNS1_3gpuE3ELNS1_3repE0EEENS1_30default_config_static_selectorELNS0_4arch9wavefront6targetE0EEEvT1_
		.amdhsa_group_segment_fixed_size 0
		.amdhsa_private_segment_fixed_size 0
		.amdhsa_kernarg_size 64
		.amdhsa_user_sgpr_count 2
		.amdhsa_user_sgpr_dispatch_ptr 0
		.amdhsa_user_sgpr_queue_ptr 0
		.amdhsa_user_sgpr_kernarg_segment_ptr 1
		.amdhsa_user_sgpr_dispatch_id 0
		.amdhsa_user_sgpr_kernarg_preload_length 0
		.amdhsa_user_sgpr_kernarg_preload_offset 0
		.amdhsa_user_sgpr_private_segment_size 0
		.amdhsa_wavefront_size32 1
		.amdhsa_uses_dynamic_stack 0
		.amdhsa_enable_private_segment 0
		.amdhsa_system_sgpr_workgroup_id_x 1
		.amdhsa_system_sgpr_workgroup_id_y 0
		.amdhsa_system_sgpr_workgroup_id_z 0
		.amdhsa_system_sgpr_workgroup_info 0
		.amdhsa_system_vgpr_workitem_id 0
		.amdhsa_next_free_vgpr 1
		.amdhsa_next_free_sgpr 1
		.amdhsa_named_barrier_count 0
		.amdhsa_reserve_vcc 0
		.amdhsa_float_round_mode_32 0
		.amdhsa_float_round_mode_16_64 0
		.amdhsa_float_denorm_mode_32 3
		.amdhsa_float_denorm_mode_16_64 3
		.amdhsa_fp16_overflow 0
		.amdhsa_memory_ordered 1
		.amdhsa_forward_progress 1
		.amdhsa_inst_pref_size 0
		.amdhsa_round_robin_scheduling 0
		.amdhsa_exception_fp_ieee_invalid_op 0
		.amdhsa_exception_fp_denorm_src 0
		.amdhsa_exception_fp_ieee_div_zero 0
		.amdhsa_exception_fp_ieee_overflow 0
		.amdhsa_exception_fp_ieee_underflow 0
		.amdhsa_exception_fp_ieee_inexact 0
		.amdhsa_exception_int_div_zero 0
	.end_amdhsa_kernel
	.section	.text._ZN7rocprim17ROCPRIM_400000_NS6detail17trampoline_kernelINS0_14default_configENS1_35adjacent_difference_config_selectorILb0ElEEZNS1_24adjacent_difference_implIS3_Lb0ELb0EPlS7_ZN2at6native12_GLOBAL__N_124unique_dim_cuda_templateIjEESt5tupleIJNS8_6TensorESD_SD_EERKSD_lbbbEUlllE1_EE10hipError_tPvRmT2_T3_mT4_P12ihipStream_tbEUlT_E_NS1_11comp_targetILNS1_3genE9ELNS1_11target_archE1100ELNS1_3gpuE3ELNS1_3repE0EEENS1_30default_config_static_selectorELNS0_4arch9wavefront6targetE0EEEvT1_,"axG",@progbits,_ZN7rocprim17ROCPRIM_400000_NS6detail17trampoline_kernelINS0_14default_configENS1_35adjacent_difference_config_selectorILb0ElEEZNS1_24adjacent_difference_implIS3_Lb0ELb0EPlS7_ZN2at6native12_GLOBAL__N_124unique_dim_cuda_templateIjEESt5tupleIJNS8_6TensorESD_SD_EERKSD_lbbbEUlllE1_EE10hipError_tPvRmT2_T3_mT4_P12ihipStream_tbEUlT_E_NS1_11comp_targetILNS1_3genE9ELNS1_11target_archE1100ELNS1_3gpuE3ELNS1_3repE0EEENS1_30default_config_static_selectorELNS0_4arch9wavefront6targetE0EEEvT1_,comdat
.Lfunc_end1522:
	.size	_ZN7rocprim17ROCPRIM_400000_NS6detail17trampoline_kernelINS0_14default_configENS1_35adjacent_difference_config_selectorILb0ElEEZNS1_24adjacent_difference_implIS3_Lb0ELb0EPlS7_ZN2at6native12_GLOBAL__N_124unique_dim_cuda_templateIjEESt5tupleIJNS8_6TensorESD_SD_EERKSD_lbbbEUlllE1_EE10hipError_tPvRmT2_T3_mT4_P12ihipStream_tbEUlT_E_NS1_11comp_targetILNS1_3genE9ELNS1_11target_archE1100ELNS1_3gpuE3ELNS1_3repE0EEENS1_30default_config_static_selectorELNS0_4arch9wavefront6targetE0EEEvT1_, .Lfunc_end1522-_ZN7rocprim17ROCPRIM_400000_NS6detail17trampoline_kernelINS0_14default_configENS1_35adjacent_difference_config_selectorILb0ElEEZNS1_24adjacent_difference_implIS3_Lb0ELb0EPlS7_ZN2at6native12_GLOBAL__N_124unique_dim_cuda_templateIjEESt5tupleIJNS8_6TensorESD_SD_EERKSD_lbbbEUlllE1_EE10hipError_tPvRmT2_T3_mT4_P12ihipStream_tbEUlT_E_NS1_11comp_targetILNS1_3genE9ELNS1_11target_archE1100ELNS1_3gpuE3ELNS1_3repE0EEENS1_30default_config_static_selectorELNS0_4arch9wavefront6targetE0EEEvT1_
                                        ; -- End function
	.set _ZN7rocprim17ROCPRIM_400000_NS6detail17trampoline_kernelINS0_14default_configENS1_35adjacent_difference_config_selectorILb0ElEEZNS1_24adjacent_difference_implIS3_Lb0ELb0EPlS7_ZN2at6native12_GLOBAL__N_124unique_dim_cuda_templateIjEESt5tupleIJNS8_6TensorESD_SD_EERKSD_lbbbEUlllE1_EE10hipError_tPvRmT2_T3_mT4_P12ihipStream_tbEUlT_E_NS1_11comp_targetILNS1_3genE9ELNS1_11target_archE1100ELNS1_3gpuE3ELNS1_3repE0EEENS1_30default_config_static_selectorELNS0_4arch9wavefront6targetE0EEEvT1_.num_vgpr, 0
	.set _ZN7rocprim17ROCPRIM_400000_NS6detail17trampoline_kernelINS0_14default_configENS1_35adjacent_difference_config_selectorILb0ElEEZNS1_24adjacent_difference_implIS3_Lb0ELb0EPlS7_ZN2at6native12_GLOBAL__N_124unique_dim_cuda_templateIjEESt5tupleIJNS8_6TensorESD_SD_EERKSD_lbbbEUlllE1_EE10hipError_tPvRmT2_T3_mT4_P12ihipStream_tbEUlT_E_NS1_11comp_targetILNS1_3genE9ELNS1_11target_archE1100ELNS1_3gpuE3ELNS1_3repE0EEENS1_30default_config_static_selectorELNS0_4arch9wavefront6targetE0EEEvT1_.num_agpr, 0
	.set _ZN7rocprim17ROCPRIM_400000_NS6detail17trampoline_kernelINS0_14default_configENS1_35adjacent_difference_config_selectorILb0ElEEZNS1_24adjacent_difference_implIS3_Lb0ELb0EPlS7_ZN2at6native12_GLOBAL__N_124unique_dim_cuda_templateIjEESt5tupleIJNS8_6TensorESD_SD_EERKSD_lbbbEUlllE1_EE10hipError_tPvRmT2_T3_mT4_P12ihipStream_tbEUlT_E_NS1_11comp_targetILNS1_3genE9ELNS1_11target_archE1100ELNS1_3gpuE3ELNS1_3repE0EEENS1_30default_config_static_selectorELNS0_4arch9wavefront6targetE0EEEvT1_.numbered_sgpr, 0
	.set _ZN7rocprim17ROCPRIM_400000_NS6detail17trampoline_kernelINS0_14default_configENS1_35adjacent_difference_config_selectorILb0ElEEZNS1_24adjacent_difference_implIS3_Lb0ELb0EPlS7_ZN2at6native12_GLOBAL__N_124unique_dim_cuda_templateIjEESt5tupleIJNS8_6TensorESD_SD_EERKSD_lbbbEUlllE1_EE10hipError_tPvRmT2_T3_mT4_P12ihipStream_tbEUlT_E_NS1_11comp_targetILNS1_3genE9ELNS1_11target_archE1100ELNS1_3gpuE3ELNS1_3repE0EEENS1_30default_config_static_selectorELNS0_4arch9wavefront6targetE0EEEvT1_.num_named_barrier, 0
	.set _ZN7rocprim17ROCPRIM_400000_NS6detail17trampoline_kernelINS0_14default_configENS1_35adjacent_difference_config_selectorILb0ElEEZNS1_24adjacent_difference_implIS3_Lb0ELb0EPlS7_ZN2at6native12_GLOBAL__N_124unique_dim_cuda_templateIjEESt5tupleIJNS8_6TensorESD_SD_EERKSD_lbbbEUlllE1_EE10hipError_tPvRmT2_T3_mT4_P12ihipStream_tbEUlT_E_NS1_11comp_targetILNS1_3genE9ELNS1_11target_archE1100ELNS1_3gpuE3ELNS1_3repE0EEENS1_30default_config_static_selectorELNS0_4arch9wavefront6targetE0EEEvT1_.private_seg_size, 0
	.set _ZN7rocprim17ROCPRIM_400000_NS6detail17trampoline_kernelINS0_14default_configENS1_35adjacent_difference_config_selectorILb0ElEEZNS1_24adjacent_difference_implIS3_Lb0ELb0EPlS7_ZN2at6native12_GLOBAL__N_124unique_dim_cuda_templateIjEESt5tupleIJNS8_6TensorESD_SD_EERKSD_lbbbEUlllE1_EE10hipError_tPvRmT2_T3_mT4_P12ihipStream_tbEUlT_E_NS1_11comp_targetILNS1_3genE9ELNS1_11target_archE1100ELNS1_3gpuE3ELNS1_3repE0EEENS1_30default_config_static_selectorELNS0_4arch9wavefront6targetE0EEEvT1_.uses_vcc, 0
	.set _ZN7rocprim17ROCPRIM_400000_NS6detail17trampoline_kernelINS0_14default_configENS1_35adjacent_difference_config_selectorILb0ElEEZNS1_24adjacent_difference_implIS3_Lb0ELb0EPlS7_ZN2at6native12_GLOBAL__N_124unique_dim_cuda_templateIjEESt5tupleIJNS8_6TensorESD_SD_EERKSD_lbbbEUlllE1_EE10hipError_tPvRmT2_T3_mT4_P12ihipStream_tbEUlT_E_NS1_11comp_targetILNS1_3genE9ELNS1_11target_archE1100ELNS1_3gpuE3ELNS1_3repE0EEENS1_30default_config_static_selectorELNS0_4arch9wavefront6targetE0EEEvT1_.uses_flat_scratch, 0
	.set _ZN7rocprim17ROCPRIM_400000_NS6detail17trampoline_kernelINS0_14default_configENS1_35adjacent_difference_config_selectorILb0ElEEZNS1_24adjacent_difference_implIS3_Lb0ELb0EPlS7_ZN2at6native12_GLOBAL__N_124unique_dim_cuda_templateIjEESt5tupleIJNS8_6TensorESD_SD_EERKSD_lbbbEUlllE1_EE10hipError_tPvRmT2_T3_mT4_P12ihipStream_tbEUlT_E_NS1_11comp_targetILNS1_3genE9ELNS1_11target_archE1100ELNS1_3gpuE3ELNS1_3repE0EEENS1_30default_config_static_selectorELNS0_4arch9wavefront6targetE0EEEvT1_.has_dyn_sized_stack, 0
	.set _ZN7rocprim17ROCPRIM_400000_NS6detail17trampoline_kernelINS0_14default_configENS1_35adjacent_difference_config_selectorILb0ElEEZNS1_24adjacent_difference_implIS3_Lb0ELb0EPlS7_ZN2at6native12_GLOBAL__N_124unique_dim_cuda_templateIjEESt5tupleIJNS8_6TensorESD_SD_EERKSD_lbbbEUlllE1_EE10hipError_tPvRmT2_T3_mT4_P12ihipStream_tbEUlT_E_NS1_11comp_targetILNS1_3genE9ELNS1_11target_archE1100ELNS1_3gpuE3ELNS1_3repE0EEENS1_30default_config_static_selectorELNS0_4arch9wavefront6targetE0EEEvT1_.has_recursion, 0
	.set _ZN7rocprim17ROCPRIM_400000_NS6detail17trampoline_kernelINS0_14default_configENS1_35adjacent_difference_config_selectorILb0ElEEZNS1_24adjacent_difference_implIS3_Lb0ELb0EPlS7_ZN2at6native12_GLOBAL__N_124unique_dim_cuda_templateIjEESt5tupleIJNS8_6TensorESD_SD_EERKSD_lbbbEUlllE1_EE10hipError_tPvRmT2_T3_mT4_P12ihipStream_tbEUlT_E_NS1_11comp_targetILNS1_3genE9ELNS1_11target_archE1100ELNS1_3gpuE3ELNS1_3repE0EEENS1_30default_config_static_selectorELNS0_4arch9wavefront6targetE0EEEvT1_.has_indirect_call, 0
	.section	.AMDGPU.csdata,"",@progbits
; Kernel info:
; codeLenInByte = 0
; TotalNumSgprs: 0
; NumVgprs: 0
; ScratchSize: 0
; MemoryBound: 0
; FloatMode: 240
; IeeeMode: 1
; LDSByteSize: 0 bytes/workgroup (compile time only)
; SGPRBlocks: 0
; VGPRBlocks: 0
; NumSGPRsForWavesPerEU: 1
; NumVGPRsForWavesPerEU: 1
; NamedBarCnt: 0
; Occupancy: 16
; WaveLimiterHint : 0
; COMPUTE_PGM_RSRC2:SCRATCH_EN: 0
; COMPUTE_PGM_RSRC2:USER_SGPR: 2
; COMPUTE_PGM_RSRC2:TRAP_HANDLER: 0
; COMPUTE_PGM_RSRC2:TGID_X_EN: 1
; COMPUTE_PGM_RSRC2:TGID_Y_EN: 0
; COMPUTE_PGM_RSRC2:TGID_Z_EN: 0
; COMPUTE_PGM_RSRC2:TIDIG_COMP_CNT: 0
	.section	.text._ZN7rocprim17ROCPRIM_400000_NS6detail17trampoline_kernelINS0_14default_configENS1_35adjacent_difference_config_selectorILb0ElEEZNS1_24adjacent_difference_implIS3_Lb0ELb0EPlS7_ZN2at6native12_GLOBAL__N_124unique_dim_cuda_templateIjEESt5tupleIJNS8_6TensorESD_SD_EERKSD_lbbbEUlllE1_EE10hipError_tPvRmT2_T3_mT4_P12ihipStream_tbEUlT_E_NS1_11comp_targetILNS1_3genE8ELNS1_11target_archE1030ELNS1_3gpuE2ELNS1_3repE0EEENS1_30default_config_static_selectorELNS0_4arch9wavefront6targetE0EEEvT1_,"axG",@progbits,_ZN7rocprim17ROCPRIM_400000_NS6detail17trampoline_kernelINS0_14default_configENS1_35adjacent_difference_config_selectorILb0ElEEZNS1_24adjacent_difference_implIS3_Lb0ELb0EPlS7_ZN2at6native12_GLOBAL__N_124unique_dim_cuda_templateIjEESt5tupleIJNS8_6TensorESD_SD_EERKSD_lbbbEUlllE1_EE10hipError_tPvRmT2_T3_mT4_P12ihipStream_tbEUlT_E_NS1_11comp_targetILNS1_3genE8ELNS1_11target_archE1030ELNS1_3gpuE2ELNS1_3repE0EEENS1_30default_config_static_selectorELNS0_4arch9wavefront6targetE0EEEvT1_,comdat
	.globl	_ZN7rocprim17ROCPRIM_400000_NS6detail17trampoline_kernelINS0_14default_configENS1_35adjacent_difference_config_selectorILb0ElEEZNS1_24adjacent_difference_implIS3_Lb0ELb0EPlS7_ZN2at6native12_GLOBAL__N_124unique_dim_cuda_templateIjEESt5tupleIJNS8_6TensorESD_SD_EERKSD_lbbbEUlllE1_EE10hipError_tPvRmT2_T3_mT4_P12ihipStream_tbEUlT_E_NS1_11comp_targetILNS1_3genE8ELNS1_11target_archE1030ELNS1_3gpuE2ELNS1_3repE0EEENS1_30default_config_static_selectorELNS0_4arch9wavefront6targetE0EEEvT1_ ; -- Begin function _ZN7rocprim17ROCPRIM_400000_NS6detail17trampoline_kernelINS0_14default_configENS1_35adjacent_difference_config_selectorILb0ElEEZNS1_24adjacent_difference_implIS3_Lb0ELb0EPlS7_ZN2at6native12_GLOBAL__N_124unique_dim_cuda_templateIjEESt5tupleIJNS8_6TensorESD_SD_EERKSD_lbbbEUlllE1_EE10hipError_tPvRmT2_T3_mT4_P12ihipStream_tbEUlT_E_NS1_11comp_targetILNS1_3genE8ELNS1_11target_archE1030ELNS1_3gpuE2ELNS1_3repE0EEENS1_30default_config_static_selectorELNS0_4arch9wavefront6targetE0EEEvT1_
	.p2align	8
	.type	_ZN7rocprim17ROCPRIM_400000_NS6detail17trampoline_kernelINS0_14default_configENS1_35adjacent_difference_config_selectorILb0ElEEZNS1_24adjacent_difference_implIS3_Lb0ELb0EPlS7_ZN2at6native12_GLOBAL__N_124unique_dim_cuda_templateIjEESt5tupleIJNS8_6TensorESD_SD_EERKSD_lbbbEUlllE1_EE10hipError_tPvRmT2_T3_mT4_P12ihipStream_tbEUlT_E_NS1_11comp_targetILNS1_3genE8ELNS1_11target_archE1030ELNS1_3gpuE2ELNS1_3repE0EEENS1_30default_config_static_selectorELNS0_4arch9wavefront6targetE0EEEvT1_,@function
_ZN7rocprim17ROCPRIM_400000_NS6detail17trampoline_kernelINS0_14default_configENS1_35adjacent_difference_config_selectorILb0ElEEZNS1_24adjacent_difference_implIS3_Lb0ELb0EPlS7_ZN2at6native12_GLOBAL__N_124unique_dim_cuda_templateIjEESt5tupleIJNS8_6TensorESD_SD_EERKSD_lbbbEUlllE1_EE10hipError_tPvRmT2_T3_mT4_P12ihipStream_tbEUlT_E_NS1_11comp_targetILNS1_3genE8ELNS1_11target_archE1030ELNS1_3gpuE2ELNS1_3repE0EEENS1_30default_config_static_selectorELNS0_4arch9wavefront6targetE0EEEvT1_: ; @_ZN7rocprim17ROCPRIM_400000_NS6detail17trampoline_kernelINS0_14default_configENS1_35adjacent_difference_config_selectorILb0ElEEZNS1_24adjacent_difference_implIS3_Lb0ELb0EPlS7_ZN2at6native12_GLOBAL__N_124unique_dim_cuda_templateIjEESt5tupleIJNS8_6TensorESD_SD_EERKSD_lbbbEUlllE1_EE10hipError_tPvRmT2_T3_mT4_P12ihipStream_tbEUlT_E_NS1_11comp_targetILNS1_3genE8ELNS1_11target_archE1030ELNS1_3gpuE2ELNS1_3repE0EEENS1_30default_config_static_selectorELNS0_4arch9wavefront6targetE0EEEvT1_
; %bb.0:
	.section	.rodata,"a",@progbits
	.p2align	6, 0x0
	.amdhsa_kernel _ZN7rocprim17ROCPRIM_400000_NS6detail17trampoline_kernelINS0_14default_configENS1_35adjacent_difference_config_selectorILb0ElEEZNS1_24adjacent_difference_implIS3_Lb0ELb0EPlS7_ZN2at6native12_GLOBAL__N_124unique_dim_cuda_templateIjEESt5tupleIJNS8_6TensorESD_SD_EERKSD_lbbbEUlllE1_EE10hipError_tPvRmT2_T3_mT4_P12ihipStream_tbEUlT_E_NS1_11comp_targetILNS1_3genE8ELNS1_11target_archE1030ELNS1_3gpuE2ELNS1_3repE0EEENS1_30default_config_static_selectorELNS0_4arch9wavefront6targetE0EEEvT1_
		.amdhsa_group_segment_fixed_size 0
		.amdhsa_private_segment_fixed_size 0
		.amdhsa_kernarg_size 64
		.amdhsa_user_sgpr_count 2
		.amdhsa_user_sgpr_dispatch_ptr 0
		.amdhsa_user_sgpr_queue_ptr 0
		.amdhsa_user_sgpr_kernarg_segment_ptr 1
		.amdhsa_user_sgpr_dispatch_id 0
		.amdhsa_user_sgpr_kernarg_preload_length 0
		.amdhsa_user_sgpr_kernarg_preload_offset 0
		.amdhsa_user_sgpr_private_segment_size 0
		.amdhsa_wavefront_size32 1
		.amdhsa_uses_dynamic_stack 0
		.amdhsa_enable_private_segment 0
		.amdhsa_system_sgpr_workgroup_id_x 1
		.amdhsa_system_sgpr_workgroup_id_y 0
		.amdhsa_system_sgpr_workgroup_id_z 0
		.amdhsa_system_sgpr_workgroup_info 0
		.amdhsa_system_vgpr_workitem_id 0
		.amdhsa_next_free_vgpr 1
		.amdhsa_next_free_sgpr 1
		.amdhsa_named_barrier_count 0
		.amdhsa_reserve_vcc 0
		.amdhsa_float_round_mode_32 0
		.amdhsa_float_round_mode_16_64 0
		.amdhsa_float_denorm_mode_32 3
		.amdhsa_float_denorm_mode_16_64 3
		.amdhsa_fp16_overflow 0
		.amdhsa_memory_ordered 1
		.amdhsa_forward_progress 1
		.amdhsa_inst_pref_size 0
		.amdhsa_round_robin_scheduling 0
		.amdhsa_exception_fp_ieee_invalid_op 0
		.amdhsa_exception_fp_denorm_src 0
		.amdhsa_exception_fp_ieee_div_zero 0
		.amdhsa_exception_fp_ieee_overflow 0
		.amdhsa_exception_fp_ieee_underflow 0
		.amdhsa_exception_fp_ieee_inexact 0
		.amdhsa_exception_int_div_zero 0
	.end_amdhsa_kernel
	.section	.text._ZN7rocprim17ROCPRIM_400000_NS6detail17trampoline_kernelINS0_14default_configENS1_35adjacent_difference_config_selectorILb0ElEEZNS1_24adjacent_difference_implIS3_Lb0ELb0EPlS7_ZN2at6native12_GLOBAL__N_124unique_dim_cuda_templateIjEESt5tupleIJNS8_6TensorESD_SD_EERKSD_lbbbEUlllE1_EE10hipError_tPvRmT2_T3_mT4_P12ihipStream_tbEUlT_E_NS1_11comp_targetILNS1_3genE8ELNS1_11target_archE1030ELNS1_3gpuE2ELNS1_3repE0EEENS1_30default_config_static_selectorELNS0_4arch9wavefront6targetE0EEEvT1_,"axG",@progbits,_ZN7rocprim17ROCPRIM_400000_NS6detail17trampoline_kernelINS0_14default_configENS1_35adjacent_difference_config_selectorILb0ElEEZNS1_24adjacent_difference_implIS3_Lb0ELb0EPlS7_ZN2at6native12_GLOBAL__N_124unique_dim_cuda_templateIjEESt5tupleIJNS8_6TensorESD_SD_EERKSD_lbbbEUlllE1_EE10hipError_tPvRmT2_T3_mT4_P12ihipStream_tbEUlT_E_NS1_11comp_targetILNS1_3genE8ELNS1_11target_archE1030ELNS1_3gpuE2ELNS1_3repE0EEENS1_30default_config_static_selectorELNS0_4arch9wavefront6targetE0EEEvT1_,comdat
.Lfunc_end1523:
	.size	_ZN7rocprim17ROCPRIM_400000_NS6detail17trampoline_kernelINS0_14default_configENS1_35adjacent_difference_config_selectorILb0ElEEZNS1_24adjacent_difference_implIS3_Lb0ELb0EPlS7_ZN2at6native12_GLOBAL__N_124unique_dim_cuda_templateIjEESt5tupleIJNS8_6TensorESD_SD_EERKSD_lbbbEUlllE1_EE10hipError_tPvRmT2_T3_mT4_P12ihipStream_tbEUlT_E_NS1_11comp_targetILNS1_3genE8ELNS1_11target_archE1030ELNS1_3gpuE2ELNS1_3repE0EEENS1_30default_config_static_selectorELNS0_4arch9wavefront6targetE0EEEvT1_, .Lfunc_end1523-_ZN7rocprim17ROCPRIM_400000_NS6detail17trampoline_kernelINS0_14default_configENS1_35adjacent_difference_config_selectorILb0ElEEZNS1_24adjacent_difference_implIS3_Lb0ELb0EPlS7_ZN2at6native12_GLOBAL__N_124unique_dim_cuda_templateIjEESt5tupleIJNS8_6TensorESD_SD_EERKSD_lbbbEUlllE1_EE10hipError_tPvRmT2_T3_mT4_P12ihipStream_tbEUlT_E_NS1_11comp_targetILNS1_3genE8ELNS1_11target_archE1030ELNS1_3gpuE2ELNS1_3repE0EEENS1_30default_config_static_selectorELNS0_4arch9wavefront6targetE0EEEvT1_
                                        ; -- End function
	.set _ZN7rocprim17ROCPRIM_400000_NS6detail17trampoline_kernelINS0_14default_configENS1_35adjacent_difference_config_selectorILb0ElEEZNS1_24adjacent_difference_implIS3_Lb0ELb0EPlS7_ZN2at6native12_GLOBAL__N_124unique_dim_cuda_templateIjEESt5tupleIJNS8_6TensorESD_SD_EERKSD_lbbbEUlllE1_EE10hipError_tPvRmT2_T3_mT4_P12ihipStream_tbEUlT_E_NS1_11comp_targetILNS1_3genE8ELNS1_11target_archE1030ELNS1_3gpuE2ELNS1_3repE0EEENS1_30default_config_static_selectorELNS0_4arch9wavefront6targetE0EEEvT1_.num_vgpr, 0
	.set _ZN7rocprim17ROCPRIM_400000_NS6detail17trampoline_kernelINS0_14default_configENS1_35adjacent_difference_config_selectorILb0ElEEZNS1_24adjacent_difference_implIS3_Lb0ELb0EPlS7_ZN2at6native12_GLOBAL__N_124unique_dim_cuda_templateIjEESt5tupleIJNS8_6TensorESD_SD_EERKSD_lbbbEUlllE1_EE10hipError_tPvRmT2_T3_mT4_P12ihipStream_tbEUlT_E_NS1_11comp_targetILNS1_3genE8ELNS1_11target_archE1030ELNS1_3gpuE2ELNS1_3repE0EEENS1_30default_config_static_selectorELNS0_4arch9wavefront6targetE0EEEvT1_.num_agpr, 0
	.set _ZN7rocprim17ROCPRIM_400000_NS6detail17trampoline_kernelINS0_14default_configENS1_35adjacent_difference_config_selectorILb0ElEEZNS1_24adjacent_difference_implIS3_Lb0ELb0EPlS7_ZN2at6native12_GLOBAL__N_124unique_dim_cuda_templateIjEESt5tupleIJNS8_6TensorESD_SD_EERKSD_lbbbEUlllE1_EE10hipError_tPvRmT2_T3_mT4_P12ihipStream_tbEUlT_E_NS1_11comp_targetILNS1_3genE8ELNS1_11target_archE1030ELNS1_3gpuE2ELNS1_3repE0EEENS1_30default_config_static_selectorELNS0_4arch9wavefront6targetE0EEEvT1_.numbered_sgpr, 0
	.set _ZN7rocprim17ROCPRIM_400000_NS6detail17trampoline_kernelINS0_14default_configENS1_35adjacent_difference_config_selectorILb0ElEEZNS1_24adjacent_difference_implIS3_Lb0ELb0EPlS7_ZN2at6native12_GLOBAL__N_124unique_dim_cuda_templateIjEESt5tupleIJNS8_6TensorESD_SD_EERKSD_lbbbEUlllE1_EE10hipError_tPvRmT2_T3_mT4_P12ihipStream_tbEUlT_E_NS1_11comp_targetILNS1_3genE8ELNS1_11target_archE1030ELNS1_3gpuE2ELNS1_3repE0EEENS1_30default_config_static_selectorELNS0_4arch9wavefront6targetE0EEEvT1_.num_named_barrier, 0
	.set _ZN7rocprim17ROCPRIM_400000_NS6detail17trampoline_kernelINS0_14default_configENS1_35adjacent_difference_config_selectorILb0ElEEZNS1_24adjacent_difference_implIS3_Lb0ELb0EPlS7_ZN2at6native12_GLOBAL__N_124unique_dim_cuda_templateIjEESt5tupleIJNS8_6TensorESD_SD_EERKSD_lbbbEUlllE1_EE10hipError_tPvRmT2_T3_mT4_P12ihipStream_tbEUlT_E_NS1_11comp_targetILNS1_3genE8ELNS1_11target_archE1030ELNS1_3gpuE2ELNS1_3repE0EEENS1_30default_config_static_selectorELNS0_4arch9wavefront6targetE0EEEvT1_.private_seg_size, 0
	.set _ZN7rocprim17ROCPRIM_400000_NS6detail17trampoline_kernelINS0_14default_configENS1_35adjacent_difference_config_selectorILb0ElEEZNS1_24adjacent_difference_implIS3_Lb0ELb0EPlS7_ZN2at6native12_GLOBAL__N_124unique_dim_cuda_templateIjEESt5tupleIJNS8_6TensorESD_SD_EERKSD_lbbbEUlllE1_EE10hipError_tPvRmT2_T3_mT4_P12ihipStream_tbEUlT_E_NS1_11comp_targetILNS1_3genE8ELNS1_11target_archE1030ELNS1_3gpuE2ELNS1_3repE0EEENS1_30default_config_static_selectorELNS0_4arch9wavefront6targetE0EEEvT1_.uses_vcc, 0
	.set _ZN7rocprim17ROCPRIM_400000_NS6detail17trampoline_kernelINS0_14default_configENS1_35adjacent_difference_config_selectorILb0ElEEZNS1_24adjacent_difference_implIS3_Lb0ELb0EPlS7_ZN2at6native12_GLOBAL__N_124unique_dim_cuda_templateIjEESt5tupleIJNS8_6TensorESD_SD_EERKSD_lbbbEUlllE1_EE10hipError_tPvRmT2_T3_mT4_P12ihipStream_tbEUlT_E_NS1_11comp_targetILNS1_3genE8ELNS1_11target_archE1030ELNS1_3gpuE2ELNS1_3repE0EEENS1_30default_config_static_selectorELNS0_4arch9wavefront6targetE0EEEvT1_.uses_flat_scratch, 0
	.set _ZN7rocprim17ROCPRIM_400000_NS6detail17trampoline_kernelINS0_14default_configENS1_35adjacent_difference_config_selectorILb0ElEEZNS1_24adjacent_difference_implIS3_Lb0ELb0EPlS7_ZN2at6native12_GLOBAL__N_124unique_dim_cuda_templateIjEESt5tupleIJNS8_6TensorESD_SD_EERKSD_lbbbEUlllE1_EE10hipError_tPvRmT2_T3_mT4_P12ihipStream_tbEUlT_E_NS1_11comp_targetILNS1_3genE8ELNS1_11target_archE1030ELNS1_3gpuE2ELNS1_3repE0EEENS1_30default_config_static_selectorELNS0_4arch9wavefront6targetE0EEEvT1_.has_dyn_sized_stack, 0
	.set _ZN7rocprim17ROCPRIM_400000_NS6detail17trampoline_kernelINS0_14default_configENS1_35adjacent_difference_config_selectorILb0ElEEZNS1_24adjacent_difference_implIS3_Lb0ELb0EPlS7_ZN2at6native12_GLOBAL__N_124unique_dim_cuda_templateIjEESt5tupleIJNS8_6TensorESD_SD_EERKSD_lbbbEUlllE1_EE10hipError_tPvRmT2_T3_mT4_P12ihipStream_tbEUlT_E_NS1_11comp_targetILNS1_3genE8ELNS1_11target_archE1030ELNS1_3gpuE2ELNS1_3repE0EEENS1_30default_config_static_selectorELNS0_4arch9wavefront6targetE0EEEvT1_.has_recursion, 0
	.set _ZN7rocprim17ROCPRIM_400000_NS6detail17trampoline_kernelINS0_14default_configENS1_35adjacent_difference_config_selectorILb0ElEEZNS1_24adjacent_difference_implIS3_Lb0ELb0EPlS7_ZN2at6native12_GLOBAL__N_124unique_dim_cuda_templateIjEESt5tupleIJNS8_6TensorESD_SD_EERKSD_lbbbEUlllE1_EE10hipError_tPvRmT2_T3_mT4_P12ihipStream_tbEUlT_E_NS1_11comp_targetILNS1_3genE8ELNS1_11target_archE1030ELNS1_3gpuE2ELNS1_3repE0EEENS1_30default_config_static_selectorELNS0_4arch9wavefront6targetE0EEEvT1_.has_indirect_call, 0
	.section	.AMDGPU.csdata,"",@progbits
; Kernel info:
; codeLenInByte = 0
; TotalNumSgprs: 0
; NumVgprs: 0
; ScratchSize: 0
; MemoryBound: 0
; FloatMode: 240
; IeeeMode: 1
; LDSByteSize: 0 bytes/workgroup (compile time only)
; SGPRBlocks: 0
; VGPRBlocks: 0
; NumSGPRsForWavesPerEU: 1
; NumVGPRsForWavesPerEU: 1
; NamedBarCnt: 0
; Occupancy: 16
; WaveLimiterHint : 0
; COMPUTE_PGM_RSRC2:SCRATCH_EN: 0
; COMPUTE_PGM_RSRC2:USER_SGPR: 2
; COMPUTE_PGM_RSRC2:TRAP_HANDLER: 0
; COMPUTE_PGM_RSRC2:TGID_X_EN: 1
; COMPUTE_PGM_RSRC2:TGID_Y_EN: 0
; COMPUTE_PGM_RSRC2:TGID_Z_EN: 0
; COMPUTE_PGM_RSRC2:TIDIG_COMP_CNT: 0
	.section	.text._ZN7rocprim17ROCPRIM_400000_NS6detail17trampoline_kernelINS0_14default_configENS1_25transform_config_selectorIlLb0EEEZNS1_14transform_implILb0ES3_S5_NS0_18transform_iteratorINS0_17counting_iteratorImlEEZNS1_24adjacent_difference_implIS3_Lb1ELb0EPlSB_ZN2at6native12_GLOBAL__N_124unique_dim_cuda_templateIjEESt5tupleIJNSC_6TensorESH_SH_EERKSH_lbbbEUlllE1_EE10hipError_tPvRmT2_T3_mT4_P12ihipStream_tbEUlmE_lEESB_NS0_8identityIvEEEESM_SP_SQ_mSR_ST_bEUlT_E_NS1_11comp_targetILNS1_3genE0ELNS1_11target_archE4294967295ELNS1_3gpuE0ELNS1_3repE0EEENS1_30default_config_static_selectorELNS0_4arch9wavefront6targetE0EEEvT1_,"axG",@progbits,_ZN7rocprim17ROCPRIM_400000_NS6detail17trampoline_kernelINS0_14default_configENS1_25transform_config_selectorIlLb0EEEZNS1_14transform_implILb0ES3_S5_NS0_18transform_iteratorINS0_17counting_iteratorImlEEZNS1_24adjacent_difference_implIS3_Lb1ELb0EPlSB_ZN2at6native12_GLOBAL__N_124unique_dim_cuda_templateIjEESt5tupleIJNSC_6TensorESH_SH_EERKSH_lbbbEUlllE1_EE10hipError_tPvRmT2_T3_mT4_P12ihipStream_tbEUlmE_lEESB_NS0_8identityIvEEEESM_SP_SQ_mSR_ST_bEUlT_E_NS1_11comp_targetILNS1_3genE0ELNS1_11target_archE4294967295ELNS1_3gpuE0ELNS1_3repE0EEENS1_30default_config_static_selectorELNS0_4arch9wavefront6targetE0EEEvT1_,comdat
	.globl	_ZN7rocprim17ROCPRIM_400000_NS6detail17trampoline_kernelINS0_14default_configENS1_25transform_config_selectorIlLb0EEEZNS1_14transform_implILb0ES3_S5_NS0_18transform_iteratorINS0_17counting_iteratorImlEEZNS1_24adjacent_difference_implIS3_Lb1ELb0EPlSB_ZN2at6native12_GLOBAL__N_124unique_dim_cuda_templateIjEESt5tupleIJNSC_6TensorESH_SH_EERKSH_lbbbEUlllE1_EE10hipError_tPvRmT2_T3_mT4_P12ihipStream_tbEUlmE_lEESB_NS0_8identityIvEEEESM_SP_SQ_mSR_ST_bEUlT_E_NS1_11comp_targetILNS1_3genE0ELNS1_11target_archE4294967295ELNS1_3gpuE0ELNS1_3repE0EEENS1_30default_config_static_selectorELNS0_4arch9wavefront6targetE0EEEvT1_ ; -- Begin function _ZN7rocprim17ROCPRIM_400000_NS6detail17trampoline_kernelINS0_14default_configENS1_25transform_config_selectorIlLb0EEEZNS1_14transform_implILb0ES3_S5_NS0_18transform_iteratorINS0_17counting_iteratorImlEEZNS1_24adjacent_difference_implIS3_Lb1ELb0EPlSB_ZN2at6native12_GLOBAL__N_124unique_dim_cuda_templateIjEESt5tupleIJNSC_6TensorESH_SH_EERKSH_lbbbEUlllE1_EE10hipError_tPvRmT2_T3_mT4_P12ihipStream_tbEUlmE_lEESB_NS0_8identityIvEEEESM_SP_SQ_mSR_ST_bEUlT_E_NS1_11comp_targetILNS1_3genE0ELNS1_11target_archE4294967295ELNS1_3gpuE0ELNS1_3repE0EEENS1_30default_config_static_selectorELNS0_4arch9wavefront6targetE0EEEvT1_
	.p2align	8
	.type	_ZN7rocprim17ROCPRIM_400000_NS6detail17trampoline_kernelINS0_14default_configENS1_25transform_config_selectorIlLb0EEEZNS1_14transform_implILb0ES3_S5_NS0_18transform_iteratorINS0_17counting_iteratorImlEEZNS1_24adjacent_difference_implIS3_Lb1ELb0EPlSB_ZN2at6native12_GLOBAL__N_124unique_dim_cuda_templateIjEESt5tupleIJNSC_6TensorESH_SH_EERKSH_lbbbEUlllE1_EE10hipError_tPvRmT2_T3_mT4_P12ihipStream_tbEUlmE_lEESB_NS0_8identityIvEEEESM_SP_SQ_mSR_ST_bEUlT_E_NS1_11comp_targetILNS1_3genE0ELNS1_11target_archE4294967295ELNS1_3gpuE0ELNS1_3repE0EEENS1_30default_config_static_selectorELNS0_4arch9wavefront6targetE0EEEvT1_,@function
_ZN7rocprim17ROCPRIM_400000_NS6detail17trampoline_kernelINS0_14default_configENS1_25transform_config_selectorIlLb0EEEZNS1_14transform_implILb0ES3_S5_NS0_18transform_iteratorINS0_17counting_iteratorImlEEZNS1_24adjacent_difference_implIS3_Lb1ELb0EPlSB_ZN2at6native12_GLOBAL__N_124unique_dim_cuda_templateIjEESt5tupleIJNSC_6TensorESH_SH_EERKSH_lbbbEUlllE1_EE10hipError_tPvRmT2_T3_mT4_P12ihipStream_tbEUlmE_lEESB_NS0_8identityIvEEEESM_SP_SQ_mSR_ST_bEUlT_E_NS1_11comp_targetILNS1_3genE0ELNS1_11target_archE4294967295ELNS1_3gpuE0ELNS1_3repE0EEENS1_30default_config_static_selectorELNS0_4arch9wavefront6targetE0EEEvT1_: ; @_ZN7rocprim17ROCPRIM_400000_NS6detail17trampoline_kernelINS0_14default_configENS1_25transform_config_selectorIlLb0EEEZNS1_14transform_implILb0ES3_S5_NS0_18transform_iteratorINS0_17counting_iteratorImlEEZNS1_24adjacent_difference_implIS3_Lb1ELb0EPlSB_ZN2at6native12_GLOBAL__N_124unique_dim_cuda_templateIjEESt5tupleIJNSC_6TensorESH_SH_EERKSH_lbbbEUlllE1_EE10hipError_tPvRmT2_T3_mT4_P12ihipStream_tbEUlmE_lEESB_NS0_8identityIvEEEESM_SP_SQ_mSR_ST_bEUlT_E_NS1_11comp_targetILNS1_3genE0ELNS1_11target_archE4294967295ELNS1_3gpuE0ELNS1_3repE0EEENS1_30default_config_static_selectorELNS0_4arch9wavefront6targetE0EEEvT1_
; %bb.0:
	s_clause 0x1
	s_load_b32 s2, s[0:1], 0x38
	s_load_b32 s3, s[0:1], 0x20
	s_bfe_u32 s4, ttmp6, 0x4000c
	s_and_b32 s5, ttmp6, 15
	s_add_co_i32 s4, s4, 1
	s_getreg_b32 s6, hwreg(HW_REG_IB_STS2, 6, 4)
	s_mul_i32 s4, ttmp9, s4
	s_delay_alu instid0(SALU_CYCLE_1)
	s_add_co_i32 s5, s5, s4
	s_cmp_eq_u32 s6, 0
	s_cselect_b32 s4, ttmp9, s5
	s_wait_kmcnt 0x0
	s_add_co_i32 s5, s2, -1
	s_lshl_b32 s2, s4, 7
	s_cmp_lg_u32 s4, s5
	s_cselect_b32 s4, -1, 0
	s_sub_co_i32 s3, s3, s2
	s_delay_alu instid0(SALU_CYCLE_1) | instskip(SKIP_2) | instid1(SALU_CYCLE_1)
	v_cmp_gt_u32_e32 vcc_lo, s3, v0
	s_mov_b32 s3, 0
	s_or_b32 s4, s4, vcc_lo
	s_and_saveexec_b32 s5, s4
	s_cbranch_execz .LBB1524_2
; %bb.1:
	s_clause 0x3
	s_load_b64 s[8:9], s[0:1], 0x18
	s_load_b128 s[4:7], s[0:1], 0x0
	s_load_b32 s10, s[0:1], 0x10
	s_load_b64 s[12:13], s[0:1], 0x28
	v_mov_b32_e32 v1, 0
	s_mov_b32 s11, s3
	s_wait_kmcnt 0x0
	s_add_nc_u64 s[0:1], s[4:5], s[8:9]
	s_delay_alu instid0(SALU_CYCLE_1) | instskip(SKIP_3) | instid1(SALU_CYCLE_1)
	s_add_nc_u64 s[0:1], s[0:1], s[2:3]
	s_lshl_b64 s[2:3], s[2:3], 3
	v_add_nc_u64_e32 v[2:3], s[0:1], v[0:1]
	s_lshl_b64 s[0:1], s[8:9], 3
	s_add_nc_u64 s[0:1], s[12:13], s[0:1]
	s_delay_alu instid0(SALU_CYCLE_1) | instskip(NEXT) | instid1(VALU_DEP_1)
	s_add_nc_u64 s[0:1], s[0:1], s[2:3]
	v_mul_u64_e32 v[2:3], s[10:11], v[2:3]
	s_delay_alu instid0(VALU_DEP_1)
	v_lshl_add_u64 v[2:3], v[2:3], 3, s[6:7]
	global_load_b64 v[2:3], v[2:3], off
	s_wait_loadcnt 0x0
	global_store_b64 v0, v[2:3], s[0:1] scale_offset
.LBB1524_2:
	s_endpgm
	.section	.rodata,"a",@progbits
	.p2align	6, 0x0
	.amdhsa_kernel _ZN7rocprim17ROCPRIM_400000_NS6detail17trampoline_kernelINS0_14default_configENS1_25transform_config_selectorIlLb0EEEZNS1_14transform_implILb0ES3_S5_NS0_18transform_iteratorINS0_17counting_iteratorImlEEZNS1_24adjacent_difference_implIS3_Lb1ELb0EPlSB_ZN2at6native12_GLOBAL__N_124unique_dim_cuda_templateIjEESt5tupleIJNSC_6TensorESH_SH_EERKSH_lbbbEUlllE1_EE10hipError_tPvRmT2_T3_mT4_P12ihipStream_tbEUlmE_lEESB_NS0_8identityIvEEEESM_SP_SQ_mSR_ST_bEUlT_E_NS1_11comp_targetILNS1_3genE0ELNS1_11target_archE4294967295ELNS1_3gpuE0ELNS1_3repE0EEENS1_30default_config_static_selectorELNS0_4arch9wavefront6targetE0EEEvT1_
		.amdhsa_group_segment_fixed_size 0
		.amdhsa_private_segment_fixed_size 0
		.amdhsa_kernarg_size 312
		.amdhsa_user_sgpr_count 2
		.amdhsa_user_sgpr_dispatch_ptr 0
		.amdhsa_user_sgpr_queue_ptr 0
		.amdhsa_user_sgpr_kernarg_segment_ptr 1
		.amdhsa_user_sgpr_dispatch_id 0
		.amdhsa_user_sgpr_kernarg_preload_length 0
		.amdhsa_user_sgpr_kernarg_preload_offset 0
		.amdhsa_user_sgpr_private_segment_size 0
		.amdhsa_wavefront_size32 1
		.amdhsa_uses_dynamic_stack 0
		.amdhsa_enable_private_segment 0
		.amdhsa_system_sgpr_workgroup_id_x 1
		.amdhsa_system_sgpr_workgroup_id_y 0
		.amdhsa_system_sgpr_workgroup_id_z 0
		.amdhsa_system_sgpr_workgroup_info 0
		.amdhsa_system_vgpr_workitem_id 0
		.amdhsa_next_free_vgpr 4
		.amdhsa_next_free_sgpr 14
		.amdhsa_named_barrier_count 0
		.amdhsa_reserve_vcc 1
		.amdhsa_float_round_mode_32 0
		.amdhsa_float_round_mode_16_64 0
		.amdhsa_float_denorm_mode_32 3
		.amdhsa_float_denorm_mode_16_64 3
		.amdhsa_fp16_overflow 0
		.amdhsa_memory_ordered 1
		.amdhsa_forward_progress 1
		.amdhsa_inst_pref_size 2
		.amdhsa_round_robin_scheduling 0
		.amdhsa_exception_fp_ieee_invalid_op 0
		.amdhsa_exception_fp_denorm_src 0
		.amdhsa_exception_fp_ieee_div_zero 0
		.amdhsa_exception_fp_ieee_overflow 0
		.amdhsa_exception_fp_ieee_underflow 0
		.amdhsa_exception_fp_ieee_inexact 0
		.amdhsa_exception_int_div_zero 0
	.end_amdhsa_kernel
	.section	.text._ZN7rocprim17ROCPRIM_400000_NS6detail17trampoline_kernelINS0_14default_configENS1_25transform_config_selectorIlLb0EEEZNS1_14transform_implILb0ES3_S5_NS0_18transform_iteratorINS0_17counting_iteratorImlEEZNS1_24adjacent_difference_implIS3_Lb1ELb0EPlSB_ZN2at6native12_GLOBAL__N_124unique_dim_cuda_templateIjEESt5tupleIJNSC_6TensorESH_SH_EERKSH_lbbbEUlllE1_EE10hipError_tPvRmT2_T3_mT4_P12ihipStream_tbEUlmE_lEESB_NS0_8identityIvEEEESM_SP_SQ_mSR_ST_bEUlT_E_NS1_11comp_targetILNS1_3genE0ELNS1_11target_archE4294967295ELNS1_3gpuE0ELNS1_3repE0EEENS1_30default_config_static_selectorELNS0_4arch9wavefront6targetE0EEEvT1_,"axG",@progbits,_ZN7rocprim17ROCPRIM_400000_NS6detail17trampoline_kernelINS0_14default_configENS1_25transform_config_selectorIlLb0EEEZNS1_14transform_implILb0ES3_S5_NS0_18transform_iteratorINS0_17counting_iteratorImlEEZNS1_24adjacent_difference_implIS3_Lb1ELb0EPlSB_ZN2at6native12_GLOBAL__N_124unique_dim_cuda_templateIjEESt5tupleIJNSC_6TensorESH_SH_EERKSH_lbbbEUlllE1_EE10hipError_tPvRmT2_T3_mT4_P12ihipStream_tbEUlmE_lEESB_NS0_8identityIvEEEESM_SP_SQ_mSR_ST_bEUlT_E_NS1_11comp_targetILNS1_3genE0ELNS1_11target_archE4294967295ELNS1_3gpuE0ELNS1_3repE0EEENS1_30default_config_static_selectorELNS0_4arch9wavefront6targetE0EEEvT1_,comdat
.Lfunc_end1524:
	.size	_ZN7rocprim17ROCPRIM_400000_NS6detail17trampoline_kernelINS0_14default_configENS1_25transform_config_selectorIlLb0EEEZNS1_14transform_implILb0ES3_S5_NS0_18transform_iteratorINS0_17counting_iteratorImlEEZNS1_24adjacent_difference_implIS3_Lb1ELb0EPlSB_ZN2at6native12_GLOBAL__N_124unique_dim_cuda_templateIjEESt5tupleIJNSC_6TensorESH_SH_EERKSH_lbbbEUlllE1_EE10hipError_tPvRmT2_T3_mT4_P12ihipStream_tbEUlmE_lEESB_NS0_8identityIvEEEESM_SP_SQ_mSR_ST_bEUlT_E_NS1_11comp_targetILNS1_3genE0ELNS1_11target_archE4294967295ELNS1_3gpuE0ELNS1_3repE0EEENS1_30default_config_static_selectorELNS0_4arch9wavefront6targetE0EEEvT1_, .Lfunc_end1524-_ZN7rocprim17ROCPRIM_400000_NS6detail17trampoline_kernelINS0_14default_configENS1_25transform_config_selectorIlLb0EEEZNS1_14transform_implILb0ES3_S5_NS0_18transform_iteratorINS0_17counting_iteratorImlEEZNS1_24adjacent_difference_implIS3_Lb1ELb0EPlSB_ZN2at6native12_GLOBAL__N_124unique_dim_cuda_templateIjEESt5tupleIJNSC_6TensorESH_SH_EERKSH_lbbbEUlllE1_EE10hipError_tPvRmT2_T3_mT4_P12ihipStream_tbEUlmE_lEESB_NS0_8identityIvEEEESM_SP_SQ_mSR_ST_bEUlT_E_NS1_11comp_targetILNS1_3genE0ELNS1_11target_archE4294967295ELNS1_3gpuE0ELNS1_3repE0EEENS1_30default_config_static_selectorELNS0_4arch9wavefront6targetE0EEEvT1_
                                        ; -- End function
	.set _ZN7rocprim17ROCPRIM_400000_NS6detail17trampoline_kernelINS0_14default_configENS1_25transform_config_selectorIlLb0EEEZNS1_14transform_implILb0ES3_S5_NS0_18transform_iteratorINS0_17counting_iteratorImlEEZNS1_24adjacent_difference_implIS3_Lb1ELb0EPlSB_ZN2at6native12_GLOBAL__N_124unique_dim_cuda_templateIjEESt5tupleIJNSC_6TensorESH_SH_EERKSH_lbbbEUlllE1_EE10hipError_tPvRmT2_T3_mT4_P12ihipStream_tbEUlmE_lEESB_NS0_8identityIvEEEESM_SP_SQ_mSR_ST_bEUlT_E_NS1_11comp_targetILNS1_3genE0ELNS1_11target_archE4294967295ELNS1_3gpuE0ELNS1_3repE0EEENS1_30default_config_static_selectorELNS0_4arch9wavefront6targetE0EEEvT1_.num_vgpr, 4
	.set _ZN7rocprim17ROCPRIM_400000_NS6detail17trampoline_kernelINS0_14default_configENS1_25transform_config_selectorIlLb0EEEZNS1_14transform_implILb0ES3_S5_NS0_18transform_iteratorINS0_17counting_iteratorImlEEZNS1_24adjacent_difference_implIS3_Lb1ELb0EPlSB_ZN2at6native12_GLOBAL__N_124unique_dim_cuda_templateIjEESt5tupleIJNSC_6TensorESH_SH_EERKSH_lbbbEUlllE1_EE10hipError_tPvRmT2_T3_mT4_P12ihipStream_tbEUlmE_lEESB_NS0_8identityIvEEEESM_SP_SQ_mSR_ST_bEUlT_E_NS1_11comp_targetILNS1_3genE0ELNS1_11target_archE4294967295ELNS1_3gpuE0ELNS1_3repE0EEENS1_30default_config_static_selectorELNS0_4arch9wavefront6targetE0EEEvT1_.num_agpr, 0
	.set _ZN7rocprim17ROCPRIM_400000_NS6detail17trampoline_kernelINS0_14default_configENS1_25transform_config_selectorIlLb0EEEZNS1_14transform_implILb0ES3_S5_NS0_18transform_iteratorINS0_17counting_iteratorImlEEZNS1_24adjacent_difference_implIS3_Lb1ELb0EPlSB_ZN2at6native12_GLOBAL__N_124unique_dim_cuda_templateIjEESt5tupleIJNSC_6TensorESH_SH_EERKSH_lbbbEUlllE1_EE10hipError_tPvRmT2_T3_mT4_P12ihipStream_tbEUlmE_lEESB_NS0_8identityIvEEEESM_SP_SQ_mSR_ST_bEUlT_E_NS1_11comp_targetILNS1_3genE0ELNS1_11target_archE4294967295ELNS1_3gpuE0ELNS1_3repE0EEENS1_30default_config_static_selectorELNS0_4arch9wavefront6targetE0EEEvT1_.numbered_sgpr, 14
	.set _ZN7rocprim17ROCPRIM_400000_NS6detail17trampoline_kernelINS0_14default_configENS1_25transform_config_selectorIlLb0EEEZNS1_14transform_implILb0ES3_S5_NS0_18transform_iteratorINS0_17counting_iteratorImlEEZNS1_24adjacent_difference_implIS3_Lb1ELb0EPlSB_ZN2at6native12_GLOBAL__N_124unique_dim_cuda_templateIjEESt5tupleIJNSC_6TensorESH_SH_EERKSH_lbbbEUlllE1_EE10hipError_tPvRmT2_T3_mT4_P12ihipStream_tbEUlmE_lEESB_NS0_8identityIvEEEESM_SP_SQ_mSR_ST_bEUlT_E_NS1_11comp_targetILNS1_3genE0ELNS1_11target_archE4294967295ELNS1_3gpuE0ELNS1_3repE0EEENS1_30default_config_static_selectorELNS0_4arch9wavefront6targetE0EEEvT1_.num_named_barrier, 0
	.set _ZN7rocprim17ROCPRIM_400000_NS6detail17trampoline_kernelINS0_14default_configENS1_25transform_config_selectorIlLb0EEEZNS1_14transform_implILb0ES3_S5_NS0_18transform_iteratorINS0_17counting_iteratorImlEEZNS1_24adjacent_difference_implIS3_Lb1ELb0EPlSB_ZN2at6native12_GLOBAL__N_124unique_dim_cuda_templateIjEESt5tupleIJNSC_6TensorESH_SH_EERKSH_lbbbEUlllE1_EE10hipError_tPvRmT2_T3_mT4_P12ihipStream_tbEUlmE_lEESB_NS0_8identityIvEEEESM_SP_SQ_mSR_ST_bEUlT_E_NS1_11comp_targetILNS1_3genE0ELNS1_11target_archE4294967295ELNS1_3gpuE0ELNS1_3repE0EEENS1_30default_config_static_selectorELNS0_4arch9wavefront6targetE0EEEvT1_.private_seg_size, 0
	.set _ZN7rocprim17ROCPRIM_400000_NS6detail17trampoline_kernelINS0_14default_configENS1_25transform_config_selectorIlLb0EEEZNS1_14transform_implILb0ES3_S5_NS0_18transform_iteratorINS0_17counting_iteratorImlEEZNS1_24adjacent_difference_implIS3_Lb1ELb0EPlSB_ZN2at6native12_GLOBAL__N_124unique_dim_cuda_templateIjEESt5tupleIJNSC_6TensorESH_SH_EERKSH_lbbbEUlllE1_EE10hipError_tPvRmT2_T3_mT4_P12ihipStream_tbEUlmE_lEESB_NS0_8identityIvEEEESM_SP_SQ_mSR_ST_bEUlT_E_NS1_11comp_targetILNS1_3genE0ELNS1_11target_archE4294967295ELNS1_3gpuE0ELNS1_3repE0EEENS1_30default_config_static_selectorELNS0_4arch9wavefront6targetE0EEEvT1_.uses_vcc, 1
	.set _ZN7rocprim17ROCPRIM_400000_NS6detail17trampoline_kernelINS0_14default_configENS1_25transform_config_selectorIlLb0EEEZNS1_14transform_implILb0ES3_S5_NS0_18transform_iteratorINS0_17counting_iteratorImlEEZNS1_24adjacent_difference_implIS3_Lb1ELb0EPlSB_ZN2at6native12_GLOBAL__N_124unique_dim_cuda_templateIjEESt5tupleIJNSC_6TensorESH_SH_EERKSH_lbbbEUlllE1_EE10hipError_tPvRmT2_T3_mT4_P12ihipStream_tbEUlmE_lEESB_NS0_8identityIvEEEESM_SP_SQ_mSR_ST_bEUlT_E_NS1_11comp_targetILNS1_3genE0ELNS1_11target_archE4294967295ELNS1_3gpuE0ELNS1_3repE0EEENS1_30default_config_static_selectorELNS0_4arch9wavefront6targetE0EEEvT1_.uses_flat_scratch, 0
	.set _ZN7rocprim17ROCPRIM_400000_NS6detail17trampoline_kernelINS0_14default_configENS1_25transform_config_selectorIlLb0EEEZNS1_14transform_implILb0ES3_S5_NS0_18transform_iteratorINS0_17counting_iteratorImlEEZNS1_24adjacent_difference_implIS3_Lb1ELb0EPlSB_ZN2at6native12_GLOBAL__N_124unique_dim_cuda_templateIjEESt5tupleIJNSC_6TensorESH_SH_EERKSH_lbbbEUlllE1_EE10hipError_tPvRmT2_T3_mT4_P12ihipStream_tbEUlmE_lEESB_NS0_8identityIvEEEESM_SP_SQ_mSR_ST_bEUlT_E_NS1_11comp_targetILNS1_3genE0ELNS1_11target_archE4294967295ELNS1_3gpuE0ELNS1_3repE0EEENS1_30default_config_static_selectorELNS0_4arch9wavefront6targetE0EEEvT1_.has_dyn_sized_stack, 0
	.set _ZN7rocprim17ROCPRIM_400000_NS6detail17trampoline_kernelINS0_14default_configENS1_25transform_config_selectorIlLb0EEEZNS1_14transform_implILb0ES3_S5_NS0_18transform_iteratorINS0_17counting_iteratorImlEEZNS1_24adjacent_difference_implIS3_Lb1ELb0EPlSB_ZN2at6native12_GLOBAL__N_124unique_dim_cuda_templateIjEESt5tupleIJNSC_6TensorESH_SH_EERKSH_lbbbEUlllE1_EE10hipError_tPvRmT2_T3_mT4_P12ihipStream_tbEUlmE_lEESB_NS0_8identityIvEEEESM_SP_SQ_mSR_ST_bEUlT_E_NS1_11comp_targetILNS1_3genE0ELNS1_11target_archE4294967295ELNS1_3gpuE0ELNS1_3repE0EEENS1_30default_config_static_selectorELNS0_4arch9wavefront6targetE0EEEvT1_.has_recursion, 0
	.set _ZN7rocprim17ROCPRIM_400000_NS6detail17trampoline_kernelINS0_14default_configENS1_25transform_config_selectorIlLb0EEEZNS1_14transform_implILb0ES3_S5_NS0_18transform_iteratorINS0_17counting_iteratorImlEEZNS1_24adjacent_difference_implIS3_Lb1ELb0EPlSB_ZN2at6native12_GLOBAL__N_124unique_dim_cuda_templateIjEESt5tupleIJNSC_6TensorESH_SH_EERKSH_lbbbEUlllE1_EE10hipError_tPvRmT2_T3_mT4_P12ihipStream_tbEUlmE_lEESB_NS0_8identityIvEEEESM_SP_SQ_mSR_ST_bEUlT_E_NS1_11comp_targetILNS1_3genE0ELNS1_11target_archE4294967295ELNS1_3gpuE0ELNS1_3repE0EEENS1_30default_config_static_selectorELNS0_4arch9wavefront6targetE0EEEvT1_.has_indirect_call, 0
	.section	.AMDGPU.csdata,"",@progbits
; Kernel info:
; codeLenInByte = 240
; TotalNumSgprs: 16
; NumVgprs: 4
; ScratchSize: 0
; MemoryBound: 0
; FloatMode: 240
; IeeeMode: 1
; LDSByteSize: 0 bytes/workgroup (compile time only)
; SGPRBlocks: 0
; VGPRBlocks: 0
; NumSGPRsForWavesPerEU: 16
; NumVGPRsForWavesPerEU: 4
; NamedBarCnt: 0
; Occupancy: 16
; WaveLimiterHint : 0
; COMPUTE_PGM_RSRC2:SCRATCH_EN: 0
; COMPUTE_PGM_RSRC2:USER_SGPR: 2
; COMPUTE_PGM_RSRC2:TRAP_HANDLER: 0
; COMPUTE_PGM_RSRC2:TGID_X_EN: 1
; COMPUTE_PGM_RSRC2:TGID_Y_EN: 0
; COMPUTE_PGM_RSRC2:TGID_Z_EN: 0
; COMPUTE_PGM_RSRC2:TIDIG_COMP_CNT: 0
	.section	.text._ZN7rocprim17ROCPRIM_400000_NS6detail17trampoline_kernelINS0_14default_configENS1_25transform_config_selectorIlLb0EEEZNS1_14transform_implILb0ES3_S5_NS0_18transform_iteratorINS0_17counting_iteratorImlEEZNS1_24adjacent_difference_implIS3_Lb1ELb0EPlSB_ZN2at6native12_GLOBAL__N_124unique_dim_cuda_templateIjEESt5tupleIJNSC_6TensorESH_SH_EERKSH_lbbbEUlllE1_EE10hipError_tPvRmT2_T3_mT4_P12ihipStream_tbEUlmE_lEESB_NS0_8identityIvEEEESM_SP_SQ_mSR_ST_bEUlT_E_NS1_11comp_targetILNS1_3genE5ELNS1_11target_archE942ELNS1_3gpuE9ELNS1_3repE0EEENS1_30default_config_static_selectorELNS0_4arch9wavefront6targetE0EEEvT1_,"axG",@progbits,_ZN7rocprim17ROCPRIM_400000_NS6detail17trampoline_kernelINS0_14default_configENS1_25transform_config_selectorIlLb0EEEZNS1_14transform_implILb0ES3_S5_NS0_18transform_iteratorINS0_17counting_iteratorImlEEZNS1_24adjacent_difference_implIS3_Lb1ELb0EPlSB_ZN2at6native12_GLOBAL__N_124unique_dim_cuda_templateIjEESt5tupleIJNSC_6TensorESH_SH_EERKSH_lbbbEUlllE1_EE10hipError_tPvRmT2_T3_mT4_P12ihipStream_tbEUlmE_lEESB_NS0_8identityIvEEEESM_SP_SQ_mSR_ST_bEUlT_E_NS1_11comp_targetILNS1_3genE5ELNS1_11target_archE942ELNS1_3gpuE9ELNS1_3repE0EEENS1_30default_config_static_selectorELNS0_4arch9wavefront6targetE0EEEvT1_,comdat
	.globl	_ZN7rocprim17ROCPRIM_400000_NS6detail17trampoline_kernelINS0_14default_configENS1_25transform_config_selectorIlLb0EEEZNS1_14transform_implILb0ES3_S5_NS0_18transform_iteratorINS0_17counting_iteratorImlEEZNS1_24adjacent_difference_implIS3_Lb1ELb0EPlSB_ZN2at6native12_GLOBAL__N_124unique_dim_cuda_templateIjEESt5tupleIJNSC_6TensorESH_SH_EERKSH_lbbbEUlllE1_EE10hipError_tPvRmT2_T3_mT4_P12ihipStream_tbEUlmE_lEESB_NS0_8identityIvEEEESM_SP_SQ_mSR_ST_bEUlT_E_NS1_11comp_targetILNS1_3genE5ELNS1_11target_archE942ELNS1_3gpuE9ELNS1_3repE0EEENS1_30default_config_static_selectorELNS0_4arch9wavefront6targetE0EEEvT1_ ; -- Begin function _ZN7rocprim17ROCPRIM_400000_NS6detail17trampoline_kernelINS0_14default_configENS1_25transform_config_selectorIlLb0EEEZNS1_14transform_implILb0ES3_S5_NS0_18transform_iteratorINS0_17counting_iteratorImlEEZNS1_24adjacent_difference_implIS3_Lb1ELb0EPlSB_ZN2at6native12_GLOBAL__N_124unique_dim_cuda_templateIjEESt5tupleIJNSC_6TensorESH_SH_EERKSH_lbbbEUlllE1_EE10hipError_tPvRmT2_T3_mT4_P12ihipStream_tbEUlmE_lEESB_NS0_8identityIvEEEESM_SP_SQ_mSR_ST_bEUlT_E_NS1_11comp_targetILNS1_3genE5ELNS1_11target_archE942ELNS1_3gpuE9ELNS1_3repE0EEENS1_30default_config_static_selectorELNS0_4arch9wavefront6targetE0EEEvT1_
	.p2align	8
	.type	_ZN7rocprim17ROCPRIM_400000_NS6detail17trampoline_kernelINS0_14default_configENS1_25transform_config_selectorIlLb0EEEZNS1_14transform_implILb0ES3_S5_NS0_18transform_iteratorINS0_17counting_iteratorImlEEZNS1_24adjacent_difference_implIS3_Lb1ELb0EPlSB_ZN2at6native12_GLOBAL__N_124unique_dim_cuda_templateIjEESt5tupleIJNSC_6TensorESH_SH_EERKSH_lbbbEUlllE1_EE10hipError_tPvRmT2_T3_mT4_P12ihipStream_tbEUlmE_lEESB_NS0_8identityIvEEEESM_SP_SQ_mSR_ST_bEUlT_E_NS1_11comp_targetILNS1_3genE5ELNS1_11target_archE942ELNS1_3gpuE9ELNS1_3repE0EEENS1_30default_config_static_selectorELNS0_4arch9wavefront6targetE0EEEvT1_,@function
_ZN7rocprim17ROCPRIM_400000_NS6detail17trampoline_kernelINS0_14default_configENS1_25transform_config_selectorIlLb0EEEZNS1_14transform_implILb0ES3_S5_NS0_18transform_iteratorINS0_17counting_iteratorImlEEZNS1_24adjacent_difference_implIS3_Lb1ELb0EPlSB_ZN2at6native12_GLOBAL__N_124unique_dim_cuda_templateIjEESt5tupleIJNSC_6TensorESH_SH_EERKSH_lbbbEUlllE1_EE10hipError_tPvRmT2_T3_mT4_P12ihipStream_tbEUlmE_lEESB_NS0_8identityIvEEEESM_SP_SQ_mSR_ST_bEUlT_E_NS1_11comp_targetILNS1_3genE5ELNS1_11target_archE942ELNS1_3gpuE9ELNS1_3repE0EEENS1_30default_config_static_selectorELNS0_4arch9wavefront6targetE0EEEvT1_: ; @_ZN7rocprim17ROCPRIM_400000_NS6detail17trampoline_kernelINS0_14default_configENS1_25transform_config_selectorIlLb0EEEZNS1_14transform_implILb0ES3_S5_NS0_18transform_iteratorINS0_17counting_iteratorImlEEZNS1_24adjacent_difference_implIS3_Lb1ELb0EPlSB_ZN2at6native12_GLOBAL__N_124unique_dim_cuda_templateIjEESt5tupleIJNSC_6TensorESH_SH_EERKSH_lbbbEUlllE1_EE10hipError_tPvRmT2_T3_mT4_P12ihipStream_tbEUlmE_lEESB_NS0_8identityIvEEEESM_SP_SQ_mSR_ST_bEUlT_E_NS1_11comp_targetILNS1_3genE5ELNS1_11target_archE942ELNS1_3gpuE9ELNS1_3repE0EEENS1_30default_config_static_selectorELNS0_4arch9wavefront6targetE0EEEvT1_
; %bb.0:
	.section	.rodata,"a",@progbits
	.p2align	6, 0x0
	.amdhsa_kernel _ZN7rocprim17ROCPRIM_400000_NS6detail17trampoline_kernelINS0_14default_configENS1_25transform_config_selectorIlLb0EEEZNS1_14transform_implILb0ES3_S5_NS0_18transform_iteratorINS0_17counting_iteratorImlEEZNS1_24adjacent_difference_implIS3_Lb1ELb0EPlSB_ZN2at6native12_GLOBAL__N_124unique_dim_cuda_templateIjEESt5tupleIJNSC_6TensorESH_SH_EERKSH_lbbbEUlllE1_EE10hipError_tPvRmT2_T3_mT4_P12ihipStream_tbEUlmE_lEESB_NS0_8identityIvEEEESM_SP_SQ_mSR_ST_bEUlT_E_NS1_11comp_targetILNS1_3genE5ELNS1_11target_archE942ELNS1_3gpuE9ELNS1_3repE0EEENS1_30default_config_static_selectorELNS0_4arch9wavefront6targetE0EEEvT1_
		.amdhsa_group_segment_fixed_size 0
		.amdhsa_private_segment_fixed_size 0
		.amdhsa_kernarg_size 56
		.amdhsa_user_sgpr_count 2
		.amdhsa_user_sgpr_dispatch_ptr 0
		.amdhsa_user_sgpr_queue_ptr 0
		.amdhsa_user_sgpr_kernarg_segment_ptr 1
		.amdhsa_user_sgpr_dispatch_id 0
		.amdhsa_user_sgpr_kernarg_preload_length 0
		.amdhsa_user_sgpr_kernarg_preload_offset 0
		.amdhsa_user_sgpr_private_segment_size 0
		.amdhsa_wavefront_size32 1
		.amdhsa_uses_dynamic_stack 0
		.amdhsa_enable_private_segment 0
		.amdhsa_system_sgpr_workgroup_id_x 1
		.amdhsa_system_sgpr_workgroup_id_y 0
		.amdhsa_system_sgpr_workgroup_id_z 0
		.amdhsa_system_sgpr_workgroup_info 0
		.amdhsa_system_vgpr_workitem_id 0
		.amdhsa_next_free_vgpr 1
		.amdhsa_next_free_sgpr 1
		.amdhsa_named_barrier_count 0
		.amdhsa_reserve_vcc 0
		.amdhsa_float_round_mode_32 0
		.amdhsa_float_round_mode_16_64 0
		.amdhsa_float_denorm_mode_32 3
		.amdhsa_float_denorm_mode_16_64 3
		.amdhsa_fp16_overflow 0
		.amdhsa_memory_ordered 1
		.amdhsa_forward_progress 1
		.amdhsa_inst_pref_size 0
		.amdhsa_round_robin_scheduling 0
		.amdhsa_exception_fp_ieee_invalid_op 0
		.amdhsa_exception_fp_denorm_src 0
		.amdhsa_exception_fp_ieee_div_zero 0
		.amdhsa_exception_fp_ieee_overflow 0
		.amdhsa_exception_fp_ieee_underflow 0
		.amdhsa_exception_fp_ieee_inexact 0
		.amdhsa_exception_int_div_zero 0
	.end_amdhsa_kernel
	.section	.text._ZN7rocprim17ROCPRIM_400000_NS6detail17trampoline_kernelINS0_14default_configENS1_25transform_config_selectorIlLb0EEEZNS1_14transform_implILb0ES3_S5_NS0_18transform_iteratorINS0_17counting_iteratorImlEEZNS1_24adjacent_difference_implIS3_Lb1ELb0EPlSB_ZN2at6native12_GLOBAL__N_124unique_dim_cuda_templateIjEESt5tupleIJNSC_6TensorESH_SH_EERKSH_lbbbEUlllE1_EE10hipError_tPvRmT2_T3_mT4_P12ihipStream_tbEUlmE_lEESB_NS0_8identityIvEEEESM_SP_SQ_mSR_ST_bEUlT_E_NS1_11comp_targetILNS1_3genE5ELNS1_11target_archE942ELNS1_3gpuE9ELNS1_3repE0EEENS1_30default_config_static_selectorELNS0_4arch9wavefront6targetE0EEEvT1_,"axG",@progbits,_ZN7rocprim17ROCPRIM_400000_NS6detail17trampoline_kernelINS0_14default_configENS1_25transform_config_selectorIlLb0EEEZNS1_14transform_implILb0ES3_S5_NS0_18transform_iteratorINS0_17counting_iteratorImlEEZNS1_24adjacent_difference_implIS3_Lb1ELb0EPlSB_ZN2at6native12_GLOBAL__N_124unique_dim_cuda_templateIjEESt5tupleIJNSC_6TensorESH_SH_EERKSH_lbbbEUlllE1_EE10hipError_tPvRmT2_T3_mT4_P12ihipStream_tbEUlmE_lEESB_NS0_8identityIvEEEESM_SP_SQ_mSR_ST_bEUlT_E_NS1_11comp_targetILNS1_3genE5ELNS1_11target_archE942ELNS1_3gpuE9ELNS1_3repE0EEENS1_30default_config_static_selectorELNS0_4arch9wavefront6targetE0EEEvT1_,comdat
.Lfunc_end1525:
	.size	_ZN7rocprim17ROCPRIM_400000_NS6detail17trampoline_kernelINS0_14default_configENS1_25transform_config_selectorIlLb0EEEZNS1_14transform_implILb0ES3_S5_NS0_18transform_iteratorINS0_17counting_iteratorImlEEZNS1_24adjacent_difference_implIS3_Lb1ELb0EPlSB_ZN2at6native12_GLOBAL__N_124unique_dim_cuda_templateIjEESt5tupleIJNSC_6TensorESH_SH_EERKSH_lbbbEUlllE1_EE10hipError_tPvRmT2_T3_mT4_P12ihipStream_tbEUlmE_lEESB_NS0_8identityIvEEEESM_SP_SQ_mSR_ST_bEUlT_E_NS1_11comp_targetILNS1_3genE5ELNS1_11target_archE942ELNS1_3gpuE9ELNS1_3repE0EEENS1_30default_config_static_selectorELNS0_4arch9wavefront6targetE0EEEvT1_, .Lfunc_end1525-_ZN7rocprim17ROCPRIM_400000_NS6detail17trampoline_kernelINS0_14default_configENS1_25transform_config_selectorIlLb0EEEZNS1_14transform_implILb0ES3_S5_NS0_18transform_iteratorINS0_17counting_iteratorImlEEZNS1_24adjacent_difference_implIS3_Lb1ELb0EPlSB_ZN2at6native12_GLOBAL__N_124unique_dim_cuda_templateIjEESt5tupleIJNSC_6TensorESH_SH_EERKSH_lbbbEUlllE1_EE10hipError_tPvRmT2_T3_mT4_P12ihipStream_tbEUlmE_lEESB_NS0_8identityIvEEEESM_SP_SQ_mSR_ST_bEUlT_E_NS1_11comp_targetILNS1_3genE5ELNS1_11target_archE942ELNS1_3gpuE9ELNS1_3repE0EEENS1_30default_config_static_selectorELNS0_4arch9wavefront6targetE0EEEvT1_
                                        ; -- End function
	.set _ZN7rocprim17ROCPRIM_400000_NS6detail17trampoline_kernelINS0_14default_configENS1_25transform_config_selectorIlLb0EEEZNS1_14transform_implILb0ES3_S5_NS0_18transform_iteratorINS0_17counting_iteratorImlEEZNS1_24adjacent_difference_implIS3_Lb1ELb0EPlSB_ZN2at6native12_GLOBAL__N_124unique_dim_cuda_templateIjEESt5tupleIJNSC_6TensorESH_SH_EERKSH_lbbbEUlllE1_EE10hipError_tPvRmT2_T3_mT4_P12ihipStream_tbEUlmE_lEESB_NS0_8identityIvEEEESM_SP_SQ_mSR_ST_bEUlT_E_NS1_11comp_targetILNS1_3genE5ELNS1_11target_archE942ELNS1_3gpuE9ELNS1_3repE0EEENS1_30default_config_static_selectorELNS0_4arch9wavefront6targetE0EEEvT1_.num_vgpr, 0
	.set _ZN7rocprim17ROCPRIM_400000_NS6detail17trampoline_kernelINS0_14default_configENS1_25transform_config_selectorIlLb0EEEZNS1_14transform_implILb0ES3_S5_NS0_18transform_iteratorINS0_17counting_iteratorImlEEZNS1_24adjacent_difference_implIS3_Lb1ELb0EPlSB_ZN2at6native12_GLOBAL__N_124unique_dim_cuda_templateIjEESt5tupleIJNSC_6TensorESH_SH_EERKSH_lbbbEUlllE1_EE10hipError_tPvRmT2_T3_mT4_P12ihipStream_tbEUlmE_lEESB_NS0_8identityIvEEEESM_SP_SQ_mSR_ST_bEUlT_E_NS1_11comp_targetILNS1_3genE5ELNS1_11target_archE942ELNS1_3gpuE9ELNS1_3repE0EEENS1_30default_config_static_selectorELNS0_4arch9wavefront6targetE0EEEvT1_.num_agpr, 0
	.set _ZN7rocprim17ROCPRIM_400000_NS6detail17trampoline_kernelINS0_14default_configENS1_25transform_config_selectorIlLb0EEEZNS1_14transform_implILb0ES3_S5_NS0_18transform_iteratorINS0_17counting_iteratorImlEEZNS1_24adjacent_difference_implIS3_Lb1ELb0EPlSB_ZN2at6native12_GLOBAL__N_124unique_dim_cuda_templateIjEESt5tupleIJNSC_6TensorESH_SH_EERKSH_lbbbEUlllE1_EE10hipError_tPvRmT2_T3_mT4_P12ihipStream_tbEUlmE_lEESB_NS0_8identityIvEEEESM_SP_SQ_mSR_ST_bEUlT_E_NS1_11comp_targetILNS1_3genE5ELNS1_11target_archE942ELNS1_3gpuE9ELNS1_3repE0EEENS1_30default_config_static_selectorELNS0_4arch9wavefront6targetE0EEEvT1_.numbered_sgpr, 0
	.set _ZN7rocprim17ROCPRIM_400000_NS6detail17trampoline_kernelINS0_14default_configENS1_25transform_config_selectorIlLb0EEEZNS1_14transform_implILb0ES3_S5_NS0_18transform_iteratorINS0_17counting_iteratorImlEEZNS1_24adjacent_difference_implIS3_Lb1ELb0EPlSB_ZN2at6native12_GLOBAL__N_124unique_dim_cuda_templateIjEESt5tupleIJNSC_6TensorESH_SH_EERKSH_lbbbEUlllE1_EE10hipError_tPvRmT2_T3_mT4_P12ihipStream_tbEUlmE_lEESB_NS0_8identityIvEEEESM_SP_SQ_mSR_ST_bEUlT_E_NS1_11comp_targetILNS1_3genE5ELNS1_11target_archE942ELNS1_3gpuE9ELNS1_3repE0EEENS1_30default_config_static_selectorELNS0_4arch9wavefront6targetE0EEEvT1_.num_named_barrier, 0
	.set _ZN7rocprim17ROCPRIM_400000_NS6detail17trampoline_kernelINS0_14default_configENS1_25transform_config_selectorIlLb0EEEZNS1_14transform_implILb0ES3_S5_NS0_18transform_iteratorINS0_17counting_iteratorImlEEZNS1_24adjacent_difference_implIS3_Lb1ELb0EPlSB_ZN2at6native12_GLOBAL__N_124unique_dim_cuda_templateIjEESt5tupleIJNSC_6TensorESH_SH_EERKSH_lbbbEUlllE1_EE10hipError_tPvRmT2_T3_mT4_P12ihipStream_tbEUlmE_lEESB_NS0_8identityIvEEEESM_SP_SQ_mSR_ST_bEUlT_E_NS1_11comp_targetILNS1_3genE5ELNS1_11target_archE942ELNS1_3gpuE9ELNS1_3repE0EEENS1_30default_config_static_selectorELNS0_4arch9wavefront6targetE0EEEvT1_.private_seg_size, 0
	.set _ZN7rocprim17ROCPRIM_400000_NS6detail17trampoline_kernelINS0_14default_configENS1_25transform_config_selectorIlLb0EEEZNS1_14transform_implILb0ES3_S5_NS0_18transform_iteratorINS0_17counting_iteratorImlEEZNS1_24adjacent_difference_implIS3_Lb1ELb0EPlSB_ZN2at6native12_GLOBAL__N_124unique_dim_cuda_templateIjEESt5tupleIJNSC_6TensorESH_SH_EERKSH_lbbbEUlllE1_EE10hipError_tPvRmT2_T3_mT4_P12ihipStream_tbEUlmE_lEESB_NS0_8identityIvEEEESM_SP_SQ_mSR_ST_bEUlT_E_NS1_11comp_targetILNS1_3genE5ELNS1_11target_archE942ELNS1_3gpuE9ELNS1_3repE0EEENS1_30default_config_static_selectorELNS0_4arch9wavefront6targetE0EEEvT1_.uses_vcc, 0
	.set _ZN7rocprim17ROCPRIM_400000_NS6detail17trampoline_kernelINS0_14default_configENS1_25transform_config_selectorIlLb0EEEZNS1_14transform_implILb0ES3_S5_NS0_18transform_iteratorINS0_17counting_iteratorImlEEZNS1_24adjacent_difference_implIS3_Lb1ELb0EPlSB_ZN2at6native12_GLOBAL__N_124unique_dim_cuda_templateIjEESt5tupleIJNSC_6TensorESH_SH_EERKSH_lbbbEUlllE1_EE10hipError_tPvRmT2_T3_mT4_P12ihipStream_tbEUlmE_lEESB_NS0_8identityIvEEEESM_SP_SQ_mSR_ST_bEUlT_E_NS1_11comp_targetILNS1_3genE5ELNS1_11target_archE942ELNS1_3gpuE9ELNS1_3repE0EEENS1_30default_config_static_selectorELNS0_4arch9wavefront6targetE0EEEvT1_.uses_flat_scratch, 0
	.set _ZN7rocprim17ROCPRIM_400000_NS6detail17trampoline_kernelINS0_14default_configENS1_25transform_config_selectorIlLb0EEEZNS1_14transform_implILb0ES3_S5_NS0_18transform_iteratorINS0_17counting_iteratorImlEEZNS1_24adjacent_difference_implIS3_Lb1ELb0EPlSB_ZN2at6native12_GLOBAL__N_124unique_dim_cuda_templateIjEESt5tupleIJNSC_6TensorESH_SH_EERKSH_lbbbEUlllE1_EE10hipError_tPvRmT2_T3_mT4_P12ihipStream_tbEUlmE_lEESB_NS0_8identityIvEEEESM_SP_SQ_mSR_ST_bEUlT_E_NS1_11comp_targetILNS1_3genE5ELNS1_11target_archE942ELNS1_3gpuE9ELNS1_3repE0EEENS1_30default_config_static_selectorELNS0_4arch9wavefront6targetE0EEEvT1_.has_dyn_sized_stack, 0
	.set _ZN7rocprim17ROCPRIM_400000_NS6detail17trampoline_kernelINS0_14default_configENS1_25transform_config_selectorIlLb0EEEZNS1_14transform_implILb0ES3_S5_NS0_18transform_iteratorINS0_17counting_iteratorImlEEZNS1_24adjacent_difference_implIS3_Lb1ELb0EPlSB_ZN2at6native12_GLOBAL__N_124unique_dim_cuda_templateIjEESt5tupleIJNSC_6TensorESH_SH_EERKSH_lbbbEUlllE1_EE10hipError_tPvRmT2_T3_mT4_P12ihipStream_tbEUlmE_lEESB_NS0_8identityIvEEEESM_SP_SQ_mSR_ST_bEUlT_E_NS1_11comp_targetILNS1_3genE5ELNS1_11target_archE942ELNS1_3gpuE9ELNS1_3repE0EEENS1_30default_config_static_selectorELNS0_4arch9wavefront6targetE0EEEvT1_.has_recursion, 0
	.set _ZN7rocprim17ROCPRIM_400000_NS6detail17trampoline_kernelINS0_14default_configENS1_25transform_config_selectorIlLb0EEEZNS1_14transform_implILb0ES3_S5_NS0_18transform_iteratorINS0_17counting_iteratorImlEEZNS1_24adjacent_difference_implIS3_Lb1ELb0EPlSB_ZN2at6native12_GLOBAL__N_124unique_dim_cuda_templateIjEESt5tupleIJNSC_6TensorESH_SH_EERKSH_lbbbEUlllE1_EE10hipError_tPvRmT2_T3_mT4_P12ihipStream_tbEUlmE_lEESB_NS0_8identityIvEEEESM_SP_SQ_mSR_ST_bEUlT_E_NS1_11comp_targetILNS1_3genE5ELNS1_11target_archE942ELNS1_3gpuE9ELNS1_3repE0EEENS1_30default_config_static_selectorELNS0_4arch9wavefront6targetE0EEEvT1_.has_indirect_call, 0
	.section	.AMDGPU.csdata,"",@progbits
; Kernel info:
; codeLenInByte = 0
; TotalNumSgprs: 0
; NumVgprs: 0
; ScratchSize: 0
; MemoryBound: 0
; FloatMode: 240
; IeeeMode: 1
; LDSByteSize: 0 bytes/workgroup (compile time only)
; SGPRBlocks: 0
; VGPRBlocks: 0
; NumSGPRsForWavesPerEU: 1
; NumVGPRsForWavesPerEU: 1
; NamedBarCnt: 0
; Occupancy: 16
; WaveLimiterHint : 0
; COMPUTE_PGM_RSRC2:SCRATCH_EN: 0
; COMPUTE_PGM_RSRC2:USER_SGPR: 2
; COMPUTE_PGM_RSRC2:TRAP_HANDLER: 0
; COMPUTE_PGM_RSRC2:TGID_X_EN: 1
; COMPUTE_PGM_RSRC2:TGID_Y_EN: 0
; COMPUTE_PGM_RSRC2:TGID_Z_EN: 0
; COMPUTE_PGM_RSRC2:TIDIG_COMP_CNT: 0
	.section	.text._ZN7rocprim17ROCPRIM_400000_NS6detail17trampoline_kernelINS0_14default_configENS1_25transform_config_selectorIlLb0EEEZNS1_14transform_implILb0ES3_S5_NS0_18transform_iteratorINS0_17counting_iteratorImlEEZNS1_24adjacent_difference_implIS3_Lb1ELb0EPlSB_ZN2at6native12_GLOBAL__N_124unique_dim_cuda_templateIjEESt5tupleIJNSC_6TensorESH_SH_EERKSH_lbbbEUlllE1_EE10hipError_tPvRmT2_T3_mT4_P12ihipStream_tbEUlmE_lEESB_NS0_8identityIvEEEESM_SP_SQ_mSR_ST_bEUlT_E_NS1_11comp_targetILNS1_3genE4ELNS1_11target_archE910ELNS1_3gpuE8ELNS1_3repE0EEENS1_30default_config_static_selectorELNS0_4arch9wavefront6targetE0EEEvT1_,"axG",@progbits,_ZN7rocprim17ROCPRIM_400000_NS6detail17trampoline_kernelINS0_14default_configENS1_25transform_config_selectorIlLb0EEEZNS1_14transform_implILb0ES3_S5_NS0_18transform_iteratorINS0_17counting_iteratorImlEEZNS1_24adjacent_difference_implIS3_Lb1ELb0EPlSB_ZN2at6native12_GLOBAL__N_124unique_dim_cuda_templateIjEESt5tupleIJNSC_6TensorESH_SH_EERKSH_lbbbEUlllE1_EE10hipError_tPvRmT2_T3_mT4_P12ihipStream_tbEUlmE_lEESB_NS0_8identityIvEEEESM_SP_SQ_mSR_ST_bEUlT_E_NS1_11comp_targetILNS1_3genE4ELNS1_11target_archE910ELNS1_3gpuE8ELNS1_3repE0EEENS1_30default_config_static_selectorELNS0_4arch9wavefront6targetE0EEEvT1_,comdat
	.globl	_ZN7rocprim17ROCPRIM_400000_NS6detail17trampoline_kernelINS0_14default_configENS1_25transform_config_selectorIlLb0EEEZNS1_14transform_implILb0ES3_S5_NS0_18transform_iteratorINS0_17counting_iteratorImlEEZNS1_24adjacent_difference_implIS3_Lb1ELb0EPlSB_ZN2at6native12_GLOBAL__N_124unique_dim_cuda_templateIjEESt5tupleIJNSC_6TensorESH_SH_EERKSH_lbbbEUlllE1_EE10hipError_tPvRmT2_T3_mT4_P12ihipStream_tbEUlmE_lEESB_NS0_8identityIvEEEESM_SP_SQ_mSR_ST_bEUlT_E_NS1_11comp_targetILNS1_3genE4ELNS1_11target_archE910ELNS1_3gpuE8ELNS1_3repE0EEENS1_30default_config_static_selectorELNS0_4arch9wavefront6targetE0EEEvT1_ ; -- Begin function _ZN7rocprim17ROCPRIM_400000_NS6detail17trampoline_kernelINS0_14default_configENS1_25transform_config_selectorIlLb0EEEZNS1_14transform_implILb0ES3_S5_NS0_18transform_iteratorINS0_17counting_iteratorImlEEZNS1_24adjacent_difference_implIS3_Lb1ELb0EPlSB_ZN2at6native12_GLOBAL__N_124unique_dim_cuda_templateIjEESt5tupleIJNSC_6TensorESH_SH_EERKSH_lbbbEUlllE1_EE10hipError_tPvRmT2_T3_mT4_P12ihipStream_tbEUlmE_lEESB_NS0_8identityIvEEEESM_SP_SQ_mSR_ST_bEUlT_E_NS1_11comp_targetILNS1_3genE4ELNS1_11target_archE910ELNS1_3gpuE8ELNS1_3repE0EEENS1_30default_config_static_selectorELNS0_4arch9wavefront6targetE0EEEvT1_
	.p2align	8
	.type	_ZN7rocprim17ROCPRIM_400000_NS6detail17trampoline_kernelINS0_14default_configENS1_25transform_config_selectorIlLb0EEEZNS1_14transform_implILb0ES3_S5_NS0_18transform_iteratorINS0_17counting_iteratorImlEEZNS1_24adjacent_difference_implIS3_Lb1ELb0EPlSB_ZN2at6native12_GLOBAL__N_124unique_dim_cuda_templateIjEESt5tupleIJNSC_6TensorESH_SH_EERKSH_lbbbEUlllE1_EE10hipError_tPvRmT2_T3_mT4_P12ihipStream_tbEUlmE_lEESB_NS0_8identityIvEEEESM_SP_SQ_mSR_ST_bEUlT_E_NS1_11comp_targetILNS1_3genE4ELNS1_11target_archE910ELNS1_3gpuE8ELNS1_3repE0EEENS1_30default_config_static_selectorELNS0_4arch9wavefront6targetE0EEEvT1_,@function
_ZN7rocprim17ROCPRIM_400000_NS6detail17trampoline_kernelINS0_14default_configENS1_25transform_config_selectorIlLb0EEEZNS1_14transform_implILb0ES3_S5_NS0_18transform_iteratorINS0_17counting_iteratorImlEEZNS1_24adjacent_difference_implIS3_Lb1ELb0EPlSB_ZN2at6native12_GLOBAL__N_124unique_dim_cuda_templateIjEESt5tupleIJNSC_6TensorESH_SH_EERKSH_lbbbEUlllE1_EE10hipError_tPvRmT2_T3_mT4_P12ihipStream_tbEUlmE_lEESB_NS0_8identityIvEEEESM_SP_SQ_mSR_ST_bEUlT_E_NS1_11comp_targetILNS1_3genE4ELNS1_11target_archE910ELNS1_3gpuE8ELNS1_3repE0EEENS1_30default_config_static_selectorELNS0_4arch9wavefront6targetE0EEEvT1_: ; @_ZN7rocprim17ROCPRIM_400000_NS6detail17trampoline_kernelINS0_14default_configENS1_25transform_config_selectorIlLb0EEEZNS1_14transform_implILb0ES3_S5_NS0_18transform_iteratorINS0_17counting_iteratorImlEEZNS1_24adjacent_difference_implIS3_Lb1ELb0EPlSB_ZN2at6native12_GLOBAL__N_124unique_dim_cuda_templateIjEESt5tupleIJNSC_6TensorESH_SH_EERKSH_lbbbEUlllE1_EE10hipError_tPvRmT2_T3_mT4_P12ihipStream_tbEUlmE_lEESB_NS0_8identityIvEEEESM_SP_SQ_mSR_ST_bEUlT_E_NS1_11comp_targetILNS1_3genE4ELNS1_11target_archE910ELNS1_3gpuE8ELNS1_3repE0EEENS1_30default_config_static_selectorELNS0_4arch9wavefront6targetE0EEEvT1_
; %bb.0:
	.section	.rodata,"a",@progbits
	.p2align	6, 0x0
	.amdhsa_kernel _ZN7rocprim17ROCPRIM_400000_NS6detail17trampoline_kernelINS0_14default_configENS1_25transform_config_selectorIlLb0EEEZNS1_14transform_implILb0ES3_S5_NS0_18transform_iteratorINS0_17counting_iteratorImlEEZNS1_24adjacent_difference_implIS3_Lb1ELb0EPlSB_ZN2at6native12_GLOBAL__N_124unique_dim_cuda_templateIjEESt5tupleIJNSC_6TensorESH_SH_EERKSH_lbbbEUlllE1_EE10hipError_tPvRmT2_T3_mT4_P12ihipStream_tbEUlmE_lEESB_NS0_8identityIvEEEESM_SP_SQ_mSR_ST_bEUlT_E_NS1_11comp_targetILNS1_3genE4ELNS1_11target_archE910ELNS1_3gpuE8ELNS1_3repE0EEENS1_30default_config_static_selectorELNS0_4arch9wavefront6targetE0EEEvT1_
		.amdhsa_group_segment_fixed_size 0
		.amdhsa_private_segment_fixed_size 0
		.amdhsa_kernarg_size 56
		.amdhsa_user_sgpr_count 2
		.amdhsa_user_sgpr_dispatch_ptr 0
		.amdhsa_user_sgpr_queue_ptr 0
		.amdhsa_user_sgpr_kernarg_segment_ptr 1
		.amdhsa_user_sgpr_dispatch_id 0
		.amdhsa_user_sgpr_kernarg_preload_length 0
		.amdhsa_user_sgpr_kernarg_preload_offset 0
		.amdhsa_user_sgpr_private_segment_size 0
		.amdhsa_wavefront_size32 1
		.amdhsa_uses_dynamic_stack 0
		.amdhsa_enable_private_segment 0
		.amdhsa_system_sgpr_workgroup_id_x 1
		.amdhsa_system_sgpr_workgroup_id_y 0
		.amdhsa_system_sgpr_workgroup_id_z 0
		.amdhsa_system_sgpr_workgroup_info 0
		.amdhsa_system_vgpr_workitem_id 0
		.amdhsa_next_free_vgpr 1
		.amdhsa_next_free_sgpr 1
		.amdhsa_named_barrier_count 0
		.amdhsa_reserve_vcc 0
		.amdhsa_float_round_mode_32 0
		.amdhsa_float_round_mode_16_64 0
		.amdhsa_float_denorm_mode_32 3
		.amdhsa_float_denorm_mode_16_64 3
		.amdhsa_fp16_overflow 0
		.amdhsa_memory_ordered 1
		.amdhsa_forward_progress 1
		.amdhsa_inst_pref_size 0
		.amdhsa_round_robin_scheduling 0
		.amdhsa_exception_fp_ieee_invalid_op 0
		.amdhsa_exception_fp_denorm_src 0
		.amdhsa_exception_fp_ieee_div_zero 0
		.amdhsa_exception_fp_ieee_overflow 0
		.amdhsa_exception_fp_ieee_underflow 0
		.amdhsa_exception_fp_ieee_inexact 0
		.amdhsa_exception_int_div_zero 0
	.end_amdhsa_kernel
	.section	.text._ZN7rocprim17ROCPRIM_400000_NS6detail17trampoline_kernelINS0_14default_configENS1_25transform_config_selectorIlLb0EEEZNS1_14transform_implILb0ES3_S5_NS0_18transform_iteratorINS0_17counting_iteratorImlEEZNS1_24adjacent_difference_implIS3_Lb1ELb0EPlSB_ZN2at6native12_GLOBAL__N_124unique_dim_cuda_templateIjEESt5tupleIJNSC_6TensorESH_SH_EERKSH_lbbbEUlllE1_EE10hipError_tPvRmT2_T3_mT4_P12ihipStream_tbEUlmE_lEESB_NS0_8identityIvEEEESM_SP_SQ_mSR_ST_bEUlT_E_NS1_11comp_targetILNS1_3genE4ELNS1_11target_archE910ELNS1_3gpuE8ELNS1_3repE0EEENS1_30default_config_static_selectorELNS0_4arch9wavefront6targetE0EEEvT1_,"axG",@progbits,_ZN7rocprim17ROCPRIM_400000_NS6detail17trampoline_kernelINS0_14default_configENS1_25transform_config_selectorIlLb0EEEZNS1_14transform_implILb0ES3_S5_NS0_18transform_iteratorINS0_17counting_iteratorImlEEZNS1_24adjacent_difference_implIS3_Lb1ELb0EPlSB_ZN2at6native12_GLOBAL__N_124unique_dim_cuda_templateIjEESt5tupleIJNSC_6TensorESH_SH_EERKSH_lbbbEUlllE1_EE10hipError_tPvRmT2_T3_mT4_P12ihipStream_tbEUlmE_lEESB_NS0_8identityIvEEEESM_SP_SQ_mSR_ST_bEUlT_E_NS1_11comp_targetILNS1_3genE4ELNS1_11target_archE910ELNS1_3gpuE8ELNS1_3repE0EEENS1_30default_config_static_selectorELNS0_4arch9wavefront6targetE0EEEvT1_,comdat
.Lfunc_end1526:
	.size	_ZN7rocprim17ROCPRIM_400000_NS6detail17trampoline_kernelINS0_14default_configENS1_25transform_config_selectorIlLb0EEEZNS1_14transform_implILb0ES3_S5_NS0_18transform_iteratorINS0_17counting_iteratorImlEEZNS1_24adjacent_difference_implIS3_Lb1ELb0EPlSB_ZN2at6native12_GLOBAL__N_124unique_dim_cuda_templateIjEESt5tupleIJNSC_6TensorESH_SH_EERKSH_lbbbEUlllE1_EE10hipError_tPvRmT2_T3_mT4_P12ihipStream_tbEUlmE_lEESB_NS0_8identityIvEEEESM_SP_SQ_mSR_ST_bEUlT_E_NS1_11comp_targetILNS1_3genE4ELNS1_11target_archE910ELNS1_3gpuE8ELNS1_3repE0EEENS1_30default_config_static_selectorELNS0_4arch9wavefront6targetE0EEEvT1_, .Lfunc_end1526-_ZN7rocprim17ROCPRIM_400000_NS6detail17trampoline_kernelINS0_14default_configENS1_25transform_config_selectorIlLb0EEEZNS1_14transform_implILb0ES3_S5_NS0_18transform_iteratorINS0_17counting_iteratorImlEEZNS1_24adjacent_difference_implIS3_Lb1ELb0EPlSB_ZN2at6native12_GLOBAL__N_124unique_dim_cuda_templateIjEESt5tupleIJNSC_6TensorESH_SH_EERKSH_lbbbEUlllE1_EE10hipError_tPvRmT2_T3_mT4_P12ihipStream_tbEUlmE_lEESB_NS0_8identityIvEEEESM_SP_SQ_mSR_ST_bEUlT_E_NS1_11comp_targetILNS1_3genE4ELNS1_11target_archE910ELNS1_3gpuE8ELNS1_3repE0EEENS1_30default_config_static_selectorELNS0_4arch9wavefront6targetE0EEEvT1_
                                        ; -- End function
	.set _ZN7rocprim17ROCPRIM_400000_NS6detail17trampoline_kernelINS0_14default_configENS1_25transform_config_selectorIlLb0EEEZNS1_14transform_implILb0ES3_S5_NS0_18transform_iteratorINS0_17counting_iteratorImlEEZNS1_24adjacent_difference_implIS3_Lb1ELb0EPlSB_ZN2at6native12_GLOBAL__N_124unique_dim_cuda_templateIjEESt5tupleIJNSC_6TensorESH_SH_EERKSH_lbbbEUlllE1_EE10hipError_tPvRmT2_T3_mT4_P12ihipStream_tbEUlmE_lEESB_NS0_8identityIvEEEESM_SP_SQ_mSR_ST_bEUlT_E_NS1_11comp_targetILNS1_3genE4ELNS1_11target_archE910ELNS1_3gpuE8ELNS1_3repE0EEENS1_30default_config_static_selectorELNS0_4arch9wavefront6targetE0EEEvT1_.num_vgpr, 0
	.set _ZN7rocprim17ROCPRIM_400000_NS6detail17trampoline_kernelINS0_14default_configENS1_25transform_config_selectorIlLb0EEEZNS1_14transform_implILb0ES3_S5_NS0_18transform_iteratorINS0_17counting_iteratorImlEEZNS1_24adjacent_difference_implIS3_Lb1ELb0EPlSB_ZN2at6native12_GLOBAL__N_124unique_dim_cuda_templateIjEESt5tupleIJNSC_6TensorESH_SH_EERKSH_lbbbEUlllE1_EE10hipError_tPvRmT2_T3_mT4_P12ihipStream_tbEUlmE_lEESB_NS0_8identityIvEEEESM_SP_SQ_mSR_ST_bEUlT_E_NS1_11comp_targetILNS1_3genE4ELNS1_11target_archE910ELNS1_3gpuE8ELNS1_3repE0EEENS1_30default_config_static_selectorELNS0_4arch9wavefront6targetE0EEEvT1_.num_agpr, 0
	.set _ZN7rocprim17ROCPRIM_400000_NS6detail17trampoline_kernelINS0_14default_configENS1_25transform_config_selectorIlLb0EEEZNS1_14transform_implILb0ES3_S5_NS0_18transform_iteratorINS0_17counting_iteratorImlEEZNS1_24adjacent_difference_implIS3_Lb1ELb0EPlSB_ZN2at6native12_GLOBAL__N_124unique_dim_cuda_templateIjEESt5tupleIJNSC_6TensorESH_SH_EERKSH_lbbbEUlllE1_EE10hipError_tPvRmT2_T3_mT4_P12ihipStream_tbEUlmE_lEESB_NS0_8identityIvEEEESM_SP_SQ_mSR_ST_bEUlT_E_NS1_11comp_targetILNS1_3genE4ELNS1_11target_archE910ELNS1_3gpuE8ELNS1_3repE0EEENS1_30default_config_static_selectorELNS0_4arch9wavefront6targetE0EEEvT1_.numbered_sgpr, 0
	.set _ZN7rocprim17ROCPRIM_400000_NS6detail17trampoline_kernelINS0_14default_configENS1_25transform_config_selectorIlLb0EEEZNS1_14transform_implILb0ES3_S5_NS0_18transform_iteratorINS0_17counting_iteratorImlEEZNS1_24adjacent_difference_implIS3_Lb1ELb0EPlSB_ZN2at6native12_GLOBAL__N_124unique_dim_cuda_templateIjEESt5tupleIJNSC_6TensorESH_SH_EERKSH_lbbbEUlllE1_EE10hipError_tPvRmT2_T3_mT4_P12ihipStream_tbEUlmE_lEESB_NS0_8identityIvEEEESM_SP_SQ_mSR_ST_bEUlT_E_NS1_11comp_targetILNS1_3genE4ELNS1_11target_archE910ELNS1_3gpuE8ELNS1_3repE0EEENS1_30default_config_static_selectorELNS0_4arch9wavefront6targetE0EEEvT1_.num_named_barrier, 0
	.set _ZN7rocprim17ROCPRIM_400000_NS6detail17trampoline_kernelINS0_14default_configENS1_25transform_config_selectorIlLb0EEEZNS1_14transform_implILb0ES3_S5_NS0_18transform_iteratorINS0_17counting_iteratorImlEEZNS1_24adjacent_difference_implIS3_Lb1ELb0EPlSB_ZN2at6native12_GLOBAL__N_124unique_dim_cuda_templateIjEESt5tupleIJNSC_6TensorESH_SH_EERKSH_lbbbEUlllE1_EE10hipError_tPvRmT2_T3_mT4_P12ihipStream_tbEUlmE_lEESB_NS0_8identityIvEEEESM_SP_SQ_mSR_ST_bEUlT_E_NS1_11comp_targetILNS1_3genE4ELNS1_11target_archE910ELNS1_3gpuE8ELNS1_3repE0EEENS1_30default_config_static_selectorELNS0_4arch9wavefront6targetE0EEEvT1_.private_seg_size, 0
	.set _ZN7rocprim17ROCPRIM_400000_NS6detail17trampoline_kernelINS0_14default_configENS1_25transform_config_selectorIlLb0EEEZNS1_14transform_implILb0ES3_S5_NS0_18transform_iteratorINS0_17counting_iteratorImlEEZNS1_24adjacent_difference_implIS3_Lb1ELb0EPlSB_ZN2at6native12_GLOBAL__N_124unique_dim_cuda_templateIjEESt5tupleIJNSC_6TensorESH_SH_EERKSH_lbbbEUlllE1_EE10hipError_tPvRmT2_T3_mT4_P12ihipStream_tbEUlmE_lEESB_NS0_8identityIvEEEESM_SP_SQ_mSR_ST_bEUlT_E_NS1_11comp_targetILNS1_3genE4ELNS1_11target_archE910ELNS1_3gpuE8ELNS1_3repE0EEENS1_30default_config_static_selectorELNS0_4arch9wavefront6targetE0EEEvT1_.uses_vcc, 0
	.set _ZN7rocprim17ROCPRIM_400000_NS6detail17trampoline_kernelINS0_14default_configENS1_25transform_config_selectorIlLb0EEEZNS1_14transform_implILb0ES3_S5_NS0_18transform_iteratorINS0_17counting_iteratorImlEEZNS1_24adjacent_difference_implIS3_Lb1ELb0EPlSB_ZN2at6native12_GLOBAL__N_124unique_dim_cuda_templateIjEESt5tupleIJNSC_6TensorESH_SH_EERKSH_lbbbEUlllE1_EE10hipError_tPvRmT2_T3_mT4_P12ihipStream_tbEUlmE_lEESB_NS0_8identityIvEEEESM_SP_SQ_mSR_ST_bEUlT_E_NS1_11comp_targetILNS1_3genE4ELNS1_11target_archE910ELNS1_3gpuE8ELNS1_3repE0EEENS1_30default_config_static_selectorELNS0_4arch9wavefront6targetE0EEEvT1_.uses_flat_scratch, 0
	.set _ZN7rocprim17ROCPRIM_400000_NS6detail17trampoline_kernelINS0_14default_configENS1_25transform_config_selectorIlLb0EEEZNS1_14transform_implILb0ES3_S5_NS0_18transform_iteratorINS0_17counting_iteratorImlEEZNS1_24adjacent_difference_implIS3_Lb1ELb0EPlSB_ZN2at6native12_GLOBAL__N_124unique_dim_cuda_templateIjEESt5tupleIJNSC_6TensorESH_SH_EERKSH_lbbbEUlllE1_EE10hipError_tPvRmT2_T3_mT4_P12ihipStream_tbEUlmE_lEESB_NS0_8identityIvEEEESM_SP_SQ_mSR_ST_bEUlT_E_NS1_11comp_targetILNS1_3genE4ELNS1_11target_archE910ELNS1_3gpuE8ELNS1_3repE0EEENS1_30default_config_static_selectorELNS0_4arch9wavefront6targetE0EEEvT1_.has_dyn_sized_stack, 0
	.set _ZN7rocprim17ROCPRIM_400000_NS6detail17trampoline_kernelINS0_14default_configENS1_25transform_config_selectorIlLb0EEEZNS1_14transform_implILb0ES3_S5_NS0_18transform_iteratorINS0_17counting_iteratorImlEEZNS1_24adjacent_difference_implIS3_Lb1ELb0EPlSB_ZN2at6native12_GLOBAL__N_124unique_dim_cuda_templateIjEESt5tupleIJNSC_6TensorESH_SH_EERKSH_lbbbEUlllE1_EE10hipError_tPvRmT2_T3_mT4_P12ihipStream_tbEUlmE_lEESB_NS0_8identityIvEEEESM_SP_SQ_mSR_ST_bEUlT_E_NS1_11comp_targetILNS1_3genE4ELNS1_11target_archE910ELNS1_3gpuE8ELNS1_3repE0EEENS1_30default_config_static_selectorELNS0_4arch9wavefront6targetE0EEEvT1_.has_recursion, 0
	.set _ZN7rocprim17ROCPRIM_400000_NS6detail17trampoline_kernelINS0_14default_configENS1_25transform_config_selectorIlLb0EEEZNS1_14transform_implILb0ES3_S5_NS0_18transform_iteratorINS0_17counting_iteratorImlEEZNS1_24adjacent_difference_implIS3_Lb1ELb0EPlSB_ZN2at6native12_GLOBAL__N_124unique_dim_cuda_templateIjEESt5tupleIJNSC_6TensorESH_SH_EERKSH_lbbbEUlllE1_EE10hipError_tPvRmT2_T3_mT4_P12ihipStream_tbEUlmE_lEESB_NS0_8identityIvEEEESM_SP_SQ_mSR_ST_bEUlT_E_NS1_11comp_targetILNS1_3genE4ELNS1_11target_archE910ELNS1_3gpuE8ELNS1_3repE0EEENS1_30default_config_static_selectorELNS0_4arch9wavefront6targetE0EEEvT1_.has_indirect_call, 0
	.section	.AMDGPU.csdata,"",@progbits
; Kernel info:
; codeLenInByte = 0
; TotalNumSgprs: 0
; NumVgprs: 0
; ScratchSize: 0
; MemoryBound: 0
; FloatMode: 240
; IeeeMode: 1
; LDSByteSize: 0 bytes/workgroup (compile time only)
; SGPRBlocks: 0
; VGPRBlocks: 0
; NumSGPRsForWavesPerEU: 1
; NumVGPRsForWavesPerEU: 1
; NamedBarCnt: 0
; Occupancy: 16
; WaveLimiterHint : 0
; COMPUTE_PGM_RSRC2:SCRATCH_EN: 0
; COMPUTE_PGM_RSRC2:USER_SGPR: 2
; COMPUTE_PGM_RSRC2:TRAP_HANDLER: 0
; COMPUTE_PGM_RSRC2:TGID_X_EN: 1
; COMPUTE_PGM_RSRC2:TGID_Y_EN: 0
; COMPUTE_PGM_RSRC2:TGID_Z_EN: 0
; COMPUTE_PGM_RSRC2:TIDIG_COMP_CNT: 0
	.section	.text._ZN7rocprim17ROCPRIM_400000_NS6detail17trampoline_kernelINS0_14default_configENS1_25transform_config_selectorIlLb0EEEZNS1_14transform_implILb0ES3_S5_NS0_18transform_iteratorINS0_17counting_iteratorImlEEZNS1_24adjacent_difference_implIS3_Lb1ELb0EPlSB_ZN2at6native12_GLOBAL__N_124unique_dim_cuda_templateIjEESt5tupleIJNSC_6TensorESH_SH_EERKSH_lbbbEUlllE1_EE10hipError_tPvRmT2_T3_mT4_P12ihipStream_tbEUlmE_lEESB_NS0_8identityIvEEEESM_SP_SQ_mSR_ST_bEUlT_E_NS1_11comp_targetILNS1_3genE3ELNS1_11target_archE908ELNS1_3gpuE7ELNS1_3repE0EEENS1_30default_config_static_selectorELNS0_4arch9wavefront6targetE0EEEvT1_,"axG",@progbits,_ZN7rocprim17ROCPRIM_400000_NS6detail17trampoline_kernelINS0_14default_configENS1_25transform_config_selectorIlLb0EEEZNS1_14transform_implILb0ES3_S5_NS0_18transform_iteratorINS0_17counting_iteratorImlEEZNS1_24adjacent_difference_implIS3_Lb1ELb0EPlSB_ZN2at6native12_GLOBAL__N_124unique_dim_cuda_templateIjEESt5tupleIJNSC_6TensorESH_SH_EERKSH_lbbbEUlllE1_EE10hipError_tPvRmT2_T3_mT4_P12ihipStream_tbEUlmE_lEESB_NS0_8identityIvEEEESM_SP_SQ_mSR_ST_bEUlT_E_NS1_11comp_targetILNS1_3genE3ELNS1_11target_archE908ELNS1_3gpuE7ELNS1_3repE0EEENS1_30default_config_static_selectorELNS0_4arch9wavefront6targetE0EEEvT1_,comdat
	.globl	_ZN7rocprim17ROCPRIM_400000_NS6detail17trampoline_kernelINS0_14default_configENS1_25transform_config_selectorIlLb0EEEZNS1_14transform_implILb0ES3_S5_NS0_18transform_iteratorINS0_17counting_iteratorImlEEZNS1_24adjacent_difference_implIS3_Lb1ELb0EPlSB_ZN2at6native12_GLOBAL__N_124unique_dim_cuda_templateIjEESt5tupleIJNSC_6TensorESH_SH_EERKSH_lbbbEUlllE1_EE10hipError_tPvRmT2_T3_mT4_P12ihipStream_tbEUlmE_lEESB_NS0_8identityIvEEEESM_SP_SQ_mSR_ST_bEUlT_E_NS1_11comp_targetILNS1_3genE3ELNS1_11target_archE908ELNS1_3gpuE7ELNS1_3repE0EEENS1_30default_config_static_selectorELNS0_4arch9wavefront6targetE0EEEvT1_ ; -- Begin function _ZN7rocprim17ROCPRIM_400000_NS6detail17trampoline_kernelINS0_14default_configENS1_25transform_config_selectorIlLb0EEEZNS1_14transform_implILb0ES3_S5_NS0_18transform_iteratorINS0_17counting_iteratorImlEEZNS1_24adjacent_difference_implIS3_Lb1ELb0EPlSB_ZN2at6native12_GLOBAL__N_124unique_dim_cuda_templateIjEESt5tupleIJNSC_6TensorESH_SH_EERKSH_lbbbEUlllE1_EE10hipError_tPvRmT2_T3_mT4_P12ihipStream_tbEUlmE_lEESB_NS0_8identityIvEEEESM_SP_SQ_mSR_ST_bEUlT_E_NS1_11comp_targetILNS1_3genE3ELNS1_11target_archE908ELNS1_3gpuE7ELNS1_3repE0EEENS1_30default_config_static_selectorELNS0_4arch9wavefront6targetE0EEEvT1_
	.p2align	8
	.type	_ZN7rocprim17ROCPRIM_400000_NS6detail17trampoline_kernelINS0_14default_configENS1_25transform_config_selectorIlLb0EEEZNS1_14transform_implILb0ES3_S5_NS0_18transform_iteratorINS0_17counting_iteratorImlEEZNS1_24adjacent_difference_implIS3_Lb1ELb0EPlSB_ZN2at6native12_GLOBAL__N_124unique_dim_cuda_templateIjEESt5tupleIJNSC_6TensorESH_SH_EERKSH_lbbbEUlllE1_EE10hipError_tPvRmT2_T3_mT4_P12ihipStream_tbEUlmE_lEESB_NS0_8identityIvEEEESM_SP_SQ_mSR_ST_bEUlT_E_NS1_11comp_targetILNS1_3genE3ELNS1_11target_archE908ELNS1_3gpuE7ELNS1_3repE0EEENS1_30default_config_static_selectorELNS0_4arch9wavefront6targetE0EEEvT1_,@function
_ZN7rocprim17ROCPRIM_400000_NS6detail17trampoline_kernelINS0_14default_configENS1_25transform_config_selectorIlLb0EEEZNS1_14transform_implILb0ES3_S5_NS0_18transform_iteratorINS0_17counting_iteratorImlEEZNS1_24adjacent_difference_implIS3_Lb1ELb0EPlSB_ZN2at6native12_GLOBAL__N_124unique_dim_cuda_templateIjEESt5tupleIJNSC_6TensorESH_SH_EERKSH_lbbbEUlllE1_EE10hipError_tPvRmT2_T3_mT4_P12ihipStream_tbEUlmE_lEESB_NS0_8identityIvEEEESM_SP_SQ_mSR_ST_bEUlT_E_NS1_11comp_targetILNS1_3genE3ELNS1_11target_archE908ELNS1_3gpuE7ELNS1_3repE0EEENS1_30default_config_static_selectorELNS0_4arch9wavefront6targetE0EEEvT1_: ; @_ZN7rocprim17ROCPRIM_400000_NS6detail17trampoline_kernelINS0_14default_configENS1_25transform_config_selectorIlLb0EEEZNS1_14transform_implILb0ES3_S5_NS0_18transform_iteratorINS0_17counting_iteratorImlEEZNS1_24adjacent_difference_implIS3_Lb1ELb0EPlSB_ZN2at6native12_GLOBAL__N_124unique_dim_cuda_templateIjEESt5tupleIJNSC_6TensorESH_SH_EERKSH_lbbbEUlllE1_EE10hipError_tPvRmT2_T3_mT4_P12ihipStream_tbEUlmE_lEESB_NS0_8identityIvEEEESM_SP_SQ_mSR_ST_bEUlT_E_NS1_11comp_targetILNS1_3genE3ELNS1_11target_archE908ELNS1_3gpuE7ELNS1_3repE0EEENS1_30default_config_static_selectorELNS0_4arch9wavefront6targetE0EEEvT1_
; %bb.0:
	.section	.rodata,"a",@progbits
	.p2align	6, 0x0
	.amdhsa_kernel _ZN7rocprim17ROCPRIM_400000_NS6detail17trampoline_kernelINS0_14default_configENS1_25transform_config_selectorIlLb0EEEZNS1_14transform_implILb0ES3_S5_NS0_18transform_iteratorINS0_17counting_iteratorImlEEZNS1_24adjacent_difference_implIS3_Lb1ELb0EPlSB_ZN2at6native12_GLOBAL__N_124unique_dim_cuda_templateIjEESt5tupleIJNSC_6TensorESH_SH_EERKSH_lbbbEUlllE1_EE10hipError_tPvRmT2_T3_mT4_P12ihipStream_tbEUlmE_lEESB_NS0_8identityIvEEEESM_SP_SQ_mSR_ST_bEUlT_E_NS1_11comp_targetILNS1_3genE3ELNS1_11target_archE908ELNS1_3gpuE7ELNS1_3repE0EEENS1_30default_config_static_selectorELNS0_4arch9wavefront6targetE0EEEvT1_
		.amdhsa_group_segment_fixed_size 0
		.amdhsa_private_segment_fixed_size 0
		.amdhsa_kernarg_size 56
		.amdhsa_user_sgpr_count 2
		.amdhsa_user_sgpr_dispatch_ptr 0
		.amdhsa_user_sgpr_queue_ptr 0
		.amdhsa_user_sgpr_kernarg_segment_ptr 1
		.amdhsa_user_sgpr_dispatch_id 0
		.amdhsa_user_sgpr_kernarg_preload_length 0
		.amdhsa_user_sgpr_kernarg_preload_offset 0
		.amdhsa_user_sgpr_private_segment_size 0
		.amdhsa_wavefront_size32 1
		.amdhsa_uses_dynamic_stack 0
		.amdhsa_enable_private_segment 0
		.amdhsa_system_sgpr_workgroup_id_x 1
		.amdhsa_system_sgpr_workgroup_id_y 0
		.amdhsa_system_sgpr_workgroup_id_z 0
		.amdhsa_system_sgpr_workgroup_info 0
		.amdhsa_system_vgpr_workitem_id 0
		.amdhsa_next_free_vgpr 1
		.amdhsa_next_free_sgpr 1
		.amdhsa_named_barrier_count 0
		.amdhsa_reserve_vcc 0
		.amdhsa_float_round_mode_32 0
		.amdhsa_float_round_mode_16_64 0
		.amdhsa_float_denorm_mode_32 3
		.amdhsa_float_denorm_mode_16_64 3
		.amdhsa_fp16_overflow 0
		.amdhsa_memory_ordered 1
		.amdhsa_forward_progress 1
		.amdhsa_inst_pref_size 0
		.amdhsa_round_robin_scheduling 0
		.amdhsa_exception_fp_ieee_invalid_op 0
		.amdhsa_exception_fp_denorm_src 0
		.amdhsa_exception_fp_ieee_div_zero 0
		.amdhsa_exception_fp_ieee_overflow 0
		.amdhsa_exception_fp_ieee_underflow 0
		.amdhsa_exception_fp_ieee_inexact 0
		.amdhsa_exception_int_div_zero 0
	.end_amdhsa_kernel
	.section	.text._ZN7rocprim17ROCPRIM_400000_NS6detail17trampoline_kernelINS0_14default_configENS1_25transform_config_selectorIlLb0EEEZNS1_14transform_implILb0ES3_S5_NS0_18transform_iteratorINS0_17counting_iteratorImlEEZNS1_24adjacent_difference_implIS3_Lb1ELb0EPlSB_ZN2at6native12_GLOBAL__N_124unique_dim_cuda_templateIjEESt5tupleIJNSC_6TensorESH_SH_EERKSH_lbbbEUlllE1_EE10hipError_tPvRmT2_T3_mT4_P12ihipStream_tbEUlmE_lEESB_NS0_8identityIvEEEESM_SP_SQ_mSR_ST_bEUlT_E_NS1_11comp_targetILNS1_3genE3ELNS1_11target_archE908ELNS1_3gpuE7ELNS1_3repE0EEENS1_30default_config_static_selectorELNS0_4arch9wavefront6targetE0EEEvT1_,"axG",@progbits,_ZN7rocprim17ROCPRIM_400000_NS6detail17trampoline_kernelINS0_14default_configENS1_25transform_config_selectorIlLb0EEEZNS1_14transform_implILb0ES3_S5_NS0_18transform_iteratorINS0_17counting_iteratorImlEEZNS1_24adjacent_difference_implIS3_Lb1ELb0EPlSB_ZN2at6native12_GLOBAL__N_124unique_dim_cuda_templateIjEESt5tupleIJNSC_6TensorESH_SH_EERKSH_lbbbEUlllE1_EE10hipError_tPvRmT2_T3_mT4_P12ihipStream_tbEUlmE_lEESB_NS0_8identityIvEEEESM_SP_SQ_mSR_ST_bEUlT_E_NS1_11comp_targetILNS1_3genE3ELNS1_11target_archE908ELNS1_3gpuE7ELNS1_3repE0EEENS1_30default_config_static_selectorELNS0_4arch9wavefront6targetE0EEEvT1_,comdat
.Lfunc_end1527:
	.size	_ZN7rocprim17ROCPRIM_400000_NS6detail17trampoline_kernelINS0_14default_configENS1_25transform_config_selectorIlLb0EEEZNS1_14transform_implILb0ES3_S5_NS0_18transform_iteratorINS0_17counting_iteratorImlEEZNS1_24adjacent_difference_implIS3_Lb1ELb0EPlSB_ZN2at6native12_GLOBAL__N_124unique_dim_cuda_templateIjEESt5tupleIJNSC_6TensorESH_SH_EERKSH_lbbbEUlllE1_EE10hipError_tPvRmT2_T3_mT4_P12ihipStream_tbEUlmE_lEESB_NS0_8identityIvEEEESM_SP_SQ_mSR_ST_bEUlT_E_NS1_11comp_targetILNS1_3genE3ELNS1_11target_archE908ELNS1_3gpuE7ELNS1_3repE0EEENS1_30default_config_static_selectorELNS0_4arch9wavefront6targetE0EEEvT1_, .Lfunc_end1527-_ZN7rocprim17ROCPRIM_400000_NS6detail17trampoline_kernelINS0_14default_configENS1_25transform_config_selectorIlLb0EEEZNS1_14transform_implILb0ES3_S5_NS0_18transform_iteratorINS0_17counting_iteratorImlEEZNS1_24adjacent_difference_implIS3_Lb1ELb0EPlSB_ZN2at6native12_GLOBAL__N_124unique_dim_cuda_templateIjEESt5tupleIJNSC_6TensorESH_SH_EERKSH_lbbbEUlllE1_EE10hipError_tPvRmT2_T3_mT4_P12ihipStream_tbEUlmE_lEESB_NS0_8identityIvEEEESM_SP_SQ_mSR_ST_bEUlT_E_NS1_11comp_targetILNS1_3genE3ELNS1_11target_archE908ELNS1_3gpuE7ELNS1_3repE0EEENS1_30default_config_static_selectorELNS0_4arch9wavefront6targetE0EEEvT1_
                                        ; -- End function
	.set _ZN7rocprim17ROCPRIM_400000_NS6detail17trampoline_kernelINS0_14default_configENS1_25transform_config_selectorIlLb0EEEZNS1_14transform_implILb0ES3_S5_NS0_18transform_iteratorINS0_17counting_iteratorImlEEZNS1_24adjacent_difference_implIS3_Lb1ELb0EPlSB_ZN2at6native12_GLOBAL__N_124unique_dim_cuda_templateIjEESt5tupleIJNSC_6TensorESH_SH_EERKSH_lbbbEUlllE1_EE10hipError_tPvRmT2_T3_mT4_P12ihipStream_tbEUlmE_lEESB_NS0_8identityIvEEEESM_SP_SQ_mSR_ST_bEUlT_E_NS1_11comp_targetILNS1_3genE3ELNS1_11target_archE908ELNS1_3gpuE7ELNS1_3repE0EEENS1_30default_config_static_selectorELNS0_4arch9wavefront6targetE0EEEvT1_.num_vgpr, 0
	.set _ZN7rocprim17ROCPRIM_400000_NS6detail17trampoline_kernelINS0_14default_configENS1_25transform_config_selectorIlLb0EEEZNS1_14transform_implILb0ES3_S5_NS0_18transform_iteratorINS0_17counting_iteratorImlEEZNS1_24adjacent_difference_implIS3_Lb1ELb0EPlSB_ZN2at6native12_GLOBAL__N_124unique_dim_cuda_templateIjEESt5tupleIJNSC_6TensorESH_SH_EERKSH_lbbbEUlllE1_EE10hipError_tPvRmT2_T3_mT4_P12ihipStream_tbEUlmE_lEESB_NS0_8identityIvEEEESM_SP_SQ_mSR_ST_bEUlT_E_NS1_11comp_targetILNS1_3genE3ELNS1_11target_archE908ELNS1_3gpuE7ELNS1_3repE0EEENS1_30default_config_static_selectorELNS0_4arch9wavefront6targetE0EEEvT1_.num_agpr, 0
	.set _ZN7rocprim17ROCPRIM_400000_NS6detail17trampoline_kernelINS0_14default_configENS1_25transform_config_selectorIlLb0EEEZNS1_14transform_implILb0ES3_S5_NS0_18transform_iteratorINS0_17counting_iteratorImlEEZNS1_24adjacent_difference_implIS3_Lb1ELb0EPlSB_ZN2at6native12_GLOBAL__N_124unique_dim_cuda_templateIjEESt5tupleIJNSC_6TensorESH_SH_EERKSH_lbbbEUlllE1_EE10hipError_tPvRmT2_T3_mT4_P12ihipStream_tbEUlmE_lEESB_NS0_8identityIvEEEESM_SP_SQ_mSR_ST_bEUlT_E_NS1_11comp_targetILNS1_3genE3ELNS1_11target_archE908ELNS1_3gpuE7ELNS1_3repE0EEENS1_30default_config_static_selectorELNS0_4arch9wavefront6targetE0EEEvT1_.numbered_sgpr, 0
	.set _ZN7rocprim17ROCPRIM_400000_NS6detail17trampoline_kernelINS0_14default_configENS1_25transform_config_selectorIlLb0EEEZNS1_14transform_implILb0ES3_S5_NS0_18transform_iteratorINS0_17counting_iteratorImlEEZNS1_24adjacent_difference_implIS3_Lb1ELb0EPlSB_ZN2at6native12_GLOBAL__N_124unique_dim_cuda_templateIjEESt5tupleIJNSC_6TensorESH_SH_EERKSH_lbbbEUlllE1_EE10hipError_tPvRmT2_T3_mT4_P12ihipStream_tbEUlmE_lEESB_NS0_8identityIvEEEESM_SP_SQ_mSR_ST_bEUlT_E_NS1_11comp_targetILNS1_3genE3ELNS1_11target_archE908ELNS1_3gpuE7ELNS1_3repE0EEENS1_30default_config_static_selectorELNS0_4arch9wavefront6targetE0EEEvT1_.num_named_barrier, 0
	.set _ZN7rocprim17ROCPRIM_400000_NS6detail17trampoline_kernelINS0_14default_configENS1_25transform_config_selectorIlLb0EEEZNS1_14transform_implILb0ES3_S5_NS0_18transform_iteratorINS0_17counting_iteratorImlEEZNS1_24adjacent_difference_implIS3_Lb1ELb0EPlSB_ZN2at6native12_GLOBAL__N_124unique_dim_cuda_templateIjEESt5tupleIJNSC_6TensorESH_SH_EERKSH_lbbbEUlllE1_EE10hipError_tPvRmT2_T3_mT4_P12ihipStream_tbEUlmE_lEESB_NS0_8identityIvEEEESM_SP_SQ_mSR_ST_bEUlT_E_NS1_11comp_targetILNS1_3genE3ELNS1_11target_archE908ELNS1_3gpuE7ELNS1_3repE0EEENS1_30default_config_static_selectorELNS0_4arch9wavefront6targetE0EEEvT1_.private_seg_size, 0
	.set _ZN7rocprim17ROCPRIM_400000_NS6detail17trampoline_kernelINS0_14default_configENS1_25transform_config_selectorIlLb0EEEZNS1_14transform_implILb0ES3_S5_NS0_18transform_iteratorINS0_17counting_iteratorImlEEZNS1_24adjacent_difference_implIS3_Lb1ELb0EPlSB_ZN2at6native12_GLOBAL__N_124unique_dim_cuda_templateIjEESt5tupleIJNSC_6TensorESH_SH_EERKSH_lbbbEUlllE1_EE10hipError_tPvRmT2_T3_mT4_P12ihipStream_tbEUlmE_lEESB_NS0_8identityIvEEEESM_SP_SQ_mSR_ST_bEUlT_E_NS1_11comp_targetILNS1_3genE3ELNS1_11target_archE908ELNS1_3gpuE7ELNS1_3repE0EEENS1_30default_config_static_selectorELNS0_4arch9wavefront6targetE0EEEvT1_.uses_vcc, 0
	.set _ZN7rocprim17ROCPRIM_400000_NS6detail17trampoline_kernelINS0_14default_configENS1_25transform_config_selectorIlLb0EEEZNS1_14transform_implILb0ES3_S5_NS0_18transform_iteratorINS0_17counting_iteratorImlEEZNS1_24adjacent_difference_implIS3_Lb1ELb0EPlSB_ZN2at6native12_GLOBAL__N_124unique_dim_cuda_templateIjEESt5tupleIJNSC_6TensorESH_SH_EERKSH_lbbbEUlllE1_EE10hipError_tPvRmT2_T3_mT4_P12ihipStream_tbEUlmE_lEESB_NS0_8identityIvEEEESM_SP_SQ_mSR_ST_bEUlT_E_NS1_11comp_targetILNS1_3genE3ELNS1_11target_archE908ELNS1_3gpuE7ELNS1_3repE0EEENS1_30default_config_static_selectorELNS0_4arch9wavefront6targetE0EEEvT1_.uses_flat_scratch, 0
	.set _ZN7rocprim17ROCPRIM_400000_NS6detail17trampoline_kernelINS0_14default_configENS1_25transform_config_selectorIlLb0EEEZNS1_14transform_implILb0ES3_S5_NS0_18transform_iteratorINS0_17counting_iteratorImlEEZNS1_24adjacent_difference_implIS3_Lb1ELb0EPlSB_ZN2at6native12_GLOBAL__N_124unique_dim_cuda_templateIjEESt5tupleIJNSC_6TensorESH_SH_EERKSH_lbbbEUlllE1_EE10hipError_tPvRmT2_T3_mT4_P12ihipStream_tbEUlmE_lEESB_NS0_8identityIvEEEESM_SP_SQ_mSR_ST_bEUlT_E_NS1_11comp_targetILNS1_3genE3ELNS1_11target_archE908ELNS1_3gpuE7ELNS1_3repE0EEENS1_30default_config_static_selectorELNS0_4arch9wavefront6targetE0EEEvT1_.has_dyn_sized_stack, 0
	.set _ZN7rocprim17ROCPRIM_400000_NS6detail17trampoline_kernelINS0_14default_configENS1_25transform_config_selectorIlLb0EEEZNS1_14transform_implILb0ES3_S5_NS0_18transform_iteratorINS0_17counting_iteratorImlEEZNS1_24adjacent_difference_implIS3_Lb1ELb0EPlSB_ZN2at6native12_GLOBAL__N_124unique_dim_cuda_templateIjEESt5tupleIJNSC_6TensorESH_SH_EERKSH_lbbbEUlllE1_EE10hipError_tPvRmT2_T3_mT4_P12ihipStream_tbEUlmE_lEESB_NS0_8identityIvEEEESM_SP_SQ_mSR_ST_bEUlT_E_NS1_11comp_targetILNS1_3genE3ELNS1_11target_archE908ELNS1_3gpuE7ELNS1_3repE0EEENS1_30default_config_static_selectorELNS0_4arch9wavefront6targetE0EEEvT1_.has_recursion, 0
	.set _ZN7rocprim17ROCPRIM_400000_NS6detail17trampoline_kernelINS0_14default_configENS1_25transform_config_selectorIlLb0EEEZNS1_14transform_implILb0ES3_S5_NS0_18transform_iteratorINS0_17counting_iteratorImlEEZNS1_24adjacent_difference_implIS3_Lb1ELb0EPlSB_ZN2at6native12_GLOBAL__N_124unique_dim_cuda_templateIjEESt5tupleIJNSC_6TensorESH_SH_EERKSH_lbbbEUlllE1_EE10hipError_tPvRmT2_T3_mT4_P12ihipStream_tbEUlmE_lEESB_NS0_8identityIvEEEESM_SP_SQ_mSR_ST_bEUlT_E_NS1_11comp_targetILNS1_3genE3ELNS1_11target_archE908ELNS1_3gpuE7ELNS1_3repE0EEENS1_30default_config_static_selectorELNS0_4arch9wavefront6targetE0EEEvT1_.has_indirect_call, 0
	.section	.AMDGPU.csdata,"",@progbits
; Kernel info:
; codeLenInByte = 0
; TotalNumSgprs: 0
; NumVgprs: 0
; ScratchSize: 0
; MemoryBound: 0
; FloatMode: 240
; IeeeMode: 1
; LDSByteSize: 0 bytes/workgroup (compile time only)
; SGPRBlocks: 0
; VGPRBlocks: 0
; NumSGPRsForWavesPerEU: 1
; NumVGPRsForWavesPerEU: 1
; NamedBarCnt: 0
; Occupancy: 16
; WaveLimiterHint : 0
; COMPUTE_PGM_RSRC2:SCRATCH_EN: 0
; COMPUTE_PGM_RSRC2:USER_SGPR: 2
; COMPUTE_PGM_RSRC2:TRAP_HANDLER: 0
; COMPUTE_PGM_RSRC2:TGID_X_EN: 1
; COMPUTE_PGM_RSRC2:TGID_Y_EN: 0
; COMPUTE_PGM_RSRC2:TGID_Z_EN: 0
; COMPUTE_PGM_RSRC2:TIDIG_COMP_CNT: 0
	.section	.text._ZN7rocprim17ROCPRIM_400000_NS6detail17trampoline_kernelINS0_14default_configENS1_25transform_config_selectorIlLb0EEEZNS1_14transform_implILb0ES3_S5_NS0_18transform_iteratorINS0_17counting_iteratorImlEEZNS1_24adjacent_difference_implIS3_Lb1ELb0EPlSB_ZN2at6native12_GLOBAL__N_124unique_dim_cuda_templateIjEESt5tupleIJNSC_6TensorESH_SH_EERKSH_lbbbEUlllE1_EE10hipError_tPvRmT2_T3_mT4_P12ihipStream_tbEUlmE_lEESB_NS0_8identityIvEEEESM_SP_SQ_mSR_ST_bEUlT_E_NS1_11comp_targetILNS1_3genE2ELNS1_11target_archE906ELNS1_3gpuE6ELNS1_3repE0EEENS1_30default_config_static_selectorELNS0_4arch9wavefront6targetE0EEEvT1_,"axG",@progbits,_ZN7rocprim17ROCPRIM_400000_NS6detail17trampoline_kernelINS0_14default_configENS1_25transform_config_selectorIlLb0EEEZNS1_14transform_implILb0ES3_S5_NS0_18transform_iteratorINS0_17counting_iteratorImlEEZNS1_24adjacent_difference_implIS3_Lb1ELb0EPlSB_ZN2at6native12_GLOBAL__N_124unique_dim_cuda_templateIjEESt5tupleIJNSC_6TensorESH_SH_EERKSH_lbbbEUlllE1_EE10hipError_tPvRmT2_T3_mT4_P12ihipStream_tbEUlmE_lEESB_NS0_8identityIvEEEESM_SP_SQ_mSR_ST_bEUlT_E_NS1_11comp_targetILNS1_3genE2ELNS1_11target_archE906ELNS1_3gpuE6ELNS1_3repE0EEENS1_30default_config_static_selectorELNS0_4arch9wavefront6targetE0EEEvT1_,comdat
	.globl	_ZN7rocprim17ROCPRIM_400000_NS6detail17trampoline_kernelINS0_14default_configENS1_25transform_config_selectorIlLb0EEEZNS1_14transform_implILb0ES3_S5_NS0_18transform_iteratorINS0_17counting_iteratorImlEEZNS1_24adjacent_difference_implIS3_Lb1ELb0EPlSB_ZN2at6native12_GLOBAL__N_124unique_dim_cuda_templateIjEESt5tupleIJNSC_6TensorESH_SH_EERKSH_lbbbEUlllE1_EE10hipError_tPvRmT2_T3_mT4_P12ihipStream_tbEUlmE_lEESB_NS0_8identityIvEEEESM_SP_SQ_mSR_ST_bEUlT_E_NS1_11comp_targetILNS1_3genE2ELNS1_11target_archE906ELNS1_3gpuE6ELNS1_3repE0EEENS1_30default_config_static_selectorELNS0_4arch9wavefront6targetE0EEEvT1_ ; -- Begin function _ZN7rocprim17ROCPRIM_400000_NS6detail17trampoline_kernelINS0_14default_configENS1_25transform_config_selectorIlLb0EEEZNS1_14transform_implILb0ES3_S5_NS0_18transform_iteratorINS0_17counting_iteratorImlEEZNS1_24adjacent_difference_implIS3_Lb1ELb0EPlSB_ZN2at6native12_GLOBAL__N_124unique_dim_cuda_templateIjEESt5tupleIJNSC_6TensorESH_SH_EERKSH_lbbbEUlllE1_EE10hipError_tPvRmT2_T3_mT4_P12ihipStream_tbEUlmE_lEESB_NS0_8identityIvEEEESM_SP_SQ_mSR_ST_bEUlT_E_NS1_11comp_targetILNS1_3genE2ELNS1_11target_archE906ELNS1_3gpuE6ELNS1_3repE0EEENS1_30default_config_static_selectorELNS0_4arch9wavefront6targetE0EEEvT1_
	.p2align	8
	.type	_ZN7rocprim17ROCPRIM_400000_NS6detail17trampoline_kernelINS0_14default_configENS1_25transform_config_selectorIlLb0EEEZNS1_14transform_implILb0ES3_S5_NS0_18transform_iteratorINS0_17counting_iteratorImlEEZNS1_24adjacent_difference_implIS3_Lb1ELb0EPlSB_ZN2at6native12_GLOBAL__N_124unique_dim_cuda_templateIjEESt5tupleIJNSC_6TensorESH_SH_EERKSH_lbbbEUlllE1_EE10hipError_tPvRmT2_T3_mT4_P12ihipStream_tbEUlmE_lEESB_NS0_8identityIvEEEESM_SP_SQ_mSR_ST_bEUlT_E_NS1_11comp_targetILNS1_3genE2ELNS1_11target_archE906ELNS1_3gpuE6ELNS1_3repE0EEENS1_30default_config_static_selectorELNS0_4arch9wavefront6targetE0EEEvT1_,@function
_ZN7rocprim17ROCPRIM_400000_NS6detail17trampoline_kernelINS0_14default_configENS1_25transform_config_selectorIlLb0EEEZNS1_14transform_implILb0ES3_S5_NS0_18transform_iteratorINS0_17counting_iteratorImlEEZNS1_24adjacent_difference_implIS3_Lb1ELb0EPlSB_ZN2at6native12_GLOBAL__N_124unique_dim_cuda_templateIjEESt5tupleIJNSC_6TensorESH_SH_EERKSH_lbbbEUlllE1_EE10hipError_tPvRmT2_T3_mT4_P12ihipStream_tbEUlmE_lEESB_NS0_8identityIvEEEESM_SP_SQ_mSR_ST_bEUlT_E_NS1_11comp_targetILNS1_3genE2ELNS1_11target_archE906ELNS1_3gpuE6ELNS1_3repE0EEENS1_30default_config_static_selectorELNS0_4arch9wavefront6targetE0EEEvT1_: ; @_ZN7rocprim17ROCPRIM_400000_NS6detail17trampoline_kernelINS0_14default_configENS1_25transform_config_selectorIlLb0EEEZNS1_14transform_implILb0ES3_S5_NS0_18transform_iteratorINS0_17counting_iteratorImlEEZNS1_24adjacent_difference_implIS3_Lb1ELb0EPlSB_ZN2at6native12_GLOBAL__N_124unique_dim_cuda_templateIjEESt5tupleIJNSC_6TensorESH_SH_EERKSH_lbbbEUlllE1_EE10hipError_tPvRmT2_T3_mT4_P12ihipStream_tbEUlmE_lEESB_NS0_8identityIvEEEESM_SP_SQ_mSR_ST_bEUlT_E_NS1_11comp_targetILNS1_3genE2ELNS1_11target_archE906ELNS1_3gpuE6ELNS1_3repE0EEENS1_30default_config_static_selectorELNS0_4arch9wavefront6targetE0EEEvT1_
; %bb.0:
	.section	.rodata,"a",@progbits
	.p2align	6, 0x0
	.amdhsa_kernel _ZN7rocprim17ROCPRIM_400000_NS6detail17trampoline_kernelINS0_14default_configENS1_25transform_config_selectorIlLb0EEEZNS1_14transform_implILb0ES3_S5_NS0_18transform_iteratorINS0_17counting_iteratorImlEEZNS1_24adjacent_difference_implIS3_Lb1ELb0EPlSB_ZN2at6native12_GLOBAL__N_124unique_dim_cuda_templateIjEESt5tupleIJNSC_6TensorESH_SH_EERKSH_lbbbEUlllE1_EE10hipError_tPvRmT2_T3_mT4_P12ihipStream_tbEUlmE_lEESB_NS0_8identityIvEEEESM_SP_SQ_mSR_ST_bEUlT_E_NS1_11comp_targetILNS1_3genE2ELNS1_11target_archE906ELNS1_3gpuE6ELNS1_3repE0EEENS1_30default_config_static_selectorELNS0_4arch9wavefront6targetE0EEEvT1_
		.amdhsa_group_segment_fixed_size 0
		.amdhsa_private_segment_fixed_size 0
		.amdhsa_kernarg_size 56
		.amdhsa_user_sgpr_count 2
		.amdhsa_user_sgpr_dispatch_ptr 0
		.amdhsa_user_sgpr_queue_ptr 0
		.amdhsa_user_sgpr_kernarg_segment_ptr 1
		.amdhsa_user_sgpr_dispatch_id 0
		.amdhsa_user_sgpr_kernarg_preload_length 0
		.amdhsa_user_sgpr_kernarg_preload_offset 0
		.amdhsa_user_sgpr_private_segment_size 0
		.amdhsa_wavefront_size32 1
		.amdhsa_uses_dynamic_stack 0
		.amdhsa_enable_private_segment 0
		.amdhsa_system_sgpr_workgroup_id_x 1
		.amdhsa_system_sgpr_workgroup_id_y 0
		.amdhsa_system_sgpr_workgroup_id_z 0
		.amdhsa_system_sgpr_workgroup_info 0
		.amdhsa_system_vgpr_workitem_id 0
		.amdhsa_next_free_vgpr 1
		.amdhsa_next_free_sgpr 1
		.amdhsa_named_barrier_count 0
		.amdhsa_reserve_vcc 0
		.amdhsa_float_round_mode_32 0
		.amdhsa_float_round_mode_16_64 0
		.amdhsa_float_denorm_mode_32 3
		.amdhsa_float_denorm_mode_16_64 3
		.amdhsa_fp16_overflow 0
		.amdhsa_memory_ordered 1
		.amdhsa_forward_progress 1
		.amdhsa_inst_pref_size 0
		.amdhsa_round_robin_scheduling 0
		.amdhsa_exception_fp_ieee_invalid_op 0
		.amdhsa_exception_fp_denorm_src 0
		.amdhsa_exception_fp_ieee_div_zero 0
		.amdhsa_exception_fp_ieee_overflow 0
		.amdhsa_exception_fp_ieee_underflow 0
		.amdhsa_exception_fp_ieee_inexact 0
		.amdhsa_exception_int_div_zero 0
	.end_amdhsa_kernel
	.section	.text._ZN7rocprim17ROCPRIM_400000_NS6detail17trampoline_kernelINS0_14default_configENS1_25transform_config_selectorIlLb0EEEZNS1_14transform_implILb0ES3_S5_NS0_18transform_iteratorINS0_17counting_iteratorImlEEZNS1_24adjacent_difference_implIS3_Lb1ELb0EPlSB_ZN2at6native12_GLOBAL__N_124unique_dim_cuda_templateIjEESt5tupleIJNSC_6TensorESH_SH_EERKSH_lbbbEUlllE1_EE10hipError_tPvRmT2_T3_mT4_P12ihipStream_tbEUlmE_lEESB_NS0_8identityIvEEEESM_SP_SQ_mSR_ST_bEUlT_E_NS1_11comp_targetILNS1_3genE2ELNS1_11target_archE906ELNS1_3gpuE6ELNS1_3repE0EEENS1_30default_config_static_selectorELNS0_4arch9wavefront6targetE0EEEvT1_,"axG",@progbits,_ZN7rocprim17ROCPRIM_400000_NS6detail17trampoline_kernelINS0_14default_configENS1_25transform_config_selectorIlLb0EEEZNS1_14transform_implILb0ES3_S5_NS0_18transform_iteratorINS0_17counting_iteratorImlEEZNS1_24adjacent_difference_implIS3_Lb1ELb0EPlSB_ZN2at6native12_GLOBAL__N_124unique_dim_cuda_templateIjEESt5tupleIJNSC_6TensorESH_SH_EERKSH_lbbbEUlllE1_EE10hipError_tPvRmT2_T3_mT4_P12ihipStream_tbEUlmE_lEESB_NS0_8identityIvEEEESM_SP_SQ_mSR_ST_bEUlT_E_NS1_11comp_targetILNS1_3genE2ELNS1_11target_archE906ELNS1_3gpuE6ELNS1_3repE0EEENS1_30default_config_static_selectorELNS0_4arch9wavefront6targetE0EEEvT1_,comdat
.Lfunc_end1528:
	.size	_ZN7rocprim17ROCPRIM_400000_NS6detail17trampoline_kernelINS0_14default_configENS1_25transform_config_selectorIlLb0EEEZNS1_14transform_implILb0ES3_S5_NS0_18transform_iteratorINS0_17counting_iteratorImlEEZNS1_24adjacent_difference_implIS3_Lb1ELb0EPlSB_ZN2at6native12_GLOBAL__N_124unique_dim_cuda_templateIjEESt5tupleIJNSC_6TensorESH_SH_EERKSH_lbbbEUlllE1_EE10hipError_tPvRmT2_T3_mT4_P12ihipStream_tbEUlmE_lEESB_NS0_8identityIvEEEESM_SP_SQ_mSR_ST_bEUlT_E_NS1_11comp_targetILNS1_3genE2ELNS1_11target_archE906ELNS1_3gpuE6ELNS1_3repE0EEENS1_30default_config_static_selectorELNS0_4arch9wavefront6targetE0EEEvT1_, .Lfunc_end1528-_ZN7rocprim17ROCPRIM_400000_NS6detail17trampoline_kernelINS0_14default_configENS1_25transform_config_selectorIlLb0EEEZNS1_14transform_implILb0ES3_S5_NS0_18transform_iteratorINS0_17counting_iteratorImlEEZNS1_24adjacent_difference_implIS3_Lb1ELb0EPlSB_ZN2at6native12_GLOBAL__N_124unique_dim_cuda_templateIjEESt5tupleIJNSC_6TensorESH_SH_EERKSH_lbbbEUlllE1_EE10hipError_tPvRmT2_T3_mT4_P12ihipStream_tbEUlmE_lEESB_NS0_8identityIvEEEESM_SP_SQ_mSR_ST_bEUlT_E_NS1_11comp_targetILNS1_3genE2ELNS1_11target_archE906ELNS1_3gpuE6ELNS1_3repE0EEENS1_30default_config_static_selectorELNS0_4arch9wavefront6targetE0EEEvT1_
                                        ; -- End function
	.set _ZN7rocprim17ROCPRIM_400000_NS6detail17trampoline_kernelINS0_14default_configENS1_25transform_config_selectorIlLb0EEEZNS1_14transform_implILb0ES3_S5_NS0_18transform_iteratorINS0_17counting_iteratorImlEEZNS1_24adjacent_difference_implIS3_Lb1ELb0EPlSB_ZN2at6native12_GLOBAL__N_124unique_dim_cuda_templateIjEESt5tupleIJNSC_6TensorESH_SH_EERKSH_lbbbEUlllE1_EE10hipError_tPvRmT2_T3_mT4_P12ihipStream_tbEUlmE_lEESB_NS0_8identityIvEEEESM_SP_SQ_mSR_ST_bEUlT_E_NS1_11comp_targetILNS1_3genE2ELNS1_11target_archE906ELNS1_3gpuE6ELNS1_3repE0EEENS1_30default_config_static_selectorELNS0_4arch9wavefront6targetE0EEEvT1_.num_vgpr, 0
	.set _ZN7rocprim17ROCPRIM_400000_NS6detail17trampoline_kernelINS0_14default_configENS1_25transform_config_selectorIlLb0EEEZNS1_14transform_implILb0ES3_S5_NS0_18transform_iteratorINS0_17counting_iteratorImlEEZNS1_24adjacent_difference_implIS3_Lb1ELb0EPlSB_ZN2at6native12_GLOBAL__N_124unique_dim_cuda_templateIjEESt5tupleIJNSC_6TensorESH_SH_EERKSH_lbbbEUlllE1_EE10hipError_tPvRmT2_T3_mT4_P12ihipStream_tbEUlmE_lEESB_NS0_8identityIvEEEESM_SP_SQ_mSR_ST_bEUlT_E_NS1_11comp_targetILNS1_3genE2ELNS1_11target_archE906ELNS1_3gpuE6ELNS1_3repE0EEENS1_30default_config_static_selectorELNS0_4arch9wavefront6targetE0EEEvT1_.num_agpr, 0
	.set _ZN7rocprim17ROCPRIM_400000_NS6detail17trampoline_kernelINS0_14default_configENS1_25transform_config_selectorIlLb0EEEZNS1_14transform_implILb0ES3_S5_NS0_18transform_iteratorINS0_17counting_iteratorImlEEZNS1_24adjacent_difference_implIS3_Lb1ELb0EPlSB_ZN2at6native12_GLOBAL__N_124unique_dim_cuda_templateIjEESt5tupleIJNSC_6TensorESH_SH_EERKSH_lbbbEUlllE1_EE10hipError_tPvRmT2_T3_mT4_P12ihipStream_tbEUlmE_lEESB_NS0_8identityIvEEEESM_SP_SQ_mSR_ST_bEUlT_E_NS1_11comp_targetILNS1_3genE2ELNS1_11target_archE906ELNS1_3gpuE6ELNS1_3repE0EEENS1_30default_config_static_selectorELNS0_4arch9wavefront6targetE0EEEvT1_.numbered_sgpr, 0
	.set _ZN7rocprim17ROCPRIM_400000_NS6detail17trampoline_kernelINS0_14default_configENS1_25transform_config_selectorIlLb0EEEZNS1_14transform_implILb0ES3_S5_NS0_18transform_iteratorINS0_17counting_iteratorImlEEZNS1_24adjacent_difference_implIS3_Lb1ELb0EPlSB_ZN2at6native12_GLOBAL__N_124unique_dim_cuda_templateIjEESt5tupleIJNSC_6TensorESH_SH_EERKSH_lbbbEUlllE1_EE10hipError_tPvRmT2_T3_mT4_P12ihipStream_tbEUlmE_lEESB_NS0_8identityIvEEEESM_SP_SQ_mSR_ST_bEUlT_E_NS1_11comp_targetILNS1_3genE2ELNS1_11target_archE906ELNS1_3gpuE6ELNS1_3repE0EEENS1_30default_config_static_selectorELNS0_4arch9wavefront6targetE0EEEvT1_.num_named_barrier, 0
	.set _ZN7rocprim17ROCPRIM_400000_NS6detail17trampoline_kernelINS0_14default_configENS1_25transform_config_selectorIlLb0EEEZNS1_14transform_implILb0ES3_S5_NS0_18transform_iteratorINS0_17counting_iteratorImlEEZNS1_24adjacent_difference_implIS3_Lb1ELb0EPlSB_ZN2at6native12_GLOBAL__N_124unique_dim_cuda_templateIjEESt5tupleIJNSC_6TensorESH_SH_EERKSH_lbbbEUlllE1_EE10hipError_tPvRmT2_T3_mT4_P12ihipStream_tbEUlmE_lEESB_NS0_8identityIvEEEESM_SP_SQ_mSR_ST_bEUlT_E_NS1_11comp_targetILNS1_3genE2ELNS1_11target_archE906ELNS1_3gpuE6ELNS1_3repE0EEENS1_30default_config_static_selectorELNS0_4arch9wavefront6targetE0EEEvT1_.private_seg_size, 0
	.set _ZN7rocprim17ROCPRIM_400000_NS6detail17trampoline_kernelINS0_14default_configENS1_25transform_config_selectorIlLb0EEEZNS1_14transform_implILb0ES3_S5_NS0_18transform_iteratorINS0_17counting_iteratorImlEEZNS1_24adjacent_difference_implIS3_Lb1ELb0EPlSB_ZN2at6native12_GLOBAL__N_124unique_dim_cuda_templateIjEESt5tupleIJNSC_6TensorESH_SH_EERKSH_lbbbEUlllE1_EE10hipError_tPvRmT2_T3_mT4_P12ihipStream_tbEUlmE_lEESB_NS0_8identityIvEEEESM_SP_SQ_mSR_ST_bEUlT_E_NS1_11comp_targetILNS1_3genE2ELNS1_11target_archE906ELNS1_3gpuE6ELNS1_3repE0EEENS1_30default_config_static_selectorELNS0_4arch9wavefront6targetE0EEEvT1_.uses_vcc, 0
	.set _ZN7rocprim17ROCPRIM_400000_NS6detail17trampoline_kernelINS0_14default_configENS1_25transform_config_selectorIlLb0EEEZNS1_14transform_implILb0ES3_S5_NS0_18transform_iteratorINS0_17counting_iteratorImlEEZNS1_24adjacent_difference_implIS3_Lb1ELb0EPlSB_ZN2at6native12_GLOBAL__N_124unique_dim_cuda_templateIjEESt5tupleIJNSC_6TensorESH_SH_EERKSH_lbbbEUlllE1_EE10hipError_tPvRmT2_T3_mT4_P12ihipStream_tbEUlmE_lEESB_NS0_8identityIvEEEESM_SP_SQ_mSR_ST_bEUlT_E_NS1_11comp_targetILNS1_3genE2ELNS1_11target_archE906ELNS1_3gpuE6ELNS1_3repE0EEENS1_30default_config_static_selectorELNS0_4arch9wavefront6targetE0EEEvT1_.uses_flat_scratch, 0
	.set _ZN7rocprim17ROCPRIM_400000_NS6detail17trampoline_kernelINS0_14default_configENS1_25transform_config_selectorIlLb0EEEZNS1_14transform_implILb0ES3_S5_NS0_18transform_iteratorINS0_17counting_iteratorImlEEZNS1_24adjacent_difference_implIS3_Lb1ELb0EPlSB_ZN2at6native12_GLOBAL__N_124unique_dim_cuda_templateIjEESt5tupleIJNSC_6TensorESH_SH_EERKSH_lbbbEUlllE1_EE10hipError_tPvRmT2_T3_mT4_P12ihipStream_tbEUlmE_lEESB_NS0_8identityIvEEEESM_SP_SQ_mSR_ST_bEUlT_E_NS1_11comp_targetILNS1_3genE2ELNS1_11target_archE906ELNS1_3gpuE6ELNS1_3repE0EEENS1_30default_config_static_selectorELNS0_4arch9wavefront6targetE0EEEvT1_.has_dyn_sized_stack, 0
	.set _ZN7rocprim17ROCPRIM_400000_NS6detail17trampoline_kernelINS0_14default_configENS1_25transform_config_selectorIlLb0EEEZNS1_14transform_implILb0ES3_S5_NS0_18transform_iteratorINS0_17counting_iteratorImlEEZNS1_24adjacent_difference_implIS3_Lb1ELb0EPlSB_ZN2at6native12_GLOBAL__N_124unique_dim_cuda_templateIjEESt5tupleIJNSC_6TensorESH_SH_EERKSH_lbbbEUlllE1_EE10hipError_tPvRmT2_T3_mT4_P12ihipStream_tbEUlmE_lEESB_NS0_8identityIvEEEESM_SP_SQ_mSR_ST_bEUlT_E_NS1_11comp_targetILNS1_3genE2ELNS1_11target_archE906ELNS1_3gpuE6ELNS1_3repE0EEENS1_30default_config_static_selectorELNS0_4arch9wavefront6targetE0EEEvT1_.has_recursion, 0
	.set _ZN7rocprim17ROCPRIM_400000_NS6detail17trampoline_kernelINS0_14default_configENS1_25transform_config_selectorIlLb0EEEZNS1_14transform_implILb0ES3_S5_NS0_18transform_iteratorINS0_17counting_iteratorImlEEZNS1_24adjacent_difference_implIS3_Lb1ELb0EPlSB_ZN2at6native12_GLOBAL__N_124unique_dim_cuda_templateIjEESt5tupleIJNSC_6TensorESH_SH_EERKSH_lbbbEUlllE1_EE10hipError_tPvRmT2_T3_mT4_P12ihipStream_tbEUlmE_lEESB_NS0_8identityIvEEEESM_SP_SQ_mSR_ST_bEUlT_E_NS1_11comp_targetILNS1_3genE2ELNS1_11target_archE906ELNS1_3gpuE6ELNS1_3repE0EEENS1_30default_config_static_selectorELNS0_4arch9wavefront6targetE0EEEvT1_.has_indirect_call, 0
	.section	.AMDGPU.csdata,"",@progbits
; Kernel info:
; codeLenInByte = 0
; TotalNumSgprs: 0
; NumVgprs: 0
; ScratchSize: 0
; MemoryBound: 0
; FloatMode: 240
; IeeeMode: 1
; LDSByteSize: 0 bytes/workgroup (compile time only)
; SGPRBlocks: 0
; VGPRBlocks: 0
; NumSGPRsForWavesPerEU: 1
; NumVGPRsForWavesPerEU: 1
; NamedBarCnt: 0
; Occupancy: 16
; WaveLimiterHint : 0
; COMPUTE_PGM_RSRC2:SCRATCH_EN: 0
; COMPUTE_PGM_RSRC2:USER_SGPR: 2
; COMPUTE_PGM_RSRC2:TRAP_HANDLER: 0
; COMPUTE_PGM_RSRC2:TGID_X_EN: 1
; COMPUTE_PGM_RSRC2:TGID_Y_EN: 0
; COMPUTE_PGM_RSRC2:TGID_Z_EN: 0
; COMPUTE_PGM_RSRC2:TIDIG_COMP_CNT: 0
	.section	.text._ZN7rocprim17ROCPRIM_400000_NS6detail17trampoline_kernelINS0_14default_configENS1_25transform_config_selectorIlLb0EEEZNS1_14transform_implILb0ES3_S5_NS0_18transform_iteratorINS0_17counting_iteratorImlEEZNS1_24adjacent_difference_implIS3_Lb1ELb0EPlSB_ZN2at6native12_GLOBAL__N_124unique_dim_cuda_templateIjEESt5tupleIJNSC_6TensorESH_SH_EERKSH_lbbbEUlllE1_EE10hipError_tPvRmT2_T3_mT4_P12ihipStream_tbEUlmE_lEESB_NS0_8identityIvEEEESM_SP_SQ_mSR_ST_bEUlT_E_NS1_11comp_targetILNS1_3genE10ELNS1_11target_archE1201ELNS1_3gpuE5ELNS1_3repE0EEENS1_30default_config_static_selectorELNS0_4arch9wavefront6targetE0EEEvT1_,"axG",@progbits,_ZN7rocprim17ROCPRIM_400000_NS6detail17trampoline_kernelINS0_14default_configENS1_25transform_config_selectorIlLb0EEEZNS1_14transform_implILb0ES3_S5_NS0_18transform_iteratorINS0_17counting_iteratorImlEEZNS1_24adjacent_difference_implIS3_Lb1ELb0EPlSB_ZN2at6native12_GLOBAL__N_124unique_dim_cuda_templateIjEESt5tupleIJNSC_6TensorESH_SH_EERKSH_lbbbEUlllE1_EE10hipError_tPvRmT2_T3_mT4_P12ihipStream_tbEUlmE_lEESB_NS0_8identityIvEEEESM_SP_SQ_mSR_ST_bEUlT_E_NS1_11comp_targetILNS1_3genE10ELNS1_11target_archE1201ELNS1_3gpuE5ELNS1_3repE0EEENS1_30default_config_static_selectorELNS0_4arch9wavefront6targetE0EEEvT1_,comdat
	.globl	_ZN7rocprim17ROCPRIM_400000_NS6detail17trampoline_kernelINS0_14default_configENS1_25transform_config_selectorIlLb0EEEZNS1_14transform_implILb0ES3_S5_NS0_18transform_iteratorINS0_17counting_iteratorImlEEZNS1_24adjacent_difference_implIS3_Lb1ELb0EPlSB_ZN2at6native12_GLOBAL__N_124unique_dim_cuda_templateIjEESt5tupleIJNSC_6TensorESH_SH_EERKSH_lbbbEUlllE1_EE10hipError_tPvRmT2_T3_mT4_P12ihipStream_tbEUlmE_lEESB_NS0_8identityIvEEEESM_SP_SQ_mSR_ST_bEUlT_E_NS1_11comp_targetILNS1_3genE10ELNS1_11target_archE1201ELNS1_3gpuE5ELNS1_3repE0EEENS1_30default_config_static_selectorELNS0_4arch9wavefront6targetE0EEEvT1_ ; -- Begin function _ZN7rocprim17ROCPRIM_400000_NS6detail17trampoline_kernelINS0_14default_configENS1_25transform_config_selectorIlLb0EEEZNS1_14transform_implILb0ES3_S5_NS0_18transform_iteratorINS0_17counting_iteratorImlEEZNS1_24adjacent_difference_implIS3_Lb1ELb0EPlSB_ZN2at6native12_GLOBAL__N_124unique_dim_cuda_templateIjEESt5tupleIJNSC_6TensorESH_SH_EERKSH_lbbbEUlllE1_EE10hipError_tPvRmT2_T3_mT4_P12ihipStream_tbEUlmE_lEESB_NS0_8identityIvEEEESM_SP_SQ_mSR_ST_bEUlT_E_NS1_11comp_targetILNS1_3genE10ELNS1_11target_archE1201ELNS1_3gpuE5ELNS1_3repE0EEENS1_30default_config_static_selectorELNS0_4arch9wavefront6targetE0EEEvT1_
	.p2align	8
	.type	_ZN7rocprim17ROCPRIM_400000_NS6detail17trampoline_kernelINS0_14default_configENS1_25transform_config_selectorIlLb0EEEZNS1_14transform_implILb0ES3_S5_NS0_18transform_iteratorINS0_17counting_iteratorImlEEZNS1_24adjacent_difference_implIS3_Lb1ELb0EPlSB_ZN2at6native12_GLOBAL__N_124unique_dim_cuda_templateIjEESt5tupleIJNSC_6TensorESH_SH_EERKSH_lbbbEUlllE1_EE10hipError_tPvRmT2_T3_mT4_P12ihipStream_tbEUlmE_lEESB_NS0_8identityIvEEEESM_SP_SQ_mSR_ST_bEUlT_E_NS1_11comp_targetILNS1_3genE10ELNS1_11target_archE1201ELNS1_3gpuE5ELNS1_3repE0EEENS1_30default_config_static_selectorELNS0_4arch9wavefront6targetE0EEEvT1_,@function
_ZN7rocprim17ROCPRIM_400000_NS6detail17trampoline_kernelINS0_14default_configENS1_25transform_config_selectorIlLb0EEEZNS1_14transform_implILb0ES3_S5_NS0_18transform_iteratorINS0_17counting_iteratorImlEEZNS1_24adjacent_difference_implIS3_Lb1ELb0EPlSB_ZN2at6native12_GLOBAL__N_124unique_dim_cuda_templateIjEESt5tupleIJNSC_6TensorESH_SH_EERKSH_lbbbEUlllE1_EE10hipError_tPvRmT2_T3_mT4_P12ihipStream_tbEUlmE_lEESB_NS0_8identityIvEEEESM_SP_SQ_mSR_ST_bEUlT_E_NS1_11comp_targetILNS1_3genE10ELNS1_11target_archE1201ELNS1_3gpuE5ELNS1_3repE0EEENS1_30default_config_static_selectorELNS0_4arch9wavefront6targetE0EEEvT1_: ; @_ZN7rocprim17ROCPRIM_400000_NS6detail17trampoline_kernelINS0_14default_configENS1_25transform_config_selectorIlLb0EEEZNS1_14transform_implILb0ES3_S5_NS0_18transform_iteratorINS0_17counting_iteratorImlEEZNS1_24adjacent_difference_implIS3_Lb1ELb0EPlSB_ZN2at6native12_GLOBAL__N_124unique_dim_cuda_templateIjEESt5tupleIJNSC_6TensorESH_SH_EERKSH_lbbbEUlllE1_EE10hipError_tPvRmT2_T3_mT4_P12ihipStream_tbEUlmE_lEESB_NS0_8identityIvEEEESM_SP_SQ_mSR_ST_bEUlT_E_NS1_11comp_targetILNS1_3genE10ELNS1_11target_archE1201ELNS1_3gpuE5ELNS1_3repE0EEENS1_30default_config_static_selectorELNS0_4arch9wavefront6targetE0EEEvT1_
; %bb.0:
	.section	.rodata,"a",@progbits
	.p2align	6, 0x0
	.amdhsa_kernel _ZN7rocprim17ROCPRIM_400000_NS6detail17trampoline_kernelINS0_14default_configENS1_25transform_config_selectorIlLb0EEEZNS1_14transform_implILb0ES3_S5_NS0_18transform_iteratorINS0_17counting_iteratorImlEEZNS1_24adjacent_difference_implIS3_Lb1ELb0EPlSB_ZN2at6native12_GLOBAL__N_124unique_dim_cuda_templateIjEESt5tupleIJNSC_6TensorESH_SH_EERKSH_lbbbEUlllE1_EE10hipError_tPvRmT2_T3_mT4_P12ihipStream_tbEUlmE_lEESB_NS0_8identityIvEEEESM_SP_SQ_mSR_ST_bEUlT_E_NS1_11comp_targetILNS1_3genE10ELNS1_11target_archE1201ELNS1_3gpuE5ELNS1_3repE0EEENS1_30default_config_static_selectorELNS0_4arch9wavefront6targetE0EEEvT1_
		.amdhsa_group_segment_fixed_size 0
		.amdhsa_private_segment_fixed_size 0
		.amdhsa_kernarg_size 56
		.amdhsa_user_sgpr_count 2
		.amdhsa_user_sgpr_dispatch_ptr 0
		.amdhsa_user_sgpr_queue_ptr 0
		.amdhsa_user_sgpr_kernarg_segment_ptr 1
		.amdhsa_user_sgpr_dispatch_id 0
		.amdhsa_user_sgpr_kernarg_preload_length 0
		.amdhsa_user_sgpr_kernarg_preload_offset 0
		.amdhsa_user_sgpr_private_segment_size 0
		.amdhsa_wavefront_size32 1
		.amdhsa_uses_dynamic_stack 0
		.amdhsa_enable_private_segment 0
		.amdhsa_system_sgpr_workgroup_id_x 1
		.amdhsa_system_sgpr_workgroup_id_y 0
		.amdhsa_system_sgpr_workgroup_id_z 0
		.amdhsa_system_sgpr_workgroup_info 0
		.amdhsa_system_vgpr_workitem_id 0
		.amdhsa_next_free_vgpr 1
		.amdhsa_next_free_sgpr 1
		.amdhsa_named_barrier_count 0
		.amdhsa_reserve_vcc 0
		.amdhsa_float_round_mode_32 0
		.amdhsa_float_round_mode_16_64 0
		.amdhsa_float_denorm_mode_32 3
		.amdhsa_float_denorm_mode_16_64 3
		.amdhsa_fp16_overflow 0
		.amdhsa_memory_ordered 1
		.amdhsa_forward_progress 1
		.amdhsa_inst_pref_size 0
		.amdhsa_round_robin_scheduling 0
		.amdhsa_exception_fp_ieee_invalid_op 0
		.amdhsa_exception_fp_denorm_src 0
		.amdhsa_exception_fp_ieee_div_zero 0
		.amdhsa_exception_fp_ieee_overflow 0
		.amdhsa_exception_fp_ieee_underflow 0
		.amdhsa_exception_fp_ieee_inexact 0
		.amdhsa_exception_int_div_zero 0
	.end_amdhsa_kernel
	.section	.text._ZN7rocprim17ROCPRIM_400000_NS6detail17trampoline_kernelINS0_14default_configENS1_25transform_config_selectorIlLb0EEEZNS1_14transform_implILb0ES3_S5_NS0_18transform_iteratorINS0_17counting_iteratorImlEEZNS1_24adjacent_difference_implIS3_Lb1ELb0EPlSB_ZN2at6native12_GLOBAL__N_124unique_dim_cuda_templateIjEESt5tupleIJNSC_6TensorESH_SH_EERKSH_lbbbEUlllE1_EE10hipError_tPvRmT2_T3_mT4_P12ihipStream_tbEUlmE_lEESB_NS0_8identityIvEEEESM_SP_SQ_mSR_ST_bEUlT_E_NS1_11comp_targetILNS1_3genE10ELNS1_11target_archE1201ELNS1_3gpuE5ELNS1_3repE0EEENS1_30default_config_static_selectorELNS0_4arch9wavefront6targetE0EEEvT1_,"axG",@progbits,_ZN7rocprim17ROCPRIM_400000_NS6detail17trampoline_kernelINS0_14default_configENS1_25transform_config_selectorIlLb0EEEZNS1_14transform_implILb0ES3_S5_NS0_18transform_iteratorINS0_17counting_iteratorImlEEZNS1_24adjacent_difference_implIS3_Lb1ELb0EPlSB_ZN2at6native12_GLOBAL__N_124unique_dim_cuda_templateIjEESt5tupleIJNSC_6TensorESH_SH_EERKSH_lbbbEUlllE1_EE10hipError_tPvRmT2_T3_mT4_P12ihipStream_tbEUlmE_lEESB_NS0_8identityIvEEEESM_SP_SQ_mSR_ST_bEUlT_E_NS1_11comp_targetILNS1_3genE10ELNS1_11target_archE1201ELNS1_3gpuE5ELNS1_3repE0EEENS1_30default_config_static_selectorELNS0_4arch9wavefront6targetE0EEEvT1_,comdat
.Lfunc_end1529:
	.size	_ZN7rocprim17ROCPRIM_400000_NS6detail17trampoline_kernelINS0_14default_configENS1_25transform_config_selectorIlLb0EEEZNS1_14transform_implILb0ES3_S5_NS0_18transform_iteratorINS0_17counting_iteratorImlEEZNS1_24adjacent_difference_implIS3_Lb1ELb0EPlSB_ZN2at6native12_GLOBAL__N_124unique_dim_cuda_templateIjEESt5tupleIJNSC_6TensorESH_SH_EERKSH_lbbbEUlllE1_EE10hipError_tPvRmT2_T3_mT4_P12ihipStream_tbEUlmE_lEESB_NS0_8identityIvEEEESM_SP_SQ_mSR_ST_bEUlT_E_NS1_11comp_targetILNS1_3genE10ELNS1_11target_archE1201ELNS1_3gpuE5ELNS1_3repE0EEENS1_30default_config_static_selectorELNS0_4arch9wavefront6targetE0EEEvT1_, .Lfunc_end1529-_ZN7rocprim17ROCPRIM_400000_NS6detail17trampoline_kernelINS0_14default_configENS1_25transform_config_selectorIlLb0EEEZNS1_14transform_implILb0ES3_S5_NS0_18transform_iteratorINS0_17counting_iteratorImlEEZNS1_24adjacent_difference_implIS3_Lb1ELb0EPlSB_ZN2at6native12_GLOBAL__N_124unique_dim_cuda_templateIjEESt5tupleIJNSC_6TensorESH_SH_EERKSH_lbbbEUlllE1_EE10hipError_tPvRmT2_T3_mT4_P12ihipStream_tbEUlmE_lEESB_NS0_8identityIvEEEESM_SP_SQ_mSR_ST_bEUlT_E_NS1_11comp_targetILNS1_3genE10ELNS1_11target_archE1201ELNS1_3gpuE5ELNS1_3repE0EEENS1_30default_config_static_selectorELNS0_4arch9wavefront6targetE0EEEvT1_
                                        ; -- End function
	.set _ZN7rocprim17ROCPRIM_400000_NS6detail17trampoline_kernelINS0_14default_configENS1_25transform_config_selectorIlLb0EEEZNS1_14transform_implILb0ES3_S5_NS0_18transform_iteratorINS0_17counting_iteratorImlEEZNS1_24adjacent_difference_implIS3_Lb1ELb0EPlSB_ZN2at6native12_GLOBAL__N_124unique_dim_cuda_templateIjEESt5tupleIJNSC_6TensorESH_SH_EERKSH_lbbbEUlllE1_EE10hipError_tPvRmT2_T3_mT4_P12ihipStream_tbEUlmE_lEESB_NS0_8identityIvEEEESM_SP_SQ_mSR_ST_bEUlT_E_NS1_11comp_targetILNS1_3genE10ELNS1_11target_archE1201ELNS1_3gpuE5ELNS1_3repE0EEENS1_30default_config_static_selectorELNS0_4arch9wavefront6targetE0EEEvT1_.num_vgpr, 0
	.set _ZN7rocprim17ROCPRIM_400000_NS6detail17trampoline_kernelINS0_14default_configENS1_25transform_config_selectorIlLb0EEEZNS1_14transform_implILb0ES3_S5_NS0_18transform_iteratorINS0_17counting_iteratorImlEEZNS1_24adjacent_difference_implIS3_Lb1ELb0EPlSB_ZN2at6native12_GLOBAL__N_124unique_dim_cuda_templateIjEESt5tupleIJNSC_6TensorESH_SH_EERKSH_lbbbEUlllE1_EE10hipError_tPvRmT2_T3_mT4_P12ihipStream_tbEUlmE_lEESB_NS0_8identityIvEEEESM_SP_SQ_mSR_ST_bEUlT_E_NS1_11comp_targetILNS1_3genE10ELNS1_11target_archE1201ELNS1_3gpuE5ELNS1_3repE0EEENS1_30default_config_static_selectorELNS0_4arch9wavefront6targetE0EEEvT1_.num_agpr, 0
	.set _ZN7rocprim17ROCPRIM_400000_NS6detail17trampoline_kernelINS0_14default_configENS1_25transform_config_selectorIlLb0EEEZNS1_14transform_implILb0ES3_S5_NS0_18transform_iteratorINS0_17counting_iteratorImlEEZNS1_24adjacent_difference_implIS3_Lb1ELb0EPlSB_ZN2at6native12_GLOBAL__N_124unique_dim_cuda_templateIjEESt5tupleIJNSC_6TensorESH_SH_EERKSH_lbbbEUlllE1_EE10hipError_tPvRmT2_T3_mT4_P12ihipStream_tbEUlmE_lEESB_NS0_8identityIvEEEESM_SP_SQ_mSR_ST_bEUlT_E_NS1_11comp_targetILNS1_3genE10ELNS1_11target_archE1201ELNS1_3gpuE5ELNS1_3repE0EEENS1_30default_config_static_selectorELNS0_4arch9wavefront6targetE0EEEvT1_.numbered_sgpr, 0
	.set _ZN7rocprim17ROCPRIM_400000_NS6detail17trampoline_kernelINS0_14default_configENS1_25transform_config_selectorIlLb0EEEZNS1_14transform_implILb0ES3_S5_NS0_18transform_iteratorINS0_17counting_iteratorImlEEZNS1_24adjacent_difference_implIS3_Lb1ELb0EPlSB_ZN2at6native12_GLOBAL__N_124unique_dim_cuda_templateIjEESt5tupleIJNSC_6TensorESH_SH_EERKSH_lbbbEUlllE1_EE10hipError_tPvRmT2_T3_mT4_P12ihipStream_tbEUlmE_lEESB_NS0_8identityIvEEEESM_SP_SQ_mSR_ST_bEUlT_E_NS1_11comp_targetILNS1_3genE10ELNS1_11target_archE1201ELNS1_3gpuE5ELNS1_3repE0EEENS1_30default_config_static_selectorELNS0_4arch9wavefront6targetE0EEEvT1_.num_named_barrier, 0
	.set _ZN7rocprim17ROCPRIM_400000_NS6detail17trampoline_kernelINS0_14default_configENS1_25transform_config_selectorIlLb0EEEZNS1_14transform_implILb0ES3_S5_NS0_18transform_iteratorINS0_17counting_iteratorImlEEZNS1_24adjacent_difference_implIS3_Lb1ELb0EPlSB_ZN2at6native12_GLOBAL__N_124unique_dim_cuda_templateIjEESt5tupleIJNSC_6TensorESH_SH_EERKSH_lbbbEUlllE1_EE10hipError_tPvRmT2_T3_mT4_P12ihipStream_tbEUlmE_lEESB_NS0_8identityIvEEEESM_SP_SQ_mSR_ST_bEUlT_E_NS1_11comp_targetILNS1_3genE10ELNS1_11target_archE1201ELNS1_3gpuE5ELNS1_3repE0EEENS1_30default_config_static_selectorELNS0_4arch9wavefront6targetE0EEEvT1_.private_seg_size, 0
	.set _ZN7rocprim17ROCPRIM_400000_NS6detail17trampoline_kernelINS0_14default_configENS1_25transform_config_selectorIlLb0EEEZNS1_14transform_implILb0ES3_S5_NS0_18transform_iteratorINS0_17counting_iteratorImlEEZNS1_24adjacent_difference_implIS3_Lb1ELb0EPlSB_ZN2at6native12_GLOBAL__N_124unique_dim_cuda_templateIjEESt5tupleIJNSC_6TensorESH_SH_EERKSH_lbbbEUlllE1_EE10hipError_tPvRmT2_T3_mT4_P12ihipStream_tbEUlmE_lEESB_NS0_8identityIvEEEESM_SP_SQ_mSR_ST_bEUlT_E_NS1_11comp_targetILNS1_3genE10ELNS1_11target_archE1201ELNS1_3gpuE5ELNS1_3repE0EEENS1_30default_config_static_selectorELNS0_4arch9wavefront6targetE0EEEvT1_.uses_vcc, 0
	.set _ZN7rocprim17ROCPRIM_400000_NS6detail17trampoline_kernelINS0_14default_configENS1_25transform_config_selectorIlLb0EEEZNS1_14transform_implILb0ES3_S5_NS0_18transform_iteratorINS0_17counting_iteratorImlEEZNS1_24adjacent_difference_implIS3_Lb1ELb0EPlSB_ZN2at6native12_GLOBAL__N_124unique_dim_cuda_templateIjEESt5tupleIJNSC_6TensorESH_SH_EERKSH_lbbbEUlllE1_EE10hipError_tPvRmT2_T3_mT4_P12ihipStream_tbEUlmE_lEESB_NS0_8identityIvEEEESM_SP_SQ_mSR_ST_bEUlT_E_NS1_11comp_targetILNS1_3genE10ELNS1_11target_archE1201ELNS1_3gpuE5ELNS1_3repE0EEENS1_30default_config_static_selectorELNS0_4arch9wavefront6targetE0EEEvT1_.uses_flat_scratch, 0
	.set _ZN7rocprim17ROCPRIM_400000_NS6detail17trampoline_kernelINS0_14default_configENS1_25transform_config_selectorIlLb0EEEZNS1_14transform_implILb0ES3_S5_NS0_18transform_iteratorINS0_17counting_iteratorImlEEZNS1_24adjacent_difference_implIS3_Lb1ELb0EPlSB_ZN2at6native12_GLOBAL__N_124unique_dim_cuda_templateIjEESt5tupleIJNSC_6TensorESH_SH_EERKSH_lbbbEUlllE1_EE10hipError_tPvRmT2_T3_mT4_P12ihipStream_tbEUlmE_lEESB_NS0_8identityIvEEEESM_SP_SQ_mSR_ST_bEUlT_E_NS1_11comp_targetILNS1_3genE10ELNS1_11target_archE1201ELNS1_3gpuE5ELNS1_3repE0EEENS1_30default_config_static_selectorELNS0_4arch9wavefront6targetE0EEEvT1_.has_dyn_sized_stack, 0
	.set _ZN7rocprim17ROCPRIM_400000_NS6detail17trampoline_kernelINS0_14default_configENS1_25transform_config_selectorIlLb0EEEZNS1_14transform_implILb0ES3_S5_NS0_18transform_iteratorINS0_17counting_iteratorImlEEZNS1_24adjacent_difference_implIS3_Lb1ELb0EPlSB_ZN2at6native12_GLOBAL__N_124unique_dim_cuda_templateIjEESt5tupleIJNSC_6TensorESH_SH_EERKSH_lbbbEUlllE1_EE10hipError_tPvRmT2_T3_mT4_P12ihipStream_tbEUlmE_lEESB_NS0_8identityIvEEEESM_SP_SQ_mSR_ST_bEUlT_E_NS1_11comp_targetILNS1_3genE10ELNS1_11target_archE1201ELNS1_3gpuE5ELNS1_3repE0EEENS1_30default_config_static_selectorELNS0_4arch9wavefront6targetE0EEEvT1_.has_recursion, 0
	.set _ZN7rocprim17ROCPRIM_400000_NS6detail17trampoline_kernelINS0_14default_configENS1_25transform_config_selectorIlLb0EEEZNS1_14transform_implILb0ES3_S5_NS0_18transform_iteratorINS0_17counting_iteratorImlEEZNS1_24adjacent_difference_implIS3_Lb1ELb0EPlSB_ZN2at6native12_GLOBAL__N_124unique_dim_cuda_templateIjEESt5tupleIJNSC_6TensorESH_SH_EERKSH_lbbbEUlllE1_EE10hipError_tPvRmT2_T3_mT4_P12ihipStream_tbEUlmE_lEESB_NS0_8identityIvEEEESM_SP_SQ_mSR_ST_bEUlT_E_NS1_11comp_targetILNS1_3genE10ELNS1_11target_archE1201ELNS1_3gpuE5ELNS1_3repE0EEENS1_30default_config_static_selectorELNS0_4arch9wavefront6targetE0EEEvT1_.has_indirect_call, 0
	.section	.AMDGPU.csdata,"",@progbits
; Kernel info:
; codeLenInByte = 0
; TotalNumSgprs: 0
; NumVgprs: 0
; ScratchSize: 0
; MemoryBound: 0
; FloatMode: 240
; IeeeMode: 1
; LDSByteSize: 0 bytes/workgroup (compile time only)
; SGPRBlocks: 0
; VGPRBlocks: 0
; NumSGPRsForWavesPerEU: 1
; NumVGPRsForWavesPerEU: 1
; NamedBarCnt: 0
; Occupancy: 16
; WaveLimiterHint : 0
; COMPUTE_PGM_RSRC2:SCRATCH_EN: 0
; COMPUTE_PGM_RSRC2:USER_SGPR: 2
; COMPUTE_PGM_RSRC2:TRAP_HANDLER: 0
; COMPUTE_PGM_RSRC2:TGID_X_EN: 1
; COMPUTE_PGM_RSRC2:TGID_Y_EN: 0
; COMPUTE_PGM_RSRC2:TGID_Z_EN: 0
; COMPUTE_PGM_RSRC2:TIDIG_COMP_CNT: 0
	.section	.text._ZN7rocprim17ROCPRIM_400000_NS6detail17trampoline_kernelINS0_14default_configENS1_25transform_config_selectorIlLb0EEEZNS1_14transform_implILb0ES3_S5_NS0_18transform_iteratorINS0_17counting_iteratorImlEEZNS1_24adjacent_difference_implIS3_Lb1ELb0EPlSB_ZN2at6native12_GLOBAL__N_124unique_dim_cuda_templateIjEESt5tupleIJNSC_6TensorESH_SH_EERKSH_lbbbEUlllE1_EE10hipError_tPvRmT2_T3_mT4_P12ihipStream_tbEUlmE_lEESB_NS0_8identityIvEEEESM_SP_SQ_mSR_ST_bEUlT_E_NS1_11comp_targetILNS1_3genE10ELNS1_11target_archE1200ELNS1_3gpuE4ELNS1_3repE0EEENS1_30default_config_static_selectorELNS0_4arch9wavefront6targetE0EEEvT1_,"axG",@progbits,_ZN7rocprim17ROCPRIM_400000_NS6detail17trampoline_kernelINS0_14default_configENS1_25transform_config_selectorIlLb0EEEZNS1_14transform_implILb0ES3_S5_NS0_18transform_iteratorINS0_17counting_iteratorImlEEZNS1_24adjacent_difference_implIS3_Lb1ELb0EPlSB_ZN2at6native12_GLOBAL__N_124unique_dim_cuda_templateIjEESt5tupleIJNSC_6TensorESH_SH_EERKSH_lbbbEUlllE1_EE10hipError_tPvRmT2_T3_mT4_P12ihipStream_tbEUlmE_lEESB_NS0_8identityIvEEEESM_SP_SQ_mSR_ST_bEUlT_E_NS1_11comp_targetILNS1_3genE10ELNS1_11target_archE1200ELNS1_3gpuE4ELNS1_3repE0EEENS1_30default_config_static_selectorELNS0_4arch9wavefront6targetE0EEEvT1_,comdat
	.globl	_ZN7rocprim17ROCPRIM_400000_NS6detail17trampoline_kernelINS0_14default_configENS1_25transform_config_selectorIlLb0EEEZNS1_14transform_implILb0ES3_S5_NS0_18transform_iteratorINS0_17counting_iteratorImlEEZNS1_24adjacent_difference_implIS3_Lb1ELb0EPlSB_ZN2at6native12_GLOBAL__N_124unique_dim_cuda_templateIjEESt5tupleIJNSC_6TensorESH_SH_EERKSH_lbbbEUlllE1_EE10hipError_tPvRmT2_T3_mT4_P12ihipStream_tbEUlmE_lEESB_NS0_8identityIvEEEESM_SP_SQ_mSR_ST_bEUlT_E_NS1_11comp_targetILNS1_3genE10ELNS1_11target_archE1200ELNS1_3gpuE4ELNS1_3repE0EEENS1_30default_config_static_selectorELNS0_4arch9wavefront6targetE0EEEvT1_ ; -- Begin function _ZN7rocprim17ROCPRIM_400000_NS6detail17trampoline_kernelINS0_14default_configENS1_25transform_config_selectorIlLb0EEEZNS1_14transform_implILb0ES3_S5_NS0_18transform_iteratorINS0_17counting_iteratorImlEEZNS1_24adjacent_difference_implIS3_Lb1ELb0EPlSB_ZN2at6native12_GLOBAL__N_124unique_dim_cuda_templateIjEESt5tupleIJNSC_6TensorESH_SH_EERKSH_lbbbEUlllE1_EE10hipError_tPvRmT2_T3_mT4_P12ihipStream_tbEUlmE_lEESB_NS0_8identityIvEEEESM_SP_SQ_mSR_ST_bEUlT_E_NS1_11comp_targetILNS1_3genE10ELNS1_11target_archE1200ELNS1_3gpuE4ELNS1_3repE0EEENS1_30default_config_static_selectorELNS0_4arch9wavefront6targetE0EEEvT1_
	.p2align	8
	.type	_ZN7rocprim17ROCPRIM_400000_NS6detail17trampoline_kernelINS0_14default_configENS1_25transform_config_selectorIlLb0EEEZNS1_14transform_implILb0ES3_S5_NS0_18transform_iteratorINS0_17counting_iteratorImlEEZNS1_24adjacent_difference_implIS3_Lb1ELb0EPlSB_ZN2at6native12_GLOBAL__N_124unique_dim_cuda_templateIjEESt5tupleIJNSC_6TensorESH_SH_EERKSH_lbbbEUlllE1_EE10hipError_tPvRmT2_T3_mT4_P12ihipStream_tbEUlmE_lEESB_NS0_8identityIvEEEESM_SP_SQ_mSR_ST_bEUlT_E_NS1_11comp_targetILNS1_3genE10ELNS1_11target_archE1200ELNS1_3gpuE4ELNS1_3repE0EEENS1_30default_config_static_selectorELNS0_4arch9wavefront6targetE0EEEvT1_,@function
_ZN7rocprim17ROCPRIM_400000_NS6detail17trampoline_kernelINS0_14default_configENS1_25transform_config_selectorIlLb0EEEZNS1_14transform_implILb0ES3_S5_NS0_18transform_iteratorINS0_17counting_iteratorImlEEZNS1_24adjacent_difference_implIS3_Lb1ELb0EPlSB_ZN2at6native12_GLOBAL__N_124unique_dim_cuda_templateIjEESt5tupleIJNSC_6TensorESH_SH_EERKSH_lbbbEUlllE1_EE10hipError_tPvRmT2_T3_mT4_P12ihipStream_tbEUlmE_lEESB_NS0_8identityIvEEEESM_SP_SQ_mSR_ST_bEUlT_E_NS1_11comp_targetILNS1_3genE10ELNS1_11target_archE1200ELNS1_3gpuE4ELNS1_3repE0EEENS1_30default_config_static_selectorELNS0_4arch9wavefront6targetE0EEEvT1_: ; @_ZN7rocprim17ROCPRIM_400000_NS6detail17trampoline_kernelINS0_14default_configENS1_25transform_config_selectorIlLb0EEEZNS1_14transform_implILb0ES3_S5_NS0_18transform_iteratorINS0_17counting_iteratorImlEEZNS1_24adjacent_difference_implIS3_Lb1ELb0EPlSB_ZN2at6native12_GLOBAL__N_124unique_dim_cuda_templateIjEESt5tupleIJNSC_6TensorESH_SH_EERKSH_lbbbEUlllE1_EE10hipError_tPvRmT2_T3_mT4_P12ihipStream_tbEUlmE_lEESB_NS0_8identityIvEEEESM_SP_SQ_mSR_ST_bEUlT_E_NS1_11comp_targetILNS1_3genE10ELNS1_11target_archE1200ELNS1_3gpuE4ELNS1_3repE0EEENS1_30default_config_static_selectorELNS0_4arch9wavefront6targetE0EEEvT1_
; %bb.0:
	.section	.rodata,"a",@progbits
	.p2align	6, 0x0
	.amdhsa_kernel _ZN7rocprim17ROCPRIM_400000_NS6detail17trampoline_kernelINS0_14default_configENS1_25transform_config_selectorIlLb0EEEZNS1_14transform_implILb0ES3_S5_NS0_18transform_iteratorINS0_17counting_iteratorImlEEZNS1_24adjacent_difference_implIS3_Lb1ELb0EPlSB_ZN2at6native12_GLOBAL__N_124unique_dim_cuda_templateIjEESt5tupleIJNSC_6TensorESH_SH_EERKSH_lbbbEUlllE1_EE10hipError_tPvRmT2_T3_mT4_P12ihipStream_tbEUlmE_lEESB_NS0_8identityIvEEEESM_SP_SQ_mSR_ST_bEUlT_E_NS1_11comp_targetILNS1_3genE10ELNS1_11target_archE1200ELNS1_3gpuE4ELNS1_3repE0EEENS1_30default_config_static_selectorELNS0_4arch9wavefront6targetE0EEEvT1_
		.amdhsa_group_segment_fixed_size 0
		.amdhsa_private_segment_fixed_size 0
		.amdhsa_kernarg_size 56
		.amdhsa_user_sgpr_count 2
		.amdhsa_user_sgpr_dispatch_ptr 0
		.amdhsa_user_sgpr_queue_ptr 0
		.amdhsa_user_sgpr_kernarg_segment_ptr 1
		.amdhsa_user_sgpr_dispatch_id 0
		.amdhsa_user_sgpr_kernarg_preload_length 0
		.amdhsa_user_sgpr_kernarg_preload_offset 0
		.amdhsa_user_sgpr_private_segment_size 0
		.amdhsa_wavefront_size32 1
		.amdhsa_uses_dynamic_stack 0
		.amdhsa_enable_private_segment 0
		.amdhsa_system_sgpr_workgroup_id_x 1
		.amdhsa_system_sgpr_workgroup_id_y 0
		.amdhsa_system_sgpr_workgroup_id_z 0
		.amdhsa_system_sgpr_workgroup_info 0
		.amdhsa_system_vgpr_workitem_id 0
		.amdhsa_next_free_vgpr 1
		.amdhsa_next_free_sgpr 1
		.amdhsa_named_barrier_count 0
		.amdhsa_reserve_vcc 0
		.amdhsa_float_round_mode_32 0
		.amdhsa_float_round_mode_16_64 0
		.amdhsa_float_denorm_mode_32 3
		.amdhsa_float_denorm_mode_16_64 3
		.amdhsa_fp16_overflow 0
		.amdhsa_memory_ordered 1
		.amdhsa_forward_progress 1
		.amdhsa_inst_pref_size 0
		.amdhsa_round_robin_scheduling 0
		.amdhsa_exception_fp_ieee_invalid_op 0
		.amdhsa_exception_fp_denorm_src 0
		.amdhsa_exception_fp_ieee_div_zero 0
		.amdhsa_exception_fp_ieee_overflow 0
		.amdhsa_exception_fp_ieee_underflow 0
		.amdhsa_exception_fp_ieee_inexact 0
		.amdhsa_exception_int_div_zero 0
	.end_amdhsa_kernel
	.section	.text._ZN7rocprim17ROCPRIM_400000_NS6detail17trampoline_kernelINS0_14default_configENS1_25transform_config_selectorIlLb0EEEZNS1_14transform_implILb0ES3_S5_NS0_18transform_iteratorINS0_17counting_iteratorImlEEZNS1_24adjacent_difference_implIS3_Lb1ELb0EPlSB_ZN2at6native12_GLOBAL__N_124unique_dim_cuda_templateIjEESt5tupleIJNSC_6TensorESH_SH_EERKSH_lbbbEUlllE1_EE10hipError_tPvRmT2_T3_mT4_P12ihipStream_tbEUlmE_lEESB_NS0_8identityIvEEEESM_SP_SQ_mSR_ST_bEUlT_E_NS1_11comp_targetILNS1_3genE10ELNS1_11target_archE1200ELNS1_3gpuE4ELNS1_3repE0EEENS1_30default_config_static_selectorELNS0_4arch9wavefront6targetE0EEEvT1_,"axG",@progbits,_ZN7rocprim17ROCPRIM_400000_NS6detail17trampoline_kernelINS0_14default_configENS1_25transform_config_selectorIlLb0EEEZNS1_14transform_implILb0ES3_S5_NS0_18transform_iteratorINS0_17counting_iteratorImlEEZNS1_24adjacent_difference_implIS3_Lb1ELb0EPlSB_ZN2at6native12_GLOBAL__N_124unique_dim_cuda_templateIjEESt5tupleIJNSC_6TensorESH_SH_EERKSH_lbbbEUlllE1_EE10hipError_tPvRmT2_T3_mT4_P12ihipStream_tbEUlmE_lEESB_NS0_8identityIvEEEESM_SP_SQ_mSR_ST_bEUlT_E_NS1_11comp_targetILNS1_3genE10ELNS1_11target_archE1200ELNS1_3gpuE4ELNS1_3repE0EEENS1_30default_config_static_selectorELNS0_4arch9wavefront6targetE0EEEvT1_,comdat
.Lfunc_end1530:
	.size	_ZN7rocprim17ROCPRIM_400000_NS6detail17trampoline_kernelINS0_14default_configENS1_25transform_config_selectorIlLb0EEEZNS1_14transform_implILb0ES3_S5_NS0_18transform_iteratorINS0_17counting_iteratorImlEEZNS1_24adjacent_difference_implIS3_Lb1ELb0EPlSB_ZN2at6native12_GLOBAL__N_124unique_dim_cuda_templateIjEESt5tupleIJNSC_6TensorESH_SH_EERKSH_lbbbEUlllE1_EE10hipError_tPvRmT2_T3_mT4_P12ihipStream_tbEUlmE_lEESB_NS0_8identityIvEEEESM_SP_SQ_mSR_ST_bEUlT_E_NS1_11comp_targetILNS1_3genE10ELNS1_11target_archE1200ELNS1_3gpuE4ELNS1_3repE0EEENS1_30default_config_static_selectorELNS0_4arch9wavefront6targetE0EEEvT1_, .Lfunc_end1530-_ZN7rocprim17ROCPRIM_400000_NS6detail17trampoline_kernelINS0_14default_configENS1_25transform_config_selectorIlLb0EEEZNS1_14transform_implILb0ES3_S5_NS0_18transform_iteratorINS0_17counting_iteratorImlEEZNS1_24adjacent_difference_implIS3_Lb1ELb0EPlSB_ZN2at6native12_GLOBAL__N_124unique_dim_cuda_templateIjEESt5tupleIJNSC_6TensorESH_SH_EERKSH_lbbbEUlllE1_EE10hipError_tPvRmT2_T3_mT4_P12ihipStream_tbEUlmE_lEESB_NS0_8identityIvEEEESM_SP_SQ_mSR_ST_bEUlT_E_NS1_11comp_targetILNS1_3genE10ELNS1_11target_archE1200ELNS1_3gpuE4ELNS1_3repE0EEENS1_30default_config_static_selectorELNS0_4arch9wavefront6targetE0EEEvT1_
                                        ; -- End function
	.set _ZN7rocprim17ROCPRIM_400000_NS6detail17trampoline_kernelINS0_14default_configENS1_25transform_config_selectorIlLb0EEEZNS1_14transform_implILb0ES3_S5_NS0_18transform_iteratorINS0_17counting_iteratorImlEEZNS1_24adjacent_difference_implIS3_Lb1ELb0EPlSB_ZN2at6native12_GLOBAL__N_124unique_dim_cuda_templateIjEESt5tupleIJNSC_6TensorESH_SH_EERKSH_lbbbEUlllE1_EE10hipError_tPvRmT2_T3_mT4_P12ihipStream_tbEUlmE_lEESB_NS0_8identityIvEEEESM_SP_SQ_mSR_ST_bEUlT_E_NS1_11comp_targetILNS1_3genE10ELNS1_11target_archE1200ELNS1_3gpuE4ELNS1_3repE0EEENS1_30default_config_static_selectorELNS0_4arch9wavefront6targetE0EEEvT1_.num_vgpr, 0
	.set _ZN7rocprim17ROCPRIM_400000_NS6detail17trampoline_kernelINS0_14default_configENS1_25transform_config_selectorIlLb0EEEZNS1_14transform_implILb0ES3_S5_NS0_18transform_iteratorINS0_17counting_iteratorImlEEZNS1_24adjacent_difference_implIS3_Lb1ELb0EPlSB_ZN2at6native12_GLOBAL__N_124unique_dim_cuda_templateIjEESt5tupleIJNSC_6TensorESH_SH_EERKSH_lbbbEUlllE1_EE10hipError_tPvRmT2_T3_mT4_P12ihipStream_tbEUlmE_lEESB_NS0_8identityIvEEEESM_SP_SQ_mSR_ST_bEUlT_E_NS1_11comp_targetILNS1_3genE10ELNS1_11target_archE1200ELNS1_3gpuE4ELNS1_3repE0EEENS1_30default_config_static_selectorELNS0_4arch9wavefront6targetE0EEEvT1_.num_agpr, 0
	.set _ZN7rocprim17ROCPRIM_400000_NS6detail17trampoline_kernelINS0_14default_configENS1_25transform_config_selectorIlLb0EEEZNS1_14transform_implILb0ES3_S5_NS0_18transform_iteratorINS0_17counting_iteratorImlEEZNS1_24adjacent_difference_implIS3_Lb1ELb0EPlSB_ZN2at6native12_GLOBAL__N_124unique_dim_cuda_templateIjEESt5tupleIJNSC_6TensorESH_SH_EERKSH_lbbbEUlllE1_EE10hipError_tPvRmT2_T3_mT4_P12ihipStream_tbEUlmE_lEESB_NS0_8identityIvEEEESM_SP_SQ_mSR_ST_bEUlT_E_NS1_11comp_targetILNS1_3genE10ELNS1_11target_archE1200ELNS1_3gpuE4ELNS1_3repE0EEENS1_30default_config_static_selectorELNS0_4arch9wavefront6targetE0EEEvT1_.numbered_sgpr, 0
	.set _ZN7rocprim17ROCPRIM_400000_NS6detail17trampoline_kernelINS0_14default_configENS1_25transform_config_selectorIlLb0EEEZNS1_14transform_implILb0ES3_S5_NS0_18transform_iteratorINS0_17counting_iteratorImlEEZNS1_24adjacent_difference_implIS3_Lb1ELb0EPlSB_ZN2at6native12_GLOBAL__N_124unique_dim_cuda_templateIjEESt5tupleIJNSC_6TensorESH_SH_EERKSH_lbbbEUlllE1_EE10hipError_tPvRmT2_T3_mT4_P12ihipStream_tbEUlmE_lEESB_NS0_8identityIvEEEESM_SP_SQ_mSR_ST_bEUlT_E_NS1_11comp_targetILNS1_3genE10ELNS1_11target_archE1200ELNS1_3gpuE4ELNS1_3repE0EEENS1_30default_config_static_selectorELNS0_4arch9wavefront6targetE0EEEvT1_.num_named_barrier, 0
	.set _ZN7rocprim17ROCPRIM_400000_NS6detail17trampoline_kernelINS0_14default_configENS1_25transform_config_selectorIlLb0EEEZNS1_14transform_implILb0ES3_S5_NS0_18transform_iteratorINS0_17counting_iteratorImlEEZNS1_24adjacent_difference_implIS3_Lb1ELb0EPlSB_ZN2at6native12_GLOBAL__N_124unique_dim_cuda_templateIjEESt5tupleIJNSC_6TensorESH_SH_EERKSH_lbbbEUlllE1_EE10hipError_tPvRmT2_T3_mT4_P12ihipStream_tbEUlmE_lEESB_NS0_8identityIvEEEESM_SP_SQ_mSR_ST_bEUlT_E_NS1_11comp_targetILNS1_3genE10ELNS1_11target_archE1200ELNS1_3gpuE4ELNS1_3repE0EEENS1_30default_config_static_selectorELNS0_4arch9wavefront6targetE0EEEvT1_.private_seg_size, 0
	.set _ZN7rocprim17ROCPRIM_400000_NS6detail17trampoline_kernelINS0_14default_configENS1_25transform_config_selectorIlLb0EEEZNS1_14transform_implILb0ES3_S5_NS0_18transform_iteratorINS0_17counting_iteratorImlEEZNS1_24adjacent_difference_implIS3_Lb1ELb0EPlSB_ZN2at6native12_GLOBAL__N_124unique_dim_cuda_templateIjEESt5tupleIJNSC_6TensorESH_SH_EERKSH_lbbbEUlllE1_EE10hipError_tPvRmT2_T3_mT4_P12ihipStream_tbEUlmE_lEESB_NS0_8identityIvEEEESM_SP_SQ_mSR_ST_bEUlT_E_NS1_11comp_targetILNS1_3genE10ELNS1_11target_archE1200ELNS1_3gpuE4ELNS1_3repE0EEENS1_30default_config_static_selectorELNS0_4arch9wavefront6targetE0EEEvT1_.uses_vcc, 0
	.set _ZN7rocprim17ROCPRIM_400000_NS6detail17trampoline_kernelINS0_14default_configENS1_25transform_config_selectorIlLb0EEEZNS1_14transform_implILb0ES3_S5_NS0_18transform_iteratorINS0_17counting_iteratorImlEEZNS1_24adjacent_difference_implIS3_Lb1ELb0EPlSB_ZN2at6native12_GLOBAL__N_124unique_dim_cuda_templateIjEESt5tupleIJNSC_6TensorESH_SH_EERKSH_lbbbEUlllE1_EE10hipError_tPvRmT2_T3_mT4_P12ihipStream_tbEUlmE_lEESB_NS0_8identityIvEEEESM_SP_SQ_mSR_ST_bEUlT_E_NS1_11comp_targetILNS1_3genE10ELNS1_11target_archE1200ELNS1_3gpuE4ELNS1_3repE0EEENS1_30default_config_static_selectorELNS0_4arch9wavefront6targetE0EEEvT1_.uses_flat_scratch, 0
	.set _ZN7rocprim17ROCPRIM_400000_NS6detail17trampoline_kernelINS0_14default_configENS1_25transform_config_selectorIlLb0EEEZNS1_14transform_implILb0ES3_S5_NS0_18transform_iteratorINS0_17counting_iteratorImlEEZNS1_24adjacent_difference_implIS3_Lb1ELb0EPlSB_ZN2at6native12_GLOBAL__N_124unique_dim_cuda_templateIjEESt5tupleIJNSC_6TensorESH_SH_EERKSH_lbbbEUlllE1_EE10hipError_tPvRmT2_T3_mT4_P12ihipStream_tbEUlmE_lEESB_NS0_8identityIvEEEESM_SP_SQ_mSR_ST_bEUlT_E_NS1_11comp_targetILNS1_3genE10ELNS1_11target_archE1200ELNS1_3gpuE4ELNS1_3repE0EEENS1_30default_config_static_selectorELNS0_4arch9wavefront6targetE0EEEvT1_.has_dyn_sized_stack, 0
	.set _ZN7rocprim17ROCPRIM_400000_NS6detail17trampoline_kernelINS0_14default_configENS1_25transform_config_selectorIlLb0EEEZNS1_14transform_implILb0ES3_S5_NS0_18transform_iteratorINS0_17counting_iteratorImlEEZNS1_24adjacent_difference_implIS3_Lb1ELb0EPlSB_ZN2at6native12_GLOBAL__N_124unique_dim_cuda_templateIjEESt5tupleIJNSC_6TensorESH_SH_EERKSH_lbbbEUlllE1_EE10hipError_tPvRmT2_T3_mT4_P12ihipStream_tbEUlmE_lEESB_NS0_8identityIvEEEESM_SP_SQ_mSR_ST_bEUlT_E_NS1_11comp_targetILNS1_3genE10ELNS1_11target_archE1200ELNS1_3gpuE4ELNS1_3repE0EEENS1_30default_config_static_selectorELNS0_4arch9wavefront6targetE0EEEvT1_.has_recursion, 0
	.set _ZN7rocprim17ROCPRIM_400000_NS6detail17trampoline_kernelINS0_14default_configENS1_25transform_config_selectorIlLb0EEEZNS1_14transform_implILb0ES3_S5_NS0_18transform_iteratorINS0_17counting_iteratorImlEEZNS1_24adjacent_difference_implIS3_Lb1ELb0EPlSB_ZN2at6native12_GLOBAL__N_124unique_dim_cuda_templateIjEESt5tupleIJNSC_6TensorESH_SH_EERKSH_lbbbEUlllE1_EE10hipError_tPvRmT2_T3_mT4_P12ihipStream_tbEUlmE_lEESB_NS0_8identityIvEEEESM_SP_SQ_mSR_ST_bEUlT_E_NS1_11comp_targetILNS1_3genE10ELNS1_11target_archE1200ELNS1_3gpuE4ELNS1_3repE0EEENS1_30default_config_static_selectorELNS0_4arch9wavefront6targetE0EEEvT1_.has_indirect_call, 0
	.section	.AMDGPU.csdata,"",@progbits
; Kernel info:
; codeLenInByte = 0
; TotalNumSgprs: 0
; NumVgprs: 0
; ScratchSize: 0
; MemoryBound: 0
; FloatMode: 240
; IeeeMode: 1
; LDSByteSize: 0 bytes/workgroup (compile time only)
; SGPRBlocks: 0
; VGPRBlocks: 0
; NumSGPRsForWavesPerEU: 1
; NumVGPRsForWavesPerEU: 1
; NamedBarCnt: 0
; Occupancy: 16
; WaveLimiterHint : 0
; COMPUTE_PGM_RSRC2:SCRATCH_EN: 0
; COMPUTE_PGM_RSRC2:USER_SGPR: 2
; COMPUTE_PGM_RSRC2:TRAP_HANDLER: 0
; COMPUTE_PGM_RSRC2:TGID_X_EN: 1
; COMPUTE_PGM_RSRC2:TGID_Y_EN: 0
; COMPUTE_PGM_RSRC2:TGID_Z_EN: 0
; COMPUTE_PGM_RSRC2:TIDIG_COMP_CNT: 0
	.section	.text._ZN7rocprim17ROCPRIM_400000_NS6detail17trampoline_kernelINS0_14default_configENS1_25transform_config_selectorIlLb0EEEZNS1_14transform_implILb0ES3_S5_NS0_18transform_iteratorINS0_17counting_iteratorImlEEZNS1_24adjacent_difference_implIS3_Lb1ELb0EPlSB_ZN2at6native12_GLOBAL__N_124unique_dim_cuda_templateIjEESt5tupleIJNSC_6TensorESH_SH_EERKSH_lbbbEUlllE1_EE10hipError_tPvRmT2_T3_mT4_P12ihipStream_tbEUlmE_lEESB_NS0_8identityIvEEEESM_SP_SQ_mSR_ST_bEUlT_E_NS1_11comp_targetILNS1_3genE9ELNS1_11target_archE1100ELNS1_3gpuE3ELNS1_3repE0EEENS1_30default_config_static_selectorELNS0_4arch9wavefront6targetE0EEEvT1_,"axG",@progbits,_ZN7rocprim17ROCPRIM_400000_NS6detail17trampoline_kernelINS0_14default_configENS1_25transform_config_selectorIlLb0EEEZNS1_14transform_implILb0ES3_S5_NS0_18transform_iteratorINS0_17counting_iteratorImlEEZNS1_24adjacent_difference_implIS3_Lb1ELb0EPlSB_ZN2at6native12_GLOBAL__N_124unique_dim_cuda_templateIjEESt5tupleIJNSC_6TensorESH_SH_EERKSH_lbbbEUlllE1_EE10hipError_tPvRmT2_T3_mT4_P12ihipStream_tbEUlmE_lEESB_NS0_8identityIvEEEESM_SP_SQ_mSR_ST_bEUlT_E_NS1_11comp_targetILNS1_3genE9ELNS1_11target_archE1100ELNS1_3gpuE3ELNS1_3repE0EEENS1_30default_config_static_selectorELNS0_4arch9wavefront6targetE0EEEvT1_,comdat
	.globl	_ZN7rocprim17ROCPRIM_400000_NS6detail17trampoline_kernelINS0_14default_configENS1_25transform_config_selectorIlLb0EEEZNS1_14transform_implILb0ES3_S5_NS0_18transform_iteratorINS0_17counting_iteratorImlEEZNS1_24adjacent_difference_implIS3_Lb1ELb0EPlSB_ZN2at6native12_GLOBAL__N_124unique_dim_cuda_templateIjEESt5tupleIJNSC_6TensorESH_SH_EERKSH_lbbbEUlllE1_EE10hipError_tPvRmT2_T3_mT4_P12ihipStream_tbEUlmE_lEESB_NS0_8identityIvEEEESM_SP_SQ_mSR_ST_bEUlT_E_NS1_11comp_targetILNS1_3genE9ELNS1_11target_archE1100ELNS1_3gpuE3ELNS1_3repE0EEENS1_30default_config_static_selectorELNS0_4arch9wavefront6targetE0EEEvT1_ ; -- Begin function _ZN7rocprim17ROCPRIM_400000_NS6detail17trampoline_kernelINS0_14default_configENS1_25transform_config_selectorIlLb0EEEZNS1_14transform_implILb0ES3_S5_NS0_18transform_iteratorINS0_17counting_iteratorImlEEZNS1_24adjacent_difference_implIS3_Lb1ELb0EPlSB_ZN2at6native12_GLOBAL__N_124unique_dim_cuda_templateIjEESt5tupleIJNSC_6TensorESH_SH_EERKSH_lbbbEUlllE1_EE10hipError_tPvRmT2_T3_mT4_P12ihipStream_tbEUlmE_lEESB_NS0_8identityIvEEEESM_SP_SQ_mSR_ST_bEUlT_E_NS1_11comp_targetILNS1_3genE9ELNS1_11target_archE1100ELNS1_3gpuE3ELNS1_3repE0EEENS1_30default_config_static_selectorELNS0_4arch9wavefront6targetE0EEEvT1_
	.p2align	8
	.type	_ZN7rocprim17ROCPRIM_400000_NS6detail17trampoline_kernelINS0_14default_configENS1_25transform_config_selectorIlLb0EEEZNS1_14transform_implILb0ES3_S5_NS0_18transform_iteratorINS0_17counting_iteratorImlEEZNS1_24adjacent_difference_implIS3_Lb1ELb0EPlSB_ZN2at6native12_GLOBAL__N_124unique_dim_cuda_templateIjEESt5tupleIJNSC_6TensorESH_SH_EERKSH_lbbbEUlllE1_EE10hipError_tPvRmT2_T3_mT4_P12ihipStream_tbEUlmE_lEESB_NS0_8identityIvEEEESM_SP_SQ_mSR_ST_bEUlT_E_NS1_11comp_targetILNS1_3genE9ELNS1_11target_archE1100ELNS1_3gpuE3ELNS1_3repE0EEENS1_30default_config_static_selectorELNS0_4arch9wavefront6targetE0EEEvT1_,@function
_ZN7rocprim17ROCPRIM_400000_NS6detail17trampoline_kernelINS0_14default_configENS1_25transform_config_selectorIlLb0EEEZNS1_14transform_implILb0ES3_S5_NS0_18transform_iteratorINS0_17counting_iteratorImlEEZNS1_24adjacent_difference_implIS3_Lb1ELb0EPlSB_ZN2at6native12_GLOBAL__N_124unique_dim_cuda_templateIjEESt5tupleIJNSC_6TensorESH_SH_EERKSH_lbbbEUlllE1_EE10hipError_tPvRmT2_T3_mT4_P12ihipStream_tbEUlmE_lEESB_NS0_8identityIvEEEESM_SP_SQ_mSR_ST_bEUlT_E_NS1_11comp_targetILNS1_3genE9ELNS1_11target_archE1100ELNS1_3gpuE3ELNS1_3repE0EEENS1_30default_config_static_selectorELNS0_4arch9wavefront6targetE0EEEvT1_: ; @_ZN7rocprim17ROCPRIM_400000_NS6detail17trampoline_kernelINS0_14default_configENS1_25transform_config_selectorIlLb0EEEZNS1_14transform_implILb0ES3_S5_NS0_18transform_iteratorINS0_17counting_iteratorImlEEZNS1_24adjacent_difference_implIS3_Lb1ELb0EPlSB_ZN2at6native12_GLOBAL__N_124unique_dim_cuda_templateIjEESt5tupleIJNSC_6TensorESH_SH_EERKSH_lbbbEUlllE1_EE10hipError_tPvRmT2_T3_mT4_P12ihipStream_tbEUlmE_lEESB_NS0_8identityIvEEEESM_SP_SQ_mSR_ST_bEUlT_E_NS1_11comp_targetILNS1_3genE9ELNS1_11target_archE1100ELNS1_3gpuE3ELNS1_3repE0EEENS1_30default_config_static_selectorELNS0_4arch9wavefront6targetE0EEEvT1_
; %bb.0:
	.section	.rodata,"a",@progbits
	.p2align	6, 0x0
	.amdhsa_kernel _ZN7rocprim17ROCPRIM_400000_NS6detail17trampoline_kernelINS0_14default_configENS1_25transform_config_selectorIlLb0EEEZNS1_14transform_implILb0ES3_S5_NS0_18transform_iteratorINS0_17counting_iteratorImlEEZNS1_24adjacent_difference_implIS3_Lb1ELb0EPlSB_ZN2at6native12_GLOBAL__N_124unique_dim_cuda_templateIjEESt5tupleIJNSC_6TensorESH_SH_EERKSH_lbbbEUlllE1_EE10hipError_tPvRmT2_T3_mT4_P12ihipStream_tbEUlmE_lEESB_NS0_8identityIvEEEESM_SP_SQ_mSR_ST_bEUlT_E_NS1_11comp_targetILNS1_3genE9ELNS1_11target_archE1100ELNS1_3gpuE3ELNS1_3repE0EEENS1_30default_config_static_selectorELNS0_4arch9wavefront6targetE0EEEvT1_
		.amdhsa_group_segment_fixed_size 0
		.amdhsa_private_segment_fixed_size 0
		.amdhsa_kernarg_size 56
		.amdhsa_user_sgpr_count 2
		.amdhsa_user_sgpr_dispatch_ptr 0
		.amdhsa_user_sgpr_queue_ptr 0
		.amdhsa_user_sgpr_kernarg_segment_ptr 1
		.amdhsa_user_sgpr_dispatch_id 0
		.amdhsa_user_sgpr_kernarg_preload_length 0
		.amdhsa_user_sgpr_kernarg_preload_offset 0
		.amdhsa_user_sgpr_private_segment_size 0
		.amdhsa_wavefront_size32 1
		.amdhsa_uses_dynamic_stack 0
		.amdhsa_enable_private_segment 0
		.amdhsa_system_sgpr_workgroup_id_x 1
		.amdhsa_system_sgpr_workgroup_id_y 0
		.amdhsa_system_sgpr_workgroup_id_z 0
		.amdhsa_system_sgpr_workgroup_info 0
		.amdhsa_system_vgpr_workitem_id 0
		.amdhsa_next_free_vgpr 1
		.amdhsa_next_free_sgpr 1
		.amdhsa_named_barrier_count 0
		.amdhsa_reserve_vcc 0
		.amdhsa_float_round_mode_32 0
		.amdhsa_float_round_mode_16_64 0
		.amdhsa_float_denorm_mode_32 3
		.amdhsa_float_denorm_mode_16_64 3
		.amdhsa_fp16_overflow 0
		.amdhsa_memory_ordered 1
		.amdhsa_forward_progress 1
		.amdhsa_inst_pref_size 0
		.amdhsa_round_robin_scheduling 0
		.amdhsa_exception_fp_ieee_invalid_op 0
		.amdhsa_exception_fp_denorm_src 0
		.amdhsa_exception_fp_ieee_div_zero 0
		.amdhsa_exception_fp_ieee_overflow 0
		.amdhsa_exception_fp_ieee_underflow 0
		.amdhsa_exception_fp_ieee_inexact 0
		.amdhsa_exception_int_div_zero 0
	.end_amdhsa_kernel
	.section	.text._ZN7rocprim17ROCPRIM_400000_NS6detail17trampoline_kernelINS0_14default_configENS1_25transform_config_selectorIlLb0EEEZNS1_14transform_implILb0ES3_S5_NS0_18transform_iteratorINS0_17counting_iteratorImlEEZNS1_24adjacent_difference_implIS3_Lb1ELb0EPlSB_ZN2at6native12_GLOBAL__N_124unique_dim_cuda_templateIjEESt5tupleIJNSC_6TensorESH_SH_EERKSH_lbbbEUlllE1_EE10hipError_tPvRmT2_T3_mT4_P12ihipStream_tbEUlmE_lEESB_NS0_8identityIvEEEESM_SP_SQ_mSR_ST_bEUlT_E_NS1_11comp_targetILNS1_3genE9ELNS1_11target_archE1100ELNS1_3gpuE3ELNS1_3repE0EEENS1_30default_config_static_selectorELNS0_4arch9wavefront6targetE0EEEvT1_,"axG",@progbits,_ZN7rocprim17ROCPRIM_400000_NS6detail17trampoline_kernelINS0_14default_configENS1_25transform_config_selectorIlLb0EEEZNS1_14transform_implILb0ES3_S5_NS0_18transform_iteratorINS0_17counting_iteratorImlEEZNS1_24adjacent_difference_implIS3_Lb1ELb0EPlSB_ZN2at6native12_GLOBAL__N_124unique_dim_cuda_templateIjEESt5tupleIJNSC_6TensorESH_SH_EERKSH_lbbbEUlllE1_EE10hipError_tPvRmT2_T3_mT4_P12ihipStream_tbEUlmE_lEESB_NS0_8identityIvEEEESM_SP_SQ_mSR_ST_bEUlT_E_NS1_11comp_targetILNS1_3genE9ELNS1_11target_archE1100ELNS1_3gpuE3ELNS1_3repE0EEENS1_30default_config_static_selectorELNS0_4arch9wavefront6targetE0EEEvT1_,comdat
.Lfunc_end1531:
	.size	_ZN7rocprim17ROCPRIM_400000_NS6detail17trampoline_kernelINS0_14default_configENS1_25transform_config_selectorIlLb0EEEZNS1_14transform_implILb0ES3_S5_NS0_18transform_iteratorINS0_17counting_iteratorImlEEZNS1_24adjacent_difference_implIS3_Lb1ELb0EPlSB_ZN2at6native12_GLOBAL__N_124unique_dim_cuda_templateIjEESt5tupleIJNSC_6TensorESH_SH_EERKSH_lbbbEUlllE1_EE10hipError_tPvRmT2_T3_mT4_P12ihipStream_tbEUlmE_lEESB_NS0_8identityIvEEEESM_SP_SQ_mSR_ST_bEUlT_E_NS1_11comp_targetILNS1_3genE9ELNS1_11target_archE1100ELNS1_3gpuE3ELNS1_3repE0EEENS1_30default_config_static_selectorELNS0_4arch9wavefront6targetE0EEEvT1_, .Lfunc_end1531-_ZN7rocprim17ROCPRIM_400000_NS6detail17trampoline_kernelINS0_14default_configENS1_25transform_config_selectorIlLb0EEEZNS1_14transform_implILb0ES3_S5_NS0_18transform_iteratorINS0_17counting_iteratorImlEEZNS1_24adjacent_difference_implIS3_Lb1ELb0EPlSB_ZN2at6native12_GLOBAL__N_124unique_dim_cuda_templateIjEESt5tupleIJNSC_6TensorESH_SH_EERKSH_lbbbEUlllE1_EE10hipError_tPvRmT2_T3_mT4_P12ihipStream_tbEUlmE_lEESB_NS0_8identityIvEEEESM_SP_SQ_mSR_ST_bEUlT_E_NS1_11comp_targetILNS1_3genE9ELNS1_11target_archE1100ELNS1_3gpuE3ELNS1_3repE0EEENS1_30default_config_static_selectorELNS0_4arch9wavefront6targetE0EEEvT1_
                                        ; -- End function
	.set _ZN7rocprim17ROCPRIM_400000_NS6detail17trampoline_kernelINS0_14default_configENS1_25transform_config_selectorIlLb0EEEZNS1_14transform_implILb0ES3_S5_NS0_18transform_iteratorINS0_17counting_iteratorImlEEZNS1_24adjacent_difference_implIS3_Lb1ELb0EPlSB_ZN2at6native12_GLOBAL__N_124unique_dim_cuda_templateIjEESt5tupleIJNSC_6TensorESH_SH_EERKSH_lbbbEUlllE1_EE10hipError_tPvRmT2_T3_mT4_P12ihipStream_tbEUlmE_lEESB_NS0_8identityIvEEEESM_SP_SQ_mSR_ST_bEUlT_E_NS1_11comp_targetILNS1_3genE9ELNS1_11target_archE1100ELNS1_3gpuE3ELNS1_3repE0EEENS1_30default_config_static_selectorELNS0_4arch9wavefront6targetE0EEEvT1_.num_vgpr, 0
	.set _ZN7rocprim17ROCPRIM_400000_NS6detail17trampoline_kernelINS0_14default_configENS1_25transform_config_selectorIlLb0EEEZNS1_14transform_implILb0ES3_S5_NS0_18transform_iteratorINS0_17counting_iteratorImlEEZNS1_24adjacent_difference_implIS3_Lb1ELb0EPlSB_ZN2at6native12_GLOBAL__N_124unique_dim_cuda_templateIjEESt5tupleIJNSC_6TensorESH_SH_EERKSH_lbbbEUlllE1_EE10hipError_tPvRmT2_T3_mT4_P12ihipStream_tbEUlmE_lEESB_NS0_8identityIvEEEESM_SP_SQ_mSR_ST_bEUlT_E_NS1_11comp_targetILNS1_3genE9ELNS1_11target_archE1100ELNS1_3gpuE3ELNS1_3repE0EEENS1_30default_config_static_selectorELNS0_4arch9wavefront6targetE0EEEvT1_.num_agpr, 0
	.set _ZN7rocprim17ROCPRIM_400000_NS6detail17trampoline_kernelINS0_14default_configENS1_25transform_config_selectorIlLb0EEEZNS1_14transform_implILb0ES3_S5_NS0_18transform_iteratorINS0_17counting_iteratorImlEEZNS1_24adjacent_difference_implIS3_Lb1ELb0EPlSB_ZN2at6native12_GLOBAL__N_124unique_dim_cuda_templateIjEESt5tupleIJNSC_6TensorESH_SH_EERKSH_lbbbEUlllE1_EE10hipError_tPvRmT2_T3_mT4_P12ihipStream_tbEUlmE_lEESB_NS0_8identityIvEEEESM_SP_SQ_mSR_ST_bEUlT_E_NS1_11comp_targetILNS1_3genE9ELNS1_11target_archE1100ELNS1_3gpuE3ELNS1_3repE0EEENS1_30default_config_static_selectorELNS0_4arch9wavefront6targetE0EEEvT1_.numbered_sgpr, 0
	.set _ZN7rocprim17ROCPRIM_400000_NS6detail17trampoline_kernelINS0_14default_configENS1_25transform_config_selectorIlLb0EEEZNS1_14transform_implILb0ES3_S5_NS0_18transform_iteratorINS0_17counting_iteratorImlEEZNS1_24adjacent_difference_implIS3_Lb1ELb0EPlSB_ZN2at6native12_GLOBAL__N_124unique_dim_cuda_templateIjEESt5tupleIJNSC_6TensorESH_SH_EERKSH_lbbbEUlllE1_EE10hipError_tPvRmT2_T3_mT4_P12ihipStream_tbEUlmE_lEESB_NS0_8identityIvEEEESM_SP_SQ_mSR_ST_bEUlT_E_NS1_11comp_targetILNS1_3genE9ELNS1_11target_archE1100ELNS1_3gpuE3ELNS1_3repE0EEENS1_30default_config_static_selectorELNS0_4arch9wavefront6targetE0EEEvT1_.num_named_barrier, 0
	.set _ZN7rocprim17ROCPRIM_400000_NS6detail17trampoline_kernelINS0_14default_configENS1_25transform_config_selectorIlLb0EEEZNS1_14transform_implILb0ES3_S5_NS0_18transform_iteratorINS0_17counting_iteratorImlEEZNS1_24adjacent_difference_implIS3_Lb1ELb0EPlSB_ZN2at6native12_GLOBAL__N_124unique_dim_cuda_templateIjEESt5tupleIJNSC_6TensorESH_SH_EERKSH_lbbbEUlllE1_EE10hipError_tPvRmT2_T3_mT4_P12ihipStream_tbEUlmE_lEESB_NS0_8identityIvEEEESM_SP_SQ_mSR_ST_bEUlT_E_NS1_11comp_targetILNS1_3genE9ELNS1_11target_archE1100ELNS1_3gpuE3ELNS1_3repE0EEENS1_30default_config_static_selectorELNS0_4arch9wavefront6targetE0EEEvT1_.private_seg_size, 0
	.set _ZN7rocprim17ROCPRIM_400000_NS6detail17trampoline_kernelINS0_14default_configENS1_25transform_config_selectorIlLb0EEEZNS1_14transform_implILb0ES3_S5_NS0_18transform_iteratorINS0_17counting_iteratorImlEEZNS1_24adjacent_difference_implIS3_Lb1ELb0EPlSB_ZN2at6native12_GLOBAL__N_124unique_dim_cuda_templateIjEESt5tupleIJNSC_6TensorESH_SH_EERKSH_lbbbEUlllE1_EE10hipError_tPvRmT2_T3_mT4_P12ihipStream_tbEUlmE_lEESB_NS0_8identityIvEEEESM_SP_SQ_mSR_ST_bEUlT_E_NS1_11comp_targetILNS1_3genE9ELNS1_11target_archE1100ELNS1_3gpuE3ELNS1_3repE0EEENS1_30default_config_static_selectorELNS0_4arch9wavefront6targetE0EEEvT1_.uses_vcc, 0
	.set _ZN7rocprim17ROCPRIM_400000_NS6detail17trampoline_kernelINS0_14default_configENS1_25transform_config_selectorIlLb0EEEZNS1_14transform_implILb0ES3_S5_NS0_18transform_iteratorINS0_17counting_iteratorImlEEZNS1_24adjacent_difference_implIS3_Lb1ELb0EPlSB_ZN2at6native12_GLOBAL__N_124unique_dim_cuda_templateIjEESt5tupleIJNSC_6TensorESH_SH_EERKSH_lbbbEUlllE1_EE10hipError_tPvRmT2_T3_mT4_P12ihipStream_tbEUlmE_lEESB_NS0_8identityIvEEEESM_SP_SQ_mSR_ST_bEUlT_E_NS1_11comp_targetILNS1_3genE9ELNS1_11target_archE1100ELNS1_3gpuE3ELNS1_3repE0EEENS1_30default_config_static_selectorELNS0_4arch9wavefront6targetE0EEEvT1_.uses_flat_scratch, 0
	.set _ZN7rocprim17ROCPRIM_400000_NS6detail17trampoline_kernelINS0_14default_configENS1_25transform_config_selectorIlLb0EEEZNS1_14transform_implILb0ES3_S5_NS0_18transform_iteratorINS0_17counting_iteratorImlEEZNS1_24adjacent_difference_implIS3_Lb1ELb0EPlSB_ZN2at6native12_GLOBAL__N_124unique_dim_cuda_templateIjEESt5tupleIJNSC_6TensorESH_SH_EERKSH_lbbbEUlllE1_EE10hipError_tPvRmT2_T3_mT4_P12ihipStream_tbEUlmE_lEESB_NS0_8identityIvEEEESM_SP_SQ_mSR_ST_bEUlT_E_NS1_11comp_targetILNS1_3genE9ELNS1_11target_archE1100ELNS1_3gpuE3ELNS1_3repE0EEENS1_30default_config_static_selectorELNS0_4arch9wavefront6targetE0EEEvT1_.has_dyn_sized_stack, 0
	.set _ZN7rocprim17ROCPRIM_400000_NS6detail17trampoline_kernelINS0_14default_configENS1_25transform_config_selectorIlLb0EEEZNS1_14transform_implILb0ES3_S5_NS0_18transform_iteratorINS0_17counting_iteratorImlEEZNS1_24adjacent_difference_implIS3_Lb1ELb0EPlSB_ZN2at6native12_GLOBAL__N_124unique_dim_cuda_templateIjEESt5tupleIJNSC_6TensorESH_SH_EERKSH_lbbbEUlllE1_EE10hipError_tPvRmT2_T3_mT4_P12ihipStream_tbEUlmE_lEESB_NS0_8identityIvEEEESM_SP_SQ_mSR_ST_bEUlT_E_NS1_11comp_targetILNS1_3genE9ELNS1_11target_archE1100ELNS1_3gpuE3ELNS1_3repE0EEENS1_30default_config_static_selectorELNS0_4arch9wavefront6targetE0EEEvT1_.has_recursion, 0
	.set _ZN7rocprim17ROCPRIM_400000_NS6detail17trampoline_kernelINS0_14default_configENS1_25transform_config_selectorIlLb0EEEZNS1_14transform_implILb0ES3_S5_NS0_18transform_iteratorINS0_17counting_iteratorImlEEZNS1_24adjacent_difference_implIS3_Lb1ELb0EPlSB_ZN2at6native12_GLOBAL__N_124unique_dim_cuda_templateIjEESt5tupleIJNSC_6TensorESH_SH_EERKSH_lbbbEUlllE1_EE10hipError_tPvRmT2_T3_mT4_P12ihipStream_tbEUlmE_lEESB_NS0_8identityIvEEEESM_SP_SQ_mSR_ST_bEUlT_E_NS1_11comp_targetILNS1_3genE9ELNS1_11target_archE1100ELNS1_3gpuE3ELNS1_3repE0EEENS1_30default_config_static_selectorELNS0_4arch9wavefront6targetE0EEEvT1_.has_indirect_call, 0
	.section	.AMDGPU.csdata,"",@progbits
; Kernel info:
; codeLenInByte = 0
; TotalNumSgprs: 0
; NumVgprs: 0
; ScratchSize: 0
; MemoryBound: 0
; FloatMode: 240
; IeeeMode: 1
; LDSByteSize: 0 bytes/workgroup (compile time only)
; SGPRBlocks: 0
; VGPRBlocks: 0
; NumSGPRsForWavesPerEU: 1
; NumVGPRsForWavesPerEU: 1
; NamedBarCnt: 0
; Occupancy: 16
; WaveLimiterHint : 0
; COMPUTE_PGM_RSRC2:SCRATCH_EN: 0
; COMPUTE_PGM_RSRC2:USER_SGPR: 2
; COMPUTE_PGM_RSRC2:TRAP_HANDLER: 0
; COMPUTE_PGM_RSRC2:TGID_X_EN: 1
; COMPUTE_PGM_RSRC2:TGID_Y_EN: 0
; COMPUTE_PGM_RSRC2:TGID_Z_EN: 0
; COMPUTE_PGM_RSRC2:TIDIG_COMP_CNT: 0
	.section	.text._ZN7rocprim17ROCPRIM_400000_NS6detail17trampoline_kernelINS0_14default_configENS1_25transform_config_selectorIlLb0EEEZNS1_14transform_implILb0ES3_S5_NS0_18transform_iteratorINS0_17counting_iteratorImlEEZNS1_24adjacent_difference_implIS3_Lb1ELb0EPlSB_ZN2at6native12_GLOBAL__N_124unique_dim_cuda_templateIjEESt5tupleIJNSC_6TensorESH_SH_EERKSH_lbbbEUlllE1_EE10hipError_tPvRmT2_T3_mT4_P12ihipStream_tbEUlmE_lEESB_NS0_8identityIvEEEESM_SP_SQ_mSR_ST_bEUlT_E_NS1_11comp_targetILNS1_3genE8ELNS1_11target_archE1030ELNS1_3gpuE2ELNS1_3repE0EEENS1_30default_config_static_selectorELNS0_4arch9wavefront6targetE0EEEvT1_,"axG",@progbits,_ZN7rocprim17ROCPRIM_400000_NS6detail17trampoline_kernelINS0_14default_configENS1_25transform_config_selectorIlLb0EEEZNS1_14transform_implILb0ES3_S5_NS0_18transform_iteratorINS0_17counting_iteratorImlEEZNS1_24adjacent_difference_implIS3_Lb1ELb0EPlSB_ZN2at6native12_GLOBAL__N_124unique_dim_cuda_templateIjEESt5tupleIJNSC_6TensorESH_SH_EERKSH_lbbbEUlllE1_EE10hipError_tPvRmT2_T3_mT4_P12ihipStream_tbEUlmE_lEESB_NS0_8identityIvEEEESM_SP_SQ_mSR_ST_bEUlT_E_NS1_11comp_targetILNS1_3genE8ELNS1_11target_archE1030ELNS1_3gpuE2ELNS1_3repE0EEENS1_30default_config_static_selectorELNS0_4arch9wavefront6targetE0EEEvT1_,comdat
	.globl	_ZN7rocprim17ROCPRIM_400000_NS6detail17trampoline_kernelINS0_14default_configENS1_25transform_config_selectorIlLb0EEEZNS1_14transform_implILb0ES3_S5_NS0_18transform_iteratorINS0_17counting_iteratorImlEEZNS1_24adjacent_difference_implIS3_Lb1ELb0EPlSB_ZN2at6native12_GLOBAL__N_124unique_dim_cuda_templateIjEESt5tupleIJNSC_6TensorESH_SH_EERKSH_lbbbEUlllE1_EE10hipError_tPvRmT2_T3_mT4_P12ihipStream_tbEUlmE_lEESB_NS0_8identityIvEEEESM_SP_SQ_mSR_ST_bEUlT_E_NS1_11comp_targetILNS1_3genE8ELNS1_11target_archE1030ELNS1_3gpuE2ELNS1_3repE0EEENS1_30default_config_static_selectorELNS0_4arch9wavefront6targetE0EEEvT1_ ; -- Begin function _ZN7rocprim17ROCPRIM_400000_NS6detail17trampoline_kernelINS0_14default_configENS1_25transform_config_selectorIlLb0EEEZNS1_14transform_implILb0ES3_S5_NS0_18transform_iteratorINS0_17counting_iteratorImlEEZNS1_24adjacent_difference_implIS3_Lb1ELb0EPlSB_ZN2at6native12_GLOBAL__N_124unique_dim_cuda_templateIjEESt5tupleIJNSC_6TensorESH_SH_EERKSH_lbbbEUlllE1_EE10hipError_tPvRmT2_T3_mT4_P12ihipStream_tbEUlmE_lEESB_NS0_8identityIvEEEESM_SP_SQ_mSR_ST_bEUlT_E_NS1_11comp_targetILNS1_3genE8ELNS1_11target_archE1030ELNS1_3gpuE2ELNS1_3repE0EEENS1_30default_config_static_selectorELNS0_4arch9wavefront6targetE0EEEvT1_
	.p2align	8
	.type	_ZN7rocprim17ROCPRIM_400000_NS6detail17trampoline_kernelINS0_14default_configENS1_25transform_config_selectorIlLb0EEEZNS1_14transform_implILb0ES3_S5_NS0_18transform_iteratorINS0_17counting_iteratorImlEEZNS1_24adjacent_difference_implIS3_Lb1ELb0EPlSB_ZN2at6native12_GLOBAL__N_124unique_dim_cuda_templateIjEESt5tupleIJNSC_6TensorESH_SH_EERKSH_lbbbEUlllE1_EE10hipError_tPvRmT2_T3_mT4_P12ihipStream_tbEUlmE_lEESB_NS0_8identityIvEEEESM_SP_SQ_mSR_ST_bEUlT_E_NS1_11comp_targetILNS1_3genE8ELNS1_11target_archE1030ELNS1_3gpuE2ELNS1_3repE0EEENS1_30default_config_static_selectorELNS0_4arch9wavefront6targetE0EEEvT1_,@function
_ZN7rocprim17ROCPRIM_400000_NS6detail17trampoline_kernelINS0_14default_configENS1_25transform_config_selectorIlLb0EEEZNS1_14transform_implILb0ES3_S5_NS0_18transform_iteratorINS0_17counting_iteratorImlEEZNS1_24adjacent_difference_implIS3_Lb1ELb0EPlSB_ZN2at6native12_GLOBAL__N_124unique_dim_cuda_templateIjEESt5tupleIJNSC_6TensorESH_SH_EERKSH_lbbbEUlllE1_EE10hipError_tPvRmT2_T3_mT4_P12ihipStream_tbEUlmE_lEESB_NS0_8identityIvEEEESM_SP_SQ_mSR_ST_bEUlT_E_NS1_11comp_targetILNS1_3genE8ELNS1_11target_archE1030ELNS1_3gpuE2ELNS1_3repE0EEENS1_30default_config_static_selectorELNS0_4arch9wavefront6targetE0EEEvT1_: ; @_ZN7rocprim17ROCPRIM_400000_NS6detail17trampoline_kernelINS0_14default_configENS1_25transform_config_selectorIlLb0EEEZNS1_14transform_implILb0ES3_S5_NS0_18transform_iteratorINS0_17counting_iteratorImlEEZNS1_24adjacent_difference_implIS3_Lb1ELb0EPlSB_ZN2at6native12_GLOBAL__N_124unique_dim_cuda_templateIjEESt5tupleIJNSC_6TensorESH_SH_EERKSH_lbbbEUlllE1_EE10hipError_tPvRmT2_T3_mT4_P12ihipStream_tbEUlmE_lEESB_NS0_8identityIvEEEESM_SP_SQ_mSR_ST_bEUlT_E_NS1_11comp_targetILNS1_3genE8ELNS1_11target_archE1030ELNS1_3gpuE2ELNS1_3repE0EEENS1_30default_config_static_selectorELNS0_4arch9wavefront6targetE0EEEvT1_
; %bb.0:
	.section	.rodata,"a",@progbits
	.p2align	6, 0x0
	.amdhsa_kernel _ZN7rocprim17ROCPRIM_400000_NS6detail17trampoline_kernelINS0_14default_configENS1_25transform_config_selectorIlLb0EEEZNS1_14transform_implILb0ES3_S5_NS0_18transform_iteratorINS0_17counting_iteratorImlEEZNS1_24adjacent_difference_implIS3_Lb1ELb0EPlSB_ZN2at6native12_GLOBAL__N_124unique_dim_cuda_templateIjEESt5tupleIJNSC_6TensorESH_SH_EERKSH_lbbbEUlllE1_EE10hipError_tPvRmT2_T3_mT4_P12ihipStream_tbEUlmE_lEESB_NS0_8identityIvEEEESM_SP_SQ_mSR_ST_bEUlT_E_NS1_11comp_targetILNS1_3genE8ELNS1_11target_archE1030ELNS1_3gpuE2ELNS1_3repE0EEENS1_30default_config_static_selectorELNS0_4arch9wavefront6targetE0EEEvT1_
		.amdhsa_group_segment_fixed_size 0
		.amdhsa_private_segment_fixed_size 0
		.amdhsa_kernarg_size 56
		.amdhsa_user_sgpr_count 2
		.amdhsa_user_sgpr_dispatch_ptr 0
		.amdhsa_user_sgpr_queue_ptr 0
		.amdhsa_user_sgpr_kernarg_segment_ptr 1
		.amdhsa_user_sgpr_dispatch_id 0
		.amdhsa_user_sgpr_kernarg_preload_length 0
		.amdhsa_user_sgpr_kernarg_preload_offset 0
		.amdhsa_user_sgpr_private_segment_size 0
		.amdhsa_wavefront_size32 1
		.amdhsa_uses_dynamic_stack 0
		.amdhsa_enable_private_segment 0
		.amdhsa_system_sgpr_workgroup_id_x 1
		.amdhsa_system_sgpr_workgroup_id_y 0
		.amdhsa_system_sgpr_workgroup_id_z 0
		.amdhsa_system_sgpr_workgroup_info 0
		.amdhsa_system_vgpr_workitem_id 0
		.amdhsa_next_free_vgpr 1
		.amdhsa_next_free_sgpr 1
		.amdhsa_named_barrier_count 0
		.amdhsa_reserve_vcc 0
		.amdhsa_float_round_mode_32 0
		.amdhsa_float_round_mode_16_64 0
		.amdhsa_float_denorm_mode_32 3
		.amdhsa_float_denorm_mode_16_64 3
		.amdhsa_fp16_overflow 0
		.amdhsa_memory_ordered 1
		.amdhsa_forward_progress 1
		.amdhsa_inst_pref_size 0
		.amdhsa_round_robin_scheduling 0
		.amdhsa_exception_fp_ieee_invalid_op 0
		.amdhsa_exception_fp_denorm_src 0
		.amdhsa_exception_fp_ieee_div_zero 0
		.amdhsa_exception_fp_ieee_overflow 0
		.amdhsa_exception_fp_ieee_underflow 0
		.amdhsa_exception_fp_ieee_inexact 0
		.amdhsa_exception_int_div_zero 0
	.end_amdhsa_kernel
	.section	.text._ZN7rocprim17ROCPRIM_400000_NS6detail17trampoline_kernelINS0_14default_configENS1_25transform_config_selectorIlLb0EEEZNS1_14transform_implILb0ES3_S5_NS0_18transform_iteratorINS0_17counting_iteratorImlEEZNS1_24adjacent_difference_implIS3_Lb1ELb0EPlSB_ZN2at6native12_GLOBAL__N_124unique_dim_cuda_templateIjEESt5tupleIJNSC_6TensorESH_SH_EERKSH_lbbbEUlllE1_EE10hipError_tPvRmT2_T3_mT4_P12ihipStream_tbEUlmE_lEESB_NS0_8identityIvEEEESM_SP_SQ_mSR_ST_bEUlT_E_NS1_11comp_targetILNS1_3genE8ELNS1_11target_archE1030ELNS1_3gpuE2ELNS1_3repE0EEENS1_30default_config_static_selectorELNS0_4arch9wavefront6targetE0EEEvT1_,"axG",@progbits,_ZN7rocprim17ROCPRIM_400000_NS6detail17trampoline_kernelINS0_14default_configENS1_25transform_config_selectorIlLb0EEEZNS1_14transform_implILb0ES3_S5_NS0_18transform_iteratorINS0_17counting_iteratorImlEEZNS1_24adjacent_difference_implIS3_Lb1ELb0EPlSB_ZN2at6native12_GLOBAL__N_124unique_dim_cuda_templateIjEESt5tupleIJNSC_6TensorESH_SH_EERKSH_lbbbEUlllE1_EE10hipError_tPvRmT2_T3_mT4_P12ihipStream_tbEUlmE_lEESB_NS0_8identityIvEEEESM_SP_SQ_mSR_ST_bEUlT_E_NS1_11comp_targetILNS1_3genE8ELNS1_11target_archE1030ELNS1_3gpuE2ELNS1_3repE0EEENS1_30default_config_static_selectorELNS0_4arch9wavefront6targetE0EEEvT1_,comdat
.Lfunc_end1532:
	.size	_ZN7rocprim17ROCPRIM_400000_NS6detail17trampoline_kernelINS0_14default_configENS1_25transform_config_selectorIlLb0EEEZNS1_14transform_implILb0ES3_S5_NS0_18transform_iteratorINS0_17counting_iteratorImlEEZNS1_24adjacent_difference_implIS3_Lb1ELb0EPlSB_ZN2at6native12_GLOBAL__N_124unique_dim_cuda_templateIjEESt5tupleIJNSC_6TensorESH_SH_EERKSH_lbbbEUlllE1_EE10hipError_tPvRmT2_T3_mT4_P12ihipStream_tbEUlmE_lEESB_NS0_8identityIvEEEESM_SP_SQ_mSR_ST_bEUlT_E_NS1_11comp_targetILNS1_3genE8ELNS1_11target_archE1030ELNS1_3gpuE2ELNS1_3repE0EEENS1_30default_config_static_selectorELNS0_4arch9wavefront6targetE0EEEvT1_, .Lfunc_end1532-_ZN7rocprim17ROCPRIM_400000_NS6detail17trampoline_kernelINS0_14default_configENS1_25transform_config_selectorIlLb0EEEZNS1_14transform_implILb0ES3_S5_NS0_18transform_iteratorINS0_17counting_iteratorImlEEZNS1_24adjacent_difference_implIS3_Lb1ELb0EPlSB_ZN2at6native12_GLOBAL__N_124unique_dim_cuda_templateIjEESt5tupleIJNSC_6TensorESH_SH_EERKSH_lbbbEUlllE1_EE10hipError_tPvRmT2_T3_mT4_P12ihipStream_tbEUlmE_lEESB_NS0_8identityIvEEEESM_SP_SQ_mSR_ST_bEUlT_E_NS1_11comp_targetILNS1_3genE8ELNS1_11target_archE1030ELNS1_3gpuE2ELNS1_3repE0EEENS1_30default_config_static_selectorELNS0_4arch9wavefront6targetE0EEEvT1_
                                        ; -- End function
	.set _ZN7rocprim17ROCPRIM_400000_NS6detail17trampoline_kernelINS0_14default_configENS1_25transform_config_selectorIlLb0EEEZNS1_14transform_implILb0ES3_S5_NS0_18transform_iteratorINS0_17counting_iteratorImlEEZNS1_24adjacent_difference_implIS3_Lb1ELb0EPlSB_ZN2at6native12_GLOBAL__N_124unique_dim_cuda_templateIjEESt5tupleIJNSC_6TensorESH_SH_EERKSH_lbbbEUlllE1_EE10hipError_tPvRmT2_T3_mT4_P12ihipStream_tbEUlmE_lEESB_NS0_8identityIvEEEESM_SP_SQ_mSR_ST_bEUlT_E_NS1_11comp_targetILNS1_3genE8ELNS1_11target_archE1030ELNS1_3gpuE2ELNS1_3repE0EEENS1_30default_config_static_selectorELNS0_4arch9wavefront6targetE0EEEvT1_.num_vgpr, 0
	.set _ZN7rocprim17ROCPRIM_400000_NS6detail17trampoline_kernelINS0_14default_configENS1_25transform_config_selectorIlLb0EEEZNS1_14transform_implILb0ES3_S5_NS0_18transform_iteratorINS0_17counting_iteratorImlEEZNS1_24adjacent_difference_implIS3_Lb1ELb0EPlSB_ZN2at6native12_GLOBAL__N_124unique_dim_cuda_templateIjEESt5tupleIJNSC_6TensorESH_SH_EERKSH_lbbbEUlllE1_EE10hipError_tPvRmT2_T3_mT4_P12ihipStream_tbEUlmE_lEESB_NS0_8identityIvEEEESM_SP_SQ_mSR_ST_bEUlT_E_NS1_11comp_targetILNS1_3genE8ELNS1_11target_archE1030ELNS1_3gpuE2ELNS1_3repE0EEENS1_30default_config_static_selectorELNS0_4arch9wavefront6targetE0EEEvT1_.num_agpr, 0
	.set _ZN7rocprim17ROCPRIM_400000_NS6detail17trampoline_kernelINS0_14default_configENS1_25transform_config_selectorIlLb0EEEZNS1_14transform_implILb0ES3_S5_NS0_18transform_iteratorINS0_17counting_iteratorImlEEZNS1_24adjacent_difference_implIS3_Lb1ELb0EPlSB_ZN2at6native12_GLOBAL__N_124unique_dim_cuda_templateIjEESt5tupleIJNSC_6TensorESH_SH_EERKSH_lbbbEUlllE1_EE10hipError_tPvRmT2_T3_mT4_P12ihipStream_tbEUlmE_lEESB_NS0_8identityIvEEEESM_SP_SQ_mSR_ST_bEUlT_E_NS1_11comp_targetILNS1_3genE8ELNS1_11target_archE1030ELNS1_3gpuE2ELNS1_3repE0EEENS1_30default_config_static_selectorELNS0_4arch9wavefront6targetE0EEEvT1_.numbered_sgpr, 0
	.set _ZN7rocprim17ROCPRIM_400000_NS6detail17trampoline_kernelINS0_14default_configENS1_25transform_config_selectorIlLb0EEEZNS1_14transform_implILb0ES3_S5_NS0_18transform_iteratorINS0_17counting_iteratorImlEEZNS1_24adjacent_difference_implIS3_Lb1ELb0EPlSB_ZN2at6native12_GLOBAL__N_124unique_dim_cuda_templateIjEESt5tupleIJNSC_6TensorESH_SH_EERKSH_lbbbEUlllE1_EE10hipError_tPvRmT2_T3_mT4_P12ihipStream_tbEUlmE_lEESB_NS0_8identityIvEEEESM_SP_SQ_mSR_ST_bEUlT_E_NS1_11comp_targetILNS1_3genE8ELNS1_11target_archE1030ELNS1_3gpuE2ELNS1_3repE0EEENS1_30default_config_static_selectorELNS0_4arch9wavefront6targetE0EEEvT1_.num_named_barrier, 0
	.set _ZN7rocprim17ROCPRIM_400000_NS6detail17trampoline_kernelINS0_14default_configENS1_25transform_config_selectorIlLb0EEEZNS1_14transform_implILb0ES3_S5_NS0_18transform_iteratorINS0_17counting_iteratorImlEEZNS1_24adjacent_difference_implIS3_Lb1ELb0EPlSB_ZN2at6native12_GLOBAL__N_124unique_dim_cuda_templateIjEESt5tupleIJNSC_6TensorESH_SH_EERKSH_lbbbEUlllE1_EE10hipError_tPvRmT2_T3_mT4_P12ihipStream_tbEUlmE_lEESB_NS0_8identityIvEEEESM_SP_SQ_mSR_ST_bEUlT_E_NS1_11comp_targetILNS1_3genE8ELNS1_11target_archE1030ELNS1_3gpuE2ELNS1_3repE0EEENS1_30default_config_static_selectorELNS0_4arch9wavefront6targetE0EEEvT1_.private_seg_size, 0
	.set _ZN7rocprim17ROCPRIM_400000_NS6detail17trampoline_kernelINS0_14default_configENS1_25transform_config_selectorIlLb0EEEZNS1_14transform_implILb0ES3_S5_NS0_18transform_iteratorINS0_17counting_iteratorImlEEZNS1_24adjacent_difference_implIS3_Lb1ELb0EPlSB_ZN2at6native12_GLOBAL__N_124unique_dim_cuda_templateIjEESt5tupleIJNSC_6TensorESH_SH_EERKSH_lbbbEUlllE1_EE10hipError_tPvRmT2_T3_mT4_P12ihipStream_tbEUlmE_lEESB_NS0_8identityIvEEEESM_SP_SQ_mSR_ST_bEUlT_E_NS1_11comp_targetILNS1_3genE8ELNS1_11target_archE1030ELNS1_3gpuE2ELNS1_3repE0EEENS1_30default_config_static_selectorELNS0_4arch9wavefront6targetE0EEEvT1_.uses_vcc, 0
	.set _ZN7rocprim17ROCPRIM_400000_NS6detail17trampoline_kernelINS0_14default_configENS1_25transform_config_selectorIlLb0EEEZNS1_14transform_implILb0ES3_S5_NS0_18transform_iteratorINS0_17counting_iteratorImlEEZNS1_24adjacent_difference_implIS3_Lb1ELb0EPlSB_ZN2at6native12_GLOBAL__N_124unique_dim_cuda_templateIjEESt5tupleIJNSC_6TensorESH_SH_EERKSH_lbbbEUlllE1_EE10hipError_tPvRmT2_T3_mT4_P12ihipStream_tbEUlmE_lEESB_NS0_8identityIvEEEESM_SP_SQ_mSR_ST_bEUlT_E_NS1_11comp_targetILNS1_3genE8ELNS1_11target_archE1030ELNS1_3gpuE2ELNS1_3repE0EEENS1_30default_config_static_selectorELNS0_4arch9wavefront6targetE0EEEvT1_.uses_flat_scratch, 0
	.set _ZN7rocprim17ROCPRIM_400000_NS6detail17trampoline_kernelINS0_14default_configENS1_25transform_config_selectorIlLb0EEEZNS1_14transform_implILb0ES3_S5_NS0_18transform_iteratorINS0_17counting_iteratorImlEEZNS1_24adjacent_difference_implIS3_Lb1ELb0EPlSB_ZN2at6native12_GLOBAL__N_124unique_dim_cuda_templateIjEESt5tupleIJNSC_6TensorESH_SH_EERKSH_lbbbEUlllE1_EE10hipError_tPvRmT2_T3_mT4_P12ihipStream_tbEUlmE_lEESB_NS0_8identityIvEEEESM_SP_SQ_mSR_ST_bEUlT_E_NS1_11comp_targetILNS1_3genE8ELNS1_11target_archE1030ELNS1_3gpuE2ELNS1_3repE0EEENS1_30default_config_static_selectorELNS0_4arch9wavefront6targetE0EEEvT1_.has_dyn_sized_stack, 0
	.set _ZN7rocprim17ROCPRIM_400000_NS6detail17trampoline_kernelINS0_14default_configENS1_25transform_config_selectorIlLb0EEEZNS1_14transform_implILb0ES3_S5_NS0_18transform_iteratorINS0_17counting_iteratorImlEEZNS1_24adjacent_difference_implIS3_Lb1ELb0EPlSB_ZN2at6native12_GLOBAL__N_124unique_dim_cuda_templateIjEESt5tupleIJNSC_6TensorESH_SH_EERKSH_lbbbEUlllE1_EE10hipError_tPvRmT2_T3_mT4_P12ihipStream_tbEUlmE_lEESB_NS0_8identityIvEEEESM_SP_SQ_mSR_ST_bEUlT_E_NS1_11comp_targetILNS1_3genE8ELNS1_11target_archE1030ELNS1_3gpuE2ELNS1_3repE0EEENS1_30default_config_static_selectorELNS0_4arch9wavefront6targetE0EEEvT1_.has_recursion, 0
	.set _ZN7rocprim17ROCPRIM_400000_NS6detail17trampoline_kernelINS0_14default_configENS1_25transform_config_selectorIlLb0EEEZNS1_14transform_implILb0ES3_S5_NS0_18transform_iteratorINS0_17counting_iteratorImlEEZNS1_24adjacent_difference_implIS3_Lb1ELb0EPlSB_ZN2at6native12_GLOBAL__N_124unique_dim_cuda_templateIjEESt5tupleIJNSC_6TensorESH_SH_EERKSH_lbbbEUlllE1_EE10hipError_tPvRmT2_T3_mT4_P12ihipStream_tbEUlmE_lEESB_NS0_8identityIvEEEESM_SP_SQ_mSR_ST_bEUlT_E_NS1_11comp_targetILNS1_3genE8ELNS1_11target_archE1030ELNS1_3gpuE2ELNS1_3repE0EEENS1_30default_config_static_selectorELNS0_4arch9wavefront6targetE0EEEvT1_.has_indirect_call, 0
	.section	.AMDGPU.csdata,"",@progbits
; Kernel info:
; codeLenInByte = 0
; TotalNumSgprs: 0
; NumVgprs: 0
; ScratchSize: 0
; MemoryBound: 0
; FloatMode: 240
; IeeeMode: 1
; LDSByteSize: 0 bytes/workgroup (compile time only)
; SGPRBlocks: 0
; VGPRBlocks: 0
; NumSGPRsForWavesPerEU: 1
; NumVGPRsForWavesPerEU: 1
; NamedBarCnt: 0
; Occupancy: 16
; WaveLimiterHint : 0
; COMPUTE_PGM_RSRC2:SCRATCH_EN: 0
; COMPUTE_PGM_RSRC2:USER_SGPR: 2
; COMPUTE_PGM_RSRC2:TRAP_HANDLER: 0
; COMPUTE_PGM_RSRC2:TGID_X_EN: 1
; COMPUTE_PGM_RSRC2:TGID_Y_EN: 0
; COMPUTE_PGM_RSRC2:TGID_Z_EN: 0
; COMPUTE_PGM_RSRC2:TIDIG_COMP_CNT: 0
	.section	.text._ZN7rocprim17ROCPRIM_400000_NS6detail17trampoline_kernelINS0_14default_configENS1_35adjacent_difference_config_selectorILb1ElEEZNS1_24adjacent_difference_implIS3_Lb1ELb0EPlS7_ZN2at6native12_GLOBAL__N_124unique_dim_cuda_templateIjEESt5tupleIJNS8_6TensorESD_SD_EERKSD_lbbbEUlllE1_EE10hipError_tPvRmT2_T3_mT4_P12ihipStream_tbEUlT_E_NS1_11comp_targetILNS1_3genE0ELNS1_11target_archE4294967295ELNS1_3gpuE0ELNS1_3repE0EEENS1_30default_config_static_selectorELNS0_4arch9wavefront6targetE0EEEvT1_,"axG",@progbits,_ZN7rocprim17ROCPRIM_400000_NS6detail17trampoline_kernelINS0_14default_configENS1_35adjacent_difference_config_selectorILb1ElEEZNS1_24adjacent_difference_implIS3_Lb1ELb0EPlS7_ZN2at6native12_GLOBAL__N_124unique_dim_cuda_templateIjEESt5tupleIJNS8_6TensorESD_SD_EERKSD_lbbbEUlllE1_EE10hipError_tPvRmT2_T3_mT4_P12ihipStream_tbEUlT_E_NS1_11comp_targetILNS1_3genE0ELNS1_11target_archE4294967295ELNS1_3gpuE0ELNS1_3repE0EEENS1_30default_config_static_selectorELNS0_4arch9wavefront6targetE0EEEvT1_,comdat
	.globl	_ZN7rocprim17ROCPRIM_400000_NS6detail17trampoline_kernelINS0_14default_configENS1_35adjacent_difference_config_selectorILb1ElEEZNS1_24adjacent_difference_implIS3_Lb1ELb0EPlS7_ZN2at6native12_GLOBAL__N_124unique_dim_cuda_templateIjEESt5tupleIJNS8_6TensorESD_SD_EERKSD_lbbbEUlllE1_EE10hipError_tPvRmT2_T3_mT4_P12ihipStream_tbEUlT_E_NS1_11comp_targetILNS1_3genE0ELNS1_11target_archE4294967295ELNS1_3gpuE0ELNS1_3repE0EEENS1_30default_config_static_selectorELNS0_4arch9wavefront6targetE0EEEvT1_ ; -- Begin function _ZN7rocprim17ROCPRIM_400000_NS6detail17trampoline_kernelINS0_14default_configENS1_35adjacent_difference_config_selectorILb1ElEEZNS1_24adjacent_difference_implIS3_Lb1ELb0EPlS7_ZN2at6native12_GLOBAL__N_124unique_dim_cuda_templateIjEESt5tupleIJNS8_6TensorESD_SD_EERKSD_lbbbEUlllE1_EE10hipError_tPvRmT2_T3_mT4_P12ihipStream_tbEUlT_E_NS1_11comp_targetILNS1_3genE0ELNS1_11target_archE4294967295ELNS1_3gpuE0ELNS1_3repE0EEENS1_30default_config_static_selectorELNS0_4arch9wavefront6targetE0EEEvT1_
	.p2align	8
	.type	_ZN7rocprim17ROCPRIM_400000_NS6detail17trampoline_kernelINS0_14default_configENS1_35adjacent_difference_config_selectorILb1ElEEZNS1_24adjacent_difference_implIS3_Lb1ELb0EPlS7_ZN2at6native12_GLOBAL__N_124unique_dim_cuda_templateIjEESt5tupleIJNS8_6TensorESD_SD_EERKSD_lbbbEUlllE1_EE10hipError_tPvRmT2_T3_mT4_P12ihipStream_tbEUlT_E_NS1_11comp_targetILNS1_3genE0ELNS1_11target_archE4294967295ELNS1_3gpuE0ELNS1_3repE0EEENS1_30default_config_static_selectorELNS0_4arch9wavefront6targetE0EEEvT1_,@function
_ZN7rocprim17ROCPRIM_400000_NS6detail17trampoline_kernelINS0_14default_configENS1_35adjacent_difference_config_selectorILb1ElEEZNS1_24adjacent_difference_implIS3_Lb1ELb0EPlS7_ZN2at6native12_GLOBAL__N_124unique_dim_cuda_templateIjEESt5tupleIJNS8_6TensorESD_SD_EERKSD_lbbbEUlllE1_EE10hipError_tPvRmT2_T3_mT4_P12ihipStream_tbEUlT_E_NS1_11comp_targetILNS1_3genE0ELNS1_11target_archE4294967295ELNS1_3gpuE0ELNS1_3repE0EEENS1_30default_config_static_selectorELNS0_4arch9wavefront6targetE0EEEvT1_: ; @_ZN7rocprim17ROCPRIM_400000_NS6detail17trampoline_kernelINS0_14default_configENS1_35adjacent_difference_config_selectorILb1ElEEZNS1_24adjacent_difference_implIS3_Lb1ELb0EPlS7_ZN2at6native12_GLOBAL__N_124unique_dim_cuda_templateIjEESt5tupleIJNS8_6TensorESD_SD_EERKSD_lbbbEUlllE1_EE10hipError_tPvRmT2_T3_mT4_P12ihipStream_tbEUlT_E_NS1_11comp_targetILNS1_3genE0ELNS1_11target_archE4294967295ELNS1_3gpuE0ELNS1_3repE0EEENS1_30default_config_static_selectorELNS0_4arch9wavefront6targetE0EEEvT1_
; %bb.0:
	s_load_b512 s[4:19], s[0:1], 0x0
	s_wait_xcnt 0x0
	s_bfe_u32 s0, ttmp6, 0x4000c
	s_and_b32 s1, ttmp6, 15
	s_add_co_i32 s0, s0, 1
	s_getreg_b32 s2, hwreg(HW_REG_IB_STS2, 6, 4)
	s_mul_i32 s0, ttmp9, s0
	s_mov_b32 s25, 0
	s_add_co_i32 s1, s1, s0
	s_wait_kmcnt 0x0
	s_lshl_b64 s[20:21], s[6:7], 3
	s_cmp_eq_u32 s2, 0
	s_add_nc_u64 s[4:5], s[4:5], s[20:21]
	s_cselect_b32 s3, ttmp9, s1
	s_and_b64 s[6:7], s[10:11], 0x3ff
	s_lshr_b64 s[0:1], s[10:11], 10
	s_lshl_b32 s2, s3, 10
	s_cmp_lg_u64 s[6:7], 0
	s_cselect_b32 s6, -1, 0
	s_delay_alu instid0(SALU_CYCLE_1) | instskip(NEXT) | instid1(VALU_DEP_1)
	v_cndmask_b32_e64 v1, 0, 1, s6
	v_readfirstlane_b32 s24, v1
	s_add_nc_u64 s[0:1], s[0:1], s[24:25]
	s_mov_b32 s24, s3
	s_add_nc_u64 s[6:7], s[0:1], -1
	s_add_nc_u64 s[22:23], s[18:19], s[24:25]
	s_mov_b32 s3, -1
	v_cmp_ge_u64_e64 s11, s[22:23], s[6:7]
	s_and_b32 vcc_lo, exec_lo, s11
	s_cbranch_vccz .LBB1533_6
; %bb.1:
	v_mov_b32_e32 v2, 0
	s_lshl_b32 s3, s6, 10
	s_delay_alu instid0(SALU_CYCLE_1) | instskip(SKIP_1) | instid1(VALU_DEP_1)
	s_sub_co_i32 s28, s10, s3
	s_mov_b32 s3, s25
	v_dual_mov_b32 v3, v2 :: v_dual_mov_b32 v4, v2
	v_mov_b32_e32 v5, v2
	s_lshl_b64 s[26:27], s[2:3], 3
	s_mov_b32 s3, exec_lo
	s_add_nc_u64 s[26:27], s[4:5], s[26:27]
	v_cmpx_gt_u32_e64 s28, v0
	s_cbranch_execz .LBB1533_3
; %bb.2:
	global_load_b64 v[4:5], v0, s[26:27] scale_offset
	v_dual_mov_b32 v6, v2 :: v_dual_mov_b32 v7, v2
	s_wait_loadcnt 0x0
	v_mov_b64_e32 v[2:3], v[4:5]
	s_delay_alu instid0(VALU_DEP_2)
	v_mov_b64_e32 v[4:5], v[6:7]
.LBB1533_3:
	s_or_b32 exec_lo, exec_lo, s3
	v_or_b32_e32 v1, 0x200, v0
	s_mov_b32 s3, exec_lo
	s_delay_alu instid0(VALU_DEP_1)
	v_cmpx_gt_u32_e64 s28, v1
	s_cbranch_execz .LBB1533_5
; %bb.4:
	global_load_b64 v[4:5], v0, s[26:27] offset:4096 scale_offset
.LBB1533_5:
	s_wait_xcnt 0x0
	s_or_b32 exec_lo, exec_lo, s3
	v_dual_lshrrev_b32 v6, 2, v0 :: v_dual_lshrrev_b32 v1, 2, v1
	v_lshlrev_b32_e32 v7, 3, v0
	s_mov_b32 s3, 0
	s_delay_alu instid0(VALU_DEP_2) | instskip(NEXT) | instid1(VALU_DEP_3)
	v_and_b32_e32 v6, 0x78, v6
	v_and_b32_e32 v1, 0xf8, v1
	s_delay_alu instid0(VALU_DEP_1)
	v_dual_add_nc_u32 v6, v6, v7 :: v_dual_add_nc_u32 v1, v1, v7
	ds_store_b64 v6, v[2:3]
	s_wait_loadcnt 0x0
	ds_store_b64 v1, v[4:5] offset:4096
	s_wait_dscnt 0x0
	s_barrier_signal -1
	s_barrier_wait -1
.LBB1533_6:
	s_and_b32 vcc_lo, exec_lo, s3
	s_cbranch_vccz .LBB1533_8
; %bb.7:
	s_mov_b32 s3, 0
	v_or_b32_e32 v1, 0x200, v0
	s_lshl_b64 s[26:27], s[2:3], 3
	v_lshrrev_b32_e32 v6, 2, v0
	s_add_nc_u64 s[4:5], s[4:5], s[26:27]
	v_lshlrev_b32_e32 v7, 3, v0
	s_clause 0x1
	global_load_b64 v[2:3], v0, s[4:5] scale_offset
	global_load_b64 v[4:5], v0, s[4:5] offset:4096 scale_offset
	v_lshrrev_b32_e32 v1, 2, v1
	v_and_b32_e32 v6, 0x78, v6
	s_delay_alu instid0(VALU_DEP_2) | instskip(NEXT) | instid1(VALU_DEP_1)
	v_and_b32_e32 v1, 0xf8, v1
	v_dual_add_nc_u32 v6, v6, v7 :: v_dual_add_nc_u32 v1, v1, v7
	s_wait_loadcnt 0x1
	ds_store_b64 v6, v[2:3]
	s_wait_loadcnt 0x0
	ds_store_b64 v1, v[4:5] offset:4096
	s_wait_dscnt 0x0
	s_barrier_signal -1
	s_barrier_wait -1
.LBB1533_8:
	v_lshrrev_b32_e32 v1, 1, v0
	s_cmp_eq_u64 s[22:23], 0
	s_delay_alu instid0(VALU_DEP_1) | instskip(NEXT) | instid1(VALU_DEP_1)
	v_and_b32_e32 v1, 0xf8, v1
	v_lshl_add_u32 v1, v0, 4, v1
	ds_load_2addr_b64 v[2:5], v1 offset1:1
	s_wait_dscnt 0x0
	s_barrier_signal -1
	s_barrier_wait -1
	s_cbranch_scc1 .LBB1533_15
; %bb.9:
	s_lshl_b64 s[4:5], s[18:19], 3
	s_delay_alu instid0(SALU_CYCLE_1) | instskip(SKIP_3) | instid1(SALU_CYCLE_1)
	s_add_nc_u64 s[4:5], s[16:17], s[4:5]
	s_lshl_b64 s[16:17], s[24:25], 3
	s_cmp_eq_u64 s[22:23], s[6:7]
	s_add_nc_u64 s[4:5], s[4:5], s[16:17]
	s_add_nc_u64 s[4:5], s[4:5], -8
	s_load_b64 s[4:5], s[4:5], 0x0
	s_cbranch_scc1 .LBB1533_16
; %bb.10:
	v_cmp_lt_i64_e64 s7, s[12:13], 1
	v_mov_b64_e32 v[8:9], 0
	v_cmp_gt_i64_e64 s3, s[12:13], 0
	v_lshlrev_b32_e32 v12, 3, v0
	s_and_b32 vcc_lo, exec_lo, s7
	ds_store_b64 v12, v[4:5]
	s_cbranch_vccnz .LBB1533_18
; %bb.11:
	v_mul_u64_e32 v[6:7], s[12:13], v[4:5]
	v_mul_u64_e32 v[8:9], s[12:13], v[2:3]
	s_mov_b32 s7, 0
	s_mov_b64 s[16:17], s[12:13]
                                        ; implicit-def: $sgpr18
	s_delay_alu instid0(VALU_DEP_2) | instskip(NEXT) | instid1(VALU_DEP_2)
	v_lshl_add_u64 v[6:7], v[6:7], 2, s[14:15]
	v_lshl_add_u64 v[10:11], v[8:9], 2, s[14:15]
	s_branch .LBB1533_13
.LBB1533_12:                            ;   in Loop: Header=BB1533_13 Depth=1
	s_or_b32 exec_lo, exec_lo, s19
	s_delay_alu instid0(SALU_CYCLE_1) | instskip(NEXT) | instid1(SALU_CYCLE_1)
	s_and_b32 s19, exec_lo, s18
	s_or_b32 s7, s19, s7
	s_delay_alu instid0(SALU_CYCLE_1)
	s_and_not1_b32 exec_lo, exec_lo, s7
	s_cbranch_execz .LBB1533_17
.LBB1533_13:                            ; =>This Inner Loop Header: Depth=1
	global_load_b32 v13, v[6:7], off
	global_load_b32 v14, v[10:11], off
	v_mov_b64_e32 v[8:9], 1
	s_or_b32 s18, s18, exec_lo
	s_mov_b32 s19, exec_lo
	s_wait_loadcnt 0x0
	v_cmpx_eq_u32_e64 v13, v14
	s_cbranch_execz .LBB1533_12
; %bb.14:                               ;   in Loop: Header=BB1533_13 Depth=1
	s_add_nc_u64 s[16:17], s[16:17], -1
	v_add_nc_u64_e32 v[6:7], 4, v[6:7]
	s_cmp_eq_u64 s[16:17], 0
	v_add_nc_u64_e32 v[10:11], 4, v[10:11]
	v_mov_b64_e32 v[8:9], 0
	s_cselect_b32 s23, -1, 0
	s_and_not1_b32 s18, s18, exec_lo
	s_and_b32 s23, s23, exec_lo
	s_delay_alu instid0(SALU_CYCLE_1)
	s_or_b32 s18, s18, s23
	s_branch .LBB1533_12
.LBB1533_15:
                                        ; implicit-def: $vgpr8_vgpr9
                                        ; implicit-def: $vgpr6_vgpr7
	s_branch .LBB1533_47
.LBB1533_16:
                                        ; implicit-def: $vgpr8_vgpr9
                                        ; implicit-def: $vgpr6_vgpr7
	s_cbranch_execnz .LBB1533_27
	s_branch .LBB1533_46
.LBB1533_17:
	s_or_b32 exec_lo, exec_lo, s7
.LBB1533_18:
	s_wait_kmcnt 0x0
	v_mov_b64_e32 v[6:7], s[4:5]
	s_mov_b32 s7, exec_lo
	s_wait_dscnt 0x0
	s_barrier_signal -1
	s_barrier_wait -1
	v_cmpx_ne_u32_e32 0, v0
; %bb.19:
	v_add_nc_u32_e32 v6, -8, v12
	ds_load_b64 v[6:7], v6
; %bb.20:
	s_or_b32 exec_lo, exec_lo, s7
	s_delay_alu instid0(SALU_CYCLE_1)
	s_and_not1_b32 vcc_lo, exec_lo, s3
	s_cbranch_vccnz .LBB1533_26
; %bb.21:
	v_mul_u64_e32 v[10:11], s[12:13], v[2:3]
	s_wait_dscnt 0x0
	v_mul_u64_e32 v[6:7], s[12:13], v[6:7]
	s_mov_b32 s3, 0
	s_mov_b64 s[16:17], s[12:13]
                                        ; implicit-def: $sgpr7
	s_delay_alu instid0(VALU_DEP_2) | instskip(NEXT) | instid1(VALU_DEP_2)
	v_lshl_add_u64 v[10:11], v[10:11], 2, s[14:15]
	v_lshl_add_u64 v[12:13], v[6:7], 2, s[14:15]
	s_branch .LBB1533_23
.LBB1533_22:                            ;   in Loop: Header=BB1533_23 Depth=1
	s_or_b32 exec_lo, exec_lo, s18
	s_delay_alu instid0(SALU_CYCLE_1) | instskip(NEXT) | instid1(SALU_CYCLE_1)
	s_and_b32 s18, exec_lo, s7
	s_or_b32 s3, s18, s3
	s_delay_alu instid0(SALU_CYCLE_1)
	s_and_not1_b32 exec_lo, exec_lo, s3
	s_cbranch_execz .LBB1533_25
.LBB1533_23:                            ; =>This Inner Loop Header: Depth=1
	global_load_b32 v14, v[10:11], off
	global_load_b32 v15, v[12:13], off
	v_mov_b64_e32 v[6:7], 1
	s_or_b32 s7, s7, exec_lo
	s_mov_b32 s18, exec_lo
	s_wait_loadcnt 0x0
	v_cmpx_eq_u32_e64 v14, v15
	s_cbranch_execz .LBB1533_22
; %bb.24:                               ;   in Loop: Header=BB1533_23 Depth=1
	s_add_nc_u64 s[16:17], s[16:17], -1
	v_add_nc_u64_e32 v[10:11], 4, v[10:11]
	s_cmp_eq_u64 s[16:17], 0
	v_add_nc_u64_e32 v[12:13], 4, v[12:13]
	v_mov_b64_e32 v[6:7], 0
	s_cselect_b32 s19, -1, 0
	s_and_not1_b32 s7, s7, exec_lo
	s_and_b32 s19, s19, exec_lo
	s_delay_alu instid0(SALU_CYCLE_1)
	s_or_b32 s7, s7, s19
	s_branch .LBB1533_22
.LBB1533_25:
	s_or_b32 exec_lo, exec_lo, s3
	s_branch .LBB1533_46
.LBB1533_26:
	s_wait_dscnt 0x0
	v_mov_b64_e32 v[6:7], 0
	s_branch .LBB1533_46
.LBB1533_27:
	v_dual_lshlrev_b32 v12, 1, v0 :: v_dual_lshlrev_b32 v13, 3, v0
	v_mov_b64_e32 v[8:9], v[4:5]
	s_lshl_b32 s3, s22, 10
	s_mov_b32 s7, exec_lo
	s_delay_alu instid0(VALU_DEP_2)
	v_or_b32_e32 v10, 1, v12
	s_sub_co_i32 s3, s10, s3
	v_mov_b64_e32 v[6:7], v[2:3]
	ds_store_b64 v13, v[4:5]
	v_cmpx_gt_u32_e64 s3, v10
	s_cbranch_execz .LBB1533_35
; %bb.28:
	v_cmp_lt_i64_e64 s16, s[12:13], 1
	s_and_b32 vcc_lo, exec_lo, s16
	s_cbranch_vccnz .LBB1533_34
; %bb.29:
	v_mul_u64_e32 v[6:7], s[12:13], v[4:5]
	v_mul_u64_e32 v[8:9], s[12:13], v[2:3]
	s_mov_b32 s18, 0
	s_mov_b64 s[16:17], s[12:13]
                                        ; implicit-def: $sgpr19
	s_delay_alu instid0(VALU_DEP_2) | instskip(NEXT) | instid1(VALU_DEP_2)
	v_lshl_add_u64 v[6:7], v[6:7], 2, s[14:15]
	v_lshl_add_u64 v[10:11], v[8:9], 2, s[14:15]
	s_branch .LBB1533_31
.LBB1533_30:                            ;   in Loop: Header=BB1533_31 Depth=1
	s_or_b32 exec_lo, exec_lo, s22
	s_delay_alu instid0(SALU_CYCLE_1) | instskip(NEXT) | instid1(SALU_CYCLE_1)
	s_and_b32 s22, exec_lo, s19
	s_or_b32 s18, s22, s18
	s_delay_alu instid0(SALU_CYCLE_1)
	s_and_not1_b32 exec_lo, exec_lo, s18
	s_cbranch_execz .LBB1533_33
.LBB1533_31:                            ; =>This Inner Loop Header: Depth=1
	global_load_b32 v14, v[6:7], off
	global_load_b32 v15, v[10:11], off
	v_mov_b64_e32 v[8:9], 1
	s_or_b32 s19, s19, exec_lo
	s_mov_b32 s22, exec_lo
	s_wait_loadcnt 0x0
	v_cmpx_eq_u32_e64 v14, v15
	s_cbranch_execz .LBB1533_30
; %bb.32:                               ;   in Loop: Header=BB1533_31 Depth=1
	s_add_nc_u64 s[16:17], s[16:17], -1
	v_add_nc_u64_e32 v[6:7], 4, v[6:7]
	s_cmp_eq_u64 s[16:17], 0
	v_add_nc_u64_e32 v[10:11], 4, v[10:11]
	s_cselect_b32 s23, -1, 0
	s_and_not1_b32 s19, s19, exec_lo
	s_and_b32 s23, s23, exec_lo
	v_mov_b64_e32 v[8:9], 0
	s_or_b32 s19, s19, s23
	s_branch .LBB1533_30
.LBB1533_33:
	s_or_b32 exec_lo, exec_lo, s18
	s_branch .LBB1533_35
.LBB1533_34:
	v_mov_b64_e32 v[8:9], 0
.LBB1533_35:
	s_or_b32 exec_lo, exec_lo, s7
	s_wait_kmcnt 0x0
	v_mov_b64_e32 v[10:11], s[4:5]
	s_mov_b32 s4, exec_lo
	s_wait_dscnt 0x0
	s_barrier_signal -1
	s_barrier_wait -1
	v_cmpx_ne_u32_e32 0, v0
; %bb.36:
	v_add_nc_u32_e32 v6, -8, v13
	ds_load_b64 v[10:11], v6
; %bb.37:
	s_or_b32 exec_lo, exec_lo, s4
	v_mov_b64_e32 v[6:7], v[2:3]
	v_cmp_gt_u32_e32 vcc_lo, s3, v12
	s_and_saveexec_b32 s3, vcc_lo
	s_cbranch_execz .LBB1533_45
; %bb.38:
	v_cmp_lt_i64_e64 s4, s[12:13], 1
	s_and_b32 vcc_lo, exec_lo, s4
	s_cbranch_vccnz .LBB1533_44
; %bb.39:
	v_mul_u64_e32 v[6:7], s[12:13], v[2:3]
	s_wait_dscnt 0x0
	v_mul_u64_e32 v[12:13], s[12:13], v[10:11]
	s_mov_b32 s7, 0
	s_mov_b64 s[4:5], s[12:13]
                                        ; implicit-def: $sgpr16
	s_delay_alu instid0(VALU_DEP_2) | instskip(NEXT) | instid1(VALU_DEP_2)
	v_lshl_add_u64 v[10:11], v[6:7], 2, s[14:15]
	v_lshl_add_u64 v[12:13], v[12:13], 2, s[14:15]
	s_branch .LBB1533_41
.LBB1533_40:                            ;   in Loop: Header=BB1533_41 Depth=1
	s_or_b32 exec_lo, exec_lo, s17
	s_delay_alu instid0(SALU_CYCLE_1) | instskip(NEXT) | instid1(SALU_CYCLE_1)
	s_and_b32 s17, exec_lo, s16
	s_or_b32 s7, s17, s7
	s_delay_alu instid0(SALU_CYCLE_1)
	s_and_not1_b32 exec_lo, exec_lo, s7
	s_cbranch_execz .LBB1533_43
.LBB1533_41:                            ; =>This Inner Loop Header: Depth=1
	global_load_b32 v14, v[10:11], off
	global_load_b32 v15, v[12:13], off
	v_mov_b64_e32 v[6:7], 1
	s_or_b32 s16, s16, exec_lo
	s_mov_b32 s17, exec_lo
	s_wait_loadcnt 0x0
	v_cmpx_eq_u32_e64 v14, v15
	s_cbranch_execz .LBB1533_40
; %bb.42:                               ;   in Loop: Header=BB1533_41 Depth=1
	s_add_nc_u64 s[4:5], s[4:5], -1
	v_add_nc_u64_e32 v[10:11], 4, v[10:11]
	s_cmp_eq_u64 s[4:5], 0
	v_add_nc_u64_e32 v[12:13], 4, v[12:13]
	v_mov_b64_e32 v[6:7], 0
	s_cselect_b32 s18, -1, 0
	s_and_not1_b32 s16, s16, exec_lo
	s_and_b32 s18, s18, exec_lo
	s_delay_alu instid0(SALU_CYCLE_1)
	s_or_b32 s16, s16, s18
	s_branch .LBB1533_40
.LBB1533_43:
	s_or_b32 exec_lo, exec_lo, s7
	s_branch .LBB1533_45
.LBB1533_44:
	v_mov_b64_e32 v[6:7], 0
.LBB1533_45:
	s_or_b32 exec_lo, exec_lo, s3
.LBB1533_46:
	s_cbranch_execnz .LBB1533_81
.LBB1533_47:
	s_cmp_eq_u64 s[0:1], 1
	s_cbranch_scc1 .LBB1533_53
; %bb.48:
	v_cmp_lt_i64_e64 s0, s[12:13], 1
	v_mov_b64_e32 v[8:9], 0
	s_wait_kmcnt 0x0
	v_cmp_gt_i64_e64 s4, s[12:13], 0
	v_lshlrev_b32_e32 v12, 3, v0
	s_and_b32 vcc_lo, exec_lo, s0
	ds_store_b64 v12, v[4:5]
	s_cbranch_vccnz .LBB1533_55
; %bb.49:
	v_mul_u64_e32 v[6:7], s[12:13], v[4:5]
	v_mul_u64_e32 v[8:9], s[12:13], v[2:3]
	s_mov_b32 s3, 0
	s_mov_b64 s[0:1], s[12:13]
                                        ; implicit-def: $sgpr5
	s_delay_alu instid0(VALU_DEP_2) | instskip(SKIP_1) | instid1(VALU_DEP_2)
	v_lshl_add_u64 v[6:7], v[6:7], 2, s[14:15]
	s_wait_dscnt 0x1
	v_lshl_add_u64 v[10:11], v[8:9], 2, s[14:15]
	s_branch .LBB1533_51
.LBB1533_50:                            ;   in Loop: Header=BB1533_51 Depth=1
	s_or_b32 exec_lo, exec_lo, s7
	s_delay_alu instid0(SALU_CYCLE_1) | instskip(NEXT) | instid1(SALU_CYCLE_1)
	s_and_b32 s7, exec_lo, s5
	s_or_b32 s3, s7, s3
	s_delay_alu instid0(SALU_CYCLE_1)
	s_and_not1_b32 exec_lo, exec_lo, s3
	s_cbranch_execz .LBB1533_54
.LBB1533_51:                            ; =>This Inner Loop Header: Depth=1
	global_load_b32 v13, v[6:7], off
	global_load_b32 v14, v[10:11], off
	v_mov_b64_e32 v[8:9], 1
	s_or_b32 s5, s5, exec_lo
	s_mov_b32 s7, exec_lo
	s_wait_loadcnt 0x0
	v_cmpx_eq_u32_e64 v13, v14
	s_cbranch_execz .LBB1533_50
; %bb.52:                               ;   in Loop: Header=BB1533_51 Depth=1
	s_add_nc_u64 s[0:1], s[0:1], -1
	v_add_nc_u64_e32 v[6:7], 4, v[6:7]
	s_cmp_eq_u64 s[0:1], 0
	v_add_nc_u64_e32 v[10:11], 4, v[10:11]
	v_mov_b64_e32 v[8:9], 0
	s_cselect_b32 s16, -1, 0
	s_and_not1_b32 s5, s5, exec_lo
	s_and_b32 s16, s16, exec_lo
	s_delay_alu instid0(SALU_CYCLE_1)
	s_or_b32 s5, s5, s16
	s_branch .LBB1533_50
.LBB1533_53:
                                        ; implicit-def: $vgpr8_vgpr9
                                        ; implicit-def: $vgpr6_vgpr7
	s_cbranch_execnz .LBB1533_63
	s_branch .LBB1533_81
.LBB1533_54:
	s_or_b32 exec_lo, exec_lo, s3
.LBB1533_55:
	v_mov_b64_e32 v[6:7], v[2:3]
	s_mov_b32 s3, 0
	s_mov_b32 s5, exec_lo
	s_wait_dscnt 0x0
	s_barrier_signal -1
	s_barrier_wait -1
	v_cmpx_ne_u32_e32 0, v0
	s_cbranch_execz .LBB1533_62
; %bb.56:
	s_and_not1_b32 vcc_lo, exec_lo, s4
	s_cbranch_vccnz .LBB1533_70
; %bb.57:
	v_add_nc_u32_e32 v6, -8, v12
	v_mul_u64_e32 v[10:11], s[12:13], v[2:3]
	s_mov_b32 s4, 0
	s_mov_b64 s[0:1], s[12:13]
                                        ; implicit-def: $sgpr7
	ds_load_b64 v[6:7], v6
	s_wait_dscnt 0x0
	v_mul_u64_e32 v[6:7], s[12:13], v[6:7]
	v_lshl_add_u64 v[10:11], v[10:11], 2, s[14:15]
	s_delay_alu instid0(VALU_DEP_2)
	v_lshl_add_u64 v[12:13], v[6:7], 2, s[14:15]
	s_branch .LBB1533_59
.LBB1533_58:                            ;   in Loop: Header=BB1533_59 Depth=1
	s_or_b32 exec_lo, exec_lo, s16
	s_delay_alu instid0(SALU_CYCLE_1) | instskip(NEXT) | instid1(SALU_CYCLE_1)
	s_and_b32 s16, exec_lo, s7
	s_or_b32 s4, s16, s4
	s_delay_alu instid0(SALU_CYCLE_1)
	s_and_not1_b32 exec_lo, exec_lo, s4
	s_cbranch_execz .LBB1533_61
.LBB1533_59:                            ; =>This Inner Loop Header: Depth=1
	global_load_b32 v14, v[10:11], off
	global_load_b32 v15, v[12:13], off
	v_mov_b64_e32 v[6:7], 1
	s_or_b32 s7, s7, exec_lo
	s_mov_b32 s16, exec_lo
	s_wait_loadcnt 0x0
	v_cmpx_eq_u32_e64 v14, v15
	s_cbranch_execz .LBB1533_58
; %bb.60:                               ;   in Loop: Header=BB1533_59 Depth=1
	s_add_nc_u64 s[0:1], s[0:1], -1
	v_add_nc_u64_e32 v[10:11], 4, v[10:11]
	s_cmp_eq_u64 s[0:1], 0
	v_add_nc_u64_e32 v[12:13], 4, v[12:13]
	v_mov_b64_e32 v[6:7], 0
	s_cselect_b32 s17, -1, 0
	s_and_not1_b32 s7, s7, exec_lo
	s_and_b32 s17, s17, exec_lo
	s_delay_alu instid0(SALU_CYCLE_1)
	s_or_b32 s7, s7, s17
	s_branch .LBB1533_58
.LBB1533_61:
	s_or_b32 exec_lo, exec_lo, s4
.LBB1533_62:
	s_delay_alu instid0(SALU_CYCLE_1) | instskip(NEXT) | instid1(SALU_CYCLE_1)
	s_or_b32 exec_lo, exec_lo, s5
	s_and_b32 vcc_lo, exec_lo, s3
	s_cbranch_vccz .LBB1533_81
.LBB1533_63:
	s_wait_dscnt 0x0
	v_dual_lshlrev_b32 v11, 1, v0 :: v_dual_lshlrev_b32 v10, 3, v0
	v_mov_b64_e32 v[8:9], v[4:5]
	s_mov_b32 s3, exec_lo
	v_mov_b64_e32 v[6:7], v[2:3]
	s_delay_alu instid0(VALU_DEP_3)
	v_or_b32_e32 v12, 1, v11
	ds_store_b64 v10, v[4:5]
	v_cmpx_gt_u32_e64 s10, v12
	s_cbranch_execz .LBB1533_72
; %bb.64:
	v_cmp_lt_i64_e64 s0, s[12:13], 1
	s_and_b32 vcc_lo, exec_lo, s0
	s_cbranch_vccnz .LBB1533_71
; %bb.65:
	v_mul_u64_e32 v[4:5], s[12:13], v[4:5]
	v_mul_u64_e32 v[6:7], s[12:13], v[2:3]
	s_wait_kmcnt 0x0
	s_mov_b32 s4, 0
	s_mov_b64 s[0:1], s[12:13]
                                        ; implicit-def: $sgpr5
	s_delay_alu instid0(VALU_DEP_2) | instskip(NEXT) | instid1(VALU_DEP_2)
	v_lshl_add_u64 v[4:5], v[4:5], 2, s[14:15]
	v_lshl_add_u64 v[6:7], v[6:7], 2, s[14:15]
	s_branch .LBB1533_67
.LBB1533_66:                            ;   in Loop: Header=BB1533_67 Depth=1
	s_or_b32 exec_lo, exec_lo, s7
	s_delay_alu instid0(SALU_CYCLE_1) | instskip(NEXT) | instid1(SALU_CYCLE_1)
	s_and_b32 s7, exec_lo, s5
	s_or_b32 s4, s7, s4
	s_delay_alu instid0(SALU_CYCLE_1)
	s_and_not1_b32 exec_lo, exec_lo, s4
	s_cbranch_execz .LBB1533_69
.LBB1533_67:                            ; =>This Inner Loop Header: Depth=1
	global_load_b32 v12, v[4:5], off
	global_load_b32 v13, v[6:7], off
	v_mov_b64_e32 v[8:9], 1
	s_or_b32 s5, s5, exec_lo
	s_mov_b32 s7, exec_lo
	s_wait_loadcnt 0x0
	v_cmpx_eq_u32_e64 v12, v13
	s_cbranch_execz .LBB1533_66
; %bb.68:                               ;   in Loop: Header=BB1533_67 Depth=1
	s_add_nc_u64 s[0:1], s[0:1], -1
	v_add_nc_u64_e32 v[4:5], 4, v[4:5]
	s_cmp_eq_u64 s[0:1], 0
	v_add_nc_u64_e32 v[6:7], 4, v[6:7]
	s_cselect_b32 s16, -1, 0
	s_and_not1_b32 s5, s5, exec_lo
	s_and_b32 s16, s16, exec_lo
	v_mov_b64_e32 v[8:9], 0
	s_or_b32 s5, s5, s16
	s_branch .LBB1533_66
.LBB1533_69:
	s_or_b32 exec_lo, exec_lo, s4
	s_branch .LBB1533_72
.LBB1533_70:
	v_mov_b64_e32 v[6:7], 0
	s_or_b32 exec_lo, exec_lo, s5
	s_delay_alu instid0(SALU_CYCLE_1)
	s_and_b32 vcc_lo, exec_lo, s3
	s_cbranch_vccnz .LBB1533_63
	s_branch .LBB1533_81
.LBB1533_71:
	v_mov_b64_e32 v[8:9], 0
.LBB1533_72:
	s_or_b32 exec_lo, exec_lo, s3
	v_cmp_ne_u32_e32 vcc_lo, 0, v0
	v_cmp_gt_u32_e64 s0, s10, v11
	s_wait_dscnt 0x0
	s_barrier_signal -1
	s_barrier_wait -1
	s_and_b32 s1, vcc_lo, s0
	s_delay_alu instid0(SALU_CYCLE_1)
	s_and_saveexec_b32 s0, s1
	s_cbranch_execz .LBB1533_80
; %bb.73:
	v_cmp_lt_i64_e64 s1, s[12:13], 1
	s_and_b32 vcc_lo, exec_lo, s1
	s_cbranch_vccnz .LBB1533_79
; %bb.74:
	v_add_nc_u32_e32 v4, -8, v10
	v_mul_u64_e32 v[2:3], s[12:13], v[2:3]
	s_mov_b32 s1, 0
                                        ; implicit-def: $sgpr3
	ds_load_b64 v[4:5], v4
	s_wait_dscnt 0x0
	v_mul_u64_e32 v[6:7], s[12:13], v[4:5]
	v_lshl_add_u64 v[4:5], v[2:3], 2, s[14:15]
	s_delay_alu instid0(VALU_DEP_2)
	v_lshl_add_u64 v[6:7], v[6:7], 2, s[14:15]
	s_branch .LBB1533_76
.LBB1533_75:                            ;   in Loop: Header=BB1533_76 Depth=1
	s_or_b32 exec_lo, exec_lo, s4
	s_delay_alu instid0(SALU_CYCLE_1) | instskip(NEXT) | instid1(SALU_CYCLE_1)
	s_and_b32 s4, exec_lo, s3
	s_or_b32 s1, s4, s1
	s_delay_alu instid0(SALU_CYCLE_1)
	s_and_not1_b32 exec_lo, exec_lo, s1
	s_cbranch_execz .LBB1533_78
.LBB1533_76:                            ; =>This Inner Loop Header: Depth=1
	global_load_b32 v10, v[4:5], off
	global_load_b32 v11, v[6:7], off
	v_mov_b64_e32 v[2:3], 1
	s_or_b32 s3, s3, exec_lo
	s_wait_kmcnt 0x0
	s_mov_b32 s4, exec_lo
	s_wait_loadcnt 0x0
	v_cmpx_eq_u32_e64 v10, v11
	s_cbranch_execz .LBB1533_75
; %bb.77:                               ;   in Loop: Header=BB1533_76 Depth=1
	s_add_nc_u64 s[12:13], s[12:13], -1
	v_add_nc_u64_e32 v[4:5], 4, v[4:5]
	s_cmp_eq_u64 s[12:13], 0
	v_add_nc_u64_e32 v[6:7], 4, v[6:7]
	v_mov_b64_e32 v[2:3], 0
	s_cselect_b32 s5, -1, 0
	s_and_not1_b32 s3, s3, exec_lo
	s_and_b32 s5, s5, exec_lo
	s_delay_alu instid0(SALU_CYCLE_1)
	s_or_b32 s3, s3, s5
	s_branch .LBB1533_75
.LBB1533_78:
	s_or_b32 exec_lo, exec_lo, s1
	s_branch .LBB1533_80
.LBB1533_79:
	v_mov_b64_e32 v[2:3], 0
.LBB1533_80:
	s_or_b32 exec_lo, exec_lo, s0
	s_delay_alu instid0(VALU_DEP_1)
	v_mov_b64_e32 v[6:7], v[2:3]
.LBB1533_81:
	s_add_nc_u64 s[0:1], s[8:9], s[20:21]
	s_and_b32 vcc_lo, exec_lo, s11
	s_wait_dscnt 0x0
	s_barrier_signal -1
	s_barrier_wait -1
	s_cbranch_vccz .LBB1533_85
; %bb.82:
	v_or_b32_e32 v10, 0x200, v0
	ds_store_2addr_b64 v1, v[6:7], v[8:9] offset1:1
	s_wait_dscnt 0x0
	s_barrier_signal -1
	s_barrier_wait -1
	v_dual_lshrrev_b32 v2, 2, v10 :: v_dual_lshlrev_b32 v4, 3, v0
	s_mov_b32 s3, 0
	s_lshl_b32 s8, s6, 10
	s_delay_alu instid0(VALU_DEP_1)
	v_and_b32_e32 v2, 0xf8, v2
	s_wait_kmcnt 0x0
	s_lshl_b64 s[4:5], s[2:3], 3
	v_mov_b32_e32 v5, 0
	s_add_nc_u64 s[6:7], s[0:1], s[4:5]
	s_sub_co_i32 s4, s10, s8
	v_add_nc_u32_e32 v2, v2, v4
	s_mov_b32 s5, exec_lo
	v_add_nc_u64_e32 v[4:5], s[6:7], v[4:5]
	ds_load_b64 v[2:3], v2 offset:4096
	v_cmpx_gt_u32_e64 s4, v0
	s_cbranch_execz .LBB1533_84
; %bb.83:
	v_lshrrev_b32_e32 v11, 2, v0
	s_delay_alu instid0(VALU_DEP_1) | instskip(NEXT) | instid1(VALU_DEP_1)
	v_and_b32_e32 v11, 0x78, v11
	v_lshl_add_u32 v11, v0, 3, v11
	ds_load_b64 v[12:13], v11
	s_wait_dscnt 0x0
	global_store_b64 v[4:5], v[12:13], off
.LBB1533_84:
	s_wait_xcnt 0x0
	s_or_b32 exec_lo, exec_lo, s5
	v_cmp_gt_u32_e64 s4, s4, v10
	s_and_b32 vcc_lo, exec_lo, s3
	s_cbranch_vccnz .LBB1533_86
	s_branch .LBB1533_87
.LBB1533_85:
	s_wait_kmcnt 0x0
	s_mov_b32 s4, 0
                                        ; implicit-def: $vgpr2_vgpr3
                                        ; implicit-def: $vgpr4_vgpr5
	s_cbranch_execz .LBB1533_87
.LBB1533_86:
	s_wait_dscnt 0x0
	v_or_b32_e32 v2, 0x200, v0
	v_dual_lshrrev_b32 v3, 2, v0 :: v_dual_lshlrev_b32 v4, 3, v0
	v_mov_b32_e32 v5, 0
	ds_store_2addr_b64 v1, v[6:7], v[8:9] offset1:1
	v_lshrrev_b32_e32 v2, 2, v2
	v_and_b32_e32 v3, 0x78, v3
	s_wait_storecnt_dscnt 0x0
	s_barrier_signal -1
	s_barrier_wait -1
	v_and_b32_e32 v2, 0xf8, v2
	v_add_nc_u32_e32 v1, v3, v4
	s_mov_b32 s3, 0
	s_or_b32 s4, s4, exec_lo
	s_delay_alu instid0(VALU_DEP_2) | instskip(SKIP_4) | instid1(SALU_CYCLE_1)
	v_add_nc_u32_e32 v2, v2, v4
	s_lshl_b64 s[2:3], s[2:3], 3
	ds_load_b64 v[6:7], v1
	ds_load_b64 v[2:3], v2 offset:4096
	s_add_nc_u64 s[0:1], s[0:1], s[2:3]
	v_add_nc_u64_e32 v[4:5], s[0:1], v[4:5]
	s_wait_dscnt 0x1
	global_store_b64 v0, v[6:7], s[0:1] scale_offset
.LBB1533_87:
	s_wait_xcnt 0x0
	s_and_saveexec_b32 s0, s4
	s_cbranch_execnz .LBB1533_89
; %bb.88:
	s_endpgm
.LBB1533_89:
	s_wait_dscnt 0x0
	global_store_b64 v[4:5], v[2:3], off offset:4096
	s_endpgm
	.section	.rodata,"a",@progbits
	.p2align	6, 0x0
	.amdhsa_kernel _ZN7rocprim17ROCPRIM_400000_NS6detail17trampoline_kernelINS0_14default_configENS1_35adjacent_difference_config_selectorILb1ElEEZNS1_24adjacent_difference_implIS3_Lb1ELb0EPlS7_ZN2at6native12_GLOBAL__N_124unique_dim_cuda_templateIjEESt5tupleIJNS8_6TensorESD_SD_EERKSD_lbbbEUlllE1_EE10hipError_tPvRmT2_T3_mT4_P12ihipStream_tbEUlT_E_NS1_11comp_targetILNS1_3genE0ELNS1_11target_archE4294967295ELNS1_3gpuE0ELNS1_3repE0EEENS1_30default_config_static_selectorELNS0_4arch9wavefront6targetE0EEEvT1_
		.amdhsa_group_segment_fixed_size 8448
		.amdhsa_private_segment_fixed_size 0
		.amdhsa_kernarg_size 64
		.amdhsa_user_sgpr_count 2
		.amdhsa_user_sgpr_dispatch_ptr 0
		.amdhsa_user_sgpr_queue_ptr 0
		.amdhsa_user_sgpr_kernarg_segment_ptr 1
		.amdhsa_user_sgpr_dispatch_id 0
		.amdhsa_user_sgpr_kernarg_preload_length 0
		.amdhsa_user_sgpr_kernarg_preload_offset 0
		.amdhsa_user_sgpr_private_segment_size 0
		.amdhsa_wavefront_size32 1
		.amdhsa_uses_dynamic_stack 0
		.amdhsa_enable_private_segment 0
		.amdhsa_system_sgpr_workgroup_id_x 1
		.amdhsa_system_sgpr_workgroup_id_y 0
		.amdhsa_system_sgpr_workgroup_id_z 0
		.amdhsa_system_sgpr_workgroup_info 0
		.amdhsa_system_vgpr_workitem_id 0
		.amdhsa_next_free_vgpr 16
		.amdhsa_next_free_sgpr 29
		.amdhsa_named_barrier_count 0
		.amdhsa_reserve_vcc 1
		.amdhsa_float_round_mode_32 0
		.amdhsa_float_round_mode_16_64 0
		.amdhsa_float_denorm_mode_32 3
		.amdhsa_float_denorm_mode_16_64 3
		.amdhsa_fp16_overflow 0
		.amdhsa_memory_ordered 1
		.amdhsa_forward_progress 1
		.amdhsa_inst_pref_size 24
		.amdhsa_round_robin_scheduling 0
		.amdhsa_exception_fp_ieee_invalid_op 0
		.amdhsa_exception_fp_denorm_src 0
		.amdhsa_exception_fp_ieee_div_zero 0
		.amdhsa_exception_fp_ieee_overflow 0
		.amdhsa_exception_fp_ieee_underflow 0
		.amdhsa_exception_fp_ieee_inexact 0
		.amdhsa_exception_int_div_zero 0
	.end_amdhsa_kernel
	.section	.text._ZN7rocprim17ROCPRIM_400000_NS6detail17trampoline_kernelINS0_14default_configENS1_35adjacent_difference_config_selectorILb1ElEEZNS1_24adjacent_difference_implIS3_Lb1ELb0EPlS7_ZN2at6native12_GLOBAL__N_124unique_dim_cuda_templateIjEESt5tupleIJNS8_6TensorESD_SD_EERKSD_lbbbEUlllE1_EE10hipError_tPvRmT2_T3_mT4_P12ihipStream_tbEUlT_E_NS1_11comp_targetILNS1_3genE0ELNS1_11target_archE4294967295ELNS1_3gpuE0ELNS1_3repE0EEENS1_30default_config_static_selectorELNS0_4arch9wavefront6targetE0EEEvT1_,"axG",@progbits,_ZN7rocprim17ROCPRIM_400000_NS6detail17trampoline_kernelINS0_14default_configENS1_35adjacent_difference_config_selectorILb1ElEEZNS1_24adjacent_difference_implIS3_Lb1ELb0EPlS7_ZN2at6native12_GLOBAL__N_124unique_dim_cuda_templateIjEESt5tupleIJNS8_6TensorESD_SD_EERKSD_lbbbEUlllE1_EE10hipError_tPvRmT2_T3_mT4_P12ihipStream_tbEUlT_E_NS1_11comp_targetILNS1_3genE0ELNS1_11target_archE4294967295ELNS1_3gpuE0ELNS1_3repE0EEENS1_30default_config_static_selectorELNS0_4arch9wavefront6targetE0EEEvT1_,comdat
.Lfunc_end1533:
	.size	_ZN7rocprim17ROCPRIM_400000_NS6detail17trampoline_kernelINS0_14default_configENS1_35adjacent_difference_config_selectorILb1ElEEZNS1_24adjacent_difference_implIS3_Lb1ELb0EPlS7_ZN2at6native12_GLOBAL__N_124unique_dim_cuda_templateIjEESt5tupleIJNS8_6TensorESD_SD_EERKSD_lbbbEUlllE1_EE10hipError_tPvRmT2_T3_mT4_P12ihipStream_tbEUlT_E_NS1_11comp_targetILNS1_3genE0ELNS1_11target_archE4294967295ELNS1_3gpuE0ELNS1_3repE0EEENS1_30default_config_static_selectorELNS0_4arch9wavefront6targetE0EEEvT1_, .Lfunc_end1533-_ZN7rocprim17ROCPRIM_400000_NS6detail17trampoline_kernelINS0_14default_configENS1_35adjacent_difference_config_selectorILb1ElEEZNS1_24adjacent_difference_implIS3_Lb1ELb0EPlS7_ZN2at6native12_GLOBAL__N_124unique_dim_cuda_templateIjEESt5tupleIJNS8_6TensorESD_SD_EERKSD_lbbbEUlllE1_EE10hipError_tPvRmT2_T3_mT4_P12ihipStream_tbEUlT_E_NS1_11comp_targetILNS1_3genE0ELNS1_11target_archE4294967295ELNS1_3gpuE0ELNS1_3repE0EEENS1_30default_config_static_selectorELNS0_4arch9wavefront6targetE0EEEvT1_
                                        ; -- End function
	.set _ZN7rocprim17ROCPRIM_400000_NS6detail17trampoline_kernelINS0_14default_configENS1_35adjacent_difference_config_selectorILb1ElEEZNS1_24adjacent_difference_implIS3_Lb1ELb0EPlS7_ZN2at6native12_GLOBAL__N_124unique_dim_cuda_templateIjEESt5tupleIJNS8_6TensorESD_SD_EERKSD_lbbbEUlllE1_EE10hipError_tPvRmT2_T3_mT4_P12ihipStream_tbEUlT_E_NS1_11comp_targetILNS1_3genE0ELNS1_11target_archE4294967295ELNS1_3gpuE0ELNS1_3repE0EEENS1_30default_config_static_selectorELNS0_4arch9wavefront6targetE0EEEvT1_.num_vgpr, 16
	.set _ZN7rocprim17ROCPRIM_400000_NS6detail17trampoline_kernelINS0_14default_configENS1_35adjacent_difference_config_selectorILb1ElEEZNS1_24adjacent_difference_implIS3_Lb1ELb0EPlS7_ZN2at6native12_GLOBAL__N_124unique_dim_cuda_templateIjEESt5tupleIJNS8_6TensorESD_SD_EERKSD_lbbbEUlllE1_EE10hipError_tPvRmT2_T3_mT4_P12ihipStream_tbEUlT_E_NS1_11comp_targetILNS1_3genE0ELNS1_11target_archE4294967295ELNS1_3gpuE0ELNS1_3repE0EEENS1_30default_config_static_selectorELNS0_4arch9wavefront6targetE0EEEvT1_.num_agpr, 0
	.set _ZN7rocprim17ROCPRIM_400000_NS6detail17trampoline_kernelINS0_14default_configENS1_35adjacent_difference_config_selectorILb1ElEEZNS1_24adjacent_difference_implIS3_Lb1ELb0EPlS7_ZN2at6native12_GLOBAL__N_124unique_dim_cuda_templateIjEESt5tupleIJNS8_6TensorESD_SD_EERKSD_lbbbEUlllE1_EE10hipError_tPvRmT2_T3_mT4_P12ihipStream_tbEUlT_E_NS1_11comp_targetILNS1_3genE0ELNS1_11target_archE4294967295ELNS1_3gpuE0ELNS1_3repE0EEENS1_30default_config_static_selectorELNS0_4arch9wavefront6targetE0EEEvT1_.numbered_sgpr, 29
	.set _ZN7rocprim17ROCPRIM_400000_NS6detail17trampoline_kernelINS0_14default_configENS1_35adjacent_difference_config_selectorILb1ElEEZNS1_24adjacent_difference_implIS3_Lb1ELb0EPlS7_ZN2at6native12_GLOBAL__N_124unique_dim_cuda_templateIjEESt5tupleIJNS8_6TensorESD_SD_EERKSD_lbbbEUlllE1_EE10hipError_tPvRmT2_T3_mT4_P12ihipStream_tbEUlT_E_NS1_11comp_targetILNS1_3genE0ELNS1_11target_archE4294967295ELNS1_3gpuE0ELNS1_3repE0EEENS1_30default_config_static_selectorELNS0_4arch9wavefront6targetE0EEEvT1_.num_named_barrier, 0
	.set _ZN7rocprim17ROCPRIM_400000_NS6detail17trampoline_kernelINS0_14default_configENS1_35adjacent_difference_config_selectorILb1ElEEZNS1_24adjacent_difference_implIS3_Lb1ELb0EPlS7_ZN2at6native12_GLOBAL__N_124unique_dim_cuda_templateIjEESt5tupleIJNS8_6TensorESD_SD_EERKSD_lbbbEUlllE1_EE10hipError_tPvRmT2_T3_mT4_P12ihipStream_tbEUlT_E_NS1_11comp_targetILNS1_3genE0ELNS1_11target_archE4294967295ELNS1_3gpuE0ELNS1_3repE0EEENS1_30default_config_static_selectorELNS0_4arch9wavefront6targetE0EEEvT1_.private_seg_size, 0
	.set _ZN7rocprim17ROCPRIM_400000_NS6detail17trampoline_kernelINS0_14default_configENS1_35adjacent_difference_config_selectorILb1ElEEZNS1_24adjacent_difference_implIS3_Lb1ELb0EPlS7_ZN2at6native12_GLOBAL__N_124unique_dim_cuda_templateIjEESt5tupleIJNS8_6TensorESD_SD_EERKSD_lbbbEUlllE1_EE10hipError_tPvRmT2_T3_mT4_P12ihipStream_tbEUlT_E_NS1_11comp_targetILNS1_3genE0ELNS1_11target_archE4294967295ELNS1_3gpuE0ELNS1_3repE0EEENS1_30default_config_static_selectorELNS0_4arch9wavefront6targetE0EEEvT1_.uses_vcc, 1
	.set _ZN7rocprim17ROCPRIM_400000_NS6detail17trampoline_kernelINS0_14default_configENS1_35adjacent_difference_config_selectorILb1ElEEZNS1_24adjacent_difference_implIS3_Lb1ELb0EPlS7_ZN2at6native12_GLOBAL__N_124unique_dim_cuda_templateIjEESt5tupleIJNS8_6TensorESD_SD_EERKSD_lbbbEUlllE1_EE10hipError_tPvRmT2_T3_mT4_P12ihipStream_tbEUlT_E_NS1_11comp_targetILNS1_3genE0ELNS1_11target_archE4294967295ELNS1_3gpuE0ELNS1_3repE0EEENS1_30default_config_static_selectorELNS0_4arch9wavefront6targetE0EEEvT1_.uses_flat_scratch, 0
	.set _ZN7rocprim17ROCPRIM_400000_NS6detail17trampoline_kernelINS0_14default_configENS1_35adjacent_difference_config_selectorILb1ElEEZNS1_24adjacent_difference_implIS3_Lb1ELb0EPlS7_ZN2at6native12_GLOBAL__N_124unique_dim_cuda_templateIjEESt5tupleIJNS8_6TensorESD_SD_EERKSD_lbbbEUlllE1_EE10hipError_tPvRmT2_T3_mT4_P12ihipStream_tbEUlT_E_NS1_11comp_targetILNS1_3genE0ELNS1_11target_archE4294967295ELNS1_3gpuE0ELNS1_3repE0EEENS1_30default_config_static_selectorELNS0_4arch9wavefront6targetE0EEEvT1_.has_dyn_sized_stack, 0
	.set _ZN7rocprim17ROCPRIM_400000_NS6detail17trampoline_kernelINS0_14default_configENS1_35adjacent_difference_config_selectorILb1ElEEZNS1_24adjacent_difference_implIS3_Lb1ELb0EPlS7_ZN2at6native12_GLOBAL__N_124unique_dim_cuda_templateIjEESt5tupleIJNS8_6TensorESD_SD_EERKSD_lbbbEUlllE1_EE10hipError_tPvRmT2_T3_mT4_P12ihipStream_tbEUlT_E_NS1_11comp_targetILNS1_3genE0ELNS1_11target_archE4294967295ELNS1_3gpuE0ELNS1_3repE0EEENS1_30default_config_static_selectorELNS0_4arch9wavefront6targetE0EEEvT1_.has_recursion, 0
	.set _ZN7rocprim17ROCPRIM_400000_NS6detail17trampoline_kernelINS0_14default_configENS1_35adjacent_difference_config_selectorILb1ElEEZNS1_24adjacent_difference_implIS3_Lb1ELb0EPlS7_ZN2at6native12_GLOBAL__N_124unique_dim_cuda_templateIjEESt5tupleIJNS8_6TensorESD_SD_EERKSD_lbbbEUlllE1_EE10hipError_tPvRmT2_T3_mT4_P12ihipStream_tbEUlT_E_NS1_11comp_targetILNS1_3genE0ELNS1_11target_archE4294967295ELNS1_3gpuE0ELNS1_3repE0EEENS1_30default_config_static_selectorELNS0_4arch9wavefront6targetE0EEEvT1_.has_indirect_call, 0
	.section	.AMDGPU.csdata,"",@progbits
; Kernel info:
; codeLenInByte = 2980
; TotalNumSgprs: 31
; NumVgprs: 16
; ScratchSize: 0
; MemoryBound: 0
; FloatMode: 240
; IeeeMode: 1
; LDSByteSize: 8448 bytes/workgroup (compile time only)
; SGPRBlocks: 0
; VGPRBlocks: 0
; NumSGPRsForWavesPerEU: 31
; NumVGPRsForWavesPerEU: 16
; NamedBarCnt: 0
; Occupancy: 16
; WaveLimiterHint : 1
; COMPUTE_PGM_RSRC2:SCRATCH_EN: 0
; COMPUTE_PGM_RSRC2:USER_SGPR: 2
; COMPUTE_PGM_RSRC2:TRAP_HANDLER: 0
; COMPUTE_PGM_RSRC2:TGID_X_EN: 1
; COMPUTE_PGM_RSRC2:TGID_Y_EN: 0
; COMPUTE_PGM_RSRC2:TGID_Z_EN: 0
; COMPUTE_PGM_RSRC2:TIDIG_COMP_CNT: 0
	.section	.text._ZN7rocprim17ROCPRIM_400000_NS6detail17trampoline_kernelINS0_14default_configENS1_35adjacent_difference_config_selectorILb1ElEEZNS1_24adjacent_difference_implIS3_Lb1ELb0EPlS7_ZN2at6native12_GLOBAL__N_124unique_dim_cuda_templateIjEESt5tupleIJNS8_6TensorESD_SD_EERKSD_lbbbEUlllE1_EE10hipError_tPvRmT2_T3_mT4_P12ihipStream_tbEUlT_E_NS1_11comp_targetILNS1_3genE10ELNS1_11target_archE1201ELNS1_3gpuE5ELNS1_3repE0EEENS1_30default_config_static_selectorELNS0_4arch9wavefront6targetE0EEEvT1_,"axG",@progbits,_ZN7rocprim17ROCPRIM_400000_NS6detail17trampoline_kernelINS0_14default_configENS1_35adjacent_difference_config_selectorILb1ElEEZNS1_24adjacent_difference_implIS3_Lb1ELb0EPlS7_ZN2at6native12_GLOBAL__N_124unique_dim_cuda_templateIjEESt5tupleIJNS8_6TensorESD_SD_EERKSD_lbbbEUlllE1_EE10hipError_tPvRmT2_T3_mT4_P12ihipStream_tbEUlT_E_NS1_11comp_targetILNS1_3genE10ELNS1_11target_archE1201ELNS1_3gpuE5ELNS1_3repE0EEENS1_30default_config_static_selectorELNS0_4arch9wavefront6targetE0EEEvT1_,comdat
	.globl	_ZN7rocprim17ROCPRIM_400000_NS6detail17trampoline_kernelINS0_14default_configENS1_35adjacent_difference_config_selectorILb1ElEEZNS1_24adjacent_difference_implIS3_Lb1ELb0EPlS7_ZN2at6native12_GLOBAL__N_124unique_dim_cuda_templateIjEESt5tupleIJNS8_6TensorESD_SD_EERKSD_lbbbEUlllE1_EE10hipError_tPvRmT2_T3_mT4_P12ihipStream_tbEUlT_E_NS1_11comp_targetILNS1_3genE10ELNS1_11target_archE1201ELNS1_3gpuE5ELNS1_3repE0EEENS1_30default_config_static_selectorELNS0_4arch9wavefront6targetE0EEEvT1_ ; -- Begin function _ZN7rocprim17ROCPRIM_400000_NS6detail17trampoline_kernelINS0_14default_configENS1_35adjacent_difference_config_selectorILb1ElEEZNS1_24adjacent_difference_implIS3_Lb1ELb0EPlS7_ZN2at6native12_GLOBAL__N_124unique_dim_cuda_templateIjEESt5tupleIJNS8_6TensorESD_SD_EERKSD_lbbbEUlllE1_EE10hipError_tPvRmT2_T3_mT4_P12ihipStream_tbEUlT_E_NS1_11comp_targetILNS1_3genE10ELNS1_11target_archE1201ELNS1_3gpuE5ELNS1_3repE0EEENS1_30default_config_static_selectorELNS0_4arch9wavefront6targetE0EEEvT1_
	.p2align	8
	.type	_ZN7rocprim17ROCPRIM_400000_NS6detail17trampoline_kernelINS0_14default_configENS1_35adjacent_difference_config_selectorILb1ElEEZNS1_24adjacent_difference_implIS3_Lb1ELb0EPlS7_ZN2at6native12_GLOBAL__N_124unique_dim_cuda_templateIjEESt5tupleIJNS8_6TensorESD_SD_EERKSD_lbbbEUlllE1_EE10hipError_tPvRmT2_T3_mT4_P12ihipStream_tbEUlT_E_NS1_11comp_targetILNS1_3genE10ELNS1_11target_archE1201ELNS1_3gpuE5ELNS1_3repE0EEENS1_30default_config_static_selectorELNS0_4arch9wavefront6targetE0EEEvT1_,@function
_ZN7rocprim17ROCPRIM_400000_NS6detail17trampoline_kernelINS0_14default_configENS1_35adjacent_difference_config_selectorILb1ElEEZNS1_24adjacent_difference_implIS3_Lb1ELb0EPlS7_ZN2at6native12_GLOBAL__N_124unique_dim_cuda_templateIjEESt5tupleIJNS8_6TensorESD_SD_EERKSD_lbbbEUlllE1_EE10hipError_tPvRmT2_T3_mT4_P12ihipStream_tbEUlT_E_NS1_11comp_targetILNS1_3genE10ELNS1_11target_archE1201ELNS1_3gpuE5ELNS1_3repE0EEENS1_30default_config_static_selectorELNS0_4arch9wavefront6targetE0EEEvT1_: ; @_ZN7rocprim17ROCPRIM_400000_NS6detail17trampoline_kernelINS0_14default_configENS1_35adjacent_difference_config_selectorILb1ElEEZNS1_24adjacent_difference_implIS3_Lb1ELb0EPlS7_ZN2at6native12_GLOBAL__N_124unique_dim_cuda_templateIjEESt5tupleIJNS8_6TensorESD_SD_EERKSD_lbbbEUlllE1_EE10hipError_tPvRmT2_T3_mT4_P12ihipStream_tbEUlT_E_NS1_11comp_targetILNS1_3genE10ELNS1_11target_archE1201ELNS1_3gpuE5ELNS1_3repE0EEENS1_30default_config_static_selectorELNS0_4arch9wavefront6targetE0EEEvT1_
; %bb.0:
	.section	.rodata,"a",@progbits
	.p2align	6, 0x0
	.amdhsa_kernel _ZN7rocprim17ROCPRIM_400000_NS6detail17trampoline_kernelINS0_14default_configENS1_35adjacent_difference_config_selectorILb1ElEEZNS1_24adjacent_difference_implIS3_Lb1ELb0EPlS7_ZN2at6native12_GLOBAL__N_124unique_dim_cuda_templateIjEESt5tupleIJNS8_6TensorESD_SD_EERKSD_lbbbEUlllE1_EE10hipError_tPvRmT2_T3_mT4_P12ihipStream_tbEUlT_E_NS1_11comp_targetILNS1_3genE10ELNS1_11target_archE1201ELNS1_3gpuE5ELNS1_3repE0EEENS1_30default_config_static_selectorELNS0_4arch9wavefront6targetE0EEEvT1_
		.amdhsa_group_segment_fixed_size 0
		.amdhsa_private_segment_fixed_size 0
		.amdhsa_kernarg_size 64
		.amdhsa_user_sgpr_count 2
		.amdhsa_user_sgpr_dispatch_ptr 0
		.amdhsa_user_sgpr_queue_ptr 0
		.amdhsa_user_sgpr_kernarg_segment_ptr 1
		.amdhsa_user_sgpr_dispatch_id 0
		.amdhsa_user_sgpr_kernarg_preload_length 0
		.amdhsa_user_sgpr_kernarg_preload_offset 0
		.amdhsa_user_sgpr_private_segment_size 0
		.amdhsa_wavefront_size32 1
		.amdhsa_uses_dynamic_stack 0
		.amdhsa_enable_private_segment 0
		.amdhsa_system_sgpr_workgroup_id_x 1
		.amdhsa_system_sgpr_workgroup_id_y 0
		.amdhsa_system_sgpr_workgroup_id_z 0
		.amdhsa_system_sgpr_workgroup_info 0
		.amdhsa_system_vgpr_workitem_id 0
		.amdhsa_next_free_vgpr 1
		.amdhsa_next_free_sgpr 1
		.amdhsa_named_barrier_count 0
		.amdhsa_reserve_vcc 0
		.amdhsa_float_round_mode_32 0
		.amdhsa_float_round_mode_16_64 0
		.amdhsa_float_denorm_mode_32 3
		.amdhsa_float_denorm_mode_16_64 3
		.amdhsa_fp16_overflow 0
		.amdhsa_memory_ordered 1
		.amdhsa_forward_progress 1
		.amdhsa_inst_pref_size 0
		.amdhsa_round_robin_scheduling 0
		.amdhsa_exception_fp_ieee_invalid_op 0
		.amdhsa_exception_fp_denorm_src 0
		.amdhsa_exception_fp_ieee_div_zero 0
		.amdhsa_exception_fp_ieee_overflow 0
		.amdhsa_exception_fp_ieee_underflow 0
		.amdhsa_exception_fp_ieee_inexact 0
		.amdhsa_exception_int_div_zero 0
	.end_amdhsa_kernel
	.section	.text._ZN7rocprim17ROCPRIM_400000_NS6detail17trampoline_kernelINS0_14default_configENS1_35adjacent_difference_config_selectorILb1ElEEZNS1_24adjacent_difference_implIS3_Lb1ELb0EPlS7_ZN2at6native12_GLOBAL__N_124unique_dim_cuda_templateIjEESt5tupleIJNS8_6TensorESD_SD_EERKSD_lbbbEUlllE1_EE10hipError_tPvRmT2_T3_mT4_P12ihipStream_tbEUlT_E_NS1_11comp_targetILNS1_3genE10ELNS1_11target_archE1201ELNS1_3gpuE5ELNS1_3repE0EEENS1_30default_config_static_selectorELNS0_4arch9wavefront6targetE0EEEvT1_,"axG",@progbits,_ZN7rocprim17ROCPRIM_400000_NS6detail17trampoline_kernelINS0_14default_configENS1_35adjacent_difference_config_selectorILb1ElEEZNS1_24adjacent_difference_implIS3_Lb1ELb0EPlS7_ZN2at6native12_GLOBAL__N_124unique_dim_cuda_templateIjEESt5tupleIJNS8_6TensorESD_SD_EERKSD_lbbbEUlllE1_EE10hipError_tPvRmT2_T3_mT4_P12ihipStream_tbEUlT_E_NS1_11comp_targetILNS1_3genE10ELNS1_11target_archE1201ELNS1_3gpuE5ELNS1_3repE0EEENS1_30default_config_static_selectorELNS0_4arch9wavefront6targetE0EEEvT1_,comdat
.Lfunc_end1534:
	.size	_ZN7rocprim17ROCPRIM_400000_NS6detail17trampoline_kernelINS0_14default_configENS1_35adjacent_difference_config_selectorILb1ElEEZNS1_24adjacent_difference_implIS3_Lb1ELb0EPlS7_ZN2at6native12_GLOBAL__N_124unique_dim_cuda_templateIjEESt5tupleIJNS8_6TensorESD_SD_EERKSD_lbbbEUlllE1_EE10hipError_tPvRmT2_T3_mT4_P12ihipStream_tbEUlT_E_NS1_11comp_targetILNS1_3genE10ELNS1_11target_archE1201ELNS1_3gpuE5ELNS1_3repE0EEENS1_30default_config_static_selectorELNS0_4arch9wavefront6targetE0EEEvT1_, .Lfunc_end1534-_ZN7rocprim17ROCPRIM_400000_NS6detail17trampoline_kernelINS0_14default_configENS1_35adjacent_difference_config_selectorILb1ElEEZNS1_24adjacent_difference_implIS3_Lb1ELb0EPlS7_ZN2at6native12_GLOBAL__N_124unique_dim_cuda_templateIjEESt5tupleIJNS8_6TensorESD_SD_EERKSD_lbbbEUlllE1_EE10hipError_tPvRmT2_T3_mT4_P12ihipStream_tbEUlT_E_NS1_11comp_targetILNS1_3genE10ELNS1_11target_archE1201ELNS1_3gpuE5ELNS1_3repE0EEENS1_30default_config_static_selectorELNS0_4arch9wavefront6targetE0EEEvT1_
                                        ; -- End function
	.set _ZN7rocprim17ROCPRIM_400000_NS6detail17trampoline_kernelINS0_14default_configENS1_35adjacent_difference_config_selectorILb1ElEEZNS1_24adjacent_difference_implIS3_Lb1ELb0EPlS7_ZN2at6native12_GLOBAL__N_124unique_dim_cuda_templateIjEESt5tupleIJNS8_6TensorESD_SD_EERKSD_lbbbEUlllE1_EE10hipError_tPvRmT2_T3_mT4_P12ihipStream_tbEUlT_E_NS1_11comp_targetILNS1_3genE10ELNS1_11target_archE1201ELNS1_3gpuE5ELNS1_3repE0EEENS1_30default_config_static_selectorELNS0_4arch9wavefront6targetE0EEEvT1_.num_vgpr, 0
	.set _ZN7rocprim17ROCPRIM_400000_NS6detail17trampoline_kernelINS0_14default_configENS1_35adjacent_difference_config_selectorILb1ElEEZNS1_24adjacent_difference_implIS3_Lb1ELb0EPlS7_ZN2at6native12_GLOBAL__N_124unique_dim_cuda_templateIjEESt5tupleIJNS8_6TensorESD_SD_EERKSD_lbbbEUlllE1_EE10hipError_tPvRmT2_T3_mT4_P12ihipStream_tbEUlT_E_NS1_11comp_targetILNS1_3genE10ELNS1_11target_archE1201ELNS1_3gpuE5ELNS1_3repE0EEENS1_30default_config_static_selectorELNS0_4arch9wavefront6targetE0EEEvT1_.num_agpr, 0
	.set _ZN7rocprim17ROCPRIM_400000_NS6detail17trampoline_kernelINS0_14default_configENS1_35adjacent_difference_config_selectorILb1ElEEZNS1_24adjacent_difference_implIS3_Lb1ELb0EPlS7_ZN2at6native12_GLOBAL__N_124unique_dim_cuda_templateIjEESt5tupleIJNS8_6TensorESD_SD_EERKSD_lbbbEUlllE1_EE10hipError_tPvRmT2_T3_mT4_P12ihipStream_tbEUlT_E_NS1_11comp_targetILNS1_3genE10ELNS1_11target_archE1201ELNS1_3gpuE5ELNS1_3repE0EEENS1_30default_config_static_selectorELNS0_4arch9wavefront6targetE0EEEvT1_.numbered_sgpr, 0
	.set _ZN7rocprim17ROCPRIM_400000_NS6detail17trampoline_kernelINS0_14default_configENS1_35adjacent_difference_config_selectorILb1ElEEZNS1_24adjacent_difference_implIS3_Lb1ELb0EPlS7_ZN2at6native12_GLOBAL__N_124unique_dim_cuda_templateIjEESt5tupleIJNS8_6TensorESD_SD_EERKSD_lbbbEUlllE1_EE10hipError_tPvRmT2_T3_mT4_P12ihipStream_tbEUlT_E_NS1_11comp_targetILNS1_3genE10ELNS1_11target_archE1201ELNS1_3gpuE5ELNS1_3repE0EEENS1_30default_config_static_selectorELNS0_4arch9wavefront6targetE0EEEvT1_.num_named_barrier, 0
	.set _ZN7rocprim17ROCPRIM_400000_NS6detail17trampoline_kernelINS0_14default_configENS1_35adjacent_difference_config_selectorILb1ElEEZNS1_24adjacent_difference_implIS3_Lb1ELb0EPlS7_ZN2at6native12_GLOBAL__N_124unique_dim_cuda_templateIjEESt5tupleIJNS8_6TensorESD_SD_EERKSD_lbbbEUlllE1_EE10hipError_tPvRmT2_T3_mT4_P12ihipStream_tbEUlT_E_NS1_11comp_targetILNS1_3genE10ELNS1_11target_archE1201ELNS1_3gpuE5ELNS1_3repE0EEENS1_30default_config_static_selectorELNS0_4arch9wavefront6targetE0EEEvT1_.private_seg_size, 0
	.set _ZN7rocprim17ROCPRIM_400000_NS6detail17trampoline_kernelINS0_14default_configENS1_35adjacent_difference_config_selectorILb1ElEEZNS1_24adjacent_difference_implIS3_Lb1ELb0EPlS7_ZN2at6native12_GLOBAL__N_124unique_dim_cuda_templateIjEESt5tupleIJNS8_6TensorESD_SD_EERKSD_lbbbEUlllE1_EE10hipError_tPvRmT2_T3_mT4_P12ihipStream_tbEUlT_E_NS1_11comp_targetILNS1_3genE10ELNS1_11target_archE1201ELNS1_3gpuE5ELNS1_3repE0EEENS1_30default_config_static_selectorELNS0_4arch9wavefront6targetE0EEEvT1_.uses_vcc, 0
	.set _ZN7rocprim17ROCPRIM_400000_NS6detail17trampoline_kernelINS0_14default_configENS1_35adjacent_difference_config_selectorILb1ElEEZNS1_24adjacent_difference_implIS3_Lb1ELb0EPlS7_ZN2at6native12_GLOBAL__N_124unique_dim_cuda_templateIjEESt5tupleIJNS8_6TensorESD_SD_EERKSD_lbbbEUlllE1_EE10hipError_tPvRmT2_T3_mT4_P12ihipStream_tbEUlT_E_NS1_11comp_targetILNS1_3genE10ELNS1_11target_archE1201ELNS1_3gpuE5ELNS1_3repE0EEENS1_30default_config_static_selectorELNS0_4arch9wavefront6targetE0EEEvT1_.uses_flat_scratch, 0
	.set _ZN7rocprim17ROCPRIM_400000_NS6detail17trampoline_kernelINS0_14default_configENS1_35adjacent_difference_config_selectorILb1ElEEZNS1_24adjacent_difference_implIS3_Lb1ELb0EPlS7_ZN2at6native12_GLOBAL__N_124unique_dim_cuda_templateIjEESt5tupleIJNS8_6TensorESD_SD_EERKSD_lbbbEUlllE1_EE10hipError_tPvRmT2_T3_mT4_P12ihipStream_tbEUlT_E_NS1_11comp_targetILNS1_3genE10ELNS1_11target_archE1201ELNS1_3gpuE5ELNS1_3repE0EEENS1_30default_config_static_selectorELNS0_4arch9wavefront6targetE0EEEvT1_.has_dyn_sized_stack, 0
	.set _ZN7rocprim17ROCPRIM_400000_NS6detail17trampoline_kernelINS0_14default_configENS1_35adjacent_difference_config_selectorILb1ElEEZNS1_24adjacent_difference_implIS3_Lb1ELb0EPlS7_ZN2at6native12_GLOBAL__N_124unique_dim_cuda_templateIjEESt5tupleIJNS8_6TensorESD_SD_EERKSD_lbbbEUlllE1_EE10hipError_tPvRmT2_T3_mT4_P12ihipStream_tbEUlT_E_NS1_11comp_targetILNS1_3genE10ELNS1_11target_archE1201ELNS1_3gpuE5ELNS1_3repE0EEENS1_30default_config_static_selectorELNS0_4arch9wavefront6targetE0EEEvT1_.has_recursion, 0
	.set _ZN7rocprim17ROCPRIM_400000_NS6detail17trampoline_kernelINS0_14default_configENS1_35adjacent_difference_config_selectorILb1ElEEZNS1_24adjacent_difference_implIS3_Lb1ELb0EPlS7_ZN2at6native12_GLOBAL__N_124unique_dim_cuda_templateIjEESt5tupleIJNS8_6TensorESD_SD_EERKSD_lbbbEUlllE1_EE10hipError_tPvRmT2_T3_mT4_P12ihipStream_tbEUlT_E_NS1_11comp_targetILNS1_3genE10ELNS1_11target_archE1201ELNS1_3gpuE5ELNS1_3repE0EEENS1_30default_config_static_selectorELNS0_4arch9wavefront6targetE0EEEvT1_.has_indirect_call, 0
	.section	.AMDGPU.csdata,"",@progbits
; Kernel info:
; codeLenInByte = 0
; TotalNumSgprs: 0
; NumVgprs: 0
; ScratchSize: 0
; MemoryBound: 0
; FloatMode: 240
; IeeeMode: 1
; LDSByteSize: 0 bytes/workgroup (compile time only)
; SGPRBlocks: 0
; VGPRBlocks: 0
; NumSGPRsForWavesPerEU: 1
; NumVGPRsForWavesPerEU: 1
; NamedBarCnt: 0
; Occupancy: 16
; WaveLimiterHint : 0
; COMPUTE_PGM_RSRC2:SCRATCH_EN: 0
; COMPUTE_PGM_RSRC2:USER_SGPR: 2
; COMPUTE_PGM_RSRC2:TRAP_HANDLER: 0
; COMPUTE_PGM_RSRC2:TGID_X_EN: 1
; COMPUTE_PGM_RSRC2:TGID_Y_EN: 0
; COMPUTE_PGM_RSRC2:TGID_Z_EN: 0
; COMPUTE_PGM_RSRC2:TIDIG_COMP_CNT: 0
	.section	.text._ZN7rocprim17ROCPRIM_400000_NS6detail17trampoline_kernelINS0_14default_configENS1_35adjacent_difference_config_selectorILb1ElEEZNS1_24adjacent_difference_implIS3_Lb1ELb0EPlS7_ZN2at6native12_GLOBAL__N_124unique_dim_cuda_templateIjEESt5tupleIJNS8_6TensorESD_SD_EERKSD_lbbbEUlllE1_EE10hipError_tPvRmT2_T3_mT4_P12ihipStream_tbEUlT_E_NS1_11comp_targetILNS1_3genE5ELNS1_11target_archE942ELNS1_3gpuE9ELNS1_3repE0EEENS1_30default_config_static_selectorELNS0_4arch9wavefront6targetE0EEEvT1_,"axG",@progbits,_ZN7rocprim17ROCPRIM_400000_NS6detail17trampoline_kernelINS0_14default_configENS1_35adjacent_difference_config_selectorILb1ElEEZNS1_24adjacent_difference_implIS3_Lb1ELb0EPlS7_ZN2at6native12_GLOBAL__N_124unique_dim_cuda_templateIjEESt5tupleIJNS8_6TensorESD_SD_EERKSD_lbbbEUlllE1_EE10hipError_tPvRmT2_T3_mT4_P12ihipStream_tbEUlT_E_NS1_11comp_targetILNS1_3genE5ELNS1_11target_archE942ELNS1_3gpuE9ELNS1_3repE0EEENS1_30default_config_static_selectorELNS0_4arch9wavefront6targetE0EEEvT1_,comdat
	.globl	_ZN7rocprim17ROCPRIM_400000_NS6detail17trampoline_kernelINS0_14default_configENS1_35adjacent_difference_config_selectorILb1ElEEZNS1_24adjacent_difference_implIS3_Lb1ELb0EPlS7_ZN2at6native12_GLOBAL__N_124unique_dim_cuda_templateIjEESt5tupleIJNS8_6TensorESD_SD_EERKSD_lbbbEUlllE1_EE10hipError_tPvRmT2_T3_mT4_P12ihipStream_tbEUlT_E_NS1_11comp_targetILNS1_3genE5ELNS1_11target_archE942ELNS1_3gpuE9ELNS1_3repE0EEENS1_30default_config_static_selectorELNS0_4arch9wavefront6targetE0EEEvT1_ ; -- Begin function _ZN7rocprim17ROCPRIM_400000_NS6detail17trampoline_kernelINS0_14default_configENS1_35adjacent_difference_config_selectorILb1ElEEZNS1_24adjacent_difference_implIS3_Lb1ELb0EPlS7_ZN2at6native12_GLOBAL__N_124unique_dim_cuda_templateIjEESt5tupleIJNS8_6TensorESD_SD_EERKSD_lbbbEUlllE1_EE10hipError_tPvRmT2_T3_mT4_P12ihipStream_tbEUlT_E_NS1_11comp_targetILNS1_3genE5ELNS1_11target_archE942ELNS1_3gpuE9ELNS1_3repE0EEENS1_30default_config_static_selectorELNS0_4arch9wavefront6targetE0EEEvT1_
	.p2align	8
	.type	_ZN7rocprim17ROCPRIM_400000_NS6detail17trampoline_kernelINS0_14default_configENS1_35adjacent_difference_config_selectorILb1ElEEZNS1_24adjacent_difference_implIS3_Lb1ELb0EPlS7_ZN2at6native12_GLOBAL__N_124unique_dim_cuda_templateIjEESt5tupleIJNS8_6TensorESD_SD_EERKSD_lbbbEUlllE1_EE10hipError_tPvRmT2_T3_mT4_P12ihipStream_tbEUlT_E_NS1_11comp_targetILNS1_3genE5ELNS1_11target_archE942ELNS1_3gpuE9ELNS1_3repE0EEENS1_30default_config_static_selectorELNS0_4arch9wavefront6targetE0EEEvT1_,@function
_ZN7rocprim17ROCPRIM_400000_NS6detail17trampoline_kernelINS0_14default_configENS1_35adjacent_difference_config_selectorILb1ElEEZNS1_24adjacent_difference_implIS3_Lb1ELb0EPlS7_ZN2at6native12_GLOBAL__N_124unique_dim_cuda_templateIjEESt5tupleIJNS8_6TensorESD_SD_EERKSD_lbbbEUlllE1_EE10hipError_tPvRmT2_T3_mT4_P12ihipStream_tbEUlT_E_NS1_11comp_targetILNS1_3genE5ELNS1_11target_archE942ELNS1_3gpuE9ELNS1_3repE0EEENS1_30default_config_static_selectorELNS0_4arch9wavefront6targetE0EEEvT1_: ; @_ZN7rocprim17ROCPRIM_400000_NS6detail17trampoline_kernelINS0_14default_configENS1_35adjacent_difference_config_selectorILb1ElEEZNS1_24adjacent_difference_implIS3_Lb1ELb0EPlS7_ZN2at6native12_GLOBAL__N_124unique_dim_cuda_templateIjEESt5tupleIJNS8_6TensorESD_SD_EERKSD_lbbbEUlllE1_EE10hipError_tPvRmT2_T3_mT4_P12ihipStream_tbEUlT_E_NS1_11comp_targetILNS1_3genE5ELNS1_11target_archE942ELNS1_3gpuE9ELNS1_3repE0EEENS1_30default_config_static_selectorELNS0_4arch9wavefront6targetE0EEEvT1_
; %bb.0:
	.section	.rodata,"a",@progbits
	.p2align	6, 0x0
	.amdhsa_kernel _ZN7rocprim17ROCPRIM_400000_NS6detail17trampoline_kernelINS0_14default_configENS1_35adjacent_difference_config_selectorILb1ElEEZNS1_24adjacent_difference_implIS3_Lb1ELb0EPlS7_ZN2at6native12_GLOBAL__N_124unique_dim_cuda_templateIjEESt5tupleIJNS8_6TensorESD_SD_EERKSD_lbbbEUlllE1_EE10hipError_tPvRmT2_T3_mT4_P12ihipStream_tbEUlT_E_NS1_11comp_targetILNS1_3genE5ELNS1_11target_archE942ELNS1_3gpuE9ELNS1_3repE0EEENS1_30default_config_static_selectorELNS0_4arch9wavefront6targetE0EEEvT1_
		.amdhsa_group_segment_fixed_size 0
		.amdhsa_private_segment_fixed_size 0
		.amdhsa_kernarg_size 64
		.amdhsa_user_sgpr_count 2
		.amdhsa_user_sgpr_dispatch_ptr 0
		.amdhsa_user_sgpr_queue_ptr 0
		.amdhsa_user_sgpr_kernarg_segment_ptr 1
		.amdhsa_user_sgpr_dispatch_id 0
		.amdhsa_user_sgpr_kernarg_preload_length 0
		.amdhsa_user_sgpr_kernarg_preload_offset 0
		.amdhsa_user_sgpr_private_segment_size 0
		.amdhsa_wavefront_size32 1
		.amdhsa_uses_dynamic_stack 0
		.amdhsa_enable_private_segment 0
		.amdhsa_system_sgpr_workgroup_id_x 1
		.amdhsa_system_sgpr_workgroup_id_y 0
		.amdhsa_system_sgpr_workgroup_id_z 0
		.amdhsa_system_sgpr_workgroup_info 0
		.amdhsa_system_vgpr_workitem_id 0
		.amdhsa_next_free_vgpr 1
		.amdhsa_next_free_sgpr 1
		.amdhsa_named_barrier_count 0
		.amdhsa_reserve_vcc 0
		.amdhsa_float_round_mode_32 0
		.amdhsa_float_round_mode_16_64 0
		.amdhsa_float_denorm_mode_32 3
		.amdhsa_float_denorm_mode_16_64 3
		.amdhsa_fp16_overflow 0
		.amdhsa_memory_ordered 1
		.amdhsa_forward_progress 1
		.amdhsa_inst_pref_size 0
		.amdhsa_round_robin_scheduling 0
		.amdhsa_exception_fp_ieee_invalid_op 0
		.amdhsa_exception_fp_denorm_src 0
		.amdhsa_exception_fp_ieee_div_zero 0
		.amdhsa_exception_fp_ieee_overflow 0
		.amdhsa_exception_fp_ieee_underflow 0
		.amdhsa_exception_fp_ieee_inexact 0
		.amdhsa_exception_int_div_zero 0
	.end_amdhsa_kernel
	.section	.text._ZN7rocprim17ROCPRIM_400000_NS6detail17trampoline_kernelINS0_14default_configENS1_35adjacent_difference_config_selectorILb1ElEEZNS1_24adjacent_difference_implIS3_Lb1ELb0EPlS7_ZN2at6native12_GLOBAL__N_124unique_dim_cuda_templateIjEESt5tupleIJNS8_6TensorESD_SD_EERKSD_lbbbEUlllE1_EE10hipError_tPvRmT2_T3_mT4_P12ihipStream_tbEUlT_E_NS1_11comp_targetILNS1_3genE5ELNS1_11target_archE942ELNS1_3gpuE9ELNS1_3repE0EEENS1_30default_config_static_selectorELNS0_4arch9wavefront6targetE0EEEvT1_,"axG",@progbits,_ZN7rocprim17ROCPRIM_400000_NS6detail17trampoline_kernelINS0_14default_configENS1_35adjacent_difference_config_selectorILb1ElEEZNS1_24adjacent_difference_implIS3_Lb1ELb0EPlS7_ZN2at6native12_GLOBAL__N_124unique_dim_cuda_templateIjEESt5tupleIJNS8_6TensorESD_SD_EERKSD_lbbbEUlllE1_EE10hipError_tPvRmT2_T3_mT4_P12ihipStream_tbEUlT_E_NS1_11comp_targetILNS1_3genE5ELNS1_11target_archE942ELNS1_3gpuE9ELNS1_3repE0EEENS1_30default_config_static_selectorELNS0_4arch9wavefront6targetE0EEEvT1_,comdat
.Lfunc_end1535:
	.size	_ZN7rocprim17ROCPRIM_400000_NS6detail17trampoline_kernelINS0_14default_configENS1_35adjacent_difference_config_selectorILb1ElEEZNS1_24adjacent_difference_implIS3_Lb1ELb0EPlS7_ZN2at6native12_GLOBAL__N_124unique_dim_cuda_templateIjEESt5tupleIJNS8_6TensorESD_SD_EERKSD_lbbbEUlllE1_EE10hipError_tPvRmT2_T3_mT4_P12ihipStream_tbEUlT_E_NS1_11comp_targetILNS1_3genE5ELNS1_11target_archE942ELNS1_3gpuE9ELNS1_3repE0EEENS1_30default_config_static_selectorELNS0_4arch9wavefront6targetE0EEEvT1_, .Lfunc_end1535-_ZN7rocprim17ROCPRIM_400000_NS6detail17trampoline_kernelINS0_14default_configENS1_35adjacent_difference_config_selectorILb1ElEEZNS1_24adjacent_difference_implIS3_Lb1ELb0EPlS7_ZN2at6native12_GLOBAL__N_124unique_dim_cuda_templateIjEESt5tupleIJNS8_6TensorESD_SD_EERKSD_lbbbEUlllE1_EE10hipError_tPvRmT2_T3_mT4_P12ihipStream_tbEUlT_E_NS1_11comp_targetILNS1_3genE5ELNS1_11target_archE942ELNS1_3gpuE9ELNS1_3repE0EEENS1_30default_config_static_selectorELNS0_4arch9wavefront6targetE0EEEvT1_
                                        ; -- End function
	.set _ZN7rocprim17ROCPRIM_400000_NS6detail17trampoline_kernelINS0_14default_configENS1_35adjacent_difference_config_selectorILb1ElEEZNS1_24adjacent_difference_implIS3_Lb1ELb0EPlS7_ZN2at6native12_GLOBAL__N_124unique_dim_cuda_templateIjEESt5tupleIJNS8_6TensorESD_SD_EERKSD_lbbbEUlllE1_EE10hipError_tPvRmT2_T3_mT4_P12ihipStream_tbEUlT_E_NS1_11comp_targetILNS1_3genE5ELNS1_11target_archE942ELNS1_3gpuE9ELNS1_3repE0EEENS1_30default_config_static_selectorELNS0_4arch9wavefront6targetE0EEEvT1_.num_vgpr, 0
	.set _ZN7rocprim17ROCPRIM_400000_NS6detail17trampoline_kernelINS0_14default_configENS1_35adjacent_difference_config_selectorILb1ElEEZNS1_24adjacent_difference_implIS3_Lb1ELb0EPlS7_ZN2at6native12_GLOBAL__N_124unique_dim_cuda_templateIjEESt5tupleIJNS8_6TensorESD_SD_EERKSD_lbbbEUlllE1_EE10hipError_tPvRmT2_T3_mT4_P12ihipStream_tbEUlT_E_NS1_11comp_targetILNS1_3genE5ELNS1_11target_archE942ELNS1_3gpuE9ELNS1_3repE0EEENS1_30default_config_static_selectorELNS0_4arch9wavefront6targetE0EEEvT1_.num_agpr, 0
	.set _ZN7rocprim17ROCPRIM_400000_NS6detail17trampoline_kernelINS0_14default_configENS1_35adjacent_difference_config_selectorILb1ElEEZNS1_24adjacent_difference_implIS3_Lb1ELb0EPlS7_ZN2at6native12_GLOBAL__N_124unique_dim_cuda_templateIjEESt5tupleIJNS8_6TensorESD_SD_EERKSD_lbbbEUlllE1_EE10hipError_tPvRmT2_T3_mT4_P12ihipStream_tbEUlT_E_NS1_11comp_targetILNS1_3genE5ELNS1_11target_archE942ELNS1_3gpuE9ELNS1_3repE0EEENS1_30default_config_static_selectorELNS0_4arch9wavefront6targetE0EEEvT1_.numbered_sgpr, 0
	.set _ZN7rocprim17ROCPRIM_400000_NS6detail17trampoline_kernelINS0_14default_configENS1_35adjacent_difference_config_selectorILb1ElEEZNS1_24adjacent_difference_implIS3_Lb1ELb0EPlS7_ZN2at6native12_GLOBAL__N_124unique_dim_cuda_templateIjEESt5tupleIJNS8_6TensorESD_SD_EERKSD_lbbbEUlllE1_EE10hipError_tPvRmT2_T3_mT4_P12ihipStream_tbEUlT_E_NS1_11comp_targetILNS1_3genE5ELNS1_11target_archE942ELNS1_3gpuE9ELNS1_3repE0EEENS1_30default_config_static_selectorELNS0_4arch9wavefront6targetE0EEEvT1_.num_named_barrier, 0
	.set _ZN7rocprim17ROCPRIM_400000_NS6detail17trampoline_kernelINS0_14default_configENS1_35adjacent_difference_config_selectorILb1ElEEZNS1_24adjacent_difference_implIS3_Lb1ELb0EPlS7_ZN2at6native12_GLOBAL__N_124unique_dim_cuda_templateIjEESt5tupleIJNS8_6TensorESD_SD_EERKSD_lbbbEUlllE1_EE10hipError_tPvRmT2_T3_mT4_P12ihipStream_tbEUlT_E_NS1_11comp_targetILNS1_3genE5ELNS1_11target_archE942ELNS1_3gpuE9ELNS1_3repE0EEENS1_30default_config_static_selectorELNS0_4arch9wavefront6targetE0EEEvT1_.private_seg_size, 0
	.set _ZN7rocprim17ROCPRIM_400000_NS6detail17trampoline_kernelINS0_14default_configENS1_35adjacent_difference_config_selectorILb1ElEEZNS1_24adjacent_difference_implIS3_Lb1ELb0EPlS7_ZN2at6native12_GLOBAL__N_124unique_dim_cuda_templateIjEESt5tupleIJNS8_6TensorESD_SD_EERKSD_lbbbEUlllE1_EE10hipError_tPvRmT2_T3_mT4_P12ihipStream_tbEUlT_E_NS1_11comp_targetILNS1_3genE5ELNS1_11target_archE942ELNS1_3gpuE9ELNS1_3repE0EEENS1_30default_config_static_selectorELNS0_4arch9wavefront6targetE0EEEvT1_.uses_vcc, 0
	.set _ZN7rocprim17ROCPRIM_400000_NS6detail17trampoline_kernelINS0_14default_configENS1_35adjacent_difference_config_selectorILb1ElEEZNS1_24adjacent_difference_implIS3_Lb1ELb0EPlS7_ZN2at6native12_GLOBAL__N_124unique_dim_cuda_templateIjEESt5tupleIJNS8_6TensorESD_SD_EERKSD_lbbbEUlllE1_EE10hipError_tPvRmT2_T3_mT4_P12ihipStream_tbEUlT_E_NS1_11comp_targetILNS1_3genE5ELNS1_11target_archE942ELNS1_3gpuE9ELNS1_3repE0EEENS1_30default_config_static_selectorELNS0_4arch9wavefront6targetE0EEEvT1_.uses_flat_scratch, 0
	.set _ZN7rocprim17ROCPRIM_400000_NS6detail17trampoline_kernelINS0_14default_configENS1_35adjacent_difference_config_selectorILb1ElEEZNS1_24adjacent_difference_implIS3_Lb1ELb0EPlS7_ZN2at6native12_GLOBAL__N_124unique_dim_cuda_templateIjEESt5tupleIJNS8_6TensorESD_SD_EERKSD_lbbbEUlllE1_EE10hipError_tPvRmT2_T3_mT4_P12ihipStream_tbEUlT_E_NS1_11comp_targetILNS1_3genE5ELNS1_11target_archE942ELNS1_3gpuE9ELNS1_3repE0EEENS1_30default_config_static_selectorELNS0_4arch9wavefront6targetE0EEEvT1_.has_dyn_sized_stack, 0
	.set _ZN7rocprim17ROCPRIM_400000_NS6detail17trampoline_kernelINS0_14default_configENS1_35adjacent_difference_config_selectorILb1ElEEZNS1_24adjacent_difference_implIS3_Lb1ELb0EPlS7_ZN2at6native12_GLOBAL__N_124unique_dim_cuda_templateIjEESt5tupleIJNS8_6TensorESD_SD_EERKSD_lbbbEUlllE1_EE10hipError_tPvRmT2_T3_mT4_P12ihipStream_tbEUlT_E_NS1_11comp_targetILNS1_3genE5ELNS1_11target_archE942ELNS1_3gpuE9ELNS1_3repE0EEENS1_30default_config_static_selectorELNS0_4arch9wavefront6targetE0EEEvT1_.has_recursion, 0
	.set _ZN7rocprim17ROCPRIM_400000_NS6detail17trampoline_kernelINS0_14default_configENS1_35adjacent_difference_config_selectorILb1ElEEZNS1_24adjacent_difference_implIS3_Lb1ELb0EPlS7_ZN2at6native12_GLOBAL__N_124unique_dim_cuda_templateIjEESt5tupleIJNS8_6TensorESD_SD_EERKSD_lbbbEUlllE1_EE10hipError_tPvRmT2_T3_mT4_P12ihipStream_tbEUlT_E_NS1_11comp_targetILNS1_3genE5ELNS1_11target_archE942ELNS1_3gpuE9ELNS1_3repE0EEENS1_30default_config_static_selectorELNS0_4arch9wavefront6targetE0EEEvT1_.has_indirect_call, 0
	.section	.AMDGPU.csdata,"",@progbits
; Kernel info:
; codeLenInByte = 0
; TotalNumSgprs: 0
; NumVgprs: 0
; ScratchSize: 0
; MemoryBound: 0
; FloatMode: 240
; IeeeMode: 1
; LDSByteSize: 0 bytes/workgroup (compile time only)
; SGPRBlocks: 0
; VGPRBlocks: 0
; NumSGPRsForWavesPerEU: 1
; NumVGPRsForWavesPerEU: 1
; NamedBarCnt: 0
; Occupancy: 16
; WaveLimiterHint : 0
; COMPUTE_PGM_RSRC2:SCRATCH_EN: 0
; COMPUTE_PGM_RSRC2:USER_SGPR: 2
; COMPUTE_PGM_RSRC2:TRAP_HANDLER: 0
; COMPUTE_PGM_RSRC2:TGID_X_EN: 1
; COMPUTE_PGM_RSRC2:TGID_Y_EN: 0
; COMPUTE_PGM_RSRC2:TGID_Z_EN: 0
; COMPUTE_PGM_RSRC2:TIDIG_COMP_CNT: 0
	.section	.text._ZN7rocprim17ROCPRIM_400000_NS6detail17trampoline_kernelINS0_14default_configENS1_35adjacent_difference_config_selectorILb1ElEEZNS1_24adjacent_difference_implIS3_Lb1ELb0EPlS7_ZN2at6native12_GLOBAL__N_124unique_dim_cuda_templateIjEESt5tupleIJNS8_6TensorESD_SD_EERKSD_lbbbEUlllE1_EE10hipError_tPvRmT2_T3_mT4_P12ihipStream_tbEUlT_E_NS1_11comp_targetILNS1_3genE4ELNS1_11target_archE910ELNS1_3gpuE8ELNS1_3repE0EEENS1_30default_config_static_selectorELNS0_4arch9wavefront6targetE0EEEvT1_,"axG",@progbits,_ZN7rocprim17ROCPRIM_400000_NS6detail17trampoline_kernelINS0_14default_configENS1_35adjacent_difference_config_selectorILb1ElEEZNS1_24adjacent_difference_implIS3_Lb1ELb0EPlS7_ZN2at6native12_GLOBAL__N_124unique_dim_cuda_templateIjEESt5tupleIJNS8_6TensorESD_SD_EERKSD_lbbbEUlllE1_EE10hipError_tPvRmT2_T3_mT4_P12ihipStream_tbEUlT_E_NS1_11comp_targetILNS1_3genE4ELNS1_11target_archE910ELNS1_3gpuE8ELNS1_3repE0EEENS1_30default_config_static_selectorELNS0_4arch9wavefront6targetE0EEEvT1_,comdat
	.globl	_ZN7rocprim17ROCPRIM_400000_NS6detail17trampoline_kernelINS0_14default_configENS1_35adjacent_difference_config_selectorILb1ElEEZNS1_24adjacent_difference_implIS3_Lb1ELb0EPlS7_ZN2at6native12_GLOBAL__N_124unique_dim_cuda_templateIjEESt5tupleIJNS8_6TensorESD_SD_EERKSD_lbbbEUlllE1_EE10hipError_tPvRmT2_T3_mT4_P12ihipStream_tbEUlT_E_NS1_11comp_targetILNS1_3genE4ELNS1_11target_archE910ELNS1_3gpuE8ELNS1_3repE0EEENS1_30default_config_static_selectorELNS0_4arch9wavefront6targetE0EEEvT1_ ; -- Begin function _ZN7rocprim17ROCPRIM_400000_NS6detail17trampoline_kernelINS0_14default_configENS1_35adjacent_difference_config_selectorILb1ElEEZNS1_24adjacent_difference_implIS3_Lb1ELb0EPlS7_ZN2at6native12_GLOBAL__N_124unique_dim_cuda_templateIjEESt5tupleIJNS8_6TensorESD_SD_EERKSD_lbbbEUlllE1_EE10hipError_tPvRmT2_T3_mT4_P12ihipStream_tbEUlT_E_NS1_11comp_targetILNS1_3genE4ELNS1_11target_archE910ELNS1_3gpuE8ELNS1_3repE0EEENS1_30default_config_static_selectorELNS0_4arch9wavefront6targetE0EEEvT1_
	.p2align	8
	.type	_ZN7rocprim17ROCPRIM_400000_NS6detail17trampoline_kernelINS0_14default_configENS1_35adjacent_difference_config_selectorILb1ElEEZNS1_24adjacent_difference_implIS3_Lb1ELb0EPlS7_ZN2at6native12_GLOBAL__N_124unique_dim_cuda_templateIjEESt5tupleIJNS8_6TensorESD_SD_EERKSD_lbbbEUlllE1_EE10hipError_tPvRmT2_T3_mT4_P12ihipStream_tbEUlT_E_NS1_11comp_targetILNS1_3genE4ELNS1_11target_archE910ELNS1_3gpuE8ELNS1_3repE0EEENS1_30default_config_static_selectorELNS0_4arch9wavefront6targetE0EEEvT1_,@function
_ZN7rocprim17ROCPRIM_400000_NS6detail17trampoline_kernelINS0_14default_configENS1_35adjacent_difference_config_selectorILb1ElEEZNS1_24adjacent_difference_implIS3_Lb1ELb0EPlS7_ZN2at6native12_GLOBAL__N_124unique_dim_cuda_templateIjEESt5tupleIJNS8_6TensorESD_SD_EERKSD_lbbbEUlllE1_EE10hipError_tPvRmT2_T3_mT4_P12ihipStream_tbEUlT_E_NS1_11comp_targetILNS1_3genE4ELNS1_11target_archE910ELNS1_3gpuE8ELNS1_3repE0EEENS1_30default_config_static_selectorELNS0_4arch9wavefront6targetE0EEEvT1_: ; @_ZN7rocprim17ROCPRIM_400000_NS6detail17trampoline_kernelINS0_14default_configENS1_35adjacent_difference_config_selectorILb1ElEEZNS1_24adjacent_difference_implIS3_Lb1ELb0EPlS7_ZN2at6native12_GLOBAL__N_124unique_dim_cuda_templateIjEESt5tupleIJNS8_6TensorESD_SD_EERKSD_lbbbEUlllE1_EE10hipError_tPvRmT2_T3_mT4_P12ihipStream_tbEUlT_E_NS1_11comp_targetILNS1_3genE4ELNS1_11target_archE910ELNS1_3gpuE8ELNS1_3repE0EEENS1_30default_config_static_selectorELNS0_4arch9wavefront6targetE0EEEvT1_
; %bb.0:
	.section	.rodata,"a",@progbits
	.p2align	6, 0x0
	.amdhsa_kernel _ZN7rocprim17ROCPRIM_400000_NS6detail17trampoline_kernelINS0_14default_configENS1_35adjacent_difference_config_selectorILb1ElEEZNS1_24adjacent_difference_implIS3_Lb1ELb0EPlS7_ZN2at6native12_GLOBAL__N_124unique_dim_cuda_templateIjEESt5tupleIJNS8_6TensorESD_SD_EERKSD_lbbbEUlllE1_EE10hipError_tPvRmT2_T3_mT4_P12ihipStream_tbEUlT_E_NS1_11comp_targetILNS1_3genE4ELNS1_11target_archE910ELNS1_3gpuE8ELNS1_3repE0EEENS1_30default_config_static_selectorELNS0_4arch9wavefront6targetE0EEEvT1_
		.amdhsa_group_segment_fixed_size 0
		.amdhsa_private_segment_fixed_size 0
		.amdhsa_kernarg_size 64
		.amdhsa_user_sgpr_count 2
		.amdhsa_user_sgpr_dispatch_ptr 0
		.amdhsa_user_sgpr_queue_ptr 0
		.amdhsa_user_sgpr_kernarg_segment_ptr 1
		.amdhsa_user_sgpr_dispatch_id 0
		.amdhsa_user_sgpr_kernarg_preload_length 0
		.amdhsa_user_sgpr_kernarg_preload_offset 0
		.amdhsa_user_sgpr_private_segment_size 0
		.amdhsa_wavefront_size32 1
		.amdhsa_uses_dynamic_stack 0
		.amdhsa_enable_private_segment 0
		.amdhsa_system_sgpr_workgroup_id_x 1
		.amdhsa_system_sgpr_workgroup_id_y 0
		.amdhsa_system_sgpr_workgroup_id_z 0
		.amdhsa_system_sgpr_workgroup_info 0
		.amdhsa_system_vgpr_workitem_id 0
		.amdhsa_next_free_vgpr 1
		.amdhsa_next_free_sgpr 1
		.amdhsa_named_barrier_count 0
		.amdhsa_reserve_vcc 0
		.amdhsa_float_round_mode_32 0
		.amdhsa_float_round_mode_16_64 0
		.amdhsa_float_denorm_mode_32 3
		.amdhsa_float_denorm_mode_16_64 3
		.amdhsa_fp16_overflow 0
		.amdhsa_memory_ordered 1
		.amdhsa_forward_progress 1
		.amdhsa_inst_pref_size 0
		.amdhsa_round_robin_scheduling 0
		.amdhsa_exception_fp_ieee_invalid_op 0
		.amdhsa_exception_fp_denorm_src 0
		.amdhsa_exception_fp_ieee_div_zero 0
		.amdhsa_exception_fp_ieee_overflow 0
		.amdhsa_exception_fp_ieee_underflow 0
		.amdhsa_exception_fp_ieee_inexact 0
		.amdhsa_exception_int_div_zero 0
	.end_amdhsa_kernel
	.section	.text._ZN7rocprim17ROCPRIM_400000_NS6detail17trampoline_kernelINS0_14default_configENS1_35adjacent_difference_config_selectorILb1ElEEZNS1_24adjacent_difference_implIS3_Lb1ELb0EPlS7_ZN2at6native12_GLOBAL__N_124unique_dim_cuda_templateIjEESt5tupleIJNS8_6TensorESD_SD_EERKSD_lbbbEUlllE1_EE10hipError_tPvRmT2_T3_mT4_P12ihipStream_tbEUlT_E_NS1_11comp_targetILNS1_3genE4ELNS1_11target_archE910ELNS1_3gpuE8ELNS1_3repE0EEENS1_30default_config_static_selectorELNS0_4arch9wavefront6targetE0EEEvT1_,"axG",@progbits,_ZN7rocprim17ROCPRIM_400000_NS6detail17trampoline_kernelINS0_14default_configENS1_35adjacent_difference_config_selectorILb1ElEEZNS1_24adjacent_difference_implIS3_Lb1ELb0EPlS7_ZN2at6native12_GLOBAL__N_124unique_dim_cuda_templateIjEESt5tupleIJNS8_6TensorESD_SD_EERKSD_lbbbEUlllE1_EE10hipError_tPvRmT2_T3_mT4_P12ihipStream_tbEUlT_E_NS1_11comp_targetILNS1_3genE4ELNS1_11target_archE910ELNS1_3gpuE8ELNS1_3repE0EEENS1_30default_config_static_selectorELNS0_4arch9wavefront6targetE0EEEvT1_,comdat
.Lfunc_end1536:
	.size	_ZN7rocprim17ROCPRIM_400000_NS6detail17trampoline_kernelINS0_14default_configENS1_35adjacent_difference_config_selectorILb1ElEEZNS1_24adjacent_difference_implIS3_Lb1ELb0EPlS7_ZN2at6native12_GLOBAL__N_124unique_dim_cuda_templateIjEESt5tupleIJNS8_6TensorESD_SD_EERKSD_lbbbEUlllE1_EE10hipError_tPvRmT2_T3_mT4_P12ihipStream_tbEUlT_E_NS1_11comp_targetILNS1_3genE4ELNS1_11target_archE910ELNS1_3gpuE8ELNS1_3repE0EEENS1_30default_config_static_selectorELNS0_4arch9wavefront6targetE0EEEvT1_, .Lfunc_end1536-_ZN7rocprim17ROCPRIM_400000_NS6detail17trampoline_kernelINS0_14default_configENS1_35adjacent_difference_config_selectorILb1ElEEZNS1_24adjacent_difference_implIS3_Lb1ELb0EPlS7_ZN2at6native12_GLOBAL__N_124unique_dim_cuda_templateIjEESt5tupleIJNS8_6TensorESD_SD_EERKSD_lbbbEUlllE1_EE10hipError_tPvRmT2_T3_mT4_P12ihipStream_tbEUlT_E_NS1_11comp_targetILNS1_3genE4ELNS1_11target_archE910ELNS1_3gpuE8ELNS1_3repE0EEENS1_30default_config_static_selectorELNS0_4arch9wavefront6targetE0EEEvT1_
                                        ; -- End function
	.set _ZN7rocprim17ROCPRIM_400000_NS6detail17trampoline_kernelINS0_14default_configENS1_35adjacent_difference_config_selectorILb1ElEEZNS1_24adjacent_difference_implIS3_Lb1ELb0EPlS7_ZN2at6native12_GLOBAL__N_124unique_dim_cuda_templateIjEESt5tupleIJNS8_6TensorESD_SD_EERKSD_lbbbEUlllE1_EE10hipError_tPvRmT2_T3_mT4_P12ihipStream_tbEUlT_E_NS1_11comp_targetILNS1_3genE4ELNS1_11target_archE910ELNS1_3gpuE8ELNS1_3repE0EEENS1_30default_config_static_selectorELNS0_4arch9wavefront6targetE0EEEvT1_.num_vgpr, 0
	.set _ZN7rocprim17ROCPRIM_400000_NS6detail17trampoline_kernelINS0_14default_configENS1_35adjacent_difference_config_selectorILb1ElEEZNS1_24adjacent_difference_implIS3_Lb1ELb0EPlS7_ZN2at6native12_GLOBAL__N_124unique_dim_cuda_templateIjEESt5tupleIJNS8_6TensorESD_SD_EERKSD_lbbbEUlllE1_EE10hipError_tPvRmT2_T3_mT4_P12ihipStream_tbEUlT_E_NS1_11comp_targetILNS1_3genE4ELNS1_11target_archE910ELNS1_3gpuE8ELNS1_3repE0EEENS1_30default_config_static_selectorELNS0_4arch9wavefront6targetE0EEEvT1_.num_agpr, 0
	.set _ZN7rocprim17ROCPRIM_400000_NS6detail17trampoline_kernelINS0_14default_configENS1_35adjacent_difference_config_selectorILb1ElEEZNS1_24adjacent_difference_implIS3_Lb1ELb0EPlS7_ZN2at6native12_GLOBAL__N_124unique_dim_cuda_templateIjEESt5tupleIJNS8_6TensorESD_SD_EERKSD_lbbbEUlllE1_EE10hipError_tPvRmT2_T3_mT4_P12ihipStream_tbEUlT_E_NS1_11comp_targetILNS1_3genE4ELNS1_11target_archE910ELNS1_3gpuE8ELNS1_3repE0EEENS1_30default_config_static_selectorELNS0_4arch9wavefront6targetE0EEEvT1_.numbered_sgpr, 0
	.set _ZN7rocprim17ROCPRIM_400000_NS6detail17trampoline_kernelINS0_14default_configENS1_35adjacent_difference_config_selectorILb1ElEEZNS1_24adjacent_difference_implIS3_Lb1ELb0EPlS7_ZN2at6native12_GLOBAL__N_124unique_dim_cuda_templateIjEESt5tupleIJNS8_6TensorESD_SD_EERKSD_lbbbEUlllE1_EE10hipError_tPvRmT2_T3_mT4_P12ihipStream_tbEUlT_E_NS1_11comp_targetILNS1_3genE4ELNS1_11target_archE910ELNS1_3gpuE8ELNS1_3repE0EEENS1_30default_config_static_selectorELNS0_4arch9wavefront6targetE0EEEvT1_.num_named_barrier, 0
	.set _ZN7rocprim17ROCPRIM_400000_NS6detail17trampoline_kernelINS0_14default_configENS1_35adjacent_difference_config_selectorILb1ElEEZNS1_24adjacent_difference_implIS3_Lb1ELb0EPlS7_ZN2at6native12_GLOBAL__N_124unique_dim_cuda_templateIjEESt5tupleIJNS8_6TensorESD_SD_EERKSD_lbbbEUlllE1_EE10hipError_tPvRmT2_T3_mT4_P12ihipStream_tbEUlT_E_NS1_11comp_targetILNS1_3genE4ELNS1_11target_archE910ELNS1_3gpuE8ELNS1_3repE0EEENS1_30default_config_static_selectorELNS0_4arch9wavefront6targetE0EEEvT1_.private_seg_size, 0
	.set _ZN7rocprim17ROCPRIM_400000_NS6detail17trampoline_kernelINS0_14default_configENS1_35adjacent_difference_config_selectorILb1ElEEZNS1_24adjacent_difference_implIS3_Lb1ELb0EPlS7_ZN2at6native12_GLOBAL__N_124unique_dim_cuda_templateIjEESt5tupleIJNS8_6TensorESD_SD_EERKSD_lbbbEUlllE1_EE10hipError_tPvRmT2_T3_mT4_P12ihipStream_tbEUlT_E_NS1_11comp_targetILNS1_3genE4ELNS1_11target_archE910ELNS1_3gpuE8ELNS1_3repE0EEENS1_30default_config_static_selectorELNS0_4arch9wavefront6targetE0EEEvT1_.uses_vcc, 0
	.set _ZN7rocprim17ROCPRIM_400000_NS6detail17trampoline_kernelINS0_14default_configENS1_35adjacent_difference_config_selectorILb1ElEEZNS1_24adjacent_difference_implIS3_Lb1ELb0EPlS7_ZN2at6native12_GLOBAL__N_124unique_dim_cuda_templateIjEESt5tupleIJNS8_6TensorESD_SD_EERKSD_lbbbEUlllE1_EE10hipError_tPvRmT2_T3_mT4_P12ihipStream_tbEUlT_E_NS1_11comp_targetILNS1_3genE4ELNS1_11target_archE910ELNS1_3gpuE8ELNS1_3repE0EEENS1_30default_config_static_selectorELNS0_4arch9wavefront6targetE0EEEvT1_.uses_flat_scratch, 0
	.set _ZN7rocprim17ROCPRIM_400000_NS6detail17trampoline_kernelINS0_14default_configENS1_35adjacent_difference_config_selectorILb1ElEEZNS1_24adjacent_difference_implIS3_Lb1ELb0EPlS7_ZN2at6native12_GLOBAL__N_124unique_dim_cuda_templateIjEESt5tupleIJNS8_6TensorESD_SD_EERKSD_lbbbEUlllE1_EE10hipError_tPvRmT2_T3_mT4_P12ihipStream_tbEUlT_E_NS1_11comp_targetILNS1_3genE4ELNS1_11target_archE910ELNS1_3gpuE8ELNS1_3repE0EEENS1_30default_config_static_selectorELNS0_4arch9wavefront6targetE0EEEvT1_.has_dyn_sized_stack, 0
	.set _ZN7rocprim17ROCPRIM_400000_NS6detail17trampoline_kernelINS0_14default_configENS1_35adjacent_difference_config_selectorILb1ElEEZNS1_24adjacent_difference_implIS3_Lb1ELb0EPlS7_ZN2at6native12_GLOBAL__N_124unique_dim_cuda_templateIjEESt5tupleIJNS8_6TensorESD_SD_EERKSD_lbbbEUlllE1_EE10hipError_tPvRmT2_T3_mT4_P12ihipStream_tbEUlT_E_NS1_11comp_targetILNS1_3genE4ELNS1_11target_archE910ELNS1_3gpuE8ELNS1_3repE0EEENS1_30default_config_static_selectorELNS0_4arch9wavefront6targetE0EEEvT1_.has_recursion, 0
	.set _ZN7rocprim17ROCPRIM_400000_NS6detail17trampoline_kernelINS0_14default_configENS1_35adjacent_difference_config_selectorILb1ElEEZNS1_24adjacent_difference_implIS3_Lb1ELb0EPlS7_ZN2at6native12_GLOBAL__N_124unique_dim_cuda_templateIjEESt5tupleIJNS8_6TensorESD_SD_EERKSD_lbbbEUlllE1_EE10hipError_tPvRmT2_T3_mT4_P12ihipStream_tbEUlT_E_NS1_11comp_targetILNS1_3genE4ELNS1_11target_archE910ELNS1_3gpuE8ELNS1_3repE0EEENS1_30default_config_static_selectorELNS0_4arch9wavefront6targetE0EEEvT1_.has_indirect_call, 0
	.section	.AMDGPU.csdata,"",@progbits
; Kernel info:
; codeLenInByte = 0
; TotalNumSgprs: 0
; NumVgprs: 0
; ScratchSize: 0
; MemoryBound: 0
; FloatMode: 240
; IeeeMode: 1
; LDSByteSize: 0 bytes/workgroup (compile time only)
; SGPRBlocks: 0
; VGPRBlocks: 0
; NumSGPRsForWavesPerEU: 1
; NumVGPRsForWavesPerEU: 1
; NamedBarCnt: 0
; Occupancy: 16
; WaveLimiterHint : 0
; COMPUTE_PGM_RSRC2:SCRATCH_EN: 0
; COMPUTE_PGM_RSRC2:USER_SGPR: 2
; COMPUTE_PGM_RSRC2:TRAP_HANDLER: 0
; COMPUTE_PGM_RSRC2:TGID_X_EN: 1
; COMPUTE_PGM_RSRC2:TGID_Y_EN: 0
; COMPUTE_PGM_RSRC2:TGID_Z_EN: 0
; COMPUTE_PGM_RSRC2:TIDIG_COMP_CNT: 0
	.section	.text._ZN7rocprim17ROCPRIM_400000_NS6detail17trampoline_kernelINS0_14default_configENS1_35adjacent_difference_config_selectorILb1ElEEZNS1_24adjacent_difference_implIS3_Lb1ELb0EPlS7_ZN2at6native12_GLOBAL__N_124unique_dim_cuda_templateIjEESt5tupleIJNS8_6TensorESD_SD_EERKSD_lbbbEUlllE1_EE10hipError_tPvRmT2_T3_mT4_P12ihipStream_tbEUlT_E_NS1_11comp_targetILNS1_3genE3ELNS1_11target_archE908ELNS1_3gpuE7ELNS1_3repE0EEENS1_30default_config_static_selectorELNS0_4arch9wavefront6targetE0EEEvT1_,"axG",@progbits,_ZN7rocprim17ROCPRIM_400000_NS6detail17trampoline_kernelINS0_14default_configENS1_35adjacent_difference_config_selectorILb1ElEEZNS1_24adjacent_difference_implIS3_Lb1ELb0EPlS7_ZN2at6native12_GLOBAL__N_124unique_dim_cuda_templateIjEESt5tupleIJNS8_6TensorESD_SD_EERKSD_lbbbEUlllE1_EE10hipError_tPvRmT2_T3_mT4_P12ihipStream_tbEUlT_E_NS1_11comp_targetILNS1_3genE3ELNS1_11target_archE908ELNS1_3gpuE7ELNS1_3repE0EEENS1_30default_config_static_selectorELNS0_4arch9wavefront6targetE0EEEvT1_,comdat
	.globl	_ZN7rocprim17ROCPRIM_400000_NS6detail17trampoline_kernelINS0_14default_configENS1_35adjacent_difference_config_selectorILb1ElEEZNS1_24adjacent_difference_implIS3_Lb1ELb0EPlS7_ZN2at6native12_GLOBAL__N_124unique_dim_cuda_templateIjEESt5tupleIJNS8_6TensorESD_SD_EERKSD_lbbbEUlllE1_EE10hipError_tPvRmT2_T3_mT4_P12ihipStream_tbEUlT_E_NS1_11comp_targetILNS1_3genE3ELNS1_11target_archE908ELNS1_3gpuE7ELNS1_3repE0EEENS1_30default_config_static_selectorELNS0_4arch9wavefront6targetE0EEEvT1_ ; -- Begin function _ZN7rocprim17ROCPRIM_400000_NS6detail17trampoline_kernelINS0_14default_configENS1_35adjacent_difference_config_selectorILb1ElEEZNS1_24adjacent_difference_implIS3_Lb1ELb0EPlS7_ZN2at6native12_GLOBAL__N_124unique_dim_cuda_templateIjEESt5tupleIJNS8_6TensorESD_SD_EERKSD_lbbbEUlllE1_EE10hipError_tPvRmT2_T3_mT4_P12ihipStream_tbEUlT_E_NS1_11comp_targetILNS1_3genE3ELNS1_11target_archE908ELNS1_3gpuE7ELNS1_3repE0EEENS1_30default_config_static_selectorELNS0_4arch9wavefront6targetE0EEEvT1_
	.p2align	8
	.type	_ZN7rocprim17ROCPRIM_400000_NS6detail17trampoline_kernelINS0_14default_configENS1_35adjacent_difference_config_selectorILb1ElEEZNS1_24adjacent_difference_implIS3_Lb1ELb0EPlS7_ZN2at6native12_GLOBAL__N_124unique_dim_cuda_templateIjEESt5tupleIJNS8_6TensorESD_SD_EERKSD_lbbbEUlllE1_EE10hipError_tPvRmT2_T3_mT4_P12ihipStream_tbEUlT_E_NS1_11comp_targetILNS1_3genE3ELNS1_11target_archE908ELNS1_3gpuE7ELNS1_3repE0EEENS1_30default_config_static_selectorELNS0_4arch9wavefront6targetE0EEEvT1_,@function
_ZN7rocprim17ROCPRIM_400000_NS6detail17trampoline_kernelINS0_14default_configENS1_35adjacent_difference_config_selectorILb1ElEEZNS1_24adjacent_difference_implIS3_Lb1ELb0EPlS7_ZN2at6native12_GLOBAL__N_124unique_dim_cuda_templateIjEESt5tupleIJNS8_6TensorESD_SD_EERKSD_lbbbEUlllE1_EE10hipError_tPvRmT2_T3_mT4_P12ihipStream_tbEUlT_E_NS1_11comp_targetILNS1_3genE3ELNS1_11target_archE908ELNS1_3gpuE7ELNS1_3repE0EEENS1_30default_config_static_selectorELNS0_4arch9wavefront6targetE0EEEvT1_: ; @_ZN7rocprim17ROCPRIM_400000_NS6detail17trampoline_kernelINS0_14default_configENS1_35adjacent_difference_config_selectorILb1ElEEZNS1_24adjacent_difference_implIS3_Lb1ELb0EPlS7_ZN2at6native12_GLOBAL__N_124unique_dim_cuda_templateIjEESt5tupleIJNS8_6TensorESD_SD_EERKSD_lbbbEUlllE1_EE10hipError_tPvRmT2_T3_mT4_P12ihipStream_tbEUlT_E_NS1_11comp_targetILNS1_3genE3ELNS1_11target_archE908ELNS1_3gpuE7ELNS1_3repE0EEENS1_30default_config_static_selectorELNS0_4arch9wavefront6targetE0EEEvT1_
; %bb.0:
	.section	.rodata,"a",@progbits
	.p2align	6, 0x0
	.amdhsa_kernel _ZN7rocprim17ROCPRIM_400000_NS6detail17trampoline_kernelINS0_14default_configENS1_35adjacent_difference_config_selectorILb1ElEEZNS1_24adjacent_difference_implIS3_Lb1ELb0EPlS7_ZN2at6native12_GLOBAL__N_124unique_dim_cuda_templateIjEESt5tupleIJNS8_6TensorESD_SD_EERKSD_lbbbEUlllE1_EE10hipError_tPvRmT2_T3_mT4_P12ihipStream_tbEUlT_E_NS1_11comp_targetILNS1_3genE3ELNS1_11target_archE908ELNS1_3gpuE7ELNS1_3repE0EEENS1_30default_config_static_selectorELNS0_4arch9wavefront6targetE0EEEvT1_
		.amdhsa_group_segment_fixed_size 0
		.amdhsa_private_segment_fixed_size 0
		.amdhsa_kernarg_size 64
		.amdhsa_user_sgpr_count 2
		.amdhsa_user_sgpr_dispatch_ptr 0
		.amdhsa_user_sgpr_queue_ptr 0
		.amdhsa_user_sgpr_kernarg_segment_ptr 1
		.amdhsa_user_sgpr_dispatch_id 0
		.amdhsa_user_sgpr_kernarg_preload_length 0
		.amdhsa_user_sgpr_kernarg_preload_offset 0
		.amdhsa_user_sgpr_private_segment_size 0
		.amdhsa_wavefront_size32 1
		.amdhsa_uses_dynamic_stack 0
		.amdhsa_enable_private_segment 0
		.amdhsa_system_sgpr_workgroup_id_x 1
		.amdhsa_system_sgpr_workgroup_id_y 0
		.amdhsa_system_sgpr_workgroup_id_z 0
		.amdhsa_system_sgpr_workgroup_info 0
		.amdhsa_system_vgpr_workitem_id 0
		.amdhsa_next_free_vgpr 1
		.amdhsa_next_free_sgpr 1
		.amdhsa_named_barrier_count 0
		.amdhsa_reserve_vcc 0
		.amdhsa_float_round_mode_32 0
		.amdhsa_float_round_mode_16_64 0
		.amdhsa_float_denorm_mode_32 3
		.amdhsa_float_denorm_mode_16_64 3
		.amdhsa_fp16_overflow 0
		.amdhsa_memory_ordered 1
		.amdhsa_forward_progress 1
		.amdhsa_inst_pref_size 0
		.amdhsa_round_robin_scheduling 0
		.amdhsa_exception_fp_ieee_invalid_op 0
		.amdhsa_exception_fp_denorm_src 0
		.amdhsa_exception_fp_ieee_div_zero 0
		.amdhsa_exception_fp_ieee_overflow 0
		.amdhsa_exception_fp_ieee_underflow 0
		.amdhsa_exception_fp_ieee_inexact 0
		.amdhsa_exception_int_div_zero 0
	.end_amdhsa_kernel
	.section	.text._ZN7rocprim17ROCPRIM_400000_NS6detail17trampoline_kernelINS0_14default_configENS1_35adjacent_difference_config_selectorILb1ElEEZNS1_24adjacent_difference_implIS3_Lb1ELb0EPlS7_ZN2at6native12_GLOBAL__N_124unique_dim_cuda_templateIjEESt5tupleIJNS8_6TensorESD_SD_EERKSD_lbbbEUlllE1_EE10hipError_tPvRmT2_T3_mT4_P12ihipStream_tbEUlT_E_NS1_11comp_targetILNS1_3genE3ELNS1_11target_archE908ELNS1_3gpuE7ELNS1_3repE0EEENS1_30default_config_static_selectorELNS0_4arch9wavefront6targetE0EEEvT1_,"axG",@progbits,_ZN7rocprim17ROCPRIM_400000_NS6detail17trampoline_kernelINS0_14default_configENS1_35adjacent_difference_config_selectorILb1ElEEZNS1_24adjacent_difference_implIS3_Lb1ELb0EPlS7_ZN2at6native12_GLOBAL__N_124unique_dim_cuda_templateIjEESt5tupleIJNS8_6TensorESD_SD_EERKSD_lbbbEUlllE1_EE10hipError_tPvRmT2_T3_mT4_P12ihipStream_tbEUlT_E_NS1_11comp_targetILNS1_3genE3ELNS1_11target_archE908ELNS1_3gpuE7ELNS1_3repE0EEENS1_30default_config_static_selectorELNS0_4arch9wavefront6targetE0EEEvT1_,comdat
.Lfunc_end1537:
	.size	_ZN7rocprim17ROCPRIM_400000_NS6detail17trampoline_kernelINS0_14default_configENS1_35adjacent_difference_config_selectorILb1ElEEZNS1_24adjacent_difference_implIS3_Lb1ELb0EPlS7_ZN2at6native12_GLOBAL__N_124unique_dim_cuda_templateIjEESt5tupleIJNS8_6TensorESD_SD_EERKSD_lbbbEUlllE1_EE10hipError_tPvRmT2_T3_mT4_P12ihipStream_tbEUlT_E_NS1_11comp_targetILNS1_3genE3ELNS1_11target_archE908ELNS1_3gpuE7ELNS1_3repE0EEENS1_30default_config_static_selectorELNS0_4arch9wavefront6targetE0EEEvT1_, .Lfunc_end1537-_ZN7rocprim17ROCPRIM_400000_NS6detail17trampoline_kernelINS0_14default_configENS1_35adjacent_difference_config_selectorILb1ElEEZNS1_24adjacent_difference_implIS3_Lb1ELb0EPlS7_ZN2at6native12_GLOBAL__N_124unique_dim_cuda_templateIjEESt5tupleIJNS8_6TensorESD_SD_EERKSD_lbbbEUlllE1_EE10hipError_tPvRmT2_T3_mT4_P12ihipStream_tbEUlT_E_NS1_11comp_targetILNS1_3genE3ELNS1_11target_archE908ELNS1_3gpuE7ELNS1_3repE0EEENS1_30default_config_static_selectorELNS0_4arch9wavefront6targetE0EEEvT1_
                                        ; -- End function
	.set _ZN7rocprim17ROCPRIM_400000_NS6detail17trampoline_kernelINS0_14default_configENS1_35adjacent_difference_config_selectorILb1ElEEZNS1_24adjacent_difference_implIS3_Lb1ELb0EPlS7_ZN2at6native12_GLOBAL__N_124unique_dim_cuda_templateIjEESt5tupleIJNS8_6TensorESD_SD_EERKSD_lbbbEUlllE1_EE10hipError_tPvRmT2_T3_mT4_P12ihipStream_tbEUlT_E_NS1_11comp_targetILNS1_3genE3ELNS1_11target_archE908ELNS1_3gpuE7ELNS1_3repE0EEENS1_30default_config_static_selectorELNS0_4arch9wavefront6targetE0EEEvT1_.num_vgpr, 0
	.set _ZN7rocprim17ROCPRIM_400000_NS6detail17trampoline_kernelINS0_14default_configENS1_35adjacent_difference_config_selectorILb1ElEEZNS1_24adjacent_difference_implIS3_Lb1ELb0EPlS7_ZN2at6native12_GLOBAL__N_124unique_dim_cuda_templateIjEESt5tupleIJNS8_6TensorESD_SD_EERKSD_lbbbEUlllE1_EE10hipError_tPvRmT2_T3_mT4_P12ihipStream_tbEUlT_E_NS1_11comp_targetILNS1_3genE3ELNS1_11target_archE908ELNS1_3gpuE7ELNS1_3repE0EEENS1_30default_config_static_selectorELNS0_4arch9wavefront6targetE0EEEvT1_.num_agpr, 0
	.set _ZN7rocprim17ROCPRIM_400000_NS6detail17trampoline_kernelINS0_14default_configENS1_35adjacent_difference_config_selectorILb1ElEEZNS1_24adjacent_difference_implIS3_Lb1ELb0EPlS7_ZN2at6native12_GLOBAL__N_124unique_dim_cuda_templateIjEESt5tupleIJNS8_6TensorESD_SD_EERKSD_lbbbEUlllE1_EE10hipError_tPvRmT2_T3_mT4_P12ihipStream_tbEUlT_E_NS1_11comp_targetILNS1_3genE3ELNS1_11target_archE908ELNS1_3gpuE7ELNS1_3repE0EEENS1_30default_config_static_selectorELNS0_4arch9wavefront6targetE0EEEvT1_.numbered_sgpr, 0
	.set _ZN7rocprim17ROCPRIM_400000_NS6detail17trampoline_kernelINS0_14default_configENS1_35adjacent_difference_config_selectorILb1ElEEZNS1_24adjacent_difference_implIS3_Lb1ELb0EPlS7_ZN2at6native12_GLOBAL__N_124unique_dim_cuda_templateIjEESt5tupleIJNS8_6TensorESD_SD_EERKSD_lbbbEUlllE1_EE10hipError_tPvRmT2_T3_mT4_P12ihipStream_tbEUlT_E_NS1_11comp_targetILNS1_3genE3ELNS1_11target_archE908ELNS1_3gpuE7ELNS1_3repE0EEENS1_30default_config_static_selectorELNS0_4arch9wavefront6targetE0EEEvT1_.num_named_barrier, 0
	.set _ZN7rocprim17ROCPRIM_400000_NS6detail17trampoline_kernelINS0_14default_configENS1_35adjacent_difference_config_selectorILb1ElEEZNS1_24adjacent_difference_implIS3_Lb1ELb0EPlS7_ZN2at6native12_GLOBAL__N_124unique_dim_cuda_templateIjEESt5tupleIJNS8_6TensorESD_SD_EERKSD_lbbbEUlllE1_EE10hipError_tPvRmT2_T3_mT4_P12ihipStream_tbEUlT_E_NS1_11comp_targetILNS1_3genE3ELNS1_11target_archE908ELNS1_3gpuE7ELNS1_3repE0EEENS1_30default_config_static_selectorELNS0_4arch9wavefront6targetE0EEEvT1_.private_seg_size, 0
	.set _ZN7rocprim17ROCPRIM_400000_NS6detail17trampoline_kernelINS0_14default_configENS1_35adjacent_difference_config_selectorILb1ElEEZNS1_24adjacent_difference_implIS3_Lb1ELb0EPlS7_ZN2at6native12_GLOBAL__N_124unique_dim_cuda_templateIjEESt5tupleIJNS8_6TensorESD_SD_EERKSD_lbbbEUlllE1_EE10hipError_tPvRmT2_T3_mT4_P12ihipStream_tbEUlT_E_NS1_11comp_targetILNS1_3genE3ELNS1_11target_archE908ELNS1_3gpuE7ELNS1_3repE0EEENS1_30default_config_static_selectorELNS0_4arch9wavefront6targetE0EEEvT1_.uses_vcc, 0
	.set _ZN7rocprim17ROCPRIM_400000_NS6detail17trampoline_kernelINS0_14default_configENS1_35adjacent_difference_config_selectorILb1ElEEZNS1_24adjacent_difference_implIS3_Lb1ELb0EPlS7_ZN2at6native12_GLOBAL__N_124unique_dim_cuda_templateIjEESt5tupleIJNS8_6TensorESD_SD_EERKSD_lbbbEUlllE1_EE10hipError_tPvRmT2_T3_mT4_P12ihipStream_tbEUlT_E_NS1_11comp_targetILNS1_3genE3ELNS1_11target_archE908ELNS1_3gpuE7ELNS1_3repE0EEENS1_30default_config_static_selectorELNS0_4arch9wavefront6targetE0EEEvT1_.uses_flat_scratch, 0
	.set _ZN7rocprim17ROCPRIM_400000_NS6detail17trampoline_kernelINS0_14default_configENS1_35adjacent_difference_config_selectorILb1ElEEZNS1_24adjacent_difference_implIS3_Lb1ELb0EPlS7_ZN2at6native12_GLOBAL__N_124unique_dim_cuda_templateIjEESt5tupleIJNS8_6TensorESD_SD_EERKSD_lbbbEUlllE1_EE10hipError_tPvRmT2_T3_mT4_P12ihipStream_tbEUlT_E_NS1_11comp_targetILNS1_3genE3ELNS1_11target_archE908ELNS1_3gpuE7ELNS1_3repE0EEENS1_30default_config_static_selectorELNS0_4arch9wavefront6targetE0EEEvT1_.has_dyn_sized_stack, 0
	.set _ZN7rocprim17ROCPRIM_400000_NS6detail17trampoline_kernelINS0_14default_configENS1_35adjacent_difference_config_selectorILb1ElEEZNS1_24adjacent_difference_implIS3_Lb1ELb0EPlS7_ZN2at6native12_GLOBAL__N_124unique_dim_cuda_templateIjEESt5tupleIJNS8_6TensorESD_SD_EERKSD_lbbbEUlllE1_EE10hipError_tPvRmT2_T3_mT4_P12ihipStream_tbEUlT_E_NS1_11comp_targetILNS1_3genE3ELNS1_11target_archE908ELNS1_3gpuE7ELNS1_3repE0EEENS1_30default_config_static_selectorELNS0_4arch9wavefront6targetE0EEEvT1_.has_recursion, 0
	.set _ZN7rocprim17ROCPRIM_400000_NS6detail17trampoline_kernelINS0_14default_configENS1_35adjacent_difference_config_selectorILb1ElEEZNS1_24adjacent_difference_implIS3_Lb1ELb0EPlS7_ZN2at6native12_GLOBAL__N_124unique_dim_cuda_templateIjEESt5tupleIJNS8_6TensorESD_SD_EERKSD_lbbbEUlllE1_EE10hipError_tPvRmT2_T3_mT4_P12ihipStream_tbEUlT_E_NS1_11comp_targetILNS1_3genE3ELNS1_11target_archE908ELNS1_3gpuE7ELNS1_3repE0EEENS1_30default_config_static_selectorELNS0_4arch9wavefront6targetE0EEEvT1_.has_indirect_call, 0
	.section	.AMDGPU.csdata,"",@progbits
; Kernel info:
; codeLenInByte = 0
; TotalNumSgprs: 0
; NumVgprs: 0
; ScratchSize: 0
; MemoryBound: 0
; FloatMode: 240
; IeeeMode: 1
; LDSByteSize: 0 bytes/workgroup (compile time only)
; SGPRBlocks: 0
; VGPRBlocks: 0
; NumSGPRsForWavesPerEU: 1
; NumVGPRsForWavesPerEU: 1
; NamedBarCnt: 0
; Occupancy: 16
; WaveLimiterHint : 0
; COMPUTE_PGM_RSRC2:SCRATCH_EN: 0
; COMPUTE_PGM_RSRC2:USER_SGPR: 2
; COMPUTE_PGM_RSRC2:TRAP_HANDLER: 0
; COMPUTE_PGM_RSRC2:TGID_X_EN: 1
; COMPUTE_PGM_RSRC2:TGID_Y_EN: 0
; COMPUTE_PGM_RSRC2:TGID_Z_EN: 0
; COMPUTE_PGM_RSRC2:TIDIG_COMP_CNT: 0
	.section	.text._ZN7rocprim17ROCPRIM_400000_NS6detail17trampoline_kernelINS0_14default_configENS1_35adjacent_difference_config_selectorILb1ElEEZNS1_24adjacent_difference_implIS3_Lb1ELb0EPlS7_ZN2at6native12_GLOBAL__N_124unique_dim_cuda_templateIjEESt5tupleIJNS8_6TensorESD_SD_EERKSD_lbbbEUlllE1_EE10hipError_tPvRmT2_T3_mT4_P12ihipStream_tbEUlT_E_NS1_11comp_targetILNS1_3genE2ELNS1_11target_archE906ELNS1_3gpuE6ELNS1_3repE0EEENS1_30default_config_static_selectorELNS0_4arch9wavefront6targetE0EEEvT1_,"axG",@progbits,_ZN7rocprim17ROCPRIM_400000_NS6detail17trampoline_kernelINS0_14default_configENS1_35adjacent_difference_config_selectorILb1ElEEZNS1_24adjacent_difference_implIS3_Lb1ELb0EPlS7_ZN2at6native12_GLOBAL__N_124unique_dim_cuda_templateIjEESt5tupleIJNS8_6TensorESD_SD_EERKSD_lbbbEUlllE1_EE10hipError_tPvRmT2_T3_mT4_P12ihipStream_tbEUlT_E_NS1_11comp_targetILNS1_3genE2ELNS1_11target_archE906ELNS1_3gpuE6ELNS1_3repE0EEENS1_30default_config_static_selectorELNS0_4arch9wavefront6targetE0EEEvT1_,comdat
	.globl	_ZN7rocprim17ROCPRIM_400000_NS6detail17trampoline_kernelINS0_14default_configENS1_35adjacent_difference_config_selectorILb1ElEEZNS1_24adjacent_difference_implIS3_Lb1ELb0EPlS7_ZN2at6native12_GLOBAL__N_124unique_dim_cuda_templateIjEESt5tupleIJNS8_6TensorESD_SD_EERKSD_lbbbEUlllE1_EE10hipError_tPvRmT2_T3_mT4_P12ihipStream_tbEUlT_E_NS1_11comp_targetILNS1_3genE2ELNS1_11target_archE906ELNS1_3gpuE6ELNS1_3repE0EEENS1_30default_config_static_selectorELNS0_4arch9wavefront6targetE0EEEvT1_ ; -- Begin function _ZN7rocprim17ROCPRIM_400000_NS6detail17trampoline_kernelINS0_14default_configENS1_35adjacent_difference_config_selectorILb1ElEEZNS1_24adjacent_difference_implIS3_Lb1ELb0EPlS7_ZN2at6native12_GLOBAL__N_124unique_dim_cuda_templateIjEESt5tupleIJNS8_6TensorESD_SD_EERKSD_lbbbEUlllE1_EE10hipError_tPvRmT2_T3_mT4_P12ihipStream_tbEUlT_E_NS1_11comp_targetILNS1_3genE2ELNS1_11target_archE906ELNS1_3gpuE6ELNS1_3repE0EEENS1_30default_config_static_selectorELNS0_4arch9wavefront6targetE0EEEvT1_
	.p2align	8
	.type	_ZN7rocprim17ROCPRIM_400000_NS6detail17trampoline_kernelINS0_14default_configENS1_35adjacent_difference_config_selectorILb1ElEEZNS1_24adjacent_difference_implIS3_Lb1ELb0EPlS7_ZN2at6native12_GLOBAL__N_124unique_dim_cuda_templateIjEESt5tupleIJNS8_6TensorESD_SD_EERKSD_lbbbEUlllE1_EE10hipError_tPvRmT2_T3_mT4_P12ihipStream_tbEUlT_E_NS1_11comp_targetILNS1_3genE2ELNS1_11target_archE906ELNS1_3gpuE6ELNS1_3repE0EEENS1_30default_config_static_selectorELNS0_4arch9wavefront6targetE0EEEvT1_,@function
_ZN7rocprim17ROCPRIM_400000_NS6detail17trampoline_kernelINS0_14default_configENS1_35adjacent_difference_config_selectorILb1ElEEZNS1_24adjacent_difference_implIS3_Lb1ELb0EPlS7_ZN2at6native12_GLOBAL__N_124unique_dim_cuda_templateIjEESt5tupleIJNS8_6TensorESD_SD_EERKSD_lbbbEUlllE1_EE10hipError_tPvRmT2_T3_mT4_P12ihipStream_tbEUlT_E_NS1_11comp_targetILNS1_3genE2ELNS1_11target_archE906ELNS1_3gpuE6ELNS1_3repE0EEENS1_30default_config_static_selectorELNS0_4arch9wavefront6targetE0EEEvT1_: ; @_ZN7rocprim17ROCPRIM_400000_NS6detail17trampoline_kernelINS0_14default_configENS1_35adjacent_difference_config_selectorILb1ElEEZNS1_24adjacent_difference_implIS3_Lb1ELb0EPlS7_ZN2at6native12_GLOBAL__N_124unique_dim_cuda_templateIjEESt5tupleIJNS8_6TensorESD_SD_EERKSD_lbbbEUlllE1_EE10hipError_tPvRmT2_T3_mT4_P12ihipStream_tbEUlT_E_NS1_11comp_targetILNS1_3genE2ELNS1_11target_archE906ELNS1_3gpuE6ELNS1_3repE0EEENS1_30default_config_static_selectorELNS0_4arch9wavefront6targetE0EEEvT1_
; %bb.0:
	.section	.rodata,"a",@progbits
	.p2align	6, 0x0
	.amdhsa_kernel _ZN7rocprim17ROCPRIM_400000_NS6detail17trampoline_kernelINS0_14default_configENS1_35adjacent_difference_config_selectorILb1ElEEZNS1_24adjacent_difference_implIS3_Lb1ELb0EPlS7_ZN2at6native12_GLOBAL__N_124unique_dim_cuda_templateIjEESt5tupleIJNS8_6TensorESD_SD_EERKSD_lbbbEUlllE1_EE10hipError_tPvRmT2_T3_mT4_P12ihipStream_tbEUlT_E_NS1_11comp_targetILNS1_3genE2ELNS1_11target_archE906ELNS1_3gpuE6ELNS1_3repE0EEENS1_30default_config_static_selectorELNS0_4arch9wavefront6targetE0EEEvT1_
		.amdhsa_group_segment_fixed_size 0
		.amdhsa_private_segment_fixed_size 0
		.amdhsa_kernarg_size 64
		.amdhsa_user_sgpr_count 2
		.amdhsa_user_sgpr_dispatch_ptr 0
		.amdhsa_user_sgpr_queue_ptr 0
		.amdhsa_user_sgpr_kernarg_segment_ptr 1
		.amdhsa_user_sgpr_dispatch_id 0
		.amdhsa_user_sgpr_kernarg_preload_length 0
		.amdhsa_user_sgpr_kernarg_preload_offset 0
		.amdhsa_user_sgpr_private_segment_size 0
		.amdhsa_wavefront_size32 1
		.amdhsa_uses_dynamic_stack 0
		.amdhsa_enable_private_segment 0
		.amdhsa_system_sgpr_workgroup_id_x 1
		.amdhsa_system_sgpr_workgroup_id_y 0
		.amdhsa_system_sgpr_workgroup_id_z 0
		.amdhsa_system_sgpr_workgroup_info 0
		.amdhsa_system_vgpr_workitem_id 0
		.amdhsa_next_free_vgpr 1
		.amdhsa_next_free_sgpr 1
		.amdhsa_named_barrier_count 0
		.amdhsa_reserve_vcc 0
		.amdhsa_float_round_mode_32 0
		.amdhsa_float_round_mode_16_64 0
		.amdhsa_float_denorm_mode_32 3
		.amdhsa_float_denorm_mode_16_64 3
		.amdhsa_fp16_overflow 0
		.amdhsa_memory_ordered 1
		.amdhsa_forward_progress 1
		.amdhsa_inst_pref_size 0
		.amdhsa_round_robin_scheduling 0
		.amdhsa_exception_fp_ieee_invalid_op 0
		.amdhsa_exception_fp_denorm_src 0
		.amdhsa_exception_fp_ieee_div_zero 0
		.amdhsa_exception_fp_ieee_overflow 0
		.amdhsa_exception_fp_ieee_underflow 0
		.amdhsa_exception_fp_ieee_inexact 0
		.amdhsa_exception_int_div_zero 0
	.end_amdhsa_kernel
	.section	.text._ZN7rocprim17ROCPRIM_400000_NS6detail17trampoline_kernelINS0_14default_configENS1_35adjacent_difference_config_selectorILb1ElEEZNS1_24adjacent_difference_implIS3_Lb1ELb0EPlS7_ZN2at6native12_GLOBAL__N_124unique_dim_cuda_templateIjEESt5tupleIJNS8_6TensorESD_SD_EERKSD_lbbbEUlllE1_EE10hipError_tPvRmT2_T3_mT4_P12ihipStream_tbEUlT_E_NS1_11comp_targetILNS1_3genE2ELNS1_11target_archE906ELNS1_3gpuE6ELNS1_3repE0EEENS1_30default_config_static_selectorELNS0_4arch9wavefront6targetE0EEEvT1_,"axG",@progbits,_ZN7rocprim17ROCPRIM_400000_NS6detail17trampoline_kernelINS0_14default_configENS1_35adjacent_difference_config_selectorILb1ElEEZNS1_24adjacent_difference_implIS3_Lb1ELb0EPlS7_ZN2at6native12_GLOBAL__N_124unique_dim_cuda_templateIjEESt5tupleIJNS8_6TensorESD_SD_EERKSD_lbbbEUlllE1_EE10hipError_tPvRmT2_T3_mT4_P12ihipStream_tbEUlT_E_NS1_11comp_targetILNS1_3genE2ELNS1_11target_archE906ELNS1_3gpuE6ELNS1_3repE0EEENS1_30default_config_static_selectorELNS0_4arch9wavefront6targetE0EEEvT1_,comdat
.Lfunc_end1538:
	.size	_ZN7rocprim17ROCPRIM_400000_NS6detail17trampoline_kernelINS0_14default_configENS1_35adjacent_difference_config_selectorILb1ElEEZNS1_24adjacent_difference_implIS3_Lb1ELb0EPlS7_ZN2at6native12_GLOBAL__N_124unique_dim_cuda_templateIjEESt5tupleIJNS8_6TensorESD_SD_EERKSD_lbbbEUlllE1_EE10hipError_tPvRmT2_T3_mT4_P12ihipStream_tbEUlT_E_NS1_11comp_targetILNS1_3genE2ELNS1_11target_archE906ELNS1_3gpuE6ELNS1_3repE0EEENS1_30default_config_static_selectorELNS0_4arch9wavefront6targetE0EEEvT1_, .Lfunc_end1538-_ZN7rocprim17ROCPRIM_400000_NS6detail17trampoline_kernelINS0_14default_configENS1_35adjacent_difference_config_selectorILb1ElEEZNS1_24adjacent_difference_implIS3_Lb1ELb0EPlS7_ZN2at6native12_GLOBAL__N_124unique_dim_cuda_templateIjEESt5tupleIJNS8_6TensorESD_SD_EERKSD_lbbbEUlllE1_EE10hipError_tPvRmT2_T3_mT4_P12ihipStream_tbEUlT_E_NS1_11comp_targetILNS1_3genE2ELNS1_11target_archE906ELNS1_3gpuE6ELNS1_3repE0EEENS1_30default_config_static_selectorELNS0_4arch9wavefront6targetE0EEEvT1_
                                        ; -- End function
	.set _ZN7rocprim17ROCPRIM_400000_NS6detail17trampoline_kernelINS0_14default_configENS1_35adjacent_difference_config_selectorILb1ElEEZNS1_24adjacent_difference_implIS3_Lb1ELb0EPlS7_ZN2at6native12_GLOBAL__N_124unique_dim_cuda_templateIjEESt5tupleIJNS8_6TensorESD_SD_EERKSD_lbbbEUlllE1_EE10hipError_tPvRmT2_T3_mT4_P12ihipStream_tbEUlT_E_NS1_11comp_targetILNS1_3genE2ELNS1_11target_archE906ELNS1_3gpuE6ELNS1_3repE0EEENS1_30default_config_static_selectorELNS0_4arch9wavefront6targetE0EEEvT1_.num_vgpr, 0
	.set _ZN7rocprim17ROCPRIM_400000_NS6detail17trampoline_kernelINS0_14default_configENS1_35adjacent_difference_config_selectorILb1ElEEZNS1_24adjacent_difference_implIS3_Lb1ELb0EPlS7_ZN2at6native12_GLOBAL__N_124unique_dim_cuda_templateIjEESt5tupleIJNS8_6TensorESD_SD_EERKSD_lbbbEUlllE1_EE10hipError_tPvRmT2_T3_mT4_P12ihipStream_tbEUlT_E_NS1_11comp_targetILNS1_3genE2ELNS1_11target_archE906ELNS1_3gpuE6ELNS1_3repE0EEENS1_30default_config_static_selectorELNS0_4arch9wavefront6targetE0EEEvT1_.num_agpr, 0
	.set _ZN7rocprim17ROCPRIM_400000_NS6detail17trampoline_kernelINS0_14default_configENS1_35adjacent_difference_config_selectorILb1ElEEZNS1_24adjacent_difference_implIS3_Lb1ELb0EPlS7_ZN2at6native12_GLOBAL__N_124unique_dim_cuda_templateIjEESt5tupleIJNS8_6TensorESD_SD_EERKSD_lbbbEUlllE1_EE10hipError_tPvRmT2_T3_mT4_P12ihipStream_tbEUlT_E_NS1_11comp_targetILNS1_3genE2ELNS1_11target_archE906ELNS1_3gpuE6ELNS1_3repE0EEENS1_30default_config_static_selectorELNS0_4arch9wavefront6targetE0EEEvT1_.numbered_sgpr, 0
	.set _ZN7rocprim17ROCPRIM_400000_NS6detail17trampoline_kernelINS0_14default_configENS1_35adjacent_difference_config_selectorILb1ElEEZNS1_24adjacent_difference_implIS3_Lb1ELb0EPlS7_ZN2at6native12_GLOBAL__N_124unique_dim_cuda_templateIjEESt5tupleIJNS8_6TensorESD_SD_EERKSD_lbbbEUlllE1_EE10hipError_tPvRmT2_T3_mT4_P12ihipStream_tbEUlT_E_NS1_11comp_targetILNS1_3genE2ELNS1_11target_archE906ELNS1_3gpuE6ELNS1_3repE0EEENS1_30default_config_static_selectorELNS0_4arch9wavefront6targetE0EEEvT1_.num_named_barrier, 0
	.set _ZN7rocprim17ROCPRIM_400000_NS6detail17trampoline_kernelINS0_14default_configENS1_35adjacent_difference_config_selectorILb1ElEEZNS1_24adjacent_difference_implIS3_Lb1ELb0EPlS7_ZN2at6native12_GLOBAL__N_124unique_dim_cuda_templateIjEESt5tupleIJNS8_6TensorESD_SD_EERKSD_lbbbEUlllE1_EE10hipError_tPvRmT2_T3_mT4_P12ihipStream_tbEUlT_E_NS1_11comp_targetILNS1_3genE2ELNS1_11target_archE906ELNS1_3gpuE6ELNS1_3repE0EEENS1_30default_config_static_selectorELNS0_4arch9wavefront6targetE0EEEvT1_.private_seg_size, 0
	.set _ZN7rocprim17ROCPRIM_400000_NS6detail17trampoline_kernelINS0_14default_configENS1_35adjacent_difference_config_selectorILb1ElEEZNS1_24adjacent_difference_implIS3_Lb1ELb0EPlS7_ZN2at6native12_GLOBAL__N_124unique_dim_cuda_templateIjEESt5tupleIJNS8_6TensorESD_SD_EERKSD_lbbbEUlllE1_EE10hipError_tPvRmT2_T3_mT4_P12ihipStream_tbEUlT_E_NS1_11comp_targetILNS1_3genE2ELNS1_11target_archE906ELNS1_3gpuE6ELNS1_3repE0EEENS1_30default_config_static_selectorELNS0_4arch9wavefront6targetE0EEEvT1_.uses_vcc, 0
	.set _ZN7rocprim17ROCPRIM_400000_NS6detail17trampoline_kernelINS0_14default_configENS1_35adjacent_difference_config_selectorILb1ElEEZNS1_24adjacent_difference_implIS3_Lb1ELb0EPlS7_ZN2at6native12_GLOBAL__N_124unique_dim_cuda_templateIjEESt5tupleIJNS8_6TensorESD_SD_EERKSD_lbbbEUlllE1_EE10hipError_tPvRmT2_T3_mT4_P12ihipStream_tbEUlT_E_NS1_11comp_targetILNS1_3genE2ELNS1_11target_archE906ELNS1_3gpuE6ELNS1_3repE0EEENS1_30default_config_static_selectorELNS0_4arch9wavefront6targetE0EEEvT1_.uses_flat_scratch, 0
	.set _ZN7rocprim17ROCPRIM_400000_NS6detail17trampoline_kernelINS0_14default_configENS1_35adjacent_difference_config_selectorILb1ElEEZNS1_24adjacent_difference_implIS3_Lb1ELb0EPlS7_ZN2at6native12_GLOBAL__N_124unique_dim_cuda_templateIjEESt5tupleIJNS8_6TensorESD_SD_EERKSD_lbbbEUlllE1_EE10hipError_tPvRmT2_T3_mT4_P12ihipStream_tbEUlT_E_NS1_11comp_targetILNS1_3genE2ELNS1_11target_archE906ELNS1_3gpuE6ELNS1_3repE0EEENS1_30default_config_static_selectorELNS0_4arch9wavefront6targetE0EEEvT1_.has_dyn_sized_stack, 0
	.set _ZN7rocprim17ROCPRIM_400000_NS6detail17trampoline_kernelINS0_14default_configENS1_35adjacent_difference_config_selectorILb1ElEEZNS1_24adjacent_difference_implIS3_Lb1ELb0EPlS7_ZN2at6native12_GLOBAL__N_124unique_dim_cuda_templateIjEESt5tupleIJNS8_6TensorESD_SD_EERKSD_lbbbEUlllE1_EE10hipError_tPvRmT2_T3_mT4_P12ihipStream_tbEUlT_E_NS1_11comp_targetILNS1_3genE2ELNS1_11target_archE906ELNS1_3gpuE6ELNS1_3repE0EEENS1_30default_config_static_selectorELNS0_4arch9wavefront6targetE0EEEvT1_.has_recursion, 0
	.set _ZN7rocprim17ROCPRIM_400000_NS6detail17trampoline_kernelINS0_14default_configENS1_35adjacent_difference_config_selectorILb1ElEEZNS1_24adjacent_difference_implIS3_Lb1ELb0EPlS7_ZN2at6native12_GLOBAL__N_124unique_dim_cuda_templateIjEESt5tupleIJNS8_6TensorESD_SD_EERKSD_lbbbEUlllE1_EE10hipError_tPvRmT2_T3_mT4_P12ihipStream_tbEUlT_E_NS1_11comp_targetILNS1_3genE2ELNS1_11target_archE906ELNS1_3gpuE6ELNS1_3repE0EEENS1_30default_config_static_selectorELNS0_4arch9wavefront6targetE0EEEvT1_.has_indirect_call, 0
	.section	.AMDGPU.csdata,"",@progbits
; Kernel info:
; codeLenInByte = 0
; TotalNumSgprs: 0
; NumVgprs: 0
; ScratchSize: 0
; MemoryBound: 0
; FloatMode: 240
; IeeeMode: 1
; LDSByteSize: 0 bytes/workgroup (compile time only)
; SGPRBlocks: 0
; VGPRBlocks: 0
; NumSGPRsForWavesPerEU: 1
; NumVGPRsForWavesPerEU: 1
; NamedBarCnt: 0
; Occupancy: 16
; WaveLimiterHint : 0
; COMPUTE_PGM_RSRC2:SCRATCH_EN: 0
; COMPUTE_PGM_RSRC2:USER_SGPR: 2
; COMPUTE_PGM_RSRC2:TRAP_HANDLER: 0
; COMPUTE_PGM_RSRC2:TGID_X_EN: 1
; COMPUTE_PGM_RSRC2:TGID_Y_EN: 0
; COMPUTE_PGM_RSRC2:TGID_Z_EN: 0
; COMPUTE_PGM_RSRC2:TIDIG_COMP_CNT: 0
	.section	.text._ZN7rocprim17ROCPRIM_400000_NS6detail17trampoline_kernelINS0_14default_configENS1_35adjacent_difference_config_selectorILb1ElEEZNS1_24adjacent_difference_implIS3_Lb1ELb0EPlS7_ZN2at6native12_GLOBAL__N_124unique_dim_cuda_templateIjEESt5tupleIJNS8_6TensorESD_SD_EERKSD_lbbbEUlllE1_EE10hipError_tPvRmT2_T3_mT4_P12ihipStream_tbEUlT_E_NS1_11comp_targetILNS1_3genE9ELNS1_11target_archE1100ELNS1_3gpuE3ELNS1_3repE0EEENS1_30default_config_static_selectorELNS0_4arch9wavefront6targetE0EEEvT1_,"axG",@progbits,_ZN7rocprim17ROCPRIM_400000_NS6detail17trampoline_kernelINS0_14default_configENS1_35adjacent_difference_config_selectorILb1ElEEZNS1_24adjacent_difference_implIS3_Lb1ELb0EPlS7_ZN2at6native12_GLOBAL__N_124unique_dim_cuda_templateIjEESt5tupleIJNS8_6TensorESD_SD_EERKSD_lbbbEUlllE1_EE10hipError_tPvRmT2_T3_mT4_P12ihipStream_tbEUlT_E_NS1_11comp_targetILNS1_3genE9ELNS1_11target_archE1100ELNS1_3gpuE3ELNS1_3repE0EEENS1_30default_config_static_selectorELNS0_4arch9wavefront6targetE0EEEvT1_,comdat
	.globl	_ZN7rocprim17ROCPRIM_400000_NS6detail17trampoline_kernelINS0_14default_configENS1_35adjacent_difference_config_selectorILb1ElEEZNS1_24adjacent_difference_implIS3_Lb1ELb0EPlS7_ZN2at6native12_GLOBAL__N_124unique_dim_cuda_templateIjEESt5tupleIJNS8_6TensorESD_SD_EERKSD_lbbbEUlllE1_EE10hipError_tPvRmT2_T3_mT4_P12ihipStream_tbEUlT_E_NS1_11comp_targetILNS1_3genE9ELNS1_11target_archE1100ELNS1_3gpuE3ELNS1_3repE0EEENS1_30default_config_static_selectorELNS0_4arch9wavefront6targetE0EEEvT1_ ; -- Begin function _ZN7rocprim17ROCPRIM_400000_NS6detail17trampoline_kernelINS0_14default_configENS1_35adjacent_difference_config_selectorILb1ElEEZNS1_24adjacent_difference_implIS3_Lb1ELb0EPlS7_ZN2at6native12_GLOBAL__N_124unique_dim_cuda_templateIjEESt5tupleIJNS8_6TensorESD_SD_EERKSD_lbbbEUlllE1_EE10hipError_tPvRmT2_T3_mT4_P12ihipStream_tbEUlT_E_NS1_11comp_targetILNS1_3genE9ELNS1_11target_archE1100ELNS1_3gpuE3ELNS1_3repE0EEENS1_30default_config_static_selectorELNS0_4arch9wavefront6targetE0EEEvT1_
	.p2align	8
	.type	_ZN7rocprim17ROCPRIM_400000_NS6detail17trampoline_kernelINS0_14default_configENS1_35adjacent_difference_config_selectorILb1ElEEZNS1_24adjacent_difference_implIS3_Lb1ELb0EPlS7_ZN2at6native12_GLOBAL__N_124unique_dim_cuda_templateIjEESt5tupleIJNS8_6TensorESD_SD_EERKSD_lbbbEUlllE1_EE10hipError_tPvRmT2_T3_mT4_P12ihipStream_tbEUlT_E_NS1_11comp_targetILNS1_3genE9ELNS1_11target_archE1100ELNS1_3gpuE3ELNS1_3repE0EEENS1_30default_config_static_selectorELNS0_4arch9wavefront6targetE0EEEvT1_,@function
_ZN7rocprim17ROCPRIM_400000_NS6detail17trampoline_kernelINS0_14default_configENS1_35adjacent_difference_config_selectorILb1ElEEZNS1_24adjacent_difference_implIS3_Lb1ELb0EPlS7_ZN2at6native12_GLOBAL__N_124unique_dim_cuda_templateIjEESt5tupleIJNS8_6TensorESD_SD_EERKSD_lbbbEUlllE1_EE10hipError_tPvRmT2_T3_mT4_P12ihipStream_tbEUlT_E_NS1_11comp_targetILNS1_3genE9ELNS1_11target_archE1100ELNS1_3gpuE3ELNS1_3repE0EEENS1_30default_config_static_selectorELNS0_4arch9wavefront6targetE0EEEvT1_: ; @_ZN7rocprim17ROCPRIM_400000_NS6detail17trampoline_kernelINS0_14default_configENS1_35adjacent_difference_config_selectorILb1ElEEZNS1_24adjacent_difference_implIS3_Lb1ELb0EPlS7_ZN2at6native12_GLOBAL__N_124unique_dim_cuda_templateIjEESt5tupleIJNS8_6TensorESD_SD_EERKSD_lbbbEUlllE1_EE10hipError_tPvRmT2_T3_mT4_P12ihipStream_tbEUlT_E_NS1_11comp_targetILNS1_3genE9ELNS1_11target_archE1100ELNS1_3gpuE3ELNS1_3repE0EEENS1_30default_config_static_selectorELNS0_4arch9wavefront6targetE0EEEvT1_
; %bb.0:
	.section	.rodata,"a",@progbits
	.p2align	6, 0x0
	.amdhsa_kernel _ZN7rocprim17ROCPRIM_400000_NS6detail17trampoline_kernelINS0_14default_configENS1_35adjacent_difference_config_selectorILb1ElEEZNS1_24adjacent_difference_implIS3_Lb1ELb0EPlS7_ZN2at6native12_GLOBAL__N_124unique_dim_cuda_templateIjEESt5tupleIJNS8_6TensorESD_SD_EERKSD_lbbbEUlllE1_EE10hipError_tPvRmT2_T3_mT4_P12ihipStream_tbEUlT_E_NS1_11comp_targetILNS1_3genE9ELNS1_11target_archE1100ELNS1_3gpuE3ELNS1_3repE0EEENS1_30default_config_static_selectorELNS0_4arch9wavefront6targetE0EEEvT1_
		.amdhsa_group_segment_fixed_size 0
		.amdhsa_private_segment_fixed_size 0
		.amdhsa_kernarg_size 64
		.amdhsa_user_sgpr_count 2
		.amdhsa_user_sgpr_dispatch_ptr 0
		.amdhsa_user_sgpr_queue_ptr 0
		.amdhsa_user_sgpr_kernarg_segment_ptr 1
		.amdhsa_user_sgpr_dispatch_id 0
		.amdhsa_user_sgpr_kernarg_preload_length 0
		.amdhsa_user_sgpr_kernarg_preload_offset 0
		.amdhsa_user_sgpr_private_segment_size 0
		.amdhsa_wavefront_size32 1
		.amdhsa_uses_dynamic_stack 0
		.amdhsa_enable_private_segment 0
		.amdhsa_system_sgpr_workgroup_id_x 1
		.amdhsa_system_sgpr_workgroup_id_y 0
		.amdhsa_system_sgpr_workgroup_id_z 0
		.amdhsa_system_sgpr_workgroup_info 0
		.amdhsa_system_vgpr_workitem_id 0
		.amdhsa_next_free_vgpr 1
		.amdhsa_next_free_sgpr 1
		.amdhsa_named_barrier_count 0
		.amdhsa_reserve_vcc 0
		.amdhsa_float_round_mode_32 0
		.amdhsa_float_round_mode_16_64 0
		.amdhsa_float_denorm_mode_32 3
		.amdhsa_float_denorm_mode_16_64 3
		.amdhsa_fp16_overflow 0
		.amdhsa_memory_ordered 1
		.amdhsa_forward_progress 1
		.amdhsa_inst_pref_size 0
		.amdhsa_round_robin_scheduling 0
		.amdhsa_exception_fp_ieee_invalid_op 0
		.amdhsa_exception_fp_denorm_src 0
		.amdhsa_exception_fp_ieee_div_zero 0
		.amdhsa_exception_fp_ieee_overflow 0
		.amdhsa_exception_fp_ieee_underflow 0
		.amdhsa_exception_fp_ieee_inexact 0
		.amdhsa_exception_int_div_zero 0
	.end_amdhsa_kernel
	.section	.text._ZN7rocprim17ROCPRIM_400000_NS6detail17trampoline_kernelINS0_14default_configENS1_35adjacent_difference_config_selectorILb1ElEEZNS1_24adjacent_difference_implIS3_Lb1ELb0EPlS7_ZN2at6native12_GLOBAL__N_124unique_dim_cuda_templateIjEESt5tupleIJNS8_6TensorESD_SD_EERKSD_lbbbEUlllE1_EE10hipError_tPvRmT2_T3_mT4_P12ihipStream_tbEUlT_E_NS1_11comp_targetILNS1_3genE9ELNS1_11target_archE1100ELNS1_3gpuE3ELNS1_3repE0EEENS1_30default_config_static_selectorELNS0_4arch9wavefront6targetE0EEEvT1_,"axG",@progbits,_ZN7rocprim17ROCPRIM_400000_NS6detail17trampoline_kernelINS0_14default_configENS1_35adjacent_difference_config_selectorILb1ElEEZNS1_24adjacent_difference_implIS3_Lb1ELb0EPlS7_ZN2at6native12_GLOBAL__N_124unique_dim_cuda_templateIjEESt5tupleIJNS8_6TensorESD_SD_EERKSD_lbbbEUlllE1_EE10hipError_tPvRmT2_T3_mT4_P12ihipStream_tbEUlT_E_NS1_11comp_targetILNS1_3genE9ELNS1_11target_archE1100ELNS1_3gpuE3ELNS1_3repE0EEENS1_30default_config_static_selectorELNS0_4arch9wavefront6targetE0EEEvT1_,comdat
.Lfunc_end1539:
	.size	_ZN7rocprim17ROCPRIM_400000_NS6detail17trampoline_kernelINS0_14default_configENS1_35adjacent_difference_config_selectorILb1ElEEZNS1_24adjacent_difference_implIS3_Lb1ELb0EPlS7_ZN2at6native12_GLOBAL__N_124unique_dim_cuda_templateIjEESt5tupleIJNS8_6TensorESD_SD_EERKSD_lbbbEUlllE1_EE10hipError_tPvRmT2_T3_mT4_P12ihipStream_tbEUlT_E_NS1_11comp_targetILNS1_3genE9ELNS1_11target_archE1100ELNS1_3gpuE3ELNS1_3repE0EEENS1_30default_config_static_selectorELNS0_4arch9wavefront6targetE0EEEvT1_, .Lfunc_end1539-_ZN7rocprim17ROCPRIM_400000_NS6detail17trampoline_kernelINS0_14default_configENS1_35adjacent_difference_config_selectorILb1ElEEZNS1_24adjacent_difference_implIS3_Lb1ELb0EPlS7_ZN2at6native12_GLOBAL__N_124unique_dim_cuda_templateIjEESt5tupleIJNS8_6TensorESD_SD_EERKSD_lbbbEUlllE1_EE10hipError_tPvRmT2_T3_mT4_P12ihipStream_tbEUlT_E_NS1_11comp_targetILNS1_3genE9ELNS1_11target_archE1100ELNS1_3gpuE3ELNS1_3repE0EEENS1_30default_config_static_selectorELNS0_4arch9wavefront6targetE0EEEvT1_
                                        ; -- End function
	.set _ZN7rocprim17ROCPRIM_400000_NS6detail17trampoline_kernelINS0_14default_configENS1_35adjacent_difference_config_selectorILb1ElEEZNS1_24adjacent_difference_implIS3_Lb1ELb0EPlS7_ZN2at6native12_GLOBAL__N_124unique_dim_cuda_templateIjEESt5tupleIJNS8_6TensorESD_SD_EERKSD_lbbbEUlllE1_EE10hipError_tPvRmT2_T3_mT4_P12ihipStream_tbEUlT_E_NS1_11comp_targetILNS1_3genE9ELNS1_11target_archE1100ELNS1_3gpuE3ELNS1_3repE0EEENS1_30default_config_static_selectorELNS0_4arch9wavefront6targetE0EEEvT1_.num_vgpr, 0
	.set _ZN7rocprim17ROCPRIM_400000_NS6detail17trampoline_kernelINS0_14default_configENS1_35adjacent_difference_config_selectorILb1ElEEZNS1_24adjacent_difference_implIS3_Lb1ELb0EPlS7_ZN2at6native12_GLOBAL__N_124unique_dim_cuda_templateIjEESt5tupleIJNS8_6TensorESD_SD_EERKSD_lbbbEUlllE1_EE10hipError_tPvRmT2_T3_mT4_P12ihipStream_tbEUlT_E_NS1_11comp_targetILNS1_3genE9ELNS1_11target_archE1100ELNS1_3gpuE3ELNS1_3repE0EEENS1_30default_config_static_selectorELNS0_4arch9wavefront6targetE0EEEvT1_.num_agpr, 0
	.set _ZN7rocprim17ROCPRIM_400000_NS6detail17trampoline_kernelINS0_14default_configENS1_35adjacent_difference_config_selectorILb1ElEEZNS1_24adjacent_difference_implIS3_Lb1ELb0EPlS7_ZN2at6native12_GLOBAL__N_124unique_dim_cuda_templateIjEESt5tupleIJNS8_6TensorESD_SD_EERKSD_lbbbEUlllE1_EE10hipError_tPvRmT2_T3_mT4_P12ihipStream_tbEUlT_E_NS1_11comp_targetILNS1_3genE9ELNS1_11target_archE1100ELNS1_3gpuE3ELNS1_3repE0EEENS1_30default_config_static_selectorELNS0_4arch9wavefront6targetE0EEEvT1_.numbered_sgpr, 0
	.set _ZN7rocprim17ROCPRIM_400000_NS6detail17trampoline_kernelINS0_14default_configENS1_35adjacent_difference_config_selectorILb1ElEEZNS1_24adjacent_difference_implIS3_Lb1ELb0EPlS7_ZN2at6native12_GLOBAL__N_124unique_dim_cuda_templateIjEESt5tupleIJNS8_6TensorESD_SD_EERKSD_lbbbEUlllE1_EE10hipError_tPvRmT2_T3_mT4_P12ihipStream_tbEUlT_E_NS1_11comp_targetILNS1_3genE9ELNS1_11target_archE1100ELNS1_3gpuE3ELNS1_3repE0EEENS1_30default_config_static_selectorELNS0_4arch9wavefront6targetE0EEEvT1_.num_named_barrier, 0
	.set _ZN7rocprim17ROCPRIM_400000_NS6detail17trampoline_kernelINS0_14default_configENS1_35adjacent_difference_config_selectorILb1ElEEZNS1_24adjacent_difference_implIS3_Lb1ELb0EPlS7_ZN2at6native12_GLOBAL__N_124unique_dim_cuda_templateIjEESt5tupleIJNS8_6TensorESD_SD_EERKSD_lbbbEUlllE1_EE10hipError_tPvRmT2_T3_mT4_P12ihipStream_tbEUlT_E_NS1_11comp_targetILNS1_3genE9ELNS1_11target_archE1100ELNS1_3gpuE3ELNS1_3repE0EEENS1_30default_config_static_selectorELNS0_4arch9wavefront6targetE0EEEvT1_.private_seg_size, 0
	.set _ZN7rocprim17ROCPRIM_400000_NS6detail17trampoline_kernelINS0_14default_configENS1_35adjacent_difference_config_selectorILb1ElEEZNS1_24adjacent_difference_implIS3_Lb1ELb0EPlS7_ZN2at6native12_GLOBAL__N_124unique_dim_cuda_templateIjEESt5tupleIJNS8_6TensorESD_SD_EERKSD_lbbbEUlllE1_EE10hipError_tPvRmT2_T3_mT4_P12ihipStream_tbEUlT_E_NS1_11comp_targetILNS1_3genE9ELNS1_11target_archE1100ELNS1_3gpuE3ELNS1_3repE0EEENS1_30default_config_static_selectorELNS0_4arch9wavefront6targetE0EEEvT1_.uses_vcc, 0
	.set _ZN7rocprim17ROCPRIM_400000_NS6detail17trampoline_kernelINS0_14default_configENS1_35adjacent_difference_config_selectorILb1ElEEZNS1_24adjacent_difference_implIS3_Lb1ELb0EPlS7_ZN2at6native12_GLOBAL__N_124unique_dim_cuda_templateIjEESt5tupleIJNS8_6TensorESD_SD_EERKSD_lbbbEUlllE1_EE10hipError_tPvRmT2_T3_mT4_P12ihipStream_tbEUlT_E_NS1_11comp_targetILNS1_3genE9ELNS1_11target_archE1100ELNS1_3gpuE3ELNS1_3repE0EEENS1_30default_config_static_selectorELNS0_4arch9wavefront6targetE0EEEvT1_.uses_flat_scratch, 0
	.set _ZN7rocprim17ROCPRIM_400000_NS6detail17trampoline_kernelINS0_14default_configENS1_35adjacent_difference_config_selectorILb1ElEEZNS1_24adjacent_difference_implIS3_Lb1ELb0EPlS7_ZN2at6native12_GLOBAL__N_124unique_dim_cuda_templateIjEESt5tupleIJNS8_6TensorESD_SD_EERKSD_lbbbEUlllE1_EE10hipError_tPvRmT2_T3_mT4_P12ihipStream_tbEUlT_E_NS1_11comp_targetILNS1_3genE9ELNS1_11target_archE1100ELNS1_3gpuE3ELNS1_3repE0EEENS1_30default_config_static_selectorELNS0_4arch9wavefront6targetE0EEEvT1_.has_dyn_sized_stack, 0
	.set _ZN7rocprim17ROCPRIM_400000_NS6detail17trampoline_kernelINS0_14default_configENS1_35adjacent_difference_config_selectorILb1ElEEZNS1_24adjacent_difference_implIS3_Lb1ELb0EPlS7_ZN2at6native12_GLOBAL__N_124unique_dim_cuda_templateIjEESt5tupleIJNS8_6TensorESD_SD_EERKSD_lbbbEUlllE1_EE10hipError_tPvRmT2_T3_mT4_P12ihipStream_tbEUlT_E_NS1_11comp_targetILNS1_3genE9ELNS1_11target_archE1100ELNS1_3gpuE3ELNS1_3repE0EEENS1_30default_config_static_selectorELNS0_4arch9wavefront6targetE0EEEvT1_.has_recursion, 0
	.set _ZN7rocprim17ROCPRIM_400000_NS6detail17trampoline_kernelINS0_14default_configENS1_35adjacent_difference_config_selectorILb1ElEEZNS1_24adjacent_difference_implIS3_Lb1ELb0EPlS7_ZN2at6native12_GLOBAL__N_124unique_dim_cuda_templateIjEESt5tupleIJNS8_6TensorESD_SD_EERKSD_lbbbEUlllE1_EE10hipError_tPvRmT2_T3_mT4_P12ihipStream_tbEUlT_E_NS1_11comp_targetILNS1_3genE9ELNS1_11target_archE1100ELNS1_3gpuE3ELNS1_3repE0EEENS1_30default_config_static_selectorELNS0_4arch9wavefront6targetE0EEEvT1_.has_indirect_call, 0
	.section	.AMDGPU.csdata,"",@progbits
; Kernel info:
; codeLenInByte = 0
; TotalNumSgprs: 0
; NumVgprs: 0
; ScratchSize: 0
; MemoryBound: 0
; FloatMode: 240
; IeeeMode: 1
; LDSByteSize: 0 bytes/workgroup (compile time only)
; SGPRBlocks: 0
; VGPRBlocks: 0
; NumSGPRsForWavesPerEU: 1
; NumVGPRsForWavesPerEU: 1
; NamedBarCnt: 0
; Occupancy: 16
; WaveLimiterHint : 0
; COMPUTE_PGM_RSRC2:SCRATCH_EN: 0
; COMPUTE_PGM_RSRC2:USER_SGPR: 2
; COMPUTE_PGM_RSRC2:TRAP_HANDLER: 0
; COMPUTE_PGM_RSRC2:TGID_X_EN: 1
; COMPUTE_PGM_RSRC2:TGID_Y_EN: 0
; COMPUTE_PGM_RSRC2:TGID_Z_EN: 0
; COMPUTE_PGM_RSRC2:TIDIG_COMP_CNT: 0
	.section	.text._ZN7rocprim17ROCPRIM_400000_NS6detail17trampoline_kernelINS0_14default_configENS1_35adjacent_difference_config_selectorILb1ElEEZNS1_24adjacent_difference_implIS3_Lb1ELb0EPlS7_ZN2at6native12_GLOBAL__N_124unique_dim_cuda_templateIjEESt5tupleIJNS8_6TensorESD_SD_EERKSD_lbbbEUlllE1_EE10hipError_tPvRmT2_T3_mT4_P12ihipStream_tbEUlT_E_NS1_11comp_targetILNS1_3genE8ELNS1_11target_archE1030ELNS1_3gpuE2ELNS1_3repE0EEENS1_30default_config_static_selectorELNS0_4arch9wavefront6targetE0EEEvT1_,"axG",@progbits,_ZN7rocprim17ROCPRIM_400000_NS6detail17trampoline_kernelINS0_14default_configENS1_35adjacent_difference_config_selectorILb1ElEEZNS1_24adjacent_difference_implIS3_Lb1ELb0EPlS7_ZN2at6native12_GLOBAL__N_124unique_dim_cuda_templateIjEESt5tupleIJNS8_6TensorESD_SD_EERKSD_lbbbEUlllE1_EE10hipError_tPvRmT2_T3_mT4_P12ihipStream_tbEUlT_E_NS1_11comp_targetILNS1_3genE8ELNS1_11target_archE1030ELNS1_3gpuE2ELNS1_3repE0EEENS1_30default_config_static_selectorELNS0_4arch9wavefront6targetE0EEEvT1_,comdat
	.globl	_ZN7rocprim17ROCPRIM_400000_NS6detail17trampoline_kernelINS0_14default_configENS1_35adjacent_difference_config_selectorILb1ElEEZNS1_24adjacent_difference_implIS3_Lb1ELb0EPlS7_ZN2at6native12_GLOBAL__N_124unique_dim_cuda_templateIjEESt5tupleIJNS8_6TensorESD_SD_EERKSD_lbbbEUlllE1_EE10hipError_tPvRmT2_T3_mT4_P12ihipStream_tbEUlT_E_NS1_11comp_targetILNS1_3genE8ELNS1_11target_archE1030ELNS1_3gpuE2ELNS1_3repE0EEENS1_30default_config_static_selectorELNS0_4arch9wavefront6targetE0EEEvT1_ ; -- Begin function _ZN7rocprim17ROCPRIM_400000_NS6detail17trampoline_kernelINS0_14default_configENS1_35adjacent_difference_config_selectorILb1ElEEZNS1_24adjacent_difference_implIS3_Lb1ELb0EPlS7_ZN2at6native12_GLOBAL__N_124unique_dim_cuda_templateIjEESt5tupleIJNS8_6TensorESD_SD_EERKSD_lbbbEUlllE1_EE10hipError_tPvRmT2_T3_mT4_P12ihipStream_tbEUlT_E_NS1_11comp_targetILNS1_3genE8ELNS1_11target_archE1030ELNS1_3gpuE2ELNS1_3repE0EEENS1_30default_config_static_selectorELNS0_4arch9wavefront6targetE0EEEvT1_
	.p2align	8
	.type	_ZN7rocprim17ROCPRIM_400000_NS6detail17trampoline_kernelINS0_14default_configENS1_35adjacent_difference_config_selectorILb1ElEEZNS1_24adjacent_difference_implIS3_Lb1ELb0EPlS7_ZN2at6native12_GLOBAL__N_124unique_dim_cuda_templateIjEESt5tupleIJNS8_6TensorESD_SD_EERKSD_lbbbEUlllE1_EE10hipError_tPvRmT2_T3_mT4_P12ihipStream_tbEUlT_E_NS1_11comp_targetILNS1_3genE8ELNS1_11target_archE1030ELNS1_3gpuE2ELNS1_3repE0EEENS1_30default_config_static_selectorELNS0_4arch9wavefront6targetE0EEEvT1_,@function
_ZN7rocprim17ROCPRIM_400000_NS6detail17trampoline_kernelINS0_14default_configENS1_35adjacent_difference_config_selectorILb1ElEEZNS1_24adjacent_difference_implIS3_Lb1ELb0EPlS7_ZN2at6native12_GLOBAL__N_124unique_dim_cuda_templateIjEESt5tupleIJNS8_6TensorESD_SD_EERKSD_lbbbEUlllE1_EE10hipError_tPvRmT2_T3_mT4_P12ihipStream_tbEUlT_E_NS1_11comp_targetILNS1_3genE8ELNS1_11target_archE1030ELNS1_3gpuE2ELNS1_3repE0EEENS1_30default_config_static_selectorELNS0_4arch9wavefront6targetE0EEEvT1_: ; @_ZN7rocprim17ROCPRIM_400000_NS6detail17trampoline_kernelINS0_14default_configENS1_35adjacent_difference_config_selectorILb1ElEEZNS1_24adjacent_difference_implIS3_Lb1ELb0EPlS7_ZN2at6native12_GLOBAL__N_124unique_dim_cuda_templateIjEESt5tupleIJNS8_6TensorESD_SD_EERKSD_lbbbEUlllE1_EE10hipError_tPvRmT2_T3_mT4_P12ihipStream_tbEUlT_E_NS1_11comp_targetILNS1_3genE8ELNS1_11target_archE1030ELNS1_3gpuE2ELNS1_3repE0EEENS1_30default_config_static_selectorELNS0_4arch9wavefront6targetE0EEEvT1_
; %bb.0:
	.section	.rodata,"a",@progbits
	.p2align	6, 0x0
	.amdhsa_kernel _ZN7rocprim17ROCPRIM_400000_NS6detail17trampoline_kernelINS0_14default_configENS1_35adjacent_difference_config_selectorILb1ElEEZNS1_24adjacent_difference_implIS3_Lb1ELb0EPlS7_ZN2at6native12_GLOBAL__N_124unique_dim_cuda_templateIjEESt5tupleIJNS8_6TensorESD_SD_EERKSD_lbbbEUlllE1_EE10hipError_tPvRmT2_T3_mT4_P12ihipStream_tbEUlT_E_NS1_11comp_targetILNS1_3genE8ELNS1_11target_archE1030ELNS1_3gpuE2ELNS1_3repE0EEENS1_30default_config_static_selectorELNS0_4arch9wavefront6targetE0EEEvT1_
		.amdhsa_group_segment_fixed_size 0
		.amdhsa_private_segment_fixed_size 0
		.amdhsa_kernarg_size 64
		.amdhsa_user_sgpr_count 2
		.amdhsa_user_sgpr_dispatch_ptr 0
		.amdhsa_user_sgpr_queue_ptr 0
		.amdhsa_user_sgpr_kernarg_segment_ptr 1
		.amdhsa_user_sgpr_dispatch_id 0
		.amdhsa_user_sgpr_kernarg_preload_length 0
		.amdhsa_user_sgpr_kernarg_preload_offset 0
		.amdhsa_user_sgpr_private_segment_size 0
		.amdhsa_wavefront_size32 1
		.amdhsa_uses_dynamic_stack 0
		.amdhsa_enable_private_segment 0
		.amdhsa_system_sgpr_workgroup_id_x 1
		.amdhsa_system_sgpr_workgroup_id_y 0
		.amdhsa_system_sgpr_workgroup_id_z 0
		.amdhsa_system_sgpr_workgroup_info 0
		.amdhsa_system_vgpr_workitem_id 0
		.amdhsa_next_free_vgpr 1
		.amdhsa_next_free_sgpr 1
		.amdhsa_named_barrier_count 0
		.amdhsa_reserve_vcc 0
		.amdhsa_float_round_mode_32 0
		.amdhsa_float_round_mode_16_64 0
		.amdhsa_float_denorm_mode_32 3
		.amdhsa_float_denorm_mode_16_64 3
		.amdhsa_fp16_overflow 0
		.amdhsa_memory_ordered 1
		.amdhsa_forward_progress 1
		.amdhsa_inst_pref_size 0
		.amdhsa_round_robin_scheduling 0
		.amdhsa_exception_fp_ieee_invalid_op 0
		.amdhsa_exception_fp_denorm_src 0
		.amdhsa_exception_fp_ieee_div_zero 0
		.amdhsa_exception_fp_ieee_overflow 0
		.amdhsa_exception_fp_ieee_underflow 0
		.amdhsa_exception_fp_ieee_inexact 0
		.amdhsa_exception_int_div_zero 0
	.end_amdhsa_kernel
	.section	.text._ZN7rocprim17ROCPRIM_400000_NS6detail17trampoline_kernelINS0_14default_configENS1_35adjacent_difference_config_selectorILb1ElEEZNS1_24adjacent_difference_implIS3_Lb1ELb0EPlS7_ZN2at6native12_GLOBAL__N_124unique_dim_cuda_templateIjEESt5tupleIJNS8_6TensorESD_SD_EERKSD_lbbbEUlllE1_EE10hipError_tPvRmT2_T3_mT4_P12ihipStream_tbEUlT_E_NS1_11comp_targetILNS1_3genE8ELNS1_11target_archE1030ELNS1_3gpuE2ELNS1_3repE0EEENS1_30default_config_static_selectorELNS0_4arch9wavefront6targetE0EEEvT1_,"axG",@progbits,_ZN7rocprim17ROCPRIM_400000_NS6detail17trampoline_kernelINS0_14default_configENS1_35adjacent_difference_config_selectorILb1ElEEZNS1_24adjacent_difference_implIS3_Lb1ELb0EPlS7_ZN2at6native12_GLOBAL__N_124unique_dim_cuda_templateIjEESt5tupleIJNS8_6TensorESD_SD_EERKSD_lbbbEUlllE1_EE10hipError_tPvRmT2_T3_mT4_P12ihipStream_tbEUlT_E_NS1_11comp_targetILNS1_3genE8ELNS1_11target_archE1030ELNS1_3gpuE2ELNS1_3repE0EEENS1_30default_config_static_selectorELNS0_4arch9wavefront6targetE0EEEvT1_,comdat
.Lfunc_end1540:
	.size	_ZN7rocprim17ROCPRIM_400000_NS6detail17trampoline_kernelINS0_14default_configENS1_35adjacent_difference_config_selectorILb1ElEEZNS1_24adjacent_difference_implIS3_Lb1ELb0EPlS7_ZN2at6native12_GLOBAL__N_124unique_dim_cuda_templateIjEESt5tupleIJNS8_6TensorESD_SD_EERKSD_lbbbEUlllE1_EE10hipError_tPvRmT2_T3_mT4_P12ihipStream_tbEUlT_E_NS1_11comp_targetILNS1_3genE8ELNS1_11target_archE1030ELNS1_3gpuE2ELNS1_3repE0EEENS1_30default_config_static_selectorELNS0_4arch9wavefront6targetE0EEEvT1_, .Lfunc_end1540-_ZN7rocprim17ROCPRIM_400000_NS6detail17trampoline_kernelINS0_14default_configENS1_35adjacent_difference_config_selectorILb1ElEEZNS1_24adjacent_difference_implIS3_Lb1ELb0EPlS7_ZN2at6native12_GLOBAL__N_124unique_dim_cuda_templateIjEESt5tupleIJNS8_6TensorESD_SD_EERKSD_lbbbEUlllE1_EE10hipError_tPvRmT2_T3_mT4_P12ihipStream_tbEUlT_E_NS1_11comp_targetILNS1_3genE8ELNS1_11target_archE1030ELNS1_3gpuE2ELNS1_3repE0EEENS1_30default_config_static_selectorELNS0_4arch9wavefront6targetE0EEEvT1_
                                        ; -- End function
	.set _ZN7rocprim17ROCPRIM_400000_NS6detail17trampoline_kernelINS0_14default_configENS1_35adjacent_difference_config_selectorILb1ElEEZNS1_24adjacent_difference_implIS3_Lb1ELb0EPlS7_ZN2at6native12_GLOBAL__N_124unique_dim_cuda_templateIjEESt5tupleIJNS8_6TensorESD_SD_EERKSD_lbbbEUlllE1_EE10hipError_tPvRmT2_T3_mT4_P12ihipStream_tbEUlT_E_NS1_11comp_targetILNS1_3genE8ELNS1_11target_archE1030ELNS1_3gpuE2ELNS1_3repE0EEENS1_30default_config_static_selectorELNS0_4arch9wavefront6targetE0EEEvT1_.num_vgpr, 0
	.set _ZN7rocprim17ROCPRIM_400000_NS6detail17trampoline_kernelINS0_14default_configENS1_35adjacent_difference_config_selectorILb1ElEEZNS1_24adjacent_difference_implIS3_Lb1ELb0EPlS7_ZN2at6native12_GLOBAL__N_124unique_dim_cuda_templateIjEESt5tupleIJNS8_6TensorESD_SD_EERKSD_lbbbEUlllE1_EE10hipError_tPvRmT2_T3_mT4_P12ihipStream_tbEUlT_E_NS1_11comp_targetILNS1_3genE8ELNS1_11target_archE1030ELNS1_3gpuE2ELNS1_3repE0EEENS1_30default_config_static_selectorELNS0_4arch9wavefront6targetE0EEEvT1_.num_agpr, 0
	.set _ZN7rocprim17ROCPRIM_400000_NS6detail17trampoline_kernelINS0_14default_configENS1_35adjacent_difference_config_selectorILb1ElEEZNS1_24adjacent_difference_implIS3_Lb1ELb0EPlS7_ZN2at6native12_GLOBAL__N_124unique_dim_cuda_templateIjEESt5tupleIJNS8_6TensorESD_SD_EERKSD_lbbbEUlllE1_EE10hipError_tPvRmT2_T3_mT4_P12ihipStream_tbEUlT_E_NS1_11comp_targetILNS1_3genE8ELNS1_11target_archE1030ELNS1_3gpuE2ELNS1_3repE0EEENS1_30default_config_static_selectorELNS0_4arch9wavefront6targetE0EEEvT1_.numbered_sgpr, 0
	.set _ZN7rocprim17ROCPRIM_400000_NS6detail17trampoline_kernelINS0_14default_configENS1_35adjacent_difference_config_selectorILb1ElEEZNS1_24adjacent_difference_implIS3_Lb1ELb0EPlS7_ZN2at6native12_GLOBAL__N_124unique_dim_cuda_templateIjEESt5tupleIJNS8_6TensorESD_SD_EERKSD_lbbbEUlllE1_EE10hipError_tPvRmT2_T3_mT4_P12ihipStream_tbEUlT_E_NS1_11comp_targetILNS1_3genE8ELNS1_11target_archE1030ELNS1_3gpuE2ELNS1_3repE0EEENS1_30default_config_static_selectorELNS0_4arch9wavefront6targetE0EEEvT1_.num_named_barrier, 0
	.set _ZN7rocprim17ROCPRIM_400000_NS6detail17trampoline_kernelINS0_14default_configENS1_35adjacent_difference_config_selectorILb1ElEEZNS1_24adjacent_difference_implIS3_Lb1ELb0EPlS7_ZN2at6native12_GLOBAL__N_124unique_dim_cuda_templateIjEESt5tupleIJNS8_6TensorESD_SD_EERKSD_lbbbEUlllE1_EE10hipError_tPvRmT2_T3_mT4_P12ihipStream_tbEUlT_E_NS1_11comp_targetILNS1_3genE8ELNS1_11target_archE1030ELNS1_3gpuE2ELNS1_3repE0EEENS1_30default_config_static_selectorELNS0_4arch9wavefront6targetE0EEEvT1_.private_seg_size, 0
	.set _ZN7rocprim17ROCPRIM_400000_NS6detail17trampoline_kernelINS0_14default_configENS1_35adjacent_difference_config_selectorILb1ElEEZNS1_24adjacent_difference_implIS3_Lb1ELb0EPlS7_ZN2at6native12_GLOBAL__N_124unique_dim_cuda_templateIjEESt5tupleIJNS8_6TensorESD_SD_EERKSD_lbbbEUlllE1_EE10hipError_tPvRmT2_T3_mT4_P12ihipStream_tbEUlT_E_NS1_11comp_targetILNS1_3genE8ELNS1_11target_archE1030ELNS1_3gpuE2ELNS1_3repE0EEENS1_30default_config_static_selectorELNS0_4arch9wavefront6targetE0EEEvT1_.uses_vcc, 0
	.set _ZN7rocprim17ROCPRIM_400000_NS6detail17trampoline_kernelINS0_14default_configENS1_35adjacent_difference_config_selectorILb1ElEEZNS1_24adjacent_difference_implIS3_Lb1ELb0EPlS7_ZN2at6native12_GLOBAL__N_124unique_dim_cuda_templateIjEESt5tupleIJNS8_6TensorESD_SD_EERKSD_lbbbEUlllE1_EE10hipError_tPvRmT2_T3_mT4_P12ihipStream_tbEUlT_E_NS1_11comp_targetILNS1_3genE8ELNS1_11target_archE1030ELNS1_3gpuE2ELNS1_3repE0EEENS1_30default_config_static_selectorELNS0_4arch9wavefront6targetE0EEEvT1_.uses_flat_scratch, 0
	.set _ZN7rocprim17ROCPRIM_400000_NS6detail17trampoline_kernelINS0_14default_configENS1_35adjacent_difference_config_selectorILb1ElEEZNS1_24adjacent_difference_implIS3_Lb1ELb0EPlS7_ZN2at6native12_GLOBAL__N_124unique_dim_cuda_templateIjEESt5tupleIJNS8_6TensorESD_SD_EERKSD_lbbbEUlllE1_EE10hipError_tPvRmT2_T3_mT4_P12ihipStream_tbEUlT_E_NS1_11comp_targetILNS1_3genE8ELNS1_11target_archE1030ELNS1_3gpuE2ELNS1_3repE0EEENS1_30default_config_static_selectorELNS0_4arch9wavefront6targetE0EEEvT1_.has_dyn_sized_stack, 0
	.set _ZN7rocprim17ROCPRIM_400000_NS6detail17trampoline_kernelINS0_14default_configENS1_35adjacent_difference_config_selectorILb1ElEEZNS1_24adjacent_difference_implIS3_Lb1ELb0EPlS7_ZN2at6native12_GLOBAL__N_124unique_dim_cuda_templateIjEESt5tupleIJNS8_6TensorESD_SD_EERKSD_lbbbEUlllE1_EE10hipError_tPvRmT2_T3_mT4_P12ihipStream_tbEUlT_E_NS1_11comp_targetILNS1_3genE8ELNS1_11target_archE1030ELNS1_3gpuE2ELNS1_3repE0EEENS1_30default_config_static_selectorELNS0_4arch9wavefront6targetE0EEEvT1_.has_recursion, 0
	.set _ZN7rocprim17ROCPRIM_400000_NS6detail17trampoline_kernelINS0_14default_configENS1_35adjacent_difference_config_selectorILb1ElEEZNS1_24adjacent_difference_implIS3_Lb1ELb0EPlS7_ZN2at6native12_GLOBAL__N_124unique_dim_cuda_templateIjEESt5tupleIJNS8_6TensorESD_SD_EERKSD_lbbbEUlllE1_EE10hipError_tPvRmT2_T3_mT4_P12ihipStream_tbEUlT_E_NS1_11comp_targetILNS1_3genE8ELNS1_11target_archE1030ELNS1_3gpuE2ELNS1_3repE0EEENS1_30default_config_static_selectorELNS0_4arch9wavefront6targetE0EEEvT1_.has_indirect_call, 0
	.section	.AMDGPU.csdata,"",@progbits
; Kernel info:
; codeLenInByte = 0
; TotalNumSgprs: 0
; NumVgprs: 0
; ScratchSize: 0
; MemoryBound: 0
; FloatMode: 240
; IeeeMode: 1
; LDSByteSize: 0 bytes/workgroup (compile time only)
; SGPRBlocks: 0
; VGPRBlocks: 0
; NumSGPRsForWavesPerEU: 1
; NumVGPRsForWavesPerEU: 1
; NamedBarCnt: 0
; Occupancy: 16
; WaveLimiterHint : 0
; COMPUTE_PGM_RSRC2:SCRATCH_EN: 0
; COMPUTE_PGM_RSRC2:USER_SGPR: 2
; COMPUTE_PGM_RSRC2:TRAP_HANDLER: 0
; COMPUTE_PGM_RSRC2:TGID_X_EN: 1
; COMPUTE_PGM_RSRC2:TGID_Y_EN: 0
; COMPUTE_PGM_RSRC2:TGID_Z_EN: 0
; COMPUTE_PGM_RSRC2:TIDIG_COMP_CNT: 0
	.section	.text._ZN7rocprim17ROCPRIM_400000_NS6detail17trampoline_kernelINS0_14default_configENS1_25partition_config_selectorILNS1_17partition_subalgoE8ElNS0_10empty_typeEbEEZZNS1_14partition_implILS5_8ELb0ES3_jPlPS6_PKS6_NS0_5tupleIJS9_S6_EEENSD_IJSA_SA_EEENS0_18inequality_wrapperIZN2at6native12_GLOBAL__N_124unique_dim_cuda_templateIjEESt5tupleIJNSH_6TensorESM_SM_EERKSM_lbbbEUlllE0_EEPmJS6_EEE10hipError_tPvRmT3_T4_T5_T6_T7_T9_mT8_P12ihipStream_tbDpT10_ENKUlT_T0_E_clISt17integral_constantIbLb0EES1C_EEDaS17_S18_EUlS17_E_NS1_11comp_targetILNS1_3genE0ELNS1_11target_archE4294967295ELNS1_3gpuE0ELNS1_3repE0EEENS1_30default_config_static_selectorELNS0_4arch9wavefront6targetE0EEEvT1_,"axG",@progbits,_ZN7rocprim17ROCPRIM_400000_NS6detail17trampoline_kernelINS0_14default_configENS1_25partition_config_selectorILNS1_17partition_subalgoE8ElNS0_10empty_typeEbEEZZNS1_14partition_implILS5_8ELb0ES3_jPlPS6_PKS6_NS0_5tupleIJS9_S6_EEENSD_IJSA_SA_EEENS0_18inequality_wrapperIZN2at6native12_GLOBAL__N_124unique_dim_cuda_templateIjEESt5tupleIJNSH_6TensorESM_SM_EERKSM_lbbbEUlllE0_EEPmJS6_EEE10hipError_tPvRmT3_T4_T5_T6_T7_T9_mT8_P12ihipStream_tbDpT10_ENKUlT_T0_E_clISt17integral_constantIbLb0EES1C_EEDaS17_S18_EUlS17_E_NS1_11comp_targetILNS1_3genE0ELNS1_11target_archE4294967295ELNS1_3gpuE0ELNS1_3repE0EEENS1_30default_config_static_selectorELNS0_4arch9wavefront6targetE0EEEvT1_,comdat
	.globl	_ZN7rocprim17ROCPRIM_400000_NS6detail17trampoline_kernelINS0_14default_configENS1_25partition_config_selectorILNS1_17partition_subalgoE8ElNS0_10empty_typeEbEEZZNS1_14partition_implILS5_8ELb0ES3_jPlPS6_PKS6_NS0_5tupleIJS9_S6_EEENSD_IJSA_SA_EEENS0_18inequality_wrapperIZN2at6native12_GLOBAL__N_124unique_dim_cuda_templateIjEESt5tupleIJNSH_6TensorESM_SM_EERKSM_lbbbEUlllE0_EEPmJS6_EEE10hipError_tPvRmT3_T4_T5_T6_T7_T9_mT8_P12ihipStream_tbDpT10_ENKUlT_T0_E_clISt17integral_constantIbLb0EES1C_EEDaS17_S18_EUlS17_E_NS1_11comp_targetILNS1_3genE0ELNS1_11target_archE4294967295ELNS1_3gpuE0ELNS1_3repE0EEENS1_30default_config_static_selectorELNS0_4arch9wavefront6targetE0EEEvT1_ ; -- Begin function _ZN7rocprim17ROCPRIM_400000_NS6detail17trampoline_kernelINS0_14default_configENS1_25partition_config_selectorILNS1_17partition_subalgoE8ElNS0_10empty_typeEbEEZZNS1_14partition_implILS5_8ELb0ES3_jPlPS6_PKS6_NS0_5tupleIJS9_S6_EEENSD_IJSA_SA_EEENS0_18inequality_wrapperIZN2at6native12_GLOBAL__N_124unique_dim_cuda_templateIjEESt5tupleIJNSH_6TensorESM_SM_EERKSM_lbbbEUlllE0_EEPmJS6_EEE10hipError_tPvRmT3_T4_T5_T6_T7_T9_mT8_P12ihipStream_tbDpT10_ENKUlT_T0_E_clISt17integral_constantIbLb0EES1C_EEDaS17_S18_EUlS17_E_NS1_11comp_targetILNS1_3genE0ELNS1_11target_archE4294967295ELNS1_3gpuE0ELNS1_3repE0EEENS1_30default_config_static_selectorELNS0_4arch9wavefront6targetE0EEEvT1_
	.p2align	8
	.type	_ZN7rocprim17ROCPRIM_400000_NS6detail17trampoline_kernelINS0_14default_configENS1_25partition_config_selectorILNS1_17partition_subalgoE8ElNS0_10empty_typeEbEEZZNS1_14partition_implILS5_8ELb0ES3_jPlPS6_PKS6_NS0_5tupleIJS9_S6_EEENSD_IJSA_SA_EEENS0_18inequality_wrapperIZN2at6native12_GLOBAL__N_124unique_dim_cuda_templateIjEESt5tupleIJNSH_6TensorESM_SM_EERKSM_lbbbEUlllE0_EEPmJS6_EEE10hipError_tPvRmT3_T4_T5_T6_T7_T9_mT8_P12ihipStream_tbDpT10_ENKUlT_T0_E_clISt17integral_constantIbLb0EES1C_EEDaS17_S18_EUlS17_E_NS1_11comp_targetILNS1_3genE0ELNS1_11target_archE4294967295ELNS1_3gpuE0ELNS1_3repE0EEENS1_30default_config_static_selectorELNS0_4arch9wavefront6targetE0EEEvT1_,@function
_ZN7rocprim17ROCPRIM_400000_NS6detail17trampoline_kernelINS0_14default_configENS1_25partition_config_selectorILNS1_17partition_subalgoE8ElNS0_10empty_typeEbEEZZNS1_14partition_implILS5_8ELb0ES3_jPlPS6_PKS6_NS0_5tupleIJS9_S6_EEENSD_IJSA_SA_EEENS0_18inequality_wrapperIZN2at6native12_GLOBAL__N_124unique_dim_cuda_templateIjEESt5tupleIJNSH_6TensorESM_SM_EERKSM_lbbbEUlllE0_EEPmJS6_EEE10hipError_tPvRmT3_T4_T5_T6_T7_T9_mT8_P12ihipStream_tbDpT10_ENKUlT_T0_E_clISt17integral_constantIbLb0EES1C_EEDaS17_S18_EUlS17_E_NS1_11comp_targetILNS1_3genE0ELNS1_11target_archE4294967295ELNS1_3gpuE0ELNS1_3repE0EEENS1_30default_config_static_selectorELNS0_4arch9wavefront6targetE0EEEvT1_: ; @_ZN7rocprim17ROCPRIM_400000_NS6detail17trampoline_kernelINS0_14default_configENS1_25partition_config_selectorILNS1_17partition_subalgoE8ElNS0_10empty_typeEbEEZZNS1_14partition_implILS5_8ELb0ES3_jPlPS6_PKS6_NS0_5tupleIJS9_S6_EEENSD_IJSA_SA_EEENS0_18inequality_wrapperIZN2at6native12_GLOBAL__N_124unique_dim_cuda_templateIjEESt5tupleIJNSH_6TensorESM_SM_EERKSM_lbbbEUlllE0_EEPmJS6_EEE10hipError_tPvRmT3_T4_T5_T6_T7_T9_mT8_P12ihipStream_tbDpT10_ENKUlT_T0_E_clISt17integral_constantIbLb0EES1C_EEDaS17_S18_EUlS17_E_NS1_11comp_targetILNS1_3genE0ELNS1_11target_archE4294967295ELNS1_3gpuE0ELNS1_3repE0EEENS1_30default_config_static_selectorELNS0_4arch9wavefront6targetE0EEEvT1_
; %bb.0:
	s_clause 0x3
	s_load_b128 s[4:7], s[0:1], 0x8
	s_load_b256 s[12:19], s[0:1], 0x40
	s_load_b32 s24, s[0:1], 0x70
	s_load_b128 s[8:11], s[0:1], 0x60
	s_bfe_u32 s20, ttmp6, 0x4000c
	s_and_b32 s2, ttmp6, 15
	s_add_co_i32 s20, s20, 1
	s_mov_b32 s3, 0
	s_mul_i32 s20, ttmp9, s20
	s_getreg_b32 s22, hwreg(HW_REG_IB_STS2, 6, 4)
	s_add_co_i32 s20, s2, s20
	s_mov_b32 s25, s3
	v_dual_mov_b32 v1, v0 :: v_dual_lshlrev_b32 v18, 3, v0
	s_mov_b32 s21, -1
	s_wait_kmcnt 0x0
	s_lshl_b64 s[26:27], s[6:7], 3
	s_load_b64 s[14:15], s[14:15], 0x0
	s_mul_i32 s2, s24, 0xe00
	s_cmp_eq_u32 s22, 0
	s_add_nc_u64 s[22:23], s[6:7], s[2:3]
	s_cselect_b32 s20, ttmp9, s20
	s_add_co_i32 s2, s2, s6
	v_cmp_le_u64_e64 s17, s[16:17], s[22:23]
	s_add_co_i32 s24, s24, -1
	s_sub_co_i32 s23, s16, s2
	s_cmp_eq_u32 s20, s24
	s_mul_i32 s24, s20, 0xe00
	s_cselect_b32 s16, -1, 0
	s_add_nc_u64 s[2:3], s[4:5], s[26:27]
	s_and_b32 s22, s16, s17
	s_lshl_b64 s[4:5], s[24:25], 3
	s_xor_b32 s17, s22, -1
	s_add_nc_u64 s[2:3], s[2:3], s[4:5]
	s_and_b32 vcc_lo, exec_lo, s17
	s_cbranch_vccz .LBB1541_2
; %bb.1:
	s_clause 0x6
	global_load_b64 v[2:3], v0, s[2:3] scale_offset
	global_load_b64 v[4:5], v0, s[2:3] offset:4096 scale_offset
	global_load_b64 v[6:7], v0, s[2:3] offset:8192 scale_offset
	global_load_b64 v[8:9], v0, s[2:3] offset:12288 scale_offset
	global_load_b64 v[10:11], v0, s[2:3] offset:16384 scale_offset
	global_load_b64 v[12:13], v0, s[2:3] offset:20480 scale_offset
	global_load_b64 v[14:15], v0, s[2:3] offset:24576 scale_offset
	v_lshlrev_b32_e32 v16, 3, v0
	s_mov_b32 s21, 0
	s_wait_loadcnt 0x5
	ds_store_2addr_stride64_b64 v16, v[2:3], v[4:5] offset1:8
	s_wait_loadcnt 0x3
	ds_store_2addr_stride64_b64 v16, v[6:7], v[8:9] offset0:16 offset1:24
	s_wait_loadcnt 0x1
	ds_store_2addr_stride64_b64 v16, v[10:11], v[12:13] offset0:32 offset1:40
	s_wait_loadcnt 0x0
	ds_store_b64 v16, v[14:15] offset:24576
	s_wait_dscnt 0x0
	s_barrier_signal -1
	s_barrier_wait -1
.LBB1541_2:
	s_and_not1_b32 vcc_lo, exec_lo, s21
	s_add_co_i32 s21, s23, 0xe00
	s_cbranch_vccnz .LBB1541_18
; %bb.3:
	v_mov_b32_e32 v2, 0
	s_mov_b32 s4, exec_lo
	s_delay_alu instid0(VALU_DEP_1)
	v_dual_mov_b32 v3, v2 :: v_dual_mov_b32 v4, v2
	v_dual_mov_b32 v5, v2 :: v_dual_mov_b32 v6, v2
	;; [unrolled: 1-line block ×6, first 2 shown]
	v_mov_b32_e32 v15, v2
	v_cmpx_gt_u32_e64 s21, v0
	s_cbranch_execz .LBB1541_5
; %bb.4:
	global_load_b64 v[4:5], v0, s[2:3] scale_offset
	v_dual_mov_b32 v6, v2 :: v_dual_mov_b32 v7, v2
	v_dual_mov_b32 v8, v2 :: v_dual_mov_b32 v9, v2
	;; [unrolled: 1-line block ×6, first 2 shown]
	s_wait_loadcnt 0x0
	v_mov_b64_e32 v[2:3], v[4:5]
	v_mov_b64_e32 v[4:5], v[6:7]
	;; [unrolled: 1-line block ×8, first 2 shown]
.LBB1541_5:
	s_or_b32 exec_lo, exec_lo, s4
	v_or_b32_e32 v16, 0x200, v0
	s_mov_b32 s4, exec_lo
	s_delay_alu instid0(VALU_DEP_1)
	v_cmpx_gt_u32_e64 s21, v16
	s_cbranch_execz .LBB1541_7
; %bb.6:
	global_load_b64 v[4:5], v0, s[2:3] offset:4096 scale_offset
.LBB1541_7:
	s_wait_xcnt 0x0
	s_or_b32 exec_lo, exec_lo, s4
	v_or_b32_e32 v16, 0x400, v0
	s_mov_b32 s4, exec_lo
	s_delay_alu instid0(VALU_DEP_1)
	v_cmpx_gt_u32_e64 s21, v16
	s_cbranch_execz .LBB1541_9
; %bb.8:
	global_load_b64 v[6:7], v0, s[2:3] offset:8192 scale_offset
.LBB1541_9:
	s_wait_xcnt 0x0
	;; [unrolled: 10-line block ×6, first 2 shown]
	s_or_b32 exec_lo, exec_lo, s4
	v_lshlrev_b32_e32 v16, 3, v0
	s_wait_loadcnt 0x0
	ds_store_2addr_stride64_b64 v16, v[2:3], v[4:5] offset1:8
	ds_store_2addr_stride64_b64 v16, v[6:7], v[8:9] offset0:16 offset1:24
	ds_store_2addr_stride64_b64 v16, v[10:11], v[12:13] offset0:32 offset1:40
	ds_store_b64 v16, v[14:15] offset:24576
	s_wait_dscnt 0x0
	s_barrier_signal -1
	s_barrier_wait -1
.LBB1541_18:
	v_mul_u32_u24_e32 v19, 7, v0
	s_cmp_lg_u32 s20, 0
	v_cmp_gt_i64_e64 s24, s[18:19], 0
	s_cselect_b32 s23, -1, 0
	v_lshlrev_b32_e32 v24, 3, v19
	s_cmp_lg_u64 s[6:7], 0
	s_mov_b32 s6, 0
	s_cselect_b32 s4, -1, 0
	ds_load_2addr_b64 v[10:13], v24 offset1:1
	ds_load_2addr_b64 v[6:9], v24 offset0:2 offset1:3
	ds_load_2addr_b64 v[2:5], v24 offset0:4 offset1:5
	ds_load_b64 v[14:15], v24 offset:48
	s_or_b32 s4, s23, s4
	s_wait_dscnt 0x0
	s_and_b32 vcc_lo, exec_lo, s4
	s_barrier_signal -1
	s_barrier_wait -1
	s_cbranch_vccz .LBB1541_34
; %bb.19:
	s_add_nc_u64 s[2:3], s[2:3], -8
	v_cndmask_b32_e64 v25, 0, 1, s24
	s_load_b64 s[4:5], s[2:3], 0x0
	v_lshlrev_b32_e32 v26, 3, v0
	s_and_b32 vcc_lo, exec_lo, s17
	s_wait_xcnt 0x0
	v_cmp_ne_u32_e64 s2, 1, v25
	ds_store_b64 v26, v[14:15]
	s_cbranch_vccz .LBB1541_36
; %bb.20:
	s_and_b32 vcc_lo, exec_lo, s2
	s_cbranch_vccnz .LBB1541_37
; %bb.21:
	v_mul_u64_e32 v[16:17], s[18:19], v[4:5]
	v_mul_u64_e32 v[20:21], s[18:19], v[14:15]
	s_add_nc_u64 s[6:7], s[18:19], -1
	s_mov_b32 s26, 0
	s_mov_b64 s[2:3], s[6:7]
                                        ; implicit-def: $sgpr25
	s_delay_alu instid0(VALU_DEP_2) | instskip(NEXT) | instid1(VALU_DEP_2)
	v_lshl_add_u64 v[16:17], v[16:17], 2, s[8:9]
	v_lshl_add_u64 v[20:21], v[20:21], 2, s[8:9]
	s_delay_alu instid0(VALU_DEP_2)
	v_mov_b64_e32 v[22:23], v[16:17]
.LBB1541_22:                            ; =>This Inner Loop Header: Depth=1
	global_load_b32 v27, v[22:23], off
	global_load_b32 v28, v[20:21], off
	s_cmp_eq_u64 s[2:3], 0
	s_add_nc_u64 s[28:29], s[2:3], -1
	s_cselect_b32 s3, -1, 0
	s_wait_xcnt 0x1
	v_add_nc_u64_e32 v[22:23], 4, v[22:23]
	s_wait_xcnt 0x0
	v_add_nc_u64_e32 v[20:21], 4, v[20:21]
	s_wait_loadcnt 0x0
	v_cmp_ne_u32_e32 vcc_lo, v27, v28
	v_cmp_eq_u32_e64 s2, v27, v28
	s_or_b32 s3, vcc_lo, s3
	s_delay_alu instid0(SALU_CYCLE_1) | instskip(NEXT) | instid1(SALU_CYCLE_1)
	s_and_b32 s3, exec_lo, s3
	s_or_b32 s26, s3, s26
	s_and_not1_b32 s25, s25, exec_lo
	s_and_b32 s27, s2, exec_lo
	s_mov_b64 s[2:3], s[28:29]
	s_or_b32 s25, s25, s27
	s_and_not1_b32 exec_lo, exec_lo, s26
	s_cbranch_execnz .LBB1541_22
; %bb.23:
	s_or_b32 exec_lo, exec_lo, s26
	v_mul_u64_e32 v[20:21], s[18:19], v[2:3]
	s_mov_b32 s27, 0
	s_mov_b64 s[2:3], s[6:7]
                                        ; implicit-def: $sgpr26
	s_delay_alu instid0(VALU_DEP_1) | instskip(NEXT) | instid1(VALU_DEP_1)
	v_lshl_add_u64 v[20:21], v[20:21], 2, s[8:9]
	v_mov_b64_e32 v[22:23], v[20:21]
.LBB1541_24:                            ; =>This Inner Loop Header: Depth=1
	global_load_b32 v27, v[22:23], off
	global_load_b32 v28, v[16:17], off
	s_cmp_eq_u64 s[2:3], 0
	s_add_nc_u64 s[28:29], s[2:3], -1
	s_cselect_b32 s3, -1, 0
	s_wait_xcnt 0x1
	v_add_nc_u64_e32 v[22:23], 4, v[22:23]
	s_wait_xcnt 0x0
	v_add_nc_u64_e32 v[16:17], 4, v[16:17]
	s_wait_loadcnt 0x0
	v_cmp_ne_u32_e32 vcc_lo, v27, v28
	v_cmp_eq_u32_e64 s2, v27, v28
	s_or_b32 s3, vcc_lo, s3
	s_delay_alu instid0(SALU_CYCLE_1) | instskip(NEXT) | instid1(SALU_CYCLE_1)
	s_and_b32 s3, exec_lo, s3
	s_or_b32 s27, s3, s27
	s_and_not1_b32 s26, s26, exec_lo
	s_and_b32 s30, s2, exec_lo
	s_mov_b64 s[2:3], s[28:29]
	s_or_b32 s26, s26, s30
	s_and_not1_b32 exec_lo, exec_lo, s27
	s_cbranch_execnz .LBB1541_24
; %bb.25:
	s_or_b32 exec_lo, exec_lo, s27
	v_mul_u64_e32 v[16:17], s[18:19], v[8:9]
	s_mov_b32 s28, 0
	s_mov_b64 s[2:3], s[6:7]
                                        ; implicit-def: $sgpr27
	s_delay_alu instid0(VALU_DEP_1) | instskip(NEXT) | instid1(VALU_DEP_1)
	v_lshl_add_u64 v[16:17], v[16:17], 2, s[8:9]
	v_mov_b64_e32 v[22:23], v[16:17]
.LBB1541_26:                            ; =>This Inner Loop Header: Depth=1
	global_load_b32 v27, v[22:23], off
	global_load_b32 v28, v[20:21], off
	s_cmp_eq_u64 s[2:3], 0
	s_add_nc_u64 s[30:31], s[2:3], -1
	s_cselect_b32 s3, -1, 0
	s_wait_xcnt 0x1
	v_add_nc_u64_e32 v[22:23], 4, v[22:23]
	s_wait_xcnt 0x0
	v_add_nc_u64_e32 v[20:21], 4, v[20:21]
	s_wait_loadcnt 0x0
	v_cmp_ne_u32_e32 vcc_lo, v27, v28
	v_cmp_eq_u32_e64 s2, v27, v28
	s_or_b32 s3, vcc_lo, s3
	s_delay_alu instid0(SALU_CYCLE_1) | instskip(NEXT) | instid1(SALU_CYCLE_1)
	s_and_b32 s3, exec_lo, s3
	s_or_b32 s28, s3, s28
	s_and_not1_b32 s27, s27, exec_lo
	s_and_b32 s29, s2, exec_lo
	s_mov_b64 s[2:3], s[30:31]
	s_or_b32 s27, s27, s29
	s_and_not1_b32 exec_lo, exec_lo, s28
	s_cbranch_execnz .LBB1541_26
; %bb.27:
	s_or_b32 exec_lo, exec_lo, s28
	v_mul_u64_e32 v[20:21], s[18:19], v[6:7]
	s_mov_b32 s29, 0
	s_mov_b64 s[2:3], s[6:7]
                                        ; implicit-def: $sgpr28
	s_delay_alu instid0(VALU_DEP_1) | instskip(NEXT) | instid1(VALU_DEP_1)
	v_lshl_add_u64 v[20:21], v[20:21], 2, s[8:9]
	v_mov_b64_e32 v[22:23], v[20:21]
.LBB1541_28:                            ; =>This Inner Loop Header: Depth=1
	global_load_b32 v27, v[22:23], off
	global_load_b32 v28, v[16:17], off
	s_cmp_eq_u64 s[2:3], 0
	s_add_nc_u64 s[30:31], s[2:3], -1
	s_cselect_b32 s3, -1, 0
	s_wait_xcnt 0x1
	v_add_nc_u64_e32 v[22:23], 4, v[22:23]
	s_wait_xcnt 0x0
	v_add_nc_u64_e32 v[16:17], 4, v[16:17]
	s_wait_loadcnt 0x0
	v_cmp_ne_u32_e32 vcc_lo, v27, v28
	v_cmp_eq_u32_e64 s2, v27, v28
	s_or_b32 s3, vcc_lo, s3
	s_delay_alu instid0(SALU_CYCLE_1) | instskip(NEXT) | instid1(SALU_CYCLE_1)
	s_and_b32 s3, exec_lo, s3
	s_or_b32 s29, s3, s29
	s_and_not1_b32 s28, s28, exec_lo
	s_and_b32 s33, s2, exec_lo
	s_mov_b64 s[2:3], s[30:31]
	s_or_b32 s28, s28, s33
	s_and_not1_b32 exec_lo, exec_lo, s29
	s_cbranch_execnz .LBB1541_28
; %bb.29:
	s_or_b32 exec_lo, exec_lo, s29
	v_mul_u64_e32 v[16:17], s[18:19], v[12:13]
	s_mov_b32 s30, 0
	s_mov_b64 s[2:3], s[6:7]
                                        ; implicit-def: $sgpr29
	s_delay_alu instid0(VALU_DEP_1) | instskip(NEXT) | instid1(VALU_DEP_1)
	v_lshl_add_u64 v[16:17], v[16:17], 2, s[8:9]
	v_mov_b64_e32 v[22:23], v[16:17]
.LBB1541_30:                            ; =>This Inner Loop Header: Depth=1
	global_load_b32 v27, v[22:23], off
	global_load_b32 v28, v[20:21], off
	s_cmp_eq_u64 s[2:3], 0
	s_add_nc_u64 s[34:35], s[2:3], -1
	s_cselect_b32 s3, -1, 0
	s_wait_xcnt 0x1
	v_add_nc_u64_e32 v[22:23], 4, v[22:23]
	s_wait_xcnt 0x0
	v_add_nc_u64_e32 v[20:21], 4, v[20:21]
	s_wait_loadcnt 0x0
	v_cmp_ne_u32_e32 vcc_lo, v27, v28
	v_cmp_eq_u32_e64 s2, v27, v28
	s_or_b32 s3, vcc_lo, s3
	s_delay_alu instid0(SALU_CYCLE_1) | instskip(NEXT) | instid1(SALU_CYCLE_1)
	s_and_b32 s3, exec_lo, s3
	s_or_b32 s30, s3, s30
	s_and_not1_b32 s29, s29, exec_lo
	s_and_b32 s31, s2, exec_lo
	s_mov_b64 s[2:3], s[34:35]
	s_or_b32 s29, s29, s31
	s_and_not1_b32 exec_lo, exec_lo, s30
	s_cbranch_execnz .LBB1541_30
; %bb.31:
	s_or_b32 exec_lo, exec_lo, s30
	v_mul_u64_e32 v[20:21], s[18:19], v[10:11]
	s_mov_b32 s30, 0
                                        ; implicit-def: $sgpr3
	s_delay_alu instid0(VALU_DEP_1)
	v_lshl_add_u64 v[20:21], v[20:21], 2, s[8:9]
.LBB1541_32:                            ; =>This Inner Loop Header: Depth=1
	global_load_b32 v22, v[20:21], off
	global_load_b32 v23, v[16:17], off
	s_cmp_eq_u64 s[6:7], 0
	s_add_nc_u64 s[34:35], s[6:7], -1
	s_cselect_b32 s6, -1, 0
	s_wait_xcnt 0x1
	v_add_nc_u64_e32 v[20:21], 4, v[20:21]
	s_wait_xcnt 0x0
	v_add_nc_u64_e32 v[16:17], 4, v[16:17]
	s_wait_loadcnt 0x0
	v_cmp_ne_u32_e32 vcc_lo, v22, v23
	v_cmp_eq_u32_e64 s2, v22, v23
	s_or_b32 s6, vcc_lo, s6
	s_delay_alu instid0(SALU_CYCLE_1) | instskip(NEXT) | instid1(SALU_CYCLE_1)
	s_and_b32 s6, exec_lo, s6
	s_or_b32 s30, s6, s30
	s_and_not1_b32 s3, s3, exec_lo
	s_and_b32 s2, s2, exec_lo
	s_mov_b64 s[6:7], s[34:35]
	s_or_b32 s3, s3, s2
	s_and_not1_b32 exec_lo, exec_lo, s30
	s_cbranch_execnz .LBB1541_32
; %bb.33:
	s_or_b32 exec_lo, exec_lo, s30
	s_xor_b32 s2, s28, -1
	s_xor_b32 s3, s3, -1
	v_cndmask_b32_e64 v16, 0, 1, s2
	s_xor_b32 s2, s29, -1
	s_delay_alu instid0(SALU_CYCLE_1) | instskip(SKIP_1) | instid1(VALU_DEP_2)
	v_cndmask_b32_e64 v17, 0, 1, s2
	s_xor_b32 s2, s26, -1
	v_lshlrev_b16 v16, 8, v16
	v_cndmask_b32_e64 v31, 0, 1, s2
	s_xor_b32 s2, s25, -1
	s_delay_alu instid0(SALU_CYCLE_1) | instskip(NEXT) | instid1(VALU_DEP_3)
	v_cndmask_b32_e64 v30, 0, 1, s2
	v_lshrrev_b32_e32 v16, 8, v16
	s_xor_b32 s2, s27, -1
	s_delay_alu instid0(VALU_DEP_1) | instskip(NEXT) | instid1(VALU_DEP_1)
	v_and_b32_e32 v16, 1, v16
	v_lshlrev_b16 v16, 8, v16
	s_delay_alu instid0(VALU_DEP_1) | instskip(SKIP_1) | instid1(VALU_DEP_2)
	v_or_b32_e32 v16, v17, v16
	v_cndmask_b32_e64 v17, 0, 1, s2
	v_lshlrev_b32_e32 v16, 16, v16
	s_branch .LBB1541_38
.LBB1541_34:
                                        ; implicit-def: $sgpr2
                                        ; implicit-def: $vgpr30
                                        ; implicit-def: $vgpr31
                                        ; implicit-def: $vgpr17
                                        ; implicit-def: $vgpr21
	s_branch .LBB1541_91
.LBB1541_35:
                                        ; implicit-def: $vgpr33
                                        ; implicit-def: $vgpr32
                                        ; implicit-def: $vgpr20
	s_branch .LBB1541_160
.LBB1541_36:
                                        ; implicit-def: $sgpr2
                                        ; implicit-def: $vgpr30
                                        ; implicit-def: $vgpr31
                                        ; implicit-def: $vgpr17
                                        ; implicit-def: $vgpr21
	s_cbranch_execnz .LBB1541_45
	s_branch .LBB1541_90
.LBB1541_37:
	v_dual_mov_b32 v16, 0 :: v_dual_mov_b32 v30, 0
	v_dual_mov_b32 v31, 0 :: v_dual_mov_b32 v17, 0
	s_mov_b32 s3, 0
.LBB1541_38:
	s_wait_kmcnt 0x0
	v_mov_b64_e32 v[20:21], s[4:5]
	s_mov_b32 s2, 0
	s_mov_b32 s6, exec_lo
	s_wait_dscnt 0x0
	s_barrier_signal -1
	s_barrier_wait -1
	v_cmpx_ne_u32_e32 0, v0
; %bb.39:
	v_add_nc_u32_e32 v20, -8, v26
	ds_load_b64 v[20:21], v20
; %bb.40:
	s_or_b32 exec_lo, exec_lo, s6
	v_cndmask_b32_e64 v22, 0, 1, s3
	v_lshrrev_b32_e32 v23, 16, v16
	s_and_not1_b32 vcc_lo, exec_lo, s24
	s_delay_alu instid0(VALU_DEP_2) | instskip(NEXT) | instid1(VALU_DEP_1)
	v_lshlrev_b16 v22, 8, v22
	v_bitop3_b16 v22, v16, v22, 0xff bitop3:0xec
	s_delay_alu instid0(VALU_DEP_3) | instskip(NEXT) | instid1(VALU_DEP_2)
	v_perm_b32 v16, v23, v16, 0xc0c0304
	v_and_b32_e32 v27, 0xffff, v22
	s_cbranch_vccnz .LBB1541_44
; %bb.41:
	s_wait_dscnt 0x0
	v_mul_u64_e32 v[20:21], s[18:19], v[20:21]
	v_mul_u64_e32 v[22:23], s[18:19], v[10:11]
	s_add_nc_u64 s[2:3], s[18:19], -1
	s_mov_b32 s6, 0
                                        ; implicit-def: $sgpr7
	s_delay_alu instid0(VALU_DEP_2) | instskip(NEXT) | instid1(VALU_DEP_2)
	v_lshl_add_u64 v[20:21], v[20:21], 2, s[8:9]
	v_lshl_add_u64 v[22:23], v[22:23], 2, s[8:9]
.LBB1541_42:                            ; =>This Inner Loop Header: Depth=1
	global_load_b32 v28, v[20:21], off
	global_load_b32 v29, v[22:23], off
	s_cmp_eq_u64 s[2:3], 0
	s_add_nc_u64 s[26:27], s[2:3], -1
	s_cselect_b32 s3, -1, 0
	s_wait_xcnt 0x1
	v_add_nc_u64_e32 v[20:21], 4, v[20:21]
	s_wait_xcnt 0x0
	v_add_nc_u64_e32 v[22:23], 4, v[22:23]
	s_wait_loadcnt 0x0
	v_cmp_ne_u32_e32 vcc_lo, v28, v29
	v_cmp_eq_u32_e64 s2, v28, v29
	s_or_b32 s3, vcc_lo, s3
	s_delay_alu instid0(SALU_CYCLE_1) | instskip(NEXT) | instid1(SALU_CYCLE_1)
	s_and_b32 s3, exec_lo, s3
	s_or_b32 s6, s3, s6
	s_and_not1_b32 s7, s7, exec_lo
	s_and_b32 s25, s2, exec_lo
	s_mov_b64 s[2:3], s[26:27]
	s_or_b32 s7, s7, s25
	s_and_not1_b32 exec_lo, exec_lo, s6
	s_cbranch_execnz .LBB1541_42
; %bb.43:
	s_or_b32 exec_lo, exec_lo, s6
	s_xor_b32 s2, s7, -1
.LBB1541_44:
	s_wait_dscnt 0x0
	s_delay_alu instid0(VALU_DEP_1)
	v_lshl_or_b32 v21, v16, 16, v27
	s_branch .LBB1541_90
.LBB1541_45:
	v_add_nc_u32_e32 v16, 6, v19
	s_mov_b32 s7, 0
	s_mov_b32 s6, 0
	s_mov_b32 s25, exec_lo
	s_delay_alu instid0(VALU_DEP_1)
	v_cmpx_gt_u32_e64 s21, v16
	s_cbranch_execz .LBB1541_51
; %bb.46:
	s_and_not1_b32 vcc_lo, exec_lo, s24
	s_mov_b32 s2, 0
	s_cbranch_vccnz .LBB1541_50
; %bb.47:
	v_mul_u64_e32 v[16:17], s[18:19], v[4:5]
	v_mul_u64_e32 v[20:21], s[18:19], v[14:15]
	s_add_nc_u64 s[2:3], s[18:19], -1
                                        ; implicit-def: $sgpr24
	s_delay_alu instid0(VALU_DEP_2) | instskip(NEXT) | instid1(VALU_DEP_2)
	v_lshl_add_u64 v[16:17], v[16:17], 2, s[8:9]
	v_lshl_add_u64 v[20:21], v[20:21], 2, s[8:9]
.LBB1541_48:                            ; =>This Inner Loop Header: Depth=1
	global_load_b32 v22, v[16:17], off
	global_load_b32 v23, v[20:21], off
	s_cmp_eq_u64 s[2:3], 0
	s_add_nc_u64 s[26:27], s[2:3], -1
	s_cselect_b32 s3, -1, 0
	s_wait_xcnt 0x1
	v_add_nc_u64_e32 v[16:17], 4, v[16:17]
	s_wait_xcnt 0x0
	v_add_nc_u64_e32 v[20:21], 4, v[20:21]
	s_wait_loadcnt 0x0
	v_cmp_ne_u32_e32 vcc_lo, v22, v23
	v_cmp_eq_u32_e64 s2, v22, v23
	s_or_b32 s3, vcc_lo, s3
	s_delay_alu instid0(SALU_CYCLE_1) | instskip(NEXT) | instid1(SALU_CYCLE_1)
	s_and_b32 s3, exec_lo, s3
	s_or_b32 s6, s3, s6
	s_and_not1_b32 s24, s24, exec_lo
	s_and_b32 s28, s2, exec_lo
	s_mov_b64 s[2:3], s[26:27]
	s_or_b32 s24, s24, s28
	s_and_not1_b32 exec_lo, exec_lo, s6
	s_cbranch_execnz .LBB1541_48
; %bb.49:
	s_or_b32 exec_lo, exec_lo, s6
	s_xor_b32 s2, s24, -1
.LBB1541_50:
	s_delay_alu instid0(SALU_CYCLE_1)
	s_and_b32 s6, s2, exec_lo
.LBB1541_51:
	s_or_b32 exec_lo, exec_lo, s25
	v_add_nc_u32_e32 v16, 5, v19
	s_mov_b32 s24, exec_lo
	s_delay_alu instid0(VALU_DEP_1)
	v_cmpx_gt_u32_e64 s21, v16
	s_cbranch_execz .LBB1541_57
; %bb.52:
	v_cmp_ne_u32_e32 vcc_lo, 1, v25
	s_mov_b32 s2, 0
	s_cbranch_vccnz .LBB1541_56
; %bb.53:
	v_mul_u64_e32 v[16:17], s[18:19], v[2:3]
	v_mul_u64_e32 v[20:21], s[18:19], v[4:5]
	s_add_nc_u64 s[2:3], s[18:19], -1
	s_mov_b32 s7, 0
                                        ; implicit-def: $sgpr25
	s_delay_alu instid0(VALU_DEP_2) | instskip(NEXT) | instid1(VALU_DEP_2)
	v_lshl_add_u64 v[16:17], v[16:17], 2, s[8:9]
	v_lshl_add_u64 v[20:21], v[20:21], 2, s[8:9]
.LBB1541_54:                            ; =>This Inner Loop Header: Depth=1
	global_load_b32 v22, v[16:17], off
	global_load_b32 v23, v[20:21], off
	s_cmp_eq_u64 s[2:3], 0
	s_add_nc_u64 s[26:27], s[2:3], -1
	s_cselect_b32 s3, -1, 0
	s_wait_xcnt 0x1
	v_add_nc_u64_e32 v[16:17], 4, v[16:17]
	s_wait_xcnt 0x0
	v_add_nc_u64_e32 v[20:21], 4, v[20:21]
	s_wait_loadcnt 0x0
	v_cmp_ne_u32_e32 vcc_lo, v22, v23
	v_cmp_eq_u32_e64 s2, v22, v23
	s_or_b32 s3, vcc_lo, s3
	s_delay_alu instid0(SALU_CYCLE_1) | instskip(NEXT) | instid1(SALU_CYCLE_1)
	s_and_b32 s3, exec_lo, s3
	s_or_b32 s7, s3, s7
	s_and_not1_b32 s25, s25, exec_lo
	s_and_b32 s28, s2, exec_lo
	s_mov_b64 s[2:3], s[26:27]
	s_or_b32 s25, s25, s28
	s_and_not1_b32 exec_lo, exec_lo, s7
	s_cbranch_execnz .LBB1541_54
; %bb.55:
	s_or_b32 exec_lo, exec_lo, s7
	s_xor_b32 s2, s25, -1
.LBB1541_56:
	s_delay_alu instid0(SALU_CYCLE_1)
	s_and_b32 s7, s2, exec_lo
.LBB1541_57:
	s_or_b32 exec_lo, exec_lo, s24
	v_add_nc_u32_e32 v16, 4, v19
	s_mov_b32 s25, 0
	s_mov_b32 s24, 0
	s_mov_b32 s26, exec_lo
	s_delay_alu instid0(VALU_DEP_1)
	v_cmpx_gt_u32_e64 s21, v16
	s_cbranch_execz .LBB1541_63
; %bb.58:
	v_cmp_ne_u32_e32 vcc_lo, 1, v25
	s_mov_b32 s2, 0
	s_cbranch_vccnz .LBB1541_62
; %bb.59:
	v_mul_u64_e32 v[16:17], s[18:19], v[8:9]
	v_mul_u64_e32 v[20:21], s[18:19], v[2:3]
	s_add_nc_u64 s[2:3], s[18:19], -1
                                        ; implicit-def: $sgpr27
	s_delay_alu instid0(VALU_DEP_2) | instskip(NEXT) | instid1(VALU_DEP_2)
	v_lshl_add_u64 v[16:17], v[16:17], 2, s[8:9]
	v_lshl_add_u64 v[20:21], v[20:21], 2, s[8:9]
.LBB1541_60:                            ; =>This Inner Loop Header: Depth=1
	global_load_b32 v22, v[16:17], off
	global_load_b32 v23, v[20:21], off
	s_cmp_eq_u64 s[2:3], 0
	s_add_nc_u64 s[28:29], s[2:3], -1
	s_cselect_b32 s3, -1, 0
	s_wait_xcnt 0x1
	v_add_nc_u64_e32 v[16:17], 4, v[16:17]
	s_wait_xcnt 0x0
	v_add_nc_u64_e32 v[20:21], 4, v[20:21]
	s_wait_loadcnt 0x0
	v_cmp_ne_u32_e32 vcc_lo, v22, v23
	v_cmp_eq_u32_e64 s2, v22, v23
	s_or_b32 s3, vcc_lo, s3
	s_delay_alu instid0(SALU_CYCLE_1) | instskip(NEXT) | instid1(SALU_CYCLE_1)
	s_and_b32 s3, exec_lo, s3
	s_or_b32 s24, s3, s24
	s_and_not1_b32 s27, s27, exec_lo
	s_and_b32 s30, s2, exec_lo
	s_mov_b64 s[2:3], s[28:29]
	s_or_b32 s27, s27, s30
	s_and_not1_b32 exec_lo, exec_lo, s24
	s_cbranch_execnz .LBB1541_60
; %bb.61:
	s_or_b32 exec_lo, exec_lo, s24
	s_xor_b32 s2, s27, -1
.LBB1541_62:
	s_delay_alu instid0(SALU_CYCLE_1)
	s_and_b32 s24, s2, exec_lo
.LBB1541_63:
	s_or_b32 exec_lo, exec_lo, s26
	v_add_nc_u32_e32 v16, 3, v19
	s_mov_b32 s26, exec_lo
	s_delay_alu instid0(VALU_DEP_1)
	v_cmpx_gt_u32_e64 s21, v16
	s_cbranch_execz .LBB1541_69
; %bb.64:
	v_cmp_ne_u32_e32 vcc_lo, 1, v25
	s_mov_b32 s2, 0
	s_cbranch_vccnz .LBB1541_68
; %bb.65:
	v_mul_u64_e32 v[16:17], s[18:19], v[6:7]
	v_mul_u64_e32 v[20:21], s[18:19], v[8:9]
	s_add_nc_u64 s[2:3], s[18:19], -1
	s_mov_b32 s25, 0
                                        ; implicit-def: $sgpr27
	s_delay_alu instid0(VALU_DEP_2) | instskip(NEXT) | instid1(VALU_DEP_2)
	v_lshl_add_u64 v[16:17], v[16:17], 2, s[8:9]
	v_lshl_add_u64 v[20:21], v[20:21], 2, s[8:9]
.LBB1541_66:                            ; =>This Inner Loop Header: Depth=1
	global_load_b32 v22, v[16:17], off
	global_load_b32 v23, v[20:21], off
	s_cmp_eq_u64 s[2:3], 0
	s_add_nc_u64 s[28:29], s[2:3], -1
	s_cselect_b32 s3, -1, 0
	s_wait_xcnt 0x1
	v_add_nc_u64_e32 v[16:17], 4, v[16:17]
	s_wait_xcnt 0x0
	v_add_nc_u64_e32 v[20:21], 4, v[20:21]
	s_wait_loadcnt 0x0
	v_cmp_ne_u32_e32 vcc_lo, v22, v23
	v_cmp_eq_u32_e64 s2, v22, v23
	s_or_b32 s3, vcc_lo, s3
	s_delay_alu instid0(SALU_CYCLE_1) | instskip(NEXT) | instid1(SALU_CYCLE_1)
	s_and_b32 s3, exec_lo, s3
	s_or_b32 s25, s3, s25
	s_and_not1_b32 s27, s27, exec_lo
	s_and_b32 s30, s2, exec_lo
	s_mov_b64 s[2:3], s[28:29]
	s_or_b32 s27, s27, s30
	s_and_not1_b32 exec_lo, exec_lo, s25
	s_cbranch_execnz .LBB1541_66
; %bb.67:
	s_or_b32 exec_lo, exec_lo, s25
	s_xor_b32 s2, s27, -1
.LBB1541_68:
	s_delay_alu instid0(SALU_CYCLE_1)
	s_and_b32 s25, s2, exec_lo
.LBB1541_69:
	s_or_b32 exec_lo, exec_lo, s26
	v_add_nc_u32_e32 v16, 2, v19
	s_mov_b32 s26, 0
	s_mov_b32 s27, 0
	s_mov_b32 s28, exec_lo
	s_delay_alu instid0(VALU_DEP_1)
	v_cmpx_gt_u32_e64 s21, v16
	s_cbranch_execz .LBB1541_75
; %bb.70:
	v_cmp_ne_u32_e32 vcc_lo, 1, v25
	s_mov_b32 s2, 0
	s_cbranch_vccnz .LBB1541_74
; %bb.71:
	v_mul_u64_e32 v[16:17], s[18:19], v[12:13]
	v_mul_u64_e32 v[20:21], s[18:19], v[6:7]
	s_add_nc_u64 s[2:3], s[18:19], -1
                                        ; implicit-def: $sgpr29
	s_delay_alu instid0(VALU_DEP_2) | instskip(NEXT) | instid1(VALU_DEP_2)
	v_lshl_add_u64 v[16:17], v[16:17], 2, s[8:9]
	v_lshl_add_u64 v[20:21], v[20:21], 2, s[8:9]
.LBB1541_72:                            ; =>This Inner Loop Header: Depth=1
	global_load_b32 v22, v[16:17], off
	global_load_b32 v23, v[20:21], off
	s_cmp_eq_u64 s[2:3], 0
	s_add_nc_u64 s[30:31], s[2:3], -1
	s_cselect_b32 s3, -1, 0
	s_wait_xcnt 0x1
	v_add_nc_u64_e32 v[16:17], 4, v[16:17]
	s_wait_xcnt 0x0
	v_add_nc_u64_e32 v[20:21], 4, v[20:21]
	s_wait_loadcnt 0x0
	v_cmp_ne_u32_e32 vcc_lo, v22, v23
	v_cmp_eq_u32_e64 s2, v22, v23
	s_or_b32 s3, vcc_lo, s3
	s_delay_alu instid0(SALU_CYCLE_1) | instskip(NEXT) | instid1(SALU_CYCLE_1)
	s_and_b32 s3, exec_lo, s3
	s_or_b32 s27, s3, s27
	s_and_not1_b32 s29, s29, exec_lo
	s_and_b32 s33, s2, exec_lo
	s_mov_b64 s[2:3], s[30:31]
	s_or_b32 s29, s29, s33
	s_and_not1_b32 exec_lo, exec_lo, s27
	s_cbranch_execnz .LBB1541_72
; %bb.73:
	s_or_b32 exec_lo, exec_lo, s27
	s_xor_b32 s2, s29, -1
.LBB1541_74:
	s_delay_alu instid0(SALU_CYCLE_1)
	s_and_b32 s27, s2, exec_lo
.LBB1541_75:
	s_or_b32 exec_lo, exec_lo, s28
	v_add_nc_u32_e32 v16, 1, v19
	s_mov_b32 s28, exec_lo
	s_delay_alu instid0(VALU_DEP_1)
	v_cmpx_gt_u32_e64 s21, v16
	s_cbranch_execz .LBB1541_81
; %bb.76:
	v_cmp_ne_u32_e32 vcc_lo, 1, v25
	s_mov_b32 s2, 0
	s_cbranch_vccnz .LBB1541_80
; %bb.77:
	v_mul_u64_e32 v[16:17], s[18:19], v[10:11]
	v_mul_u64_e32 v[20:21], s[18:19], v[12:13]
	s_add_nc_u64 s[2:3], s[18:19], -1
	s_mov_b32 s26, 0
                                        ; implicit-def: $sgpr29
	s_delay_alu instid0(VALU_DEP_2) | instskip(NEXT) | instid1(VALU_DEP_2)
	v_lshl_add_u64 v[16:17], v[16:17], 2, s[8:9]
	v_lshl_add_u64 v[20:21], v[20:21], 2, s[8:9]
.LBB1541_78:                            ; =>This Inner Loop Header: Depth=1
	global_load_b32 v22, v[16:17], off
	global_load_b32 v23, v[20:21], off
	s_cmp_eq_u64 s[2:3], 0
	s_add_nc_u64 s[30:31], s[2:3], -1
	s_cselect_b32 s3, -1, 0
	s_wait_xcnt 0x1
	v_add_nc_u64_e32 v[16:17], 4, v[16:17]
	s_wait_xcnt 0x0
	v_add_nc_u64_e32 v[20:21], 4, v[20:21]
	s_wait_loadcnt 0x0
	v_cmp_ne_u32_e32 vcc_lo, v22, v23
	v_cmp_eq_u32_e64 s2, v22, v23
	s_or_b32 s3, vcc_lo, s3
	s_delay_alu instid0(SALU_CYCLE_1) | instskip(NEXT) | instid1(SALU_CYCLE_1)
	s_and_b32 s3, exec_lo, s3
	s_or_b32 s26, s3, s26
	s_and_not1_b32 s29, s29, exec_lo
	s_and_b32 s33, s2, exec_lo
	s_mov_b64 s[2:3], s[30:31]
	s_or_b32 s29, s29, s33
	s_and_not1_b32 exec_lo, exec_lo, s26
	s_cbranch_execnz .LBB1541_78
; %bb.79:
	s_or_b32 exec_lo, exec_lo, s26
	s_xor_b32 s2, s29, -1
.LBB1541_80:
	s_delay_alu instid0(SALU_CYCLE_1)
	s_and_b32 s26, s2, exec_lo
.LBB1541_81:
	s_or_b32 exec_lo, exec_lo, s28
	s_wait_kmcnt 0x0
	v_mov_b64_e32 v[16:17], s[4:5]
	s_mov_b32 s2, 0
	s_mov_b32 s3, exec_lo
	s_wait_dscnt 0x0
	s_barrier_signal -1
	s_barrier_wait -1
	v_cmpx_ne_u32_e32 0, v0
; %bb.82:
	v_add_nc_u32_e32 v16, -8, v26
	ds_load_b64 v[16:17], v16
; %bb.83:
	s_or_b32 exec_lo, exec_lo, s3
	v_cndmask_b32_e64 v20, 0, 1, s25
	v_cndmask_b32_e64 v21, 0, 1, s27
	;; [unrolled: 1-line block ×3, first 2 shown]
	s_mov_b32 s4, exec_lo
	s_delay_alu instid0(VALU_DEP_3) | instskip(NEXT) | instid1(VALU_DEP_2)
	v_lshlrev_b16 v20, 8, v20
	v_lshlrev_b16 v22, 8, v22
	s_delay_alu instid0(VALU_DEP_2) | instskip(NEXT) | instid1(VALU_DEP_2)
	v_or_b32_e32 v20, v21, v20
	v_and_b32_e32 v22, 0xffff, v22
	s_delay_alu instid0(VALU_DEP_2)
	v_lshlrev_b32_e32 v23, 16, v20
	v_cmpx_gt_u32_e64 s21, v19
	s_cbranch_execz .LBB1541_89
; %bb.84:
	v_cmp_ne_u32_e32 vcc_lo, 1, v25
	s_cbranch_vccnz .LBB1541_88
; %bb.85:
	s_wait_dscnt 0x0
	v_mul_u64_e32 v[16:17], s[18:19], v[16:17]
	v_mul_u64_e32 v[20:21], s[18:19], v[10:11]
	s_add_nc_u64 s[2:3], s[18:19], -1
	s_mov_b32 s5, 0
                                        ; implicit-def: $sgpr25
	s_delay_alu instid0(VALU_DEP_2) | instskip(NEXT) | instid1(VALU_DEP_2)
	v_lshl_add_u64 v[16:17], v[16:17], 2, s[8:9]
	v_lshl_add_u64 v[20:21], v[20:21], 2, s[8:9]
.LBB1541_86:                            ; =>This Inner Loop Header: Depth=1
	global_load_b32 v25, v[16:17], off
	global_load_b32 v26, v[20:21], off
	s_cmp_eq_u64 s[2:3], 0
	s_add_nc_u64 s[26:27], s[2:3], -1
	s_cselect_b32 s3, -1, 0
	s_wait_xcnt 0x1
	v_add_nc_u64_e32 v[16:17], 4, v[16:17]
	s_wait_xcnt 0x0
	v_add_nc_u64_e32 v[20:21], 4, v[20:21]
	s_wait_loadcnt 0x0
	v_cmp_ne_u32_e32 vcc_lo, v25, v26
	v_cmp_eq_u32_e64 s2, v25, v26
	s_or_b32 s3, vcc_lo, s3
	s_delay_alu instid0(SALU_CYCLE_1) | instskip(NEXT) | instid1(SALU_CYCLE_1)
	s_and_b32 s3, exec_lo, s3
	s_or_b32 s5, s3, s5
	s_and_not1_b32 s25, s25, exec_lo
	s_and_b32 s28, s2, exec_lo
	s_mov_b64 s[2:3], s[26:27]
	s_or_b32 s25, s25, s28
	s_and_not1_b32 exec_lo, exec_lo, s5
	s_cbranch_execnz .LBB1541_86
; %bb.87:
	s_or_b32 exec_lo, exec_lo, s5
	s_xor_b32 s2, s25, -1
.LBB1541_88:
	s_delay_alu instid0(SALU_CYCLE_1)
	s_and_b32 s2, s2, exec_lo
.LBB1541_89:
	s_or_b32 exec_lo, exec_lo, s4
	s_wait_dscnt 0x0
	v_cndmask_b32_e64 v17, 0, 1, s24
	v_cndmask_b32_e64 v31, 0, 1, s7
	;; [unrolled: 1-line block ×3, first 2 shown]
	v_or_b32_e32 v21, v22, v23
.LBB1541_90:
	s_mov_b32 s6, -1
	s_cbranch_execnz .LBB1541_35
.LBB1541_91:
	v_cmp_gt_i64_e64 s7, s[18:19], 0
	v_mad_i32_i24 v26, 0xffffffd0, v0, v24
	s_and_b32 vcc_lo, exec_lo, s17
	ds_store_b64 v26, v[14:15]
	s_cbranch_vccz .LBB1541_106
; %bb.92:
	s_and_not1_b32 vcc_lo, exec_lo, s7
	s_cbranch_vccnz .LBB1541_107
; %bb.93:
	v_mul_u64_e32 v[16:17], s[18:19], v[4:5]
	v_mul_u64_e32 v[20:21], s[18:19], v[14:15]
	s_wait_kmcnt 0x0
	s_add_nc_u64 s[4:5], s[18:19], -1
	s_mov_b32 s25, 0
	s_mov_b64 s[2:3], s[4:5]
                                        ; implicit-def: $sgpr24
	s_delay_alu instid0(VALU_DEP_2) | instskip(NEXT) | instid1(VALU_DEP_2)
	v_lshl_add_u64 v[16:17], v[16:17], 2, s[8:9]
	v_lshl_add_u64 v[20:21], v[20:21], 2, s[8:9]
	s_delay_alu instid0(VALU_DEP_2)
	v_mov_b64_e32 v[22:23], v[16:17]
.LBB1541_94:                            ; =>This Inner Loop Header: Depth=1
	global_load_b32 v24, v[22:23], off
	global_load_b32 v25, v[20:21], off
	s_cmp_eq_u64 s[2:3], 0
	s_add_nc_u64 s[26:27], s[2:3], -1
	s_cselect_b32 s3, -1, 0
	s_wait_xcnt 0x1
	v_add_nc_u64_e32 v[22:23], 4, v[22:23]
	s_wait_xcnt 0x0
	v_add_nc_u64_e32 v[20:21], 4, v[20:21]
	s_wait_loadcnt 0x0
	v_cmp_ne_u32_e32 vcc_lo, v24, v25
	v_cmp_eq_u32_e64 s2, v24, v25
	s_or_b32 s3, vcc_lo, s3
	s_delay_alu instid0(SALU_CYCLE_1) | instskip(NEXT) | instid1(SALU_CYCLE_1)
	s_and_b32 s3, exec_lo, s3
	s_or_b32 s25, s3, s25
	s_and_not1_b32 s24, s24, exec_lo
	s_and_b32 s28, s2, exec_lo
	s_mov_b64 s[2:3], s[26:27]
	s_or_b32 s24, s24, s28
	s_and_not1_b32 exec_lo, exec_lo, s25
	s_cbranch_execnz .LBB1541_94
; %bb.95:
	s_or_b32 exec_lo, exec_lo, s25
	v_mul_u64_e32 v[20:21], s[18:19], v[2:3]
	s_mov_b32 s26, 0
	s_mov_b64 s[2:3], s[4:5]
                                        ; implicit-def: $sgpr25
	s_delay_alu instid0(VALU_DEP_1) | instskip(NEXT) | instid1(VALU_DEP_1)
	v_lshl_add_u64 v[20:21], v[20:21], 2, s[8:9]
	v_mov_b64_e32 v[22:23], v[20:21]
.LBB1541_96:                            ; =>This Inner Loop Header: Depth=1
	global_load_b32 v24, v[22:23], off
	global_load_b32 v25, v[16:17], off
	s_cmp_eq_u64 s[2:3], 0
	s_add_nc_u64 s[28:29], s[2:3], -1
	s_cselect_b32 s3, -1, 0
	s_wait_xcnt 0x1
	v_add_nc_u64_e32 v[22:23], 4, v[22:23]
	s_wait_xcnt 0x0
	v_add_nc_u64_e32 v[16:17], 4, v[16:17]
	s_wait_loadcnt 0x0
	v_cmp_ne_u32_e32 vcc_lo, v24, v25
	v_cmp_eq_u32_e64 s2, v24, v25
	s_or_b32 s3, vcc_lo, s3
	s_delay_alu instid0(SALU_CYCLE_1) | instskip(NEXT) | instid1(SALU_CYCLE_1)
	s_and_b32 s3, exec_lo, s3
	s_or_b32 s26, s3, s26
	s_and_not1_b32 s25, s25, exec_lo
	s_and_b32 s27, s2, exec_lo
	s_mov_b64 s[2:3], s[28:29]
	s_or_b32 s25, s25, s27
	s_and_not1_b32 exec_lo, exec_lo, s26
	s_cbranch_execnz .LBB1541_96
; %bb.97:
	s_or_b32 exec_lo, exec_lo, s26
	v_mul_u64_e32 v[16:17], s[18:19], v[8:9]
	s_mov_b32 s27, 0
	s_mov_b64 s[2:3], s[4:5]
                                        ; implicit-def: $sgpr26
	s_delay_alu instid0(VALU_DEP_1) | instskip(NEXT) | instid1(VALU_DEP_1)
	v_lshl_add_u64 v[16:17], v[16:17], 2, s[8:9]
	v_mov_b64_e32 v[22:23], v[16:17]
.LBB1541_98:                            ; =>This Inner Loop Header: Depth=1
	global_load_b32 v24, v[22:23], off
	global_load_b32 v25, v[20:21], off
	s_cmp_eq_u64 s[2:3], 0
	s_add_nc_u64 s[28:29], s[2:3], -1
	s_cselect_b32 s3, -1, 0
	s_wait_xcnt 0x1
	v_add_nc_u64_e32 v[22:23], 4, v[22:23]
	s_wait_xcnt 0x0
	v_add_nc_u64_e32 v[20:21], 4, v[20:21]
	s_wait_loadcnt 0x0
	v_cmp_ne_u32_e32 vcc_lo, v24, v25
	v_cmp_eq_u32_e64 s2, v24, v25
	s_or_b32 s3, vcc_lo, s3
	s_delay_alu instid0(SALU_CYCLE_1) | instskip(NEXT) | instid1(SALU_CYCLE_1)
	s_and_b32 s3, exec_lo, s3
	s_or_b32 s27, s3, s27
	s_and_not1_b32 s26, s26, exec_lo
	s_and_b32 s30, s2, exec_lo
	s_mov_b64 s[2:3], s[28:29]
	s_or_b32 s26, s26, s30
	s_and_not1_b32 exec_lo, exec_lo, s27
	s_cbranch_execnz .LBB1541_98
; %bb.99:
	s_or_b32 exec_lo, exec_lo, s27
	v_mul_u64_e32 v[20:21], s[18:19], v[6:7]
	s_mov_b32 s28, 0
	s_mov_b64 s[2:3], s[4:5]
                                        ; implicit-def: $sgpr27
	s_delay_alu instid0(VALU_DEP_1) | instskip(NEXT) | instid1(VALU_DEP_1)
	v_lshl_add_u64 v[20:21], v[20:21], 2, s[8:9]
	v_mov_b64_e32 v[22:23], v[20:21]
.LBB1541_100:                           ; =>This Inner Loop Header: Depth=1
	global_load_b32 v24, v[22:23], off
	global_load_b32 v25, v[16:17], off
	s_cmp_eq_u64 s[2:3], 0
	s_add_nc_u64 s[30:31], s[2:3], -1
	s_cselect_b32 s3, -1, 0
	s_wait_xcnt 0x1
	v_add_nc_u64_e32 v[22:23], 4, v[22:23]
	s_wait_xcnt 0x0
	v_add_nc_u64_e32 v[16:17], 4, v[16:17]
	s_wait_loadcnt 0x0
	v_cmp_ne_u32_e32 vcc_lo, v24, v25
	v_cmp_eq_u32_e64 s2, v24, v25
	s_or_b32 s3, vcc_lo, s3
	s_delay_alu instid0(SALU_CYCLE_1) | instskip(NEXT) | instid1(SALU_CYCLE_1)
	s_and_b32 s3, exec_lo, s3
	s_or_b32 s28, s3, s28
	s_and_not1_b32 s27, s27, exec_lo
	s_and_b32 s29, s2, exec_lo
	s_mov_b64 s[2:3], s[30:31]
	s_or_b32 s27, s27, s29
	s_and_not1_b32 exec_lo, exec_lo, s28
	s_cbranch_execnz .LBB1541_100
; %bb.101:
	s_or_b32 exec_lo, exec_lo, s28
	v_mul_u64_e32 v[16:17], s[18:19], v[12:13]
	s_mov_b32 s29, 0
	s_mov_b64 s[2:3], s[4:5]
                                        ; implicit-def: $sgpr28
	s_delay_alu instid0(VALU_DEP_1) | instskip(NEXT) | instid1(VALU_DEP_1)
	v_lshl_add_u64 v[16:17], v[16:17], 2, s[8:9]
	v_mov_b64_e32 v[22:23], v[16:17]
.LBB1541_102:                           ; =>This Inner Loop Header: Depth=1
	global_load_b32 v24, v[22:23], off
	global_load_b32 v25, v[20:21], off
	s_cmp_eq_u64 s[2:3], 0
	s_add_nc_u64 s[30:31], s[2:3], -1
	s_cselect_b32 s3, -1, 0
	s_wait_xcnt 0x1
	v_add_nc_u64_e32 v[22:23], 4, v[22:23]
	s_wait_xcnt 0x0
	v_add_nc_u64_e32 v[20:21], 4, v[20:21]
	s_wait_loadcnt 0x0
	v_cmp_ne_u32_e32 vcc_lo, v24, v25
	v_cmp_eq_u32_e64 s2, v24, v25
	s_or_b32 s3, vcc_lo, s3
	s_delay_alu instid0(SALU_CYCLE_1) | instskip(NEXT) | instid1(SALU_CYCLE_1)
	s_and_b32 s3, exec_lo, s3
	s_or_b32 s29, s3, s29
	s_and_not1_b32 s28, s28, exec_lo
	s_and_b32 s33, s2, exec_lo
	s_mov_b64 s[2:3], s[30:31]
	s_or_b32 s28, s28, s33
	s_and_not1_b32 exec_lo, exec_lo, s29
	s_cbranch_execnz .LBB1541_102
; %bb.103:
	s_or_b32 exec_lo, exec_lo, s29
	v_mul_u64_e32 v[20:21], s[18:19], v[10:11]
	s_mov_b32 s29, 0
                                        ; implicit-def: $sgpr3
	s_delay_alu instid0(VALU_DEP_1)
	v_lshl_add_u64 v[20:21], v[20:21], 2, s[8:9]
.LBB1541_104:                           ; =>This Inner Loop Header: Depth=1
	global_load_b32 v22, v[20:21], off
	global_load_b32 v23, v[16:17], off
	s_cmp_eq_u64 s[4:5], 0
	s_add_nc_u64 s[30:31], s[4:5], -1
	s_cselect_b32 s4, -1, 0
	s_wait_xcnt 0x1
	v_add_nc_u64_e32 v[20:21], 4, v[20:21]
	s_wait_xcnt 0x0
	v_add_nc_u64_e32 v[16:17], 4, v[16:17]
	s_wait_loadcnt 0x0
	v_cmp_ne_u32_e32 vcc_lo, v22, v23
	v_cmp_eq_u32_e64 s2, v22, v23
	s_or_b32 s4, vcc_lo, s4
	s_delay_alu instid0(SALU_CYCLE_1) | instskip(NEXT) | instid1(SALU_CYCLE_1)
	s_and_b32 s4, exec_lo, s4
	s_or_b32 s29, s4, s29
	s_and_not1_b32 s3, s3, exec_lo
	s_and_b32 s2, s2, exec_lo
	s_mov_b64 s[4:5], s[30:31]
	s_or_b32 s3, s3, s2
	s_and_not1_b32 exec_lo, exec_lo, s29
	s_cbranch_execnz .LBB1541_104
; %bb.105:
	s_or_b32 exec_lo, exec_lo, s29
	s_xor_b32 s2, s27, -1
	s_delay_alu instid0(SALU_CYCLE_1) | instskip(SKIP_1) | instid1(SALU_CYCLE_1)
	v_cndmask_b32_e64 v16, 0, 1, s2
	s_xor_b32 s2, s28, -1
	v_cndmask_b32_e64 v17, 0, 1, s2
	s_xor_b32 s2, s25, -1
	s_delay_alu instid0(VALU_DEP_2) | instskip(SKIP_2) | instid1(SALU_CYCLE_1)
	v_lshlrev_b16 v16, 8, v16
	v_cndmask_b32_e64 v31, 0, 1, s2
	s_xor_b32 s2, s24, -1
	v_cndmask_b32_e64 v30, 0, 1, s2
	s_delay_alu instid0(VALU_DEP_3) | instskip(SKIP_1) | instid1(VALU_DEP_1)
	v_lshrrev_b32_e32 v16, 8, v16
	s_xor_b32 s2, s26, -1
	v_and_b32_e32 v16, 1, v16
	s_delay_alu instid0(VALU_DEP_1) | instskip(NEXT) | instid1(VALU_DEP_1)
	v_lshlrev_b16 v16, 8, v16
	v_or_b32_e32 v16, v17, v16
	v_cndmask_b32_e64 v17, 0, 1, s2
	s_xor_b32 s2, s3, -1
	s_delay_alu instid0(VALU_DEP_2)
	v_lshlrev_b32_e32 v16, 16, v16
	s_branch .LBB1541_108
.LBB1541_106:
	s_wait_kmcnt 0x0
                                        ; implicit-def: $sgpr2
                                        ; implicit-def: $vgpr30
                                        ; implicit-def: $vgpr31
                                        ; implicit-def: $vgpr17
                                        ; implicit-def: $vgpr21
                                        ; implicit-def: $vgpr33
                                        ; implicit-def: $vgpr32
                                        ; implicit-def: $vgpr20
	s_cbranch_execnz .LBB1541_115
	s_branch .LBB1541_160
.LBB1541_107:
	v_dual_mov_b32 v16, 0 :: v_dual_mov_b32 v30, 0
	v_dual_mov_b32 v31, 0 :: v_dual_mov_b32 v17, 0
	s_mov_b32 s2, 0
.LBB1541_108:
	s_delay_alu instid0(VALU_DEP_1)
	v_dual_lshrrev_b32 v32, 16, v16 :: v_dual_lshrrev_b32 v20, 24, v16
	v_cndmask_b32_e64 v33, 0, 1, s2
	v_mov_b32_e32 v16, 1
	s_wait_kmcnt 0x0
	s_mov_b32 s4, 0
	s_wait_dscnt 0x0
	s_barrier_signal -1
	s_barrier_wait -1
                                        ; implicit-def: $sgpr2
                                        ; implicit-def: $vgpr21
	s_mov_b32 s3, exec_lo
	v_cmpx_ne_u32_e32 0, v0
	s_xor_b32 s5, exec_lo, s3
	s_cbranch_execz .LBB1541_114
; %bb.109:
	v_lshlrev_b16 v21, 8, v20
	v_lshlrev_b16 v22, 8, v33
	s_and_not1_b32 vcc_lo, exec_lo, s7
	s_mov_b32 s2, 0
	s_delay_alu instid0(VALU_DEP_2) | instskip(NEXT) | instid1(VALU_DEP_1)
	v_bitop3_b16 v21, v32, v21, 0xff bitop3:0xec
	v_dual_lshlrev_b32 v21, 16, v21 :: v_dual_bitop2_b32 v22, 1, v22 bitop3:0x54
	s_delay_alu instid0(VALU_DEP_1) | instskip(NEXT) | instid1(VALU_DEP_1)
	v_and_b32_e32 v22, 0xffff, v22
	v_or_b32_e32 v21, v22, v21
	s_cbranch_vccnz .LBB1541_113
; %bb.110:
	v_add_nc_u32_e32 v22, -8, v26
	v_mul_u64_e32 v[24:25], s[18:19], v[10:11]
	s_add_nc_u64 s[2:3], s[18:19], -1
	s_mov_b32 s24, 0
                                        ; implicit-def: $sgpr25
	ds_load_b64 v[22:23], v22
	s_wait_dscnt 0x0
	v_mul_u64_e32 v[22:23], s[18:19], v[22:23]
	v_lshl_add_u64 v[24:25], v[24:25], 2, s[8:9]
	s_delay_alu instid0(VALU_DEP_2)
	v_lshl_add_u64 v[22:23], v[22:23], 2, s[8:9]
.LBB1541_111:                           ; =>This Inner Loop Header: Depth=1
	global_load_b32 v27, v[22:23], off
	global_load_b32 v28, v[24:25], off
	s_cmp_eq_u64 s[2:3], 0
	s_add_nc_u64 s[26:27], s[2:3], -1
	s_cselect_b32 s3, -1, 0
	s_wait_xcnt 0x1
	v_add_nc_u64_e32 v[22:23], 4, v[22:23]
	s_wait_xcnt 0x0
	v_add_nc_u64_e32 v[24:25], 4, v[24:25]
	s_wait_loadcnt 0x0
	v_cmp_ne_u32_e32 vcc_lo, v27, v28
	v_cmp_eq_u32_e64 s2, v27, v28
	s_or_b32 s3, vcc_lo, s3
	s_delay_alu instid0(SALU_CYCLE_1) | instskip(NEXT) | instid1(SALU_CYCLE_1)
	s_and_b32 s3, exec_lo, s3
	s_or_b32 s24, s3, s24
	s_and_not1_b32 s25, s25, exec_lo
	s_and_b32 s28, s2, exec_lo
	s_mov_b64 s[2:3], s[26:27]
	s_or_b32 s25, s25, s28
	s_and_not1_b32 exec_lo, exec_lo, s24
	s_cbranch_execnz .LBB1541_111
; %bb.112:
	s_or_b32 exec_lo, exec_lo, s24
	s_xor_b32 s2, s25, -1
.LBB1541_113:
	s_delay_alu instid0(VALU_DEP_1)
	v_perm_b32 v21, v21, v21, 0x3020104
	s_or_b32 s6, s6, exec_lo
.LBB1541_114:
	s_or_b32 exec_lo, exec_lo, s5
	s_delay_alu instid0(SALU_CYCLE_1)
	s_and_b32 vcc_lo, exec_lo, s4
	s_cbranch_vccz .LBB1541_160
.LBB1541_115:
	v_add_nc_u32_e32 v16, 6, v19
	s_mov_b32 s5, 0
	s_mov_b32 s4, 0
	s_mov_b32 s24, exec_lo
	s_delay_alu instid0(VALU_DEP_1)
	v_cmpx_gt_u32_e64 s21, v16
	s_cbranch_execz .LBB1541_121
; %bb.116:
	s_and_not1_b32 vcc_lo, exec_lo, s7
	s_mov_b32 s2, 0
	s_cbranch_vccnz .LBB1541_120
; %bb.117:
	v_mul_u64_e32 v[16:17], s[18:19], v[4:5]
	v_mul_u64_e32 v[20:21], s[18:19], v[14:15]
	s_add_nc_u64 s[2:3], s[18:19], -1
                                        ; implicit-def: $sgpr25
	s_delay_alu instid0(VALU_DEP_2) | instskip(NEXT) | instid1(VALU_DEP_2)
	v_lshl_add_u64 v[16:17], v[16:17], 2, s[8:9]
	v_lshl_add_u64 v[20:21], v[20:21], 2, s[8:9]
.LBB1541_118:                           ; =>This Inner Loop Header: Depth=1
	global_load_b32 v22, v[16:17], off
	global_load_b32 v23, v[20:21], off
	s_cmp_eq_u64 s[2:3], 0
	s_add_nc_u64 s[26:27], s[2:3], -1
	s_cselect_b32 s3, -1, 0
	s_wait_xcnt 0x1
	v_add_nc_u64_e32 v[16:17], 4, v[16:17]
	s_wait_xcnt 0x0
	v_add_nc_u64_e32 v[20:21], 4, v[20:21]
	s_wait_loadcnt 0x0
	v_cmp_ne_u32_e32 vcc_lo, v22, v23
	v_cmp_eq_u32_e64 s2, v22, v23
	s_or_b32 s3, vcc_lo, s3
	s_delay_alu instid0(SALU_CYCLE_1) | instskip(NEXT) | instid1(SALU_CYCLE_1)
	s_and_b32 s3, exec_lo, s3
	s_or_b32 s4, s3, s4
	s_and_not1_b32 s25, s25, exec_lo
	s_and_b32 s28, s2, exec_lo
	s_mov_b64 s[2:3], s[26:27]
	s_or_b32 s25, s25, s28
	s_and_not1_b32 exec_lo, exec_lo, s4
	s_cbranch_execnz .LBB1541_118
; %bb.119:
	s_or_b32 exec_lo, exec_lo, s4
	s_xor_b32 s2, s25, -1
.LBB1541_120:
	s_delay_alu instid0(SALU_CYCLE_1)
	s_and_b32 s4, s2, exec_lo
.LBB1541_121:
	s_or_b32 exec_lo, exec_lo, s24
	v_add_nc_u32_e32 v16, 5, v19
	s_mov_b32 s24, exec_lo
	s_delay_alu instid0(VALU_DEP_1)
	v_cmpx_gt_u32_e64 s21, v16
	s_cbranch_execz .LBB1541_127
; %bb.122:
	s_and_not1_b32 vcc_lo, exec_lo, s7
	s_mov_b32 s2, 0
	s_cbranch_vccnz .LBB1541_126
; %bb.123:
	v_mul_u64_e32 v[16:17], s[18:19], v[2:3]
	v_mul_u64_e32 v[20:21], s[18:19], v[4:5]
	s_add_nc_u64 s[2:3], s[18:19], -1
	s_mov_b32 s5, 0
                                        ; implicit-def: $sgpr25
	s_delay_alu instid0(VALU_DEP_2) | instskip(NEXT) | instid1(VALU_DEP_2)
	v_lshl_add_u64 v[16:17], v[16:17], 2, s[8:9]
	v_lshl_add_u64 v[20:21], v[20:21], 2, s[8:9]
.LBB1541_124:                           ; =>This Inner Loop Header: Depth=1
	global_load_b32 v22, v[16:17], off
	global_load_b32 v23, v[20:21], off
	s_cmp_eq_u64 s[2:3], 0
	s_add_nc_u64 s[26:27], s[2:3], -1
	s_cselect_b32 s3, -1, 0
	s_wait_xcnt 0x1
	v_add_nc_u64_e32 v[16:17], 4, v[16:17]
	s_wait_xcnt 0x0
	v_add_nc_u64_e32 v[20:21], 4, v[20:21]
	s_wait_loadcnt 0x0
	v_cmp_ne_u32_e32 vcc_lo, v22, v23
	v_cmp_eq_u32_e64 s2, v22, v23
	s_or_b32 s3, vcc_lo, s3
	s_delay_alu instid0(SALU_CYCLE_1) | instskip(NEXT) | instid1(SALU_CYCLE_1)
	s_and_b32 s3, exec_lo, s3
	s_or_b32 s5, s3, s5
	s_and_not1_b32 s25, s25, exec_lo
	s_and_b32 s28, s2, exec_lo
	s_mov_b64 s[2:3], s[26:27]
	s_or_b32 s25, s25, s28
	s_and_not1_b32 exec_lo, exec_lo, s5
	s_cbranch_execnz .LBB1541_124
; %bb.125:
	s_or_b32 exec_lo, exec_lo, s5
	s_xor_b32 s2, s25, -1
.LBB1541_126:
	s_delay_alu instid0(SALU_CYCLE_1)
	s_and_b32 s5, s2, exec_lo
.LBB1541_127:
	s_or_b32 exec_lo, exec_lo, s24
	v_add_nc_u32_e32 v16, 4, v19
	s_mov_b32 s24, 0
	s_mov_b32 s25, 0
	s_mov_b32 s26, exec_lo
	s_delay_alu instid0(VALU_DEP_1)
	v_cmpx_gt_u32_e64 s21, v16
	s_cbranch_execz .LBB1541_133
; %bb.128:
	s_and_not1_b32 vcc_lo, exec_lo, s7
	s_mov_b32 s2, 0
	s_cbranch_vccnz .LBB1541_132
; %bb.129:
	v_mul_u64_e32 v[16:17], s[18:19], v[8:9]
	v_mul_u64_e32 v[20:21], s[18:19], v[2:3]
	s_add_nc_u64 s[2:3], s[18:19], -1
                                        ; implicit-def: $sgpr27
	s_delay_alu instid0(VALU_DEP_2) | instskip(NEXT) | instid1(VALU_DEP_2)
	v_lshl_add_u64 v[16:17], v[16:17], 2, s[8:9]
	v_lshl_add_u64 v[20:21], v[20:21], 2, s[8:9]
.LBB1541_130:                           ; =>This Inner Loop Header: Depth=1
	global_load_b32 v22, v[16:17], off
	global_load_b32 v23, v[20:21], off
	s_cmp_eq_u64 s[2:3], 0
	s_add_nc_u64 s[28:29], s[2:3], -1
	s_cselect_b32 s3, -1, 0
	s_wait_xcnt 0x1
	v_add_nc_u64_e32 v[16:17], 4, v[16:17]
	s_wait_xcnt 0x0
	v_add_nc_u64_e32 v[20:21], 4, v[20:21]
	s_wait_loadcnt 0x0
	v_cmp_ne_u32_e32 vcc_lo, v22, v23
	v_cmp_eq_u32_e64 s2, v22, v23
	s_or_b32 s3, vcc_lo, s3
	s_delay_alu instid0(SALU_CYCLE_1) | instskip(NEXT) | instid1(SALU_CYCLE_1)
	s_and_b32 s3, exec_lo, s3
	s_or_b32 s25, s3, s25
	s_and_not1_b32 s27, s27, exec_lo
	s_and_b32 s30, s2, exec_lo
	s_mov_b64 s[2:3], s[28:29]
	s_or_b32 s27, s27, s30
	s_and_not1_b32 exec_lo, exec_lo, s25
	s_cbranch_execnz .LBB1541_130
; %bb.131:
	s_or_b32 exec_lo, exec_lo, s25
	s_xor_b32 s2, s27, -1
.LBB1541_132:
	s_delay_alu instid0(SALU_CYCLE_1)
	s_and_b32 s25, s2, exec_lo
.LBB1541_133:
	s_or_b32 exec_lo, exec_lo, s26
	v_add_nc_u32_e32 v16, 3, v19
	s_mov_b32 s26, exec_lo
	s_delay_alu instid0(VALU_DEP_1)
	v_cmpx_gt_u32_e64 s21, v16
	s_cbranch_execz .LBB1541_139
; %bb.134:
	s_and_not1_b32 vcc_lo, exec_lo, s7
	s_mov_b32 s2, 0
	s_cbranch_vccnz .LBB1541_138
; %bb.135:
	v_mul_u64_e32 v[16:17], s[18:19], v[6:7]
	v_mul_u64_e32 v[20:21], s[18:19], v[8:9]
	s_add_nc_u64 s[2:3], s[18:19], -1
	s_mov_b32 s24, 0
                                        ; implicit-def: $sgpr27
	s_delay_alu instid0(VALU_DEP_2) | instskip(NEXT) | instid1(VALU_DEP_2)
	v_lshl_add_u64 v[16:17], v[16:17], 2, s[8:9]
	v_lshl_add_u64 v[20:21], v[20:21], 2, s[8:9]
.LBB1541_136:                           ; =>This Inner Loop Header: Depth=1
	global_load_b32 v22, v[16:17], off
	global_load_b32 v23, v[20:21], off
	s_cmp_eq_u64 s[2:3], 0
	s_add_nc_u64 s[28:29], s[2:3], -1
	s_cselect_b32 s3, -1, 0
	s_wait_xcnt 0x1
	v_add_nc_u64_e32 v[16:17], 4, v[16:17]
	s_wait_xcnt 0x0
	v_add_nc_u64_e32 v[20:21], 4, v[20:21]
	s_wait_loadcnt 0x0
	v_cmp_ne_u32_e32 vcc_lo, v22, v23
	v_cmp_eq_u32_e64 s2, v22, v23
	s_or_b32 s3, vcc_lo, s3
	s_delay_alu instid0(SALU_CYCLE_1) | instskip(NEXT) | instid1(SALU_CYCLE_1)
	s_and_b32 s3, exec_lo, s3
	s_or_b32 s24, s3, s24
	s_and_not1_b32 s27, s27, exec_lo
	s_and_b32 s30, s2, exec_lo
	s_mov_b64 s[2:3], s[28:29]
	s_or_b32 s27, s27, s30
	s_and_not1_b32 exec_lo, exec_lo, s24
	s_cbranch_execnz .LBB1541_136
; %bb.137:
	s_or_b32 exec_lo, exec_lo, s24
	s_xor_b32 s2, s27, -1
.LBB1541_138:
	s_delay_alu instid0(SALU_CYCLE_1)
	s_and_b32 s24, s2, exec_lo
.LBB1541_139:
	s_or_b32 exec_lo, exec_lo, s26
	v_add_nc_u32_e32 v16, 2, v19
	s_mov_b32 s26, 0
	s_mov_b32 s27, 0
	s_mov_b32 s28, exec_lo
	s_delay_alu instid0(VALU_DEP_1)
	v_cmpx_gt_u32_e64 s21, v16
	s_cbranch_execz .LBB1541_145
; %bb.140:
	s_and_not1_b32 vcc_lo, exec_lo, s7
	s_mov_b32 s2, 0
	s_cbranch_vccnz .LBB1541_144
; %bb.141:
	v_mul_u64_e32 v[16:17], s[18:19], v[12:13]
	v_mul_u64_e32 v[20:21], s[18:19], v[6:7]
	s_add_nc_u64 s[2:3], s[18:19], -1
                                        ; implicit-def: $sgpr29
	s_delay_alu instid0(VALU_DEP_2) | instskip(NEXT) | instid1(VALU_DEP_2)
	v_lshl_add_u64 v[16:17], v[16:17], 2, s[8:9]
	v_lshl_add_u64 v[20:21], v[20:21], 2, s[8:9]
.LBB1541_142:                           ; =>This Inner Loop Header: Depth=1
	global_load_b32 v22, v[16:17], off
	global_load_b32 v23, v[20:21], off
	s_cmp_eq_u64 s[2:3], 0
	s_add_nc_u64 s[30:31], s[2:3], -1
	s_cselect_b32 s3, -1, 0
	s_wait_xcnt 0x1
	v_add_nc_u64_e32 v[16:17], 4, v[16:17]
	s_wait_xcnt 0x0
	v_add_nc_u64_e32 v[20:21], 4, v[20:21]
	s_wait_loadcnt 0x0
	v_cmp_ne_u32_e32 vcc_lo, v22, v23
	v_cmp_eq_u32_e64 s2, v22, v23
	s_or_b32 s3, vcc_lo, s3
	s_delay_alu instid0(SALU_CYCLE_1) | instskip(NEXT) | instid1(SALU_CYCLE_1)
	s_and_b32 s3, exec_lo, s3
	s_or_b32 s27, s3, s27
	s_and_not1_b32 s29, s29, exec_lo
	s_and_b32 s33, s2, exec_lo
	s_mov_b64 s[2:3], s[30:31]
	s_or_b32 s29, s29, s33
	s_and_not1_b32 exec_lo, exec_lo, s27
	s_cbranch_execnz .LBB1541_142
; %bb.143:
	s_or_b32 exec_lo, exec_lo, s27
	s_xor_b32 s2, s29, -1
.LBB1541_144:
	s_delay_alu instid0(SALU_CYCLE_1)
	s_and_b32 s27, s2, exec_lo
.LBB1541_145:
	s_or_b32 exec_lo, exec_lo, s28
	v_add_nc_u32_e32 v16, 1, v19
	s_mov_b32 s28, exec_lo
	s_delay_alu instid0(VALU_DEP_1)
	v_cmpx_gt_u32_e64 s21, v16
	s_cbranch_execz .LBB1541_151
; %bb.146:
	s_and_not1_b32 vcc_lo, exec_lo, s7
	s_mov_b32 s2, 0
	s_cbranch_vccnz .LBB1541_150
; %bb.147:
	v_mul_u64_e32 v[16:17], s[18:19], v[10:11]
	v_mul_u64_e32 v[20:21], s[18:19], v[12:13]
	s_add_nc_u64 s[2:3], s[18:19], -1
	s_mov_b32 s26, 0
                                        ; implicit-def: $sgpr29
	s_delay_alu instid0(VALU_DEP_2) | instskip(NEXT) | instid1(VALU_DEP_2)
	v_lshl_add_u64 v[16:17], v[16:17], 2, s[8:9]
	v_lshl_add_u64 v[20:21], v[20:21], 2, s[8:9]
.LBB1541_148:                           ; =>This Inner Loop Header: Depth=1
	global_load_b32 v22, v[16:17], off
	global_load_b32 v23, v[20:21], off
	s_cmp_eq_u64 s[2:3], 0
	s_add_nc_u64 s[30:31], s[2:3], -1
	s_cselect_b32 s3, -1, 0
	s_wait_xcnt 0x1
	v_add_nc_u64_e32 v[16:17], 4, v[16:17]
	s_wait_xcnt 0x0
	v_add_nc_u64_e32 v[20:21], 4, v[20:21]
	s_wait_loadcnt 0x0
	v_cmp_ne_u32_e32 vcc_lo, v22, v23
	v_cmp_eq_u32_e64 s2, v22, v23
	s_or_b32 s3, vcc_lo, s3
	s_delay_alu instid0(SALU_CYCLE_1) | instskip(NEXT) | instid1(SALU_CYCLE_1)
	s_and_b32 s3, exec_lo, s3
	s_or_b32 s26, s3, s26
	s_and_not1_b32 s29, s29, exec_lo
	s_and_b32 s33, s2, exec_lo
	s_mov_b64 s[2:3], s[30:31]
	s_or_b32 s29, s29, s33
	s_and_not1_b32 exec_lo, exec_lo, s26
	s_cbranch_execnz .LBB1541_148
; %bb.149:
	s_or_b32 exec_lo, exec_lo, s26
	s_xor_b32 s2, s29, -1
.LBB1541_150:
	s_delay_alu instid0(SALU_CYCLE_1)
	s_and_b32 s26, s2, exec_lo
.LBB1541_151:
	s_or_b32 exec_lo, exec_lo, s28
	v_cndmask_b32_e64 v17, 0, 1, s25
	v_cndmask_b32_e64 v31, 0, 1, s5
	;; [unrolled: 1-line block ×6, first 2 shown]
	v_mov_b32_e32 v16, 1
	s_mov_b32 s2, 0
	s_mov_b32 s4, exec_lo
	s_wait_dscnt 0x0
	s_barrier_signal -1
	s_barrier_wait -1
                                        ; implicit-def: $vgpr21
	v_cmpx_ne_u32_e32 0, v0
	s_cbranch_execz .LBB1541_159
; %bb.152:
	v_lshlrev_b16 v21, 8, v33
	v_lshlrev_b16 v22, 8, v20
	s_mov_b32 s5, exec_lo
	s_delay_alu instid0(VALU_DEP_1) | instskip(NEXT) | instid1(VALU_DEP_1)
	v_or_b32_e32 v22, v32, v22
	v_dual_lshlrev_b32 v22, 16, v22 :: v_dual_bitop2_b32 v21, 1, v21 bitop3:0x54
	s_delay_alu instid0(VALU_DEP_1) | instskip(NEXT) | instid1(VALU_DEP_1)
	v_and_b32_e32 v21, 0xffff, v21
	v_or_b32_e32 v21, v21, v22
	v_cmpx_gt_u32_e64 s21, v19
	s_cbranch_execz .LBB1541_158
; %bb.153:
	s_and_not1_b32 vcc_lo, exec_lo, s7
	s_cbranch_vccnz .LBB1541_157
; %bb.154:
	v_add_nc_u32_e32 v22, -8, v26
	v_mul_u64_e32 v[24:25], s[18:19], v[10:11]
	s_add_nc_u64 s[2:3], s[18:19], -1
	s_mov_b32 s7, 0
	ds_load_b64 v[22:23], v22
	s_wait_dscnt 0x0
	v_mul_u64_e32 v[22:23], s[18:19], v[22:23]
	v_lshl_add_u64 v[24:25], v[24:25], 2, s[8:9]
	s_delay_alu instid0(VALU_DEP_2)
	v_lshl_add_u64 v[22:23], v[22:23], 2, s[8:9]
                                        ; implicit-def: $sgpr8
.LBB1541_155:                           ; =>This Inner Loop Header: Depth=1
	global_load_b32 v26, v[22:23], off
	global_load_b32 v27, v[24:25], off
	s_cmp_eq_u64 s[2:3], 0
	s_add_nc_u64 s[18:19], s[2:3], -1
	s_cselect_b32 s3, -1, 0
	s_wait_xcnt 0x1
	v_add_nc_u64_e32 v[22:23], 4, v[22:23]
	s_wait_xcnt 0x0
	v_add_nc_u64_e32 v[24:25], 4, v[24:25]
	s_wait_loadcnt 0x0
	v_cmp_ne_u32_e32 vcc_lo, v26, v27
	v_cmp_eq_u32_e64 s2, v26, v27
	s_or_b32 s3, vcc_lo, s3
	s_delay_alu instid0(SALU_CYCLE_1) | instskip(NEXT) | instid1(SALU_CYCLE_1)
	s_and_b32 s3, exec_lo, s3
	s_or_b32 s7, s3, s7
	s_and_not1_b32 s8, s8, exec_lo
	s_and_b32 s9, s2, exec_lo
	s_mov_b64 s[2:3], s[18:19]
	s_or_b32 s8, s8, s9
	s_and_not1_b32 exec_lo, exec_lo, s7
	s_cbranch_execnz .LBB1541_155
; %bb.156:
	s_or_b32 exec_lo, exec_lo, s7
	s_xor_b32 s2, s8, -1
.LBB1541_157:
	s_delay_alu instid0(SALU_CYCLE_1)
	s_and_b32 s2, s2, exec_lo
.LBB1541_158:
	s_or_b32 exec_lo, exec_lo, s5
	s_delay_alu instid0(VALU_DEP_2)
	v_perm_b32 v21, v21, v21, 0x3020104
	s_or_b32 s6, s6, exec_lo
.LBB1541_159:
	s_or_b32 exec_lo, exec_lo, s4
.LBB1541_160:
	s_and_saveexec_b32 s3, s6
; %bb.161:
	s_delay_alu instid0(VALU_DEP_1)
	v_dual_lshrrev_b32 v20, 24, v21 :: v_dual_lshrrev_b32 v32, 16, v21
	v_lshrrev_b32_e32 v33, 8, v21
	v_cndmask_b32_e64 v16, 0, 1, s2
; %bb.162:
	s_or_b32 exec_lo, exec_lo, s3
	s_delay_alu instid0(SALU_CYCLE_1)
	s_and_not1_b32 vcc_lo, exec_lo, s22
	s_cbranch_vccnz .LBB1541_166
; %bb.163:
	s_delay_alu instid0(VALU_DEP_1)
	v_perm_b32 v16, v16, v33, 0xc0c0004
	v_perm_b32 v20, v32, v20, 0xc0c0004
	v_cmp_gt_u32_e32 vcc_lo, s21, v19
	v_and_b32_e32 v22, 0xff, v30
	v_perm_b32 v17, v17, v31, 0xc0c0004
	v_add_nc_u32_e32 v21, 1, v19
	v_lshl_or_b32 v16, v20, 16, v16
	s_delay_alu instid0(VALU_DEP_1) | instskip(NEXT) | instid1(VALU_DEP_3)
	v_dual_cndmask_b32 v20, 0, v16 :: v_dual_add_nc_u32 v23, 4, v19
	v_cmp_gt_u32_e32 vcc_lo, s21, v21
	v_dual_lshlrev_b32 v21, 16, v22 :: v_dual_add_nc_u32 v22, 2, v19
	s_delay_alu instid0(VALU_DEP_3) | instskip(NEXT) | instid1(VALU_DEP_1)
	v_and_b32_e32 v20, 0xff, v20
	v_cndmask_b32_e32 v20, v20, v16, vcc_lo
	s_delay_alu instid0(VALU_DEP_3) | instskip(NEXT) | instid1(VALU_DEP_2)
	v_cmp_gt_u32_e32 vcc_lo, s21, v22
	v_and_b32_e32 v20, 0xffff, v20
	v_or_b32_e32 v24, v17, v21
	v_bitop3_b32 v17, v17, 0xffff00, v21 bitop3:0xc8
	s_delay_alu instid0(VALU_DEP_3) | instskip(SKIP_1) | instid1(VALU_DEP_2)
	v_dual_cndmask_b32 v20, v20, v16 :: v_dual_add_nc_u32 v21, 5, v19
	v_cmp_gt_u32_e32 vcc_lo, s21, v23
	v_cmp_gt_u32_e64 s2, s21, v21
	s_delay_alu instid0(VALU_DEP_3) | instskip(SKIP_3) | instid1(VALU_DEP_2)
	v_and_b32_e32 v20, 0xffffff, v20
	v_dual_cndmask_b32 v17, v17, v24 :: v_dual_add_nc_u32 v22, 3, v19
	s_or_b32 vcc_lo, s2, vcc_lo
	v_add_nc_u32_e32 v19, 6, v19
	v_cmp_gt_u32_e64 s3, s21, v22
	s_delay_alu instid0(VALU_DEP_3) | instskip(NEXT) | instid1(VALU_DEP_2)
	v_and_b32_e32 v17, 0xffff00ff, v17
	v_cndmask_b32_e64 v20, v20, v16, s3
	s_delay_alu instid0(VALU_DEP_2) | instskip(SKIP_1) | instid1(VALU_DEP_1)
	v_cndmask_b32_e64 v17, v17, v24, s2
	s_mov_b32 s2, exec_lo
	v_dual_cndmask_b32 v16, v20, v16, vcc_lo :: v_dual_lshrrev_b32 v30, 16, v17
	v_lshrrev_b32_e32 v31, 8, v17
	s_delay_alu instid0(VALU_DEP_2)
	v_lshrrev_b64 v[20:21], 24, v[16:17]
	v_dual_lshrrev_b32 v32, 16, v16 :: v_dual_lshrrev_b32 v33, 8, v16
	v_cmpx_le_u32_e64 s21, v19
; %bb.164:
	v_mov_b32_e32 v30, 0
; %bb.165:
	s_or_b32 exec_lo, exec_lo, s2
.LBB1541_166:
	s_delay_alu instid0(VALU_DEP_1)
	v_and_b32_e32 v19, 0xff, v16
	v_and_b32_e32 v21, 0xff, v33
	;; [unrolled: 1-line block ×5, first 2 shown]
	v_mbcnt_lo_u32_b32 v38, -1, 0
	v_and_b32_e32 v37, 0xff, v31
	v_add3_u32 v22, v21, v19, v34
	v_and_b32_e32 v23, 0xff, v30
	s_delay_alu instid0(VALU_DEP_4) | instskip(SKIP_1) | instid1(VALU_DEP_3)
	v_dual_lshrrev_b32 v39, 5, v0 :: v_dual_bitop2_b32 v24, 15, v38 bitop3:0x40
	s_and_b32 vcc_lo, exec_lo, s23
	v_add3_u32 v22, v22, v35, v36
	s_mov_b32 s8, -1
	s_wait_dscnt 0x0
	v_cmp_eq_u32_e64 s2, 0, v24
	s_wait_kmcnt 0x0
	v_cmp_lt_u32_e64 s4, 1, v24
	v_add3_u32 v40, v22, v37, v23
	v_and_b32_e32 v22, 16, v38
	v_or_b32_e32 v23, 31, v0
	v_cmp_lt_u32_e64 s5, 3, v24
	v_cmp_lt_u32_e64 s3, 7, v24
	s_barrier_signal -1
	v_cmp_eq_u32_e64 s7, 0, v22
	v_cmp_eq_u32_e64 s6, v0, v23
	s_barrier_wait -1
                                        ; implicit-def: $vgpr25
                                        ; implicit-def: $vgpr26
                                        ; implicit-def: $vgpr27
                                        ; implicit-def: $vgpr28
                                        ; implicit-def: $vgpr29
                                        ; implicit-def: $vgpr41
                                        ; implicit-def: $vgpr42
                                        ; implicit-def: $vgpr24
                                        ; implicit-def: $vgpr22
	s_cbranch_vccz .LBB1541_193
; %bb.167:
	v_mov_b32_dpp v22, v40 row_shr:1 row_mask:0xf bank_mask:0xf
	s_delay_alu instid0(VALU_DEP_1) | instskip(NEXT) | instid1(VALU_DEP_1)
	v_cndmask_b32_e64 v22, v22, 0, s2
	v_add_nc_u32_e32 v22, v22, v40
	s_delay_alu instid0(VALU_DEP_1) | instskip(NEXT) | instid1(VALU_DEP_1)
	v_mov_b32_dpp v23, v22 row_shr:2 row_mask:0xf bank_mask:0xf
	v_cndmask_b32_e64 v23, 0, v23, s4
	s_delay_alu instid0(VALU_DEP_1) | instskip(NEXT) | instid1(VALU_DEP_1)
	v_add_nc_u32_e32 v22, v22, v23
	v_mov_b32_dpp v23, v22 row_shr:4 row_mask:0xf bank_mask:0xf
	s_delay_alu instid0(VALU_DEP_1) | instskip(NEXT) | instid1(VALU_DEP_1)
	v_cndmask_b32_e64 v23, 0, v23, s5
	v_add_nc_u32_e32 v22, v22, v23
	s_delay_alu instid0(VALU_DEP_1) | instskip(NEXT) | instid1(VALU_DEP_1)
	v_mov_b32_dpp v23, v22 row_shr:8 row_mask:0xf bank_mask:0xf
	v_cndmask_b32_e64 v23, 0, v23, s3
	s_delay_alu instid0(VALU_DEP_1) | instskip(SKIP_3) | instid1(VALU_DEP_1)
	v_add_nc_u32_e32 v22, v22, v23
	ds_swizzle_b32 v23, v22 offset:swizzle(BROADCAST,32,15)
	s_wait_dscnt 0x0
	v_cndmask_b32_e64 v23, v23, 0, s7
	v_add_nc_u32_e32 v22, v22, v23
	s_and_saveexec_b32 s8, s6
; %bb.168:
	v_lshlrev_b32_e32 v23, 2, v39
	ds_store_b32 v23, v22
; %bb.169:
	s_or_b32 exec_lo, exec_lo, s8
	s_delay_alu instid0(SALU_CYCLE_1)
	s_mov_b32 s8, exec_lo
	s_wait_dscnt 0x0
	s_barrier_signal -1
	s_barrier_wait -1
	v_cmpx_gt_u32_e32 16, v0
	s_cbranch_execz .LBB1541_171
; %bb.170:
	v_lshlrev_b32_e32 v23, 2, v0
	ds_load_b32 v24, v23
	s_wait_dscnt 0x0
	v_mov_b32_dpp v25, v24 row_shr:1 row_mask:0xf bank_mask:0xf
	s_delay_alu instid0(VALU_DEP_1) | instskip(NEXT) | instid1(VALU_DEP_1)
	v_cndmask_b32_e64 v25, v25, 0, s2
	v_add_nc_u32_e32 v24, v25, v24
	s_delay_alu instid0(VALU_DEP_1) | instskip(NEXT) | instid1(VALU_DEP_1)
	v_mov_b32_dpp v25, v24 row_shr:2 row_mask:0xf bank_mask:0xf
	v_cndmask_b32_e64 v25, 0, v25, s4
	s_delay_alu instid0(VALU_DEP_1) | instskip(NEXT) | instid1(VALU_DEP_1)
	v_add_nc_u32_e32 v24, v24, v25
	v_mov_b32_dpp v25, v24 row_shr:4 row_mask:0xf bank_mask:0xf
	s_delay_alu instid0(VALU_DEP_1) | instskip(NEXT) | instid1(VALU_DEP_1)
	v_cndmask_b32_e64 v25, 0, v25, s5
	v_add_nc_u32_e32 v24, v24, v25
	s_delay_alu instid0(VALU_DEP_1) | instskip(NEXT) | instid1(VALU_DEP_1)
	v_mov_b32_dpp v25, v24 row_shr:8 row_mask:0xf bank_mask:0xf
	v_cndmask_b32_e64 v25, 0, v25, s3
	s_delay_alu instid0(VALU_DEP_1)
	v_add_nc_u32_e32 v24, v24, v25
	ds_store_b32 v23, v24
.LBB1541_171:
	s_or_b32 exec_lo, exec_lo, s8
	s_delay_alu instid0(SALU_CYCLE_1)
	s_mov_b32 s9, exec_lo
	v_cmp_gt_u32_e32 vcc_lo, 32, v0
	s_wait_dscnt 0x0
	s_barrier_signal -1
	s_barrier_wait -1
                                        ; implicit-def: $vgpr41
	v_cmpx_lt_u32_e32 31, v0
	s_cbranch_execz .LBB1541_173
; %bb.172:
	v_lshl_add_u32 v23, v39, 2, -4
	ds_load_b32 v41, v23
	s_wait_dscnt 0x0
	v_add_nc_u32_e32 v22, v41, v22
.LBB1541_173:
	s_or_b32 exec_lo, exec_lo, s9
	v_sub_co_u32 v23, s8, v38, 1
	s_delay_alu instid0(VALU_DEP_1) | instskip(NEXT) | instid1(VALU_DEP_1)
	v_cmp_gt_i32_e64 s9, 0, v23
	v_cndmask_b32_e64 v23, v23, v38, s9
	s_delay_alu instid0(VALU_DEP_1)
	v_lshlrev_b32_e32 v23, 2, v23
	ds_bpermute_b32 v42, v23, v22
	s_and_saveexec_b32 s9, vcc_lo
	s_cbranch_execz .LBB1541_192
; %bb.174:
	v_mov_b32_e32 v29, 0
	ds_load_b32 v22, v29 offset:60
	s_and_saveexec_b32 s18, s8
	s_cbranch_execz .LBB1541_176
; %bb.175:
	s_add_co_i32 s19, s20, 32
	s_delay_alu instid0(SALU_CYCLE_1)
	v_dual_mov_b32 v23, 1 :: v_dual_mov_b32 v24, s19
	s_wait_dscnt 0x0
	global_store_b64 v24, v[22:23], s[10:11] scale_offset scope:SCOPE_DEV
.LBB1541_176:
	s_wait_xcnt 0x0
	s_or_b32 exec_lo, exec_lo, s18
	v_xad_u32 v24, v38, -1, s20
	s_mov_b32 s19, 0
	s_mov_b32 s18, exec_lo
	s_delay_alu instid0(VALU_DEP_1) | instskip(SKIP_4) | instid1(VALU_DEP_1)
	v_add_nc_u32_e32 v28, 32, v24
	global_load_b64 v[26:27], v28, s[10:11] scale_offset scope:SCOPE_DEV
	s_wait_loadcnt 0x0
	v_and_b32_e32 v23, 0xff, v27
	s_wait_xcnt 0x0
	v_cmpx_eq_u16_e32 0, v23
	s_cbranch_execz .LBB1541_180
; %bb.177:
	v_lshl_add_u64 v[28:29], v[28:29], 3, s[10:11]
.LBB1541_178:                           ; =>This Inner Loop Header: Depth=1
	global_load_b64 v[26:27], v[28:29], off scope:SCOPE_DEV
	s_wait_loadcnt 0x0
	v_and_b32_e32 v23, 0xff, v27
	s_delay_alu instid0(VALU_DEP_1)
	v_cmp_ne_u16_e32 vcc_lo, 0, v23
	s_or_b32 s19, vcc_lo, s19
	s_wait_xcnt 0x0
	s_and_not1_b32 exec_lo, exec_lo, s19
	s_cbranch_execnz .LBB1541_178
; %bb.179:
	s_or_b32 exec_lo, exec_lo, s19
.LBB1541_180:
	s_delay_alu instid0(SALU_CYCLE_1)
	s_or_b32 exec_lo, exec_lo, s18
	v_cmp_ne_u32_e32 vcc_lo, 31, v38
	v_lshlrev_b32_e64 v44, v38, -1
	v_dual_add_nc_u32 v46, 2, v38 :: v_dual_add_nc_u32 v48, 4, v38
	v_dual_add_nc_u32 v50, 8, v38 :: v_dual_add_nc_u32 v52, 16, v38
	v_add_co_ci_u32_e64 v23, null, 0, v38, vcc_lo
	v_lshl_or_b32 v51, v38, 2, 64
	s_delay_alu instid0(VALU_DEP_2)
	v_lshlrev_b32_e32 v43, 2, v23
	v_and_b32_e32 v23, 0xff, v27
	ds_bpermute_b32 v25, v43, v26
	v_cmp_eq_u16_e32 vcc_lo, 2, v23
	v_and_or_b32 v23, vcc_lo, v44, 0x80000000
	v_cmp_gt_u32_e32 vcc_lo, 30, v38
	s_delay_alu instid0(VALU_DEP_2) | instskip(SKIP_1) | instid1(VALU_DEP_2)
	v_ctz_i32_b32_e32 v23, v23
	v_cndmask_b32_e64 v28, 0, 2, vcc_lo
	v_cmp_lt_u32_e32 vcc_lo, v38, v23
	s_delay_alu instid0(VALU_DEP_2)
	v_add_lshl_u32 v45, v28, v38, 2
	s_wait_dscnt 0x0
	v_cndmask_b32_e32 v25, 0, v25, vcc_lo
	v_cmp_gt_u32_e32 vcc_lo, 28, v38
	v_cndmask_b32_e64 v28, 0, 4, vcc_lo
	v_cmp_le_u32_e32 vcc_lo, v46, v23
	s_delay_alu instid0(VALU_DEP_4) | instskip(NEXT) | instid1(VALU_DEP_3)
	v_add_nc_u32_e32 v25, v25, v26
	v_add_lshl_u32 v47, v28, v38, 2
	ds_bpermute_b32 v26, v45, v25
	s_wait_dscnt 0x0
	v_cndmask_b32_e32 v26, 0, v26, vcc_lo
	v_cmp_gt_u32_e32 vcc_lo, 24, v38
	v_cndmask_b32_e64 v28, 0, 8, vcc_lo
	v_cmp_le_u32_e32 vcc_lo, v48, v23
	s_delay_alu instid0(VALU_DEP_4) | instskip(NEXT) | instid1(VALU_DEP_3)
	v_add_nc_u32_e32 v25, v25, v26
	v_add_lshl_u32 v49, v28, v38, 2
	ds_bpermute_b32 v26, v47, v25
	s_wait_dscnt 0x0
	v_cndmask_b32_e32 v26, 0, v26, vcc_lo
	v_cmp_le_u32_e32 vcc_lo, v50, v23
	s_delay_alu instid0(VALU_DEP_2) | instskip(SKIP_4) | instid1(VALU_DEP_2)
	v_add_nc_u32_e32 v25, v25, v26
	ds_bpermute_b32 v26, v49, v25
	s_wait_dscnt 0x0
	v_cndmask_b32_e32 v26, 0, v26, vcc_lo
	v_cmp_le_u32_e32 vcc_lo, v52, v23
	v_add_nc_u32_e32 v25, v25, v26
	ds_bpermute_b32 v26, v51, v25
	s_wait_dscnt 0x0
	v_cndmask_b32_e32 v23, 0, v26, vcc_lo
	s_delay_alu instid0(VALU_DEP_1)
	v_dual_mov_b32 v25, 0 :: v_dual_add_nc_u32 v26, v25, v23
	s_branch .LBB1541_183
.LBB1541_181:                           ;   in Loop: Header=BB1541_183 Depth=1
	s_or_b32 exec_lo, exec_lo, s18
	v_and_b32_e32 v28, 0xff, v27
	ds_bpermute_b32 v29, v43, v26
	v_subrev_nc_u32_e32 v24, 32, v24
	s_mov_b32 s18, 0
	v_cmp_eq_u16_e32 vcc_lo, 2, v28
	v_and_or_b32 v28, vcc_lo, v44, 0x80000000
	s_delay_alu instid0(VALU_DEP_1) | instskip(NEXT) | instid1(VALU_DEP_1)
	v_ctz_i32_b32_e32 v28, v28
	v_cmp_lt_u32_e32 vcc_lo, v38, v28
	s_wait_dscnt 0x0
	v_cndmask_b32_e32 v29, 0, v29, vcc_lo
	v_cmp_le_u32_e32 vcc_lo, v46, v28
	s_delay_alu instid0(VALU_DEP_2) | instskip(SKIP_4) | instid1(VALU_DEP_2)
	v_add_nc_u32_e32 v26, v29, v26
	ds_bpermute_b32 v29, v45, v26
	s_wait_dscnt 0x0
	v_cndmask_b32_e32 v29, 0, v29, vcc_lo
	v_cmp_le_u32_e32 vcc_lo, v48, v28
	v_add_nc_u32_e32 v26, v26, v29
	ds_bpermute_b32 v29, v47, v26
	s_wait_dscnt 0x0
	v_cndmask_b32_e32 v29, 0, v29, vcc_lo
	v_cmp_le_u32_e32 vcc_lo, v50, v28
	s_delay_alu instid0(VALU_DEP_2) | instskip(SKIP_4) | instid1(VALU_DEP_2)
	v_add_nc_u32_e32 v26, v26, v29
	ds_bpermute_b32 v29, v49, v26
	s_wait_dscnt 0x0
	v_cndmask_b32_e32 v29, 0, v29, vcc_lo
	v_cmp_le_u32_e32 vcc_lo, v52, v28
	v_add_nc_u32_e32 v26, v26, v29
	ds_bpermute_b32 v29, v51, v26
	s_wait_dscnt 0x0
	v_cndmask_b32_e32 v28, 0, v29, vcc_lo
	s_delay_alu instid0(VALU_DEP_1)
	v_add3_u32 v26, v28, v23, v26
.LBB1541_182:                           ;   in Loop: Header=BB1541_183 Depth=1
	s_and_b32 vcc_lo, exec_lo, s18
	s_cbranch_vccnz .LBB1541_188
.LBB1541_183:                           ; =>This Loop Header: Depth=1
                                        ;     Child Loop BB1541_186 Depth 2
	v_and_b32_e32 v23, 0xff, v27
	s_mov_b32 s18, -1
                                        ; implicit-def: $vgpr27
	s_delay_alu instid0(VALU_DEP_1)
	v_cmp_ne_u16_e32 vcc_lo, 2, v23
	v_mov_b32_e32 v23, v26
                                        ; implicit-def: $vgpr26
	s_cmp_lg_u32 vcc_lo, exec_lo
	s_cbranch_scc1 .LBB1541_182
; %bb.184:                              ;   in Loop: Header=BB1541_183 Depth=1
	global_load_b64 v[26:27], v24, s[10:11] scale_offset scope:SCOPE_DEV
	s_mov_b32 s18, exec_lo
	s_wait_loadcnt 0x0
	v_and_b32_e32 v28, 0xff, v27
	s_wait_xcnt 0x0
	s_delay_alu instid0(VALU_DEP_1)
	v_cmpx_eq_u16_e32 0, v28
	s_cbranch_execz .LBB1541_181
; %bb.185:                              ;   in Loop: Header=BB1541_183 Depth=1
	v_lshl_add_u64 v[28:29], v[24:25], 3, s[10:11]
	s_mov_b32 s19, 0
.LBB1541_186:                           ;   Parent Loop BB1541_183 Depth=1
                                        ; =>  This Inner Loop Header: Depth=2
	global_load_b64 v[26:27], v[28:29], off scope:SCOPE_DEV
	s_wait_loadcnt 0x0
	v_and_b32_e32 v53, 0xff, v27
	s_delay_alu instid0(VALU_DEP_1)
	v_cmp_ne_u16_e32 vcc_lo, 0, v53
	s_or_b32 s19, vcc_lo, s19
	s_wait_xcnt 0x0
	s_and_not1_b32 exec_lo, exec_lo, s19
	s_cbranch_execnz .LBB1541_186
; %bb.187:                              ;   in Loop: Header=BB1541_183 Depth=1
	s_or_b32 exec_lo, exec_lo, s19
	s_branch .LBB1541_181
.LBB1541_188:
	s_and_saveexec_b32 s18, s8
	s_cbranch_execz .LBB1541_190
; %bb.189:
	s_add_co_i32 s19, s20, 32
	v_dual_mov_b32 v25, 2 :: v_dual_add_nc_u32 v24, v23, v22
	v_dual_mov_b32 v26, s19 :: v_dual_mov_b32 v27, 0
	global_store_b64 v26, v[24:25], s[10:11] scale_offset scope:SCOPE_DEV
	ds_store_b64 v27, v[22:23] offset:28672
.LBB1541_190:
	s_wait_xcnt 0x0
	s_or_b32 exec_lo, exec_lo, s18
	v_cmp_eq_u32_e32 vcc_lo, 0, v0
	s_and_b32 exec_lo, exec_lo, vcc_lo
; %bb.191:
	v_mov_b32_e32 v22, 0
	ds_store_b32 v22, v23 offset:60
.LBB1541_192:
	s_or_b32 exec_lo, exec_lo, s9
	s_wait_dscnt 0x0
	v_dual_mov_b32 v22, 0 :: v_dual_cndmask_b32 v24, v42, v41, s8
	s_wait_storecnt 0x0
	s_barrier_signal -1
	s_barrier_wait -1
	ds_load_b32 v23, v22 offset:60
	v_cmp_ne_u32_e32 vcc_lo, 0, v0
	s_wait_dscnt 0x0
	s_barrier_signal -1
	s_barrier_wait -1
	v_cndmask_b32_e32 v24, 0, v24, vcc_lo
	s_mov_b32 s8, 0
	s_delay_alu instid0(VALU_DEP_1) | instskip(SKIP_2) | instid1(VALU_DEP_1)
	v_add_nc_u32_e32 v42, v23, v24
	ds_load_b64 v[22:23], v22 offset:28672
	v_add_nc_u32_e32 v41, v42, v19
	v_add_nc_u32_e32 v29, v41, v21
	s_delay_alu instid0(VALU_DEP_1) | instskip(SKIP_1) | instid1(VALU_DEP_1)
	v_add_nc_u32_e32 v28, v29, v34
	s_wait_dscnt 0x0
	v_dual_mov_b32 v24, v23 :: v_dual_add_nc_u32 v27, v28, v35
	s_delay_alu instid0(VALU_DEP_1) | instskip(NEXT) | instid1(VALU_DEP_1)
	v_add_nc_u32_e32 v26, v27, v36
	v_add_nc_u32_e32 v25, v26, v37
.LBB1541_193:
	s_and_b32 vcc_lo, exec_lo, s8
	s_cbranch_vccz .LBB1541_203
; %bb.194:
	v_mov_b32_dpp v22, v40 row_shr:1 row_mask:0xf bank_mask:0xf
	s_delay_alu instid0(VALU_DEP_1) | instskip(NEXT) | instid1(VALU_DEP_1)
	v_cndmask_b32_e64 v22, v22, 0, s2
	v_add_nc_u32_e32 v22, v22, v40
	s_delay_alu instid0(VALU_DEP_1) | instskip(NEXT) | instid1(VALU_DEP_1)
	v_mov_b32_dpp v23, v22 row_shr:2 row_mask:0xf bank_mask:0xf
	v_cndmask_b32_e64 v23, 0, v23, s4
	s_delay_alu instid0(VALU_DEP_1) | instskip(NEXT) | instid1(VALU_DEP_1)
	v_add_nc_u32_e32 v22, v22, v23
	v_mov_b32_dpp v23, v22 row_shr:4 row_mask:0xf bank_mask:0xf
	s_delay_alu instid0(VALU_DEP_1) | instskip(NEXT) | instid1(VALU_DEP_1)
	v_cndmask_b32_e64 v23, 0, v23, s5
	v_add_nc_u32_e32 v22, v22, v23
	s_delay_alu instid0(VALU_DEP_1) | instskip(NEXT) | instid1(VALU_DEP_1)
	v_mov_b32_dpp v23, v22 row_shr:8 row_mask:0xf bank_mask:0xf
	v_cndmask_b32_e64 v23, 0, v23, s3
	s_delay_alu instid0(VALU_DEP_1) | instskip(SKIP_3) | instid1(VALU_DEP_1)
	v_add_nc_u32_e32 v22, v22, v23
	ds_swizzle_b32 v23, v22 offset:swizzle(BROADCAST,32,15)
	s_wait_dscnt 0x0
	v_cndmask_b32_e64 v23, v23, 0, s7
	v_add_nc_u32_e32 v22, v22, v23
	s_and_saveexec_b32 s7, s6
; %bb.195:
	v_lshlrev_b32_e32 v23, 2, v39
	ds_store_b32 v23, v22
; %bb.196:
	s_or_b32 exec_lo, exec_lo, s7
	s_delay_alu instid0(SALU_CYCLE_1)
	s_mov_b32 s6, exec_lo
	s_wait_dscnt 0x0
	s_barrier_signal -1
	s_barrier_wait -1
	v_cmpx_gt_u32_e32 16, v0
	s_cbranch_execz .LBB1541_198
; %bb.197:
	v_lshlrev_b32_e32 v23, 2, v0
	ds_load_b32 v24, v23
	s_wait_dscnt 0x0
	v_mov_b32_dpp v25, v24 row_shr:1 row_mask:0xf bank_mask:0xf
	s_delay_alu instid0(VALU_DEP_1) | instskip(NEXT) | instid1(VALU_DEP_1)
	v_cndmask_b32_e64 v25, v25, 0, s2
	v_add_nc_u32_e32 v24, v25, v24
	s_delay_alu instid0(VALU_DEP_1) | instskip(NEXT) | instid1(VALU_DEP_1)
	v_mov_b32_dpp v25, v24 row_shr:2 row_mask:0xf bank_mask:0xf
	v_cndmask_b32_e64 v25, 0, v25, s4
	s_delay_alu instid0(VALU_DEP_1) | instskip(NEXT) | instid1(VALU_DEP_1)
	v_add_nc_u32_e32 v24, v24, v25
	v_mov_b32_dpp v25, v24 row_shr:4 row_mask:0xf bank_mask:0xf
	s_delay_alu instid0(VALU_DEP_1) | instskip(NEXT) | instid1(VALU_DEP_1)
	v_cndmask_b32_e64 v25, 0, v25, s5
	v_add_nc_u32_e32 v24, v24, v25
	s_delay_alu instid0(VALU_DEP_1) | instskip(NEXT) | instid1(VALU_DEP_1)
	v_mov_b32_dpp v25, v24 row_shr:8 row_mask:0xf bank_mask:0xf
	v_cndmask_b32_e64 v25, 0, v25, s3
	s_delay_alu instid0(VALU_DEP_1)
	v_add_nc_u32_e32 v24, v24, v25
	ds_store_b32 v23, v24
.LBB1541_198:
	s_or_b32 exec_lo, exec_lo, s6
	v_dual_mov_b32 v23, 0 :: v_dual_mov_b32 v24, 0
	s_mov_b32 s2, exec_lo
	s_wait_dscnt 0x0
	s_barrier_signal -1
	s_barrier_wait -1
	v_cmpx_lt_u32_e32 31, v0
; %bb.199:
	v_lshl_add_u32 v24, v39, 2, -4
	ds_load_b32 v24, v24
; %bb.200:
	s_or_b32 exec_lo, exec_lo, s2
	v_sub_co_u32 v25, vcc_lo, v38, 1
	s_delay_alu instid0(VALU_DEP_1) | instskip(NEXT) | instid1(VALU_DEP_1)
	v_cmp_gt_i32_e64 s2, 0, v25
	v_cndmask_b32_e64 v25, v25, v38, s2
	s_wait_dscnt 0x0
	v_add_nc_u32_e32 v22, v24, v22
	v_cmp_eq_u32_e64 s2, 0, v0
	s_delay_alu instid0(VALU_DEP_3)
	v_lshlrev_b32_e32 v25, 2, v25
	ds_bpermute_b32 v25, v25, v22
	ds_load_b32 v22, v23 offset:60
	s_and_saveexec_b32 s3, s2
	s_cbranch_execz .LBB1541_202
; %bb.201:
	v_dual_mov_b32 v26, 0 :: v_dual_mov_b32 v23, 2
	s_wait_dscnt 0x0
	global_store_b64 v26, v[22:23], s[10:11] offset:256 scope:SCOPE_DEV
.LBB1541_202:
	s_wait_xcnt 0x0
	s_or_b32 exec_lo, exec_lo, s3
	s_wait_dscnt 0x1
	v_cndmask_b32_e32 v23, v25, v24, vcc_lo
	s_wait_storecnt_dscnt 0x0
	s_barrier_signal -1
	s_barrier_wait -1
	s_delay_alu instid0(VALU_DEP_1) | instskip(NEXT) | instid1(VALU_DEP_1)
	v_cndmask_b32_e64 v42, v23, 0, s2
	v_dual_mov_b32 v24, 0 :: v_dual_add_nc_u32 v41, v42, v19
	s_delay_alu instid0(VALU_DEP_1) | instskip(NEXT) | instid1(VALU_DEP_1)
	v_add_nc_u32_e32 v29, v41, v21
	v_add_nc_u32_e32 v28, v29, v34
	s_delay_alu instid0(VALU_DEP_1) | instskip(NEXT) | instid1(VALU_DEP_1)
	v_add_nc_u32_e32 v27, v28, v35
	v_add_nc_u32_e32 v26, v27, v36
	s_delay_alu instid0(VALU_DEP_1)
	v_add_nc_u32_e32 v25, v26, v37
.LBB1541_203:
	s_load_b64 s[2:3], s[0:1], 0x28
	v_and_b32_e32 v16, 1, v16
	v_cmp_gt_u32_e32 vcc_lo, 0x201, v22
	s_wait_xcnt 0x0
	s_mov_b32 s1, -1
	s_delay_alu instid0(VALU_DEP_2)
	v_cmp_eq_u32_e64 s0, 1, v16
	s_cbranch_vccnz .LBB1541_207
; %bb.204:
	s_and_b32 vcc_lo, exec_lo, s1
	s_cbranch_vccnz .LBB1541_222
.LBB1541_205:
	v_cmp_eq_u32_e32 vcc_lo, 0, v0
	s_and_b32 s0, vcc_lo, s16
	s_delay_alu instid0(SALU_CYCLE_1)
	s_and_saveexec_b32 s1, s0
	s_cbranch_execnz .LBB1541_239
.LBB1541_206:
	s_endpgm
.LBB1541_207:
	v_add_nc_u32_e32 v19, v24, v22
	s_delay_alu instid0(VALU_DEP_1) | instskip(SKIP_1) | instid1(SALU_CYCLE_1)
	v_cmp_lt_u32_e32 vcc_lo, v42, v19
	s_or_b32 s1, s17, vcc_lo
	s_and_b32 s1, s1, s0
	s_delay_alu instid0(SALU_CYCLE_1)
	s_and_saveexec_b32 s0, s1
	s_cbranch_execz .LBB1541_209
; %bb.208:
	s_lshl_b64 s[4:5], s[14:15], 3
	s_wait_kmcnt 0x0
	s_add_nc_u64 s[4:5], s[2:3], s[4:5]
	global_store_b64 v42, v[10:11], s[4:5] scale_offset
.LBB1541_209:
	s_wait_xcnt 0x0
	s_or_b32 exec_lo, exec_lo, s0
	v_and_b32_e32 v21, 1, v33
	v_cmp_lt_u32_e32 vcc_lo, v41, v19
	s_delay_alu instid0(VALU_DEP_2) | instskip(SKIP_1) | instid1(SALU_CYCLE_1)
	v_cmp_eq_u32_e64 s0, 1, v21
	s_or_b32 s1, s17, vcc_lo
	s_and_b32 s1, s1, s0
	s_delay_alu instid0(SALU_CYCLE_1)
	s_and_saveexec_b32 s0, s1
	s_cbranch_execz .LBB1541_211
; %bb.210:
	s_lshl_b64 s[4:5], s[14:15], 3
	s_wait_kmcnt 0x0
	s_add_nc_u64 s[4:5], s[2:3], s[4:5]
	global_store_b64 v41, v[12:13], s[4:5] scale_offset
.LBB1541_211:
	s_wait_xcnt 0x0
	s_or_b32 exec_lo, exec_lo, s0
	v_and_b32_e32 v21, 1, v32
	v_cmp_lt_u32_e32 vcc_lo, v29, v19
	s_delay_alu instid0(VALU_DEP_2) | instskip(SKIP_1) | instid1(SALU_CYCLE_1)
	v_cmp_eq_u32_e64 s0, 1, v21
	;; [unrolled: 17-line block ×6, first 2 shown]
	s_or_b32 s1, s17, vcc_lo
	s_and_b32 s1, s1, s0
	s_delay_alu instid0(SALU_CYCLE_1)
	s_and_saveexec_b32 s0, s1
	s_cbranch_execz .LBB1541_221
; %bb.220:
	s_lshl_b64 s[4:5], s[14:15], 3
	s_wait_kmcnt 0x0
	s_add_nc_u64 s[4:5], s[2:3], s[4:5]
	global_store_b64 v25, v[14:15], s[4:5] scale_offset
.LBB1541_221:
	s_wait_xcnt 0x0
	s_or_b32 exec_lo, exec_lo, s0
	s_branch .LBB1541_205
.LBB1541_222:
	s_mov_b32 s0, exec_lo
	v_cmpx_eq_u32_e32 1, v16
; %bb.223:
	v_sub_nc_u32_e32 v16, v42, v24
	s_delay_alu instid0(VALU_DEP_1)
	v_lshlrev_b32_e32 v16, 3, v16
	ds_store_b64 v16, v[10:11]
; %bb.224:
	s_or_b32 exec_lo, exec_lo, s0
	v_and_b32_e32 v10, 1, v33
	s_mov_b32 s0, exec_lo
	s_delay_alu instid0(VALU_DEP_1)
	v_cmpx_eq_u32_e32 1, v10
; %bb.225:
	v_sub_nc_u32_e32 v10, v41, v24
	s_delay_alu instid0(VALU_DEP_1)
	v_lshlrev_b32_e32 v10, 3, v10
	ds_store_b64 v10, v[12:13]
; %bb.226:
	s_or_b32 exec_lo, exec_lo, s0
	v_and_b32_e32 v10, 1, v32
	s_mov_b32 s0, exec_lo
	s_delay_alu instid0(VALU_DEP_1)
	;; [unrolled: 11-line block ×6, first 2 shown]
	v_cmpx_eq_u32_e32 1, v2
; %bb.235:
	v_sub_nc_u32_e32 v2, v25, v24
	s_delay_alu instid0(VALU_DEP_1)
	v_lshlrev_b32_e32 v2, 3, v2
	ds_store_b64 v2, v[14:15]
; %bb.236:
	s_or_b32 exec_lo, exec_lo, s0
	v_mov_b32_e32 v25, 0
	s_lshl_b64 s[0:1], s[14:15], 3
	s_wait_storecnt_dscnt 0x0
	s_barrier_signal -1
	s_barrier_wait -1
	v_lshlrev_b64_e32 v[2:3], 3, v[24:25]
	v_mov_b32_e32 v19, v25
	s_delay_alu instid0(VALU_DEP_2) | instskip(SKIP_2) | instid1(VALU_DEP_1)
	v_add_nc_u64_e32 v[2:3], s[0:1], v[2:3]
	s_mov_b32 s0, 0
	s_wait_kmcnt 0x0
	v_add_nc_u64_e32 v[2:3], s[2:3], v[2:3]
	s_delay_alu instid0(VALU_DEP_1)
	v_add_nc_u64_e32 v[2:3], v[2:3], v[18:19]
.LBB1541_237:                           ; =>This Inner Loop Header: Depth=1
	ds_load_b64 v[4:5], v18
	v_add_nc_u32_e32 v1, 0x200, v1
	v_add_nc_u32_e32 v18, 0x1000, v18
	s_delay_alu instid0(VALU_DEP_2)
	v_cmp_ge_u32_e32 vcc_lo, v1, v22
	s_or_b32 s0, vcc_lo, s0
	s_wait_dscnt 0x0
	global_store_b64 v[2:3], v[4:5], off
	s_wait_xcnt 0x0
	v_add_nc_u64_e32 v[2:3], 0x1000, v[2:3]
	s_and_not1_b32 exec_lo, exec_lo, s0
	s_cbranch_execnz .LBB1541_237
; %bb.238:
	s_or_b32 exec_lo, exec_lo, s0
	v_cmp_eq_u32_e32 vcc_lo, 0, v0
	s_and_b32 s0, vcc_lo, s16
	s_delay_alu instid0(SALU_CYCLE_1)
	s_and_saveexec_b32 s1, s0
	s_cbranch_execz .LBB1541_206
.LBB1541_239:
	v_mov_b32_e32 v23, 0
	s_delay_alu instid0(VALU_DEP_1) | instskip(SKIP_1) | instid1(VALU_DEP_1)
	v_add_nc_u64_e32 v[0:1], s[14:15], v[22:23]
	v_mov_b32_e32 v25, v23
	v_add_nc_u64_e32 v[0:1], v[0:1], v[24:25]
	global_store_b64 v23, v[0:1], s[12:13]
	s_endpgm
	.section	.rodata,"a",@progbits
	.p2align	6, 0x0
	.amdhsa_kernel _ZN7rocprim17ROCPRIM_400000_NS6detail17trampoline_kernelINS0_14default_configENS1_25partition_config_selectorILNS1_17partition_subalgoE8ElNS0_10empty_typeEbEEZZNS1_14partition_implILS5_8ELb0ES3_jPlPS6_PKS6_NS0_5tupleIJS9_S6_EEENSD_IJSA_SA_EEENS0_18inequality_wrapperIZN2at6native12_GLOBAL__N_124unique_dim_cuda_templateIjEESt5tupleIJNSH_6TensorESM_SM_EERKSM_lbbbEUlllE0_EEPmJS6_EEE10hipError_tPvRmT3_T4_T5_T6_T7_T9_mT8_P12ihipStream_tbDpT10_ENKUlT_T0_E_clISt17integral_constantIbLb0EES1C_EEDaS17_S18_EUlS17_E_NS1_11comp_targetILNS1_3genE0ELNS1_11target_archE4294967295ELNS1_3gpuE0ELNS1_3repE0EEENS1_30default_config_static_selectorELNS0_4arch9wavefront6targetE0EEEvT1_
		.amdhsa_group_segment_fixed_size 28680
		.amdhsa_private_segment_fixed_size 0
		.amdhsa_kernarg_size 120
		.amdhsa_user_sgpr_count 2
		.amdhsa_user_sgpr_dispatch_ptr 0
		.amdhsa_user_sgpr_queue_ptr 0
		.amdhsa_user_sgpr_kernarg_segment_ptr 1
		.amdhsa_user_sgpr_dispatch_id 0
		.amdhsa_user_sgpr_kernarg_preload_length 0
		.amdhsa_user_sgpr_kernarg_preload_offset 0
		.amdhsa_user_sgpr_private_segment_size 0
		.amdhsa_wavefront_size32 1
		.amdhsa_uses_dynamic_stack 0
		.amdhsa_enable_private_segment 0
		.amdhsa_system_sgpr_workgroup_id_x 1
		.amdhsa_system_sgpr_workgroup_id_y 0
		.amdhsa_system_sgpr_workgroup_id_z 0
		.amdhsa_system_sgpr_workgroup_info 0
		.amdhsa_system_vgpr_workitem_id 0
		.amdhsa_next_free_vgpr 54
		.amdhsa_next_free_sgpr 36
		.amdhsa_named_barrier_count 0
		.amdhsa_reserve_vcc 1
		.amdhsa_float_round_mode_32 0
		.amdhsa_float_round_mode_16_64 0
		.amdhsa_float_denorm_mode_32 3
		.amdhsa_float_denorm_mode_16_64 3
		.amdhsa_fp16_overflow 0
		.amdhsa_memory_ordered 1
		.amdhsa_forward_progress 1
		.amdhsa_inst_pref_size 82
		.amdhsa_round_robin_scheduling 0
		.amdhsa_exception_fp_ieee_invalid_op 0
		.amdhsa_exception_fp_denorm_src 0
		.amdhsa_exception_fp_ieee_div_zero 0
		.amdhsa_exception_fp_ieee_overflow 0
		.amdhsa_exception_fp_ieee_underflow 0
		.amdhsa_exception_fp_ieee_inexact 0
		.amdhsa_exception_int_div_zero 0
	.end_amdhsa_kernel
	.section	.text._ZN7rocprim17ROCPRIM_400000_NS6detail17trampoline_kernelINS0_14default_configENS1_25partition_config_selectorILNS1_17partition_subalgoE8ElNS0_10empty_typeEbEEZZNS1_14partition_implILS5_8ELb0ES3_jPlPS6_PKS6_NS0_5tupleIJS9_S6_EEENSD_IJSA_SA_EEENS0_18inequality_wrapperIZN2at6native12_GLOBAL__N_124unique_dim_cuda_templateIjEESt5tupleIJNSH_6TensorESM_SM_EERKSM_lbbbEUlllE0_EEPmJS6_EEE10hipError_tPvRmT3_T4_T5_T6_T7_T9_mT8_P12ihipStream_tbDpT10_ENKUlT_T0_E_clISt17integral_constantIbLb0EES1C_EEDaS17_S18_EUlS17_E_NS1_11comp_targetILNS1_3genE0ELNS1_11target_archE4294967295ELNS1_3gpuE0ELNS1_3repE0EEENS1_30default_config_static_selectorELNS0_4arch9wavefront6targetE0EEEvT1_,"axG",@progbits,_ZN7rocprim17ROCPRIM_400000_NS6detail17trampoline_kernelINS0_14default_configENS1_25partition_config_selectorILNS1_17partition_subalgoE8ElNS0_10empty_typeEbEEZZNS1_14partition_implILS5_8ELb0ES3_jPlPS6_PKS6_NS0_5tupleIJS9_S6_EEENSD_IJSA_SA_EEENS0_18inequality_wrapperIZN2at6native12_GLOBAL__N_124unique_dim_cuda_templateIjEESt5tupleIJNSH_6TensorESM_SM_EERKSM_lbbbEUlllE0_EEPmJS6_EEE10hipError_tPvRmT3_T4_T5_T6_T7_T9_mT8_P12ihipStream_tbDpT10_ENKUlT_T0_E_clISt17integral_constantIbLb0EES1C_EEDaS17_S18_EUlS17_E_NS1_11comp_targetILNS1_3genE0ELNS1_11target_archE4294967295ELNS1_3gpuE0ELNS1_3repE0EEENS1_30default_config_static_selectorELNS0_4arch9wavefront6targetE0EEEvT1_,comdat
.Lfunc_end1541:
	.size	_ZN7rocprim17ROCPRIM_400000_NS6detail17trampoline_kernelINS0_14default_configENS1_25partition_config_selectorILNS1_17partition_subalgoE8ElNS0_10empty_typeEbEEZZNS1_14partition_implILS5_8ELb0ES3_jPlPS6_PKS6_NS0_5tupleIJS9_S6_EEENSD_IJSA_SA_EEENS0_18inequality_wrapperIZN2at6native12_GLOBAL__N_124unique_dim_cuda_templateIjEESt5tupleIJNSH_6TensorESM_SM_EERKSM_lbbbEUlllE0_EEPmJS6_EEE10hipError_tPvRmT3_T4_T5_T6_T7_T9_mT8_P12ihipStream_tbDpT10_ENKUlT_T0_E_clISt17integral_constantIbLb0EES1C_EEDaS17_S18_EUlS17_E_NS1_11comp_targetILNS1_3genE0ELNS1_11target_archE4294967295ELNS1_3gpuE0ELNS1_3repE0EEENS1_30default_config_static_selectorELNS0_4arch9wavefront6targetE0EEEvT1_, .Lfunc_end1541-_ZN7rocprim17ROCPRIM_400000_NS6detail17trampoline_kernelINS0_14default_configENS1_25partition_config_selectorILNS1_17partition_subalgoE8ElNS0_10empty_typeEbEEZZNS1_14partition_implILS5_8ELb0ES3_jPlPS6_PKS6_NS0_5tupleIJS9_S6_EEENSD_IJSA_SA_EEENS0_18inequality_wrapperIZN2at6native12_GLOBAL__N_124unique_dim_cuda_templateIjEESt5tupleIJNSH_6TensorESM_SM_EERKSM_lbbbEUlllE0_EEPmJS6_EEE10hipError_tPvRmT3_T4_T5_T6_T7_T9_mT8_P12ihipStream_tbDpT10_ENKUlT_T0_E_clISt17integral_constantIbLb0EES1C_EEDaS17_S18_EUlS17_E_NS1_11comp_targetILNS1_3genE0ELNS1_11target_archE4294967295ELNS1_3gpuE0ELNS1_3repE0EEENS1_30default_config_static_selectorELNS0_4arch9wavefront6targetE0EEEvT1_
                                        ; -- End function
	.set _ZN7rocprim17ROCPRIM_400000_NS6detail17trampoline_kernelINS0_14default_configENS1_25partition_config_selectorILNS1_17partition_subalgoE8ElNS0_10empty_typeEbEEZZNS1_14partition_implILS5_8ELb0ES3_jPlPS6_PKS6_NS0_5tupleIJS9_S6_EEENSD_IJSA_SA_EEENS0_18inequality_wrapperIZN2at6native12_GLOBAL__N_124unique_dim_cuda_templateIjEESt5tupleIJNSH_6TensorESM_SM_EERKSM_lbbbEUlllE0_EEPmJS6_EEE10hipError_tPvRmT3_T4_T5_T6_T7_T9_mT8_P12ihipStream_tbDpT10_ENKUlT_T0_E_clISt17integral_constantIbLb0EES1C_EEDaS17_S18_EUlS17_E_NS1_11comp_targetILNS1_3genE0ELNS1_11target_archE4294967295ELNS1_3gpuE0ELNS1_3repE0EEENS1_30default_config_static_selectorELNS0_4arch9wavefront6targetE0EEEvT1_.num_vgpr, 54
	.set _ZN7rocprim17ROCPRIM_400000_NS6detail17trampoline_kernelINS0_14default_configENS1_25partition_config_selectorILNS1_17partition_subalgoE8ElNS0_10empty_typeEbEEZZNS1_14partition_implILS5_8ELb0ES3_jPlPS6_PKS6_NS0_5tupleIJS9_S6_EEENSD_IJSA_SA_EEENS0_18inequality_wrapperIZN2at6native12_GLOBAL__N_124unique_dim_cuda_templateIjEESt5tupleIJNSH_6TensorESM_SM_EERKSM_lbbbEUlllE0_EEPmJS6_EEE10hipError_tPvRmT3_T4_T5_T6_T7_T9_mT8_P12ihipStream_tbDpT10_ENKUlT_T0_E_clISt17integral_constantIbLb0EES1C_EEDaS17_S18_EUlS17_E_NS1_11comp_targetILNS1_3genE0ELNS1_11target_archE4294967295ELNS1_3gpuE0ELNS1_3repE0EEENS1_30default_config_static_selectorELNS0_4arch9wavefront6targetE0EEEvT1_.num_agpr, 0
	.set _ZN7rocprim17ROCPRIM_400000_NS6detail17trampoline_kernelINS0_14default_configENS1_25partition_config_selectorILNS1_17partition_subalgoE8ElNS0_10empty_typeEbEEZZNS1_14partition_implILS5_8ELb0ES3_jPlPS6_PKS6_NS0_5tupleIJS9_S6_EEENSD_IJSA_SA_EEENS0_18inequality_wrapperIZN2at6native12_GLOBAL__N_124unique_dim_cuda_templateIjEESt5tupleIJNSH_6TensorESM_SM_EERKSM_lbbbEUlllE0_EEPmJS6_EEE10hipError_tPvRmT3_T4_T5_T6_T7_T9_mT8_P12ihipStream_tbDpT10_ENKUlT_T0_E_clISt17integral_constantIbLb0EES1C_EEDaS17_S18_EUlS17_E_NS1_11comp_targetILNS1_3genE0ELNS1_11target_archE4294967295ELNS1_3gpuE0ELNS1_3repE0EEENS1_30default_config_static_selectorELNS0_4arch9wavefront6targetE0EEEvT1_.numbered_sgpr, 36
	.set _ZN7rocprim17ROCPRIM_400000_NS6detail17trampoline_kernelINS0_14default_configENS1_25partition_config_selectorILNS1_17partition_subalgoE8ElNS0_10empty_typeEbEEZZNS1_14partition_implILS5_8ELb0ES3_jPlPS6_PKS6_NS0_5tupleIJS9_S6_EEENSD_IJSA_SA_EEENS0_18inequality_wrapperIZN2at6native12_GLOBAL__N_124unique_dim_cuda_templateIjEESt5tupleIJNSH_6TensorESM_SM_EERKSM_lbbbEUlllE0_EEPmJS6_EEE10hipError_tPvRmT3_T4_T5_T6_T7_T9_mT8_P12ihipStream_tbDpT10_ENKUlT_T0_E_clISt17integral_constantIbLb0EES1C_EEDaS17_S18_EUlS17_E_NS1_11comp_targetILNS1_3genE0ELNS1_11target_archE4294967295ELNS1_3gpuE0ELNS1_3repE0EEENS1_30default_config_static_selectorELNS0_4arch9wavefront6targetE0EEEvT1_.num_named_barrier, 0
	.set _ZN7rocprim17ROCPRIM_400000_NS6detail17trampoline_kernelINS0_14default_configENS1_25partition_config_selectorILNS1_17partition_subalgoE8ElNS0_10empty_typeEbEEZZNS1_14partition_implILS5_8ELb0ES3_jPlPS6_PKS6_NS0_5tupleIJS9_S6_EEENSD_IJSA_SA_EEENS0_18inequality_wrapperIZN2at6native12_GLOBAL__N_124unique_dim_cuda_templateIjEESt5tupleIJNSH_6TensorESM_SM_EERKSM_lbbbEUlllE0_EEPmJS6_EEE10hipError_tPvRmT3_T4_T5_T6_T7_T9_mT8_P12ihipStream_tbDpT10_ENKUlT_T0_E_clISt17integral_constantIbLb0EES1C_EEDaS17_S18_EUlS17_E_NS1_11comp_targetILNS1_3genE0ELNS1_11target_archE4294967295ELNS1_3gpuE0ELNS1_3repE0EEENS1_30default_config_static_selectorELNS0_4arch9wavefront6targetE0EEEvT1_.private_seg_size, 0
	.set _ZN7rocprim17ROCPRIM_400000_NS6detail17trampoline_kernelINS0_14default_configENS1_25partition_config_selectorILNS1_17partition_subalgoE8ElNS0_10empty_typeEbEEZZNS1_14partition_implILS5_8ELb0ES3_jPlPS6_PKS6_NS0_5tupleIJS9_S6_EEENSD_IJSA_SA_EEENS0_18inequality_wrapperIZN2at6native12_GLOBAL__N_124unique_dim_cuda_templateIjEESt5tupleIJNSH_6TensorESM_SM_EERKSM_lbbbEUlllE0_EEPmJS6_EEE10hipError_tPvRmT3_T4_T5_T6_T7_T9_mT8_P12ihipStream_tbDpT10_ENKUlT_T0_E_clISt17integral_constantIbLb0EES1C_EEDaS17_S18_EUlS17_E_NS1_11comp_targetILNS1_3genE0ELNS1_11target_archE4294967295ELNS1_3gpuE0ELNS1_3repE0EEENS1_30default_config_static_selectorELNS0_4arch9wavefront6targetE0EEEvT1_.uses_vcc, 1
	.set _ZN7rocprim17ROCPRIM_400000_NS6detail17trampoline_kernelINS0_14default_configENS1_25partition_config_selectorILNS1_17partition_subalgoE8ElNS0_10empty_typeEbEEZZNS1_14partition_implILS5_8ELb0ES3_jPlPS6_PKS6_NS0_5tupleIJS9_S6_EEENSD_IJSA_SA_EEENS0_18inequality_wrapperIZN2at6native12_GLOBAL__N_124unique_dim_cuda_templateIjEESt5tupleIJNSH_6TensorESM_SM_EERKSM_lbbbEUlllE0_EEPmJS6_EEE10hipError_tPvRmT3_T4_T5_T6_T7_T9_mT8_P12ihipStream_tbDpT10_ENKUlT_T0_E_clISt17integral_constantIbLb0EES1C_EEDaS17_S18_EUlS17_E_NS1_11comp_targetILNS1_3genE0ELNS1_11target_archE4294967295ELNS1_3gpuE0ELNS1_3repE0EEENS1_30default_config_static_selectorELNS0_4arch9wavefront6targetE0EEEvT1_.uses_flat_scratch, 0
	.set _ZN7rocprim17ROCPRIM_400000_NS6detail17trampoline_kernelINS0_14default_configENS1_25partition_config_selectorILNS1_17partition_subalgoE8ElNS0_10empty_typeEbEEZZNS1_14partition_implILS5_8ELb0ES3_jPlPS6_PKS6_NS0_5tupleIJS9_S6_EEENSD_IJSA_SA_EEENS0_18inequality_wrapperIZN2at6native12_GLOBAL__N_124unique_dim_cuda_templateIjEESt5tupleIJNSH_6TensorESM_SM_EERKSM_lbbbEUlllE0_EEPmJS6_EEE10hipError_tPvRmT3_T4_T5_T6_T7_T9_mT8_P12ihipStream_tbDpT10_ENKUlT_T0_E_clISt17integral_constantIbLb0EES1C_EEDaS17_S18_EUlS17_E_NS1_11comp_targetILNS1_3genE0ELNS1_11target_archE4294967295ELNS1_3gpuE0ELNS1_3repE0EEENS1_30default_config_static_selectorELNS0_4arch9wavefront6targetE0EEEvT1_.has_dyn_sized_stack, 0
	.set _ZN7rocprim17ROCPRIM_400000_NS6detail17trampoline_kernelINS0_14default_configENS1_25partition_config_selectorILNS1_17partition_subalgoE8ElNS0_10empty_typeEbEEZZNS1_14partition_implILS5_8ELb0ES3_jPlPS6_PKS6_NS0_5tupleIJS9_S6_EEENSD_IJSA_SA_EEENS0_18inequality_wrapperIZN2at6native12_GLOBAL__N_124unique_dim_cuda_templateIjEESt5tupleIJNSH_6TensorESM_SM_EERKSM_lbbbEUlllE0_EEPmJS6_EEE10hipError_tPvRmT3_T4_T5_T6_T7_T9_mT8_P12ihipStream_tbDpT10_ENKUlT_T0_E_clISt17integral_constantIbLb0EES1C_EEDaS17_S18_EUlS17_E_NS1_11comp_targetILNS1_3genE0ELNS1_11target_archE4294967295ELNS1_3gpuE0ELNS1_3repE0EEENS1_30default_config_static_selectorELNS0_4arch9wavefront6targetE0EEEvT1_.has_recursion, 0
	.set _ZN7rocprim17ROCPRIM_400000_NS6detail17trampoline_kernelINS0_14default_configENS1_25partition_config_selectorILNS1_17partition_subalgoE8ElNS0_10empty_typeEbEEZZNS1_14partition_implILS5_8ELb0ES3_jPlPS6_PKS6_NS0_5tupleIJS9_S6_EEENSD_IJSA_SA_EEENS0_18inequality_wrapperIZN2at6native12_GLOBAL__N_124unique_dim_cuda_templateIjEESt5tupleIJNSH_6TensorESM_SM_EERKSM_lbbbEUlllE0_EEPmJS6_EEE10hipError_tPvRmT3_T4_T5_T6_T7_T9_mT8_P12ihipStream_tbDpT10_ENKUlT_T0_E_clISt17integral_constantIbLb0EES1C_EEDaS17_S18_EUlS17_E_NS1_11comp_targetILNS1_3genE0ELNS1_11target_archE4294967295ELNS1_3gpuE0ELNS1_3repE0EEENS1_30default_config_static_selectorELNS0_4arch9wavefront6targetE0EEEvT1_.has_indirect_call, 0
	.section	.AMDGPU.csdata,"",@progbits
; Kernel info:
; codeLenInByte = 10408
; TotalNumSgprs: 38
; NumVgprs: 54
; ScratchSize: 0
; MemoryBound: 0
; FloatMode: 240
; IeeeMode: 1
; LDSByteSize: 28680 bytes/workgroup (compile time only)
; SGPRBlocks: 0
; VGPRBlocks: 3
; NumSGPRsForWavesPerEU: 38
; NumVGPRsForWavesPerEU: 54
; NamedBarCnt: 0
; Occupancy: 16
; WaveLimiterHint : 1
; COMPUTE_PGM_RSRC2:SCRATCH_EN: 0
; COMPUTE_PGM_RSRC2:USER_SGPR: 2
; COMPUTE_PGM_RSRC2:TRAP_HANDLER: 0
; COMPUTE_PGM_RSRC2:TGID_X_EN: 1
; COMPUTE_PGM_RSRC2:TGID_Y_EN: 0
; COMPUTE_PGM_RSRC2:TGID_Z_EN: 0
; COMPUTE_PGM_RSRC2:TIDIG_COMP_CNT: 0
	.section	.text._ZN7rocprim17ROCPRIM_400000_NS6detail17trampoline_kernelINS0_14default_configENS1_25partition_config_selectorILNS1_17partition_subalgoE8ElNS0_10empty_typeEbEEZZNS1_14partition_implILS5_8ELb0ES3_jPlPS6_PKS6_NS0_5tupleIJS9_S6_EEENSD_IJSA_SA_EEENS0_18inequality_wrapperIZN2at6native12_GLOBAL__N_124unique_dim_cuda_templateIjEESt5tupleIJNSH_6TensorESM_SM_EERKSM_lbbbEUlllE0_EEPmJS6_EEE10hipError_tPvRmT3_T4_T5_T6_T7_T9_mT8_P12ihipStream_tbDpT10_ENKUlT_T0_E_clISt17integral_constantIbLb0EES1C_EEDaS17_S18_EUlS17_E_NS1_11comp_targetILNS1_3genE5ELNS1_11target_archE942ELNS1_3gpuE9ELNS1_3repE0EEENS1_30default_config_static_selectorELNS0_4arch9wavefront6targetE0EEEvT1_,"axG",@progbits,_ZN7rocprim17ROCPRIM_400000_NS6detail17trampoline_kernelINS0_14default_configENS1_25partition_config_selectorILNS1_17partition_subalgoE8ElNS0_10empty_typeEbEEZZNS1_14partition_implILS5_8ELb0ES3_jPlPS6_PKS6_NS0_5tupleIJS9_S6_EEENSD_IJSA_SA_EEENS0_18inequality_wrapperIZN2at6native12_GLOBAL__N_124unique_dim_cuda_templateIjEESt5tupleIJNSH_6TensorESM_SM_EERKSM_lbbbEUlllE0_EEPmJS6_EEE10hipError_tPvRmT3_T4_T5_T6_T7_T9_mT8_P12ihipStream_tbDpT10_ENKUlT_T0_E_clISt17integral_constantIbLb0EES1C_EEDaS17_S18_EUlS17_E_NS1_11comp_targetILNS1_3genE5ELNS1_11target_archE942ELNS1_3gpuE9ELNS1_3repE0EEENS1_30default_config_static_selectorELNS0_4arch9wavefront6targetE0EEEvT1_,comdat
	.globl	_ZN7rocprim17ROCPRIM_400000_NS6detail17trampoline_kernelINS0_14default_configENS1_25partition_config_selectorILNS1_17partition_subalgoE8ElNS0_10empty_typeEbEEZZNS1_14partition_implILS5_8ELb0ES3_jPlPS6_PKS6_NS0_5tupleIJS9_S6_EEENSD_IJSA_SA_EEENS0_18inequality_wrapperIZN2at6native12_GLOBAL__N_124unique_dim_cuda_templateIjEESt5tupleIJNSH_6TensorESM_SM_EERKSM_lbbbEUlllE0_EEPmJS6_EEE10hipError_tPvRmT3_T4_T5_T6_T7_T9_mT8_P12ihipStream_tbDpT10_ENKUlT_T0_E_clISt17integral_constantIbLb0EES1C_EEDaS17_S18_EUlS17_E_NS1_11comp_targetILNS1_3genE5ELNS1_11target_archE942ELNS1_3gpuE9ELNS1_3repE0EEENS1_30default_config_static_selectorELNS0_4arch9wavefront6targetE0EEEvT1_ ; -- Begin function _ZN7rocprim17ROCPRIM_400000_NS6detail17trampoline_kernelINS0_14default_configENS1_25partition_config_selectorILNS1_17partition_subalgoE8ElNS0_10empty_typeEbEEZZNS1_14partition_implILS5_8ELb0ES3_jPlPS6_PKS6_NS0_5tupleIJS9_S6_EEENSD_IJSA_SA_EEENS0_18inequality_wrapperIZN2at6native12_GLOBAL__N_124unique_dim_cuda_templateIjEESt5tupleIJNSH_6TensorESM_SM_EERKSM_lbbbEUlllE0_EEPmJS6_EEE10hipError_tPvRmT3_T4_T5_T6_T7_T9_mT8_P12ihipStream_tbDpT10_ENKUlT_T0_E_clISt17integral_constantIbLb0EES1C_EEDaS17_S18_EUlS17_E_NS1_11comp_targetILNS1_3genE5ELNS1_11target_archE942ELNS1_3gpuE9ELNS1_3repE0EEENS1_30default_config_static_selectorELNS0_4arch9wavefront6targetE0EEEvT1_
	.p2align	8
	.type	_ZN7rocprim17ROCPRIM_400000_NS6detail17trampoline_kernelINS0_14default_configENS1_25partition_config_selectorILNS1_17partition_subalgoE8ElNS0_10empty_typeEbEEZZNS1_14partition_implILS5_8ELb0ES3_jPlPS6_PKS6_NS0_5tupleIJS9_S6_EEENSD_IJSA_SA_EEENS0_18inequality_wrapperIZN2at6native12_GLOBAL__N_124unique_dim_cuda_templateIjEESt5tupleIJNSH_6TensorESM_SM_EERKSM_lbbbEUlllE0_EEPmJS6_EEE10hipError_tPvRmT3_T4_T5_T6_T7_T9_mT8_P12ihipStream_tbDpT10_ENKUlT_T0_E_clISt17integral_constantIbLb0EES1C_EEDaS17_S18_EUlS17_E_NS1_11comp_targetILNS1_3genE5ELNS1_11target_archE942ELNS1_3gpuE9ELNS1_3repE0EEENS1_30default_config_static_selectorELNS0_4arch9wavefront6targetE0EEEvT1_,@function
_ZN7rocprim17ROCPRIM_400000_NS6detail17trampoline_kernelINS0_14default_configENS1_25partition_config_selectorILNS1_17partition_subalgoE8ElNS0_10empty_typeEbEEZZNS1_14partition_implILS5_8ELb0ES3_jPlPS6_PKS6_NS0_5tupleIJS9_S6_EEENSD_IJSA_SA_EEENS0_18inequality_wrapperIZN2at6native12_GLOBAL__N_124unique_dim_cuda_templateIjEESt5tupleIJNSH_6TensorESM_SM_EERKSM_lbbbEUlllE0_EEPmJS6_EEE10hipError_tPvRmT3_T4_T5_T6_T7_T9_mT8_P12ihipStream_tbDpT10_ENKUlT_T0_E_clISt17integral_constantIbLb0EES1C_EEDaS17_S18_EUlS17_E_NS1_11comp_targetILNS1_3genE5ELNS1_11target_archE942ELNS1_3gpuE9ELNS1_3repE0EEENS1_30default_config_static_selectorELNS0_4arch9wavefront6targetE0EEEvT1_: ; @_ZN7rocprim17ROCPRIM_400000_NS6detail17trampoline_kernelINS0_14default_configENS1_25partition_config_selectorILNS1_17partition_subalgoE8ElNS0_10empty_typeEbEEZZNS1_14partition_implILS5_8ELb0ES3_jPlPS6_PKS6_NS0_5tupleIJS9_S6_EEENSD_IJSA_SA_EEENS0_18inequality_wrapperIZN2at6native12_GLOBAL__N_124unique_dim_cuda_templateIjEESt5tupleIJNSH_6TensorESM_SM_EERKSM_lbbbEUlllE0_EEPmJS6_EEE10hipError_tPvRmT3_T4_T5_T6_T7_T9_mT8_P12ihipStream_tbDpT10_ENKUlT_T0_E_clISt17integral_constantIbLb0EES1C_EEDaS17_S18_EUlS17_E_NS1_11comp_targetILNS1_3genE5ELNS1_11target_archE942ELNS1_3gpuE9ELNS1_3repE0EEENS1_30default_config_static_selectorELNS0_4arch9wavefront6targetE0EEEvT1_
; %bb.0:
	.section	.rodata,"a",@progbits
	.p2align	6, 0x0
	.amdhsa_kernel _ZN7rocprim17ROCPRIM_400000_NS6detail17trampoline_kernelINS0_14default_configENS1_25partition_config_selectorILNS1_17partition_subalgoE8ElNS0_10empty_typeEbEEZZNS1_14partition_implILS5_8ELb0ES3_jPlPS6_PKS6_NS0_5tupleIJS9_S6_EEENSD_IJSA_SA_EEENS0_18inequality_wrapperIZN2at6native12_GLOBAL__N_124unique_dim_cuda_templateIjEESt5tupleIJNSH_6TensorESM_SM_EERKSM_lbbbEUlllE0_EEPmJS6_EEE10hipError_tPvRmT3_T4_T5_T6_T7_T9_mT8_P12ihipStream_tbDpT10_ENKUlT_T0_E_clISt17integral_constantIbLb0EES1C_EEDaS17_S18_EUlS17_E_NS1_11comp_targetILNS1_3genE5ELNS1_11target_archE942ELNS1_3gpuE9ELNS1_3repE0EEENS1_30default_config_static_selectorELNS0_4arch9wavefront6targetE0EEEvT1_
		.amdhsa_group_segment_fixed_size 0
		.amdhsa_private_segment_fixed_size 0
		.amdhsa_kernarg_size 120
		.amdhsa_user_sgpr_count 2
		.amdhsa_user_sgpr_dispatch_ptr 0
		.amdhsa_user_sgpr_queue_ptr 0
		.amdhsa_user_sgpr_kernarg_segment_ptr 1
		.amdhsa_user_sgpr_dispatch_id 0
		.amdhsa_user_sgpr_kernarg_preload_length 0
		.amdhsa_user_sgpr_kernarg_preload_offset 0
		.amdhsa_user_sgpr_private_segment_size 0
		.amdhsa_wavefront_size32 1
		.amdhsa_uses_dynamic_stack 0
		.amdhsa_enable_private_segment 0
		.amdhsa_system_sgpr_workgroup_id_x 1
		.amdhsa_system_sgpr_workgroup_id_y 0
		.amdhsa_system_sgpr_workgroup_id_z 0
		.amdhsa_system_sgpr_workgroup_info 0
		.amdhsa_system_vgpr_workitem_id 0
		.amdhsa_next_free_vgpr 1
		.amdhsa_next_free_sgpr 1
		.amdhsa_named_barrier_count 0
		.amdhsa_reserve_vcc 0
		.amdhsa_float_round_mode_32 0
		.amdhsa_float_round_mode_16_64 0
		.amdhsa_float_denorm_mode_32 3
		.amdhsa_float_denorm_mode_16_64 3
		.amdhsa_fp16_overflow 0
		.amdhsa_memory_ordered 1
		.amdhsa_forward_progress 1
		.amdhsa_inst_pref_size 0
		.amdhsa_round_robin_scheduling 0
		.amdhsa_exception_fp_ieee_invalid_op 0
		.amdhsa_exception_fp_denorm_src 0
		.amdhsa_exception_fp_ieee_div_zero 0
		.amdhsa_exception_fp_ieee_overflow 0
		.amdhsa_exception_fp_ieee_underflow 0
		.amdhsa_exception_fp_ieee_inexact 0
		.amdhsa_exception_int_div_zero 0
	.end_amdhsa_kernel
	.section	.text._ZN7rocprim17ROCPRIM_400000_NS6detail17trampoline_kernelINS0_14default_configENS1_25partition_config_selectorILNS1_17partition_subalgoE8ElNS0_10empty_typeEbEEZZNS1_14partition_implILS5_8ELb0ES3_jPlPS6_PKS6_NS0_5tupleIJS9_S6_EEENSD_IJSA_SA_EEENS0_18inequality_wrapperIZN2at6native12_GLOBAL__N_124unique_dim_cuda_templateIjEESt5tupleIJNSH_6TensorESM_SM_EERKSM_lbbbEUlllE0_EEPmJS6_EEE10hipError_tPvRmT3_T4_T5_T6_T7_T9_mT8_P12ihipStream_tbDpT10_ENKUlT_T0_E_clISt17integral_constantIbLb0EES1C_EEDaS17_S18_EUlS17_E_NS1_11comp_targetILNS1_3genE5ELNS1_11target_archE942ELNS1_3gpuE9ELNS1_3repE0EEENS1_30default_config_static_selectorELNS0_4arch9wavefront6targetE0EEEvT1_,"axG",@progbits,_ZN7rocprim17ROCPRIM_400000_NS6detail17trampoline_kernelINS0_14default_configENS1_25partition_config_selectorILNS1_17partition_subalgoE8ElNS0_10empty_typeEbEEZZNS1_14partition_implILS5_8ELb0ES3_jPlPS6_PKS6_NS0_5tupleIJS9_S6_EEENSD_IJSA_SA_EEENS0_18inequality_wrapperIZN2at6native12_GLOBAL__N_124unique_dim_cuda_templateIjEESt5tupleIJNSH_6TensorESM_SM_EERKSM_lbbbEUlllE0_EEPmJS6_EEE10hipError_tPvRmT3_T4_T5_T6_T7_T9_mT8_P12ihipStream_tbDpT10_ENKUlT_T0_E_clISt17integral_constantIbLb0EES1C_EEDaS17_S18_EUlS17_E_NS1_11comp_targetILNS1_3genE5ELNS1_11target_archE942ELNS1_3gpuE9ELNS1_3repE0EEENS1_30default_config_static_selectorELNS0_4arch9wavefront6targetE0EEEvT1_,comdat
.Lfunc_end1542:
	.size	_ZN7rocprim17ROCPRIM_400000_NS6detail17trampoline_kernelINS0_14default_configENS1_25partition_config_selectorILNS1_17partition_subalgoE8ElNS0_10empty_typeEbEEZZNS1_14partition_implILS5_8ELb0ES3_jPlPS6_PKS6_NS0_5tupleIJS9_S6_EEENSD_IJSA_SA_EEENS0_18inequality_wrapperIZN2at6native12_GLOBAL__N_124unique_dim_cuda_templateIjEESt5tupleIJNSH_6TensorESM_SM_EERKSM_lbbbEUlllE0_EEPmJS6_EEE10hipError_tPvRmT3_T4_T5_T6_T7_T9_mT8_P12ihipStream_tbDpT10_ENKUlT_T0_E_clISt17integral_constantIbLb0EES1C_EEDaS17_S18_EUlS17_E_NS1_11comp_targetILNS1_3genE5ELNS1_11target_archE942ELNS1_3gpuE9ELNS1_3repE0EEENS1_30default_config_static_selectorELNS0_4arch9wavefront6targetE0EEEvT1_, .Lfunc_end1542-_ZN7rocprim17ROCPRIM_400000_NS6detail17trampoline_kernelINS0_14default_configENS1_25partition_config_selectorILNS1_17partition_subalgoE8ElNS0_10empty_typeEbEEZZNS1_14partition_implILS5_8ELb0ES3_jPlPS6_PKS6_NS0_5tupleIJS9_S6_EEENSD_IJSA_SA_EEENS0_18inequality_wrapperIZN2at6native12_GLOBAL__N_124unique_dim_cuda_templateIjEESt5tupleIJNSH_6TensorESM_SM_EERKSM_lbbbEUlllE0_EEPmJS6_EEE10hipError_tPvRmT3_T4_T5_T6_T7_T9_mT8_P12ihipStream_tbDpT10_ENKUlT_T0_E_clISt17integral_constantIbLb0EES1C_EEDaS17_S18_EUlS17_E_NS1_11comp_targetILNS1_3genE5ELNS1_11target_archE942ELNS1_3gpuE9ELNS1_3repE0EEENS1_30default_config_static_selectorELNS0_4arch9wavefront6targetE0EEEvT1_
                                        ; -- End function
	.set _ZN7rocprim17ROCPRIM_400000_NS6detail17trampoline_kernelINS0_14default_configENS1_25partition_config_selectorILNS1_17partition_subalgoE8ElNS0_10empty_typeEbEEZZNS1_14partition_implILS5_8ELb0ES3_jPlPS6_PKS6_NS0_5tupleIJS9_S6_EEENSD_IJSA_SA_EEENS0_18inequality_wrapperIZN2at6native12_GLOBAL__N_124unique_dim_cuda_templateIjEESt5tupleIJNSH_6TensorESM_SM_EERKSM_lbbbEUlllE0_EEPmJS6_EEE10hipError_tPvRmT3_T4_T5_T6_T7_T9_mT8_P12ihipStream_tbDpT10_ENKUlT_T0_E_clISt17integral_constantIbLb0EES1C_EEDaS17_S18_EUlS17_E_NS1_11comp_targetILNS1_3genE5ELNS1_11target_archE942ELNS1_3gpuE9ELNS1_3repE0EEENS1_30default_config_static_selectorELNS0_4arch9wavefront6targetE0EEEvT1_.num_vgpr, 0
	.set _ZN7rocprim17ROCPRIM_400000_NS6detail17trampoline_kernelINS0_14default_configENS1_25partition_config_selectorILNS1_17partition_subalgoE8ElNS0_10empty_typeEbEEZZNS1_14partition_implILS5_8ELb0ES3_jPlPS6_PKS6_NS0_5tupleIJS9_S6_EEENSD_IJSA_SA_EEENS0_18inequality_wrapperIZN2at6native12_GLOBAL__N_124unique_dim_cuda_templateIjEESt5tupleIJNSH_6TensorESM_SM_EERKSM_lbbbEUlllE0_EEPmJS6_EEE10hipError_tPvRmT3_T4_T5_T6_T7_T9_mT8_P12ihipStream_tbDpT10_ENKUlT_T0_E_clISt17integral_constantIbLb0EES1C_EEDaS17_S18_EUlS17_E_NS1_11comp_targetILNS1_3genE5ELNS1_11target_archE942ELNS1_3gpuE9ELNS1_3repE0EEENS1_30default_config_static_selectorELNS0_4arch9wavefront6targetE0EEEvT1_.num_agpr, 0
	.set _ZN7rocprim17ROCPRIM_400000_NS6detail17trampoline_kernelINS0_14default_configENS1_25partition_config_selectorILNS1_17partition_subalgoE8ElNS0_10empty_typeEbEEZZNS1_14partition_implILS5_8ELb0ES3_jPlPS6_PKS6_NS0_5tupleIJS9_S6_EEENSD_IJSA_SA_EEENS0_18inequality_wrapperIZN2at6native12_GLOBAL__N_124unique_dim_cuda_templateIjEESt5tupleIJNSH_6TensorESM_SM_EERKSM_lbbbEUlllE0_EEPmJS6_EEE10hipError_tPvRmT3_T4_T5_T6_T7_T9_mT8_P12ihipStream_tbDpT10_ENKUlT_T0_E_clISt17integral_constantIbLb0EES1C_EEDaS17_S18_EUlS17_E_NS1_11comp_targetILNS1_3genE5ELNS1_11target_archE942ELNS1_3gpuE9ELNS1_3repE0EEENS1_30default_config_static_selectorELNS0_4arch9wavefront6targetE0EEEvT1_.numbered_sgpr, 0
	.set _ZN7rocprim17ROCPRIM_400000_NS6detail17trampoline_kernelINS0_14default_configENS1_25partition_config_selectorILNS1_17partition_subalgoE8ElNS0_10empty_typeEbEEZZNS1_14partition_implILS5_8ELb0ES3_jPlPS6_PKS6_NS0_5tupleIJS9_S6_EEENSD_IJSA_SA_EEENS0_18inequality_wrapperIZN2at6native12_GLOBAL__N_124unique_dim_cuda_templateIjEESt5tupleIJNSH_6TensorESM_SM_EERKSM_lbbbEUlllE0_EEPmJS6_EEE10hipError_tPvRmT3_T4_T5_T6_T7_T9_mT8_P12ihipStream_tbDpT10_ENKUlT_T0_E_clISt17integral_constantIbLb0EES1C_EEDaS17_S18_EUlS17_E_NS1_11comp_targetILNS1_3genE5ELNS1_11target_archE942ELNS1_3gpuE9ELNS1_3repE0EEENS1_30default_config_static_selectorELNS0_4arch9wavefront6targetE0EEEvT1_.num_named_barrier, 0
	.set _ZN7rocprim17ROCPRIM_400000_NS6detail17trampoline_kernelINS0_14default_configENS1_25partition_config_selectorILNS1_17partition_subalgoE8ElNS0_10empty_typeEbEEZZNS1_14partition_implILS5_8ELb0ES3_jPlPS6_PKS6_NS0_5tupleIJS9_S6_EEENSD_IJSA_SA_EEENS0_18inequality_wrapperIZN2at6native12_GLOBAL__N_124unique_dim_cuda_templateIjEESt5tupleIJNSH_6TensorESM_SM_EERKSM_lbbbEUlllE0_EEPmJS6_EEE10hipError_tPvRmT3_T4_T5_T6_T7_T9_mT8_P12ihipStream_tbDpT10_ENKUlT_T0_E_clISt17integral_constantIbLb0EES1C_EEDaS17_S18_EUlS17_E_NS1_11comp_targetILNS1_3genE5ELNS1_11target_archE942ELNS1_3gpuE9ELNS1_3repE0EEENS1_30default_config_static_selectorELNS0_4arch9wavefront6targetE0EEEvT1_.private_seg_size, 0
	.set _ZN7rocprim17ROCPRIM_400000_NS6detail17trampoline_kernelINS0_14default_configENS1_25partition_config_selectorILNS1_17partition_subalgoE8ElNS0_10empty_typeEbEEZZNS1_14partition_implILS5_8ELb0ES3_jPlPS6_PKS6_NS0_5tupleIJS9_S6_EEENSD_IJSA_SA_EEENS0_18inequality_wrapperIZN2at6native12_GLOBAL__N_124unique_dim_cuda_templateIjEESt5tupleIJNSH_6TensorESM_SM_EERKSM_lbbbEUlllE0_EEPmJS6_EEE10hipError_tPvRmT3_T4_T5_T6_T7_T9_mT8_P12ihipStream_tbDpT10_ENKUlT_T0_E_clISt17integral_constantIbLb0EES1C_EEDaS17_S18_EUlS17_E_NS1_11comp_targetILNS1_3genE5ELNS1_11target_archE942ELNS1_3gpuE9ELNS1_3repE0EEENS1_30default_config_static_selectorELNS0_4arch9wavefront6targetE0EEEvT1_.uses_vcc, 0
	.set _ZN7rocprim17ROCPRIM_400000_NS6detail17trampoline_kernelINS0_14default_configENS1_25partition_config_selectorILNS1_17partition_subalgoE8ElNS0_10empty_typeEbEEZZNS1_14partition_implILS5_8ELb0ES3_jPlPS6_PKS6_NS0_5tupleIJS9_S6_EEENSD_IJSA_SA_EEENS0_18inequality_wrapperIZN2at6native12_GLOBAL__N_124unique_dim_cuda_templateIjEESt5tupleIJNSH_6TensorESM_SM_EERKSM_lbbbEUlllE0_EEPmJS6_EEE10hipError_tPvRmT3_T4_T5_T6_T7_T9_mT8_P12ihipStream_tbDpT10_ENKUlT_T0_E_clISt17integral_constantIbLb0EES1C_EEDaS17_S18_EUlS17_E_NS1_11comp_targetILNS1_3genE5ELNS1_11target_archE942ELNS1_3gpuE9ELNS1_3repE0EEENS1_30default_config_static_selectorELNS0_4arch9wavefront6targetE0EEEvT1_.uses_flat_scratch, 0
	.set _ZN7rocprim17ROCPRIM_400000_NS6detail17trampoline_kernelINS0_14default_configENS1_25partition_config_selectorILNS1_17partition_subalgoE8ElNS0_10empty_typeEbEEZZNS1_14partition_implILS5_8ELb0ES3_jPlPS6_PKS6_NS0_5tupleIJS9_S6_EEENSD_IJSA_SA_EEENS0_18inequality_wrapperIZN2at6native12_GLOBAL__N_124unique_dim_cuda_templateIjEESt5tupleIJNSH_6TensorESM_SM_EERKSM_lbbbEUlllE0_EEPmJS6_EEE10hipError_tPvRmT3_T4_T5_T6_T7_T9_mT8_P12ihipStream_tbDpT10_ENKUlT_T0_E_clISt17integral_constantIbLb0EES1C_EEDaS17_S18_EUlS17_E_NS1_11comp_targetILNS1_3genE5ELNS1_11target_archE942ELNS1_3gpuE9ELNS1_3repE0EEENS1_30default_config_static_selectorELNS0_4arch9wavefront6targetE0EEEvT1_.has_dyn_sized_stack, 0
	.set _ZN7rocprim17ROCPRIM_400000_NS6detail17trampoline_kernelINS0_14default_configENS1_25partition_config_selectorILNS1_17partition_subalgoE8ElNS0_10empty_typeEbEEZZNS1_14partition_implILS5_8ELb0ES3_jPlPS6_PKS6_NS0_5tupleIJS9_S6_EEENSD_IJSA_SA_EEENS0_18inequality_wrapperIZN2at6native12_GLOBAL__N_124unique_dim_cuda_templateIjEESt5tupleIJNSH_6TensorESM_SM_EERKSM_lbbbEUlllE0_EEPmJS6_EEE10hipError_tPvRmT3_T4_T5_T6_T7_T9_mT8_P12ihipStream_tbDpT10_ENKUlT_T0_E_clISt17integral_constantIbLb0EES1C_EEDaS17_S18_EUlS17_E_NS1_11comp_targetILNS1_3genE5ELNS1_11target_archE942ELNS1_3gpuE9ELNS1_3repE0EEENS1_30default_config_static_selectorELNS0_4arch9wavefront6targetE0EEEvT1_.has_recursion, 0
	.set _ZN7rocprim17ROCPRIM_400000_NS6detail17trampoline_kernelINS0_14default_configENS1_25partition_config_selectorILNS1_17partition_subalgoE8ElNS0_10empty_typeEbEEZZNS1_14partition_implILS5_8ELb0ES3_jPlPS6_PKS6_NS0_5tupleIJS9_S6_EEENSD_IJSA_SA_EEENS0_18inequality_wrapperIZN2at6native12_GLOBAL__N_124unique_dim_cuda_templateIjEESt5tupleIJNSH_6TensorESM_SM_EERKSM_lbbbEUlllE0_EEPmJS6_EEE10hipError_tPvRmT3_T4_T5_T6_T7_T9_mT8_P12ihipStream_tbDpT10_ENKUlT_T0_E_clISt17integral_constantIbLb0EES1C_EEDaS17_S18_EUlS17_E_NS1_11comp_targetILNS1_3genE5ELNS1_11target_archE942ELNS1_3gpuE9ELNS1_3repE0EEENS1_30default_config_static_selectorELNS0_4arch9wavefront6targetE0EEEvT1_.has_indirect_call, 0
	.section	.AMDGPU.csdata,"",@progbits
; Kernel info:
; codeLenInByte = 0
; TotalNumSgprs: 0
; NumVgprs: 0
; ScratchSize: 0
; MemoryBound: 0
; FloatMode: 240
; IeeeMode: 1
; LDSByteSize: 0 bytes/workgroup (compile time only)
; SGPRBlocks: 0
; VGPRBlocks: 0
; NumSGPRsForWavesPerEU: 1
; NumVGPRsForWavesPerEU: 1
; NamedBarCnt: 0
; Occupancy: 16
; WaveLimiterHint : 0
; COMPUTE_PGM_RSRC2:SCRATCH_EN: 0
; COMPUTE_PGM_RSRC2:USER_SGPR: 2
; COMPUTE_PGM_RSRC2:TRAP_HANDLER: 0
; COMPUTE_PGM_RSRC2:TGID_X_EN: 1
; COMPUTE_PGM_RSRC2:TGID_Y_EN: 0
; COMPUTE_PGM_RSRC2:TGID_Z_EN: 0
; COMPUTE_PGM_RSRC2:TIDIG_COMP_CNT: 0
	.section	.text._ZN7rocprim17ROCPRIM_400000_NS6detail17trampoline_kernelINS0_14default_configENS1_25partition_config_selectorILNS1_17partition_subalgoE8ElNS0_10empty_typeEbEEZZNS1_14partition_implILS5_8ELb0ES3_jPlPS6_PKS6_NS0_5tupleIJS9_S6_EEENSD_IJSA_SA_EEENS0_18inequality_wrapperIZN2at6native12_GLOBAL__N_124unique_dim_cuda_templateIjEESt5tupleIJNSH_6TensorESM_SM_EERKSM_lbbbEUlllE0_EEPmJS6_EEE10hipError_tPvRmT3_T4_T5_T6_T7_T9_mT8_P12ihipStream_tbDpT10_ENKUlT_T0_E_clISt17integral_constantIbLb0EES1C_EEDaS17_S18_EUlS17_E_NS1_11comp_targetILNS1_3genE4ELNS1_11target_archE910ELNS1_3gpuE8ELNS1_3repE0EEENS1_30default_config_static_selectorELNS0_4arch9wavefront6targetE0EEEvT1_,"axG",@progbits,_ZN7rocprim17ROCPRIM_400000_NS6detail17trampoline_kernelINS0_14default_configENS1_25partition_config_selectorILNS1_17partition_subalgoE8ElNS0_10empty_typeEbEEZZNS1_14partition_implILS5_8ELb0ES3_jPlPS6_PKS6_NS0_5tupleIJS9_S6_EEENSD_IJSA_SA_EEENS0_18inequality_wrapperIZN2at6native12_GLOBAL__N_124unique_dim_cuda_templateIjEESt5tupleIJNSH_6TensorESM_SM_EERKSM_lbbbEUlllE0_EEPmJS6_EEE10hipError_tPvRmT3_T4_T5_T6_T7_T9_mT8_P12ihipStream_tbDpT10_ENKUlT_T0_E_clISt17integral_constantIbLb0EES1C_EEDaS17_S18_EUlS17_E_NS1_11comp_targetILNS1_3genE4ELNS1_11target_archE910ELNS1_3gpuE8ELNS1_3repE0EEENS1_30default_config_static_selectorELNS0_4arch9wavefront6targetE0EEEvT1_,comdat
	.globl	_ZN7rocprim17ROCPRIM_400000_NS6detail17trampoline_kernelINS0_14default_configENS1_25partition_config_selectorILNS1_17partition_subalgoE8ElNS0_10empty_typeEbEEZZNS1_14partition_implILS5_8ELb0ES3_jPlPS6_PKS6_NS0_5tupleIJS9_S6_EEENSD_IJSA_SA_EEENS0_18inequality_wrapperIZN2at6native12_GLOBAL__N_124unique_dim_cuda_templateIjEESt5tupleIJNSH_6TensorESM_SM_EERKSM_lbbbEUlllE0_EEPmJS6_EEE10hipError_tPvRmT3_T4_T5_T6_T7_T9_mT8_P12ihipStream_tbDpT10_ENKUlT_T0_E_clISt17integral_constantIbLb0EES1C_EEDaS17_S18_EUlS17_E_NS1_11comp_targetILNS1_3genE4ELNS1_11target_archE910ELNS1_3gpuE8ELNS1_3repE0EEENS1_30default_config_static_selectorELNS0_4arch9wavefront6targetE0EEEvT1_ ; -- Begin function _ZN7rocprim17ROCPRIM_400000_NS6detail17trampoline_kernelINS0_14default_configENS1_25partition_config_selectorILNS1_17partition_subalgoE8ElNS0_10empty_typeEbEEZZNS1_14partition_implILS5_8ELb0ES3_jPlPS6_PKS6_NS0_5tupleIJS9_S6_EEENSD_IJSA_SA_EEENS0_18inequality_wrapperIZN2at6native12_GLOBAL__N_124unique_dim_cuda_templateIjEESt5tupleIJNSH_6TensorESM_SM_EERKSM_lbbbEUlllE0_EEPmJS6_EEE10hipError_tPvRmT3_T4_T5_T6_T7_T9_mT8_P12ihipStream_tbDpT10_ENKUlT_T0_E_clISt17integral_constantIbLb0EES1C_EEDaS17_S18_EUlS17_E_NS1_11comp_targetILNS1_3genE4ELNS1_11target_archE910ELNS1_3gpuE8ELNS1_3repE0EEENS1_30default_config_static_selectorELNS0_4arch9wavefront6targetE0EEEvT1_
	.p2align	8
	.type	_ZN7rocprim17ROCPRIM_400000_NS6detail17trampoline_kernelINS0_14default_configENS1_25partition_config_selectorILNS1_17partition_subalgoE8ElNS0_10empty_typeEbEEZZNS1_14partition_implILS5_8ELb0ES3_jPlPS6_PKS6_NS0_5tupleIJS9_S6_EEENSD_IJSA_SA_EEENS0_18inequality_wrapperIZN2at6native12_GLOBAL__N_124unique_dim_cuda_templateIjEESt5tupleIJNSH_6TensorESM_SM_EERKSM_lbbbEUlllE0_EEPmJS6_EEE10hipError_tPvRmT3_T4_T5_T6_T7_T9_mT8_P12ihipStream_tbDpT10_ENKUlT_T0_E_clISt17integral_constantIbLb0EES1C_EEDaS17_S18_EUlS17_E_NS1_11comp_targetILNS1_3genE4ELNS1_11target_archE910ELNS1_3gpuE8ELNS1_3repE0EEENS1_30default_config_static_selectorELNS0_4arch9wavefront6targetE0EEEvT1_,@function
_ZN7rocprim17ROCPRIM_400000_NS6detail17trampoline_kernelINS0_14default_configENS1_25partition_config_selectorILNS1_17partition_subalgoE8ElNS0_10empty_typeEbEEZZNS1_14partition_implILS5_8ELb0ES3_jPlPS6_PKS6_NS0_5tupleIJS9_S6_EEENSD_IJSA_SA_EEENS0_18inequality_wrapperIZN2at6native12_GLOBAL__N_124unique_dim_cuda_templateIjEESt5tupleIJNSH_6TensorESM_SM_EERKSM_lbbbEUlllE0_EEPmJS6_EEE10hipError_tPvRmT3_T4_T5_T6_T7_T9_mT8_P12ihipStream_tbDpT10_ENKUlT_T0_E_clISt17integral_constantIbLb0EES1C_EEDaS17_S18_EUlS17_E_NS1_11comp_targetILNS1_3genE4ELNS1_11target_archE910ELNS1_3gpuE8ELNS1_3repE0EEENS1_30default_config_static_selectorELNS0_4arch9wavefront6targetE0EEEvT1_: ; @_ZN7rocprim17ROCPRIM_400000_NS6detail17trampoline_kernelINS0_14default_configENS1_25partition_config_selectorILNS1_17partition_subalgoE8ElNS0_10empty_typeEbEEZZNS1_14partition_implILS5_8ELb0ES3_jPlPS6_PKS6_NS0_5tupleIJS9_S6_EEENSD_IJSA_SA_EEENS0_18inequality_wrapperIZN2at6native12_GLOBAL__N_124unique_dim_cuda_templateIjEESt5tupleIJNSH_6TensorESM_SM_EERKSM_lbbbEUlllE0_EEPmJS6_EEE10hipError_tPvRmT3_T4_T5_T6_T7_T9_mT8_P12ihipStream_tbDpT10_ENKUlT_T0_E_clISt17integral_constantIbLb0EES1C_EEDaS17_S18_EUlS17_E_NS1_11comp_targetILNS1_3genE4ELNS1_11target_archE910ELNS1_3gpuE8ELNS1_3repE0EEENS1_30default_config_static_selectorELNS0_4arch9wavefront6targetE0EEEvT1_
; %bb.0:
	.section	.rodata,"a",@progbits
	.p2align	6, 0x0
	.amdhsa_kernel _ZN7rocprim17ROCPRIM_400000_NS6detail17trampoline_kernelINS0_14default_configENS1_25partition_config_selectorILNS1_17partition_subalgoE8ElNS0_10empty_typeEbEEZZNS1_14partition_implILS5_8ELb0ES3_jPlPS6_PKS6_NS0_5tupleIJS9_S6_EEENSD_IJSA_SA_EEENS0_18inequality_wrapperIZN2at6native12_GLOBAL__N_124unique_dim_cuda_templateIjEESt5tupleIJNSH_6TensorESM_SM_EERKSM_lbbbEUlllE0_EEPmJS6_EEE10hipError_tPvRmT3_T4_T5_T6_T7_T9_mT8_P12ihipStream_tbDpT10_ENKUlT_T0_E_clISt17integral_constantIbLb0EES1C_EEDaS17_S18_EUlS17_E_NS1_11comp_targetILNS1_3genE4ELNS1_11target_archE910ELNS1_3gpuE8ELNS1_3repE0EEENS1_30default_config_static_selectorELNS0_4arch9wavefront6targetE0EEEvT1_
		.amdhsa_group_segment_fixed_size 0
		.amdhsa_private_segment_fixed_size 0
		.amdhsa_kernarg_size 120
		.amdhsa_user_sgpr_count 2
		.amdhsa_user_sgpr_dispatch_ptr 0
		.amdhsa_user_sgpr_queue_ptr 0
		.amdhsa_user_sgpr_kernarg_segment_ptr 1
		.amdhsa_user_sgpr_dispatch_id 0
		.amdhsa_user_sgpr_kernarg_preload_length 0
		.amdhsa_user_sgpr_kernarg_preload_offset 0
		.amdhsa_user_sgpr_private_segment_size 0
		.amdhsa_wavefront_size32 1
		.amdhsa_uses_dynamic_stack 0
		.amdhsa_enable_private_segment 0
		.amdhsa_system_sgpr_workgroup_id_x 1
		.amdhsa_system_sgpr_workgroup_id_y 0
		.amdhsa_system_sgpr_workgroup_id_z 0
		.amdhsa_system_sgpr_workgroup_info 0
		.amdhsa_system_vgpr_workitem_id 0
		.amdhsa_next_free_vgpr 1
		.amdhsa_next_free_sgpr 1
		.amdhsa_named_barrier_count 0
		.amdhsa_reserve_vcc 0
		.amdhsa_float_round_mode_32 0
		.amdhsa_float_round_mode_16_64 0
		.amdhsa_float_denorm_mode_32 3
		.amdhsa_float_denorm_mode_16_64 3
		.amdhsa_fp16_overflow 0
		.amdhsa_memory_ordered 1
		.amdhsa_forward_progress 1
		.amdhsa_inst_pref_size 0
		.amdhsa_round_robin_scheduling 0
		.amdhsa_exception_fp_ieee_invalid_op 0
		.amdhsa_exception_fp_denorm_src 0
		.amdhsa_exception_fp_ieee_div_zero 0
		.amdhsa_exception_fp_ieee_overflow 0
		.amdhsa_exception_fp_ieee_underflow 0
		.amdhsa_exception_fp_ieee_inexact 0
		.amdhsa_exception_int_div_zero 0
	.end_amdhsa_kernel
	.section	.text._ZN7rocprim17ROCPRIM_400000_NS6detail17trampoline_kernelINS0_14default_configENS1_25partition_config_selectorILNS1_17partition_subalgoE8ElNS0_10empty_typeEbEEZZNS1_14partition_implILS5_8ELb0ES3_jPlPS6_PKS6_NS0_5tupleIJS9_S6_EEENSD_IJSA_SA_EEENS0_18inequality_wrapperIZN2at6native12_GLOBAL__N_124unique_dim_cuda_templateIjEESt5tupleIJNSH_6TensorESM_SM_EERKSM_lbbbEUlllE0_EEPmJS6_EEE10hipError_tPvRmT3_T4_T5_T6_T7_T9_mT8_P12ihipStream_tbDpT10_ENKUlT_T0_E_clISt17integral_constantIbLb0EES1C_EEDaS17_S18_EUlS17_E_NS1_11comp_targetILNS1_3genE4ELNS1_11target_archE910ELNS1_3gpuE8ELNS1_3repE0EEENS1_30default_config_static_selectorELNS0_4arch9wavefront6targetE0EEEvT1_,"axG",@progbits,_ZN7rocprim17ROCPRIM_400000_NS6detail17trampoline_kernelINS0_14default_configENS1_25partition_config_selectorILNS1_17partition_subalgoE8ElNS0_10empty_typeEbEEZZNS1_14partition_implILS5_8ELb0ES3_jPlPS6_PKS6_NS0_5tupleIJS9_S6_EEENSD_IJSA_SA_EEENS0_18inequality_wrapperIZN2at6native12_GLOBAL__N_124unique_dim_cuda_templateIjEESt5tupleIJNSH_6TensorESM_SM_EERKSM_lbbbEUlllE0_EEPmJS6_EEE10hipError_tPvRmT3_T4_T5_T6_T7_T9_mT8_P12ihipStream_tbDpT10_ENKUlT_T0_E_clISt17integral_constantIbLb0EES1C_EEDaS17_S18_EUlS17_E_NS1_11comp_targetILNS1_3genE4ELNS1_11target_archE910ELNS1_3gpuE8ELNS1_3repE0EEENS1_30default_config_static_selectorELNS0_4arch9wavefront6targetE0EEEvT1_,comdat
.Lfunc_end1543:
	.size	_ZN7rocprim17ROCPRIM_400000_NS6detail17trampoline_kernelINS0_14default_configENS1_25partition_config_selectorILNS1_17partition_subalgoE8ElNS0_10empty_typeEbEEZZNS1_14partition_implILS5_8ELb0ES3_jPlPS6_PKS6_NS0_5tupleIJS9_S6_EEENSD_IJSA_SA_EEENS0_18inequality_wrapperIZN2at6native12_GLOBAL__N_124unique_dim_cuda_templateIjEESt5tupleIJNSH_6TensorESM_SM_EERKSM_lbbbEUlllE0_EEPmJS6_EEE10hipError_tPvRmT3_T4_T5_T6_T7_T9_mT8_P12ihipStream_tbDpT10_ENKUlT_T0_E_clISt17integral_constantIbLb0EES1C_EEDaS17_S18_EUlS17_E_NS1_11comp_targetILNS1_3genE4ELNS1_11target_archE910ELNS1_3gpuE8ELNS1_3repE0EEENS1_30default_config_static_selectorELNS0_4arch9wavefront6targetE0EEEvT1_, .Lfunc_end1543-_ZN7rocprim17ROCPRIM_400000_NS6detail17trampoline_kernelINS0_14default_configENS1_25partition_config_selectorILNS1_17partition_subalgoE8ElNS0_10empty_typeEbEEZZNS1_14partition_implILS5_8ELb0ES3_jPlPS6_PKS6_NS0_5tupleIJS9_S6_EEENSD_IJSA_SA_EEENS0_18inequality_wrapperIZN2at6native12_GLOBAL__N_124unique_dim_cuda_templateIjEESt5tupleIJNSH_6TensorESM_SM_EERKSM_lbbbEUlllE0_EEPmJS6_EEE10hipError_tPvRmT3_T4_T5_T6_T7_T9_mT8_P12ihipStream_tbDpT10_ENKUlT_T0_E_clISt17integral_constantIbLb0EES1C_EEDaS17_S18_EUlS17_E_NS1_11comp_targetILNS1_3genE4ELNS1_11target_archE910ELNS1_3gpuE8ELNS1_3repE0EEENS1_30default_config_static_selectorELNS0_4arch9wavefront6targetE0EEEvT1_
                                        ; -- End function
	.set _ZN7rocprim17ROCPRIM_400000_NS6detail17trampoline_kernelINS0_14default_configENS1_25partition_config_selectorILNS1_17partition_subalgoE8ElNS0_10empty_typeEbEEZZNS1_14partition_implILS5_8ELb0ES3_jPlPS6_PKS6_NS0_5tupleIJS9_S6_EEENSD_IJSA_SA_EEENS0_18inequality_wrapperIZN2at6native12_GLOBAL__N_124unique_dim_cuda_templateIjEESt5tupleIJNSH_6TensorESM_SM_EERKSM_lbbbEUlllE0_EEPmJS6_EEE10hipError_tPvRmT3_T4_T5_T6_T7_T9_mT8_P12ihipStream_tbDpT10_ENKUlT_T0_E_clISt17integral_constantIbLb0EES1C_EEDaS17_S18_EUlS17_E_NS1_11comp_targetILNS1_3genE4ELNS1_11target_archE910ELNS1_3gpuE8ELNS1_3repE0EEENS1_30default_config_static_selectorELNS0_4arch9wavefront6targetE0EEEvT1_.num_vgpr, 0
	.set _ZN7rocprim17ROCPRIM_400000_NS6detail17trampoline_kernelINS0_14default_configENS1_25partition_config_selectorILNS1_17partition_subalgoE8ElNS0_10empty_typeEbEEZZNS1_14partition_implILS5_8ELb0ES3_jPlPS6_PKS6_NS0_5tupleIJS9_S6_EEENSD_IJSA_SA_EEENS0_18inequality_wrapperIZN2at6native12_GLOBAL__N_124unique_dim_cuda_templateIjEESt5tupleIJNSH_6TensorESM_SM_EERKSM_lbbbEUlllE0_EEPmJS6_EEE10hipError_tPvRmT3_T4_T5_T6_T7_T9_mT8_P12ihipStream_tbDpT10_ENKUlT_T0_E_clISt17integral_constantIbLb0EES1C_EEDaS17_S18_EUlS17_E_NS1_11comp_targetILNS1_3genE4ELNS1_11target_archE910ELNS1_3gpuE8ELNS1_3repE0EEENS1_30default_config_static_selectorELNS0_4arch9wavefront6targetE0EEEvT1_.num_agpr, 0
	.set _ZN7rocprim17ROCPRIM_400000_NS6detail17trampoline_kernelINS0_14default_configENS1_25partition_config_selectorILNS1_17partition_subalgoE8ElNS0_10empty_typeEbEEZZNS1_14partition_implILS5_8ELb0ES3_jPlPS6_PKS6_NS0_5tupleIJS9_S6_EEENSD_IJSA_SA_EEENS0_18inequality_wrapperIZN2at6native12_GLOBAL__N_124unique_dim_cuda_templateIjEESt5tupleIJNSH_6TensorESM_SM_EERKSM_lbbbEUlllE0_EEPmJS6_EEE10hipError_tPvRmT3_T4_T5_T6_T7_T9_mT8_P12ihipStream_tbDpT10_ENKUlT_T0_E_clISt17integral_constantIbLb0EES1C_EEDaS17_S18_EUlS17_E_NS1_11comp_targetILNS1_3genE4ELNS1_11target_archE910ELNS1_3gpuE8ELNS1_3repE0EEENS1_30default_config_static_selectorELNS0_4arch9wavefront6targetE0EEEvT1_.numbered_sgpr, 0
	.set _ZN7rocprim17ROCPRIM_400000_NS6detail17trampoline_kernelINS0_14default_configENS1_25partition_config_selectorILNS1_17partition_subalgoE8ElNS0_10empty_typeEbEEZZNS1_14partition_implILS5_8ELb0ES3_jPlPS6_PKS6_NS0_5tupleIJS9_S6_EEENSD_IJSA_SA_EEENS0_18inequality_wrapperIZN2at6native12_GLOBAL__N_124unique_dim_cuda_templateIjEESt5tupleIJNSH_6TensorESM_SM_EERKSM_lbbbEUlllE0_EEPmJS6_EEE10hipError_tPvRmT3_T4_T5_T6_T7_T9_mT8_P12ihipStream_tbDpT10_ENKUlT_T0_E_clISt17integral_constantIbLb0EES1C_EEDaS17_S18_EUlS17_E_NS1_11comp_targetILNS1_3genE4ELNS1_11target_archE910ELNS1_3gpuE8ELNS1_3repE0EEENS1_30default_config_static_selectorELNS0_4arch9wavefront6targetE0EEEvT1_.num_named_barrier, 0
	.set _ZN7rocprim17ROCPRIM_400000_NS6detail17trampoline_kernelINS0_14default_configENS1_25partition_config_selectorILNS1_17partition_subalgoE8ElNS0_10empty_typeEbEEZZNS1_14partition_implILS5_8ELb0ES3_jPlPS6_PKS6_NS0_5tupleIJS9_S6_EEENSD_IJSA_SA_EEENS0_18inequality_wrapperIZN2at6native12_GLOBAL__N_124unique_dim_cuda_templateIjEESt5tupleIJNSH_6TensorESM_SM_EERKSM_lbbbEUlllE0_EEPmJS6_EEE10hipError_tPvRmT3_T4_T5_T6_T7_T9_mT8_P12ihipStream_tbDpT10_ENKUlT_T0_E_clISt17integral_constantIbLb0EES1C_EEDaS17_S18_EUlS17_E_NS1_11comp_targetILNS1_3genE4ELNS1_11target_archE910ELNS1_3gpuE8ELNS1_3repE0EEENS1_30default_config_static_selectorELNS0_4arch9wavefront6targetE0EEEvT1_.private_seg_size, 0
	.set _ZN7rocprim17ROCPRIM_400000_NS6detail17trampoline_kernelINS0_14default_configENS1_25partition_config_selectorILNS1_17partition_subalgoE8ElNS0_10empty_typeEbEEZZNS1_14partition_implILS5_8ELb0ES3_jPlPS6_PKS6_NS0_5tupleIJS9_S6_EEENSD_IJSA_SA_EEENS0_18inequality_wrapperIZN2at6native12_GLOBAL__N_124unique_dim_cuda_templateIjEESt5tupleIJNSH_6TensorESM_SM_EERKSM_lbbbEUlllE0_EEPmJS6_EEE10hipError_tPvRmT3_T4_T5_T6_T7_T9_mT8_P12ihipStream_tbDpT10_ENKUlT_T0_E_clISt17integral_constantIbLb0EES1C_EEDaS17_S18_EUlS17_E_NS1_11comp_targetILNS1_3genE4ELNS1_11target_archE910ELNS1_3gpuE8ELNS1_3repE0EEENS1_30default_config_static_selectorELNS0_4arch9wavefront6targetE0EEEvT1_.uses_vcc, 0
	.set _ZN7rocprim17ROCPRIM_400000_NS6detail17trampoline_kernelINS0_14default_configENS1_25partition_config_selectorILNS1_17partition_subalgoE8ElNS0_10empty_typeEbEEZZNS1_14partition_implILS5_8ELb0ES3_jPlPS6_PKS6_NS0_5tupleIJS9_S6_EEENSD_IJSA_SA_EEENS0_18inequality_wrapperIZN2at6native12_GLOBAL__N_124unique_dim_cuda_templateIjEESt5tupleIJNSH_6TensorESM_SM_EERKSM_lbbbEUlllE0_EEPmJS6_EEE10hipError_tPvRmT3_T4_T5_T6_T7_T9_mT8_P12ihipStream_tbDpT10_ENKUlT_T0_E_clISt17integral_constantIbLb0EES1C_EEDaS17_S18_EUlS17_E_NS1_11comp_targetILNS1_3genE4ELNS1_11target_archE910ELNS1_3gpuE8ELNS1_3repE0EEENS1_30default_config_static_selectorELNS0_4arch9wavefront6targetE0EEEvT1_.uses_flat_scratch, 0
	.set _ZN7rocprim17ROCPRIM_400000_NS6detail17trampoline_kernelINS0_14default_configENS1_25partition_config_selectorILNS1_17partition_subalgoE8ElNS0_10empty_typeEbEEZZNS1_14partition_implILS5_8ELb0ES3_jPlPS6_PKS6_NS0_5tupleIJS9_S6_EEENSD_IJSA_SA_EEENS0_18inequality_wrapperIZN2at6native12_GLOBAL__N_124unique_dim_cuda_templateIjEESt5tupleIJNSH_6TensorESM_SM_EERKSM_lbbbEUlllE0_EEPmJS6_EEE10hipError_tPvRmT3_T4_T5_T6_T7_T9_mT8_P12ihipStream_tbDpT10_ENKUlT_T0_E_clISt17integral_constantIbLb0EES1C_EEDaS17_S18_EUlS17_E_NS1_11comp_targetILNS1_3genE4ELNS1_11target_archE910ELNS1_3gpuE8ELNS1_3repE0EEENS1_30default_config_static_selectorELNS0_4arch9wavefront6targetE0EEEvT1_.has_dyn_sized_stack, 0
	.set _ZN7rocprim17ROCPRIM_400000_NS6detail17trampoline_kernelINS0_14default_configENS1_25partition_config_selectorILNS1_17partition_subalgoE8ElNS0_10empty_typeEbEEZZNS1_14partition_implILS5_8ELb0ES3_jPlPS6_PKS6_NS0_5tupleIJS9_S6_EEENSD_IJSA_SA_EEENS0_18inequality_wrapperIZN2at6native12_GLOBAL__N_124unique_dim_cuda_templateIjEESt5tupleIJNSH_6TensorESM_SM_EERKSM_lbbbEUlllE0_EEPmJS6_EEE10hipError_tPvRmT3_T4_T5_T6_T7_T9_mT8_P12ihipStream_tbDpT10_ENKUlT_T0_E_clISt17integral_constantIbLb0EES1C_EEDaS17_S18_EUlS17_E_NS1_11comp_targetILNS1_3genE4ELNS1_11target_archE910ELNS1_3gpuE8ELNS1_3repE0EEENS1_30default_config_static_selectorELNS0_4arch9wavefront6targetE0EEEvT1_.has_recursion, 0
	.set _ZN7rocprim17ROCPRIM_400000_NS6detail17trampoline_kernelINS0_14default_configENS1_25partition_config_selectorILNS1_17partition_subalgoE8ElNS0_10empty_typeEbEEZZNS1_14partition_implILS5_8ELb0ES3_jPlPS6_PKS6_NS0_5tupleIJS9_S6_EEENSD_IJSA_SA_EEENS0_18inequality_wrapperIZN2at6native12_GLOBAL__N_124unique_dim_cuda_templateIjEESt5tupleIJNSH_6TensorESM_SM_EERKSM_lbbbEUlllE0_EEPmJS6_EEE10hipError_tPvRmT3_T4_T5_T6_T7_T9_mT8_P12ihipStream_tbDpT10_ENKUlT_T0_E_clISt17integral_constantIbLb0EES1C_EEDaS17_S18_EUlS17_E_NS1_11comp_targetILNS1_3genE4ELNS1_11target_archE910ELNS1_3gpuE8ELNS1_3repE0EEENS1_30default_config_static_selectorELNS0_4arch9wavefront6targetE0EEEvT1_.has_indirect_call, 0
	.section	.AMDGPU.csdata,"",@progbits
; Kernel info:
; codeLenInByte = 0
; TotalNumSgprs: 0
; NumVgprs: 0
; ScratchSize: 0
; MemoryBound: 0
; FloatMode: 240
; IeeeMode: 1
; LDSByteSize: 0 bytes/workgroup (compile time only)
; SGPRBlocks: 0
; VGPRBlocks: 0
; NumSGPRsForWavesPerEU: 1
; NumVGPRsForWavesPerEU: 1
; NamedBarCnt: 0
; Occupancy: 16
; WaveLimiterHint : 0
; COMPUTE_PGM_RSRC2:SCRATCH_EN: 0
; COMPUTE_PGM_RSRC2:USER_SGPR: 2
; COMPUTE_PGM_RSRC2:TRAP_HANDLER: 0
; COMPUTE_PGM_RSRC2:TGID_X_EN: 1
; COMPUTE_PGM_RSRC2:TGID_Y_EN: 0
; COMPUTE_PGM_RSRC2:TGID_Z_EN: 0
; COMPUTE_PGM_RSRC2:TIDIG_COMP_CNT: 0
	.section	.text._ZN7rocprim17ROCPRIM_400000_NS6detail17trampoline_kernelINS0_14default_configENS1_25partition_config_selectorILNS1_17partition_subalgoE8ElNS0_10empty_typeEbEEZZNS1_14partition_implILS5_8ELb0ES3_jPlPS6_PKS6_NS0_5tupleIJS9_S6_EEENSD_IJSA_SA_EEENS0_18inequality_wrapperIZN2at6native12_GLOBAL__N_124unique_dim_cuda_templateIjEESt5tupleIJNSH_6TensorESM_SM_EERKSM_lbbbEUlllE0_EEPmJS6_EEE10hipError_tPvRmT3_T4_T5_T6_T7_T9_mT8_P12ihipStream_tbDpT10_ENKUlT_T0_E_clISt17integral_constantIbLb0EES1C_EEDaS17_S18_EUlS17_E_NS1_11comp_targetILNS1_3genE3ELNS1_11target_archE908ELNS1_3gpuE7ELNS1_3repE0EEENS1_30default_config_static_selectorELNS0_4arch9wavefront6targetE0EEEvT1_,"axG",@progbits,_ZN7rocprim17ROCPRIM_400000_NS6detail17trampoline_kernelINS0_14default_configENS1_25partition_config_selectorILNS1_17partition_subalgoE8ElNS0_10empty_typeEbEEZZNS1_14partition_implILS5_8ELb0ES3_jPlPS6_PKS6_NS0_5tupleIJS9_S6_EEENSD_IJSA_SA_EEENS0_18inequality_wrapperIZN2at6native12_GLOBAL__N_124unique_dim_cuda_templateIjEESt5tupleIJNSH_6TensorESM_SM_EERKSM_lbbbEUlllE0_EEPmJS6_EEE10hipError_tPvRmT3_T4_T5_T6_T7_T9_mT8_P12ihipStream_tbDpT10_ENKUlT_T0_E_clISt17integral_constantIbLb0EES1C_EEDaS17_S18_EUlS17_E_NS1_11comp_targetILNS1_3genE3ELNS1_11target_archE908ELNS1_3gpuE7ELNS1_3repE0EEENS1_30default_config_static_selectorELNS0_4arch9wavefront6targetE0EEEvT1_,comdat
	.globl	_ZN7rocprim17ROCPRIM_400000_NS6detail17trampoline_kernelINS0_14default_configENS1_25partition_config_selectorILNS1_17partition_subalgoE8ElNS0_10empty_typeEbEEZZNS1_14partition_implILS5_8ELb0ES3_jPlPS6_PKS6_NS0_5tupleIJS9_S6_EEENSD_IJSA_SA_EEENS0_18inequality_wrapperIZN2at6native12_GLOBAL__N_124unique_dim_cuda_templateIjEESt5tupleIJNSH_6TensorESM_SM_EERKSM_lbbbEUlllE0_EEPmJS6_EEE10hipError_tPvRmT3_T4_T5_T6_T7_T9_mT8_P12ihipStream_tbDpT10_ENKUlT_T0_E_clISt17integral_constantIbLb0EES1C_EEDaS17_S18_EUlS17_E_NS1_11comp_targetILNS1_3genE3ELNS1_11target_archE908ELNS1_3gpuE7ELNS1_3repE0EEENS1_30default_config_static_selectorELNS0_4arch9wavefront6targetE0EEEvT1_ ; -- Begin function _ZN7rocprim17ROCPRIM_400000_NS6detail17trampoline_kernelINS0_14default_configENS1_25partition_config_selectorILNS1_17partition_subalgoE8ElNS0_10empty_typeEbEEZZNS1_14partition_implILS5_8ELb0ES3_jPlPS6_PKS6_NS0_5tupleIJS9_S6_EEENSD_IJSA_SA_EEENS0_18inequality_wrapperIZN2at6native12_GLOBAL__N_124unique_dim_cuda_templateIjEESt5tupleIJNSH_6TensorESM_SM_EERKSM_lbbbEUlllE0_EEPmJS6_EEE10hipError_tPvRmT3_T4_T5_T6_T7_T9_mT8_P12ihipStream_tbDpT10_ENKUlT_T0_E_clISt17integral_constantIbLb0EES1C_EEDaS17_S18_EUlS17_E_NS1_11comp_targetILNS1_3genE3ELNS1_11target_archE908ELNS1_3gpuE7ELNS1_3repE0EEENS1_30default_config_static_selectorELNS0_4arch9wavefront6targetE0EEEvT1_
	.p2align	8
	.type	_ZN7rocprim17ROCPRIM_400000_NS6detail17trampoline_kernelINS0_14default_configENS1_25partition_config_selectorILNS1_17partition_subalgoE8ElNS0_10empty_typeEbEEZZNS1_14partition_implILS5_8ELb0ES3_jPlPS6_PKS6_NS0_5tupleIJS9_S6_EEENSD_IJSA_SA_EEENS0_18inequality_wrapperIZN2at6native12_GLOBAL__N_124unique_dim_cuda_templateIjEESt5tupleIJNSH_6TensorESM_SM_EERKSM_lbbbEUlllE0_EEPmJS6_EEE10hipError_tPvRmT3_T4_T5_T6_T7_T9_mT8_P12ihipStream_tbDpT10_ENKUlT_T0_E_clISt17integral_constantIbLb0EES1C_EEDaS17_S18_EUlS17_E_NS1_11comp_targetILNS1_3genE3ELNS1_11target_archE908ELNS1_3gpuE7ELNS1_3repE0EEENS1_30default_config_static_selectorELNS0_4arch9wavefront6targetE0EEEvT1_,@function
_ZN7rocprim17ROCPRIM_400000_NS6detail17trampoline_kernelINS0_14default_configENS1_25partition_config_selectorILNS1_17partition_subalgoE8ElNS0_10empty_typeEbEEZZNS1_14partition_implILS5_8ELb0ES3_jPlPS6_PKS6_NS0_5tupleIJS9_S6_EEENSD_IJSA_SA_EEENS0_18inequality_wrapperIZN2at6native12_GLOBAL__N_124unique_dim_cuda_templateIjEESt5tupleIJNSH_6TensorESM_SM_EERKSM_lbbbEUlllE0_EEPmJS6_EEE10hipError_tPvRmT3_T4_T5_T6_T7_T9_mT8_P12ihipStream_tbDpT10_ENKUlT_T0_E_clISt17integral_constantIbLb0EES1C_EEDaS17_S18_EUlS17_E_NS1_11comp_targetILNS1_3genE3ELNS1_11target_archE908ELNS1_3gpuE7ELNS1_3repE0EEENS1_30default_config_static_selectorELNS0_4arch9wavefront6targetE0EEEvT1_: ; @_ZN7rocprim17ROCPRIM_400000_NS6detail17trampoline_kernelINS0_14default_configENS1_25partition_config_selectorILNS1_17partition_subalgoE8ElNS0_10empty_typeEbEEZZNS1_14partition_implILS5_8ELb0ES3_jPlPS6_PKS6_NS0_5tupleIJS9_S6_EEENSD_IJSA_SA_EEENS0_18inequality_wrapperIZN2at6native12_GLOBAL__N_124unique_dim_cuda_templateIjEESt5tupleIJNSH_6TensorESM_SM_EERKSM_lbbbEUlllE0_EEPmJS6_EEE10hipError_tPvRmT3_T4_T5_T6_T7_T9_mT8_P12ihipStream_tbDpT10_ENKUlT_T0_E_clISt17integral_constantIbLb0EES1C_EEDaS17_S18_EUlS17_E_NS1_11comp_targetILNS1_3genE3ELNS1_11target_archE908ELNS1_3gpuE7ELNS1_3repE0EEENS1_30default_config_static_selectorELNS0_4arch9wavefront6targetE0EEEvT1_
; %bb.0:
	.section	.rodata,"a",@progbits
	.p2align	6, 0x0
	.amdhsa_kernel _ZN7rocprim17ROCPRIM_400000_NS6detail17trampoline_kernelINS0_14default_configENS1_25partition_config_selectorILNS1_17partition_subalgoE8ElNS0_10empty_typeEbEEZZNS1_14partition_implILS5_8ELb0ES3_jPlPS6_PKS6_NS0_5tupleIJS9_S6_EEENSD_IJSA_SA_EEENS0_18inequality_wrapperIZN2at6native12_GLOBAL__N_124unique_dim_cuda_templateIjEESt5tupleIJNSH_6TensorESM_SM_EERKSM_lbbbEUlllE0_EEPmJS6_EEE10hipError_tPvRmT3_T4_T5_T6_T7_T9_mT8_P12ihipStream_tbDpT10_ENKUlT_T0_E_clISt17integral_constantIbLb0EES1C_EEDaS17_S18_EUlS17_E_NS1_11comp_targetILNS1_3genE3ELNS1_11target_archE908ELNS1_3gpuE7ELNS1_3repE0EEENS1_30default_config_static_selectorELNS0_4arch9wavefront6targetE0EEEvT1_
		.amdhsa_group_segment_fixed_size 0
		.amdhsa_private_segment_fixed_size 0
		.amdhsa_kernarg_size 120
		.amdhsa_user_sgpr_count 2
		.amdhsa_user_sgpr_dispatch_ptr 0
		.amdhsa_user_sgpr_queue_ptr 0
		.amdhsa_user_sgpr_kernarg_segment_ptr 1
		.amdhsa_user_sgpr_dispatch_id 0
		.amdhsa_user_sgpr_kernarg_preload_length 0
		.amdhsa_user_sgpr_kernarg_preload_offset 0
		.amdhsa_user_sgpr_private_segment_size 0
		.amdhsa_wavefront_size32 1
		.amdhsa_uses_dynamic_stack 0
		.amdhsa_enable_private_segment 0
		.amdhsa_system_sgpr_workgroup_id_x 1
		.amdhsa_system_sgpr_workgroup_id_y 0
		.amdhsa_system_sgpr_workgroup_id_z 0
		.amdhsa_system_sgpr_workgroup_info 0
		.amdhsa_system_vgpr_workitem_id 0
		.amdhsa_next_free_vgpr 1
		.amdhsa_next_free_sgpr 1
		.amdhsa_named_barrier_count 0
		.amdhsa_reserve_vcc 0
		.amdhsa_float_round_mode_32 0
		.amdhsa_float_round_mode_16_64 0
		.amdhsa_float_denorm_mode_32 3
		.amdhsa_float_denorm_mode_16_64 3
		.amdhsa_fp16_overflow 0
		.amdhsa_memory_ordered 1
		.amdhsa_forward_progress 1
		.amdhsa_inst_pref_size 0
		.amdhsa_round_robin_scheduling 0
		.amdhsa_exception_fp_ieee_invalid_op 0
		.amdhsa_exception_fp_denorm_src 0
		.amdhsa_exception_fp_ieee_div_zero 0
		.amdhsa_exception_fp_ieee_overflow 0
		.amdhsa_exception_fp_ieee_underflow 0
		.amdhsa_exception_fp_ieee_inexact 0
		.amdhsa_exception_int_div_zero 0
	.end_amdhsa_kernel
	.section	.text._ZN7rocprim17ROCPRIM_400000_NS6detail17trampoline_kernelINS0_14default_configENS1_25partition_config_selectorILNS1_17partition_subalgoE8ElNS0_10empty_typeEbEEZZNS1_14partition_implILS5_8ELb0ES3_jPlPS6_PKS6_NS0_5tupleIJS9_S6_EEENSD_IJSA_SA_EEENS0_18inequality_wrapperIZN2at6native12_GLOBAL__N_124unique_dim_cuda_templateIjEESt5tupleIJNSH_6TensorESM_SM_EERKSM_lbbbEUlllE0_EEPmJS6_EEE10hipError_tPvRmT3_T4_T5_T6_T7_T9_mT8_P12ihipStream_tbDpT10_ENKUlT_T0_E_clISt17integral_constantIbLb0EES1C_EEDaS17_S18_EUlS17_E_NS1_11comp_targetILNS1_3genE3ELNS1_11target_archE908ELNS1_3gpuE7ELNS1_3repE0EEENS1_30default_config_static_selectorELNS0_4arch9wavefront6targetE0EEEvT1_,"axG",@progbits,_ZN7rocprim17ROCPRIM_400000_NS6detail17trampoline_kernelINS0_14default_configENS1_25partition_config_selectorILNS1_17partition_subalgoE8ElNS0_10empty_typeEbEEZZNS1_14partition_implILS5_8ELb0ES3_jPlPS6_PKS6_NS0_5tupleIJS9_S6_EEENSD_IJSA_SA_EEENS0_18inequality_wrapperIZN2at6native12_GLOBAL__N_124unique_dim_cuda_templateIjEESt5tupleIJNSH_6TensorESM_SM_EERKSM_lbbbEUlllE0_EEPmJS6_EEE10hipError_tPvRmT3_T4_T5_T6_T7_T9_mT8_P12ihipStream_tbDpT10_ENKUlT_T0_E_clISt17integral_constantIbLb0EES1C_EEDaS17_S18_EUlS17_E_NS1_11comp_targetILNS1_3genE3ELNS1_11target_archE908ELNS1_3gpuE7ELNS1_3repE0EEENS1_30default_config_static_selectorELNS0_4arch9wavefront6targetE0EEEvT1_,comdat
.Lfunc_end1544:
	.size	_ZN7rocprim17ROCPRIM_400000_NS6detail17trampoline_kernelINS0_14default_configENS1_25partition_config_selectorILNS1_17partition_subalgoE8ElNS0_10empty_typeEbEEZZNS1_14partition_implILS5_8ELb0ES3_jPlPS6_PKS6_NS0_5tupleIJS9_S6_EEENSD_IJSA_SA_EEENS0_18inequality_wrapperIZN2at6native12_GLOBAL__N_124unique_dim_cuda_templateIjEESt5tupleIJNSH_6TensorESM_SM_EERKSM_lbbbEUlllE0_EEPmJS6_EEE10hipError_tPvRmT3_T4_T5_T6_T7_T9_mT8_P12ihipStream_tbDpT10_ENKUlT_T0_E_clISt17integral_constantIbLb0EES1C_EEDaS17_S18_EUlS17_E_NS1_11comp_targetILNS1_3genE3ELNS1_11target_archE908ELNS1_3gpuE7ELNS1_3repE0EEENS1_30default_config_static_selectorELNS0_4arch9wavefront6targetE0EEEvT1_, .Lfunc_end1544-_ZN7rocprim17ROCPRIM_400000_NS6detail17trampoline_kernelINS0_14default_configENS1_25partition_config_selectorILNS1_17partition_subalgoE8ElNS0_10empty_typeEbEEZZNS1_14partition_implILS5_8ELb0ES3_jPlPS6_PKS6_NS0_5tupleIJS9_S6_EEENSD_IJSA_SA_EEENS0_18inequality_wrapperIZN2at6native12_GLOBAL__N_124unique_dim_cuda_templateIjEESt5tupleIJNSH_6TensorESM_SM_EERKSM_lbbbEUlllE0_EEPmJS6_EEE10hipError_tPvRmT3_T4_T5_T6_T7_T9_mT8_P12ihipStream_tbDpT10_ENKUlT_T0_E_clISt17integral_constantIbLb0EES1C_EEDaS17_S18_EUlS17_E_NS1_11comp_targetILNS1_3genE3ELNS1_11target_archE908ELNS1_3gpuE7ELNS1_3repE0EEENS1_30default_config_static_selectorELNS0_4arch9wavefront6targetE0EEEvT1_
                                        ; -- End function
	.set _ZN7rocprim17ROCPRIM_400000_NS6detail17trampoline_kernelINS0_14default_configENS1_25partition_config_selectorILNS1_17partition_subalgoE8ElNS0_10empty_typeEbEEZZNS1_14partition_implILS5_8ELb0ES3_jPlPS6_PKS6_NS0_5tupleIJS9_S6_EEENSD_IJSA_SA_EEENS0_18inequality_wrapperIZN2at6native12_GLOBAL__N_124unique_dim_cuda_templateIjEESt5tupleIJNSH_6TensorESM_SM_EERKSM_lbbbEUlllE0_EEPmJS6_EEE10hipError_tPvRmT3_T4_T5_T6_T7_T9_mT8_P12ihipStream_tbDpT10_ENKUlT_T0_E_clISt17integral_constantIbLb0EES1C_EEDaS17_S18_EUlS17_E_NS1_11comp_targetILNS1_3genE3ELNS1_11target_archE908ELNS1_3gpuE7ELNS1_3repE0EEENS1_30default_config_static_selectorELNS0_4arch9wavefront6targetE0EEEvT1_.num_vgpr, 0
	.set _ZN7rocprim17ROCPRIM_400000_NS6detail17trampoline_kernelINS0_14default_configENS1_25partition_config_selectorILNS1_17partition_subalgoE8ElNS0_10empty_typeEbEEZZNS1_14partition_implILS5_8ELb0ES3_jPlPS6_PKS6_NS0_5tupleIJS9_S6_EEENSD_IJSA_SA_EEENS0_18inequality_wrapperIZN2at6native12_GLOBAL__N_124unique_dim_cuda_templateIjEESt5tupleIJNSH_6TensorESM_SM_EERKSM_lbbbEUlllE0_EEPmJS6_EEE10hipError_tPvRmT3_T4_T5_T6_T7_T9_mT8_P12ihipStream_tbDpT10_ENKUlT_T0_E_clISt17integral_constantIbLb0EES1C_EEDaS17_S18_EUlS17_E_NS1_11comp_targetILNS1_3genE3ELNS1_11target_archE908ELNS1_3gpuE7ELNS1_3repE0EEENS1_30default_config_static_selectorELNS0_4arch9wavefront6targetE0EEEvT1_.num_agpr, 0
	.set _ZN7rocprim17ROCPRIM_400000_NS6detail17trampoline_kernelINS0_14default_configENS1_25partition_config_selectorILNS1_17partition_subalgoE8ElNS0_10empty_typeEbEEZZNS1_14partition_implILS5_8ELb0ES3_jPlPS6_PKS6_NS0_5tupleIJS9_S6_EEENSD_IJSA_SA_EEENS0_18inequality_wrapperIZN2at6native12_GLOBAL__N_124unique_dim_cuda_templateIjEESt5tupleIJNSH_6TensorESM_SM_EERKSM_lbbbEUlllE0_EEPmJS6_EEE10hipError_tPvRmT3_T4_T5_T6_T7_T9_mT8_P12ihipStream_tbDpT10_ENKUlT_T0_E_clISt17integral_constantIbLb0EES1C_EEDaS17_S18_EUlS17_E_NS1_11comp_targetILNS1_3genE3ELNS1_11target_archE908ELNS1_3gpuE7ELNS1_3repE0EEENS1_30default_config_static_selectorELNS0_4arch9wavefront6targetE0EEEvT1_.numbered_sgpr, 0
	.set _ZN7rocprim17ROCPRIM_400000_NS6detail17trampoline_kernelINS0_14default_configENS1_25partition_config_selectorILNS1_17partition_subalgoE8ElNS0_10empty_typeEbEEZZNS1_14partition_implILS5_8ELb0ES3_jPlPS6_PKS6_NS0_5tupleIJS9_S6_EEENSD_IJSA_SA_EEENS0_18inequality_wrapperIZN2at6native12_GLOBAL__N_124unique_dim_cuda_templateIjEESt5tupleIJNSH_6TensorESM_SM_EERKSM_lbbbEUlllE0_EEPmJS6_EEE10hipError_tPvRmT3_T4_T5_T6_T7_T9_mT8_P12ihipStream_tbDpT10_ENKUlT_T0_E_clISt17integral_constantIbLb0EES1C_EEDaS17_S18_EUlS17_E_NS1_11comp_targetILNS1_3genE3ELNS1_11target_archE908ELNS1_3gpuE7ELNS1_3repE0EEENS1_30default_config_static_selectorELNS0_4arch9wavefront6targetE0EEEvT1_.num_named_barrier, 0
	.set _ZN7rocprim17ROCPRIM_400000_NS6detail17trampoline_kernelINS0_14default_configENS1_25partition_config_selectorILNS1_17partition_subalgoE8ElNS0_10empty_typeEbEEZZNS1_14partition_implILS5_8ELb0ES3_jPlPS6_PKS6_NS0_5tupleIJS9_S6_EEENSD_IJSA_SA_EEENS0_18inequality_wrapperIZN2at6native12_GLOBAL__N_124unique_dim_cuda_templateIjEESt5tupleIJNSH_6TensorESM_SM_EERKSM_lbbbEUlllE0_EEPmJS6_EEE10hipError_tPvRmT3_T4_T5_T6_T7_T9_mT8_P12ihipStream_tbDpT10_ENKUlT_T0_E_clISt17integral_constantIbLb0EES1C_EEDaS17_S18_EUlS17_E_NS1_11comp_targetILNS1_3genE3ELNS1_11target_archE908ELNS1_3gpuE7ELNS1_3repE0EEENS1_30default_config_static_selectorELNS0_4arch9wavefront6targetE0EEEvT1_.private_seg_size, 0
	.set _ZN7rocprim17ROCPRIM_400000_NS6detail17trampoline_kernelINS0_14default_configENS1_25partition_config_selectorILNS1_17partition_subalgoE8ElNS0_10empty_typeEbEEZZNS1_14partition_implILS5_8ELb0ES3_jPlPS6_PKS6_NS0_5tupleIJS9_S6_EEENSD_IJSA_SA_EEENS0_18inequality_wrapperIZN2at6native12_GLOBAL__N_124unique_dim_cuda_templateIjEESt5tupleIJNSH_6TensorESM_SM_EERKSM_lbbbEUlllE0_EEPmJS6_EEE10hipError_tPvRmT3_T4_T5_T6_T7_T9_mT8_P12ihipStream_tbDpT10_ENKUlT_T0_E_clISt17integral_constantIbLb0EES1C_EEDaS17_S18_EUlS17_E_NS1_11comp_targetILNS1_3genE3ELNS1_11target_archE908ELNS1_3gpuE7ELNS1_3repE0EEENS1_30default_config_static_selectorELNS0_4arch9wavefront6targetE0EEEvT1_.uses_vcc, 0
	.set _ZN7rocprim17ROCPRIM_400000_NS6detail17trampoline_kernelINS0_14default_configENS1_25partition_config_selectorILNS1_17partition_subalgoE8ElNS0_10empty_typeEbEEZZNS1_14partition_implILS5_8ELb0ES3_jPlPS6_PKS6_NS0_5tupleIJS9_S6_EEENSD_IJSA_SA_EEENS0_18inequality_wrapperIZN2at6native12_GLOBAL__N_124unique_dim_cuda_templateIjEESt5tupleIJNSH_6TensorESM_SM_EERKSM_lbbbEUlllE0_EEPmJS6_EEE10hipError_tPvRmT3_T4_T5_T6_T7_T9_mT8_P12ihipStream_tbDpT10_ENKUlT_T0_E_clISt17integral_constantIbLb0EES1C_EEDaS17_S18_EUlS17_E_NS1_11comp_targetILNS1_3genE3ELNS1_11target_archE908ELNS1_3gpuE7ELNS1_3repE0EEENS1_30default_config_static_selectorELNS0_4arch9wavefront6targetE0EEEvT1_.uses_flat_scratch, 0
	.set _ZN7rocprim17ROCPRIM_400000_NS6detail17trampoline_kernelINS0_14default_configENS1_25partition_config_selectorILNS1_17partition_subalgoE8ElNS0_10empty_typeEbEEZZNS1_14partition_implILS5_8ELb0ES3_jPlPS6_PKS6_NS0_5tupleIJS9_S6_EEENSD_IJSA_SA_EEENS0_18inequality_wrapperIZN2at6native12_GLOBAL__N_124unique_dim_cuda_templateIjEESt5tupleIJNSH_6TensorESM_SM_EERKSM_lbbbEUlllE0_EEPmJS6_EEE10hipError_tPvRmT3_T4_T5_T6_T7_T9_mT8_P12ihipStream_tbDpT10_ENKUlT_T0_E_clISt17integral_constantIbLb0EES1C_EEDaS17_S18_EUlS17_E_NS1_11comp_targetILNS1_3genE3ELNS1_11target_archE908ELNS1_3gpuE7ELNS1_3repE0EEENS1_30default_config_static_selectorELNS0_4arch9wavefront6targetE0EEEvT1_.has_dyn_sized_stack, 0
	.set _ZN7rocprim17ROCPRIM_400000_NS6detail17trampoline_kernelINS0_14default_configENS1_25partition_config_selectorILNS1_17partition_subalgoE8ElNS0_10empty_typeEbEEZZNS1_14partition_implILS5_8ELb0ES3_jPlPS6_PKS6_NS0_5tupleIJS9_S6_EEENSD_IJSA_SA_EEENS0_18inequality_wrapperIZN2at6native12_GLOBAL__N_124unique_dim_cuda_templateIjEESt5tupleIJNSH_6TensorESM_SM_EERKSM_lbbbEUlllE0_EEPmJS6_EEE10hipError_tPvRmT3_T4_T5_T6_T7_T9_mT8_P12ihipStream_tbDpT10_ENKUlT_T0_E_clISt17integral_constantIbLb0EES1C_EEDaS17_S18_EUlS17_E_NS1_11comp_targetILNS1_3genE3ELNS1_11target_archE908ELNS1_3gpuE7ELNS1_3repE0EEENS1_30default_config_static_selectorELNS0_4arch9wavefront6targetE0EEEvT1_.has_recursion, 0
	.set _ZN7rocprim17ROCPRIM_400000_NS6detail17trampoline_kernelINS0_14default_configENS1_25partition_config_selectorILNS1_17partition_subalgoE8ElNS0_10empty_typeEbEEZZNS1_14partition_implILS5_8ELb0ES3_jPlPS6_PKS6_NS0_5tupleIJS9_S6_EEENSD_IJSA_SA_EEENS0_18inequality_wrapperIZN2at6native12_GLOBAL__N_124unique_dim_cuda_templateIjEESt5tupleIJNSH_6TensorESM_SM_EERKSM_lbbbEUlllE0_EEPmJS6_EEE10hipError_tPvRmT3_T4_T5_T6_T7_T9_mT8_P12ihipStream_tbDpT10_ENKUlT_T0_E_clISt17integral_constantIbLb0EES1C_EEDaS17_S18_EUlS17_E_NS1_11comp_targetILNS1_3genE3ELNS1_11target_archE908ELNS1_3gpuE7ELNS1_3repE0EEENS1_30default_config_static_selectorELNS0_4arch9wavefront6targetE0EEEvT1_.has_indirect_call, 0
	.section	.AMDGPU.csdata,"",@progbits
; Kernel info:
; codeLenInByte = 0
; TotalNumSgprs: 0
; NumVgprs: 0
; ScratchSize: 0
; MemoryBound: 0
; FloatMode: 240
; IeeeMode: 1
; LDSByteSize: 0 bytes/workgroup (compile time only)
; SGPRBlocks: 0
; VGPRBlocks: 0
; NumSGPRsForWavesPerEU: 1
; NumVGPRsForWavesPerEU: 1
; NamedBarCnt: 0
; Occupancy: 16
; WaveLimiterHint : 0
; COMPUTE_PGM_RSRC2:SCRATCH_EN: 0
; COMPUTE_PGM_RSRC2:USER_SGPR: 2
; COMPUTE_PGM_RSRC2:TRAP_HANDLER: 0
; COMPUTE_PGM_RSRC2:TGID_X_EN: 1
; COMPUTE_PGM_RSRC2:TGID_Y_EN: 0
; COMPUTE_PGM_RSRC2:TGID_Z_EN: 0
; COMPUTE_PGM_RSRC2:TIDIG_COMP_CNT: 0
	.section	.text._ZN7rocprim17ROCPRIM_400000_NS6detail17trampoline_kernelINS0_14default_configENS1_25partition_config_selectorILNS1_17partition_subalgoE8ElNS0_10empty_typeEbEEZZNS1_14partition_implILS5_8ELb0ES3_jPlPS6_PKS6_NS0_5tupleIJS9_S6_EEENSD_IJSA_SA_EEENS0_18inequality_wrapperIZN2at6native12_GLOBAL__N_124unique_dim_cuda_templateIjEESt5tupleIJNSH_6TensorESM_SM_EERKSM_lbbbEUlllE0_EEPmJS6_EEE10hipError_tPvRmT3_T4_T5_T6_T7_T9_mT8_P12ihipStream_tbDpT10_ENKUlT_T0_E_clISt17integral_constantIbLb0EES1C_EEDaS17_S18_EUlS17_E_NS1_11comp_targetILNS1_3genE2ELNS1_11target_archE906ELNS1_3gpuE6ELNS1_3repE0EEENS1_30default_config_static_selectorELNS0_4arch9wavefront6targetE0EEEvT1_,"axG",@progbits,_ZN7rocprim17ROCPRIM_400000_NS6detail17trampoline_kernelINS0_14default_configENS1_25partition_config_selectorILNS1_17partition_subalgoE8ElNS0_10empty_typeEbEEZZNS1_14partition_implILS5_8ELb0ES3_jPlPS6_PKS6_NS0_5tupleIJS9_S6_EEENSD_IJSA_SA_EEENS0_18inequality_wrapperIZN2at6native12_GLOBAL__N_124unique_dim_cuda_templateIjEESt5tupleIJNSH_6TensorESM_SM_EERKSM_lbbbEUlllE0_EEPmJS6_EEE10hipError_tPvRmT3_T4_T5_T6_T7_T9_mT8_P12ihipStream_tbDpT10_ENKUlT_T0_E_clISt17integral_constantIbLb0EES1C_EEDaS17_S18_EUlS17_E_NS1_11comp_targetILNS1_3genE2ELNS1_11target_archE906ELNS1_3gpuE6ELNS1_3repE0EEENS1_30default_config_static_selectorELNS0_4arch9wavefront6targetE0EEEvT1_,comdat
	.globl	_ZN7rocprim17ROCPRIM_400000_NS6detail17trampoline_kernelINS0_14default_configENS1_25partition_config_selectorILNS1_17partition_subalgoE8ElNS0_10empty_typeEbEEZZNS1_14partition_implILS5_8ELb0ES3_jPlPS6_PKS6_NS0_5tupleIJS9_S6_EEENSD_IJSA_SA_EEENS0_18inequality_wrapperIZN2at6native12_GLOBAL__N_124unique_dim_cuda_templateIjEESt5tupleIJNSH_6TensorESM_SM_EERKSM_lbbbEUlllE0_EEPmJS6_EEE10hipError_tPvRmT3_T4_T5_T6_T7_T9_mT8_P12ihipStream_tbDpT10_ENKUlT_T0_E_clISt17integral_constantIbLb0EES1C_EEDaS17_S18_EUlS17_E_NS1_11comp_targetILNS1_3genE2ELNS1_11target_archE906ELNS1_3gpuE6ELNS1_3repE0EEENS1_30default_config_static_selectorELNS0_4arch9wavefront6targetE0EEEvT1_ ; -- Begin function _ZN7rocprim17ROCPRIM_400000_NS6detail17trampoline_kernelINS0_14default_configENS1_25partition_config_selectorILNS1_17partition_subalgoE8ElNS0_10empty_typeEbEEZZNS1_14partition_implILS5_8ELb0ES3_jPlPS6_PKS6_NS0_5tupleIJS9_S6_EEENSD_IJSA_SA_EEENS0_18inequality_wrapperIZN2at6native12_GLOBAL__N_124unique_dim_cuda_templateIjEESt5tupleIJNSH_6TensorESM_SM_EERKSM_lbbbEUlllE0_EEPmJS6_EEE10hipError_tPvRmT3_T4_T5_T6_T7_T9_mT8_P12ihipStream_tbDpT10_ENKUlT_T0_E_clISt17integral_constantIbLb0EES1C_EEDaS17_S18_EUlS17_E_NS1_11comp_targetILNS1_3genE2ELNS1_11target_archE906ELNS1_3gpuE6ELNS1_3repE0EEENS1_30default_config_static_selectorELNS0_4arch9wavefront6targetE0EEEvT1_
	.p2align	8
	.type	_ZN7rocprim17ROCPRIM_400000_NS6detail17trampoline_kernelINS0_14default_configENS1_25partition_config_selectorILNS1_17partition_subalgoE8ElNS0_10empty_typeEbEEZZNS1_14partition_implILS5_8ELb0ES3_jPlPS6_PKS6_NS0_5tupleIJS9_S6_EEENSD_IJSA_SA_EEENS0_18inequality_wrapperIZN2at6native12_GLOBAL__N_124unique_dim_cuda_templateIjEESt5tupleIJNSH_6TensorESM_SM_EERKSM_lbbbEUlllE0_EEPmJS6_EEE10hipError_tPvRmT3_T4_T5_T6_T7_T9_mT8_P12ihipStream_tbDpT10_ENKUlT_T0_E_clISt17integral_constantIbLb0EES1C_EEDaS17_S18_EUlS17_E_NS1_11comp_targetILNS1_3genE2ELNS1_11target_archE906ELNS1_3gpuE6ELNS1_3repE0EEENS1_30default_config_static_selectorELNS0_4arch9wavefront6targetE0EEEvT1_,@function
_ZN7rocprim17ROCPRIM_400000_NS6detail17trampoline_kernelINS0_14default_configENS1_25partition_config_selectorILNS1_17partition_subalgoE8ElNS0_10empty_typeEbEEZZNS1_14partition_implILS5_8ELb0ES3_jPlPS6_PKS6_NS0_5tupleIJS9_S6_EEENSD_IJSA_SA_EEENS0_18inequality_wrapperIZN2at6native12_GLOBAL__N_124unique_dim_cuda_templateIjEESt5tupleIJNSH_6TensorESM_SM_EERKSM_lbbbEUlllE0_EEPmJS6_EEE10hipError_tPvRmT3_T4_T5_T6_T7_T9_mT8_P12ihipStream_tbDpT10_ENKUlT_T0_E_clISt17integral_constantIbLb0EES1C_EEDaS17_S18_EUlS17_E_NS1_11comp_targetILNS1_3genE2ELNS1_11target_archE906ELNS1_3gpuE6ELNS1_3repE0EEENS1_30default_config_static_selectorELNS0_4arch9wavefront6targetE0EEEvT1_: ; @_ZN7rocprim17ROCPRIM_400000_NS6detail17trampoline_kernelINS0_14default_configENS1_25partition_config_selectorILNS1_17partition_subalgoE8ElNS0_10empty_typeEbEEZZNS1_14partition_implILS5_8ELb0ES3_jPlPS6_PKS6_NS0_5tupleIJS9_S6_EEENSD_IJSA_SA_EEENS0_18inequality_wrapperIZN2at6native12_GLOBAL__N_124unique_dim_cuda_templateIjEESt5tupleIJNSH_6TensorESM_SM_EERKSM_lbbbEUlllE0_EEPmJS6_EEE10hipError_tPvRmT3_T4_T5_T6_T7_T9_mT8_P12ihipStream_tbDpT10_ENKUlT_T0_E_clISt17integral_constantIbLb0EES1C_EEDaS17_S18_EUlS17_E_NS1_11comp_targetILNS1_3genE2ELNS1_11target_archE906ELNS1_3gpuE6ELNS1_3repE0EEENS1_30default_config_static_selectorELNS0_4arch9wavefront6targetE0EEEvT1_
; %bb.0:
	.section	.rodata,"a",@progbits
	.p2align	6, 0x0
	.amdhsa_kernel _ZN7rocprim17ROCPRIM_400000_NS6detail17trampoline_kernelINS0_14default_configENS1_25partition_config_selectorILNS1_17partition_subalgoE8ElNS0_10empty_typeEbEEZZNS1_14partition_implILS5_8ELb0ES3_jPlPS6_PKS6_NS0_5tupleIJS9_S6_EEENSD_IJSA_SA_EEENS0_18inequality_wrapperIZN2at6native12_GLOBAL__N_124unique_dim_cuda_templateIjEESt5tupleIJNSH_6TensorESM_SM_EERKSM_lbbbEUlllE0_EEPmJS6_EEE10hipError_tPvRmT3_T4_T5_T6_T7_T9_mT8_P12ihipStream_tbDpT10_ENKUlT_T0_E_clISt17integral_constantIbLb0EES1C_EEDaS17_S18_EUlS17_E_NS1_11comp_targetILNS1_3genE2ELNS1_11target_archE906ELNS1_3gpuE6ELNS1_3repE0EEENS1_30default_config_static_selectorELNS0_4arch9wavefront6targetE0EEEvT1_
		.amdhsa_group_segment_fixed_size 0
		.amdhsa_private_segment_fixed_size 0
		.amdhsa_kernarg_size 120
		.amdhsa_user_sgpr_count 2
		.amdhsa_user_sgpr_dispatch_ptr 0
		.amdhsa_user_sgpr_queue_ptr 0
		.amdhsa_user_sgpr_kernarg_segment_ptr 1
		.amdhsa_user_sgpr_dispatch_id 0
		.amdhsa_user_sgpr_kernarg_preload_length 0
		.amdhsa_user_sgpr_kernarg_preload_offset 0
		.amdhsa_user_sgpr_private_segment_size 0
		.amdhsa_wavefront_size32 1
		.amdhsa_uses_dynamic_stack 0
		.amdhsa_enable_private_segment 0
		.amdhsa_system_sgpr_workgroup_id_x 1
		.amdhsa_system_sgpr_workgroup_id_y 0
		.amdhsa_system_sgpr_workgroup_id_z 0
		.amdhsa_system_sgpr_workgroup_info 0
		.amdhsa_system_vgpr_workitem_id 0
		.amdhsa_next_free_vgpr 1
		.amdhsa_next_free_sgpr 1
		.amdhsa_named_barrier_count 0
		.amdhsa_reserve_vcc 0
		.amdhsa_float_round_mode_32 0
		.amdhsa_float_round_mode_16_64 0
		.amdhsa_float_denorm_mode_32 3
		.amdhsa_float_denorm_mode_16_64 3
		.amdhsa_fp16_overflow 0
		.amdhsa_memory_ordered 1
		.amdhsa_forward_progress 1
		.amdhsa_inst_pref_size 0
		.amdhsa_round_robin_scheduling 0
		.amdhsa_exception_fp_ieee_invalid_op 0
		.amdhsa_exception_fp_denorm_src 0
		.amdhsa_exception_fp_ieee_div_zero 0
		.amdhsa_exception_fp_ieee_overflow 0
		.amdhsa_exception_fp_ieee_underflow 0
		.amdhsa_exception_fp_ieee_inexact 0
		.amdhsa_exception_int_div_zero 0
	.end_amdhsa_kernel
	.section	.text._ZN7rocprim17ROCPRIM_400000_NS6detail17trampoline_kernelINS0_14default_configENS1_25partition_config_selectorILNS1_17partition_subalgoE8ElNS0_10empty_typeEbEEZZNS1_14partition_implILS5_8ELb0ES3_jPlPS6_PKS6_NS0_5tupleIJS9_S6_EEENSD_IJSA_SA_EEENS0_18inequality_wrapperIZN2at6native12_GLOBAL__N_124unique_dim_cuda_templateIjEESt5tupleIJNSH_6TensorESM_SM_EERKSM_lbbbEUlllE0_EEPmJS6_EEE10hipError_tPvRmT3_T4_T5_T6_T7_T9_mT8_P12ihipStream_tbDpT10_ENKUlT_T0_E_clISt17integral_constantIbLb0EES1C_EEDaS17_S18_EUlS17_E_NS1_11comp_targetILNS1_3genE2ELNS1_11target_archE906ELNS1_3gpuE6ELNS1_3repE0EEENS1_30default_config_static_selectorELNS0_4arch9wavefront6targetE0EEEvT1_,"axG",@progbits,_ZN7rocprim17ROCPRIM_400000_NS6detail17trampoline_kernelINS0_14default_configENS1_25partition_config_selectorILNS1_17partition_subalgoE8ElNS0_10empty_typeEbEEZZNS1_14partition_implILS5_8ELb0ES3_jPlPS6_PKS6_NS0_5tupleIJS9_S6_EEENSD_IJSA_SA_EEENS0_18inequality_wrapperIZN2at6native12_GLOBAL__N_124unique_dim_cuda_templateIjEESt5tupleIJNSH_6TensorESM_SM_EERKSM_lbbbEUlllE0_EEPmJS6_EEE10hipError_tPvRmT3_T4_T5_T6_T7_T9_mT8_P12ihipStream_tbDpT10_ENKUlT_T0_E_clISt17integral_constantIbLb0EES1C_EEDaS17_S18_EUlS17_E_NS1_11comp_targetILNS1_3genE2ELNS1_11target_archE906ELNS1_3gpuE6ELNS1_3repE0EEENS1_30default_config_static_selectorELNS0_4arch9wavefront6targetE0EEEvT1_,comdat
.Lfunc_end1545:
	.size	_ZN7rocprim17ROCPRIM_400000_NS6detail17trampoline_kernelINS0_14default_configENS1_25partition_config_selectorILNS1_17partition_subalgoE8ElNS0_10empty_typeEbEEZZNS1_14partition_implILS5_8ELb0ES3_jPlPS6_PKS6_NS0_5tupleIJS9_S6_EEENSD_IJSA_SA_EEENS0_18inequality_wrapperIZN2at6native12_GLOBAL__N_124unique_dim_cuda_templateIjEESt5tupleIJNSH_6TensorESM_SM_EERKSM_lbbbEUlllE0_EEPmJS6_EEE10hipError_tPvRmT3_T4_T5_T6_T7_T9_mT8_P12ihipStream_tbDpT10_ENKUlT_T0_E_clISt17integral_constantIbLb0EES1C_EEDaS17_S18_EUlS17_E_NS1_11comp_targetILNS1_3genE2ELNS1_11target_archE906ELNS1_3gpuE6ELNS1_3repE0EEENS1_30default_config_static_selectorELNS0_4arch9wavefront6targetE0EEEvT1_, .Lfunc_end1545-_ZN7rocprim17ROCPRIM_400000_NS6detail17trampoline_kernelINS0_14default_configENS1_25partition_config_selectorILNS1_17partition_subalgoE8ElNS0_10empty_typeEbEEZZNS1_14partition_implILS5_8ELb0ES3_jPlPS6_PKS6_NS0_5tupleIJS9_S6_EEENSD_IJSA_SA_EEENS0_18inequality_wrapperIZN2at6native12_GLOBAL__N_124unique_dim_cuda_templateIjEESt5tupleIJNSH_6TensorESM_SM_EERKSM_lbbbEUlllE0_EEPmJS6_EEE10hipError_tPvRmT3_T4_T5_T6_T7_T9_mT8_P12ihipStream_tbDpT10_ENKUlT_T0_E_clISt17integral_constantIbLb0EES1C_EEDaS17_S18_EUlS17_E_NS1_11comp_targetILNS1_3genE2ELNS1_11target_archE906ELNS1_3gpuE6ELNS1_3repE0EEENS1_30default_config_static_selectorELNS0_4arch9wavefront6targetE0EEEvT1_
                                        ; -- End function
	.set _ZN7rocprim17ROCPRIM_400000_NS6detail17trampoline_kernelINS0_14default_configENS1_25partition_config_selectorILNS1_17partition_subalgoE8ElNS0_10empty_typeEbEEZZNS1_14partition_implILS5_8ELb0ES3_jPlPS6_PKS6_NS0_5tupleIJS9_S6_EEENSD_IJSA_SA_EEENS0_18inequality_wrapperIZN2at6native12_GLOBAL__N_124unique_dim_cuda_templateIjEESt5tupleIJNSH_6TensorESM_SM_EERKSM_lbbbEUlllE0_EEPmJS6_EEE10hipError_tPvRmT3_T4_T5_T6_T7_T9_mT8_P12ihipStream_tbDpT10_ENKUlT_T0_E_clISt17integral_constantIbLb0EES1C_EEDaS17_S18_EUlS17_E_NS1_11comp_targetILNS1_3genE2ELNS1_11target_archE906ELNS1_3gpuE6ELNS1_3repE0EEENS1_30default_config_static_selectorELNS0_4arch9wavefront6targetE0EEEvT1_.num_vgpr, 0
	.set _ZN7rocprim17ROCPRIM_400000_NS6detail17trampoline_kernelINS0_14default_configENS1_25partition_config_selectorILNS1_17partition_subalgoE8ElNS0_10empty_typeEbEEZZNS1_14partition_implILS5_8ELb0ES3_jPlPS6_PKS6_NS0_5tupleIJS9_S6_EEENSD_IJSA_SA_EEENS0_18inequality_wrapperIZN2at6native12_GLOBAL__N_124unique_dim_cuda_templateIjEESt5tupleIJNSH_6TensorESM_SM_EERKSM_lbbbEUlllE0_EEPmJS6_EEE10hipError_tPvRmT3_T4_T5_T6_T7_T9_mT8_P12ihipStream_tbDpT10_ENKUlT_T0_E_clISt17integral_constantIbLb0EES1C_EEDaS17_S18_EUlS17_E_NS1_11comp_targetILNS1_3genE2ELNS1_11target_archE906ELNS1_3gpuE6ELNS1_3repE0EEENS1_30default_config_static_selectorELNS0_4arch9wavefront6targetE0EEEvT1_.num_agpr, 0
	.set _ZN7rocprim17ROCPRIM_400000_NS6detail17trampoline_kernelINS0_14default_configENS1_25partition_config_selectorILNS1_17partition_subalgoE8ElNS0_10empty_typeEbEEZZNS1_14partition_implILS5_8ELb0ES3_jPlPS6_PKS6_NS0_5tupleIJS9_S6_EEENSD_IJSA_SA_EEENS0_18inequality_wrapperIZN2at6native12_GLOBAL__N_124unique_dim_cuda_templateIjEESt5tupleIJNSH_6TensorESM_SM_EERKSM_lbbbEUlllE0_EEPmJS6_EEE10hipError_tPvRmT3_T4_T5_T6_T7_T9_mT8_P12ihipStream_tbDpT10_ENKUlT_T0_E_clISt17integral_constantIbLb0EES1C_EEDaS17_S18_EUlS17_E_NS1_11comp_targetILNS1_3genE2ELNS1_11target_archE906ELNS1_3gpuE6ELNS1_3repE0EEENS1_30default_config_static_selectorELNS0_4arch9wavefront6targetE0EEEvT1_.numbered_sgpr, 0
	.set _ZN7rocprim17ROCPRIM_400000_NS6detail17trampoline_kernelINS0_14default_configENS1_25partition_config_selectorILNS1_17partition_subalgoE8ElNS0_10empty_typeEbEEZZNS1_14partition_implILS5_8ELb0ES3_jPlPS6_PKS6_NS0_5tupleIJS9_S6_EEENSD_IJSA_SA_EEENS0_18inequality_wrapperIZN2at6native12_GLOBAL__N_124unique_dim_cuda_templateIjEESt5tupleIJNSH_6TensorESM_SM_EERKSM_lbbbEUlllE0_EEPmJS6_EEE10hipError_tPvRmT3_T4_T5_T6_T7_T9_mT8_P12ihipStream_tbDpT10_ENKUlT_T0_E_clISt17integral_constantIbLb0EES1C_EEDaS17_S18_EUlS17_E_NS1_11comp_targetILNS1_3genE2ELNS1_11target_archE906ELNS1_3gpuE6ELNS1_3repE0EEENS1_30default_config_static_selectorELNS0_4arch9wavefront6targetE0EEEvT1_.num_named_barrier, 0
	.set _ZN7rocprim17ROCPRIM_400000_NS6detail17trampoline_kernelINS0_14default_configENS1_25partition_config_selectorILNS1_17partition_subalgoE8ElNS0_10empty_typeEbEEZZNS1_14partition_implILS5_8ELb0ES3_jPlPS6_PKS6_NS0_5tupleIJS9_S6_EEENSD_IJSA_SA_EEENS0_18inequality_wrapperIZN2at6native12_GLOBAL__N_124unique_dim_cuda_templateIjEESt5tupleIJNSH_6TensorESM_SM_EERKSM_lbbbEUlllE0_EEPmJS6_EEE10hipError_tPvRmT3_T4_T5_T6_T7_T9_mT8_P12ihipStream_tbDpT10_ENKUlT_T0_E_clISt17integral_constantIbLb0EES1C_EEDaS17_S18_EUlS17_E_NS1_11comp_targetILNS1_3genE2ELNS1_11target_archE906ELNS1_3gpuE6ELNS1_3repE0EEENS1_30default_config_static_selectorELNS0_4arch9wavefront6targetE0EEEvT1_.private_seg_size, 0
	.set _ZN7rocprim17ROCPRIM_400000_NS6detail17trampoline_kernelINS0_14default_configENS1_25partition_config_selectorILNS1_17partition_subalgoE8ElNS0_10empty_typeEbEEZZNS1_14partition_implILS5_8ELb0ES3_jPlPS6_PKS6_NS0_5tupleIJS9_S6_EEENSD_IJSA_SA_EEENS0_18inequality_wrapperIZN2at6native12_GLOBAL__N_124unique_dim_cuda_templateIjEESt5tupleIJNSH_6TensorESM_SM_EERKSM_lbbbEUlllE0_EEPmJS6_EEE10hipError_tPvRmT3_T4_T5_T6_T7_T9_mT8_P12ihipStream_tbDpT10_ENKUlT_T0_E_clISt17integral_constantIbLb0EES1C_EEDaS17_S18_EUlS17_E_NS1_11comp_targetILNS1_3genE2ELNS1_11target_archE906ELNS1_3gpuE6ELNS1_3repE0EEENS1_30default_config_static_selectorELNS0_4arch9wavefront6targetE0EEEvT1_.uses_vcc, 0
	.set _ZN7rocprim17ROCPRIM_400000_NS6detail17trampoline_kernelINS0_14default_configENS1_25partition_config_selectorILNS1_17partition_subalgoE8ElNS0_10empty_typeEbEEZZNS1_14partition_implILS5_8ELb0ES3_jPlPS6_PKS6_NS0_5tupleIJS9_S6_EEENSD_IJSA_SA_EEENS0_18inequality_wrapperIZN2at6native12_GLOBAL__N_124unique_dim_cuda_templateIjEESt5tupleIJNSH_6TensorESM_SM_EERKSM_lbbbEUlllE0_EEPmJS6_EEE10hipError_tPvRmT3_T4_T5_T6_T7_T9_mT8_P12ihipStream_tbDpT10_ENKUlT_T0_E_clISt17integral_constantIbLb0EES1C_EEDaS17_S18_EUlS17_E_NS1_11comp_targetILNS1_3genE2ELNS1_11target_archE906ELNS1_3gpuE6ELNS1_3repE0EEENS1_30default_config_static_selectorELNS0_4arch9wavefront6targetE0EEEvT1_.uses_flat_scratch, 0
	.set _ZN7rocprim17ROCPRIM_400000_NS6detail17trampoline_kernelINS0_14default_configENS1_25partition_config_selectorILNS1_17partition_subalgoE8ElNS0_10empty_typeEbEEZZNS1_14partition_implILS5_8ELb0ES3_jPlPS6_PKS6_NS0_5tupleIJS9_S6_EEENSD_IJSA_SA_EEENS0_18inequality_wrapperIZN2at6native12_GLOBAL__N_124unique_dim_cuda_templateIjEESt5tupleIJNSH_6TensorESM_SM_EERKSM_lbbbEUlllE0_EEPmJS6_EEE10hipError_tPvRmT3_T4_T5_T6_T7_T9_mT8_P12ihipStream_tbDpT10_ENKUlT_T0_E_clISt17integral_constantIbLb0EES1C_EEDaS17_S18_EUlS17_E_NS1_11comp_targetILNS1_3genE2ELNS1_11target_archE906ELNS1_3gpuE6ELNS1_3repE0EEENS1_30default_config_static_selectorELNS0_4arch9wavefront6targetE0EEEvT1_.has_dyn_sized_stack, 0
	.set _ZN7rocprim17ROCPRIM_400000_NS6detail17trampoline_kernelINS0_14default_configENS1_25partition_config_selectorILNS1_17partition_subalgoE8ElNS0_10empty_typeEbEEZZNS1_14partition_implILS5_8ELb0ES3_jPlPS6_PKS6_NS0_5tupleIJS9_S6_EEENSD_IJSA_SA_EEENS0_18inequality_wrapperIZN2at6native12_GLOBAL__N_124unique_dim_cuda_templateIjEESt5tupleIJNSH_6TensorESM_SM_EERKSM_lbbbEUlllE0_EEPmJS6_EEE10hipError_tPvRmT3_T4_T5_T6_T7_T9_mT8_P12ihipStream_tbDpT10_ENKUlT_T0_E_clISt17integral_constantIbLb0EES1C_EEDaS17_S18_EUlS17_E_NS1_11comp_targetILNS1_3genE2ELNS1_11target_archE906ELNS1_3gpuE6ELNS1_3repE0EEENS1_30default_config_static_selectorELNS0_4arch9wavefront6targetE0EEEvT1_.has_recursion, 0
	.set _ZN7rocprim17ROCPRIM_400000_NS6detail17trampoline_kernelINS0_14default_configENS1_25partition_config_selectorILNS1_17partition_subalgoE8ElNS0_10empty_typeEbEEZZNS1_14partition_implILS5_8ELb0ES3_jPlPS6_PKS6_NS0_5tupleIJS9_S6_EEENSD_IJSA_SA_EEENS0_18inequality_wrapperIZN2at6native12_GLOBAL__N_124unique_dim_cuda_templateIjEESt5tupleIJNSH_6TensorESM_SM_EERKSM_lbbbEUlllE0_EEPmJS6_EEE10hipError_tPvRmT3_T4_T5_T6_T7_T9_mT8_P12ihipStream_tbDpT10_ENKUlT_T0_E_clISt17integral_constantIbLb0EES1C_EEDaS17_S18_EUlS17_E_NS1_11comp_targetILNS1_3genE2ELNS1_11target_archE906ELNS1_3gpuE6ELNS1_3repE0EEENS1_30default_config_static_selectorELNS0_4arch9wavefront6targetE0EEEvT1_.has_indirect_call, 0
	.section	.AMDGPU.csdata,"",@progbits
; Kernel info:
; codeLenInByte = 0
; TotalNumSgprs: 0
; NumVgprs: 0
; ScratchSize: 0
; MemoryBound: 0
; FloatMode: 240
; IeeeMode: 1
; LDSByteSize: 0 bytes/workgroup (compile time only)
; SGPRBlocks: 0
; VGPRBlocks: 0
; NumSGPRsForWavesPerEU: 1
; NumVGPRsForWavesPerEU: 1
; NamedBarCnt: 0
; Occupancy: 16
; WaveLimiterHint : 0
; COMPUTE_PGM_RSRC2:SCRATCH_EN: 0
; COMPUTE_PGM_RSRC2:USER_SGPR: 2
; COMPUTE_PGM_RSRC2:TRAP_HANDLER: 0
; COMPUTE_PGM_RSRC2:TGID_X_EN: 1
; COMPUTE_PGM_RSRC2:TGID_Y_EN: 0
; COMPUTE_PGM_RSRC2:TGID_Z_EN: 0
; COMPUTE_PGM_RSRC2:TIDIG_COMP_CNT: 0
	.section	.text._ZN7rocprim17ROCPRIM_400000_NS6detail17trampoline_kernelINS0_14default_configENS1_25partition_config_selectorILNS1_17partition_subalgoE8ElNS0_10empty_typeEbEEZZNS1_14partition_implILS5_8ELb0ES3_jPlPS6_PKS6_NS0_5tupleIJS9_S6_EEENSD_IJSA_SA_EEENS0_18inequality_wrapperIZN2at6native12_GLOBAL__N_124unique_dim_cuda_templateIjEESt5tupleIJNSH_6TensorESM_SM_EERKSM_lbbbEUlllE0_EEPmJS6_EEE10hipError_tPvRmT3_T4_T5_T6_T7_T9_mT8_P12ihipStream_tbDpT10_ENKUlT_T0_E_clISt17integral_constantIbLb0EES1C_EEDaS17_S18_EUlS17_E_NS1_11comp_targetILNS1_3genE10ELNS1_11target_archE1200ELNS1_3gpuE4ELNS1_3repE0EEENS1_30default_config_static_selectorELNS0_4arch9wavefront6targetE0EEEvT1_,"axG",@progbits,_ZN7rocprim17ROCPRIM_400000_NS6detail17trampoline_kernelINS0_14default_configENS1_25partition_config_selectorILNS1_17partition_subalgoE8ElNS0_10empty_typeEbEEZZNS1_14partition_implILS5_8ELb0ES3_jPlPS6_PKS6_NS0_5tupleIJS9_S6_EEENSD_IJSA_SA_EEENS0_18inequality_wrapperIZN2at6native12_GLOBAL__N_124unique_dim_cuda_templateIjEESt5tupleIJNSH_6TensorESM_SM_EERKSM_lbbbEUlllE0_EEPmJS6_EEE10hipError_tPvRmT3_T4_T5_T6_T7_T9_mT8_P12ihipStream_tbDpT10_ENKUlT_T0_E_clISt17integral_constantIbLb0EES1C_EEDaS17_S18_EUlS17_E_NS1_11comp_targetILNS1_3genE10ELNS1_11target_archE1200ELNS1_3gpuE4ELNS1_3repE0EEENS1_30default_config_static_selectorELNS0_4arch9wavefront6targetE0EEEvT1_,comdat
	.globl	_ZN7rocprim17ROCPRIM_400000_NS6detail17trampoline_kernelINS0_14default_configENS1_25partition_config_selectorILNS1_17partition_subalgoE8ElNS0_10empty_typeEbEEZZNS1_14partition_implILS5_8ELb0ES3_jPlPS6_PKS6_NS0_5tupleIJS9_S6_EEENSD_IJSA_SA_EEENS0_18inequality_wrapperIZN2at6native12_GLOBAL__N_124unique_dim_cuda_templateIjEESt5tupleIJNSH_6TensorESM_SM_EERKSM_lbbbEUlllE0_EEPmJS6_EEE10hipError_tPvRmT3_T4_T5_T6_T7_T9_mT8_P12ihipStream_tbDpT10_ENKUlT_T0_E_clISt17integral_constantIbLb0EES1C_EEDaS17_S18_EUlS17_E_NS1_11comp_targetILNS1_3genE10ELNS1_11target_archE1200ELNS1_3gpuE4ELNS1_3repE0EEENS1_30default_config_static_selectorELNS0_4arch9wavefront6targetE0EEEvT1_ ; -- Begin function _ZN7rocprim17ROCPRIM_400000_NS6detail17trampoline_kernelINS0_14default_configENS1_25partition_config_selectorILNS1_17partition_subalgoE8ElNS0_10empty_typeEbEEZZNS1_14partition_implILS5_8ELb0ES3_jPlPS6_PKS6_NS0_5tupleIJS9_S6_EEENSD_IJSA_SA_EEENS0_18inequality_wrapperIZN2at6native12_GLOBAL__N_124unique_dim_cuda_templateIjEESt5tupleIJNSH_6TensorESM_SM_EERKSM_lbbbEUlllE0_EEPmJS6_EEE10hipError_tPvRmT3_T4_T5_T6_T7_T9_mT8_P12ihipStream_tbDpT10_ENKUlT_T0_E_clISt17integral_constantIbLb0EES1C_EEDaS17_S18_EUlS17_E_NS1_11comp_targetILNS1_3genE10ELNS1_11target_archE1200ELNS1_3gpuE4ELNS1_3repE0EEENS1_30default_config_static_selectorELNS0_4arch9wavefront6targetE0EEEvT1_
	.p2align	8
	.type	_ZN7rocprim17ROCPRIM_400000_NS6detail17trampoline_kernelINS0_14default_configENS1_25partition_config_selectorILNS1_17partition_subalgoE8ElNS0_10empty_typeEbEEZZNS1_14partition_implILS5_8ELb0ES3_jPlPS6_PKS6_NS0_5tupleIJS9_S6_EEENSD_IJSA_SA_EEENS0_18inequality_wrapperIZN2at6native12_GLOBAL__N_124unique_dim_cuda_templateIjEESt5tupleIJNSH_6TensorESM_SM_EERKSM_lbbbEUlllE0_EEPmJS6_EEE10hipError_tPvRmT3_T4_T5_T6_T7_T9_mT8_P12ihipStream_tbDpT10_ENKUlT_T0_E_clISt17integral_constantIbLb0EES1C_EEDaS17_S18_EUlS17_E_NS1_11comp_targetILNS1_3genE10ELNS1_11target_archE1200ELNS1_3gpuE4ELNS1_3repE0EEENS1_30default_config_static_selectorELNS0_4arch9wavefront6targetE0EEEvT1_,@function
_ZN7rocprim17ROCPRIM_400000_NS6detail17trampoline_kernelINS0_14default_configENS1_25partition_config_selectorILNS1_17partition_subalgoE8ElNS0_10empty_typeEbEEZZNS1_14partition_implILS5_8ELb0ES3_jPlPS6_PKS6_NS0_5tupleIJS9_S6_EEENSD_IJSA_SA_EEENS0_18inequality_wrapperIZN2at6native12_GLOBAL__N_124unique_dim_cuda_templateIjEESt5tupleIJNSH_6TensorESM_SM_EERKSM_lbbbEUlllE0_EEPmJS6_EEE10hipError_tPvRmT3_T4_T5_T6_T7_T9_mT8_P12ihipStream_tbDpT10_ENKUlT_T0_E_clISt17integral_constantIbLb0EES1C_EEDaS17_S18_EUlS17_E_NS1_11comp_targetILNS1_3genE10ELNS1_11target_archE1200ELNS1_3gpuE4ELNS1_3repE0EEENS1_30default_config_static_selectorELNS0_4arch9wavefront6targetE0EEEvT1_: ; @_ZN7rocprim17ROCPRIM_400000_NS6detail17trampoline_kernelINS0_14default_configENS1_25partition_config_selectorILNS1_17partition_subalgoE8ElNS0_10empty_typeEbEEZZNS1_14partition_implILS5_8ELb0ES3_jPlPS6_PKS6_NS0_5tupleIJS9_S6_EEENSD_IJSA_SA_EEENS0_18inequality_wrapperIZN2at6native12_GLOBAL__N_124unique_dim_cuda_templateIjEESt5tupleIJNSH_6TensorESM_SM_EERKSM_lbbbEUlllE0_EEPmJS6_EEE10hipError_tPvRmT3_T4_T5_T6_T7_T9_mT8_P12ihipStream_tbDpT10_ENKUlT_T0_E_clISt17integral_constantIbLb0EES1C_EEDaS17_S18_EUlS17_E_NS1_11comp_targetILNS1_3genE10ELNS1_11target_archE1200ELNS1_3gpuE4ELNS1_3repE0EEENS1_30default_config_static_selectorELNS0_4arch9wavefront6targetE0EEEvT1_
; %bb.0:
	.section	.rodata,"a",@progbits
	.p2align	6, 0x0
	.amdhsa_kernel _ZN7rocprim17ROCPRIM_400000_NS6detail17trampoline_kernelINS0_14default_configENS1_25partition_config_selectorILNS1_17partition_subalgoE8ElNS0_10empty_typeEbEEZZNS1_14partition_implILS5_8ELb0ES3_jPlPS6_PKS6_NS0_5tupleIJS9_S6_EEENSD_IJSA_SA_EEENS0_18inequality_wrapperIZN2at6native12_GLOBAL__N_124unique_dim_cuda_templateIjEESt5tupleIJNSH_6TensorESM_SM_EERKSM_lbbbEUlllE0_EEPmJS6_EEE10hipError_tPvRmT3_T4_T5_T6_T7_T9_mT8_P12ihipStream_tbDpT10_ENKUlT_T0_E_clISt17integral_constantIbLb0EES1C_EEDaS17_S18_EUlS17_E_NS1_11comp_targetILNS1_3genE10ELNS1_11target_archE1200ELNS1_3gpuE4ELNS1_3repE0EEENS1_30default_config_static_selectorELNS0_4arch9wavefront6targetE0EEEvT1_
		.amdhsa_group_segment_fixed_size 0
		.amdhsa_private_segment_fixed_size 0
		.amdhsa_kernarg_size 120
		.amdhsa_user_sgpr_count 2
		.amdhsa_user_sgpr_dispatch_ptr 0
		.amdhsa_user_sgpr_queue_ptr 0
		.amdhsa_user_sgpr_kernarg_segment_ptr 1
		.amdhsa_user_sgpr_dispatch_id 0
		.amdhsa_user_sgpr_kernarg_preload_length 0
		.amdhsa_user_sgpr_kernarg_preload_offset 0
		.amdhsa_user_sgpr_private_segment_size 0
		.amdhsa_wavefront_size32 1
		.amdhsa_uses_dynamic_stack 0
		.amdhsa_enable_private_segment 0
		.amdhsa_system_sgpr_workgroup_id_x 1
		.amdhsa_system_sgpr_workgroup_id_y 0
		.amdhsa_system_sgpr_workgroup_id_z 0
		.amdhsa_system_sgpr_workgroup_info 0
		.amdhsa_system_vgpr_workitem_id 0
		.amdhsa_next_free_vgpr 1
		.amdhsa_next_free_sgpr 1
		.amdhsa_named_barrier_count 0
		.amdhsa_reserve_vcc 0
		.amdhsa_float_round_mode_32 0
		.amdhsa_float_round_mode_16_64 0
		.amdhsa_float_denorm_mode_32 3
		.amdhsa_float_denorm_mode_16_64 3
		.amdhsa_fp16_overflow 0
		.amdhsa_memory_ordered 1
		.amdhsa_forward_progress 1
		.amdhsa_inst_pref_size 0
		.amdhsa_round_robin_scheduling 0
		.amdhsa_exception_fp_ieee_invalid_op 0
		.amdhsa_exception_fp_denorm_src 0
		.amdhsa_exception_fp_ieee_div_zero 0
		.amdhsa_exception_fp_ieee_overflow 0
		.amdhsa_exception_fp_ieee_underflow 0
		.amdhsa_exception_fp_ieee_inexact 0
		.amdhsa_exception_int_div_zero 0
	.end_amdhsa_kernel
	.section	.text._ZN7rocprim17ROCPRIM_400000_NS6detail17trampoline_kernelINS0_14default_configENS1_25partition_config_selectorILNS1_17partition_subalgoE8ElNS0_10empty_typeEbEEZZNS1_14partition_implILS5_8ELb0ES3_jPlPS6_PKS6_NS0_5tupleIJS9_S6_EEENSD_IJSA_SA_EEENS0_18inequality_wrapperIZN2at6native12_GLOBAL__N_124unique_dim_cuda_templateIjEESt5tupleIJNSH_6TensorESM_SM_EERKSM_lbbbEUlllE0_EEPmJS6_EEE10hipError_tPvRmT3_T4_T5_T6_T7_T9_mT8_P12ihipStream_tbDpT10_ENKUlT_T0_E_clISt17integral_constantIbLb0EES1C_EEDaS17_S18_EUlS17_E_NS1_11comp_targetILNS1_3genE10ELNS1_11target_archE1200ELNS1_3gpuE4ELNS1_3repE0EEENS1_30default_config_static_selectorELNS0_4arch9wavefront6targetE0EEEvT1_,"axG",@progbits,_ZN7rocprim17ROCPRIM_400000_NS6detail17trampoline_kernelINS0_14default_configENS1_25partition_config_selectorILNS1_17partition_subalgoE8ElNS0_10empty_typeEbEEZZNS1_14partition_implILS5_8ELb0ES3_jPlPS6_PKS6_NS0_5tupleIJS9_S6_EEENSD_IJSA_SA_EEENS0_18inequality_wrapperIZN2at6native12_GLOBAL__N_124unique_dim_cuda_templateIjEESt5tupleIJNSH_6TensorESM_SM_EERKSM_lbbbEUlllE0_EEPmJS6_EEE10hipError_tPvRmT3_T4_T5_T6_T7_T9_mT8_P12ihipStream_tbDpT10_ENKUlT_T0_E_clISt17integral_constantIbLb0EES1C_EEDaS17_S18_EUlS17_E_NS1_11comp_targetILNS1_3genE10ELNS1_11target_archE1200ELNS1_3gpuE4ELNS1_3repE0EEENS1_30default_config_static_selectorELNS0_4arch9wavefront6targetE0EEEvT1_,comdat
.Lfunc_end1546:
	.size	_ZN7rocprim17ROCPRIM_400000_NS6detail17trampoline_kernelINS0_14default_configENS1_25partition_config_selectorILNS1_17partition_subalgoE8ElNS0_10empty_typeEbEEZZNS1_14partition_implILS5_8ELb0ES3_jPlPS6_PKS6_NS0_5tupleIJS9_S6_EEENSD_IJSA_SA_EEENS0_18inequality_wrapperIZN2at6native12_GLOBAL__N_124unique_dim_cuda_templateIjEESt5tupleIJNSH_6TensorESM_SM_EERKSM_lbbbEUlllE0_EEPmJS6_EEE10hipError_tPvRmT3_T4_T5_T6_T7_T9_mT8_P12ihipStream_tbDpT10_ENKUlT_T0_E_clISt17integral_constantIbLb0EES1C_EEDaS17_S18_EUlS17_E_NS1_11comp_targetILNS1_3genE10ELNS1_11target_archE1200ELNS1_3gpuE4ELNS1_3repE0EEENS1_30default_config_static_selectorELNS0_4arch9wavefront6targetE0EEEvT1_, .Lfunc_end1546-_ZN7rocprim17ROCPRIM_400000_NS6detail17trampoline_kernelINS0_14default_configENS1_25partition_config_selectorILNS1_17partition_subalgoE8ElNS0_10empty_typeEbEEZZNS1_14partition_implILS5_8ELb0ES3_jPlPS6_PKS6_NS0_5tupleIJS9_S6_EEENSD_IJSA_SA_EEENS0_18inequality_wrapperIZN2at6native12_GLOBAL__N_124unique_dim_cuda_templateIjEESt5tupleIJNSH_6TensorESM_SM_EERKSM_lbbbEUlllE0_EEPmJS6_EEE10hipError_tPvRmT3_T4_T5_T6_T7_T9_mT8_P12ihipStream_tbDpT10_ENKUlT_T0_E_clISt17integral_constantIbLb0EES1C_EEDaS17_S18_EUlS17_E_NS1_11comp_targetILNS1_3genE10ELNS1_11target_archE1200ELNS1_3gpuE4ELNS1_3repE0EEENS1_30default_config_static_selectorELNS0_4arch9wavefront6targetE0EEEvT1_
                                        ; -- End function
	.set _ZN7rocprim17ROCPRIM_400000_NS6detail17trampoline_kernelINS0_14default_configENS1_25partition_config_selectorILNS1_17partition_subalgoE8ElNS0_10empty_typeEbEEZZNS1_14partition_implILS5_8ELb0ES3_jPlPS6_PKS6_NS0_5tupleIJS9_S6_EEENSD_IJSA_SA_EEENS0_18inequality_wrapperIZN2at6native12_GLOBAL__N_124unique_dim_cuda_templateIjEESt5tupleIJNSH_6TensorESM_SM_EERKSM_lbbbEUlllE0_EEPmJS6_EEE10hipError_tPvRmT3_T4_T5_T6_T7_T9_mT8_P12ihipStream_tbDpT10_ENKUlT_T0_E_clISt17integral_constantIbLb0EES1C_EEDaS17_S18_EUlS17_E_NS1_11comp_targetILNS1_3genE10ELNS1_11target_archE1200ELNS1_3gpuE4ELNS1_3repE0EEENS1_30default_config_static_selectorELNS0_4arch9wavefront6targetE0EEEvT1_.num_vgpr, 0
	.set _ZN7rocprim17ROCPRIM_400000_NS6detail17trampoline_kernelINS0_14default_configENS1_25partition_config_selectorILNS1_17partition_subalgoE8ElNS0_10empty_typeEbEEZZNS1_14partition_implILS5_8ELb0ES3_jPlPS6_PKS6_NS0_5tupleIJS9_S6_EEENSD_IJSA_SA_EEENS0_18inequality_wrapperIZN2at6native12_GLOBAL__N_124unique_dim_cuda_templateIjEESt5tupleIJNSH_6TensorESM_SM_EERKSM_lbbbEUlllE0_EEPmJS6_EEE10hipError_tPvRmT3_T4_T5_T6_T7_T9_mT8_P12ihipStream_tbDpT10_ENKUlT_T0_E_clISt17integral_constantIbLb0EES1C_EEDaS17_S18_EUlS17_E_NS1_11comp_targetILNS1_3genE10ELNS1_11target_archE1200ELNS1_3gpuE4ELNS1_3repE0EEENS1_30default_config_static_selectorELNS0_4arch9wavefront6targetE0EEEvT1_.num_agpr, 0
	.set _ZN7rocprim17ROCPRIM_400000_NS6detail17trampoline_kernelINS0_14default_configENS1_25partition_config_selectorILNS1_17partition_subalgoE8ElNS0_10empty_typeEbEEZZNS1_14partition_implILS5_8ELb0ES3_jPlPS6_PKS6_NS0_5tupleIJS9_S6_EEENSD_IJSA_SA_EEENS0_18inequality_wrapperIZN2at6native12_GLOBAL__N_124unique_dim_cuda_templateIjEESt5tupleIJNSH_6TensorESM_SM_EERKSM_lbbbEUlllE0_EEPmJS6_EEE10hipError_tPvRmT3_T4_T5_T6_T7_T9_mT8_P12ihipStream_tbDpT10_ENKUlT_T0_E_clISt17integral_constantIbLb0EES1C_EEDaS17_S18_EUlS17_E_NS1_11comp_targetILNS1_3genE10ELNS1_11target_archE1200ELNS1_3gpuE4ELNS1_3repE0EEENS1_30default_config_static_selectorELNS0_4arch9wavefront6targetE0EEEvT1_.numbered_sgpr, 0
	.set _ZN7rocprim17ROCPRIM_400000_NS6detail17trampoline_kernelINS0_14default_configENS1_25partition_config_selectorILNS1_17partition_subalgoE8ElNS0_10empty_typeEbEEZZNS1_14partition_implILS5_8ELb0ES3_jPlPS6_PKS6_NS0_5tupleIJS9_S6_EEENSD_IJSA_SA_EEENS0_18inequality_wrapperIZN2at6native12_GLOBAL__N_124unique_dim_cuda_templateIjEESt5tupleIJNSH_6TensorESM_SM_EERKSM_lbbbEUlllE0_EEPmJS6_EEE10hipError_tPvRmT3_T4_T5_T6_T7_T9_mT8_P12ihipStream_tbDpT10_ENKUlT_T0_E_clISt17integral_constantIbLb0EES1C_EEDaS17_S18_EUlS17_E_NS1_11comp_targetILNS1_3genE10ELNS1_11target_archE1200ELNS1_3gpuE4ELNS1_3repE0EEENS1_30default_config_static_selectorELNS0_4arch9wavefront6targetE0EEEvT1_.num_named_barrier, 0
	.set _ZN7rocprim17ROCPRIM_400000_NS6detail17trampoline_kernelINS0_14default_configENS1_25partition_config_selectorILNS1_17partition_subalgoE8ElNS0_10empty_typeEbEEZZNS1_14partition_implILS5_8ELb0ES3_jPlPS6_PKS6_NS0_5tupleIJS9_S6_EEENSD_IJSA_SA_EEENS0_18inequality_wrapperIZN2at6native12_GLOBAL__N_124unique_dim_cuda_templateIjEESt5tupleIJNSH_6TensorESM_SM_EERKSM_lbbbEUlllE0_EEPmJS6_EEE10hipError_tPvRmT3_T4_T5_T6_T7_T9_mT8_P12ihipStream_tbDpT10_ENKUlT_T0_E_clISt17integral_constantIbLb0EES1C_EEDaS17_S18_EUlS17_E_NS1_11comp_targetILNS1_3genE10ELNS1_11target_archE1200ELNS1_3gpuE4ELNS1_3repE0EEENS1_30default_config_static_selectorELNS0_4arch9wavefront6targetE0EEEvT1_.private_seg_size, 0
	.set _ZN7rocprim17ROCPRIM_400000_NS6detail17trampoline_kernelINS0_14default_configENS1_25partition_config_selectorILNS1_17partition_subalgoE8ElNS0_10empty_typeEbEEZZNS1_14partition_implILS5_8ELb0ES3_jPlPS6_PKS6_NS0_5tupleIJS9_S6_EEENSD_IJSA_SA_EEENS0_18inequality_wrapperIZN2at6native12_GLOBAL__N_124unique_dim_cuda_templateIjEESt5tupleIJNSH_6TensorESM_SM_EERKSM_lbbbEUlllE0_EEPmJS6_EEE10hipError_tPvRmT3_T4_T5_T6_T7_T9_mT8_P12ihipStream_tbDpT10_ENKUlT_T0_E_clISt17integral_constantIbLb0EES1C_EEDaS17_S18_EUlS17_E_NS1_11comp_targetILNS1_3genE10ELNS1_11target_archE1200ELNS1_3gpuE4ELNS1_3repE0EEENS1_30default_config_static_selectorELNS0_4arch9wavefront6targetE0EEEvT1_.uses_vcc, 0
	.set _ZN7rocprim17ROCPRIM_400000_NS6detail17trampoline_kernelINS0_14default_configENS1_25partition_config_selectorILNS1_17partition_subalgoE8ElNS0_10empty_typeEbEEZZNS1_14partition_implILS5_8ELb0ES3_jPlPS6_PKS6_NS0_5tupleIJS9_S6_EEENSD_IJSA_SA_EEENS0_18inequality_wrapperIZN2at6native12_GLOBAL__N_124unique_dim_cuda_templateIjEESt5tupleIJNSH_6TensorESM_SM_EERKSM_lbbbEUlllE0_EEPmJS6_EEE10hipError_tPvRmT3_T4_T5_T6_T7_T9_mT8_P12ihipStream_tbDpT10_ENKUlT_T0_E_clISt17integral_constantIbLb0EES1C_EEDaS17_S18_EUlS17_E_NS1_11comp_targetILNS1_3genE10ELNS1_11target_archE1200ELNS1_3gpuE4ELNS1_3repE0EEENS1_30default_config_static_selectorELNS0_4arch9wavefront6targetE0EEEvT1_.uses_flat_scratch, 0
	.set _ZN7rocprim17ROCPRIM_400000_NS6detail17trampoline_kernelINS0_14default_configENS1_25partition_config_selectorILNS1_17partition_subalgoE8ElNS0_10empty_typeEbEEZZNS1_14partition_implILS5_8ELb0ES3_jPlPS6_PKS6_NS0_5tupleIJS9_S6_EEENSD_IJSA_SA_EEENS0_18inequality_wrapperIZN2at6native12_GLOBAL__N_124unique_dim_cuda_templateIjEESt5tupleIJNSH_6TensorESM_SM_EERKSM_lbbbEUlllE0_EEPmJS6_EEE10hipError_tPvRmT3_T4_T5_T6_T7_T9_mT8_P12ihipStream_tbDpT10_ENKUlT_T0_E_clISt17integral_constantIbLb0EES1C_EEDaS17_S18_EUlS17_E_NS1_11comp_targetILNS1_3genE10ELNS1_11target_archE1200ELNS1_3gpuE4ELNS1_3repE0EEENS1_30default_config_static_selectorELNS0_4arch9wavefront6targetE0EEEvT1_.has_dyn_sized_stack, 0
	.set _ZN7rocprim17ROCPRIM_400000_NS6detail17trampoline_kernelINS0_14default_configENS1_25partition_config_selectorILNS1_17partition_subalgoE8ElNS0_10empty_typeEbEEZZNS1_14partition_implILS5_8ELb0ES3_jPlPS6_PKS6_NS0_5tupleIJS9_S6_EEENSD_IJSA_SA_EEENS0_18inequality_wrapperIZN2at6native12_GLOBAL__N_124unique_dim_cuda_templateIjEESt5tupleIJNSH_6TensorESM_SM_EERKSM_lbbbEUlllE0_EEPmJS6_EEE10hipError_tPvRmT3_T4_T5_T6_T7_T9_mT8_P12ihipStream_tbDpT10_ENKUlT_T0_E_clISt17integral_constantIbLb0EES1C_EEDaS17_S18_EUlS17_E_NS1_11comp_targetILNS1_3genE10ELNS1_11target_archE1200ELNS1_3gpuE4ELNS1_3repE0EEENS1_30default_config_static_selectorELNS0_4arch9wavefront6targetE0EEEvT1_.has_recursion, 0
	.set _ZN7rocprim17ROCPRIM_400000_NS6detail17trampoline_kernelINS0_14default_configENS1_25partition_config_selectorILNS1_17partition_subalgoE8ElNS0_10empty_typeEbEEZZNS1_14partition_implILS5_8ELb0ES3_jPlPS6_PKS6_NS0_5tupleIJS9_S6_EEENSD_IJSA_SA_EEENS0_18inequality_wrapperIZN2at6native12_GLOBAL__N_124unique_dim_cuda_templateIjEESt5tupleIJNSH_6TensorESM_SM_EERKSM_lbbbEUlllE0_EEPmJS6_EEE10hipError_tPvRmT3_T4_T5_T6_T7_T9_mT8_P12ihipStream_tbDpT10_ENKUlT_T0_E_clISt17integral_constantIbLb0EES1C_EEDaS17_S18_EUlS17_E_NS1_11comp_targetILNS1_3genE10ELNS1_11target_archE1200ELNS1_3gpuE4ELNS1_3repE0EEENS1_30default_config_static_selectorELNS0_4arch9wavefront6targetE0EEEvT1_.has_indirect_call, 0
	.section	.AMDGPU.csdata,"",@progbits
; Kernel info:
; codeLenInByte = 0
; TotalNumSgprs: 0
; NumVgprs: 0
; ScratchSize: 0
; MemoryBound: 0
; FloatMode: 240
; IeeeMode: 1
; LDSByteSize: 0 bytes/workgroup (compile time only)
; SGPRBlocks: 0
; VGPRBlocks: 0
; NumSGPRsForWavesPerEU: 1
; NumVGPRsForWavesPerEU: 1
; NamedBarCnt: 0
; Occupancy: 16
; WaveLimiterHint : 0
; COMPUTE_PGM_RSRC2:SCRATCH_EN: 0
; COMPUTE_PGM_RSRC2:USER_SGPR: 2
; COMPUTE_PGM_RSRC2:TRAP_HANDLER: 0
; COMPUTE_PGM_RSRC2:TGID_X_EN: 1
; COMPUTE_PGM_RSRC2:TGID_Y_EN: 0
; COMPUTE_PGM_RSRC2:TGID_Z_EN: 0
; COMPUTE_PGM_RSRC2:TIDIG_COMP_CNT: 0
	.section	.text._ZN7rocprim17ROCPRIM_400000_NS6detail17trampoline_kernelINS0_14default_configENS1_25partition_config_selectorILNS1_17partition_subalgoE8ElNS0_10empty_typeEbEEZZNS1_14partition_implILS5_8ELb0ES3_jPlPS6_PKS6_NS0_5tupleIJS9_S6_EEENSD_IJSA_SA_EEENS0_18inequality_wrapperIZN2at6native12_GLOBAL__N_124unique_dim_cuda_templateIjEESt5tupleIJNSH_6TensorESM_SM_EERKSM_lbbbEUlllE0_EEPmJS6_EEE10hipError_tPvRmT3_T4_T5_T6_T7_T9_mT8_P12ihipStream_tbDpT10_ENKUlT_T0_E_clISt17integral_constantIbLb0EES1C_EEDaS17_S18_EUlS17_E_NS1_11comp_targetILNS1_3genE9ELNS1_11target_archE1100ELNS1_3gpuE3ELNS1_3repE0EEENS1_30default_config_static_selectorELNS0_4arch9wavefront6targetE0EEEvT1_,"axG",@progbits,_ZN7rocprim17ROCPRIM_400000_NS6detail17trampoline_kernelINS0_14default_configENS1_25partition_config_selectorILNS1_17partition_subalgoE8ElNS0_10empty_typeEbEEZZNS1_14partition_implILS5_8ELb0ES3_jPlPS6_PKS6_NS0_5tupleIJS9_S6_EEENSD_IJSA_SA_EEENS0_18inequality_wrapperIZN2at6native12_GLOBAL__N_124unique_dim_cuda_templateIjEESt5tupleIJNSH_6TensorESM_SM_EERKSM_lbbbEUlllE0_EEPmJS6_EEE10hipError_tPvRmT3_T4_T5_T6_T7_T9_mT8_P12ihipStream_tbDpT10_ENKUlT_T0_E_clISt17integral_constantIbLb0EES1C_EEDaS17_S18_EUlS17_E_NS1_11comp_targetILNS1_3genE9ELNS1_11target_archE1100ELNS1_3gpuE3ELNS1_3repE0EEENS1_30default_config_static_selectorELNS0_4arch9wavefront6targetE0EEEvT1_,comdat
	.globl	_ZN7rocprim17ROCPRIM_400000_NS6detail17trampoline_kernelINS0_14default_configENS1_25partition_config_selectorILNS1_17partition_subalgoE8ElNS0_10empty_typeEbEEZZNS1_14partition_implILS5_8ELb0ES3_jPlPS6_PKS6_NS0_5tupleIJS9_S6_EEENSD_IJSA_SA_EEENS0_18inequality_wrapperIZN2at6native12_GLOBAL__N_124unique_dim_cuda_templateIjEESt5tupleIJNSH_6TensorESM_SM_EERKSM_lbbbEUlllE0_EEPmJS6_EEE10hipError_tPvRmT3_T4_T5_T6_T7_T9_mT8_P12ihipStream_tbDpT10_ENKUlT_T0_E_clISt17integral_constantIbLb0EES1C_EEDaS17_S18_EUlS17_E_NS1_11comp_targetILNS1_3genE9ELNS1_11target_archE1100ELNS1_3gpuE3ELNS1_3repE0EEENS1_30default_config_static_selectorELNS0_4arch9wavefront6targetE0EEEvT1_ ; -- Begin function _ZN7rocprim17ROCPRIM_400000_NS6detail17trampoline_kernelINS0_14default_configENS1_25partition_config_selectorILNS1_17partition_subalgoE8ElNS0_10empty_typeEbEEZZNS1_14partition_implILS5_8ELb0ES3_jPlPS6_PKS6_NS0_5tupleIJS9_S6_EEENSD_IJSA_SA_EEENS0_18inequality_wrapperIZN2at6native12_GLOBAL__N_124unique_dim_cuda_templateIjEESt5tupleIJNSH_6TensorESM_SM_EERKSM_lbbbEUlllE0_EEPmJS6_EEE10hipError_tPvRmT3_T4_T5_T6_T7_T9_mT8_P12ihipStream_tbDpT10_ENKUlT_T0_E_clISt17integral_constantIbLb0EES1C_EEDaS17_S18_EUlS17_E_NS1_11comp_targetILNS1_3genE9ELNS1_11target_archE1100ELNS1_3gpuE3ELNS1_3repE0EEENS1_30default_config_static_selectorELNS0_4arch9wavefront6targetE0EEEvT1_
	.p2align	8
	.type	_ZN7rocprim17ROCPRIM_400000_NS6detail17trampoline_kernelINS0_14default_configENS1_25partition_config_selectorILNS1_17partition_subalgoE8ElNS0_10empty_typeEbEEZZNS1_14partition_implILS5_8ELb0ES3_jPlPS6_PKS6_NS0_5tupleIJS9_S6_EEENSD_IJSA_SA_EEENS0_18inequality_wrapperIZN2at6native12_GLOBAL__N_124unique_dim_cuda_templateIjEESt5tupleIJNSH_6TensorESM_SM_EERKSM_lbbbEUlllE0_EEPmJS6_EEE10hipError_tPvRmT3_T4_T5_T6_T7_T9_mT8_P12ihipStream_tbDpT10_ENKUlT_T0_E_clISt17integral_constantIbLb0EES1C_EEDaS17_S18_EUlS17_E_NS1_11comp_targetILNS1_3genE9ELNS1_11target_archE1100ELNS1_3gpuE3ELNS1_3repE0EEENS1_30default_config_static_selectorELNS0_4arch9wavefront6targetE0EEEvT1_,@function
_ZN7rocprim17ROCPRIM_400000_NS6detail17trampoline_kernelINS0_14default_configENS1_25partition_config_selectorILNS1_17partition_subalgoE8ElNS0_10empty_typeEbEEZZNS1_14partition_implILS5_8ELb0ES3_jPlPS6_PKS6_NS0_5tupleIJS9_S6_EEENSD_IJSA_SA_EEENS0_18inequality_wrapperIZN2at6native12_GLOBAL__N_124unique_dim_cuda_templateIjEESt5tupleIJNSH_6TensorESM_SM_EERKSM_lbbbEUlllE0_EEPmJS6_EEE10hipError_tPvRmT3_T4_T5_T6_T7_T9_mT8_P12ihipStream_tbDpT10_ENKUlT_T0_E_clISt17integral_constantIbLb0EES1C_EEDaS17_S18_EUlS17_E_NS1_11comp_targetILNS1_3genE9ELNS1_11target_archE1100ELNS1_3gpuE3ELNS1_3repE0EEENS1_30default_config_static_selectorELNS0_4arch9wavefront6targetE0EEEvT1_: ; @_ZN7rocprim17ROCPRIM_400000_NS6detail17trampoline_kernelINS0_14default_configENS1_25partition_config_selectorILNS1_17partition_subalgoE8ElNS0_10empty_typeEbEEZZNS1_14partition_implILS5_8ELb0ES3_jPlPS6_PKS6_NS0_5tupleIJS9_S6_EEENSD_IJSA_SA_EEENS0_18inequality_wrapperIZN2at6native12_GLOBAL__N_124unique_dim_cuda_templateIjEESt5tupleIJNSH_6TensorESM_SM_EERKSM_lbbbEUlllE0_EEPmJS6_EEE10hipError_tPvRmT3_T4_T5_T6_T7_T9_mT8_P12ihipStream_tbDpT10_ENKUlT_T0_E_clISt17integral_constantIbLb0EES1C_EEDaS17_S18_EUlS17_E_NS1_11comp_targetILNS1_3genE9ELNS1_11target_archE1100ELNS1_3gpuE3ELNS1_3repE0EEENS1_30default_config_static_selectorELNS0_4arch9wavefront6targetE0EEEvT1_
; %bb.0:
	.section	.rodata,"a",@progbits
	.p2align	6, 0x0
	.amdhsa_kernel _ZN7rocprim17ROCPRIM_400000_NS6detail17trampoline_kernelINS0_14default_configENS1_25partition_config_selectorILNS1_17partition_subalgoE8ElNS0_10empty_typeEbEEZZNS1_14partition_implILS5_8ELb0ES3_jPlPS6_PKS6_NS0_5tupleIJS9_S6_EEENSD_IJSA_SA_EEENS0_18inequality_wrapperIZN2at6native12_GLOBAL__N_124unique_dim_cuda_templateIjEESt5tupleIJNSH_6TensorESM_SM_EERKSM_lbbbEUlllE0_EEPmJS6_EEE10hipError_tPvRmT3_T4_T5_T6_T7_T9_mT8_P12ihipStream_tbDpT10_ENKUlT_T0_E_clISt17integral_constantIbLb0EES1C_EEDaS17_S18_EUlS17_E_NS1_11comp_targetILNS1_3genE9ELNS1_11target_archE1100ELNS1_3gpuE3ELNS1_3repE0EEENS1_30default_config_static_selectorELNS0_4arch9wavefront6targetE0EEEvT1_
		.amdhsa_group_segment_fixed_size 0
		.amdhsa_private_segment_fixed_size 0
		.amdhsa_kernarg_size 120
		.amdhsa_user_sgpr_count 2
		.amdhsa_user_sgpr_dispatch_ptr 0
		.amdhsa_user_sgpr_queue_ptr 0
		.amdhsa_user_sgpr_kernarg_segment_ptr 1
		.amdhsa_user_sgpr_dispatch_id 0
		.amdhsa_user_sgpr_kernarg_preload_length 0
		.amdhsa_user_sgpr_kernarg_preload_offset 0
		.amdhsa_user_sgpr_private_segment_size 0
		.amdhsa_wavefront_size32 1
		.amdhsa_uses_dynamic_stack 0
		.amdhsa_enable_private_segment 0
		.amdhsa_system_sgpr_workgroup_id_x 1
		.amdhsa_system_sgpr_workgroup_id_y 0
		.amdhsa_system_sgpr_workgroup_id_z 0
		.amdhsa_system_sgpr_workgroup_info 0
		.amdhsa_system_vgpr_workitem_id 0
		.amdhsa_next_free_vgpr 1
		.amdhsa_next_free_sgpr 1
		.amdhsa_named_barrier_count 0
		.amdhsa_reserve_vcc 0
		.amdhsa_float_round_mode_32 0
		.amdhsa_float_round_mode_16_64 0
		.amdhsa_float_denorm_mode_32 3
		.amdhsa_float_denorm_mode_16_64 3
		.amdhsa_fp16_overflow 0
		.amdhsa_memory_ordered 1
		.amdhsa_forward_progress 1
		.amdhsa_inst_pref_size 0
		.amdhsa_round_robin_scheduling 0
		.amdhsa_exception_fp_ieee_invalid_op 0
		.amdhsa_exception_fp_denorm_src 0
		.amdhsa_exception_fp_ieee_div_zero 0
		.amdhsa_exception_fp_ieee_overflow 0
		.amdhsa_exception_fp_ieee_underflow 0
		.amdhsa_exception_fp_ieee_inexact 0
		.amdhsa_exception_int_div_zero 0
	.end_amdhsa_kernel
	.section	.text._ZN7rocprim17ROCPRIM_400000_NS6detail17trampoline_kernelINS0_14default_configENS1_25partition_config_selectorILNS1_17partition_subalgoE8ElNS0_10empty_typeEbEEZZNS1_14partition_implILS5_8ELb0ES3_jPlPS6_PKS6_NS0_5tupleIJS9_S6_EEENSD_IJSA_SA_EEENS0_18inequality_wrapperIZN2at6native12_GLOBAL__N_124unique_dim_cuda_templateIjEESt5tupleIJNSH_6TensorESM_SM_EERKSM_lbbbEUlllE0_EEPmJS6_EEE10hipError_tPvRmT3_T4_T5_T6_T7_T9_mT8_P12ihipStream_tbDpT10_ENKUlT_T0_E_clISt17integral_constantIbLb0EES1C_EEDaS17_S18_EUlS17_E_NS1_11comp_targetILNS1_3genE9ELNS1_11target_archE1100ELNS1_3gpuE3ELNS1_3repE0EEENS1_30default_config_static_selectorELNS0_4arch9wavefront6targetE0EEEvT1_,"axG",@progbits,_ZN7rocprim17ROCPRIM_400000_NS6detail17trampoline_kernelINS0_14default_configENS1_25partition_config_selectorILNS1_17partition_subalgoE8ElNS0_10empty_typeEbEEZZNS1_14partition_implILS5_8ELb0ES3_jPlPS6_PKS6_NS0_5tupleIJS9_S6_EEENSD_IJSA_SA_EEENS0_18inequality_wrapperIZN2at6native12_GLOBAL__N_124unique_dim_cuda_templateIjEESt5tupleIJNSH_6TensorESM_SM_EERKSM_lbbbEUlllE0_EEPmJS6_EEE10hipError_tPvRmT3_T4_T5_T6_T7_T9_mT8_P12ihipStream_tbDpT10_ENKUlT_T0_E_clISt17integral_constantIbLb0EES1C_EEDaS17_S18_EUlS17_E_NS1_11comp_targetILNS1_3genE9ELNS1_11target_archE1100ELNS1_3gpuE3ELNS1_3repE0EEENS1_30default_config_static_selectorELNS0_4arch9wavefront6targetE0EEEvT1_,comdat
.Lfunc_end1547:
	.size	_ZN7rocprim17ROCPRIM_400000_NS6detail17trampoline_kernelINS0_14default_configENS1_25partition_config_selectorILNS1_17partition_subalgoE8ElNS0_10empty_typeEbEEZZNS1_14partition_implILS5_8ELb0ES3_jPlPS6_PKS6_NS0_5tupleIJS9_S6_EEENSD_IJSA_SA_EEENS0_18inequality_wrapperIZN2at6native12_GLOBAL__N_124unique_dim_cuda_templateIjEESt5tupleIJNSH_6TensorESM_SM_EERKSM_lbbbEUlllE0_EEPmJS6_EEE10hipError_tPvRmT3_T4_T5_T6_T7_T9_mT8_P12ihipStream_tbDpT10_ENKUlT_T0_E_clISt17integral_constantIbLb0EES1C_EEDaS17_S18_EUlS17_E_NS1_11comp_targetILNS1_3genE9ELNS1_11target_archE1100ELNS1_3gpuE3ELNS1_3repE0EEENS1_30default_config_static_selectorELNS0_4arch9wavefront6targetE0EEEvT1_, .Lfunc_end1547-_ZN7rocprim17ROCPRIM_400000_NS6detail17trampoline_kernelINS0_14default_configENS1_25partition_config_selectorILNS1_17partition_subalgoE8ElNS0_10empty_typeEbEEZZNS1_14partition_implILS5_8ELb0ES3_jPlPS6_PKS6_NS0_5tupleIJS9_S6_EEENSD_IJSA_SA_EEENS0_18inequality_wrapperIZN2at6native12_GLOBAL__N_124unique_dim_cuda_templateIjEESt5tupleIJNSH_6TensorESM_SM_EERKSM_lbbbEUlllE0_EEPmJS6_EEE10hipError_tPvRmT3_T4_T5_T6_T7_T9_mT8_P12ihipStream_tbDpT10_ENKUlT_T0_E_clISt17integral_constantIbLb0EES1C_EEDaS17_S18_EUlS17_E_NS1_11comp_targetILNS1_3genE9ELNS1_11target_archE1100ELNS1_3gpuE3ELNS1_3repE0EEENS1_30default_config_static_selectorELNS0_4arch9wavefront6targetE0EEEvT1_
                                        ; -- End function
	.set _ZN7rocprim17ROCPRIM_400000_NS6detail17trampoline_kernelINS0_14default_configENS1_25partition_config_selectorILNS1_17partition_subalgoE8ElNS0_10empty_typeEbEEZZNS1_14partition_implILS5_8ELb0ES3_jPlPS6_PKS6_NS0_5tupleIJS9_S6_EEENSD_IJSA_SA_EEENS0_18inequality_wrapperIZN2at6native12_GLOBAL__N_124unique_dim_cuda_templateIjEESt5tupleIJNSH_6TensorESM_SM_EERKSM_lbbbEUlllE0_EEPmJS6_EEE10hipError_tPvRmT3_T4_T5_T6_T7_T9_mT8_P12ihipStream_tbDpT10_ENKUlT_T0_E_clISt17integral_constantIbLb0EES1C_EEDaS17_S18_EUlS17_E_NS1_11comp_targetILNS1_3genE9ELNS1_11target_archE1100ELNS1_3gpuE3ELNS1_3repE0EEENS1_30default_config_static_selectorELNS0_4arch9wavefront6targetE0EEEvT1_.num_vgpr, 0
	.set _ZN7rocprim17ROCPRIM_400000_NS6detail17trampoline_kernelINS0_14default_configENS1_25partition_config_selectorILNS1_17partition_subalgoE8ElNS0_10empty_typeEbEEZZNS1_14partition_implILS5_8ELb0ES3_jPlPS6_PKS6_NS0_5tupleIJS9_S6_EEENSD_IJSA_SA_EEENS0_18inequality_wrapperIZN2at6native12_GLOBAL__N_124unique_dim_cuda_templateIjEESt5tupleIJNSH_6TensorESM_SM_EERKSM_lbbbEUlllE0_EEPmJS6_EEE10hipError_tPvRmT3_T4_T5_T6_T7_T9_mT8_P12ihipStream_tbDpT10_ENKUlT_T0_E_clISt17integral_constantIbLb0EES1C_EEDaS17_S18_EUlS17_E_NS1_11comp_targetILNS1_3genE9ELNS1_11target_archE1100ELNS1_3gpuE3ELNS1_3repE0EEENS1_30default_config_static_selectorELNS0_4arch9wavefront6targetE0EEEvT1_.num_agpr, 0
	.set _ZN7rocprim17ROCPRIM_400000_NS6detail17trampoline_kernelINS0_14default_configENS1_25partition_config_selectorILNS1_17partition_subalgoE8ElNS0_10empty_typeEbEEZZNS1_14partition_implILS5_8ELb0ES3_jPlPS6_PKS6_NS0_5tupleIJS9_S6_EEENSD_IJSA_SA_EEENS0_18inequality_wrapperIZN2at6native12_GLOBAL__N_124unique_dim_cuda_templateIjEESt5tupleIJNSH_6TensorESM_SM_EERKSM_lbbbEUlllE0_EEPmJS6_EEE10hipError_tPvRmT3_T4_T5_T6_T7_T9_mT8_P12ihipStream_tbDpT10_ENKUlT_T0_E_clISt17integral_constantIbLb0EES1C_EEDaS17_S18_EUlS17_E_NS1_11comp_targetILNS1_3genE9ELNS1_11target_archE1100ELNS1_3gpuE3ELNS1_3repE0EEENS1_30default_config_static_selectorELNS0_4arch9wavefront6targetE0EEEvT1_.numbered_sgpr, 0
	.set _ZN7rocprim17ROCPRIM_400000_NS6detail17trampoline_kernelINS0_14default_configENS1_25partition_config_selectorILNS1_17partition_subalgoE8ElNS0_10empty_typeEbEEZZNS1_14partition_implILS5_8ELb0ES3_jPlPS6_PKS6_NS0_5tupleIJS9_S6_EEENSD_IJSA_SA_EEENS0_18inequality_wrapperIZN2at6native12_GLOBAL__N_124unique_dim_cuda_templateIjEESt5tupleIJNSH_6TensorESM_SM_EERKSM_lbbbEUlllE0_EEPmJS6_EEE10hipError_tPvRmT3_T4_T5_T6_T7_T9_mT8_P12ihipStream_tbDpT10_ENKUlT_T0_E_clISt17integral_constantIbLb0EES1C_EEDaS17_S18_EUlS17_E_NS1_11comp_targetILNS1_3genE9ELNS1_11target_archE1100ELNS1_3gpuE3ELNS1_3repE0EEENS1_30default_config_static_selectorELNS0_4arch9wavefront6targetE0EEEvT1_.num_named_barrier, 0
	.set _ZN7rocprim17ROCPRIM_400000_NS6detail17trampoline_kernelINS0_14default_configENS1_25partition_config_selectorILNS1_17partition_subalgoE8ElNS0_10empty_typeEbEEZZNS1_14partition_implILS5_8ELb0ES3_jPlPS6_PKS6_NS0_5tupleIJS9_S6_EEENSD_IJSA_SA_EEENS0_18inequality_wrapperIZN2at6native12_GLOBAL__N_124unique_dim_cuda_templateIjEESt5tupleIJNSH_6TensorESM_SM_EERKSM_lbbbEUlllE0_EEPmJS6_EEE10hipError_tPvRmT3_T4_T5_T6_T7_T9_mT8_P12ihipStream_tbDpT10_ENKUlT_T0_E_clISt17integral_constantIbLb0EES1C_EEDaS17_S18_EUlS17_E_NS1_11comp_targetILNS1_3genE9ELNS1_11target_archE1100ELNS1_3gpuE3ELNS1_3repE0EEENS1_30default_config_static_selectorELNS0_4arch9wavefront6targetE0EEEvT1_.private_seg_size, 0
	.set _ZN7rocprim17ROCPRIM_400000_NS6detail17trampoline_kernelINS0_14default_configENS1_25partition_config_selectorILNS1_17partition_subalgoE8ElNS0_10empty_typeEbEEZZNS1_14partition_implILS5_8ELb0ES3_jPlPS6_PKS6_NS0_5tupleIJS9_S6_EEENSD_IJSA_SA_EEENS0_18inequality_wrapperIZN2at6native12_GLOBAL__N_124unique_dim_cuda_templateIjEESt5tupleIJNSH_6TensorESM_SM_EERKSM_lbbbEUlllE0_EEPmJS6_EEE10hipError_tPvRmT3_T4_T5_T6_T7_T9_mT8_P12ihipStream_tbDpT10_ENKUlT_T0_E_clISt17integral_constantIbLb0EES1C_EEDaS17_S18_EUlS17_E_NS1_11comp_targetILNS1_3genE9ELNS1_11target_archE1100ELNS1_3gpuE3ELNS1_3repE0EEENS1_30default_config_static_selectorELNS0_4arch9wavefront6targetE0EEEvT1_.uses_vcc, 0
	.set _ZN7rocprim17ROCPRIM_400000_NS6detail17trampoline_kernelINS0_14default_configENS1_25partition_config_selectorILNS1_17partition_subalgoE8ElNS0_10empty_typeEbEEZZNS1_14partition_implILS5_8ELb0ES3_jPlPS6_PKS6_NS0_5tupleIJS9_S6_EEENSD_IJSA_SA_EEENS0_18inequality_wrapperIZN2at6native12_GLOBAL__N_124unique_dim_cuda_templateIjEESt5tupleIJNSH_6TensorESM_SM_EERKSM_lbbbEUlllE0_EEPmJS6_EEE10hipError_tPvRmT3_T4_T5_T6_T7_T9_mT8_P12ihipStream_tbDpT10_ENKUlT_T0_E_clISt17integral_constantIbLb0EES1C_EEDaS17_S18_EUlS17_E_NS1_11comp_targetILNS1_3genE9ELNS1_11target_archE1100ELNS1_3gpuE3ELNS1_3repE0EEENS1_30default_config_static_selectorELNS0_4arch9wavefront6targetE0EEEvT1_.uses_flat_scratch, 0
	.set _ZN7rocprim17ROCPRIM_400000_NS6detail17trampoline_kernelINS0_14default_configENS1_25partition_config_selectorILNS1_17partition_subalgoE8ElNS0_10empty_typeEbEEZZNS1_14partition_implILS5_8ELb0ES3_jPlPS6_PKS6_NS0_5tupleIJS9_S6_EEENSD_IJSA_SA_EEENS0_18inequality_wrapperIZN2at6native12_GLOBAL__N_124unique_dim_cuda_templateIjEESt5tupleIJNSH_6TensorESM_SM_EERKSM_lbbbEUlllE0_EEPmJS6_EEE10hipError_tPvRmT3_T4_T5_T6_T7_T9_mT8_P12ihipStream_tbDpT10_ENKUlT_T0_E_clISt17integral_constantIbLb0EES1C_EEDaS17_S18_EUlS17_E_NS1_11comp_targetILNS1_3genE9ELNS1_11target_archE1100ELNS1_3gpuE3ELNS1_3repE0EEENS1_30default_config_static_selectorELNS0_4arch9wavefront6targetE0EEEvT1_.has_dyn_sized_stack, 0
	.set _ZN7rocprim17ROCPRIM_400000_NS6detail17trampoline_kernelINS0_14default_configENS1_25partition_config_selectorILNS1_17partition_subalgoE8ElNS0_10empty_typeEbEEZZNS1_14partition_implILS5_8ELb0ES3_jPlPS6_PKS6_NS0_5tupleIJS9_S6_EEENSD_IJSA_SA_EEENS0_18inequality_wrapperIZN2at6native12_GLOBAL__N_124unique_dim_cuda_templateIjEESt5tupleIJNSH_6TensorESM_SM_EERKSM_lbbbEUlllE0_EEPmJS6_EEE10hipError_tPvRmT3_T4_T5_T6_T7_T9_mT8_P12ihipStream_tbDpT10_ENKUlT_T0_E_clISt17integral_constantIbLb0EES1C_EEDaS17_S18_EUlS17_E_NS1_11comp_targetILNS1_3genE9ELNS1_11target_archE1100ELNS1_3gpuE3ELNS1_3repE0EEENS1_30default_config_static_selectorELNS0_4arch9wavefront6targetE0EEEvT1_.has_recursion, 0
	.set _ZN7rocprim17ROCPRIM_400000_NS6detail17trampoline_kernelINS0_14default_configENS1_25partition_config_selectorILNS1_17partition_subalgoE8ElNS0_10empty_typeEbEEZZNS1_14partition_implILS5_8ELb0ES3_jPlPS6_PKS6_NS0_5tupleIJS9_S6_EEENSD_IJSA_SA_EEENS0_18inequality_wrapperIZN2at6native12_GLOBAL__N_124unique_dim_cuda_templateIjEESt5tupleIJNSH_6TensorESM_SM_EERKSM_lbbbEUlllE0_EEPmJS6_EEE10hipError_tPvRmT3_T4_T5_T6_T7_T9_mT8_P12ihipStream_tbDpT10_ENKUlT_T0_E_clISt17integral_constantIbLb0EES1C_EEDaS17_S18_EUlS17_E_NS1_11comp_targetILNS1_3genE9ELNS1_11target_archE1100ELNS1_3gpuE3ELNS1_3repE0EEENS1_30default_config_static_selectorELNS0_4arch9wavefront6targetE0EEEvT1_.has_indirect_call, 0
	.section	.AMDGPU.csdata,"",@progbits
; Kernel info:
; codeLenInByte = 0
; TotalNumSgprs: 0
; NumVgprs: 0
; ScratchSize: 0
; MemoryBound: 0
; FloatMode: 240
; IeeeMode: 1
; LDSByteSize: 0 bytes/workgroup (compile time only)
; SGPRBlocks: 0
; VGPRBlocks: 0
; NumSGPRsForWavesPerEU: 1
; NumVGPRsForWavesPerEU: 1
; NamedBarCnt: 0
; Occupancy: 16
; WaveLimiterHint : 0
; COMPUTE_PGM_RSRC2:SCRATCH_EN: 0
; COMPUTE_PGM_RSRC2:USER_SGPR: 2
; COMPUTE_PGM_RSRC2:TRAP_HANDLER: 0
; COMPUTE_PGM_RSRC2:TGID_X_EN: 1
; COMPUTE_PGM_RSRC2:TGID_Y_EN: 0
; COMPUTE_PGM_RSRC2:TGID_Z_EN: 0
; COMPUTE_PGM_RSRC2:TIDIG_COMP_CNT: 0
	.section	.text._ZN7rocprim17ROCPRIM_400000_NS6detail17trampoline_kernelINS0_14default_configENS1_25partition_config_selectorILNS1_17partition_subalgoE8ElNS0_10empty_typeEbEEZZNS1_14partition_implILS5_8ELb0ES3_jPlPS6_PKS6_NS0_5tupleIJS9_S6_EEENSD_IJSA_SA_EEENS0_18inequality_wrapperIZN2at6native12_GLOBAL__N_124unique_dim_cuda_templateIjEESt5tupleIJNSH_6TensorESM_SM_EERKSM_lbbbEUlllE0_EEPmJS6_EEE10hipError_tPvRmT3_T4_T5_T6_T7_T9_mT8_P12ihipStream_tbDpT10_ENKUlT_T0_E_clISt17integral_constantIbLb0EES1C_EEDaS17_S18_EUlS17_E_NS1_11comp_targetILNS1_3genE8ELNS1_11target_archE1030ELNS1_3gpuE2ELNS1_3repE0EEENS1_30default_config_static_selectorELNS0_4arch9wavefront6targetE0EEEvT1_,"axG",@progbits,_ZN7rocprim17ROCPRIM_400000_NS6detail17trampoline_kernelINS0_14default_configENS1_25partition_config_selectorILNS1_17partition_subalgoE8ElNS0_10empty_typeEbEEZZNS1_14partition_implILS5_8ELb0ES3_jPlPS6_PKS6_NS0_5tupleIJS9_S6_EEENSD_IJSA_SA_EEENS0_18inequality_wrapperIZN2at6native12_GLOBAL__N_124unique_dim_cuda_templateIjEESt5tupleIJNSH_6TensorESM_SM_EERKSM_lbbbEUlllE0_EEPmJS6_EEE10hipError_tPvRmT3_T4_T5_T6_T7_T9_mT8_P12ihipStream_tbDpT10_ENKUlT_T0_E_clISt17integral_constantIbLb0EES1C_EEDaS17_S18_EUlS17_E_NS1_11comp_targetILNS1_3genE8ELNS1_11target_archE1030ELNS1_3gpuE2ELNS1_3repE0EEENS1_30default_config_static_selectorELNS0_4arch9wavefront6targetE0EEEvT1_,comdat
	.globl	_ZN7rocprim17ROCPRIM_400000_NS6detail17trampoline_kernelINS0_14default_configENS1_25partition_config_selectorILNS1_17partition_subalgoE8ElNS0_10empty_typeEbEEZZNS1_14partition_implILS5_8ELb0ES3_jPlPS6_PKS6_NS0_5tupleIJS9_S6_EEENSD_IJSA_SA_EEENS0_18inequality_wrapperIZN2at6native12_GLOBAL__N_124unique_dim_cuda_templateIjEESt5tupleIJNSH_6TensorESM_SM_EERKSM_lbbbEUlllE0_EEPmJS6_EEE10hipError_tPvRmT3_T4_T5_T6_T7_T9_mT8_P12ihipStream_tbDpT10_ENKUlT_T0_E_clISt17integral_constantIbLb0EES1C_EEDaS17_S18_EUlS17_E_NS1_11comp_targetILNS1_3genE8ELNS1_11target_archE1030ELNS1_3gpuE2ELNS1_3repE0EEENS1_30default_config_static_selectorELNS0_4arch9wavefront6targetE0EEEvT1_ ; -- Begin function _ZN7rocprim17ROCPRIM_400000_NS6detail17trampoline_kernelINS0_14default_configENS1_25partition_config_selectorILNS1_17partition_subalgoE8ElNS0_10empty_typeEbEEZZNS1_14partition_implILS5_8ELb0ES3_jPlPS6_PKS6_NS0_5tupleIJS9_S6_EEENSD_IJSA_SA_EEENS0_18inequality_wrapperIZN2at6native12_GLOBAL__N_124unique_dim_cuda_templateIjEESt5tupleIJNSH_6TensorESM_SM_EERKSM_lbbbEUlllE0_EEPmJS6_EEE10hipError_tPvRmT3_T4_T5_T6_T7_T9_mT8_P12ihipStream_tbDpT10_ENKUlT_T0_E_clISt17integral_constantIbLb0EES1C_EEDaS17_S18_EUlS17_E_NS1_11comp_targetILNS1_3genE8ELNS1_11target_archE1030ELNS1_3gpuE2ELNS1_3repE0EEENS1_30default_config_static_selectorELNS0_4arch9wavefront6targetE0EEEvT1_
	.p2align	8
	.type	_ZN7rocprim17ROCPRIM_400000_NS6detail17trampoline_kernelINS0_14default_configENS1_25partition_config_selectorILNS1_17partition_subalgoE8ElNS0_10empty_typeEbEEZZNS1_14partition_implILS5_8ELb0ES3_jPlPS6_PKS6_NS0_5tupleIJS9_S6_EEENSD_IJSA_SA_EEENS0_18inequality_wrapperIZN2at6native12_GLOBAL__N_124unique_dim_cuda_templateIjEESt5tupleIJNSH_6TensorESM_SM_EERKSM_lbbbEUlllE0_EEPmJS6_EEE10hipError_tPvRmT3_T4_T5_T6_T7_T9_mT8_P12ihipStream_tbDpT10_ENKUlT_T0_E_clISt17integral_constantIbLb0EES1C_EEDaS17_S18_EUlS17_E_NS1_11comp_targetILNS1_3genE8ELNS1_11target_archE1030ELNS1_3gpuE2ELNS1_3repE0EEENS1_30default_config_static_selectorELNS0_4arch9wavefront6targetE0EEEvT1_,@function
_ZN7rocprim17ROCPRIM_400000_NS6detail17trampoline_kernelINS0_14default_configENS1_25partition_config_selectorILNS1_17partition_subalgoE8ElNS0_10empty_typeEbEEZZNS1_14partition_implILS5_8ELb0ES3_jPlPS6_PKS6_NS0_5tupleIJS9_S6_EEENSD_IJSA_SA_EEENS0_18inequality_wrapperIZN2at6native12_GLOBAL__N_124unique_dim_cuda_templateIjEESt5tupleIJNSH_6TensorESM_SM_EERKSM_lbbbEUlllE0_EEPmJS6_EEE10hipError_tPvRmT3_T4_T5_T6_T7_T9_mT8_P12ihipStream_tbDpT10_ENKUlT_T0_E_clISt17integral_constantIbLb0EES1C_EEDaS17_S18_EUlS17_E_NS1_11comp_targetILNS1_3genE8ELNS1_11target_archE1030ELNS1_3gpuE2ELNS1_3repE0EEENS1_30default_config_static_selectorELNS0_4arch9wavefront6targetE0EEEvT1_: ; @_ZN7rocprim17ROCPRIM_400000_NS6detail17trampoline_kernelINS0_14default_configENS1_25partition_config_selectorILNS1_17partition_subalgoE8ElNS0_10empty_typeEbEEZZNS1_14partition_implILS5_8ELb0ES3_jPlPS6_PKS6_NS0_5tupleIJS9_S6_EEENSD_IJSA_SA_EEENS0_18inequality_wrapperIZN2at6native12_GLOBAL__N_124unique_dim_cuda_templateIjEESt5tupleIJNSH_6TensorESM_SM_EERKSM_lbbbEUlllE0_EEPmJS6_EEE10hipError_tPvRmT3_T4_T5_T6_T7_T9_mT8_P12ihipStream_tbDpT10_ENKUlT_T0_E_clISt17integral_constantIbLb0EES1C_EEDaS17_S18_EUlS17_E_NS1_11comp_targetILNS1_3genE8ELNS1_11target_archE1030ELNS1_3gpuE2ELNS1_3repE0EEENS1_30default_config_static_selectorELNS0_4arch9wavefront6targetE0EEEvT1_
; %bb.0:
	.section	.rodata,"a",@progbits
	.p2align	6, 0x0
	.amdhsa_kernel _ZN7rocprim17ROCPRIM_400000_NS6detail17trampoline_kernelINS0_14default_configENS1_25partition_config_selectorILNS1_17partition_subalgoE8ElNS0_10empty_typeEbEEZZNS1_14partition_implILS5_8ELb0ES3_jPlPS6_PKS6_NS0_5tupleIJS9_S6_EEENSD_IJSA_SA_EEENS0_18inequality_wrapperIZN2at6native12_GLOBAL__N_124unique_dim_cuda_templateIjEESt5tupleIJNSH_6TensorESM_SM_EERKSM_lbbbEUlllE0_EEPmJS6_EEE10hipError_tPvRmT3_T4_T5_T6_T7_T9_mT8_P12ihipStream_tbDpT10_ENKUlT_T0_E_clISt17integral_constantIbLb0EES1C_EEDaS17_S18_EUlS17_E_NS1_11comp_targetILNS1_3genE8ELNS1_11target_archE1030ELNS1_3gpuE2ELNS1_3repE0EEENS1_30default_config_static_selectorELNS0_4arch9wavefront6targetE0EEEvT1_
		.amdhsa_group_segment_fixed_size 0
		.amdhsa_private_segment_fixed_size 0
		.amdhsa_kernarg_size 120
		.amdhsa_user_sgpr_count 2
		.amdhsa_user_sgpr_dispatch_ptr 0
		.amdhsa_user_sgpr_queue_ptr 0
		.amdhsa_user_sgpr_kernarg_segment_ptr 1
		.amdhsa_user_sgpr_dispatch_id 0
		.amdhsa_user_sgpr_kernarg_preload_length 0
		.amdhsa_user_sgpr_kernarg_preload_offset 0
		.amdhsa_user_sgpr_private_segment_size 0
		.amdhsa_wavefront_size32 1
		.amdhsa_uses_dynamic_stack 0
		.amdhsa_enable_private_segment 0
		.amdhsa_system_sgpr_workgroup_id_x 1
		.amdhsa_system_sgpr_workgroup_id_y 0
		.amdhsa_system_sgpr_workgroup_id_z 0
		.amdhsa_system_sgpr_workgroup_info 0
		.amdhsa_system_vgpr_workitem_id 0
		.amdhsa_next_free_vgpr 1
		.amdhsa_next_free_sgpr 1
		.amdhsa_named_barrier_count 0
		.amdhsa_reserve_vcc 0
		.amdhsa_float_round_mode_32 0
		.amdhsa_float_round_mode_16_64 0
		.amdhsa_float_denorm_mode_32 3
		.amdhsa_float_denorm_mode_16_64 3
		.amdhsa_fp16_overflow 0
		.amdhsa_memory_ordered 1
		.amdhsa_forward_progress 1
		.amdhsa_inst_pref_size 0
		.amdhsa_round_robin_scheduling 0
		.amdhsa_exception_fp_ieee_invalid_op 0
		.amdhsa_exception_fp_denorm_src 0
		.amdhsa_exception_fp_ieee_div_zero 0
		.amdhsa_exception_fp_ieee_overflow 0
		.amdhsa_exception_fp_ieee_underflow 0
		.amdhsa_exception_fp_ieee_inexact 0
		.amdhsa_exception_int_div_zero 0
	.end_amdhsa_kernel
	.section	.text._ZN7rocprim17ROCPRIM_400000_NS6detail17trampoline_kernelINS0_14default_configENS1_25partition_config_selectorILNS1_17partition_subalgoE8ElNS0_10empty_typeEbEEZZNS1_14partition_implILS5_8ELb0ES3_jPlPS6_PKS6_NS0_5tupleIJS9_S6_EEENSD_IJSA_SA_EEENS0_18inequality_wrapperIZN2at6native12_GLOBAL__N_124unique_dim_cuda_templateIjEESt5tupleIJNSH_6TensorESM_SM_EERKSM_lbbbEUlllE0_EEPmJS6_EEE10hipError_tPvRmT3_T4_T5_T6_T7_T9_mT8_P12ihipStream_tbDpT10_ENKUlT_T0_E_clISt17integral_constantIbLb0EES1C_EEDaS17_S18_EUlS17_E_NS1_11comp_targetILNS1_3genE8ELNS1_11target_archE1030ELNS1_3gpuE2ELNS1_3repE0EEENS1_30default_config_static_selectorELNS0_4arch9wavefront6targetE0EEEvT1_,"axG",@progbits,_ZN7rocprim17ROCPRIM_400000_NS6detail17trampoline_kernelINS0_14default_configENS1_25partition_config_selectorILNS1_17partition_subalgoE8ElNS0_10empty_typeEbEEZZNS1_14partition_implILS5_8ELb0ES3_jPlPS6_PKS6_NS0_5tupleIJS9_S6_EEENSD_IJSA_SA_EEENS0_18inequality_wrapperIZN2at6native12_GLOBAL__N_124unique_dim_cuda_templateIjEESt5tupleIJNSH_6TensorESM_SM_EERKSM_lbbbEUlllE0_EEPmJS6_EEE10hipError_tPvRmT3_T4_T5_T6_T7_T9_mT8_P12ihipStream_tbDpT10_ENKUlT_T0_E_clISt17integral_constantIbLb0EES1C_EEDaS17_S18_EUlS17_E_NS1_11comp_targetILNS1_3genE8ELNS1_11target_archE1030ELNS1_3gpuE2ELNS1_3repE0EEENS1_30default_config_static_selectorELNS0_4arch9wavefront6targetE0EEEvT1_,comdat
.Lfunc_end1548:
	.size	_ZN7rocprim17ROCPRIM_400000_NS6detail17trampoline_kernelINS0_14default_configENS1_25partition_config_selectorILNS1_17partition_subalgoE8ElNS0_10empty_typeEbEEZZNS1_14partition_implILS5_8ELb0ES3_jPlPS6_PKS6_NS0_5tupleIJS9_S6_EEENSD_IJSA_SA_EEENS0_18inequality_wrapperIZN2at6native12_GLOBAL__N_124unique_dim_cuda_templateIjEESt5tupleIJNSH_6TensorESM_SM_EERKSM_lbbbEUlllE0_EEPmJS6_EEE10hipError_tPvRmT3_T4_T5_T6_T7_T9_mT8_P12ihipStream_tbDpT10_ENKUlT_T0_E_clISt17integral_constantIbLb0EES1C_EEDaS17_S18_EUlS17_E_NS1_11comp_targetILNS1_3genE8ELNS1_11target_archE1030ELNS1_3gpuE2ELNS1_3repE0EEENS1_30default_config_static_selectorELNS0_4arch9wavefront6targetE0EEEvT1_, .Lfunc_end1548-_ZN7rocprim17ROCPRIM_400000_NS6detail17trampoline_kernelINS0_14default_configENS1_25partition_config_selectorILNS1_17partition_subalgoE8ElNS0_10empty_typeEbEEZZNS1_14partition_implILS5_8ELb0ES3_jPlPS6_PKS6_NS0_5tupleIJS9_S6_EEENSD_IJSA_SA_EEENS0_18inequality_wrapperIZN2at6native12_GLOBAL__N_124unique_dim_cuda_templateIjEESt5tupleIJNSH_6TensorESM_SM_EERKSM_lbbbEUlllE0_EEPmJS6_EEE10hipError_tPvRmT3_T4_T5_T6_T7_T9_mT8_P12ihipStream_tbDpT10_ENKUlT_T0_E_clISt17integral_constantIbLb0EES1C_EEDaS17_S18_EUlS17_E_NS1_11comp_targetILNS1_3genE8ELNS1_11target_archE1030ELNS1_3gpuE2ELNS1_3repE0EEENS1_30default_config_static_selectorELNS0_4arch9wavefront6targetE0EEEvT1_
                                        ; -- End function
	.set _ZN7rocprim17ROCPRIM_400000_NS6detail17trampoline_kernelINS0_14default_configENS1_25partition_config_selectorILNS1_17partition_subalgoE8ElNS0_10empty_typeEbEEZZNS1_14partition_implILS5_8ELb0ES3_jPlPS6_PKS6_NS0_5tupleIJS9_S6_EEENSD_IJSA_SA_EEENS0_18inequality_wrapperIZN2at6native12_GLOBAL__N_124unique_dim_cuda_templateIjEESt5tupleIJNSH_6TensorESM_SM_EERKSM_lbbbEUlllE0_EEPmJS6_EEE10hipError_tPvRmT3_T4_T5_T6_T7_T9_mT8_P12ihipStream_tbDpT10_ENKUlT_T0_E_clISt17integral_constantIbLb0EES1C_EEDaS17_S18_EUlS17_E_NS1_11comp_targetILNS1_3genE8ELNS1_11target_archE1030ELNS1_3gpuE2ELNS1_3repE0EEENS1_30default_config_static_selectorELNS0_4arch9wavefront6targetE0EEEvT1_.num_vgpr, 0
	.set _ZN7rocprim17ROCPRIM_400000_NS6detail17trampoline_kernelINS0_14default_configENS1_25partition_config_selectorILNS1_17partition_subalgoE8ElNS0_10empty_typeEbEEZZNS1_14partition_implILS5_8ELb0ES3_jPlPS6_PKS6_NS0_5tupleIJS9_S6_EEENSD_IJSA_SA_EEENS0_18inequality_wrapperIZN2at6native12_GLOBAL__N_124unique_dim_cuda_templateIjEESt5tupleIJNSH_6TensorESM_SM_EERKSM_lbbbEUlllE0_EEPmJS6_EEE10hipError_tPvRmT3_T4_T5_T6_T7_T9_mT8_P12ihipStream_tbDpT10_ENKUlT_T0_E_clISt17integral_constantIbLb0EES1C_EEDaS17_S18_EUlS17_E_NS1_11comp_targetILNS1_3genE8ELNS1_11target_archE1030ELNS1_3gpuE2ELNS1_3repE0EEENS1_30default_config_static_selectorELNS0_4arch9wavefront6targetE0EEEvT1_.num_agpr, 0
	.set _ZN7rocprim17ROCPRIM_400000_NS6detail17trampoline_kernelINS0_14default_configENS1_25partition_config_selectorILNS1_17partition_subalgoE8ElNS0_10empty_typeEbEEZZNS1_14partition_implILS5_8ELb0ES3_jPlPS6_PKS6_NS0_5tupleIJS9_S6_EEENSD_IJSA_SA_EEENS0_18inequality_wrapperIZN2at6native12_GLOBAL__N_124unique_dim_cuda_templateIjEESt5tupleIJNSH_6TensorESM_SM_EERKSM_lbbbEUlllE0_EEPmJS6_EEE10hipError_tPvRmT3_T4_T5_T6_T7_T9_mT8_P12ihipStream_tbDpT10_ENKUlT_T0_E_clISt17integral_constantIbLb0EES1C_EEDaS17_S18_EUlS17_E_NS1_11comp_targetILNS1_3genE8ELNS1_11target_archE1030ELNS1_3gpuE2ELNS1_3repE0EEENS1_30default_config_static_selectorELNS0_4arch9wavefront6targetE0EEEvT1_.numbered_sgpr, 0
	.set _ZN7rocprim17ROCPRIM_400000_NS6detail17trampoline_kernelINS0_14default_configENS1_25partition_config_selectorILNS1_17partition_subalgoE8ElNS0_10empty_typeEbEEZZNS1_14partition_implILS5_8ELb0ES3_jPlPS6_PKS6_NS0_5tupleIJS9_S6_EEENSD_IJSA_SA_EEENS0_18inequality_wrapperIZN2at6native12_GLOBAL__N_124unique_dim_cuda_templateIjEESt5tupleIJNSH_6TensorESM_SM_EERKSM_lbbbEUlllE0_EEPmJS6_EEE10hipError_tPvRmT3_T4_T5_T6_T7_T9_mT8_P12ihipStream_tbDpT10_ENKUlT_T0_E_clISt17integral_constantIbLb0EES1C_EEDaS17_S18_EUlS17_E_NS1_11comp_targetILNS1_3genE8ELNS1_11target_archE1030ELNS1_3gpuE2ELNS1_3repE0EEENS1_30default_config_static_selectorELNS0_4arch9wavefront6targetE0EEEvT1_.num_named_barrier, 0
	.set _ZN7rocprim17ROCPRIM_400000_NS6detail17trampoline_kernelINS0_14default_configENS1_25partition_config_selectorILNS1_17partition_subalgoE8ElNS0_10empty_typeEbEEZZNS1_14partition_implILS5_8ELb0ES3_jPlPS6_PKS6_NS0_5tupleIJS9_S6_EEENSD_IJSA_SA_EEENS0_18inequality_wrapperIZN2at6native12_GLOBAL__N_124unique_dim_cuda_templateIjEESt5tupleIJNSH_6TensorESM_SM_EERKSM_lbbbEUlllE0_EEPmJS6_EEE10hipError_tPvRmT3_T4_T5_T6_T7_T9_mT8_P12ihipStream_tbDpT10_ENKUlT_T0_E_clISt17integral_constantIbLb0EES1C_EEDaS17_S18_EUlS17_E_NS1_11comp_targetILNS1_3genE8ELNS1_11target_archE1030ELNS1_3gpuE2ELNS1_3repE0EEENS1_30default_config_static_selectorELNS0_4arch9wavefront6targetE0EEEvT1_.private_seg_size, 0
	.set _ZN7rocprim17ROCPRIM_400000_NS6detail17trampoline_kernelINS0_14default_configENS1_25partition_config_selectorILNS1_17partition_subalgoE8ElNS0_10empty_typeEbEEZZNS1_14partition_implILS5_8ELb0ES3_jPlPS6_PKS6_NS0_5tupleIJS9_S6_EEENSD_IJSA_SA_EEENS0_18inequality_wrapperIZN2at6native12_GLOBAL__N_124unique_dim_cuda_templateIjEESt5tupleIJNSH_6TensorESM_SM_EERKSM_lbbbEUlllE0_EEPmJS6_EEE10hipError_tPvRmT3_T4_T5_T6_T7_T9_mT8_P12ihipStream_tbDpT10_ENKUlT_T0_E_clISt17integral_constantIbLb0EES1C_EEDaS17_S18_EUlS17_E_NS1_11comp_targetILNS1_3genE8ELNS1_11target_archE1030ELNS1_3gpuE2ELNS1_3repE0EEENS1_30default_config_static_selectorELNS0_4arch9wavefront6targetE0EEEvT1_.uses_vcc, 0
	.set _ZN7rocprim17ROCPRIM_400000_NS6detail17trampoline_kernelINS0_14default_configENS1_25partition_config_selectorILNS1_17partition_subalgoE8ElNS0_10empty_typeEbEEZZNS1_14partition_implILS5_8ELb0ES3_jPlPS6_PKS6_NS0_5tupleIJS9_S6_EEENSD_IJSA_SA_EEENS0_18inequality_wrapperIZN2at6native12_GLOBAL__N_124unique_dim_cuda_templateIjEESt5tupleIJNSH_6TensorESM_SM_EERKSM_lbbbEUlllE0_EEPmJS6_EEE10hipError_tPvRmT3_T4_T5_T6_T7_T9_mT8_P12ihipStream_tbDpT10_ENKUlT_T0_E_clISt17integral_constantIbLb0EES1C_EEDaS17_S18_EUlS17_E_NS1_11comp_targetILNS1_3genE8ELNS1_11target_archE1030ELNS1_3gpuE2ELNS1_3repE0EEENS1_30default_config_static_selectorELNS0_4arch9wavefront6targetE0EEEvT1_.uses_flat_scratch, 0
	.set _ZN7rocprim17ROCPRIM_400000_NS6detail17trampoline_kernelINS0_14default_configENS1_25partition_config_selectorILNS1_17partition_subalgoE8ElNS0_10empty_typeEbEEZZNS1_14partition_implILS5_8ELb0ES3_jPlPS6_PKS6_NS0_5tupleIJS9_S6_EEENSD_IJSA_SA_EEENS0_18inequality_wrapperIZN2at6native12_GLOBAL__N_124unique_dim_cuda_templateIjEESt5tupleIJNSH_6TensorESM_SM_EERKSM_lbbbEUlllE0_EEPmJS6_EEE10hipError_tPvRmT3_T4_T5_T6_T7_T9_mT8_P12ihipStream_tbDpT10_ENKUlT_T0_E_clISt17integral_constantIbLb0EES1C_EEDaS17_S18_EUlS17_E_NS1_11comp_targetILNS1_3genE8ELNS1_11target_archE1030ELNS1_3gpuE2ELNS1_3repE0EEENS1_30default_config_static_selectorELNS0_4arch9wavefront6targetE0EEEvT1_.has_dyn_sized_stack, 0
	.set _ZN7rocprim17ROCPRIM_400000_NS6detail17trampoline_kernelINS0_14default_configENS1_25partition_config_selectorILNS1_17partition_subalgoE8ElNS0_10empty_typeEbEEZZNS1_14partition_implILS5_8ELb0ES3_jPlPS6_PKS6_NS0_5tupleIJS9_S6_EEENSD_IJSA_SA_EEENS0_18inequality_wrapperIZN2at6native12_GLOBAL__N_124unique_dim_cuda_templateIjEESt5tupleIJNSH_6TensorESM_SM_EERKSM_lbbbEUlllE0_EEPmJS6_EEE10hipError_tPvRmT3_T4_T5_T6_T7_T9_mT8_P12ihipStream_tbDpT10_ENKUlT_T0_E_clISt17integral_constantIbLb0EES1C_EEDaS17_S18_EUlS17_E_NS1_11comp_targetILNS1_3genE8ELNS1_11target_archE1030ELNS1_3gpuE2ELNS1_3repE0EEENS1_30default_config_static_selectorELNS0_4arch9wavefront6targetE0EEEvT1_.has_recursion, 0
	.set _ZN7rocprim17ROCPRIM_400000_NS6detail17trampoline_kernelINS0_14default_configENS1_25partition_config_selectorILNS1_17partition_subalgoE8ElNS0_10empty_typeEbEEZZNS1_14partition_implILS5_8ELb0ES3_jPlPS6_PKS6_NS0_5tupleIJS9_S6_EEENSD_IJSA_SA_EEENS0_18inequality_wrapperIZN2at6native12_GLOBAL__N_124unique_dim_cuda_templateIjEESt5tupleIJNSH_6TensorESM_SM_EERKSM_lbbbEUlllE0_EEPmJS6_EEE10hipError_tPvRmT3_T4_T5_T6_T7_T9_mT8_P12ihipStream_tbDpT10_ENKUlT_T0_E_clISt17integral_constantIbLb0EES1C_EEDaS17_S18_EUlS17_E_NS1_11comp_targetILNS1_3genE8ELNS1_11target_archE1030ELNS1_3gpuE2ELNS1_3repE0EEENS1_30default_config_static_selectorELNS0_4arch9wavefront6targetE0EEEvT1_.has_indirect_call, 0
	.section	.AMDGPU.csdata,"",@progbits
; Kernel info:
; codeLenInByte = 0
; TotalNumSgprs: 0
; NumVgprs: 0
; ScratchSize: 0
; MemoryBound: 0
; FloatMode: 240
; IeeeMode: 1
; LDSByteSize: 0 bytes/workgroup (compile time only)
; SGPRBlocks: 0
; VGPRBlocks: 0
; NumSGPRsForWavesPerEU: 1
; NumVGPRsForWavesPerEU: 1
; NamedBarCnt: 0
; Occupancy: 16
; WaveLimiterHint : 0
; COMPUTE_PGM_RSRC2:SCRATCH_EN: 0
; COMPUTE_PGM_RSRC2:USER_SGPR: 2
; COMPUTE_PGM_RSRC2:TRAP_HANDLER: 0
; COMPUTE_PGM_RSRC2:TGID_X_EN: 1
; COMPUTE_PGM_RSRC2:TGID_Y_EN: 0
; COMPUTE_PGM_RSRC2:TGID_Z_EN: 0
; COMPUTE_PGM_RSRC2:TIDIG_COMP_CNT: 0
	.section	.text._ZN7rocprim17ROCPRIM_400000_NS6detail17trampoline_kernelINS0_14default_configENS1_25partition_config_selectorILNS1_17partition_subalgoE8ElNS0_10empty_typeEbEEZZNS1_14partition_implILS5_8ELb0ES3_jPlPS6_PKS6_NS0_5tupleIJS9_S6_EEENSD_IJSA_SA_EEENS0_18inequality_wrapperIZN2at6native12_GLOBAL__N_124unique_dim_cuda_templateIjEESt5tupleIJNSH_6TensorESM_SM_EERKSM_lbbbEUlllE0_EEPmJS6_EEE10hipError_tPvRmT3_T4_T5_T6_T7_T9_mT8_P12ihipStream_tbDpT10_ENKUlT_T0_E_clISt17integral_constantIbLb1EES1C_EEDaS17_S18_EUlS17_E_NS1_11comp_targetILNS1_3genE0ELNS1_11target_archE4294967295ELNS1_3gpuE0ELNS1_3repE0EEENS1_30default_config_static_selectorELNS0_4arch9wavefront6targetE0EEEvT1_,"axG",@progbits,_ZN7rocprim17ROCPRIM_400000_NS6detail17trampoline_kernelINS0_14default_configENS1_25partition_config_selectorILNS1_17partition_subalgoE8ElNS0_10empty_typeEbEEZZNS1_14partition_implILS5_8ELb0ES3_jPlPS6_PKS6_NS0_5tupleIJS9_S6_EEENSD_IJSA_SA_EEENS0_18inequality_wrapperIZN2at6native12_GLOBAL__N_124unique_dim_cuda_templateIjEESt5tupleIJNSH_6TensorESM_SM_EERKSM_lbbbEUlllE0_EEPmJS6_EEE10hipError_tPvRmT3_T4_T5_T6_T7_T9_mT8_P12ihipStream_tbDpT10_ENKUlT_T0_E_clISt17integral_constantIbLb1EES1C_EEDaS17_S18_EUlS17_E_NS1_11comp_targetILNS1_3genE0ELNS1_11target_archE4294967295ELNS1_3gpuE0ELNS1_3repE0EEENS1_30default_config_static_selectorELNS0_4arch9wavefront6targetE0EEEvT1_,comdat
	.globl	_ZN7rocprim17ROCPRIM_400000_NS6detail17trampoline_kernelINS0_14default_configENS1_25partition_config_selectorILNS1_17partition_subalgoE8ElNS0_10empty_typeEbEEZZNS1_14partition_implILS5_8ELb0ES3_jPlPS6_PKS6_NS0_5tupleIJS9_S6_EEENSD_IJSA_SA_EEENS0_18inequality_wrapperIZN2at6native12_GLOBAL__N_124unique_dim_cuda_templateIjEESt5tupleIJNSH_6TensorESM_SM_EERKSM_lbbbEUlllE0_EEPmJS6_EEE10hipError_tPvRmT3_T4_T5_T6_T7_T9_mT8_P12ihipStream_tbDpT10_ENKUlT_T0_E_clISt17integral_constantIbLb1EES1C_EEDaS17_S18_EUlS17_E_NS1_11comp_targetILNS1_3genE0ELNS1_11target_archE4294967295ELNS1_3gpuE0ELNS1_3repE0EEENS1_30default_config_static_selectorELNS0_4arch9wavefront6targetE0EEEvT1_ ; -- Begin function _ZN7rocprim17ROCPRIM_400000_NS6detail17trampoline_kernelINS0_14default_configENS1_25partition_config_selectorILNS1_17partition_subalgoE8ElNS0_10empty_typeEbEEZZNS1_14partition_implILS5_8ELb0ES3_jPlPS6_PKS6_NS0_5tupleIJS9_S6_EEENSD_IJSA_SA_EEENS0_18inequality_wrapperIZN2at6native12_GLOBAL__N_124unique_dim_cuda_templateIjEESt5tupleIJNSH_6TensorESM_SM_EERKSM_lbbbEUlllE0_EEPmJS6_EEE10hipError_tPvRmT3_T4_T5_T6_T7_T9_mT8_P12ihipStream_tbDpT10_ENKUlT_T0_E_clISt17integral_constantIbLb1EES1C_EEDaS17_S18_EUlS17_E_NS1_11comp_targetILNS1_3genE0ELNS1_11target_archE4294967295ELNS1_3gpuE0ELNS1_3repE0EEENS1_30default_config_static_selectorELNS0_4arch9wavefront6targetE0EEEvT1_
	.p2align	8
	.type	_ZN7rocprim17ROCPRIM_400000_NS6detail17trampoline_kernelINS0_14default_configENS1_25partition_config_selectorILNS1_17partition_subalgoE8ElNS0_10empty_typeEbEEZZNS1_14partition_implILS5_8ELb0ES3_jPlPS6_PKS6_NS0_5tupleIJS9_S6_EEENSD_IJSA_SA_EEENS0_18inequality_wrapperIZN2at6native12_GLOBAL__N_124unique_dim_cuda_templateIjEESt5tupleIJNSH_6TensorESM_SM_EERKSM_lbbbEUlllE0_EEPmJS6_EEE10hipError_tPvRmT3_T4_T5_T6_T7_T9_mT8_P12ihipStream_tbDpT10_ENKUlT_T0_E_clISt17integral_constantIbLb1EES1C_EEDaS17_S18_EUlS17_E_NS1_11comp_targetILNS1_3genE0ELNS1_11target_archE4294967295ELNS1_3gpuE0ELNS1_3repE0EEENS1_30default_config_static_selectorELNS0_4arch9wavefront6targetE0EEEvT1_,@function
_ZN7rocprim17ROCPRIM_400000_NS6detail17trampoline_kernelINS0_14default_configENS1_25partition_config_selectorILNS1_17partition_subalgoE8ElNS0_10empty_typeEbEEZZNS1_14partition_implILS5_8ELb0ES3_jPlPS6_PKS6_NS0_5tupleIJS9_S6_EEENSD_IJSA_SA_EEENS0_18inequality_wrapperIZN2at6native12_GLOBAL__N_124unique_dim_cuda_templateIjEESt5tupleIJNSH_6TensorESM_SM_EERKSM_lbbbEUlllE0_EEPmJS6_EEE10hipError_tPvRmT3_T4_T5_T6_T7_T9_mT8_P12ihipStream_tbDpT10_ENKUlT_T0_E_clISt17integral_constantIbLb1EES1C_EEDaS17_S18_EUlS17_E_NS1_11comp_targetILNS1_3genE0ELNS1_11target_archE4294967295ELNS1_3gpuE0ELNS1_3repE0EEENS1_30default_config_static_selectorELNS0_4arch9wavefront6targetE0EEEvT1_: ; @_ZN7rocprim17ROCPRIM_400000_NS6detail17trampoline_kernelINS0_14default_configENS1_25partition_config_selectorILNS1_17partition_subalgoE8ElNS0_10empty_typeEbEEZZNS1_14partition_implILS5_8ELb0ES3_jPlPS6_PKS6_NS0_5tupleIJS9_S6_EEENSD_IJSA_SA_EEENS0_18inequality_wrapperIZN2at6native12_GLOBAL__N_124unique_dim_cuda_templateIjEESt5tupleIJNSH_6TensorESM_SM_EERKSM_lbbbEUlllE0_EEPmJS6_EEE10hipError_tPvRmT3_T4_T5_T6_T7_T9_mT8_P12ihipStream_tbDpT10_ENKUlT_T0_E_clISt17integral_constantIbLb1EES1C_EEDaS17_S18_EUlS17_E_NS1_11comp_targetILNS1_3genE0ELNS1_11target_archE4294967295ELNS1_3gpuE0ELNS1_3repE0EEENS1_30default_config_static_selectorELNS0_4arch9wavefront6targetE0EEEvT1_
; %bb.0:
	s_endpgm
	.section	.rodata,"a",@progbits
	.p2align	6, 0x0
	.amdhsa_kernel _ZN7rocprim17ROCPRIM_400000_NS6detail17trampoline_kernelINS0_14default_configENS1_25partition_config_selectorILNS1_17partition_subalgoE8ElNS0_10empty_typeEbEEZZNS1_14partition_implILS5_8ELb0ES3_jPlPS6_PKS6_NS0_5tupleIJS9_S6_EEENSD_IJSA_SA_EEENS0_18inequality_wrapperIZN2at6native12_GLOBAL__N_124unique_dim_cuda_templateIjEESt5tupleIJNSH_6TensorESM_SM_EERKSM_lbbbEUlllE0_EEPmJS6_EEE10hipError_tPvRmT3_T4_T5_T6_T7_T9_mT8_P12ihipStream_tbDpT10_ENKUlT_T0_E_clISt17integral_constantIbLb1EES1C_EEDaS17_S18_EUlS17_E_NS1_11comp_targetILNS1_3genE0ELNS1_11target_archE4294967295ELNS1_3gpuE0ELNS1_3repE0EEENS1_30default_config_static_selectorELNS0_4arch9wavefront6targetE0EEEvT1_
		.amdhsa_group_segment_fixed_size 0
		.amdhsa_private_segment_fixed_size 0
		.amdhsa_kernarg_size 136
		.amdhsa_user_sgpr_count 2
		.amdhsa_user_sgpr_dispatch_ptr 0
		.amdhsa_user_sgpr_queue_ptr 0
		.amdhsa_user_sgpr_kernarg_segment_ptr 1
		.amdhsa_user_sgpr_dispatch_id 0
		.amdhsa_user_sgpr_kernarg_preload_length 0
		.amdhsa_user_sgpr_kernarg_preload_offset 0
		.amdhsa_user_sgpr_private_segment_size 0
		.amdhsa_wavefront_size32 1
		.amdhsa_uses_dynamic_stack 0
		.amdhsa_enable_private_segment 0
		.amdhsa_system_sgpr_workgroup_id_x 1
		.amdhsa_system_sgpr_workgroup_id_y 0
		.amdhsa_system_sgpr_workgroup_id_z 0
		.amdhsa_system_sgpr_workgroup_info 0
		.amdhsa_system_vgpr_workitem_id 0
		.amdhsa_next_free_vgpr 1
		.amdhsa_next_free_sgpr 1
		.amdhsa_named_barrier_count 0
		.amdhsa_reserve_vcc 0
		.amdhsa_float_round_mode_32 0
		.amdhsa_float_round_mode_16_64 0
		.amdhsa_float_denorm_mode_32 3
		.amdhsa_float_denorm_mode_16_64 3
		.amdhsa_fp16_overflow 0
		.amdhsa_memory_ordered 1
		.amdhsa_forward_progress 1
		.amdhsa_inst_pref_size 1
		.amdhsa_round_robin_scheduling 0
		.amdhsa_exception_fp_ieee_invalid_op 0
		.amdhsa_exception_fp_denorm_src 0
		.amdhsa_exception_fp_ieee_div_zero 0
		.amdhsa_exception_fp_ieee_overflow 0
		.amdhsa_exception_fp_ieee_underflow 0
		.amdhsa_exception_fp_ieee_inexact 0
		.amdhsa_exception_int_div_zero 0
	.end_amdhsa_kernel
	.section	.text._ZN7rocprim17ROCPRIM_400000_NS6detail17trampoline_kernelINS0_14default_configENS1_25partition_config_selectorILNS1_17partition_subalgoE8ElNS0_10empty_typeEbEEZZNS1_14partition_implILS5_8ELb0ES3_jPlPS6_PKS6_NS0_5tupleIJS9_S6_EEENSD_IJSA_SA_EEENS0_18inequality_wrapperIZN2at6native12_GLOBAL__N_124unique_dim_cuda_templateIjEESt5tupleIJNSH_6TensorESM_SM_EERKSM_lbbbEUlllE0_EEPmJS6_EEE10hipError_tPvRmT3_T4_T5_T6_T7_T9_mT8_P12ihipStream_tbDpT10_ENKUlT_T0_E_clISt17integral_constantIbLb1EES1C_EEDaS17_S18_EUlS17_E_NS1_11comp_targetILNS1_3genE0ELNS1_11target_archE4294967295ELNS1_3gpuE0ELNS1_3repE0EEENS1_30default_config_static_selectorELNS0_4arch9wavefront6targetE0EEEvT1_,"axG",@progbits,_ZN7rocprim17ROCPRIM_400000_NS6detail17trampoline_kernelINS0_14default_configENS1_25partition_config_selectorILNS1_17partition_subalgoE8ElNS0_10empty_typeEbEEZZNS1_14partition_implILS5_8ELb0ES3_jPlPS6_PKS6_NS0_5tupleIJS9_S6_EEENSD_IJSA_SA_EEENS0_18inequality_wrapperIZN2at6native12_GLOBAL__N_124unique_dim_cuda_templateIjEESt5tupleIJNSH_6TensorESM_SM_EERKSM_lbbbEUlllE0_EEPmJS6_EEE10hipError_tPvRmT3_T4_T5_T6_T7_T9_mT8_P12ihipStream_tbDpT10_ENKUlT_T0_E_clISt17integral_constantIbLb1EES1C_EEDaS17_S18_EUlS17_E_NS1_11comp_targetILNS1_3genE0ELNS1_11target_archE4294967295ELNS1_3gpuE0ELNS1_3repE0EEENS1_30default_config_static_selectorELNS0_4arch9wavefront6targetE0EEEvT1_,comdat
.Lfunc_end1549:
	.size	_ZN7rocprim17ROCPRIM_400000_NS6detail17trampoline_kernelINS0_14default_configENS1_25partition_config_selectorILNS1_17partition_subalgoE8ElNS0_10empty_typeEbEEZZNS1_14partition_implILS5_8ELb0ES3_jPlPS6_PKS6_NS0_5tupleIJS9_S6_EEENSD_IJSA_SA_EEENS0_18inequality_wrapperIZN2at6native12_GLOBAL__N_124unique_dim_cuda_templateIjEESt5tupleIJNSH_6TensorESM_SM_EERKSM_lbbbEUlllE0_EEPmJS6_EEE10hipError_tPvRmT3_T4_T5_T6_T7_T9_mT8_P12ihipStream_tbDpT10_ENKUlT_T0_E_clISt17integral_constantIbLb1EES1C_EEDaS17_S18_EUlS17_E_NS1_11comp_targetILNS1_3genE0ELNS1_11target_archE4294967295ELNS1_3gpuE0ELNS1_3repE0EEENS1_30default_config_static_selectorELNS0_4arch9wavefront6targetE0EEEvT1_, .Lfunc_end1549-_ZN7rocprim17ROCPRIM_400000_NS6detail17trampoline_kernelINS0_14default_configENS1_25partition_config_selectorILNS1_17partition_subalgoE8ElNS0_10empty_typeEbEEZZNS1_14partition_implILS5_8ELb0ES3_jPlPS6_PKS6_NS0_5tupleIJS9_S6_EEENSD_IJSA_SA_EEENS0_18inequality_wrapperIZN2at6native12_GLOBAL__N_124unique_dim_cuda_templateIjEESt5tupleIJNSH_6TensorESM_SM_EERKSM_lbbbEUlllE0_EEPmJS6_EEE10hipError_tPvRmT3_T4_T5_T6_T7_T9_mT8_P12ihipStream_tbDpT10_ENKUlT_T0_E_clISt17integral_constantIbLb1EES1C_EEDaS17_S18_EUlS17_E_NS1_11comp_targetILNS1_3genE0ELNS1_11target_archE4294967295ELNS1_3gpuE0ELNS1_3repE0EEENS1_30default_config_static_selectorELNS0_4arch9wavefront6targetE0EEEvT1_
                                        ; -- End function
	.set _ZN7rocprim17ROCPRIM_400000_NS6detail17trampoline_kernelINS0_14default_configENS1_25partition_config_selectorILNS1_17partition_subalgoE8ElNS0_10empty_typeEbEEZZNS1_14partition_implILS5_8ELb0ES3_jPlPS6_PKS6_NS0_5tupleIJS9_S6_EEENSD_IJSA_SA_EEENS0_18inequality_wrapperIZN2at6native12_GLOBAL__N_124unique_dim_cuda_templateIjEESt5tupleIJNSH_6TensorESM_SM_EERKSM_lbbbEUlllE0_EEPmJS6_EEE10hipError_tPvRmT3_T4_T5_T6_T7_T9_mT8_P12ihipStream_tbDpT10_ENKUlT_T0_E_clISt17integral_constantIbLb1EES1C_EEDaS17_S18_EUlS17_E_NS1_11comp_targetILNS1_3genE0ELNS1_11target_archE4294967295ELNS1_3gpuE0ELNS1_3repE0EEENS1_30default_config_static_selectorELNS0_4arch9wavefront6targetE0EEEvT1_.num_vgpr, 0
	.set _ZN7rocprim17ROCPRIM_400000_NS6detail17trampoline_kernelINS0_14default_configENS1_25partition_config_selectorILNS1_17partition_subalgoE8ElNS0_10empty_typeEbEEZZNS1_14partition_implILS5_8ELb0ES3_jPlPS6_PKS6_NS0_5tupleIJS9_S6_EEENSD_IJSA_SA_EEENS0_18inequality_wrapperIZN2at6native12_GLOBAL__N_124unique_dim_cuda_templateIjEESt5tupleIJNSH_6TensorESM_SM_EERKSM_lbbbEUlllE0_EEPmJS6_EEE10hipError_tPvRmT3_T4_T5_T6_T7_T9_mT8_P12ihipStream_tbDpT10_ENKUlT_T0_E_clISt17integral_constantIbLb1EES1C_EEDaS17_S18_EUlS17_E_NS1_11comp_targetILNS1_3genE0ELNS1_11target_archE4294967295ELNS1_3gpuE0ELNS1_3repE0EEENS1_30default_config_static_selectorELNS0_4arch9wavefront6targetE0EEEvT1_.num_agpr, 0
	.set _ZN7rocprim17ROCPRIM_400000_NS6detail17trampoline_kernelINS0_14default_configENS1_25partition_config_selectorILNS1_17partition_subalgoE8ElNS0_10empty_typeEbEEZZNS1_14partition_implILS5_8ELb0ES3_jPlPS6_PKS6_NS0_5tupleIJS9_S6_EEENSD_IJSA_SA_EEENS0_18inequality_wrapperIZN2at6native12_GLOBAL__N_124unique_dim_cuda_templateIjEESt5tupleIJNSH_6TensorESM_SM_EERKSM_lbbbEUlllE0_EEPmJS6_EEE10hipError_tPvRmT3_T4_T5_T6_T7_T9_mT8_P12ihipStream_tbDpT10_ENKUlT_T0_E_clISt17integral_constantIbLb1EES1C_EEDaS17_S18_EUlS17_E_NS1_11comp_targetILNS1_3genE0ELNS1_11target_archE4294967295ELNS1_3gpuE0ELNS1_3repE0EEENS1_30default_config_static_selectorELNS0_4arch9wavefront6targetE0EEEvT1_.numbered_sgpr, 0
	.set _ZN7rocprim17ROCPRIM_400000_NS6detail17trampoline_kernelINS0_14default_configENS1_25partition_config_selectorILNS1_17partition_subalgoE8ElNS0_10empty_typeEbEEZZNS1_14partition_implILS5_8ELb0ES3_jPlPS6_PKS6_NS0_5tupleIJS9_S6_EEENSD_IJSA_SA_EEENS0_18inequality_wrapperIZN2at6native12_GLOBAL__N_124unique_dim_cuda_templateIjEESt5tupleIJNSH_6TensorESM_SM_EERKSM_lbbbEUlllE0_EEPmJS6_EEE10hipError_tPvRmT3_T4_T5_T6_T7_T9_mT8_P12ihipStream_tbDpT10_ENKUlT_T0_E_clISt17integral_constantIbLb1EES1C_EEDaS17_S18_EUlS17_E_NS1_11comp_targetILNS1_3genE0ELNS1_11target_archE4294967295ELNS1_3gpuE0ELNS1_3repE0EEENS1_30default_config_static_selectorELNS0_4arch9wavefront6targetE0EEEvT1_.num_named_barrier, 0
	.set _ZN7rocprim17ROCPRIM_400000_NS6detail17trampoline_kernelINS0_14default_configENS1_25partition_config_selectorILNS1_17partition_subalgoE8ElNS0_10empty_typeEbEEZZNS1_14partition_implILS5_8ELb0ES3_jPlPS6_PKS6_NS0_5tupleIJS9_S6_EEENSD_IJSA_SA_EEENS0_18inequality_wrapperIZN2at6native12_GLOBAL__N_124unique_dim_cuda_templateIjEESt5tupleIJNSH_6TensorESM_SM_EERKSM_lbbbEUlllE0_EEPmJS6_EEE10hipError_tPvRmT3_T4_T5_T6_T7_T9_mT8_P12ihipStream_tbDpT10_ENKUlT_T0_E_clISt17integral_constantIbLb1EES1C_EEDaS17_S18_EUlS17_E_NS1_11comp_targetILNS1_3genE0ELNS1_11target_archE4294967295ELNS1_3gpuE0ELNS1_3repE0EEENS1_30default_config_static_selectorELNS0_4arch9wavefront6targetE0EEEvT1_.private_seg_size, 0
	.set _ZN7rocprim17ROCPRIM_400000_NS6detail17trampoline_kernelINS0_14default_configENS1_25partition_config_selectorILNS1_17partition_subalgoE8ElNS0_10empty_typeEbEEZZNS1_14partition_implILS5_8ELb0ES3_jPlPS6_PKS6_NS0_5tupleIJS9_S6_EEENSD_IJSA_SA_EEENS0_18inequality_wrapperIZN2at6native12_GLOBAL__N_124unique_dim_cuda_templateIjEESt5tupleIJNSH_6TensorESM_SM_EERKSM_lbbbEUlllE0_EEPmJS6_EEE10hipError_tPvRmT3_T4_T5_T6_T7_T9_mT8_P12ihipStream_tbDpT10_ENKUlT_T0_E_clISt17integral_constantIbLb1EES1C_EEDaS17_S18_EUlS17_E_NS1_11comp_targetILNS1_3genE0ELNS1_11target_archE4294967295ELNS1_3gpuE0ELNS1_3repE0EEENS1_30default_config_static_selectorELNS0_4arch9wavefront6targetE0EEEvT1_.uses_vcc, 0
	.set _ZN7rocprim17ROCPRIM_400000_NS6detail17trampoline_kernelINS0_14default_configENS1_25partition_config_selectorILNS1_17partition_subalgoE8ElNS0_10empty_typeEbEEZZNS1_14partition_implILS5_8ELb0ES3_jPlPS6_PKS6_NS0_5tupleIJS9_S6_EEENSD_IJSA_SA_EEENS0_18inequality_wrapperIZN2at6native12_GLOBAL__N_124unique_dim_cuda_templateIjEESt5tupleIJNSH_6TensorESM_SM_EERKSM_lbbbEUlllE0_EEPmJS6_EEE10hipError_tPvRmT3_T4_T5_T6_T7_T9_mT8_P12ihipStream_tbDpT10_ENKUlT_T0_E_clISt17integral_constantIbLb1EES1C_EEDaS17_S18_EUlS17_E_NS1_11comp_targetILNS1_3genE0ELNS1_11target_archE4294967295ELNS1_3gpuE0ELNS1_3repE0EEENS1_30default_config_static_selectorELNS0_4arch9wavefront6targetE0EEEvT1_.uses_flat_scratch, 0
	.set _ZN7rocprim17ROCPRIM_400000_NS6detail17trampoline_kernelINS0_14default_configENS1_25partition_config_selectorILNS1_17partition_subalgoE8ElNS0_10empty_typeEbEEZZNS1_14partition_implILS5_8ELb0ES3_jPlPS6_PKS6_NS0_5tupleIJS9_S6_EEENSD_IJSA_SA_EEENS0_18inequality_wrapperIZN2at6native12_GLOBAL__N_124unique_dim_cuda_templateIjEESt5tupleIJNSH_6TensorESM_SM_EERKSM_lbbbEUlllE0_EEPmJS6_EEE10hipError_tPvRmT3_T4_T5_T6_T7_T9_mT8_P12ihipStream_tbDpT10_ENKUlT_T0_E_clISt17integral_constantIbLb1EES1C_EEDaS17_S18_EUlS17_E_NS1_11comp_targetILNS1_3genE0ELNS1_11target_archE4294967295ELNS1_3gpuE0ELNS1_3repE0EEENS1_30default_config_static_selectorELNS0_4arch9wavefront6targetE0EEEvT1_.has_dyn_sized_stack, 0
	.set _ZN7rocprim17ROCPRIM_400000_NS6detail17trampoline_kernelINS0_14default_configENS1_25partition_config_selectorILNS1_17partition_subalgoE8ElNS0_10empty_typeEbEEZZNS1_14partition_implILS5_8ELb0ES3_jPlPS6_PKS6_NS0_5tupleIJS9_S6_EEENSD_IJSA_SA_EEENS0_18inequality_wrapperIZN2at6native12_GLOBAL__N_124unique_dim_cuda_templateIjEESt5tupleIJNSH_6TensorESM_SM_EERKSM_lbbbEUlllE0_EEPmJS6_EEE10hipError_tPvRmT3_T4_T5_T6_T7_T9_mT8_P12ihipStream_tbDpT10_ENKUlT_T0_E_clISt17integral_constantIbLb1EES1C_EEDaS17_S18_EUlS17_E_NS1_11comp_targetILNS1_3genE0ELNS1_11target_archE4294967295ELNS1_3gpuE0ELNS1_3repE0EEENS1_30default_config_static_selectorELNS0_4arch9wavefront6targetE0EEEvT1_.has_recursion, 0
	.set _ZN7rocprim17ROCPRIM_400000_NS6detail17trampoline_kernelINS0_14default_configENS1_25partition_config_selectorILNS1_17partition_subalgoE8ElNS0_10empty_typeEbEEZZNS1_14partition_implILS5_8ELb0ES3_jPlPS6_PKS6_NS0_5tupleIJS9_S6_EEENSD_IJSA_SA_EEENS0_18inequality_wrapperIZN2at6native12_GLOBAL__N_124unique_dim_cuda_templateIjEESt5tupleIJNSH_6TensorESM_SM_EERKSM_lbbbEUlllE0_EEPmJS6_EEE10hipError_tPvRmT3_T4_T5_T6_T7_T9_mT8_P12ihipStream_tbDpT10_ENKUlT_T0_E_clISt17integral_constantIbLb1EES1C_EEDaS17_S18_EUlS17_E_NS1_11comp_targetILNS1_3genE0ELNS1_11target_archE4294967295ELNS1_3gpuE0ELNS1_3repE0EEENS1_30default_config_static_selectorELNS0_4arch9wavefront6targetE0EEEvT1_.has_indirect_call, 0
	.section	.AMDGPU.csdata,"",@progbits
; Kernel info:
; codeLenInByte = 4
; TotalNumSgprs: 0
; NumVgprs: 0
; ScratchSize: 0
; MemoryBound: 0
; FloatMode: 240
; IeeeMode: 1
; LDSByteSize: 0 bytes/workgroup (compile time only)
; SGPRBlocks: 0
; VGPRBlocks: 0
; NumSGPRsForWavesPerEU: 1
; NumVGPRsForWavesPerEU: 1
; NamedBarCnt: 0
; Occupancy: 16
; WaveLimiterHint : 0
; COMPUTE_PGM_RSRC2:SCRATCH_EN: 0
; COMPUTE_PGM_RSRC2:USER_SGPR: 2
; COMPUTE_PGM_RSRC2:TRAP_HANDLER: 0
; COMPUTE_PGM_RSRC2:TGID_X_EN: 1
; COMPUTE_PGM_RSRC2:TGID_Y_EN: 0
; COMPUTE_PGM_RSRC2:TGID_Z_EN: 0
; COMPUTE_PGM_RSRC2:TIDIG_COMP_CNT: 0
	.section	.text._ZN7rocprim17ROCPRIM_400000_NS6detail17trampoline_kernelINS0_14default_configENS1_25partition_config_selectorILNS1_17partition_subalgoE8ElNS0_10empty_typeEbEEZZNS1_14partition_implILS5_8ELb0ES3_jPlPS6_PKS6_NS0_5tupleIJS9_S6_EEENSD_IJSA_SA_EEENS0_18inequality_wrapperIZN2at6native12_GLOBAL__N_124unique_dim_cuda_templateIjEESt5tupleIJNSH_6TensorESM_SM_EERKSM_lbbbEUlllE0_EEPmJS6_EEE10hipError_tPvRmT3_T4_T5_T6_T7_T9_mT8_P12ihipStream_tbDpT10_ENKUlT_T0_E_clISt17integral_constantIbLb1EES1C_EEDaS17_S18_EUlS17_E_NS1_11comp_targetILNS1_3genE5ELNS1_11target_archE942ELNS1_3gpuE9ELNS1_3repE0EEENS1_30default_config_static_selectorELNS0_4arch9wavefront6targetE0EEEvT1_,"axG",@progbits,_ZN7rocprim17ROCPRIM_400000_NS6detail17trampoline_kernelINS0_14default_configENS1_25partition_config_selectorILNS1_17partition_subalgoE8ElNS0_10empty_typeEbEEZZNS1_14partition_implILS5_8ELb0ES3_jPlPS6_PKS6_NS0_5tupleIJS9_S6_EEENSD_IJSA_SA_EEENS0_18inequality_wrapperIZN2at6native12_GLOBAL__N_124unique_dim_cuda_templateIjEESt5tupleIJNSH_6TensorESM_SM_EERKSM_lbbbEUlllE0_EEPmJS6_EEE10hipError_tPvRmT3_T4_T5_T6_T7_T9_mT8_P12ihipStream_tbDpT10_ENKUlT_T0_E_clISt17integral_constantIbLb1EES1C_EEDaS17_S18_EUlS17_E_NS1_11comp_targetILNS1_3genE5ELNS1_11target_archE942ELNS1_3gpuE9ELNS1_3repE0EEENS1_30default_config_static_selectorELNS0_4arch9wavefront6targetE0EEEvT1_,comdat
	.globl	_ZN7rocprim17ROCPRIM_400000_NS6detail17trampoline_kernelINS0_14default_configENS1_25partition_config_selectorILNS1_17partition_subalgoE8ElNS0_10empty_typeEbEEZZNS1_14partition_implILS5_8ELb0ES3_jPlPS6_PKS6_NS0_5tupleIJS9_S6_EEENSD_IJSA_SA_EEENS0_18inequality_wrapperIZN2at6native12_GLOBAL__N_124unique_dim_cuda_templateIjEESt5tupleIJNSH_6TensorESM_SM_EERKSM_lbbbEUlllE0_EEPmJS6_EEE10hipError_tPvRmT3_T4_T5_T6_T7_T9_mT8_P12ihipStream_tbDpT10_ENKUlT_T0_E_clISt17integral_constantIbLb1EES1C_EEDaS17_S18_EUlS17_E_NS1_11comp_targetILNS1_3genE5ELNS1_11target_archE942ELNS1_3gpuE9ELNS1_3repE0EEENS1_30default_config_static_selectorELNS0_4arch9wavefront6targetE0EEEvT1_ ; -- Begin function _ZN7rocprim17ROCPRIM_400000_NS6detail17trampoline_kernelINS0_14default_configENS1_25partition_config_selectorILNS1_17partition_subalgoE8ElNS0_10empty_typeEbEEZZNS1_14partition_implILS5_8ELb0ES3_jPlPS6_PKS6_NS0_5tupleIJS9_S6_EEENSD_IJSA_SA_EEENS0_18inequality_wrapperIZN2at6native12_GLOBAL__N_124unique_dim_cuda_templateIjEESt5tupleIJNSH_6TensorESM_SM_EERKSM_lbbbEUlllE0_EEPmJS6_EEE10hipError_tPvRmT3_T4_T5_T6_T7_T9_mT8_P12ihipStream_tbDpT10_ENKUlT_T0_E_clISt17integral_constantIbLb1EES1C_EEDaS17_S18_EUlS17_E_NS1_11comp_targetILNS1_3genE5ELNS1_11target_archE942ELNS1_3gpuE9ELNS1_3repE0EEENS1_30default_config_static_selectorELNS0_4arch9wavefront6targetE0EEEvT1_
	.p2align	8
	.type	_ZN7rocprim17ROCPRIM_400000_NS6detail17trampoline_kernelINS0_14default_configENS1_25partition_config_selectorILNS1_17partition_subalgoE8ElNS0_10empty_typeEbEEZZNS1_14partition_implILS5_8ELb0ES3_jPlPS6_PKS6_NS0_5tupleIJS9_S6_EEENSD_IJSA_SA_EEENS0_18inequality_wrapperIZN2at6native12_GLOBAL__N_124unique_dim_cuda_templateIjEESt5tupleIJNSH_6TensorESM_SM_EERKSM_lbbbEUlllE0_EEPmJS6_EEE10hipError_tPvRmT3_T4_T5_T6_T7_T9_mT8_P12ihipStream_tbDpT10_ENKUlT_T0_E_clISt17integral_constantIbLb1EES1C_EEDaS17_S18_EUlS17_E_NS1_11comp_targetILNS1_3genE5ELNS1_11target_archE942ELNS1_3gpuE9ELNS1_3repE0EEENS1_30default_config_static_selectorELNS0_4arch9wavefront6targetE0EEEvT1_,@function
_ZN7rocprim17ROCPRIM_400000_NS6detail17trampoline_kernelINS0_14default_configENS1_25partition_config_selectorILNS1_17partition_subalgoE8ElNS0_10empty_typeEbEEZZNS1_14partition_implILS5_8ELb0ES3_jPlPS6_PKS6_NS0_5tupleIJS9_S6_EEENSD_IJSA_SA_EEENS0_18inequality_wrapperIZN2at6native12_GLOBAL__N_124unique_dim_cuda_templateIjEESt5tupleIJNSH_6TensorESM_SM_EERKSM_lbbbEUlllE0_EEPmJS6_EEE10hipError_tPvRmT3_T4_T5_T6_T7_T9_mT8_P12ihipStream_tbDpT10_ENKUlT_T0_E_clISt17integral_constantIbLb1EES1C_EEDaS17_S18_EUlS17_E_NS1_11comp_targetILNS1_3genE5ELNS1_11target_archE942ELNS1_3gpuE9ELNS1_3repE0EEENS1_30default_config_static_selectorELNS0_4arch9wavefront6targetE0EEEvT1_: ; @_ZN7rocprim17ROCPRIM_400000_NS6detail17trampoline_kernelINS0_14default_configENS1_25partition_config_selectorILNS1_17partition_subalgoE8ElNS0_10empty_typeEbEEZZNS1_14partition_implILS5_8ELb0ES3_jPlPS6_PKS6_NS0_5tupleIJS9_S6_EEENSD_IJSA_SA_EEENS0_18inequality_wrapperIZN2at6native12_GLOBAL__N_124unique_dim_cuda_templateIjEESt5tupleIJNSH_6TensorESM_SM_EERKSM_lbbbEUlllE0_EEPmJS6_EEE10hipError_tPvRmT3_T4_T5_T6_T7_T9_mT8_P12ihipStream_tbDpT10_ENKUlT_T0_E_clISt17integral_constantIbLb1EES1C_EEDaS17_S18_EUlS17_E_NS1_11comp_targetILNS1_3genE5ELNS1_11target_archE942ELNS1_3gpuE9ELNS1_3repE0EEENS1_30default_config_static_selectorELNS0_4arch9wavefront6targetE0EEEvT1_
; %bb.0:
	.section	.rodata,"a",@progbits
	.p2align	6, 0x0
	.amdhsa_kernel _ZN7rocprim17ROCPRIM_400000_NS6detail17trampoline_kernelINS0_14default_configENS1_25partition_config_selectorILNS1_17partition_subalgoE8ElNS0_10empty_typeEbEEZZNS1_14partition_implILS5_8ELb0ES3_jPlPS6_PKS6_NS0_5tupleIJS9_S6_EEENSD_IJSA_SA_EEENS0_18inequality_wrapperIZN2at6native12_GLOBAL__N_124unique_dim_cuda_templateIjEESt5tupleIJNSH_6TensorESM_SM_EERKSM_lbbbEUlllE0_EEPmJS6_EEE10hipError_tPvRmT3_T4_T5_T6_T7_T9_mT8_P12ihipStream_tbDpT10_ENKUlT_T0_E_clISt17integral_constantIbLb1EES1C_EEDaS17_S18_EUlS17_E_NS1_11comp_targetILNS1_3genE5ELNS1_11target_archE942ELNS1_3gpuE9ELNS1_3repE0EEENS1_30default_config_static_selectorELNS0_4arch9wavefront6targetE0EEEvT1_
		.amdhsa_group_segment_fixed_size 0
		.amdhsa_private_segment_fixed_size 0
		.amdhsa_kernarg_size 136
		.amdhsa_user_sgpr_count 2
		.amdhsa_user_sgpr_dispatch_ptr 0
		.amdhsa_user_sgpr_queue_ptr 0
		.amdhsa_user_sgpr_kernarg_segment_ptr 1
		.amdhsa_user_sgpr_dispatch_id 0
		.amdhsa_user_sgpr_kernarg_preload_length 0
		.amdhsa_user_sgpr_kernarg_preload_offset 0
		.amdhsa_user_sgpr_private_segment_size 0
		.amdhsa_wavefront_size32 1
		.amdhsa_uses_dynamic_stack 0
		.amdhsa_enable_private_segment 0
		.amdhsa_system_sgpr_workgroup_id_x 1
		.amdhsa_system_sgpr_workgroup_id_y 0
		.amdhsa_system_sgpr_workgroup_id_z 0
		.amdhsa_system_sgpr_workgroup_info 0
		.amdhsa_system_vgpr_workitem_id 0
		.amdhsa_next_free_vgpr 1
		.amdhsa_next_free_sgpr 1
		.amdhsa_named_barrier_count 0
		.amdhsa_reserve_vcc 0
		.amdhsa_float_round_mode_32 0
		.amdhsa_float_round_mode_16_64 0
		.amdhsa_float_denorm_mode_32 3
		.amdhsa_float_denorm_mode_16_64 3
		.amdhsa_fp16_overflow 0
		.amdhsa_memory_ordered 1
		.amdhsa_forward_progress 1
		.amdhsa_inst_pref_size 0
		.amdhsa_round_robin_scheduling 0
		.amdhsa_exception_fp_ieee_invalid_op 0
		.amdhsa_exception_fp_denorm_src 0
		.amdhsa_exception_fp_ieee_div_zero 0
		.amdhsa_exception_fp_ieee_overflow 0
		.amdhsa_exception_fp_ieee_underflow 0
		.amdhsa_exception_fp_ieee_inexact 0
		.amdhsa_exception_int_div_zero 0
	.end_amdhsa_kernel
	.section	.text._ZN7rocprim17ROCPRIM_400000_NS6detail17trampoline_kernelINS0_14default_configENS1_25partition_config_selectorILNS1_17partition_subalgoE8ElNS0_10empty_typeEbEEZZNS1_14partition_implILS5_8ELb0ES3_jPlPS6_PKS6_NS0_5tupleIJS9_S6_EEENSD_IJSA_SA_EEENS0_18inequality_wrapperIZN2at6native12_GLOBAL__N_124unique_dim_cuda_templateIjEESt5tupleIJNSH_6TensorESM_SM_EERKSM_lbbbEUlllE0_EEPmJS6_EEE10hipError_tPvRmT3_T4_T5_T6_T7_T9_mT8_P12ihipStream_tbDpT10_ENKUlT_T0_E_clISt17integral_constantIbLb1EES1C_EEDaS17_S18_EUlS17_E_NS1_11comp_targetILNS1_3genE5ELNS1_11target_archE942ELNS1_3gpuE9ELNS1_3repE0EEENS1_30default_config_static_selectorELNS0_4arch9wavefront6targetE0EEEvT1_,"axG",@progbits,_ZN7rocprim17ROCPRIM_400000_NS6detail17trampoline_kernelINS0_14default_configENS1_25partition_config_selectorILNS1_17partition_subalgoE8ElNS0_10empty_typeEbEEZZNS1_14partition_implILS5_8ELb0ES3_jPlPS6_PKS6_NS0_5tupleIJS9_S6_EEENSD_IJSA_SA_EEENS0_18inequality_wrapperIZN2at6native12_GLOBAL__N_124unique_dim_cuda_templateIjEESt5tupleIJNSH_6TensorESM_SM_EERKSM_lbbbEUlllE0_EEPmJS6_EEE10hipError_tPvRmT3_T4_T5_T6_T7_T9_mT8_P12ihipStream_tbDpT10_ENKUlT_T0_E_clISt17integral_constantIbLb1EES1C_EEDaS17_S18_EUlS17_E_NS1_11comp_targetILNS1_3genE5ELNS1_11target_archE942ELNS1_3gpuE9ELNS1_3repE0EEENS1_30default_config_static_selectorELNS0_4arch9wavefront6targetE0EEEvT1_,comdat
.Lfunc_end1550:
	.size	_ZN7rocprim17ROCPRIM_400000_NS6detail17trampoline_kernelINS0_14default_configENS1_25partition_config_selectorILNS1_17partition_subalgoE8ElNS0_10empty_typeEbEEZZNS1_14partition_implILS5_8ELb0ES3_jPlPS6_PKS6_NS0_5tupleIJS9_S6_EEENSD_IJSA_SA_EEENS0_18inequality_wrapperIZN2at6native12_GLOBAL__N_124unique_dim_cuda_templateIjEESt5tupleIJNSH_6TensorESM_SM_EERKSM_lbbbEUlllE0_EEPmJS6_EEE10hipError_tPvRmT3_T4_T5_T6_T7_T9_mT8_P12ihipStream_tbDpT10_ENKUlT_T0_E_clISt17integral_constantIbLb1EES1C_EEDaS17_S18_EUlS17_E_NS1_11comp_targetILNS1_3genE5ELNS1_11target_archE942ELNS1_3gpuE9ELNS1_3repE0EEENS1_30default_config_static_selectorELNS0_4arch9wavefront6targetE0EEEvT1_, .Lfunc_end1550-_ZN7rocprim17ROCPRIM_400000_NS6detail17trampoline_kernelINS0_14default_configENS1_25partition_config_selectorILNS1_17partition_subalgoE8ElNS0_10empty_typeEbEEZZNS1_14partition_implILS5_8ELb0ES3_jPlPS6_PKS6_NS0_5tupleIJS9_S6_EEENSD_IJSA_SA_EEENS0_18inequality_wrapperIZN2at6native12_GLOBAL__N_124unique_dim_cuda_templateIjEESt5tupleIJNSH_6TensorESM_SM_EERKSM_lbbbEUlllE0_EEPmJS6_EEE10hipError_tPvRmT3_T4_T5_T6_T7_T9_mT8_P12ihipStream_tbDpT10_ENKUlT_T0_E_clISt17integral_constantIbLb1EES1C_EEDaS17_S18_EUlS17_E_NS1_11comp_targetILNS1_3genE5ELNS1_11target_archE942ELNS1_3gpuE9ELNS1_3repE0EEENS1_30default_config_static_selectorELNS0_4arch9wavefront6targetE0EEEvT1_
                                        ; -- End function
	.set _ZN7rocprim17ROCPRIM_400000_NS6detail17trampoline_kernelINS0_14default_configENS1_25partition_config_selectorILNS1_17partition_subalgoE8ElNS0_10empty_typeEbEEZZNS1_14partition_implILS5_8ELb0ES3_jPlPS6_PKS6_NS0_5tupleIJS9_S6_EEENSD_IJSA_SA_EEENS0_18inequality_wrapperIZN2at6native12_GLOBAL__N_124unique_dim_cuda_templateIjEESt5tupleIJNSH_6TensorESM_SM_EERKSM_lbbbEUlllE0_EEPmJS6_EEE10hipError_tPvRmT3_T4_T5_T6_T7_T9_mT8_P12ihipStream_tbDpT10_ENKUlT_T0_E_clISt17integral_constantIbLb1EES1C_EEDaS17_S18_EUlS17_E_NS1_11comp_targetILNS1_3genE5ELNS1_11target_archE942ELNS1_3gpuE9ELNS1_3repE0EEENS1_30default_config_static_selectorELNS0_4arch9wavefront6targetE0EEEvT1_.num_vgpr, 0
	.set _ZN7rocprim17ROCPRIM_400000_NS6detail17trampoline_kernelINS0_14default_configENS1_25partition_config_selectorILNS1_17partition_subalgoE8ElNS0_10empty_typeEbEEZZNS1_14partition_implILS5_8ELb0ES3_jPlPS6_PKS6_NS0_5tupleIJS9_S6_EEENSD_IJSA_SA_EEENS0_18inequality_wrapperIZN2at6native12_GLOBAL__N_124unique_dim_cuda_templateIjEESt5tupleIJNSH_6TensorESM_SM_EERKSM_lbbbEUlllE0_EEPmJS6_EEE10hipError_tPvRmT3_T4_T5_T6_T7_T9_mT8_P12ihipStream_tbDpT10_ENKUlT_T0_E_clISt17integral_constantIbLb1EES1C_EEDaS17_S18_EUlS17_E_NS1_11comp_targetILNS1_3genE5ELNS1_11target_archE942ELNS1_3gpuE9ELNS1_3repE0EEENS1_30default_config_static_selectorELNS0_4arch9wavefront6targetE0EEEvT1_.num_agpr, 0
	.set _ZN7rocprim17ROCPRIM_400000_NS6detail17trampoline_kernelINS0_14default_configENS1_25partition_config_selectorILNS1_17partition_subalgoE8ElNS0_10empty_typeEbEEZZNS1_14partition_implILS5_8ELb0ES3_jPlPS6_PKS6_NS0_5tupleIJS9_S6_EEENSD_IJSA_SA_EEENS0_18inequality_wrapperIZN2at6native12_GLOBAL__N_124unique_dim_cuda_templateIjEESt5tupleIJNSH_6TensorESM_SM_EERKSM_lbbbEUlllE0_EEPmJS6_EEE10hipError_tPvRmT3_T4_T5_T6_T7_T9_mT8_P12ihipStream_tbDpT10_ENKUlT_T0_E_clISt17integral_constantIbLb1EES1C_EEDaS17_S18_EUlS17_E_NS1_11comp_targetILNS1_3genE5ELNS1_11target_archE942ELNS1_3gpuE9ELNS1_3repE0EEENS1_30default_config_static_selectorELNS0_4arch9wavefront6targetE0EEEvT1_.numbered_sgpr, 0
	.set _ZN7rocprim17ROCPRIM_400000_NS6detail17trampoline_kernelINS0_14default_configENS1_25partition_config_selectorILNS1_17partition_subalgoE8ElNS0_10empty_typeEbEEZZNS1_14partition_implILS5_8ELb0ES3_jPlPS6_PKS6_NS0_5tupleIJS9_S6_EEENSD_IJSA_SA_EEENS0_18inequality_wrapperIZN2at6native12_GLOBAL__N_124unique_dim_cuda_templateIjEESt5tupleIJNSH_6TensorESM_SM_EERKSM_lbbbEUlllE0_EEPmJS6_EEE10hipError_tPvRmT3_T4_T5_T6_T7_T9_mT8_P12ihipStream_tbDpT10_ENKUlT_T0_E_clISt17integral_constantIbLb1EES1C_EEDaS17_S18_EUlS17_E_NS1_11comp_targetILNS1_3genE5ELNS1_11target_archE942ELNS1_3gpuE9ELNS1_3repE0EEENS1_30default_config_static_selectorELNS0_4arch9wavefront6targetE0EEEvT1_.num_named_barrier, 0
	.set _ZN7rocprim17ROCPRIM_400000_NS6detail17trampoline_kernelINS0_14default_configENS1_25partition_config_selectorILNS1_17partition_subalgoE8ElNS0_10empty_typeEbEEZZNS1_14partition_implILS5_8ELb0ES3_jPlPS6_PKS6_NS0_5tupleIJS9_S6_EEENSD_IJSA_SA_EEENS0_18inequality_wrapperIZN2at6native12_GLOBAL__N_124unique_dim_cuda_templateIjEESt5tupleIJNSH_6TensorESM_SM_EERKSM_lbbbEUlllE0_EEPmJS6_EEE10hipError_tPvRmT3_T4_T5_T6_T7_T9_mT8_P12ihipStream_tbDpT10_ENKUlT_T0_E_clISt17integral_constantIbLb1EES1C_EEDaS17_S18_EUlS17_E_NS1_11comp_targetILNS1_3genE5ELNS1_11target_archE942ELNS1_3gpuE9ELNS1_3repE0EEENS1_30default_config_static_selectorELNS0_4arch9wavefront6targetE0EEEvT1_.private_seg_size, 0
	.set _ZN7rocprim17ROCPRIM_400000_NS6detail17trampoline_kernelINS0_14default_configENS1_25partition_config_selectorILNS1_17partition_subalgoE8ElNS0_10empty_typeEbEEZZNS1_14partition_implILS5_8ELb0ES3_jPlPS6_PKS6_NS0_5tupleIJS9_S6_EEENSD_IJSA_SA_EEENS0_18inequality_wrapperIZN2at6native12_GLOBAL__N_124unique_dim_cuda_templateIjEESt5tupleIJNSH_6TensorESM_SM_EERKSM_lbbbEUlllE0_EEPmJS6_EEE10hipError_tPvRmT3_T4_T5_T6_T7_T9_mT8_P12ihipStream_tbDpT10_ENKUlT_T0_E_clISt17integral_constantIbLb1EES1C_EEDaS17_S18_EUlS17_E_NS1_11comp_targetILNS1_3genE5ELNS1_11target_archE942ELNS1_3gpuE9ELNS1_3repE0EEENS1_30default_config_static_selectorELNS0_4arch9wavefront6targetE0EEEvT1_.uses_vcc, 0
	.set _ZN7rocprim17ROCPRIM_400000_NS6detail17trampoline_kernelINS0_14default_configENS1_25partition_config_selectorILNS1_17partition_subalgoE8ElNS0_10empty_typeEbEEZZNS1_14partition_implILS5_8ELb0ES3_jPlPS6_PKS6_NS0_5tupleIJS9_S6_EEENSD_IJSA_SA_EEENS0_18inequality_wrapperIZN2at6native12_GLOBAL__N_124unique_dim_cuda_templateIjEESt5tupleIJNSH_6TensorESM_SM_EERKSM_lbbbEUlllE0_EEPmJS6_EEE10hipError_tPvRmT3_T4_T5_T6_T7_T9_mT8_P12ihipStream_tbDpT10_ENKUlT_T0_E_clISt17integral_constantIbLb1EES1C_EEDaS17_S18_EUlS17_E_NS1_11comp_targetILNS1_3genE5ELNS1_11target_archE942ELNS1_3gpuE9ELNS1_3repE0EEENS1_30default_config_static_selectorELNS0_4arch9wavefront6targetE0EEEvT1_.uses_flat_scratch, 0
	.set _ZN7rocprim17ROCPRIM_400000_NS6detail17trampoline_kernelINS0_14default_configENS1_25partition_config_selectorILNS1_17partition_subalgoE8ElNS0_10empty_typeEbEEZZNS1_14partition_implILS5_8ELb0ES3_jPlPS6_PKS6_NS0_5tupleIJS9_S6_EEENSD_IJSA_SA_EEENS0_18inequality_wrapperIZN2at6native12_GLOBAL__N_124unique_dim_cuda_templateIjEESt5tupleIJNSH_6TensorESM_SM_EERKSM_lbbbEUlllE0_EEPmJS6_EEE10hipError_tPvRmT3_T4_T5_T6_T7_T9_mT8_P12ihipStream_tbDpT10_ENKUlT_T0_E_clISt17integral_constantIbLb1EES1C_EEDaS17_S18_EUlS17_E_NS1_11comp_targetILNS1_3genE5ELNS1_11target_archE942ELNS1_3gpuE9ELNS1_3repE0EEENS1_30default_config_static_selectorELNS0_4arch9wavefront6targetE0EEEvT1_.has_dyn_sized_stack, 0
	.set _ZN7rocprim17ROCPRIM_400000_NS6detail17trampoline_kernelINS0_14default_configENS1_25partition_config_selectorILNS1_17partition_subalgoE8ElNS0_10empty_typeEbEEZZNS1_14partition_implILS5_8ELb0ES3_jPlPS6_PKS6_NS0_5tupleIJS9_S6_EEENSD_IJSA_SA_EEENS0_18inequality_wrapperIZN2at6native12_GLOBAL__N_124unique_dim_cuda_templateIjEESt5tupleIJNSH_6TensorESM_SM_EERKSM_lbbbEUlllE0_EEPmJS6_EEE10hipError_tPvRmT3_T4_T5_T6_T7_T9_mT8_P12ihipStream_tbDpT10_ENKUlT_T0_E_clISt17integral_constantIbLb1EES1C_EEDaS17_S18_EUlS17_E_NS1_11comp_targetILNS1_3genE5ELNS1_11target_archE942ELNS1_3gpuE9ELNS1_3repE0EEENS1_30default_config_static_selectorELNS0_4arch9wavefront6targetE0EEEvT1_.has_recursion, 0
	.set _ZN7rocprim17ROCPRIM_400000_NS6detail17trampoline_kernelINS0_14default_configENS1_25partition_config_selectorILNS1_17partition_subalgoE8ElNS0_10empty_typeEbEEZZNS1_14partition_implILS5_8ELb0ES3_jPlPS6_PKS6_NS0_5tupleIJS9_S6_EEENSD_IJSA_SA_EEENS0_18inequality_wrapperIZN2at6native12_GLOBAL__N_124unique_dim_cuda_templateIjEESt5tupleIJNSH_6TensorESM_SM_EERKSM_lbbbEUlllE0_EEPmJS6_EEE10hipError_tPvRmT3_T4_T5_T6_T7_T9_mT8_P12ihipStream_tbDpT10_ENKUlT_T0_E_clISt17integral_constantIbLb1EES1C_EEDaS17_S18_EUlS17_E_NS1_11comp_targetILNS1_3genE5ELNS1_11target_archE942ELNS1_3gpuE9ELNS1_3repE0EEENS1_30default_config_static_selectorELNS0_4arch9wavefront6targetE0EEEvT1_.has_indirect_call, 0
	.section	.AMDGPU.csdata,"",@progbits
; Kernel info:
; codeLenInByte = 0
; TotalNumSgprs: 0
; NumVgprs: 0
; ScratchSize: 0
; MemoryBound: 0
; FloatMode: 240
; IeeeMode: 1
; LDSByteSize: 0 bytes/workgroup (compile time only)
; SGPRBlocks: 0
; VGPRBlocks: 0
; NumSGPRsForWavesPerEU: 1
; NumVGPRsForWavesPerEU: 1
; NamedBarCnt: 0
; Occupancy: 16
; WaveLimiterHint : 0
; COMPUTE_PGM_RSRC2:SCRATCH_EN: 0
; COMPUTE_PGM_RSRC2:USER_SGPR: 2
; COMPUTE_PGM_RSRC2:TRAP_HANDLER: 0
; COMPUTE_PGM_RSRC2:TGID_X_EN: 1
; COMPUTE_PGM_RSRC2:TGID_Y_EN: 0
; COMPUTE_PGM_RSRC2:TGID_Z_EN: 0
; COMPUTE_PGM_RSRC2:TIDIG_COMP_CNT: 0
	.section	.text._ZN7rocprim17ROCPRIM_400000_NS6detail17trampoline_kernelINS0_14default_configENS1_25partition_config_selectorILNS1_17partition_subalgoE8ElNS0_10empty_typeEbEEZZNS1_14partition_implILS5_8ELb0ES3_jPlPS6_PKS6_NS0_5tupleIJS9_S6_EEENSD_IJSA_SA_EEENS0_18inequality_wrapperIZN2at6native12_GLOBAL__N_124unique_dim_cuda_templateIjEESt5tupleIJNSH_6TensorESM_SM_EERKSM_lbbbEUlllE0_EEPmJS6_EEE10hipError_tPvRmT3_T4_T5_T6_T7_T9_mT8_P12ihipStream_tbDpT10_ENKUlT_T0_E_clISt17integral_constantIbLb1EES1C_EEDaS17_S18_EUlS17_E_NS1_11comp_targetILNS1_3genE4ELNS1_11target_archE910ELNS1_3gpuE8ELNS1_3repE0EEENS1_30default_config_static_selectorELNS0_4arch9wavefront6targetE0EEEvT1_,"axG",@progbits,_ZN7rocprim17ROCPRIM_400000_NS6detail17trampoline_kernelINS0_14default_configENS1_25partition_config_selectorILNS1_17partition_subalgoE8ElNS0_10empty_typeEbEEZZNS1_14partition_implILS5_8ELb0ES3_jPlPS6_PKS6_NS0_5tupleIJS9_S6_EEENSD_IJSA_SA_EEENS0_18inequality_wrapperIZN2at6native12_GLOBAL__N_124unique_dim_cuda_templateIjEESt5tupleIJNSH_6TensorESM_SM_EERKSM_lbbbEUlllE0_EEPmJS6_EEE10hipError_tPvRmT3_T4_T5_T6_T7_T9_mT8_P12ihipStream_tbDpT10_ENKUlT_T0_E_clISt17integral_constantIbLb1EES1C_EEDaS17_S18_EUlS17_E_NS1_11comp_targetILNS1_3genE4ELNS1_11target_archE910ELNS1_3gpuE8ELNS1_3repE0EEENS1_30default_config_static_selectorELNS0_4arch9wavefront6targetE0EEEvT1_,comdat
	.globl	_ZN7rocprim17ROCPRIM_400000_NS6detail17trampoline_kernelINS0_14default_configENS1_25partition_config_selectorILNS1_17partition_subalgoE8ElNS0_10empty_typeEbEEZZNS1_14partition_implILS5_8ELb0ES3_jPlPS6_PKS6_NS0_5tupleIJS9_S6_EEENSD_IJSA_SA_EEENS0_18inequality_wrapperIZN2at6native12_GLOBAL__N_124unique_dim_cuda_templateIjEESt5tupleIJNSH_6TensorESM_SM_EERKSM_lbbbEUlllE0_EEPmJS6_EEE10hipError_tPvRmT3_T4_T5_T6_T7_T9_mT8_P12ihipStream_tbDpT10_ENKUlT_T0_E_clISt17integral_constantIbLb1EES1C_EEDaS17_S18_EUlS17_E_NS1_11comp_targetILNS1_3genE4ELNS1_11target_archE910ELNS1_3gpuE8ELNS1_3repE0EEENS1_30default_config_static_selectorELNS0_4arch9wavefront6targetE0EEEvT1_ ; -- Begin function _ZN7rocprim17ROCPRIM_400000_NS6detail17trampoline_kernelINS0_14default_configENS1_25partition_config_selectorILNS1_17partition_subalgoE8ElNS0_10empty_typeEbEEZZNS1_14partition_implILS5_8ELb0ES3_jPlPS6_PKS6_NS0_5tupleIJS9_S6_EEENSD_IJSA_SA_EEENS0_18inequality_wrapperIZN2at6native12_GLOBAL__N_124unique_dim_cuda_templateIjEESt5tupleIJNSH_6TensorESM_SM_EERKSM_lbbbEUlllE0_EEPmJS6_EEE10hipError_tPvRmT3_T4_T5_T6_T7_T9_mT8_P12ihipStream_tbDpT10_ENKUlT_T0_E_clISt17integral_constantIbLb1EES1C_EEDaS17_S18_EUlS17_E_NS1_11comp_targetILNS1_3genE4ELNS1_11target_archE910ELNS1_3gpuE8ELNS1_3repE0EEENS1_30default_config_static_selectorELNS0_4arch9wavefront6targetE0EEEvT1_
	.p2align	8
	.type	_ZN7rocprim17ROCPRIM_400000_NS6detail17trampoline_kernelINS0_14default_configENS1_25partition_config_selectorILNS1_17partition_subalgoE8ElNS0_10empty_typeEbEEZZNS1_14partition_implILS5_8ELb0ES3_jPlPS6_PKS6_NS0_5tupleIJS9_S6_EEENSD_IJSA_SA_EEENS0_18inequality_wrapperIZN2at6native12_GLOBAL__N_124unique_dim_cuda_templateIjEESt5tupleIJNSH_6TensorESM_SM_EERKSM_lbbbEUlllE0_EEPmJS6_EEE10hipError_tPvRmT3_T4_T5_T6_T7_T9_mT8_P12ihipStream_tbDpT10_ENKUlT_T0_E_clISt17integral_constantIbLb1EES1C_EEDaS17_S18_EUlS17_E_NS1_11comp_targetILNS1_3genE4ELNS1_11target_archE910ELNS1_3gpuE8ELNS1_3repE0EEENS1_30default_config_static_selectorELNS0_4arch9wavefront6targetE0EEEvT1_,@function
_ZN7rocprim17ROCPRIM_400000_NS6detail17trampoline_kernelINS0_14default_configENS1_25partition_config_selectorILNS1_17partition_subalgoE8ElNS0_10empty_typeEbEEZZNS1_14partition_implILS5_8ELb0ES3_jPlPS6_PKS6_NS0_5tupleIJS9_S6_EEENSD_IJSA_SA_EEENS0_18inequality_wrapperIZN2at6native12_GLOBAL__N_124unique_dim_cuda_templateIjEESt5tupleIJNSH_6TensorESM_SM_EERKSM_lbbbEUlllE0_EEPmJS6_EEE10hipError_tPvRmT3_T4_T5_T6_T7_T9_mT8_P12ihipStream_tbDpT10_ENKUlT_T0_E_clISt17integral_constantIbLb1EES1C_EEDaS17_S18_EUlS17_E_NS1_11comp_targetILNS1_3genE4ELNS1_11target_archE910ELNS1_3gpuE8ELNS1_3repE0EEENS1_30default_config_static_selectorELNS0_4arch9wavefront6targetE0EEEvT1_: ; @_ZN7rocprim17ROCPRIM_400000_NS6detail17trampoline_kernelINS0_14default_configENS1_25partition_config_selectorILNS1_17partition_subalgoE8ElNS0_10empty_typeEbEEZZNS1_14partition_implILS5_8ELb0ES3_jPlPS6_PKS6_NS0_5tupleIJS9_S6_EEENSD_IJSA_SA_EEENS0_18inequality_wrapperIZN2at6native12_GLOBAL__N_124unique_dim_cuda_templateIjEESt5tupleIJNSH_6TensorESM_SM_EERKSM_lbbbEUlllE0_EEPmJS6_EEE10hipError_tPvRmT3_T4_T5_T6_T7_T9_mT8_P12ihipStream_tbDpT10_ENKUlT_T0_E_clISt17integral_constantIbLb1EES1C_EEDaS17_S18_EUlS17_E_NS1_11comp_targetILNS1_3genE4ELNS1_11target_archE910ELNS1_3gpuE8ELNS1_3repE0EEENS1_30default_config_static_selectorELNS0_4arch9wavefront6targetE0EEEvT1_
; %bb.0:
	.section	.rodata,"a",@progbits
	.p2align	6, 0x0
	.amdhsa_kernel _ZN7rocprim17ROCPRIM_400000_NS6detail17trampoline_kernelINS0_14default_configENS1_25partition_config_selectorILNS1_17partition_subalgoE8ElNS0_10empty_typeEbEEZZNS1_14partition_implILS5_8ELb0ES3_jPlPS6_PKS6_NS0_5tupleIJS9_S6_EEENSD_IJSA_SA_EEENS0_18inequality_wrapperIZN2at6native12_GLOBAL__N_124unique_dim_cuda_templateIjEESt5tupleIJNSH_6TensorESM_SM_EERKSM_lbbbEUlllE0_EEPmJS6_EEE10hipError_tPvRmT3_T4_T5_T6_T7_T9_mT8_P12ihipStream_tbDpT10_ENKUlT_T0_E_clISt17integral_constantIbLb1EES1C_EEDaS17_S18_EUlS17_E_NS1_11comp_targetILNS1_3genE4ELNS1_11target_archE910ELNS1_3gpuE8ELNS1_3repE0EEENS1_30default_config_static_selectorELNS0_4arch9wavefront6targetE0EEEvT1_
		.amdhsa_group_segment_fixed_size 0
		.amdhsa_private_segment_fixed_size 0
		.amdhsa_kernarg_size 136
		.amdhsa_user_sgpr_count 2
		.amdhsa_user_sgpr_dispatch_ptr 0
		.amdhsa_user_sgpr_queue_ptr 0
		.amdhsa_user_sgpr_kernarg_segment_ptr 1
		.amdhsa_user_sgpr_dispatch_id 0
		.amdhsa_user_sgpr_kernarg_preload_length 0
		.amdhsa_user_sgpr_kernarg_preload_offset 0
		.amdhsa_user_sgpr_private_segment_size 0
		.amdhsa_wavefront_size32 1
		.amdhsa_uses_dynamic_stack 0
		.amdhsa_enable_private_segment 0
		.amdhsa_system_sgpr_workgroup_id_x 1
		.amdhsa_system_sgpr_workgroup_id_y 0
		.amdhsa_system_sgpr_workgroup_id_z 0
		.amdhsa_system_sgpr_workgroup_info 0
		.amdhsa_system_vgpr_workitem_id 0
		.amdhsa_next_free_vgpr 1
		.amdhsa_next_free_sgpr 1
		.amdhsa_named_barrier_count 0
		.amdhsa_reserve_vcc 0
		.amdhsa_float_round_mode_32 0
		.amdhsa_float_round_mode_16_64 0
		.amdhsa_float_denorm_mode_32 3
		.amdhsa_float_denorm_mode_16_64 3
		.amdhsa_fp16_overflow 0
		.amdhsa_memory_ordered 1
		.amdhsa_forward_progress 1
		.amdhsa_inst_pref_size 0
		.amdhsa_round_robin_scheduling 0
		.amdhsa_exception_fp_ieee_invalid_op 0
		.amdhsa_exception_fp_denorm_src 0
		.amdhsa_exception_fp_ieee_div_zero 0
		.amdhsa_exception_fp_ieee_overflow 0
		.amdhsa_exception_fp_ieee_underflow 0
		.amdhsa_exception_fp_ieee_inexact 0
		.amdhsa_exception_int_div_zero 0
	.end_amdhsa_kernel
	.section	.text._ZN7rocprim17ROCPRIM_400000_NS6detail17trampoline_kernelINS0_14default_configENS1_25partition_config_selectorILNS1_17partition_subalgoE8ElNS0_10empty_typeEbEEZZNS1_14partition_implILS5_8ELb0ES3_jPlPS6_PKS6_NS0_5tupleIJS9_S6_EEENSD_IJSA_SA_EEENS0_18inequality_wrapperIZN2at6native12_GLOBAL__N_124unique_dim_cuda_templateIjEESt5tupleIJNSH_6TensorESM_SM_EERKSM_lbbbEUlllE0_EEPmJS6_EEE10hipError_tPvRmT3_T4_T5_T6_T7_T9_mT8_P12ihipStream_tbDpT10_ENKUlT_T0_E_clISt17integral_constantIbLb1EES1C_EEDaS17_S18_EUlS17_E_NS1_11comp_targetILNS1_3genE4ELNS1_11target_archE910ELNS1_3gpuE8ELNS1_3repE0EEENS1_30default_config_static_selectorELNS0_4arch9wavefront6targetE0EEEvT1_,"axG",@progbits,_ZN7rocprim17ROCPRIM_400000_NS6detail17trampoline_kernelINS0_14default_configENS1_25partition_config_selectorILNS1_17partition_subalgoE8ElNS0_10empty_typeEbEEZZNS1_14partition_implILS5_8ELb0ES3_jPlPS6_PKS6_NS0_5tupleIJS9_S6_EEENSD_IJSA_SA_EEENS0_18inequality_wrapperIZN2at6native12_GLOBAL__N_124unique_dim_cuda_templateIjEESt5tupleIJNSH_6TensorESM_SM_EERKSM_lbbbEUlllE0_EEPmJS6_EEE10hipError_tPvRmT3_T4_T5_T6_T7_T9_mT8_P12ihipStream_tbDpT10_ENKUlT_T0_E_clISt17integral_constantIbLb1EES1C_EEDaS17_S18_EUlS17_E_NS1_11comp_targetILNS1_3genE4ELNS1_11target_archE910ELNS1_3gpuE8ELNS1_3repE0EEENS1_30default_config_static_selectorELNS0_4arch9wavefront6targetE0EEEvT1_,comdat
.Lfunc_end1551:
	.size	_ZN7rocprim17ROCPRIM_400000_NS6detail17trampoline_kernelINS0_14default_configENS1_25partition_config_selectorILNS1_17partition_subalgoE8ElNS0_10empty_typeEbEEZZNS1_14partition_implILS5_8ELb0ES3_jPlPS6_PKS6_NS0_5tupleIJS9_S6_EEENSD_IJSA_SA_EEENS0_18inequality_wrapperIZN2at6native12_GLOBAL__N_124unique_dim_cuda_templateIjEESt5tupleIJNSH_6TensorESM_SM_EERKSM_lbbbEUlllE0_EEPmJS6_EEE10hipError_tPvRmT3_T4_T5_T6_T7_T9_mT8_P12ihipStream_tbDpT10_ENKUlT_T0_E_clISt17integral_constantIbLb1EES1C_EEDaS17_S18_EUlS17_E_NS1_11comp_targetILNS1_3genE4ELNS1_11target_archE910ELNS1_3gpuE8ELNS1_3repE0EEENS1_30default_config_static_selectorELNS0_4arch9wavefront6targetE0EEEvT1_, .Lfunc_end1551-_ZN7rocprim17ROCPRIM_400000_NS6detail17trampoline_kernelINS0_14default_configENS1_25partition_config_selectorILNS1_17partition_subalgoE8ElNS0_10empty_typeEbEEZZNS1_14partition_implILS5_8ELb0ES3_jPlPS6_PKS6_NS0_5tupleIJS9_S6_EEENSD_IJSA_SA_EEENS0_18inequality_wrapperIZN2at6native12_GLOBAL__N_124unique_dim_cuda_templateIjEESt5tupleIJNSH_6TensorESM_SM_EERKSM_lbbbEUlllE0_EEPmJS6_EEE10hipError_tPvRmT3_T4_T5_T6_T7_T9_mT8_P12ihipStream_tbDpT10_ENKUlT_T0_E_clISt17integral_constantIbLb1EES1C_EEDaS17_S18_EUlS17_E_NS1_11comp_targetILNS1_3genE4ELNS1_11target_archE910ELNS1_3gpuE8ELNS1_3repE0EEENS1_30default_config_static_selectorELNS0_4arch9wavefront6targetE0EEEvT1_
                                        ; -- End function
	.set _ZN7rocprim17ROCPRIM_400000_NS6detail17trampoline_kernelINS0_14default_configENS1_25partition_config_selectorILNS1_17partition_subalgoE8ElNS0_10empty_typeEbEEZZNS1_14partition_implILS5_8ELb0ES3_jPlPS6_PKS6_NS0_5tupleIJS9_S6_EEENSD_IJSA_SA_EEENS0_18inequality_wrapperIZN2at6native12_GLOBAL__N_124unique_dim_cuda_templateIjEESt5tupleIJNSH_6TensorESM_SM_EERKSM_lbbbEUlllE0_EEPmJS6_EEE10hipError_tPvRmT3_T4_T5_T6_T7_T9_mT8_P12ihipStream_tbDpT10_ENKUlT_T0_E_clISt17integral_constantIbLb1EES1C_EEDaS17_S18_EUlS17_E_NS1_11comp_targetILNS1_3genE4ELNS1_11target_archE910ELNS1_3gpuE8ELNS1_3repE0EEENS1_30default_config_static_selectorELNS0_4arch9wavefront6targetE0EEEvT1_.num_vgpr, 0
	.set _ZN7rocprim17ROCPRIM_400000_NS6detail17trampoline_kernelINS0_14default_configENS1_25partition_config_selectorILNS1_17partition_subalgoE8ElNS0_10empty_typeEbEEZZNS1_14partition_implILS5_8ELb0ES3_jPlPS6_PKS6_NS0_5tupleIJS9_S6_EEENSD_IJSA_SA_EEENS0_18inequality_wrapperIZN2at6native12_GLOBAL__N_124unique_dim_cuda_templateIjEESt5tupleIJNSH_6TensorESM_SM_EERKSM_lbbbEUlllE0_EEPmJS6_EEE10hipError_tPvRmT3_T4_T5_T6_T7_T9_mT8_P12ihipStream_tbDpT10_ENKUlT_T0_E_clISt17integral_constantIbLb1EES1C_EEDaS17_S18_EUlS17_E_NS1_11comp_targetILNS1_3genE4ELNS1_11target_archE910ELNS1_3gpuE8ELNS1_3repE0EEENS1_30default_config_static_selectorELNS0_4arch9wavefront6targetE0EEEvT1_.num_agpr, 0
	.set _ZN7rocprim17ROCPRIM_400000_NS6detail17trampoline_kernelINS0_14default_configENS1_25partition_config_selectorILNS1_17partition_subalgoE8ElNS0_10empty_typeEbEEZZNS1_14partition_implILS5_8ELb0ES3_jPlPS6_PKS6_NS0_5tupleIJS9_S6_EEENSD_IJSA_SA_EEENS0_18inequality_wrapperIZN2at6native12_GLOBAL__N_124unique_dim_cuda_templateIjEESt5tupleIJNSH_6TensorESM_SM_EERKSM_lbbbEUlllE0_EEPmJS6_EEE10hipError_tPvRmT3_T4_T5_T6_T7_T9_mT8_P12ihipStream_tbDpT10_ENKUlT_T0_E_clISt17integral_constantIbLb1EES1C_EEDaS17_S18_EUlS17_E_NS1_11comp_targetILNS1_3genE4ELNS1_11target_archE910ELNS1_3gpuE8ELNS1_3repE0EEENS1_30default_config_static_selectorELNS0_4arch9wavefront6targetE0EEEvT1_.numbered_sgpr, 0
	.set _ZN7rocprim17ROCPRIM_400000_NS6detail17trampoline_kernelINS0_14default_configENS1_25partition_config_selectorILNS1_17partition_subalgoE8ElNS0_10empty_typeEbEEZZNS1_14partition_implILS5_8ELb0ES3_jPlPS6_PKS6_NS0_5tupleIJS9_S6_EEENSD_IJSA_SA_EEENS0_18inequality_wrapperIZN2at6native12_GLOBAL__N_124unique_dim_cuda_templateIjEESt5tupleIJNSH_6TensorESM_SM_EERKSM_lbbbEUlllE0_EEPmJS6_EEE10hipError_tPvRmT3_T4_T5_T6_T7_T9_mT8_P12ihipStream_tbDpT10_ENKUlT_T0_E_clISt17integral_constantIbLb1EES1C_EEDaS17_S18_EUlS17_E_NS1_11comp_targetILNS1_3genE4ELNS1_11target_archE910ELNS1_3gpuE8ELNS1_3repE0EEENS1_30default_config_static_selectorELNS0_4arch9wavefront6targetE0EEEvT1_.num_named_barrier, 0
	.set _ZN7rocprim17ROCPRIM_400000_NS6detail17trampoline_kernelINS0_14default_configENS1_25partition_config_selectorILNS1_17partition_subalgoE8ElNS0_10empty_typeEbEEZZNS1_14partition_implILS5_8ELb0ES3_jPlPS6_PKS6_NS0_5tupleIJS9_S6_EEENSD_IJSA_SA_EEENS0_18inequality_wrapperIZN2at6native12_GLOBAL__N_124unique_dim_cuda_templateIjEESt5tupleIJNSH_6TensorESM_SM_EERKSM_lbbbEUlllE0_EEPmJS6_EEE10hipError_tPvRmT3_T4_T5_T6_T7_T9_mT8_P12ihipStream_tbDpT10_ENKUlT_T0_E_clISt17integral_constantIbLb1EES1C_EEDaS17_S18_EUlS17_E_NS1_11comp_targetILNS1_3genE4ELNS1_11target_archE910ELNS1_3gpuE8ELNS1_3repE0EEENS1_30default_config_static_selectorELNS0_4arch9wavefront6targetE0EEEvT1_.private_seg_size, 0
	.set _ZN7rocprim17ROCPRIM_400000_NS6detail17trampoline_kernelINS0_14default_configENS1_25partition_config_selectorILNS1_17partition_subalgoE8ElNS0_10empty_typeEbEEZZNS1_14partition_implILS5_8ELb0ES3_jPlPS6_PKS6_NS0_5tupleIJS9_S6_EEENSD_IJSA_SA_EEENS0_18inequality_wrapperIZN2at6native12_GLOBAL__N_124unique_dim_cuda_templateIjEESt5tupleIJNSH_6TensorESM_SM_EERKSM_lbbbEUlllE0_EEPmJS6_EEE10hipError_tPvRmT3_T4_T5_T6_T7_T9_mT8_P12ihipStream_tbDpT10_ENKUlT_T0_E_clISt17integral_constantIbLb1EES1C_EEDaS17_S18_EUlS17_E_NS1_11comp_targetILNS1_3genE4ELNS1_11target_archE910ELNS1_3gpuE8ELNS1_3repE0EEENS1_30default_config_static_selectorELNS0_4arch9wavefront6targetE0EEEvT1_.uses_vcc, 0
	.set _ZN7rocprim17ROCPRIM_400000_NS6detail17trampoline_kernelINS0_14default_configENS1_25partition_config_selectorILNS1_17partition_subalgoE8ElNS0_10empty_typeEbEEZZNS1_14partition_implILS5_8ELb0ES3_jPlPS6_PKS6_NS0_5tupleIJS9_S6_EEENSD_IJSA_SA_EEENS0_18inequality_wrapperIZN2at6native12_GLOBAL__N_124unique_dim_cuda_templateIjEESt5tupleIJNSH_6TensorESM_SM_EERKSM_lbbbEUlllE0_EEPmJS6_EEE10hipError_tPvRmT3_T4_T5_T6_T7_T9_mT8_P12ihipStream_tbDpT10_ENKUlT_T0_E_clISt17integral_constantIbLb1EES1C_EEDaS17_S18_EUlS17_E_NS1_11comp_targetILNS1_3genE4ELNS1_11target_archE910ELNS1_3gpuE8ELNS1_3repE0EEENS1_30default_config_static_selectorELNS0_4arch9wavefront6targetE0EEEvT1_.uses_flat_scratch, 0
	.set _ZN7rocprim17ROCPRIM_400000_NS6detail17trampoline_kernelINS0_14default_configENS1_25partition_config_selectorILNS1_17partition_subalgoE8ElNS0_10empty_typeEbEEZZNS1_14partition_implILS5_8ELb0ES3_jPlPS6_PKS6_NS0_5tupleIJS9_S6_EEENSD_IJSA_SA_EEENS0_18inequality_wrapperIZN2at6native12_GLOBAL__N_124unique_dim_cuda_templateIjEESt5tupleIJNSH_6TensorESM_SM_EERKSM_lbbbEUlllE0_EEPmJS6_EEE10hipError_tPvRmT3_T4_T5_T6_T7_T9_mT8_P12ihipStream_tbDpT10_ENKUlT_T0_E_clISt17integral_constantIbLb1EES1C_EEDaS17_S18_EUlS17_E_NS1_11comp_targetILNS1_3genE4ELNS1_11target_archE910ELNS1_3gpuE8ELNS1_3repE0EEENS1_30default_config_static_selectorELNS0_4arch9wavefront6targetE0EEEvT1_.has_dyn_sized_stack, 0
	.set _ZN7rocprim17ROCPRIM_400000_NS6detail17trampoline_kernelINS0_14default_configENS1_25partition_config_selectorILNS1_17partition_subalgoE8ElNS0_10empty_typeEbEEZZNS1_14partition_implILS5_8ELb0ES3_jPlPS6_PKS6_NS0_5tupleIJS9_S6_EEENSD_IJSA_SA_EEENS0_18inequality_wrapperIZN2at6native12_GLOBAL__N_124unique_dim_cuda_templateIjEESt5tupleIJNSH_6TensorESM_SM_EERKSM_lbbbEUlllE0_EEPmJS6_EEE10hipError_tPvRmT3_T4_T5_T6_T7_T9_mT8_P12ihipStream_tbDpT10_ENKUlT_T0_E_clISt17integral_constantIbLb1EES1C_EEDaS17_S18_EUlS17_E_NS1_11comp_targetILNS1_3genE4ELNS1_11target_archE910ELNS1_3gpuE8ELNS1_3repE0EEENS1_30default_config_static_selectorELNS0_4arch9wavefront6targetE0EEEvT1_.has_recursion, 0
	.set _ZN7rocprim17ROCPRIM_400000_NS6detail17trampoline_kernelINS0_14default_configENS1_25partition_config_selectorILNS1_17partition_subalgoE8ElNS0_10empty_typeEbEEZZNS1_14partition_implILS5_8ELb0ES3_jPlPS6_PKS6_NS0_5tupleIJS9_S6_EEENSD_IJSA_SA_EEENS0_18inequality_wrapperIZN2at6native12_GLOBAL__N_124unique_dim_cuda_templateIjEESt5tupleIJNSH_6TensorESM_SM_EERKSM_lbbbEUlllE0_EEPmJS6_EEE10hipError_tPvRmT3_T4_T5_T6_T7_T9_mT8_P12ihipStream_tbDpT10_ENKUlT_T0_E_clISt17integral_constantIbLb1EES1C_EEDaS17_S18_EUlS17_E_NS1_11comp_targetILNS1_3genE4ELNS1_11target_archE910ELNS1_3gpuE8ELNS1_3repE0EEENS1_30default_config_static_selectorELNS0_4arch9wavefront6targetE0EEEvT1_.has_indirect_call, 0
	.section	.AMDGPU.csdata,"",@progbits
; Kernel info:
; codeLenInByte = 0
; TotalNumSgprs: 0
; NumVgprs: 0
; ScratchSize: 0
; MemoryBound: 0
; FloatMode: 240
; IeeeMode: 1
; LDSByteSize: 0 bytes/workgroup (compile time only)
; SGPRBlocks: 0
; VGPRBlocks: 0
; NumSGPRsForWavesPerEU: 1
; NumVGPRsForWavesPerEU: 1
; NamedBarCnt: 0
; Occupancy: 16
; WaveLimiterHint : 0
; COMPUTE_PGM_RSRC2:SCRATCH_EN: 0
; COMPUTE_PGM_RSRC2:USER_SGPR: 2
; COMPUTE_PGM_RSRC2:TRAP_HANDLER: 0
; COMPUTE_PGM_RSRC2:TGID_X_EN: 1
; COMPUTE_PGM_RSRC2:TGID_Y_EN: 0
; COMPUTE_PGM_RSRC2:TGID_Z_EN: 0
; COMPUTE_PGM_RSRC2:TIDIG_COMP_CNT: 0
	.section	.text._ZN7rocprim17ROCPRIM_400000_NS6detail17trampoline_kernelINS0_14default_configENS1_25partition_config_selectorILNS1_17partition_subalgoE8ElNS0_10empty_typeEbEEZZNS1_14partition_implILS5_8ELb0ES3_jPlPS6_PKS6_NS0_5tupleIJS9_S6_EEENSD_IJSA_SA_EEENS0_18inequality_wrapperIZN2at6native12_GLOBAL__N_124unique_dim_cuda_templateIjEESt5tupleIJNSH_6TensorESM_SM_EERKSM_lbbbEUlllE0_EEPmJS6_EEE10hipError_tPvRmT3_T4_T5_T6_T7_T9_mT8_P12ihipStream_tbDpT10_ENKUlT_T0_E_clISt17integral_constantIbLb1EES1C_EEDaS17_S18_EUlS17_E_NS1_11comp_targetILNS1_3genE3ELNS1_11target_archE908ELNS1_3gpuE7ELNS1_3repE0EEENS1_30default_config_static_selectorELNS0_4arch9wavefront6targetE0EEEvT1_,"axG",@progbits,_ZN7rocprim17ROCPRIM_400000_NS6detail17trampoline_kernelINS0_14default_configENS1_25partition_config_selectorILNS1_17partition_subalgoE8ElNS0_10empty_typeEbEEZZNS1_14partition_implILS5_8ELb0ES3_jPlPS6_PKS6_NS0_5tupleIJS9_S6_EEENSD_IJSA_SA_EEENS0_18inequality_wrapperIZN2at6native12_GLOBAL__N_124unique_dim_cuda_templateIjEESt5tupleIJNSH_6TensorESM_SM_EERKSM_lbbbEUlllE0_EEPmJS6_EEE10hipError_tPvRmT3_T4_T5_T6_T7_T9_mT8_P12ihipStream_tbDpT10_ENKUlT_T0_E_clISt17integral_constantIbLb1EES1C_EEDaS17_S18_EUlS17_E_NS1_11comp_targetILNS1_3genE3ELNS1_11target_archE908ELNS1_3gpuE7ELNS1_3repE0EEENS1_30default_config_static_selectorELNS0_4arch9wavefront6targetE0EEEvT1_,comdat
	.globl	_ZN7rocprim17ROCPRIM_400000_NS6detail17trampoline_kernelINS0_14default_configENS1_25partition_config_selectorILNS1_17partition_subalgoE8ElNS0_10empty_typeEbEEZZNS1_14partition_implILS5_8ELb0ES3_jPlPS6_PKS6_NS0_5tupleIJS9_S6_EEENSD_IJSA_SA_EEENS0_18inequality_wrapperIZN2at6native12_GLOBAL__N_124unique_dim_cuda_templateIjEESt5tupleIJNSH_6TensorESM_SM_EERKSM_lbbbEUlllE0_EEPmJS6_EEE10hipError_tPvRmT3_T4_T5_T6_T7_T9_mT8_P12ihipStream_tbDpT10_ENKUlT_T0_E_clISt17integral_constantIbLb1EES1C_EEDaS17_S18_EUlS17_E_NS1_11comp_targetILNS1_3genE3ELNS1_11target_archE908ELNS1_3gpuE7ELNS1_3repE0EEENS1_30default_config_static_selectorELNS0_4arch9wavefront6targetE0EEEvT1_ ; -- Begin function _ZN7rocprim17ROCPRIM_400000_NS6detail17trampoline_kernelINS0_14default_configENS1_25partition_config_selectorILNS1_17partition_subalgoE8ElNS0_10empty_typeEbEEZZNS1_14partition_implILS5_8ELb0ES3_jPlPS6_PKS6_NS0_5tupleIJS9_S6_EEENSD_IJSA_SA_EEENS0_18inequality_wrapperIZN2at6native12_GLOBAL__N_124unique_dim_cuda_templateIjEESt5tupleIJNSH_6TensorESM_SM_EERKSM_lbbbEUlllE0_EEPmJS6_EEE10hipError_tPvRmT3_T4_T5_T6_T7_T9_mT8_P12ihipStream_tbDpT10_ENKUlT_T0_E_clISt17integral_constantIbLb1EES1C_EEDaS17_S18_EUlS17_E_NS1_11comp_targetILNS1_3genE3ELNS1_11target_archE908ELNS1_3gpuE7ELNS1_3repE0EEENS1_30default_config_static_selectorELNS0_4arch9wavefront6targetE0EEEvT1_
	.p2align	8
	.type	_ZN7rocprim17ROCPRIM_400000_NS6detail17trampoline_kernelINS0_14default_configENS1_25partition_config_selectorILNS1_17partition_subalgoE8ElNS0_10empty_typeEbEEZZNS1_14partition_implILS5_8ELb0ES3_jPlPS6_PKS6_NS0_5tupleIJS9_S6_EEENSD_IJSA_SA_EEENS0_18inequality_wrapperIZN2at6native12_GLOBAL__N_124unique_dim_cuda_templateIjEESt5tupleIJNSH_6TensorESM_SM_EERKSM_lbbbEUlllE0_EEPmJS6_EEE10hipError_tPvRmT3_T4_T5_T6_T7_T9_mT8_P12ihipStream_tbDpT10_ENKUlT_T0_E_clISt17integral_constantIbLb1EES1C_EEDaS17_S18_EUlS17_E_NS1_11comp_targetILNS1_3genE3ELNS1_11target_archE908ELNS1_3gpuE7ELNS1_3repE0EEENS1_30default_config_static_selectorELNS0_4arch9wavefront6targetE0EEEvT1_,@function
_ZN7rocprim17ROCPRIM_400000_NS6detail17trampoline_kernelINS0_14default_configENS1_25partition_config_selectorILNS1_17partition_subalgoE8ElNS0_10empty_typeEbEEZZNS1_14partition_implILS5_8ELb0ES3_jPlPS6_PKS6_NS0_5tupleIJS9_S6_EEENSD_IJSA_SA_EEENS0_18inequality_wrapperIZN2at6native12_GLOBAL__N_124unique_dim_cuda_templateIjEESt5tupleIJNSH_6TensorESM_SM_EERKSM_lbbbEUlllE0_EEPmJS6_EEE10hipError_tPvRmT3_T4_T5_T6_T7_T9_mT8_P12ihipStream_tbDpT10_ENKUlT_T0_E_clISt17integral_constantIbLb1EES1C_EEDaS17_S18_EUlS17_E_NS1_11comp_targetILNS1_3genE3ELNS1_11target_archE908ELNS1_3gpuE7ELNS1_3repE0EEENS1_30default_config_static_selectorELNS0_4arch9wavefront6targetE0EEEvT1_: ; @_ZN7rocprim17ROCPRIM_400000_NS6detail17trampoline_kernelINS0_14default_configENS1_25partition_config_selectorILNS1_17partition_subalgoE8ElNS0_10empty_typeEbEEZZNS1_14partition_implILS5_8ELb0ES3_jPlPS6_PKS6_NS0_5tupleIJS9_S6_EEENSD_IJSA_SA_EEENS0_18inequality_wrapperIZN2at6native12_GLOBAL__N_124unique_dim_cuda_templateIjEESt5tupleIJNSH_6TensorESM_SM_EERKSM_lbbbEUlllE0_EEPmJS6_EEE10hipError_tPvRmT3_T4_T5_T6_T7_T9_mT8_P12ihipStream_tbDpT10_ENKUlT_T0_E_clISt17integral_constantIbLb1EES1C_EEDaS17_S18_EUlS17_E_NS1_11comp_targetILNS1_3genE3ELNS1_11target_archE908ELNS1_3gpuE7ELNS1_3repE0EEENS1_30default_config_static_selectorELNS0_4arch9wavefront6targetE0EEEvT1_
; %bb.0:
	.section	.rodata,"a",@progbits
	.p2align	6, 0x0
	.amdhsa_kernel _ZN7rocprim17ROCPRIM_400000_NS6detail17trampoline_kernelINS0_14default_configENS1_25partition_config_selectorILNS1_17partition_subalgoE8ElNS0_10empty_typeEbEEZZNS1_14partition_implILS5_8ELb0ES3_jPlPS6_PKS6_NS0_5tupleIJS9_S6_EEENSD_IJSA_SA_EEENS0_18inequality_wrapperIZN2at6native12_GLOBAL__N_124unique_dim_cuda_templateIjEESt5tupleIJNSH_6TensorESM_SM_EERKSM_lbbbEUlllE0_EEPmJS6_EEE10hipError_tPvRmT3_T4_T5_T6_T7_T9_mT8_P12ihipStream_tbDpT10_ENKUlT_T0_E_clISt17integral_constantIbLb1EES1C_EEDaS17_S18_EUlS17_E_NS1_11comp_targetILNS1_3genE3ELNS1_11target_archE908ELNS1_3gpuE7ELNS1_3repE0EEENS1_30default_config_static_selectorELNS0_4arch9wavefront6targetE0EEEvT1_
		.amdhsa_group_segment_fixed_size 0
		.amdhsa_private_segment_fixed_size 0
		.amdhsa_kernarg_size 136
		.amdhsa_user_sgpr_count 2
		.amdhsa_user_sgpr_dispatch_ptr 0
		.amdhsa_user_sgpr_queue_ptr 0
		.amdhsa_user_sgpr_kernarg_segment_ptr 1
		.amdhsa_user_sgpr_dispatch_id 0
		.amdhsa_user_sgpr_kernarg_preload_length 0
		.amdhsa_user_sgpr_kernarg_preload_offset 0
		.amdhsa_user_sgpr_private_segment_size 0
		.amdhsa_wavefront_size32 1
		.amdhsa_uses_dynamic_stack 0
		.amdhsa_enable_private_segment 0
		.amdhsa_system_sgpr_workgroup_id_x 1
		.amdhsa_system_sgpr_workgroup_id_y 0
		.amdhsa_system_sgpr_workgroup_id_z 0
		.amdhsa_system_sgpr_workgroup_info 0
		.amdhsa_system_vgpr_workitem_id 0
		.amdhsa_next_free_vgpr 1
		.amdhsa_next_free_sgpr 1
		.amdhsa_named_barrier_count 0
		.amdhsa_reserve_vcc 0
		.amdhsa_float_round_mode_32 0
		.amdhsa_float_round_mode_16_64 0
		.amdhsa_float_denorm_mode_32 3
		.amdhsa_float_denorm_mode_16_64 3
		.amdhsa_fp16_overflow 0
		.amdhsa_memory_ordered 1
		.amdhsa_forward_progress 1
		.amdhsa_inst_pref_size 0
		.amdhsa_round_robin_scheduling 0
		.amdhsa_exception_fp_ieee_invalid_op 0
		.amdhsa_exception_fp_denorm_src 0
		.amdhsa_exception_fp_ieee_div_zero 0
		.amdhsa_exception_fp_ieee_overflow 0
		.amdhsa_exception_fp_ieee_underflow 0
		.amdhsa_exception_fp_ieee_inexact 0
		.amdhsa_exception_int_div_zero 0
	.end_amdhsa_kernel
	.section	.text._ZN7rocprim17ROCPRIM_400000_NS6detail17trampoline_kernelINS0_14default_configENS1_25partition_config_selectorILNS1_17partition_subalgoE8ElNS0_10empty_typeEbEEZZNS1_14partition_implILS5_8ELb0ES3_jPlPS6_PKS6_NS0_5tupleIJS9_S6_EEENSD_IJSA_SA_EEENS0_18inequality_wrapperIZN2at6native12_GLOBAL__N_124unique_dim_cuda_templateIjEESt5tupleIJNSH_6TensorESM_SM_EERKSM_lbbbEUlllE0_EEPmJS6_EEE10hipError_tPvRmT3_T4_T5_T6_T7_T9_mT8_P12ihipStream_tbDpT10_ENKUlT_T0_E_clISt17integral_constantIbLb1EES1C_EEDaS17_S18_EUlS17_E_NS1_11comp_targetILNS1_3genE3ELNS1_11target_archE908ELNS1_3gpuE7ELNS1_3repE0EEENS1_30default_config_static_selectorELNS0_4arch9wavefront6targetE0EEEvT1_,"axG",@progbits,_ZN7rocprim17ROCPRIM_400000_NS6detail17trampoline_kernelINS0_14default_configENS1_25partition_config_selectorILNS1_17partition_subalgoE8ElNS0_10empty_typeEbEEZZNS1_14partition_implILS5_8ELb0ES3_jPlPS6_PKS6_NS0_5tupleIJS9_S6_EEENSD_IJSA_SA_EEENS0_18inequality_wrapperIZN2at6native12_GLOBAL__N_124unique_dim_cuda_templateIjEESt5tupleIJNSH_6TensorESM_SM_EERKSM_lbbbEUlllE0_EEPmJS6_EEE10hipError_tPvRmT3_T4_T5_T6_T7_T9_mT8_P12ihipStream_tbDpT10_ENKUlT_T0_E_clISt17integral_constantIbLb1EES1C_EEDaS17_S18_EUlS17_E_NS1_11comp_targetILNS1_3genE3ELNS1_11target_archE908ELNS1_3gpuE7ELNS1_3repE0EEENS1_30default_config_static_selectorELNS0_4arch9wavefront6targetE0EEEvT1_,comdat
.Lfunc_end1552:
	.size	_ZN7rocprim17ROCPRIM_400000_NS6detail17trampoline_kernelINS0_14default_configENS1_25partition_config_selectorILNS1_17partition_subalgoE8ElNS0_10empty_typeEbEEZZNS1_14partition_implILS5_8ELb0ES3_jPlPS6_PKS6_NS0_5tupleIJS9_S6_EEENSD_IJSA_SA_EEENS0_18inequality_wrapperIZN2at6native12_GLOBAL__N_124unique_dim_cuda_templateIjEESt5tupleIJNSH_6TensorESM_SM_EERKSM_lbbbEUlllE0_EEPmJS6_EEE10hipError_tPvRmT3_T4_T5_T6_T7_T9_mT8_P12ihipStream_tbDpT10_ENKUlT_T0_E_clISt17integral_constantIbLb1EES1C_EEDaS17_S18_EUlS17_E_NS1_11comp_targetILNS1_3genE3ELNS1_11target_archE908ELNS1_3gpuE7ELNS1_3repE0EEENS1_30default_config_static_selectorELNS0_4arch9wavefront6targetE0EEEvT1_, .Lfunc_end1552-_ZN7rocprim17ROCPRIM_400000_NS6detail17trampoline_kernelINS0_14default_configENS1_25partition_config_selectorILNS1_17partition_subalgoE8ElNS0_10empty_typeEbEEZZNS1_14partition_implILS5_8ELb0ES3_jPlPS6_PKS6_NS0_5tupleIJS9_S6_EEENSD_IJSA_SA_EEENS0_18inequality_wrapperIZN2at6native12_GLOBAL__N_124unique_dim_cuda_templateIjEESt5tupleIJNSH_6TensorESM_SM_EERKSM_lbbbEUlllE0_EEPmJS6_EEE10hipError_tPvRmT3_T4_T5_T6_T7_T9_mT8_P12ihipStream_tbDpT10_ENKUlT_T0_E_clISt17integral_constantIbLb1EES1C_EEDaS17_S18_EUlS17_E_NS1_11comp_targetILNS1_3genE3ELNS1_11target_archE908ELNS1_3gpuE7ELNS1_3repE0EEENS1_30default_config_static_selectorELNS0_4arch9wavefront6targetE0EEEvT1_
                                        ; -- End function
	.set _ZN7rocprim17ROCPRIM_400000_NS6detail17trampoline_kernelINS0_14default_configENS1_25partition_config_selectorILNS1_17partition_subalgoE8ElNS0_10empty_typeEbEEZZNS1_14partition_implILS5_8ELb0ES3_jPlPS6_PKS6_NS0_5tupleIJS9_S6_EEENSD_IJSA_SA_EEENS0_18inequality_wrapperIZN2at6native12_GLOBAL__N_124unique_dim_cuda_templateIjEESt5tupleIJNSH_6TensorESM_SM_EERKSM_lbbbEUlllE0_EEPmJS6_EEE10hipError_tPvRmT3_T4_T5_T6_T7_T9_mT8_P12ihipStream_tbDpT10_ENKUlT_T0_E_clISt17integral_constantIbLb1EES1C_EEDaS17_S18_EUlS17_E_NS1_11comp_targetILNS1_3genE3ELNS1_11target_archE908ELNS1_3gpuE7ELNS1_3repE0EEENS1_30default_config_static_selectorELNS0_4arch9wavefront6targetE0EEEvT1_.num_vgpr, 0
	.set _ZN7rocprim17ROCPRIM_400000_NS6detail17trampoline_kernelINS0_14default_configENS1_25partition_config_selectorILNS1_17partition_subalgoE8ElNS0_10empty_typeEbEEZZNS1_14partition_implILS5_8ELb0ES3_jPlPS6_PKS6_NS0_5tupleIJS9_S6_EEENSD_IJSA_SA_EEENS0_18inequality_wrapperIZN2at6native12_GLOBAL__N_124unique_dim_cuda_templateIjEESt5tupleIJNSH_6TensorESM_SM_EERKSM_lbbbEUlllE0_EEPmJS6_EEE10hipError_tPvRmT3_T4_T5_T6_T7_T9_mT8_P12ihipStream_tbDpT10_ENKUlT_T0_E_clISt17integral_constantIbLb1EES1C_EEDaS17_S18_EUlS17_E_NS1_11comp_targetILNS1_3genE3ELNS1_11target_archE908ELNS1_3gpuE7ELNS1_3repE0EEENS1_30default_config_static_selectorELNS0_4arch9wavefront6targetE0EEEvT1_.num_agpr, 0
	.set _ZN7rocprim17ROCPRIM_400000_NS6detail17trampoline_kernelINS0_14default_configENS1_25partition_config_selectorILNS1_17partition_subalgoE8ElNS0_10empty_typeEbEEZZNS1_14partition_implILS5_8ELb0ES3_jPlPS6_PKS6_NS0_5tupleIJS9_S6_EEENSD_IJSA_SA_EEENS0_18inequality_wrapperIZN2at6native12_GLOBAL__N_124unique_dim_cuda_templateIjEESt5tupleIJNSH_6TensorESM_SM_EERKSM_lbbbEUlllE0_EEPmJS6_EEE10hipError_tPvRmT3_T4_T5_T6_T7_T9_mT8_P12ihipStream_tbDpT10_ENKUlT_T0_E_clISt17integral_constantIbLb1EES1C_EEDaS17_S18_EUlS17_E_NS1_11comp_targetILNS1_3genE3ELNS1_11target_archE908ELNS1_3gpuE7ELNS1_3repE0EEENS1_30default_config_static_selectorELNS0_4arch9wavefront6targetE0EEEvT1_.numbered_sgpr, 0
	.set _ZN7rocprim17ROCPRIM_400000_NS6detail17trampoline_kernelINS0_14default_configENS1_25partition_config_selectorILNS1_17partition_subalgoE8ElNS0_10empty_typeEbEEZZNS1_14partition_implILS5_8ELb0ES3_jPlPS6_PKS6_NS0_5tupleIJS9_S6_EEENSD_IJSA_SA_EEENS0_18inequality_wrapperIZN2at6native12_GLOBAL__N_124unique_dim_cuda_templateIjEESt5tupleIJNSH_6TensorESM_SM_EERKSM_lbbbEUlllE0_EEPmJS6_EEE10hipError_tPvRmT3_T4_T5_T6_T7_T9_mT8_P12ihipStream_tbDpT10_ENKUlT_T0_E_clISt17integral_constantIbLb1EES1C_EEDaS17_S18_EUlS17_E_NS1_11comp_targetILNS1_3genE3ELNS1_11target_archE908ELNS1_3gpuE7ELNS1_3repE0EEENS1_30default_config_static_selectorELNS0_4arch9wavefront6targetE0EEEvT1_.num_named_barrier, 0
	.set _ZN7rocprim17ROCPRIM_400000_NS6detail17trampoline_kernelINS0_14default_configENS1_25partition_config_selectorILNS1_17partition_subalgoE8ElNS0_10empty_typeEbEEZZNS1_14partition_implILS5_8ELb0ES3_jPlPS6_PKS6_NS0_5tupleIJS9_S6_EEENSD_IJSA_SA_EEENS0_18inequality_wrapperIZN2at6native12_GLOBAL__N_124unique_dim_cuda_templateIjEESt5tupleIJNSH_6TensorESM_SM_EERKSM_lbbbEUlllE0_EEPmJS6_EEE10hipError_tPvRmT3_T4_T5_T6_T7_T9_mT8_P12ihipStream_tbDpT10_ENKUlT_T0_E_clISt17integral_constantIbLb1EES1C_EEDaS17_S18_EUlS17_E_NS1_11comp_targetILNS1_3genE3ELNS1_11target_archE908ELNS1_3gpuE7ELNS1_3repE0EEENS1_30default_config_static_selectorELNS0_4arch9wavefront6targetE0EEEvT1_.private_seg_size, 0
	.set _ZN7rocprim17ROCPRIM_400000_NS6detail17trampoline_kernelINS0_14default_configENS1_25partition_config_selectorILNS1_17partition_subalgoE8ElNS0_10empty_typeEbEEZZNS1_14partition_implILS5_8ELb0ES3_jPlPS6_PKS6_NS0_5tupleIJS9_S6_EEENSD_IJSA_SA_EEENS0_18inequality_wrapperIZN2at6native12_GLOBAL__N_124unique_dim_cuda_templateIjEESt5tupleIJNSH_6TensorESM_SM_EERKSM_lbbbEUlllE0_EEPmJS6_EEE10hipError_tPvRmT3_T4_T5_T6_T7_T9_mT8_P12ihipStream_tbDpT10_ENKUlT_T0_E_clISt17integral_constantIbLb1EES1C_EEDaS17_S18_EUlS17_E_NS1_11comp_targetILNS1_3genE3ELNS1_11target_archE908ELNS1_3gpuE7ELNS1_3repE0EEENS1_30default_config_static_selectorELNS0_4arch9wavefront6targetE0EEEvT1_.uses_vcc, 0
	.set _ZN7rocprim17ROCPRIM_400000_NS6detail17trampoline_kernelINS0_14default_configENS1_25partition_config_selectorILNS1_17partition_subalgoE8ElNS0_10empty_typeEbEEZZNS1_14partition_implILS5_8ELb0ES3_jPlPS6_PKS6_NS0_5tupleIJS9_S6_EEENSD_IJSA_SA_EEENS0_18inequality_wrapperIZN2at6native12_GLOBAL__N_124unique_dim_cuda_templateIjEESt5tupleIJNSH_6TensorESM_SM_EERKSM_lbbbEUlllE0_EEPmJS6_EEE10hipError_tPvRmT3_T4_T5_T6_T7_T9_mT8_P12ihipStream_tbDpT10_ENKUlT_T0_E_clISt17integral_constantIbLb1EES1C_EEDaS17_S18_EUlS17_E_NS1_11comp_targetILNS1_3genE3ELNS1_11target_archE908ELNS1_3gpuE7ELNS1_3repE0EEENS1_30default_config_static_selectorELNS0_4arch9wavefront6targetE0EEEvT1_.uses_flat_scratch, 0
	.set _ZN7rocprim17ROCPRIM_400000_NS6detail17trampoline_kernelINS0_14default_configENS1_25partition_config_selectorILNS1_17partition_subalgoE8ElNS0_10empty_typeEbEEZZNS1_14partition_implILS5_8ELb0ES3_jPlPS6_PKS6_NS0_5tupleIJS9_S6_EEENSD_IJSA_SA_EEENS0_18inequality_wrapperIZN2at6native12_GLOBAL__N_124unique_dim_cuda_templateIjEESt5tupleIJNSH_6TensorESM_SM_EERKSM_lbbbEUlllE0_EEPmJS6_EEE10hipError_tPvRmT3_T4_T5_T6_T7_T9_mT8_P12ihipStream_tbDpT10_ENKUlT_T0_E_clISt17integral_constantIbLb1EES1C_EEDaS17_S18_EUlS17_E_NS1_11comp_targetILNS1_3genE3ELNS1_11target_archE908ELNS1_3gpuE7ELNS1_3repE0EEENS1_30default_config_static_selectorELNS0_4arch9wavefront6targetE0EEEvT1_.has_dyn_sized_stack, 0
	.set _ZN7rocprim17ROCPRIM_400000_NS6detail17trampoline_kernelINS0_14default_configENS1_25partition_config_selectorILNS1_17partition_subalgoE8ElNS0_10empty_typeEbEEZZNS1_14partition_implILS5_8ELb0ES3_jPlPS6_PKS6_NS0_5tupleIJS9_S6_EEENSD_IJSA_SA_EEENS0_18inequality_wrapperIZN2at6native12_GLOBAL__N_124unique_dim_cuda_templateIjEESt5tupleIJNSH_6TensorESM_SM_EERKSM_lbbbEUlllE0_EEPmJS6_EEE10hipError_tPvRmT3_T4_T5_T6_T7_T9_mT8_P12ihipStream_tbDpT10_ENKUlT_T0_E_clISt17integral_constantIbLb1EES1C_EEDaS17_S18_EUlS17_E_NS1_11comp_targetILNS1_3genE3ELNS1_11target_archE908ELNS1_3gpuE7ELNS1_3repE0EEENS1_30default_config_static_selectorELNS0_4arch9wavefront6targetE0EEEvT1_.has_recursion, 0
	.set _ZN7rocprim17ROCPRIM_400000_NS6detail17trampoline_kernelINS0_14default_configENS1_25partition_config_selectorILNS1_17partition_subalgoE8ElNS0_10empty_typeEbEEZZNS1_14partition_implILS5_8ELb0ES3_jPlPS6_PKS6_NS0_5tupleIJS9_S6_EEENSD_IJSA_SA_EEENS0_18inequality_wrapperIZN2at6native12_GLOBAL__N_124unique_dim_cuda_templateIjEESt5tupleIJNSH_6TensorESM_SM_EERKSM_lbbbEUlllE0_EEPmJS6_EEE10hipError_tPvRmT3_T4_T5_T6_T7_T9_mT8_P12ihipStream_tbDpT10_ENKUlT_T0_E_clISt17integral_constantIbLb1EES1C_EEDaS17_S18_EUlS17_E_NS1_11comp_targetILNS1_3genE3ELNS1_11target_archE908ELNS1_3gpuE7ELNS1_3repE0EEENS1_30default_config_static_selectorELNS0_4arch9wavefront6targetE0EEEvT1_.has_indirect_call, 0
	.section	.AMDGPU.csdata,"",@progbits
; Kernel info:
; codeLenInByte = 0
; TotalNumSgprs: 0
; NumVgprs: 0
; ScratchSize: 0
; MemoryBound: 0
; FloatMode: 240
; IeeeMode: 1
; LDSByteSize: 0 bytes/workgroup (compile time only)
; SGPRBlocks: 0
; VGPRBlocks: 0
; NumSGPRsForWavesPerEU: 1
; NumVGPRsForWavesPerEU: 1
; NamedBarCnt: 0
; Occupancy: 16
; WaveLimiterHint : 0
; COMPUTE_PGM_RSRC2:SCRATCH_EN: 0
; COMPUTE_PGM_RSRC2:USER_SGPR: 2
; COMPUTE_PGM_RSRC2:TRAP_HANDLER: 0
; COMPUTE_PGM_RSRC2:TGID_X_EN: 1
; COMPUTE_PGM_RSRC2:TGID_Y_EN: 0
; COMPUTE_PGM_RSRC2:TGID_Z_EN: 0
; COMPUTE_PGM_RSRC2:TIDIG_COMP_CNT: 0
	.section	.text._ZN7rocprim17ROCPRIM_400000_NS6detail17trampoline_kernelINS0_14default_configENS1_25partition_config_selectorILNS1_17partition_subalgoE8ElNS0_10empty_typeEbEEZZNS1_14partition_implILS5_8ELb0ES3_jPlPS6_PKS6_NS0_5tupleIJS9_S6_EEENSD_IJSA_SA_EEENS0_18inequality_wrapperIZN2at6native12_GLOBAL__N_124unique_dim_cuda_templateIjEESt5tupleIJNSH_6TensorESM_SM_EERKSM_lbbbEUlllE0_EEPmJS6_EEE10hipError_tPvRmT3_T4_T5_T6_T7_T9_mT8_P12ihipStream_tbDpT10_ENKUlT_T0_E_clISt17integral_constantIbLb1EES1C_EEDaS17_S18_EUlS17_E_NS1_11comp_targetILNS1_3genE2ELNS1_11target_archE906ELNS1_3gpuE6ELNS1_3repE0EEENS1_30default_config_static_selectorELNS0_4arch9wavefront6targetE0EEEvT1_,"axG",@progbits,_ZN7rocprim17ROCPRIM_400000_NS6detail17trampoline_kernelINS0_14default_configENS1_25partition_config_selectorILNS1_17partition_subalgoE8ElNS0_10empty_typeEbEEZZNS1_14partition_implILS5_8ELb0ES3_jPlPS6_PKS6_NS0_5tupleIJS9_S6_EEENSD_IJSA_SA_EEENS0_18inequality_wrapperIZN2at6native12_GLOBAL__N_124unique_dim_cuda_templateIjEESt5tupleIJNSH_6TensorESM_SM_EERKSM_lbbbEUlllE0_EEPmJS6_EEE10hipError_tPvRmT3_T4_T5_T6_T7_T9_mT8_P12ihipStream_tbDpT10_ENKUlT_T0_E_clISt17integral_constantIbLb1EES1C_EEDaS17_S18_EUlS17_E_NS1_11comp_targetILNS1_3genE2ELNS1_11target_archE906ELNS1_3gpuE6ELNS1_3repE0EEENS1_30default_config_static_selectorELNS0_4arch9wavefront6targetE0EEEvT1_,comdat
	.globl	_ZN7rocprim17ROCPRIM_400000_NS6detail17trampoline_kernelINS0_14default_configENS1_25partition_config_selectorILNS1_17partition_subalgoE8ElNS0_10empty_typeEbEEZZNS1_14partition_implILS5_8ELb0ES3_jPlPS6_PKS6_NS0_5tupleIJS9_S6_EEENSD_IJSA_SA_EEENS0_18inequality_wrapperIZN2at6native12_GLOBAL__N_124unique_dim_cuda_templateIjEESt5tupleIJNSH_6TensorESM_SM_EERKSM_lbbbEUlllE0_EEPmJS6_EEE10hipError_tPvRmT3_T4_T5_T6_T7_T9_mT8_P12ihipStream_tbDpT10_ENKUlT_T0_E_clISt17integral_constantIbLb1EES1C_EEDaS17_S18_EUlS17_E_NS1_11comp_targetILNS1_3genE2ELNS1_11target_archE906ELNS1_3gpuE6ELNS1_3repE0EEENS1_30default_config_static_selectorELNS0_4arch9wavefront6targetE0EEEvT1_ ; -- Begin function _ZN7rocprim17ROCPRIM_400000_NS6detail17trampoline_kernelINS0_14default_configENS1_25partition_config_selectorILNS1_17partition_subalgoE8ElNS0_10empty_typeEbEEZZNS1_14partition_implILS5_8ELb0ES3_jPlPS6_PKS6_NS0_5tupleIJS9_S6_EEENSD_IJSA_SA_EEENS0_18inequality_wrapperIZN2at6native12_GLOBAL__N_124unique_dim_cuda_templateIjEESt5tupleIJNSH_6TensorESM_SM_EERKSM_lbbbEUlllE0_EEPmJS6_EEE10hipError_tPvRmT3_T4_T5_T6_T7_T9_mT8_P12ihipStream_tbDpT10_ENKUlT_T0_E_clISt17integral_constantIbLb1EES1C_EEDaS17_S18_EUlS17_E_NS1_11comp_targetILNS1_3genE2ELNS1_11target_archE906ELNS1_3gpuE6ELNS1_3repE0EEENS1_30default_config_static_selectorELNS0_4arch9wavefront6targetE0EEEvT1_
	.p2align	8
	.type	_ZN7rocprim17ROCPRIM_400000_NS6detail17trampoline_kernelINS0_14default_configENS1_25partition_config_selectorILNS1_17partition_subalgoE8ElNS0_10empty_typeEbEEZZNS1_14partition_implILS5_8ELb0ES3_jPlPS6_PKS6_NS0_5tupleIJS9_S6_EEENSD_IJSA_SA_EEENS0_18inequality_wrapperIZN2at6native12_GLOBAL__N_124unique_dim_cuda_templateIjEESt5tupleIJNSH_6TensorESM_SM_EERKSM_lbbbEUlllE0_EEPmJS6_EEE10hipError_tPvRmT3_T4_T5_T6_T7_T9_mT8_P12ihipStream_tbDpT10_ENKUlT_T0_E_clISt17integral_constantIbLb1EES1C_EEDaS17_S18_EUlS17_E_NS1_11comp_targetILNS1_3genE2ELNS1_11target_archE906ELNS1_3gpuE6ELNS1_3repE0EEENS1_30default_config_static_selectorELNS0_4arch9wavefront6targetE0EEEvT1_,@function
_ZN7rocprim17ROCPRIM_400000_NS6detail17trampoline_kernelINS0_14default_configENS1_25partition_config_selectorILNS1_17partition_subalgoE8ElNS0_10empty_typeEbEEZZNS1_14partition_implILS5_8ELb0ES3_jPlPS6_PKS6_NS0_5tupleIJS9_S6_EEENSD_IJSA_SA_EEENS0_18inequality_wrapperIZN2at6native12_GLOBAL__N_124unique_dim_cuda_templateIjEESt5tupleIJNSH_6TensorESM_SM_EERKSM_lbbbEUlllE0_EEPmJS6_EEE10hipError_tPvRmT3_T4_T5_T6_T7_T9_mT8_P12ihipStream_tbDpT10_ENKUlT_T0_E_clISt17integral_constantIbLb1EES1C_EEDaS17_S18_EUlS17_E_NS1_11comp_targetILNS1_3genE2ELNS1_11target_archE906ELNS1_3gpuE6ELNS1_3repE0EEENS1_30default_config_static_selectorELNS0_4arch9wavefront6targetE0EEEvT1_: ; @_ZN7rocprim17ROCPRIM_400000_NS6detail17trampoline_kernelINS0_14default_configENS1_25partition_config_selectorILNS1_17partition_subalgoE8ElNS0_10empty_typeEbEEZZNS1_14partition_implILS5_8ELb0ES3_jPlPS6_PKS6_NS0_5tupleIJS9_S6_EEENSD_IJSA_SA_EEENS0_18inequality_wrapperIZN2at6native12_GLOBAL__N_124unique_dim_cuda_templateIjEESt5tupleIJNSH_6TensorESM_SM_EERKSM_lbbbEUlllE0_EEPmJS6_EEE10hipError_tPvRmT3_T4_T5_T6_T7_T9_mT8_P12ihipStream_tbDpT10_ENKUlT_T0_E_clISt17integral_constantIbLb1EES1C_EEDaS17_S18_EUlS17_E_NS1_11comp_targetILNS1_3genE2ELNS1_11target_archE906ELNS1_3gpuE6ELNS1_3repE0EEENS1_30default_config_static_selectorELNS0_4arch9wavefront6targetE0EEEvT1_
; %bb.0:
	.section	.rodata,"a",@progbits
	.p2align	6, 0x0
	.amdhsa_kernel _ZN7rocprim17ROCPRIM_400000_NS6detail17trampoline_kernelINS0_14default_configENS1_25partition_config_selectorILNS1_17partition_subalgoE8ElNS0_10empty_typeEbEEZZNS1_14partition_implILS5_8ELb0ES3_jPlPS6_PKS6_NS0_5tupleIJS9_S6_EEENSD_IJSA_SA_EEENS0_18inequality_wrapperIZN2at6native12_GLOBAL__N_124unique_dim_cuda_templateIjEESt5tupleIJNSH_6TensorESM_SM_EERKSM_lbbbEUlllE0_EEPmJS6_EEE10hipError_tPvRmT3_T4_T5_T6_T7_T9_mT8_P12ihipStream_tbDpT10_ENKUlT_T0_E_clISt17integral_constantIbLb1EES1C_EEDaS17_S18_EUlS17_E_NS1_11comp_targetILNS1_3genE2ELNS1_11target_archE906ELNS1_3gpuE6ELNS1_3repE0EEENS1_30default_config_static_selectorELNS0_4arch9wavefront6targetE0EEEvT1_
		.amdhsa_group_segment_fixed_size 0
		.amdhsa_private_segment_fixed_size 0
		.amdhsa_kernarg_size 136
		.amdhsa_user_sgpr_count 2
		.amdhsa_user_sgpr_dispatch_ptr 0
		.amdhsa_user_sgpr_queue_ptr 0
		.amdhsa_user_sgpr_kernarg_segment_ptr 1
		.amdhsa_user_sgpr_dispatch_id 0
		.amdhsa_user_sgpr_kernarg_preload_length 0
		.amdhsa_user_sgpr_kernarg_preload_offset 0
		.amdhsa_user_sgpr_private_segment_size 0
		.amdhsa_wavefront_size32 1
		.amdhsa_uses_dynamic_stack 0
		.amdhsa_enable_private_segment 0
		.amdhsa_system_sgpr_workgroup_id_x 1
		.amdhsa_system_sgpr_workgroup_id_y 0
		.amdhsa_system_sgpr_workgroup_id_z 0
		.amdhsa_system_sgpr_workgroup_info 0
		.amdhsa_system_vgpr_workitem_id 0
		.amdhsa_next_free_vgpr 1
		.amdhsa_next_free_sgpr 1
		.amdhsa_named_barrier_count 0
		.amdhsa_reserve_vcc 0
		.amdhsa_float_round_mode_32 0
		.amdhsa_float_round_mode_16_64 0
		.amdhsa_float_denorm_mode_32 3
		.amdhsa_float_denorm_mode_16_64 3
		.amdhsa_fp16_overflow 0
		.amdhsa_memory_ordered 1
		.amdhsa_forward_progress 1
		.amdhsa_inst_pref_size 0
		.amdhsa_round_robin_scheduling 0
		.amdhsa_exception_fp_ieee_invalid_op 0
		.amdhsa_exception_fp_denorm_src 0
		.amdhsa_exception_fp_ieee_div_zero 0
		.amdhsa_exception_fp_ieee_overflow 0
		.amdhsa_exception_fp_ieee_underflow 0
		.amdhsa_exception_fp_ieee_inexact 0
		.amdhsa_exception_int_div_zero 0
	.end_amdhsa_kernel
	.section	.text._ZN7rocprim17ROCPRIM_400000_NS6detail17trampoline_kernelINS0_14default_configENS1_25partition_config_selectorILNS1_17partition_subalgoE8ElNS0_10empty_typeEbEEZZNS1_14partition_implILS5_8ELb0ES3_jPlPS6_PKS6_NS0_5tupleIJS9_S6_EEENSD_IJSA_SA_EEENS0_18inequality_wrapperIZN2at6native12_GLOBAL__N_124unique_dim_cuda_templateIjEESt5tupleIJNSH_6TensorESM_SM_EERKSM_lbbbEUlllE0_EEPmJS6_EEE10hipError_tPvRmT3_T4_T5_T6_T7_T9_mT8_P12ihipStream_tbDpT10_ENKUlT_T0_E_clISt17integral_constantIbLb1EES1C_EEDaS17_S18_EUlS17_E_NS1_11comp_targetILNS1_3genE2ELNS1_11target_archE906ELNS1_3gpuE6ELNS1_3repE0EEENS1_30default_config_static_selectorELNS0_4arch9wavefront6targetE0EEEvT1_,"axG",@progbits,_ZN7rocprim17ROCPRIM_400000_NS6detail17trampoline_kernelINS0_14default_configENS1_25partition_config_selectorILNS1_17partition_subalgoE8ElNS0_10empty_typeEbEEZZNS1_14partition_implILS5_8ELb0ES3_jPlPS6_PKS6_NS0_5tupleIJS9_S6_EEENSD_IJSA_SA_EEENS0_18inequality_wrapperIZN2at6native12_GLOBAL__N_124unique_dim_cuda_templateIjEESt5tupleIJNSH_6TensorESM_SM_EERKSM_lbbbEUlllE0_EEPmJS6_EEE10hipError_tPvRmT3_T4_T5_T6_T7_T9_mT8_P12ihipStream_tbDpT10_ENKUlT_T0_E_clISt17integral_constantIbLb1EES1C_EEDaS17_S18_EUlS17_E_NS1_11comp_targetILNS1_3genE2ELNS1_11target_archE906ELNS1_3gpuE6ELNS1_3repE0EEENS1_30default_config_static_selectorELNS0_4arch9wavefront6targetE0EEEvT1_,comdat
.Lfunc_end1553:
	.size	_ZN7rocprim17ROCPRIM_400000_NS6detail17trampoline_kernelINS0_14default_configENS1_25partition_config_selectorILNS1_17partition_subalgoE8ElNS0_10empty_typeEbEEZZNS1_14partition_implILS5_8ELb0ES3_jPlPS6_PKS6_NS0_5tupleIJS9_S6_EEENSD_IJSA_SA_EEENS0_18inequality_wrapperIZN2at6native12_GLOBAL__N_124unique_dim_cuda_templateIjEESt5tupleIJNSH_6TensorESM_SM_EERKSM_lbbbEUlllE0_EEPmJS6_EEE10hipError_tPvRmT3_T4_T5_T6_T7_T9_mT8_P12ihipStream_tbDpT10_ENKUlT_T0_E_clISt17integral_constantIbLb1EES1C_EEDaS17_S18_EUlS17_E_NS1_11comp_targetILNS1_3genE2ELNS1_11target_archE906ELNS1_3gpuE6ELNS1_3repE0EEENS1_30default_config_static_selectorELNS0_4arch9wavefront6targetE0EEEvT1_, .Lfunc_end1553-_ZN7rocprim17ROCPRIM_400000_NS6detail17trampoline_kernelINS0_14default_configENS1_25partition_config_selectorILNS1_17partition_subalgoE8ElNS0_10empty_typeEbEEZZNS1_14partition_implILS5_8ELb0ES3_jPlPS6_PKS6_NS0_5tupleIJS9_S6_EEENSD_IJSA_SA_EEENS0_18inequality_wrapperIZN2at6native12_GLOBAL__N_124unique_dim_cuda_templateIjEESt5tupleIJNSH_6TensorESM_SM_EERKSM_lbbbEUlllE0_EEPmJS6_EEE10hipError_tPvRmT3_T4_T5_T6_T7_T9_mT8_P12ihipStream_tbDpT10_ENKUlT_T0_E_clISt17integral_constantIbLb1EES1C_EEDaS17_S18_EUlS17_E_NS1_11comp_targetILNS1_3genE2ELNS1_11target_archE906ELNS1_3gpuE6ELNS1_3repE0EEENS1_30default_config_static_selectorELNS0_4arch9wavefront6targetE0EEEvT1_
                                        ; -- End function
	.set _ZN7rocprim17ROCPRIM_400000_NS6detail17trampoline_kernelINS0_14default_configENS1_25partition_config_selectorILNS1_17partition_subalgoE8ElNS0_10empty_typeEbEEZZNS1_14partition_implILS5_8ELb0ES3_jPlPS6_PKS6_NS0_5tupleIJS9_S6_EEENSD_IJSA_SA_EEENS0_18inequality_wrapperIZN2at6native12_GLOBAL__N_124unique_dim_cuda_templateIjEESt5tupleIJNSH_6TensorESM_SM_EERKSM_lbbbEUlllE0_EEPmJS6_EEE10hipError_tPvRmT3_T4_T5_T6_T7_T9_mT8_P12ihipStream_tbDpT10_ENKUlT_T0_E_clISt17integral_constantIbLb1EES1C_EEDaS17_S18_EUlS17_E_NS1_11comp_targetILNS1_3genE2ELNS1_11target_archE906ELNS1_3gpuE6ELNS1_3repE0EEENS1_30default_config_static_selectorELNS0_4arch9wavefront6targetE0EEEvT1_.num_vgpr, 0
	.set _ZN7rocprim17ROCPRIM_400000_NS6detail17trampoline_kernelINS0_14default_configENS1_25partition_config_selectorILNS1_17partition_subalgoE8ElNS0_10empty_typeEbEEZZNS1_14partition_implILS5_8ELb0ES3_jPlPS6_PKS6_NS0_5tupleIJS9_S6_EEENSD_IJSA_SA_EEENS0_18inequality_wrapperIZN2at6native12_GLOBAL__N_124unique_dim_cuda_templateIjEESt5tupleIJNSH_6TensorESM_SM_EERKSM_lbbbEUlllE0_EEPmJS6_EEE10hipError_tPvRmT3_T4_T5_T6_T7_T9_mT8_P12ihipStream_tbDpT10_ENKUlT_T0_E_clISt17integral_constantIbLb1EES1C_EEDaS17_S18_EUlS17_E_NS1_11comp_targetILNS1_3genE2ELNS1_11target_archE906ELNS1_3gpuE6ELNS1_3repE0EEENS1_30default_config_static_selectorELNS0_4arch9wavefront6targetE0EEEvT1_.num_agpr, 0
	.set _ZN7rocprim17ROCPRIM_400000_NS6detail17trampoline_kernelINS0_14default_configENS1_25partition_config_selectorILNS1_17partition_subalgoE8ElNS0_10empty_typeEbEEZZNS1_14partition_implILS5_8ELb0ES3_jPlPS6_PKS6_NS0_5tupleIJS9_S6_EEENSD_IJSA_SA_EEENS0_18inequality_wrapperIZN2at6native12_GLOBAL__N_124unique_dim_cuda_templateIjEESt5tupleIJNSH_6TensorESM_SM_EERKSM_lbbbEUlllE0_EEPmJS6_EEE10hipError_tPvRmT3_T4_T5_T6_T7_T9_mT8_P12ihipStream_tbDpT10_ENKUlT_T0_E_clISt17integral_constantIbLb1EES1C_EEDaS17_S18_EUlS17_E_NS1_11comp_targetILNS1_3genE2ELNS1_11target_archE906ELNS1_3gpuE6ELNS1_3repE0EEENS1_30default_config_static_selectorELNS0_4arch9wavefront6targetE0EEEvT1_.numbered_sgpr, 0
	.set _ZN7rocprim17ROCPRIM_400000_NS6detail17trampoline_kernelINS0_14default_configENS1_25partition_config_selectorILNS1_17partition_subalgoE8ElNS0_10empty_typeEbEEZZNS1_14partition_implILS5_8ELb0ES3_jPlPS6_PKS6_NS0_5tupleIJS9_S6_EEENSD_IJSA_SA_EEENS0_18inequality_wrapperIZN2at6native12_GLOBAL__N_124unique_dim_cuda_templateIjEESt5tupleIJNSH_6TensorESM_SM_EERKSM_lbbbEUlllE0_EEPmJS6_EEE10hipError_tPvRmT3_T4_T5_T6_T7_T9_mT8_P12ihipStream_tbDpT10_ENKUlT_T0_E_clISt17integral_constantIbLb1EES1C_EEDaS17_S18_EUlS17_E_NS1_11comp_targetILNS1_3genE2ELNS1_11target_archE906ELNS1_3gpuE6ELNS1_3repE0EEENS1_30default_config_static_selectorELNS0_4arch9wavefront6targetE0EEEvT1_.num_named_barrier, 0
	.set _ZN7rocprim17ROCPRIM_400000_NS6detail17trampoline_kernelINS0_14default_configENS1_25partition_config_selectorILNS1_17partition_subalgoE8ElNS0_10empty_typeEbEEZZNS1_14partition_implILS5_8ELb0ES3_jPlPS6_PKS6_NS0_5tupleIJS9_S6_EEENSD_IJSA_SA_EEENS0_18inequality_wrapperIZN2at6native12_GLOBAL__N_124unique_dim_cuda_templateIjEESt5tupleIJNSH_6TensorESM_SM_EERKSM_lbbbEUlllE0_EEPmJS6_EEE10hipError_tPvRmT3_T4_T5_T6_T7_T9_mT8_P12ihipStream_tbDpT10_ENKUlT_T0_E_clISt17integral_constantIbLb1EES1C_EEDaS17_S18_EUlS17_E_NS1_11comp_targetILNS1_3genE2ELNS1_11target_archE906ELNS1_3gpuE6ELNS1_3repE0EEENS1_30default_config_static_selectorELNS0_4arch9wavefront6targetE0EEEvT1_.private_seg_size, 0
	.set _ZN7rocprim17ROCPRIM_400000_NS6detail17trampoline_kernelINS0_14default_configENS1_25partition_config_selectorILNS1_17partition_subalgoE8ElNS0_10empty_typeEbEEZZNS1_14partition_implILS5_8ELb0ES3_jPlPS6_PKS6_NS0_5tupleIJS9_S6_EEENSD_IJSA_SA_EEENS0_18inequality_wrapperIZN2at6native12_GLOBAL__N_124unique_dim_cuda_templateIjEESt5tupleIJNSH_6TensorESM_SM_EERKSM_lbbbEUlllE0_EEPmJS6_EEE10hipError_tPvRmT3_T4_T5_T6_T7_T9_mT8_P12ihipStream_tbDpT10_ENKUlT_T0_E_clISt17integral_constantIbLb1EES1C_EEDaS17_S18_EUlS17_E_NS1_11comp_targetILNS1_3genE2ELNS1_11target_archE906ELNS1_3gpuE6ELNS1_3repE0EEENS1_30default_config_static_selectorELNS0_4arch9wavefront6targetE0EEEvT1_.uses_vcc, 0
	.set _ZN7rocprim17ROCPRIM_400000_NS6detail17trampoline_kernelINS0_14default_configENS1_25partition_config_selectorILNS1_17partition_subalgoE8ElNS0_10empty_typeEbEEZZNS1_14partition_implILS5_8ELb0ES3_jPlPS6_PKS6_NS0_5tupleIJS9_S6_EEENSD_IJSA_SA_EEENS0_18inequality_wrapperIZN2at6native12_GLOBAL__N_124unique_dim_cuda_templateIjEESt5tupleIJNSH_6TensorESM_SM_EERKSM_lbbbEUlllE0_EEPmJS6_EEE10hipError_tPvRmT3_T4_T5_T6_T7_T9_mT8_P12ihipStream_tbDpT10_ENKUlT_T0_E_clISt17integral_constantIbLb1EES1C_EEDaS17_S18_EUlS17_E_NS1_11comp_targetILNS1_3genE2ELNS1_11target_archE906ELNS1_3gpuE6ELNS1_3repE0EEENS1_30default_config_static_selectorELNS0_4arch9wavefront6targetE0EEEvT1_.uses_flat_scratch, 0
	.set _ZN7rocprim17ROCPRIM_400000_NS6detail17trampoline_kernelINS0_14default_configENS1_25partition_config_selectorILNS1_17partition_subalgoE8ElNS0_10empty_typeEbEEZZNS1_14partition_implILS5_8ELb0ES3_jPlPS6_PKS6_NS0_5tupleIJS9_S6_EEENSD_IJSA_SA_EEENS0_18inequality_wrapperIZN2at6native12_GLOBAL__N_124unique_dim_cuda_templateIjEESt5tupleIJNSH_6TensorESM_SM_EERKSM_lbbbEUlllE0_EEPmJS6_EEE10hipError_tPvRmT3_T4_T5_T6_T7_T9_mT8_P12ihipStream_tbDpT10_ENKUlT_T0_E_clISt17integral_constantIbLb1EES1C_EEDaS17_S18_EUlS17_E_NS1_11comp_targetILNS1_3genE2ELNS1_11target_archE906ELNS1_3gpuE6ELNS1_3repE0EEENS1_30default_config_static_selectorELNS0_4arch9wavefront6targetE0EEEvT1_.has_dyn_sized_stack, 0
	.set _ZN7rocprim17ROCPRIM_400000_NS6detail17trampoline_kernelINS0_14default_configENS1_25partition_config_selectorILNS1_17partition_subalgoE8ElNS0_10empty_typeEbEEZZNS1_14partition_implILS5_8ELb0ES3_jPlPS6_PKS6_NS0_5tupleIJS9_S6_EEENSD_IJSA_SA_EEENS0_18inequality_wrapperIZN2at6native12_GLOBAL__N_124unique_dim_cuda_templateIjEESt5tupleIJNSH_6TensorESM_SM_EERKSM_lbbbEUlllE0_EEPmJS6_EEE10hipError_tPvRmT3_T4_T5_T6_T7_T9_mT8_P12ihipStream_tbDpT10_ENKUlT_T0_E_clISt17integral_constantIbLb1EES1C_EEDaS17_S18_EUlS17_E_NS1_11comp_targetILNS1_3genE2ELNS1_11target_archE906ELNS1_3gpuE6ELNS1_3repE0EEENS1_30default_config_static_selectorELNS0_4arch9wavefront6targetE0EEEvT1_.has_recursion, 0
	.set _ZN7rocprim17ROCPRIM_400000_NS6detail17trampoline_kernelINS0_14default_configENS1_25partition_config_selectorILNS1_17partition_subalgoE8ElNS0_10empty_typeEbEEZZNS1_14partition_implILS5_8ELb0ES3_jPlPS6_PKS6_NS0_5tupleIJS9_S6_EEENSD_IJSA_SA_EEENS0_18inequality_wrapperIZN2at6native12_GLOBAL__N_124unique_dim_cuda_templateIjEESt5tupleIJNSH_6TensorESM_SM_EERKSM_lbbbEUlllE0_EEPmJS6_EEE10hipError_tPvRmT3_T4_T5_T6_T7_T9_mT8_P12ihipStream_tbDpT10_ENKUlT_T0_E_clISt17integral_constantIbLb1EES1C_EEDaS17_S18_EUlS17_E_NS1_11comp_targetILNS1_3genE2ELNS1_11target_archE906ELNS1_3gpuE6ELNS1_3repE0EEENS1_30default_config_static_selectorELNS0_4arch9wavefront6targetE0EEEvT1_.has_indirect_call, 0
	.section	.AMDGPU.csdata,"",@progbits
; Kernel info:
; codeLenInByte = 0
; TotalNumSgprs: 0
; NumVgprs: 0
; ScratchSize: 0
; MemoryBound: 0
; FloatMode: 240
; IeeeMode: 1
; LDSByteSize: 0 bytes/workgroup (compile time only)
; SGPRBlocks: 0
; VGPRBlocks: 0
; NumSGPRsForWavesPerEU: 1
; NumVGPRsForWavesPerEU: 1
; NamedBarCnt: 0
; Occupancy: 16
; WaveLimiterHint : 0
; COMPUTE_PGM_RSRC2:SCRATCH_EN: 0
; COMPUTE_PGM_RSRC2:USER_SGPR: 2
; COMPUTE_PGM_RSRC2:TRAP_HANDLER: 0
; COMPUTE_PGM_RSRC2:TGID_X_EN: 1
; COMPUTE_PGM_RSRC2:TGID_Y_EN: 0
; COMPUTE_PGM_RSRC2:TGID_Z_EN: 0
; COMPUTE_PGM_RSRC2:TIDIG_COMP_CNT: 0
	.section	.text._ZN7rocprim17ROCPRIM_400000_NS6detail17trampoline_kernelINS0_14default_configENS1_25partition_config_selectorILNS1_17partition_subalgoE8ElNS0_10empty_typeEbEEZZNS1_14partition_implILS5_8ELb0ES3_jPlPS6_PKS6_NS0_5tupleIJS9_S6_EEENSD_IJSA_SA_EEENS0_18inequality_wrapperIZN2at6native12_GLOBAL__N_124unique_dim_cuda_templateIjEESt5tupleIJNSH_6TensorESM_SM_EERKSM_lbbbEUlllE0_EEPmJS6_EEE10hipError_tPvRmT3_T4_T5_T6_T7_T9_mT8_P12ihipStream_tbDpT10_ENKUlT_T0_E_clISt17integral_constantIbLb1EES1C_EEDaS17_S18_EUlS17_E_NS1_11comp_targetILNS1_3genE10ELNS1_11target_archE1200ELNS1_3gpuE4ELNS1_3repE0EEENS1_30default_config_static_selectorELNS0_4arch9wavefront6targetE0EEEvT1_,"axG",@progbits,_ZN7rocprim17ROCPRIM_400000_NS6detail17trampoline_kernelINS0_14default_configENS1_25partition_config_selectorILNS1_17partition_subalgoE8ElNS0_10empty_typeEbEEZZNS1_14partition_implILS5_8ELb0ES3_jPlPS6_PKS6_NS0_5tupleIJS9_S6_EEENSD_IJSA_SA_EEENS0_18inequality_wrapperIZN2at6native12_GLOBAL__N_124unique_dim_cuda_templateIjEESt5tupleIJNSH_6TensorESM_SM_EERKSM_lbbbEUlllE0_EEPmJS6_EEE10hipError_tPvRmT3_T4_T5_T6_T7_T9_mT8_P12ihipStream_tbDpT10_ENKUlT_T0_E_clISt17integral_constantIbLb1EES1C_EEDaS17_S18_EUlS17_E_NS1_11comp_targetILNS1_3genE10ELNS1_11target_archE1200ELNS1_3gpuE4ELNS1_3repE0EEENS1_30default_config_static_selectorELNS0_4arch9wavefront6targetE0EEEvT1_,comdat
	.globl	_ZN7rocprim17ROCPRIM_400000_NS6detail17trampoline_kernelINS0_14default_configENS1_25partition_config_selectorILNS1_17partition_subalgoE8ElNS0_10empty_typeEbEEZZNS1_14partition_implILS5_8ELb0ES3_jPlPS6_PKS6_NS0_5tupleIJS9_S6_EEENSD_IJSA_SA_EEENS0_18inequality_wrapperIZN2at6native12_GLOBAL__N_124unique_dim_cuda_templateIjEESt5tupleIJNSH_6TensorESM_SM_EERKSM_lbbbEUlllE0_EEPmJS6_EEE10hipError_tPvRmT3_T4_T5_T6_T7_T9_mT8_P12ihipStream_tbDpT10_ENKUlT_T0_E_clISt17integral_constantIbLb1EES1C_EEDaS17_S18_EUlS17_E_NS1_11comp_targetILNS1_3genE10ELNS1_11target_archE1200ELNS1_3gpuE4ELNS1_3repE0EEENS1_30default_config_static_selectorELNS0_4arch9wavefront6targetE0EEEvT1_ ; -- Begin function _ZN7rocprim17ROCPRIM_400000_NS6detail17trampoline_kernelINS0_14default_configENS1_25partition_config_selectorILNS1_17partition_subalgoE8ElNS0_10empty_typeEbEEZZNS1_14partition_implILS5_8ELb0ES3_jPlPS6_PKS6_NS0_5tupleIJS9_S6_EEENSD_IJSA_SA_EEENS0_18inequality_wrapperIZN2at6native12_GLOBAL__N_124unique_dim_cuda_templateIjEESt5tupleIJNSH_6TensorESM_SM_EERKSM_lbbbEUlllE0_EEPmJS6_EEE10hipError_tPvRmT3_T4_T5_T6_T7_T9_mT8_P12ihipStream_tbDpT10_ENKUlT_T0_E_clISt17integral_constantIbLb1EES1C_EEDaS17_S18_EUlS17_E_NS1_11comp_targetILNS1_3genE10ELNS1_11target_archE1200ELNS1_3gpuE4ELNS1_3repE0EEENS1_30default_config_static_selectorELNS0_4arch9wavefront6targetE0EEEvT1_
	.p2align	8
	.type	_ZN7rocprim17ROCPRIM_400000_NS6detail17trampoline_kernelINS0_14default_configENS1_25partition_config_selectorILNS1_17partition_subalgoE8ElNS0_10empty_typeEbEEZZNS1_14partition_implILS5_8ELb0ES3_jPlPS6_PKS6_NS0_5tupleIJS9_S6_EEENSD_IJSA_SA_EEENS0_18inequality_wrapperIZN2at6native12_GLOBAL__N_124unique_dim_cuda_templateIjEESt5tupleIJNSH_6TensorESM_SM_EERKSM_lbbbEUlllE0_EEPmJS6_EEE10hipError_tPvRmT3_T4_T5_T6_T7_T9_mT8_P12ihipStream_tbDpT10_ENKUlT_T0_E_clISt17integral_constantIbLb1EES1C_EEDaS17_S18_EUlS17_E_NS1_11comp_targetILNS1_3genE10ELNS1_11target_archE1200ELNS1_3gpuE4ELNS1_3repE0EEENS1_30default_config_static_selectorELNS0_4arch9wavefront6targetE0EEEvT1_,@function
_ZN7rocprim17ROCPRIM_400000_NS6detail17trampoline_kernelINS0_14default_configENS1_25partition_config_selectorILNS1_17partition_subalgoE8ElNS0_10empty_typeEbEEZZNS1_14partition_implILS5_8ELb0ES3_jPlPS6_PKS6_NS0_5tupleIJS9_S6_EEENSD_IJSA_SA_EEENS0_18inequality_wrapperIZN2at6native12_GLOBAL__N_124unique_dim_cuda_templateIjEESt5tupleIJNSH_6TensorESM_SM_EERKSM_lbbbEUlllE0_EEPmJS6_EEE10hipError_tPvRmT3_T4_T5_T6_T7_T9_mT8_P12ihipStream_tbDpT10_ENKUlT_T0_E_clISt17integral_constantIbLb1EES1C_EEDaS17_S18_EUlS17_E_NS1_11comp_targetILNS1_3genE10ELNS1_11target_archE1200ELNS1_3gpuE4ELNS1_3repE0EEENS1_30default_config_static_selectorELNS0_4arch9wavefront6targetE0EEEvT1_: ; @_ZN7rocprim17ROCPRIM_400000_NS6detail17trampoline_kernelINS0_14default_configENS1_25partition_config_selectorILNS1_17partition_subalgoE8ElNS0_10empty_typeEbEEZZNS1_14partition_implILS5_8ELb0ES3_jPlPS6_PKS6_NS0_5tupleIJS9_S6_EEENSD_IJSA_SA_EEENS0_18inequality_wrapperIZN2at6native12_GLOBAL__N_124unique_dim_cuda_templateIjEESt5tupleIJNSH_6TensorESM_SM_EERKSM_lbbbEUlllE0_EEPmJS6_EEE10hipError_tPvRmT3_T4_T5_T6_T7_T9_mT8_P12ihipStream_tbDpT10_ENKUlT_T0_E_clISt17integral_constantIbLb1EES1C_EEDaS17_S18_EUlS17_E_NS1_11comp_targetILNS1_3genE10ELNS1_11target_archE1200ELNS1_3gpuE4ELNS1_3repE0EEENS1_30default_config_static_selectorELNS0_4arch9wavefront6targetE0EEEvT1_
; %bb.0:
	.section	.rodata,"a",@progbits
	.p2align	6, 0x0
	.amdhsa_kernel _ZN7rocprim17ROCPRIM_400000_NS6detail17trampoline_kernelINS0_14default_configENS1_25partition_config_selectorILNS1_17partition_subalgoE8ElNS0_10empty_typeEbEEZZNS1_14partition_implILS5_8ELb0ES3_jPlPS6_PKS6_NS0_5tupleIJS9_S6_EEENSD_IJSA_SA_EEENS0_18inequality_wrapperIZN2at6native12_GLOBAL__N_124unique_dim_cuda_templateIjEESt5tupleIJNSH_6TensorESM_SM_EERKSM_lbbbEUlllE0_EEPmJS6_EEE10hipError_tPvRmT3_T4_T5_T6_T7_T9_mT8_P12ihipStream_tbDpT10_ENKUlT_T0_E_clISt17integral_constantIbLb1EES1C_EEDaS17_S18_EUlS17_E_NS1_11comp_targetILNS1_3genE10ELNS1_11target_archE1200ELNS1_3gpuE4ELNS1_3repE0EEENS1_30default_config_static_selectorELNS0_4arch9wavefront6targetE0EEEvT1_
		.amdhsa_group_segment_fixed_size 0
		.amdhsa_private_segment_fixed_size 0
		.amdhsa_kernarg_size 136
		.amdhsa_user_sgpr_count 2
		.amdhsa_user_sgpr_dispatch_ptr 0
		.amdhsa_user_sgpr_queue_ptr 0
		.amdhsa_user_sgpr_kernarg_segment_ptr 1
		.amdhsa_user_sgpr_dispatch_id 0
		.amdhsa_user_sgpr_kernarg_preload_length 0
		.amdhsa_user_sgpr_kernarg_preload_offset 0
		.amdhsa_user_sgpr_private_segment_size 0
		.amdhsa_wavefront_size32 1
		.amdhsa_uses_dynamic_stack 0
		.amdhsa_enable_private_segment 0
		.amdhsa_system_sgpr_workgroup_id_x 1
		.amdhsa_system_sgpr_workgroup_id_y 0
		.amdhsa_system_sgpr_workgroup_id_z 0
		.amdhsa_system_sgpr_workgroup_info 0
		.amdhsa_system_vgpr_workitem_id 0
		.amdhsa_next_free_vgpr 1
		.amdhsa_next_free_sgpr 1
		.amdhsa_named_barrier_count 0
		.amdhsa_reserve_vcc 0
		.amdhsa_float_round_mode_32 0
		.amdhsa_float_round_mode_16_64 0
		.amdhsa_float_denorm_mode_32 3
		.amdhsa_float_denorm_mode_16_64 3
		.amdhsa_fp16_overflow 0
		.amdhsa_memory_ordered 1
		.amdhsa_forward_progress 1
		.amdhsa_inst_pref_size 0
		.amdhsa_round_robin_scheduling 0
		.amdhsa_exception_fp_ieee_invalid_op 0
		.amdhsa_exception_fp_denorm_src 0
		.amdhsa_exception_fp_ieee_div_zero 0
		.amdhsa_exception_fp_ieee_overflow 0
		.amdhsa_exception_fp_ieee_underflow 0
		.amdhsa_exception_fp_ieee_inexact 0
		.amdhsa_exception_int_div_zero 0
	.end_amdhsa_kernel
	.section	.text._ZN7rocprim17ROCPRIM_400000_NS6detail17trampoline_kernelINS0_14default_configENS1_25partition_config_selectorILNS1_17partition_subalgoE8ElNS0_10empty_typeEbEEZZNS1_14partition_implILS5_8ELb0ES3_jPlPS6_PKS6_NS0_5tupleIJS9_S6_EEENSD_IJSA_SA_EEENS0_18inequality_wrapperIZN2at6native12_GLOBAL__N_124unique_dim_cuda_templateIjEESt5tupleIJNSH_6TensorESM_SM_EERKSM_lbbbEUlllE0_EEPmJS6_EEE10hipError_tPvRmT3_T4_T5_T6_T7_T9_mT8_P12ihipStream_tbDpT10_ENKUlT_T0_E_clISt17integral_constantIbLb1EES1C_EEDaS17_S18_EUlS17_E_NS1_11comp_targetILNS1_3genE10ELNS1_11target_archE1200ELNS1_3gpuE4ELNS1_3repE0EEENS1_30default_config_static_selectorELNS0_4arch9wavefront6targetE0EEEvT1_,"axG",@progbits,_ZN7rocprim17ROCPRIM_400000_NS6detail17trampoline_kernelINS0_14default_configENS1_25partition_config_selectorILNS1_17partition_subalgoE8ElNS0_10empty_typeEbEEZZNS1_14partition_implILS5_8ELb0ES3_jPlPS6_PKS6_NS0_5tupleIJS9_S6_EEENSD_IJSA_SA_EEENS0_18inequality_wrapperIZN2at6native12_GLOBAL__N_124unique_dim_cuda_templateIjEESt5tupleIJNSH_6TensorESM_SM_EERKSM_lbbbEUlllE0_EEPmJS6_EEE10hipError_tPvRmT3_T4_T5_T6_T7_T9_mT8_P12ihipStream_tbDpT10_ENKUlT_T0_E_clISt17integral_constantIbLb1EES1C_EEDaS17_S18_EUlS17_E_NS1_11comp_targetILNS1_3genE10ELNS1_11target_archE1200ELNS1_3gpuE4ELNS1_3repE0EEENS1_30default_config_static_selectorELNS0_4arch9wavefront6targetE0EEEvT1_,comdat
.Lfunc_end1554:
	.size	_ZN7rocprim17ROCPRIM_400000_NS6detail17trampoline_kernelINS0_14default_configENS1_25partition_config_selectorILNS1_17partition_subalgoE8ElNS0_10empty_typeEbEEZZNS1_14partition_implILS5_8ELb0ES3_jPlPS6_PKS6_NS0_5tupleIJS9_S6_EEENSD_IJSA_SA_EEENS0_18inequality_wrapperIZN2at6native12_GLOBAL__N_124unique_dim_cuda_templateIjEESt5tupleIJNSH_6TensorESM_SM_EERKSM_lbbbEUlllE0_EEPmJS6_EEE10hipError_tPvRmT3_T4_T5_T6_T7_T9_mT8_P12ihipStream_tbDpT10_ENKUlT_T0_E_clISt17integral_constantIbLb1EES1C_EEDaS17_S18_EUlS17_E_NS1_11comp_targetILNS1_3genE10ELNS1_11target_archE1200ELNS1_3gpuE4ELNS1_3repE0EEENS1_30default_config_static_selectorELNS0_4arch9wavefront6targetE0EEEvT1_, .Lfunc_end1554-_ZN7rocprim17ROCPRIM_400000_NS6detail17trampoline_kernelINS0_14default_configENS1_25partition_config_selectorILNS1_17partition_subalgoE8ElNS0_10empty_typeEbEEZZNS1_14partition_implILS5_8ELb0ES3_jPlPS6_PKS6_NS0_5tupleIJS9_S6_EEENSD_IJSA_SA_EEENS0_18inequality_wrapperIZN2at6native12_GLOBAL__N_124unique_dim_cuda_templateIjEESt5tupleIJNSH_6TensorESM_SM_EERKSM_lbbbEUlllE0_EEPmJS6_EEE10hipError_tPvRmT3_T4_T5_T6_T7_T9_mT8_P12ihipStream_tbDpT10_ENKUlT_T0_E_clISt17integral_constantIbLb1EES1C_EEDaS17_S18_EUlS17_E_NS1_11comp_targetILNS1_3genE10ELNS1_11target_archE1200ELNS1_3gpuE4ELNS1_3repE0EEENS1_30default_config_static_selectorELNS0_4arch9wavefront6targetE0EEEvT1_
                                        ; -- End function
	.set _ZN7rocprim17ROCPRIM_400000_NS6detail17trampoline_kernelINS0_14default_configENS1_25partition_config_selectorILNS1_17partition_subalgoE8ElNS0_10empty_typeEbEEZZNS1_14partition_implILS5_8ELb0ES3_jPlPS6_PKS6_NS0_5tupleIJS9_S6_EEENSD_IJSA_SA_EEENS0_18inequality_wrapperIZN2at6native12_GLOBAL__N_124unique_dim_cuda_templateIjEESt5tupleIJNSH_6TensorESM_SM_EERKSM_lbbbEUlllE0_EEPmJS6_EEE10hipError_tPvRmT3_T4_T5_T6_T7_T9_mT8_P12ihipStream_tbDpT10_ENKUlT_T0_E_clISt17integral_constantIbLb1EES1C_EEDaS17_S18_EUlS17_E_NS1_11comp_targetILNS1_3genE10ELNS1_11target_archE1200ELNS1_3gpuE4ELNS1_3repE0EEENS1_30default_config_static_selectorELNS0_4arch9wavefront6targetE0EEEvT1_.num_vgpr, 0
	.set _ZN7rocprim17ROCPRIM_400000_NS6detail17trampoline_kernelINS0_14default_configENS1_25partition_config_selectorILNS1_17partition_subalgoE8ElNS0_10empty_typeEbEEZZNS1_14partition_implILS5_8ELb0ES3_jPlPS6_PKS6_NS0_5tupleIJS9_S6_EEENSD_IJSA_SA_EEENS0_18inequality_wrapperIZN2at6native12_GLOBAL__N_124unique_dim_cuda_templateIjEESt5tupleIJNSH_6TensorESM_SM_EERKSM_lbbbEUlllE0_EEPmJS6_EEE10hipError_tPvRmT3_T4_T5_T6_T7_T9_mT8_P12ihipStream_tbDpT10_ENKUlT_T0_E_clISt17integral_constantIbLb1EES1C_EEDaS17_S18_EUlS17_E_NS1_11comp_targetILNS1_3genE10ELNS1_11target_archE1200ELNS1_3gpuE4ELNS1_3repE0EEENS1_30default_config_static_selectorELNS0_4arch9wavefront6targetE0EEEvT1_.num_agpr, 0
	.set _ZN7rocprim17ROCPRIM_400000_NS6detail17trampoline_kernelINS0_14default_configENS1_25partition_config_selectorILNS1_17partition_subalgoE8ElNS0_10empty_typeEbEEZZNS1_14partition_implILS5_8ELb0ES3_jPlPS6_PKS6_NS0_5tupleIJS9_S6_EEENSD_IJSA_SA_EEENS0_18inequality_wrapperIZN2at6native12_GLOBAL__N_124unique_dim_cuda_templateIjEESt5tupleIJNSH_6TensorESM_SM_EERKSM_lbbbEUlllE0_EEPmJS6_EEE10hipError_tPvRmT3_T4_T5_T6_T7_T9_mT8_P12ihipStream_tbDpT10_ENKUlT_T0_E_clISt17integral_constantIbLb1EES1C_EEDaS17_S18_EUlS17_E_NS1_11comp_targetILNS1_3genE10ELNS1_11target_archE1200ELNS1_3gpuE4ELNS1_3repE0EEENS1_30default_config_static_selectorELNS0_4arch9wavefront6targetE0EEEvT1_.numbered_sgpr, 0
	.set _ZN7rocprim17ROCPRIM_400000_NS6detail17trampoline_kernelINS0_14default_configENS1_25partition_config_selectorILNS1_17partition_subalgoE8ElNS0_10empty_typeEbEEZZNS1_14partition_implILS5_8ELb0ES3_jPlPS6_PKS6_NS0_5tupleIJS9_S6_EEENSD_IJSA_SA_EEENS0_18inequality_wrapperIZN2at6native12_GLOBAL__N_124unique_dim_cuda_templateIjEESt5tupleIJNSH_6TensorESM_SM_EERKSM_lbbbEUlllE0_EEPmJS6_EEE10hipError_tPvRmT3_T4_T5_T6_T7_T9_mT8_P12ihipStream_tbDpT10_ENKUlT_T0_E_clISt17integral_constantIbLb1EES1C_EEDaS17_S18_EUlS17_E_NS1_11comp_targetILNS1_3genE10ELNS1_11target_archE1200ELNS1_3gpuE4ELNS1_3repE0EEENS1_30default_config_static_selectorELNS0_4arch9wavefront6targetE0EEEvT1_.num_named_barrier, 0
	.set _ZN7rocprim17ROCPRIM_400000_NS6detail17trampoline_kernelINS0_14default_configENS1_25partition_config_selectorILNS1_17partition_subalgoE8ElNS0_10empty_typeEbEEZZNS1_14partition_implILS5_8ELb0ES3_jPlPS6_PKS6_NS0_5tupleIJS9_S6_EEENSD_IJSA_SA_EEENS0_18inequality_wrapperIZN2at6native12_GLOBAL__N_124unique_dim_cuda_templateIjEESt5tupleIJNSH_6TensorESM_SM_EERKSM_lbbbEUlllE0_EEPmJS6_EEE10hipError_tPvRmT3_T4_T5_T6_T7_T9_mT8_P12ihipStream_tbDpT10_ENKUlT_T0_E_clISt17integral_constantIbLb1EES1C_EEDaS17_S18_EUlS17_E_NS1_11comp_targetILNS1_3genE10ELNS1_11target_archE1200ELNS1_3gpuE4ELNS1_3repE0EEENS1_30default_config_static_selectorELNS0_4arch9wavefront6targetE0EEEvT1_.private_seg_size, 0
	.set _ZN7rocprim17ROCPRIM_400000_NS6detail17trampoline_kernelINS0_14default_configENS1_25partition_config_selectorILNS1_17partition_subalgoE8ElNS0_10empty_typeEbEEZZNS1_14partition_implILS5_8ELb0ES3_jPlPS6_PKS6_NS0_5tupleIJS9_S6_EEENSD_IJSA_SA_EEENS0_18inequality_wrapperIZN2at6native12_GLOBAL__N_124unique_dim_cuda_templateIjEESt5tupleIJNSH_6TensorESM_SM_EERKSM_lbbbEUlllE0_EEPmJS6_EEE10hipError_tPvRmT3_T4_T5_T6_T7_T9_mT8_P12ihipStream_tbDpT10_ENKUlT_T0_E_clISt17integral_constantIbLb1EES1C_EEDaS17_S18_EUlS17_E_NS1_11comp_targetILNS1_3genE10ELNS1_11target_archE1200ELNS1_3gpuE4ELNS1_3repE0EEENS1_30default_config_static_selectorELNS0_4arch9wavefront6targetE0EEEvT1_.uses_vcc, 0
	.set _ZN7rocprim17ROCPRIM_400000_NS6detail17trampoline_kernelINS0_14default_configENS1_25partition_config_selectorILNS1_17partition_subalgoE8ElNS0_10empty_typeEbEEZZNS1_14partition_implILS5_8ELb0ES3_jPlPS6_PKS6_NS0_5tupleIJS9_S6_EEENSD_IJSA_SA_EEENS0_18inequality_wrapperIZN2at6native12_GLOBAL__N_124unique_dim_cuda_templateIjEESt5tupleIJNSH_6TensorESM_SM_EERKSM_lbbbEUlllE0_EEPmJS6_EEE10hipError_tPvRmT3_T4_T5_T6_T7_T9_mT8_P12ihipStream_tbDpT10_ENKUlT_T0_E_clISt17integral_constantIbLb1EES1C_EEDaS17_S18_EUlS17_E_NS1_11comp_targetILNS1_3genE10ELNS1_11target_archE1200ELNS1_3gpuE4ELNS1_3repE0EEENS1_30default_config_static_selectorELNS0_4arch9wavefront6targetE0EEEvT1_.uses_flat_scratch, 0
	.set _ZN7rocprim17ROCPRIM_400000_NS6detail17trampoline_kernelINS0_14default_configENS1_25partition_config_selectorILNS1_17partition_subalgoE8ElNS0_10empty_typeEbEEZZNS1_14partition_implILS5_8ELb0ES3_jPlPS6_PKS6_NS0_5tupleIJS9_S6_EEENSD_IJSA_SA_EEENS0_18inequality_wrapperIZN2at6native12_GLOBAL__N_124unique_dim_cuda_templateIjEESt5tupleIJNSH_6TensorESM_SM_EERKSM_lbbbEUlllE0_EEPmJS6_EEE10hipError_tPvRmT3_T4_T5_T6_T7_T9_mT8_P12ihipStream_tbDpT10_ENKUlT_T0_E_clISt17integral_constantIbLb1EES1C_EEDaS17_S18_EUlS17_E_NS1_11comp_targetILNS1_3genE10ELNS1_11target_archE1200ELNS1_3gpuE4ELNS1_3repE0EEENS1_30default_config_static_selectorELNS0_4arch9wavefront6targetE0EEEvT1_.has_dyn_sized_stack, 0
	.set _ZN7rocprim17ROCPRIM_400000_NS6detail17trampoline_kernelINS0_14default_configENS1_25partition_config_selectorILNS1_17partition_subalgoE8ElNS0_10empty_typeEbEEZZNS1_14partition_implILS5_8ELb0ES3_jPlPS6_PKS6_NS0_5tupleIJS9_S6_EEENSD_IJSA_SA_EEENS0_18inequality_wrapperIZN2at6native12_GLOBAL__N_124unique_dim_cuda_templateIjEESt5tupleIJNSH_6TensorESM_SM_EERKSM_lbbbEUlllE0_EEPmJS6_EEE10hipError_tPvRmT3_T4_T5_T6_T7_T9_mT8_P12ihipStream_tbDpT10_ENKUlT_T0_E_clISt17integral_constantIbLb1EES1C_EEDaS17_S18_EUlS17_E_NS1_11comp_targetILNS1_3genE10ELNS1_11target_archE1200ELNS1_3gpuE4ELNS1_3repE0EEENS1_30default_config_static_selectorELNS0_4arch9wavefront6targetE0EEEvT1_.has_recursion, 0
	.set _ZN7rocprim17ROCPRIM_400000_NS6detail17trampoline_kernelINS0_14default_configENS1_25partition_config_selectorILNS1_17partition_subalgoE8ElNS0_10empty_typeEbEEZZNS1_14partition_implILS5_8ELb0ES3_jPlPS6_PKS6_NS0_5tupleIJS9_S6_EEENSD_IJSA_SA_EEENS0_18inequality_wrapperIZN2at6native12_GLOBAL__N_124unique_dim_cuda_templateIjEESt5tupleIJNSH_6TensorESM_SM_EERKSM_lbbbEUlllE0_EEPmJS6_EEE10hipError_tPvRmT3_T4_T5_T6_T7_T9_mT8_P12ihipStream_tbDpT10_ENKUlT_T0_E_clISt17integral_constantIbLb1EES1C_EEDaS17_S18_EUlS17_E_NS1_11comp_targetILNS1_3genE10ELNS1_11target_archE1200ELNS1_3gpuE4ELNS1_3repE0EEENS1_30default_config_static_selectorELNS0_4arch9wavefront6targetE0EEEvT1_.has_indirect_call, 0
	.section	.AMDGPU.csdata,"",@progbits
; Kernel info:
; codeLenInByte = 0
; TotalNumSgprs: 0
; NumVgprs: 0
; ScratchSize: 0
; MemoryBound: 0
; FloatMode: 240
; IeeeMode: 1
; LDSByteSize: 0 bytes/workgroup (compile time only)
; SGPRBlocks: 0
; VGPRBlocks: 0
; NumSGPRsForWavesPerEU: 1
; NumVGPRsForWavesPerEU: 1
; NamedBarCnt: 0
; Occupancy: 16
; WaveLimiterHint : 0
; COMPUTE_PGM_RSRC2:SCRATCH_EN: 0
; COMPUTE_PGM_RSRC2:USER_SGPR: 2
; COMPUTE_PGM_RSRC2:TRAP_HANDLER: 0
; COMPUTE_PGM_RSRC2:TGID_X_EN: 1
; COMPUTE_PGM_RSRC2:TGID_Y_EN: 0
; COMPUTE_PGM_RSRC2:TGID_Z_EN: 0
; COMPUTE_PGM_RSRC2:TIDIG_COMP_CNT: 0
	.section	.text._ZN7rocprim17ROCPRIM_400000_NS6detail17trampoline_kernelINS0_14default_configENS1_25partition_config_selectorILNS1_17partition_subalgoE8ElNS0_10empty_typeEbEEZZNS1_14partition_implILS5_8ELb0ES3_jPlPS6_PKS6_NS0_5tupleIJS9_S6_EEENSD_IJSA_SA_EEENS0_18inequality_wrapperIZN2at6native12_GLOBAL__N_124unique_dim_cuda_templateIjEESt5tupleIJNSH_6TensorESM_SM_EERKSM_lbbbEUlllE0_EEPmJS6_EEE10hipError_tPvRmT3_T4_T5_T6_T7_T9_mT8_P12ihipStream_tbDpT10_ENKUlT_T0_E_clISt17integral_constantIbLb1EES1C_EEDaS17_S18_EUlS17_E_NS1_11comp_targetILNS1_3genE9ELNS1_11target_archE1100ELNS1_3gpuE3ELNS1_3repE0EEENS1_30default_config_static_selectorELNS0_4arch9wavefront6targetE0EEEvT1_,"axG",@progbits,_ZN7rocprim17ROCPRIM_400000_NS6detail17trampoline_kernelINS0_14default_configENS1_25partition_config_selectorILNS1_17partition_subalgoE8ElNS0_10empty_typeEbEEZZNS1_14partition_implILS5_8ELb0ES3_jPlPS6_PKS6_NS0_5tupleIJS9_S6_EEENSD_IJSA_SA_EEENS0_18inequality_wrapperIZN2at6native12_GLOBAL__N_124unique_dim_cuda_templateIjEESt5tupleIJNSH_6TensorESM_SM_EERKSM_lbbbEUlllE0_EEPmJS6_EEE10hipError_tPvRmT3_T4_T5_T6_T7_T9_mT8_P12ihipStream_tbDpT10_ENKUlT_T0_E_clISt17integral_constantIbLb1EES1C_EEDaS17_S18_EUlS17_E_NS1_11comp_targetILNS1_3genE9ELNS1_11target_archE1100ELNS1_3gpuE3ELNS1_3repE0EEENS1_30default_config_static_selectorELNS0_4arch9wavefront6targetE0EEEvT1_,comdat
	.globl	_ZN7rocprim17ROCPRIM_400000_NS6detail17trampoline_kernelINS0_14default_configENS1_25partition_config_selectorILNS1_17partition_subalgoE8ElNS0_10empty_typeEbEEZZNS1_14partition_implILS5_8ELb0ES3_jPlPS6_PKS6_NS0_5tupleIJS9_S6_EEENSD_IJSA_SA_EEENS0_18inequality_wrapperIZN2at6native12_GLOBAL__N_124unique_dim_cuda_templateIjEESt5tupleIJNSH_6TensorESM_SM_EERKSM_lbbbEUlllE0_EEPmJS6_EEE10hipError_tPvRmT3_T4_T5_T6_T7_T9_mT8_P12ihipStream_tbDpT10_ENKUlT_T0_E_clISt17integral_constantIbLb1EES1C_EEDaS17_S18_EUlS17_E_NS1_11comp_targetILNS1_3genE9ELNS1_11target_archE1100ELNS1_3gpuE3ELNS1_3repE0EEENS1_30default_config_static_selectorELNS0_4arch9wavefront6targetE0EEEvT1_ ; -- Begin function _ZN7rocprim17ROCPRIM_400000_NS6detail17trampoline_kernelINS0_14default_configENS1_25partition_config_selectorILNS1_17partition_subalgoE8ElNS0_10empty_typeEbEEZZNS1_14partition_implILS5_8ELb0ES3_jPlPS6_PKS6_NS0_5tupleIJS9_S6_EEENSD_IJSA_SA_EEENS0_18inequality_wrapperIZN2at6native12_GLOBAL__N_124unique_dim_cuda_templateIjEESt5tupleIJNSH_6TensorESM_SM_EERKSM_lbbbEUlllE0_EEPmJS6_EEE10hipError_tPvRmT3_T4_T5_T6_T7_T9_mT8_P12ihipStream_tbDpT10_ENKUlT_T0_E_clISt17integral_constantIbLb1EES1C_EEDaS17_S18_EUlS17_E_NS1_11comp_targetILNS1_3genE9ELNS1_11target_archE1100ELNS1_3gpuE3ELNS1_3repE0EEENS1_30default_config_static_selectorELNS0_4arch9wavefront6targetE0EEEvT1_
	.p2align	8
	.type	_ZN7rocprim17ROCPRIM_400000_NS6detail17trampoline_kernelINS0_14default_configENS1_25partition_config_selectorILNS1_17partition_subalgoE8ElNS0_10empty_typeEbEEZZNS1_14partition_implILS5_8ELb0ES3_jPlPS6_PKS6_NS0_5tupleIJS9_S6_EEENSD_IJSA_SA_EEENS0_18inequality_wrapperIZN2at6native12_GLOBAL__N_124unique_dim_cuda_templateIjEESt5tupleIJNSH_6TensorESM_SM_EERKSM_lbbbEUlllE0_EEPmJS6_EEE10hipError_tPvRmT3_T4_T5_T6_T7_T9_mT8_P12ihipStream_tbDpT10_ENKUlT_T0_E_clISt17integral_constantIbLb1EES1C_EEDaS17_S18_EUlS17_E_NS1_11comp_targetILNS1_3genE9ELNS1_11target_archE1100ELNS1_3gpuE3ELNS1_3repE0EEENS1_30default_config_static_selectorELNS0_4arch9wavefront6targetE0EEEvT1_,@function
_ZN7rocprim17ROCPRIM_400000_NS6detail17trampoline_kernelINS0_14default_configENS1_25partition_config_selectorILNS1_17partition_subalgoE8ElNS0_10empty_typeEbEEZZNS1_14partition_implILS5_8ELb0ES3_jPlPS6_PKS6_NS0_5tupleIJS9_S6_EEENSD_IJSA_SA_EEENS0_18inequality_wrapperIZN2at6native12_GLOBAL__N_124unique_dim_cuda_templateIjEESt5tupleIJNSH_6TensorESM_SM_EERKSM_lbbbEUlllE0_EEPmJS6_EEE10hipError_tPvRmT3_T4_T5_T6_T7_T9_mT8_P12ihipStream_tbDpT10_ENKUlT_T0_E_clISt17integral_constantIbLb1EES1C_EEDaS17_S18_EUlS17_E_NS1_11comp_targetILNS1_3genE9ELNS1_11target_archE1100ELNS1_3gpuE3ELNS1_3repE0EEENS1_30default_config_static_selectorELNS0_4arch9wavefront6targetE0EEEvT1_: ; @_ZN7rocprim17ROCPRIM_400000_NS6detail17trampoline_kernelINS0_14default_configENS1_25partition_config_selectorILNS1_17partition_subalgoE8ElNS0_10empty_typeEbEEZZNS1_14partition_implILS5_8ELb0ES3_jPlPS6_PKS6_NS0_5tupleIJS9_S6_EEENSD_IJSA_SA_EEENS0_18inequality_wrapperIZN2at6native12_GLOBAL__N_124unique_dim_cuda_templateIjEESt5tupleIJNSH_6TensorESM_SM_EERKSM_lbbbEUlllE0_EEPmJS6_EEE10hipError_tPvRmT3_T4_T5_T6_T7_T9_mT8_P12ihipStream_tbDpT10_ENKUlT_T0_E_clISt17integral_constantIbLb1EES1C_EEDaS17_S18_EUlS17_E_NS1_11comp_targetILNS1_3genE9ELNS1_11target_archE1100ELNS1_3gpuE3ELNS1_3repE0EEENS1_30default_config_static_selectorELNS0_4arch9wavefront6targetE0EEEvT1_
; %bb.0:
	.section	.rodata,"a",@progbits
	.p2align	6, 0x0
	.amdhsa_kernel _ZN7rocprim17ROCPRIM_400000_NS6detail17trampoline_kernelINS0_14default_configENS1_25partition_config_selectorILNS1_17partition_subalgoE8ElNS0_10empty_typeEbEEZZNS1_14partition_implILS5_8ELb0ES3_jPlPS6_PKS6_NS0_5tupleIJS9_S6_EEENSD_IJSA_SA_EEENS0_18inequality_wrapperIZN2at6native12_GLOBAL__N_124unique_dim_cuda_templateIjEESt5tupleIJNSH_6TensorESM_SM_EERKSM_lbbbEUlllE0_EEPmJS6_EEE10hipError_tPvRmT3_T4_T5_T6_T7_T9_mT8_P12ihipStream_tbDpT10_ENKUlT_T0_E_clISt17integral_constantIbLb1EES1C_EEDaS17_S18_EUlS17_E_NS1_11comp_targetILNS1_3genE9ELNS1_11target_archE1100ELNS1_3gpuE3ELNS1_3repE0EEENS1_30default_config_static_selectorELNS0_4arch9wavefront6targetE0EEEvT1_
		.amdhsa_group_segment_fixed_size 0
		.amdhsa_private_segment_fixed_size 0
		.amdhsa_kernarg_size 136
		.amdhsa_user_sgpr_count 2
		.amdhsa_user_sgpr_dispatch_ptr 0
		.amdhsa_user_sgpr_queue_ptr 0
		.amdhsa_user_sgpr_kernarg_segment_ptr 1
		.amdhsa_user_sgpr_dispatch_id 0
		.amdhsa_user_sgpr_kernarg_preload_length 0
		.amdhsa_user_sgpr_kernarg_preload_offset 0
		.amdhsa_user_sgpr_private_segment_size 0
		.amdhsa_wavefront_size32 1
		.amdhsa_uses_dynamic_stack 0
		.amdhsa_enable_private_segment 0
		.amdhsa_system_sgpr_workgroup_id_x 1
		.amdhsa_system_sgpr_workgroup_id_y 0
		.amdhsa_system_sgpr_workgroup_id_z 0
		.amdhsa_system_sgpr_workgroup_info 0
		.amdhsa_system_vgpr_workitem_id 0
		.amdhsa_next_free_vgpr 1
		.amdhsa_next_free_sgpr 1
		.amdhsa_named_barrier_count 0
		.amdhsa_reserve_vcc 0
		.amdhsa_float_round_mode_32 0
		.amdhsa_float_round_mode_16_64 0
		.amdhsa_float_denorm_mode_32 3
		.amdhsa_float_denorm_mode_16_64 3
		.amdhsa_fp16_overflow 0
		.amdhsa_memory_ordered 1
		.amdhsa_forward_progress 1
		.amdhsa_inst_pref_size 0
		.amdhsa_round_robin_scheduling 0
		.amdhsa_exception_fp_ieee_invalid_op 0
		.amdhsa_exception_fp_denorm_src 0
		.amdhsa_exception_fp_ieee_div_zero 0
		.amdhsa_exception_fp_ieee_overflow 0
		.amdhsa_exception_fp_ieee_underflow 0
		.amdhsa_exception_fp_ieee_inexact 0
		.amdhsa_exception_int_div_zero 0
	.end_amdhsa_kernel
	.section	.text._ZN7rocprim17ROCPRIM_400000_NS6detail17trampoline_kernelINS0_14default_configENS1_25partition_config_selectorILNS1_17partition_subalgoE8ElNS0_10empty_typeEbEEZZNS1_14partition_implILS5_8ELb0ES3_jPlPS6_PKS6_NS0_5tupleIJS9_S6_EEENSD_IJSA_SA_EEENS0_18inequality_wrapperIZN2at6native12_GLOBAL__N_124unique_dim_cuda_templateIjEESt5tupleIJNSH_6TensorESM_SM_EERKSM_lbbbEUlllE0_EEPmJS6_EEE10hipError_tPvRmT3_T4_T5_T6_T7_T9_mT8_P12ihipStream_tbDpT10_ENKUlT_T0_E_clISt17integral_constantIbLb1EES1C_EEDaS17_S18_EUlS17_E_NS1_11comp_targetILNS1_3genE9ELNS1_11target_archE1100ELNS1_3gpuE3ELNS1_3repE0EEENS1_30default_config_static_selectorELNS0_4arch9wavefront6targetE0EEEvT1_,"axG",@progbits,_ZN7rocprim17ROCPRIM_400000_NS6detail17trampoline_kernelINS0_14default_configENS1_25partition_config_selectorILNS1_17partition_subalgoE8ElNS0_10empty_typeEbEEZZNS1_14partition_implILS5_8ELb0ES3_jPlPS6_PKS6_NS0_5tupleIJS9_S6_EEENSD_IJSA_SA_EEENS0_18inequality_wrapperIZN2at6native12_GLOBAL__N_124unique_dim_cuda_templateIjEESt5tupleIJNSH_6TensorESM_SM_EERKSM_lbbbEUlllE0_EEPmJS6_EEE10hipError_tPvRmT3_T4_T5_T6_T7_T9_mT8_P12ihipStream_tbDpT10_ENKUlT_T0_E_clISt17integral_constantIbLb1EES1C_EEDaS17_S18_EUlS17_E_NS1_11comp_targetILNS1_3genE9ELNS1_11target_archE1100ELNS1_3gpuE3ELNS1_3repE0EEENS1_30default_config_static_selectorELNS0_4arch9wavefront6targetE0EEEvT1_,comdat
.Lfunc_end1555:
	.size	_ZN7rocprim17ROCPRIM_400000_NS6detail17trampoline_kernelINS0_14default_configENS1_25partition_config_selectorILNS1_17partition_subalgoE8ElNS0_10empty_typeEbEEZZNS1_14partition_implILS5_8ELb0ES3_jPlPS6_PKS6_NS0_5tupleIJS9_S6_EEENSD_IJSA_SA_EEENS0_18inequality_wrapperIZN2at6native12_GLOBAL__N_124unique_dim_cuda_templateIjEESt5tupleIJNSH_6TensorESM_SM_EERKSM_lbbbEUlllE0_EEPmJS6_EEE10hipError_tPvRmT3_T4_T5_T6_T7_T9_mT8_P12ihipStream_tbDpT10_ENKUlT_T0_E_clISt17integral_constantIbLb1EES1C_EEDaS17_S18_EUlS17_E_NS1_11comp_targetILNS1_3genE9ELNS1_11target_archE1100ELNS1_3gpuE3ELNS1_3repE0EEENS1_30default_config_static_selectorELNS0_4arch9wavefront6targetE0EEEvT1_, .Lfunc_end1555-_ZN7rocprim17ROCPRIM_400000_NS6detail17trampoline_kernelINS0_14default_configENS1_25partition_config_selectorILNS1_17partition_subalgoE8ElNS0_10empty_typeEbEEZZNS1_14partition_implILS5_8ELb0ES3_jPlPS6_PKS6_NS0_5tupleIJS9_S6_EEENSD_IJSA_SA_EEENS0_18inequality_wrapperIZN2at6native12_GLOBAL__N_124unique_dim_cuda_templateIjEESt5tupleIJNSH_6TensorESM_SM_EERKSM_lbbbEUlllE0_EEPmJS6_EEE10hipError_tPvRmT3_T4_T5_T6_T7_T9_mT8_P12ihipStream_tbDpT10_ENKUlT_T0_E_clISt17integral_constantIbLb1EES1C_EEDaS17_S18_EUlS17_E_NS1_11comp_targetILNS1_3genE9ELNS1_11target_archE1100ELNS1_3gpuE3ELNS1_3repE0EEENS1_30default_config_static_selectorELNS0_4arch9wavefront6targetE0EEEvT1_
                                        ; -- End function
	.set _ZN7rocprim17ROCPRIM_400000_NS6detail17trampoline_kernelINS0_14default_configENS1_25partition_config_selectorILNS1_17partition_subalgoE8ElNS0_10empty_typeEbEEZZNS1_14partition_implILS5_8ELb0ES3_jPlPS6_PKS6_NS0_5tupleIJS9_S6_EEENSD_IJSA_SA_EEENS0_18inequality_wrapperIZN2at6native12_GLOBAL__N_124unique_dim_cuda_templateIjEESt5tupleIJNSH_6TensorESM_SM_EERKSM_lbbbEUlllE0_EEPmJS6_EEE10hipError_tPvRmT3_T4_T5_T6_T7_T9_mT8_P12ihipStream_tbDpT10_ENKUlT_T0_E_clISt17integral_constantIbLb1EES1C_EEDaS17_S18_EUlS17_E_NS1_11comp_targetILNS1_3genE9ELNS1_11target_archE1100ELNS1_3gpuE3ELNS1_3repE0EEENS1_30default_config_static_selectorELNS0_4arch9wavefront6targetE0EEEvT1_.num_vgpr, 0
	.set _ZN7rocprim17ROCPRIM_400000_NS6detail17trampoline_kernelINS0_14default_configENS1_25partition_config_selectorILNS1_17partition_subalgoE8ElNS0_10empty_typeEbEEZZNS1_14partition_implILS5_8ELb0ES3_jPlPS6_PKS6_NS0_5tupleIJS9_S6_EEENSD_IJSA_SA_EEENS0_18inequality_wrapperIZN2at6native12_GLOBAL__N_124unique_dim_cuda_templateIjEESt5tupleIJNSH_6TensorESM_SM_EERKSM_lbbbEUlllE0_EEPmJS6_EEE10hipError_tPvRmT3_T4_T5_T6_T7_T9_mT8_P12ihipStream_tbDpT10_ENKUlT_T0_E_clISt17integral_constantIbLb1EES1C_EEDaS17_S18_EUlS17_E_NS1_11comp_targetILNS1_3genE9ELNS1_11target_archE1100ELNS1_3gpuE3ELNS1_3repE0EEENS1_30default_config_static_selectorELNS0_4arch9wavefront6targetE0EEEvT1_.num_agpr, 0
	.set _ZN7rocprim17ROCPRIM_400000_NS6detail17trampoline_kernelINS0_14default_configENS1_25partition_config_selectorILNS1_17partition_subalgoE8ElNS0_10empty_typeEbEEZZNS1_14partition_implILS5_8ELb0ES3_jPlPS6_PKS6_NS0_5tupleIJS9_S6_EEENSD_IJSA_SA_EEENS0_18inequality_wrapperIZN2at6native12_GLOBAL__N_124unique_dim_cuda_templateIjEESt5tupleIJNSH_6TensorESM_SM_EERKSM_lbbbEUlllE0_EEPmJS6_EEE10hipError_tPvRmT3_T4_T5_T6_T7_T9_mT8_P12ihipStream_tbDpT10_ENKUlT_T0_E_clISt17integral_constantIbLb1EES1C_EEDaS17_S18_EUlS17_E_NS1_11comp_targetILNS1_3genE9ELNS1_11target_archE1100ELNS1_3gpuE3ELNS1_3repE0EEENS1_30default_config_static_selectorELNS0_4arch9wavefront6targetE0EEEvT1_.numbered_sgpr, 0
	.set _ZN7rocprim17ROCPRIM_400000_NS6detail17trampoline_kernelINS0_14default_configENS1_25partition_config_selectorILNS1_17partition_subalgoE8ElNS0_10empty_typeEbEEZZNS1_14partition_implILS5_8ELb0ES3_jPlPS6_PKS6_NS0_5tupleIJS9_S6_EEENSD_IJSA_SA_EEENS0_18inequality_wrapperIZN2at6native12_GLOBAL__N_124unique_dim_cuda_templateIjEESt5tupleIJNSH_6TensorESM_SM_EERKSM_lbbbEUlllE0_EEPmJS6_EEE10hipError_tPvRmT3_T4_T5_T6_T7_T9_mT8_P12ihipStream_tbDpT10_ENKUlT_T0_E_clISt17integral_constantIbLb1EES1C_EEDaS17_S18_EUlS17_E_NS1_11comp_targetILNS1_3genE9ELNS1_11target_archE1100ELNS1_3gpuE3ELNS1_3repE0EEENS1_30default_config_static_selectorELNS0_4arch9wavefront6targetE0EEEvT1_.num_named_barrier, 0
	.set _ZN7rocprim17ROCPRIM_400000_NS6detail17trampoline_kernelINS0_14default_configENS1_25partition_config_selectorILNS1_17partition_subalgoE8ElNS0_10empty_typeEbEEZZNS1_14partition_implILS5_8ELb0ES3_jPlPS6_PKS6_NS0_5tupleIJS9_S6_EEENSD_IJSA_SA_EEENS0_18inequality_wrapperIZN2at6native12_GLOBAL__N_124unique_dim_cuda_templateIjEESt5tupleIJNSH_6TensorESM_SM_EERKSM_lbbbEUlllE0_EEPmJS6_EEE10hipError_tPvRmT3_T4_T5_T6_T7_T9_mT8_P12ihipStream_tbDpT10_ENKUlT_T0_E_clISt17integral_constantIbLb1EES1C_EEDaS17_S18_EUlS17_E_NS1_11comp_targetILNS1_3genE9ELNS1_11target_archE1100ELNS1_3gpuE3ELNS1_3repE0EEENS1_30default_config_static_selectorELNS0_4arch9wavefront6targetE0EEEvT1_.private_seg_size, 0
	.set _ZN7rocprim17ROCPRIM_400000_NS6detail17trampoline_kernelINS0_14default_configENS1_25partition_config_selectorILNS1_17partition_subalgoE8ElNS0_10empty_typeEbEEZZNS1_14partition_implILS5_8ELb0ES3_jPlPS6_PKS6_NS0_5tupleIJS9_S6_EEENSD_IJSA_SA_EEENS0_18inequality_wrapperIZN2at6native12_GLOBAL__N_124unique_dim_cuda_templateIjEESt5tupleIJNSH_6TensorESM_SM_EERKSM_lbbbEUlllE0_EEPmJS6_EEE10hipError_tPvRmT3_T4_T5_T6_T7_T9_mT8_P12ihipStream_tbDpT10_ENKUlT_T0_E_clISt17integral_constantIbLb1EES1C_EEDaS17_S18_EUlS17_E_NS1_11comp_targetILNS1_3genE9ELNS1_11target_archE1100ELNS1_3gpuE3ELNS1_3repE0EEENS1_30default_config_static_selectorELNS0_4arch9wavefront6targetE0EEEvT1_.uses_vcc, 0
	.set _ZN7rocprim17ROCPRIM_400000_NS6detail17trampoline_kernelINS0_14default_configENS1_25partition_config_selectorILNS1_17partition_subalgoE8ElNS0_10empty_typeEbEEZZNS1_14partition_implILS5_8ELb0ES3_jPlPS6_PKS6_NS0_5tupleIJS9_S6_EEENSD_IJSA_SA_EEENS0_18inequality_wrapperIZN2at6native12_GLOBAL__N_124unique_dim_cuda_templateIjEESt5tupleIJNSH_6TensorESM_SM_EERKSM_lbbbEUlllE0_EEPmJS6_EEE10hipError_tPvRmT3_T4_T5_T6_T7_T9_mT8_P12ihipStream_tbDpT10_ENKUlT_T0_E_clISt17integral_constantIbLb1EES1C_EEDaS17_S18_EUlS17_E_NS1_11comp_targetILNS1_3genE9ELNS1_11target_archE1100ELNS1_3gpuE3ELNS1_3repE0EEENS1_30default_config_static_selectorELNS0_4arch9wavefront6targetE0EEEvT1_.uses_flat_scratch, 0
	.set _ZN7rocprim17ROCPRIM_400000_NS6detail17trampoline_kernelINS0_14default_configENS1_25partition_config_selectorILNS1_17partition_subalgoE8ElNS0_10empty_typeEbEEZZNS1_14partition_implILS5_8ELb0ES3_jPlPS6_PKS6_NS0_5tupleIJS9_S6_EEENSD_IJSA_SA_EEENS0_18inequality_wrapperIZN2at6native12_GLOBAL__N_124unique_dim_cuda_templateIjEESt5tupleIJNSH_6TensorESM_SM_EERKSM_lbbbEUlllE0_EEPmJS6_EEE10hipError_tPvRmT3_T4_T5_T6_T7_T9_mT8_P12ihipStream_tbDpT10_ENKUlT_T0_E_clISt17integral_constantIbLb1EES1C_EEDaS17_S18_EUlS17_E_NS1_11comp_targetILNS1_3genE9ELNS1_11target_archE1100ELNS1_3gpuE3ELNS1_3repE0EEENS1_30default_config_static_selectorELNS0_4arch9wavefront6targetE0EEEvT1_.has_dyn_sized_stack, 0
	.set _ZN7rocprim17ROCPRIM_400000_NS6detail17trampoline_kernelINS0_14default_configENS1_25partition_config_selectorILNS1_17partition_subalgoE8ElNS0_10empty_typeEbEEZZNS1_14partition_implILS5_8ELb0ES3_jPlPS6_PKS6_NS0_5tupleIJS9_S6_EEENSD_IJSA_SA_EEENS0_18inequality_wrapperIZN2at6native12_GLOBAL__N_124unique_dim_cuda_templateIjEESt5tupleIJNSH_6TensorESM_SM_EERKSM_lbbbEUlllE0_EEPmJS6_EEE10hipError_tPvRmT3_T4_T5_T6_T7_T9_mT8_P12ihipStream_tbDpT10_ENKUlT_T0_E_clISt17integral_constantIbLb1EES1C_EEDaS17_S18_EUlS17_E_NS1_11comp_targetILNS1_3genE9ELNS1_11target_archE1100ELNS1_3gpuE3ELNS1_3repE0EEENS1_30default_config_static_selectorELNS0_4arch9wavefront6targetE0EEEvT1_.has_recursion, 0
	.set _ZN7rocprim17ROCPRIM_400000_NS6detail17trampoline_kernelINS0_14default_configENS1_25partition_config_selectorILNS1_17partition_subalgoE8ElNS0_10empty_typeEbEEZZNS1_14partition_implILS5_8ELb0ES3_jPlPS6_PKS6_NS0_5tupleIJS9_S6_EEENSD_IJSA_SA_EEENS0_18inequality_wrapperIZN2at6native12_GLOBAL__N_124unique_dim_cuda_templateIjEESt5tupleIJNSH_6TensorESM_SM_EERKSM_lbbbEUlllE0_EEPmJS6_EEE10hipError_tPvRmT3_T4_T5_T6_T7_T9_mT8_P12ihipStream_tbDpT10_ENKUlT_T0_E_clISt17integral_constantIbLb1EES1C_EEDaS17_S18_EUlS17_E_NS1_11comp_targetILNS1_3genE9ELNS1_11target_archE1100ELNS1_3gpuE3ELNS1_3repE0EEENS1_30default_config_static_selectorELNS0_4arch9wavefront6targetE0EEEvT1_.has_indirect_call, 0
	.section	.AMDGPU.csdata,"",@progbits
; Kernel info:
; codeLenInByte = 0
; TotalNumSgprs: 0
; NumVgprs: 0
; ScratchSize: 0
; MemoryBound: 0
; FloatMode: 240
; IeeeMode: 1
; LDSByteSize: 0 bytes/workgroup (compile time only)
; SGPRBlocks: 0
; VGPRBlocks: 0
; NumSGPRsForWavesPerEU: 1
; NumVGPRsForWavesPerEU: 1
; NamedBarCnt: 0
; Occupancy: 16
; WaveLimiterHint : 0
; COMPUTE_PGM_RSRC2:SCRATCH_EN: 0
; COMPUTE_PGM_RSRC2:USER_SGPR: 2
; COMPUTE_PGM_RSRC2:TRAP_HANDLER: 0
; COMPUTE_PGM_RSRC2:TGID_X_EN: 1
; COMPUTE_PGM_RSRC2:TGID_Y_EN: 0
; COMPUTE_PGM_RSRC2:TGID_Z_EN: 0
; COMPUTE_PGM_RSRC2:TIDIG_COMP_CNT: 0
	.section	.text._ZN7rocprim17ROCPRIM_400000_NS6detail17trampoline_kernelINS0_14default_configENS1_25partition_config_selectorILNS1_17partition_subalgoE8ElNS0_10empty_typeEbEEZZNS1_14partition_implILS5_8ELb0ES3_jPlPS6_PKS6_NS0_5tupleIJS9_S6_EEENSD_IJSA_SA_EEENS0_18inequality_wrapperIZN2at6native12_GLOBAL__N_124unique_dim_cuda_templateIjEESt5tupleIJNSH_6TensorESM_SM_EERKSM_lbbbEUlllE0_EEPmJS6_EEE10hipError_tPvRmT3_T4_T5_T6_T7_T9_mT8_P12ihipStream_tbDpT10_ENKUlT_T0_E_clISt17integral_constantIbLb1EES1C_EEDaS17_S18_EUlS17_E_NS1_11comp_targetILNS1_3genE8ELNS1_11target_archE1030ELNS1_3gpuE2ELNS1_3repE0EEENS1_30default_config_static_selectorELNS0_4arch9wavefront6targetE0EEEvT1_,"axG",@progbits,_ZN7rocprim17ROCPRIM_400000_NS6detail17trampoline_kernelINS0_14default_configENS1_25partition_config_selectorILNS1_17partition_subalgoE8ElNS0_10empty_typeEbEEZZNS1_14partition_implILS5_8ELb0ES3_jPlPS6_PKS6_NS0_5tupleIJS9_S6_EEENSD_IJSA_SA_EEENS0_18inequality_wrapperIZN2at6native12_GLOBAL__N_124unique_dim_cuda_templateIjEESt5tupleIJNSH_6TensorESM_SM_EERKSM_lbbbEUlllE0_EEPmJS6_EEE10hipError_tPvRmT3_T4_T5_T6_T7_T9_mT8_P12ihipStream_tbDpT10_ENKUlT_T0_E_clISt17integral_constantIbLb1EES1C_EEDaS17_S18_EUlS17_E_NS1_11comp_targetILNS1_3genE8ELNS1_11target_archE1030ELNS1_3gpuE2ELNS1_3repE0EEENS1_30default_config_static_selectorELNS0_4arch9wavefront6targetE0EEEvT1_,comdat
	.globl	_ZN7rocprim17ROCPRIM_400000_NS6detail17trampoline_kernelINS0_14default_configENS1_25partition_config_selectorILNS1_17partition_subalgoE8ElNS0_10empty_typeEbEEZZNS1_14partition_implILS5_8ELb0ES3_jPlPS6_PKS6_NS0_5tupleIJS9_S6_EEENSD_IJSA_SA_EEENS0_18inequality_wrapperIZN2at6native12_GLOBAL__N_124unique_dim_cuda_templateIjEESt5tupleIJNSH_6TensorESM_SM_EERKSM_lbbbEUlllE0_EEPmJS6_EEE10hipError_tPvRmT3_T4_T5_T6_T7_T9_mT8_P12ihipStream_tbDpT10_ENKUlT_T0_E_clISt17integral_constantIbLb1EES1C_EEDaS17_S18_EUlS17_E_NS1_11comp_targetILNS1_3genE8ELNS1_11target_archE1030ELNS1_3gpuE2ELNS1_3repE0EEENS1_30default_config_static_selectorELNS0_4arch9wavefront6targetE0EEEvT1_ ; -- Begin function _ZN7rocprim17ROCPRIM_400000_NS6detail17trampoline_kernelINS0_14default_configENS1_25partition_config_selectorILNS1_17partition_subalgoE8ElNS0_10empty_typeEbEEZZNS1_14partition_implILS5_8ELb0ES3_jPlPS6_PKS6_NS0_5tupleIJS9_S6_EEENSD_IJSA_SA_EEENS0_18inequality_wrapperIZN2at6native12_GLOBAL__N_124unique_dim_cuda_templateIjEESt5tupleIJNSH_6TensorESM_SM_EERKSM_lbbbEUlllE0_EEPmJS6_EEE10hipError_tPvRmT3_T4_T5_T6_T7_T9_mT8_P12ihipStream_tbDpT10_ENKUlT_T0_E_clISt17integral_constantIbLb1EES1C_EEDaS17_S18_EUlS17_E_NS1_11comp_targetILNS1_3genE8ELNS1_11target_archE1030ELNS1_3gpuE2ELNS1_3repE0EEENS1_30default_config_static_selectorELNS0_4arch9wavefront6targetE0EEEvT1_
	.p2align	8
	.type	_ZN7rocprim17ROCPRIM_400000_NS6detail17trampoline_kernelINS0_14default_configENS1_25partition_config_selectorILNS1_17partition_subalgoE8ElNS0_10empty_typeEbEEZZNS1_14partition_implILS5_8ELb0ES3_jPlPS6_PKS6_NS0_5tupleIJS9_S6_EEENSD_IJSA_SA_EEENS0_18inequality_wrapperIZN2at6native12_GLOBAL__N_124unique_dim_cuda_templateIjEESt5tupleIJNSH_6TensorESM_SM_EERKSM_lbbbEUlllE0_EEPmJS6_EEE10hipError_tPvRmT3_T4_T5_T6_T7_T9_mT8_P12ihipStream_tbDpT10_ENKUlT_T0_E_clISt17integral_constantIbLb1EES1C_EEDaS17_S18_EUlS17_E_NS1_11comp_targetILNS1_3genE8ELNS1_11target_archE1030ELNS1_3gpuE2ELNS1_3repE0EEENS1_30default_config_static_selectorELNS0_4arch9wavefront6targetE0EEEvT1_,@function
_ZN7rocprim17ROCPRIM_400000_NS6detail17trampoline_kernelINS0_14default_configENS1_25partition_config_selectorILNS1_17partition_subalgoE8ElNS0_10empty_typeEbEEZZNS1_14partition_implILS5_8ELb0ES3_jPlPS6_PKS6_NS0_5tupleIJS9_S6_EEENSD_IJSA_SA_EEENS0_18inequality_wrapperIZN2at6native12_GLOBAL__N_124unique_dim_cuda_templateIjEESt5tupleIJNSH_6TensorESM_SM_EERKSM_lbbbEUlllE0_EEPmJS6_EEE10hipError_tPvRmT3_T4_T5_T6_T7_T9_mT8_P12ihipStream_tbDpT10_ENKUlT_T0_E_clISt17integral_constantIbLb1EES1C_EEDaS17_S18_EUlS17_E_NS1_11comp_targetILNS1_3genE8ELNS1_11target_archE1030ELNS1_3gpuE2ELNS1_3repE0EEENS1_30default_config_static_selectorELNS0_4arch9wavefront6targetE0EEEvT1_: ; @_ZN7rocprim17ROCPRIM_400000_NS6detail17trampoline_kernelINS0_14default_configENS1_25partition_config_selectorILNS1_17partition_subalgoE8ElNS0_10empty_typeEbEEZZNS1_14partition_implILS5_8ELb0ES3_jPlPS6_PKS6_NS0_5tupleIJS9_S6_EEENSD_IJSA_SA_EEENS0_18inequality_wrapperIZN2at6native12_GLOBAL__N_124unique_dim_cuda_templateIjEESt5tupleIJNSH_6TensorESM_SM_EERKSM_lbbbEUlllE0_EEPmJS6_EEE10hipError_tPvRmT3_T4_T5_T6_T7_T9_mT8_P12ihipStream_tbDpT10_ENKUlT_T0_E_clISt17integral_constantIbLb1EES1C_EEDaS17_S18_EUlS17_E_NS1_11comp_targetILNS1_3genE8ELNS1_11target_archE1030ELNS1_3gpuE2ELNS1_3repE0EEENS1_30default_config_static_selectorELNS0_4arch9wavefront6targetE0EEEvT1_
; %bb.0:
	.section	.rodata,"a",@progbits
	.p2align	6, 0x0
	.amdhsa_kernel _ZN7rocprim17ROCPRIM_400000_NS6detail17trampoline_kernelINS0_14default_configENS1_25partition_config_selectorILNS1_17partition_subalgoE8ElNS0_10empty_typeEbEEZZNS1_14partition_implILS5_8ELb0ES3_jPlPS6_PKS6_NS0_5tupleIJS9_S6_EEENSD_IJSA_SA_EEENS0_18inequality_wrapperIZN2at6native12_GLOBAL__N_124unique_dim_cuda_templateIjEESt5tupleIJNSH_6TensorESM_SM_EERKSM_lbbbEUlllE0_EEPmJS6_EEE10hipError_tPvRmT3_T4_T5_T6_T7_T9_mT8_P12ihipStream_tbDpT10_ENKUlT_T0_E_clISt17integral_constantIbLb1EES1C_EEDaS17_S18_EUlS17_E_NS1_11comp_targetILNS1_3genE8ELNS1_11target_archE1030ELNS1_3gpuE2ELNS1_3repE0EEENS1_30default_config_static_selectorELNS0_4arch9wavefront6targetE0EEEvT1_
		.amdhsa_group_segment_fixed_size 0
		.amdhsa_private_segment_fixed_size 0
		.amdhsa_kernarg_size 136
		.amdhsa_user_sgpr_count 2
		.amdhsa_user_sgpr_dispatch_ptr 0
		.amdhsa_user_sgpr_queue_ptr 0
		.amdhsa_user_sgpr_kernarg_segment_ptr 1
		.amdhsa_user_sgpr_dispatch_id 0
		.amdhsa_user_sgpr_kernarg_preload_length 0
		.amdhsa_user_sgpr_kernarg_preload_offset 0
		.amdhsa_user_sgpr_private_segment_size 0
		.amdhsa_wavefront_size32 1
		.amdhsa_uses_dynamic_stack 0
		.amdhsa_enable_private_segment 0
		.amdhsa_system_sgpr_workgroup_id_x 1
		.amdhsa_system_sgpr_workgroup_id_y 0
		.amdhsa_system_sgpr_workgroup_id_z 0
		.amdhsa_system_sgpr_workgroup_info 0
		.amdhsa_system_vgpr_workitem_id 0
		.amdhsa_next_free_vgpr 1
		.amdhsa_next_free_sgpr 1
		.amdhsa_named_barrier_count 0
		.amdhsa_reserve_vcc 0
		.amdhsa_float_round_mode_32 0
		.amdhsa_float_round_mode_16_64 0
		.amdhsa_float_denorm_mode_32 3
		.amdhsa_float_denorm_mode_16_64 3
		.amdhsa_fp16_overflow 0
		.amdhsa_memory_ordered 1
		.amdhsa_forward_progress 1
		.amdhsa_inst_pref_size 0
		.amdhsa_round_robin_scheduling 0
		.amdhsa_exception_fp_ieee_invalid_op 0
		.amdhsa_exception_fp_denorm_src 0
		.amdhsa_exception_fp_ieee_div_zero 0
		.amdhsa_exception_fp_ieee_overflow 0
		.amdhsa_exception_fp_ieee_underflow 0
		.amdhsa_exception_fp_ieee_inexact 0
		.amdhsa_exception_int_div_zero 0
	.end_amdhsa_kernel
	.section	.text._ZN7rocprim17ROCPRIM_400000_NS6detail17trampoline_kernelINS0_14default_configENS1_25partition_config_selectorILNS1_17partition_subalgoE8ElNS0_10empty_typeEbEEZZNS1_14partition_implILS5_8ELb0ES3_jPlPS6_PKS6_NS0_5tupleIJS9_S6_EEENSD_IJSA_SA_EEENS0_18inequality_wrapperIZN2at6native12_GLOBAL__N_124unique_dim_cuda_templateIjEESt5tupleIJNSH_6TensorESM_SM_EERKSM_lbbbEUlllE0_EEPmJS6_EEE10hipError_tPvRmT3_T4_T5_T6_T7_T9_mT8_P12ihipStream_tbDpT10_ENKUlT_T0_E_clISt17integral_constantIbLb1EES1C_EEDaS17_S18_EUlS17_E_NS1_11comp_targetILNS1_3genE8ELNS1_11target_archE1030ELNS1_3gpuE2ELNS1_3repE0EEENS1_30default_config_static_selectorELNS0_4arch9wavefront6targetE0EEEvT1_,"axG",@progbits,_ZN7rocprim17ROCPRIM_400000_NS6detail17trampoline_kernelINS0_14default_configENS1_25partition_config_selectorILNS1_17partition_subalgoE8ElNS0_10empty_typeEbEEZZNS1_14partition_implILS5_8ELb0ES3_jPlPS6_PKS6_NS0_5tupleIJS9_S6_EEENSD_IJSA_SA_EEENS0_18inequality_wrapperIZN2at6native12_GLOBAL__N_124unique_dim_cuda_templateIjEESt5tupleIJNSH_6TensorESM_SM_EERKSM_lbbbEUlllE0_EEPmJS6_EEE10hipError_tPvRmT3_T4_T5_T6_T7_T9_mT8_P12ihipStream_tbDpT10_ENKUlT_T0_E_clISt17integral_constantIbLb1EES1C_EEDaS17_S18_EUlS17_E_NS1_11comp_targetILNS1_3genE8ELNS1_11target_archE1030ELNS1_3gpuE2ELNS1_3repE0EEENS1_30default_config_static_selectorELNS0_4arch9wavefront6targetE0EEEvT1_,comdat
.Lfunc_end1556:
	.size	_ZN7rocprim17ROCPRIM_400000_NS6detail17trampoline_kernelINS0_14default_configENS1_25partition_config_selectorILNS1_17partition_subalgoE8ElNS0_10empty_typeEbEEZZNS1_14partition_implILS5_8ELb0ES3_jPlPS6_PKS6_NS0_5tupleIJS9_S6_EEENSD_IJSA_SA_EEENS0_18inequality_wrapperIZN2at6native12_GLOBAL__N_124unique_dim_cuda_templateIjEESt5tupleIJNSH_6TensorESM_SM_EERKSM_lbbbEUlllE0_EEPmJS6_EEE10hipError_tPvRmT3_T4_T5_T6_T7_T9_mT8_P12ihipStream_tbDpT10_ENKUlT_T0_E_clISt17integral_constantIbLb1EES1C_EEDaS17_S18_EUlS17_E_NS1_11comp_targetILNS1_3genE8ELNS1_11target_archE1030ELNS1_3gpuE2ELNS1_3repE0EEENS1_30default_config_static_selectorELNS0_4arch9wavefront6targetE0EEEvT1_, .Lfunc_end1556-_ZN7rocprim17ROCPRIM_400000_NS6detail17trampoline_kernelINS0_14default_configENS1_25partition_config_selectorILNS1_17partition_subalgoE8ElNS0_10empty_typeEbEEZZNS1_14partition_implILS5_8ELb0ES3_jPlPS6_PKS6_NS0_5tupleIJS9_S6_EEENSD_IJSA_SA_EEENS0_18inequality_wrapperIZN2at6native12_GLOBAL__N_124unique_dim_cuda_templateIjEESt5tupleIJNSH_6TensorESM_SM_EERKSM_lbbbEUlllE0_EEPmJS6_EEE10hipError_tPvRmT3_T4_T5_T6_T7_T9_mT8_P12ihipStream_tbDpT10_ENKUlT_T0_E_clISt17integral_constantIbLb1EES1C_EEDaS17_S18_EUlS17_E_NS1_11comp_targetILNS1_3genE8ELNS1_11target_archE1030ELNS1_3gpuE2ELNS1_3repE0EEENS1_30default_config_static_selectorELNS0_4arch9wavefront6targetE0EEEvT1_
                                        ; -- End function
	.set _ZN7rocprim17ROCPRIM_400000_NS6detail17trampoline_kernelINS0_14default_configENS1_25partition_config_selectorILNS1_17partition_subalgoE8ElNS0_10empty_typeEbEEZZNS1_14partition_implILS5_8ELb0ES3_jPlPS6_PKS6_NS0_5tupleIJS9_S6_EEENSD_IJSA_SA_EEENS0_18inequality_wrapperIZN2at6native12_GLOBAL__N_124unique_dim_cuda_templateIjEESt5tupleIJNSH_6TensorESM_SM_EERKSM_lbbbEUlllE0_EEPmJS6_EEE10hipError_tPvRmT3_T4_T5_T6_T7_T9_mT8_P12ihipStream_tbDpT10_ENKUlT_T0_E_clISt17integral_constantIbLb1EES1C_EEDaS17_S18_EUlS17_E_NS1_11comp_targetILNS1_3genE8ELNS1_11target_archE1030ELNS1_3gpuE2ELNS1_3repE0EEENS1_30default_config_static_selectorELNS0_4arch9wavefront6targetE0EEEvT1_.num_vgpr, 0
	.set _ZN7rocprim17ROCPRIM_400000_NS6detail17trampoline_kernelINS0_14default_configENS1_25partition_config_selectorILNS1_17partition_subalgoE8ElNS0_10empty_typeEbEEZZNS1_14partition_implILS5_8ELb0ES3_jPlPS6_PKS6_NS0_5tupleIJS9_S6_EEENSD_IJSA_SA_EEENS0_18inequality_wrapperIZN2at6native12_GLOBAL__N_124unique_dim_cuda_templateIjEESt5tupleIJNSH_6TensorESM_SM_EERKSM_lbbbEUlllE0_EEPmJS6_EEE10hipError_tPvRmT3_T4_T5_T6_T7_T9_mT8_P12ihipStream_tbDpT10_ENKUlT_T0_E_clISt17integral_constantIbLb1EES1C_EEDaS17_S18_EUlS17_E_NS1_11comp_targetILNS1_3genE8ELNS1_11target_archE1030ELNS1_3gpuE2ELNS1_3repE0EEENS1_30default_config_static_selectorELNS0_4arch9wavefront6targetE0EEEvT1_.num_agpr, 0
	.set _ZN7rocprim17ROCPRIM_400000_NS6detail17trampoline_kernelINS0_14default_configENS1_25partition_config_selectorILNS1_17partition_subalgoE8ElNS0_10empty_typeEbEEZZNS1_14partition_implILS5_8ELb0ES3_jPlPS6_PKS6_NS0_5tupleIJS9_S6_EEENSD_IJSA_SA_EEENS0_18inequality_wrapperIZN2at6native12_GLOBAL__N_124unique_dim_cuda_templateIjEESt5tupleIJNSH_6TensorESM_SM_EERKSM_lbbbEUlllE0_EEPmJS6_EEE10hipError_tPvRmT3_T4_T5_T6_T7_T9_mT8_P12ihipStream_tbDpT10_ENKUlT_T0_E_clISt17integral_constantIbLb1EES1C_EEDaS17_S18_EUlS17_E_NS1_11comp_targetILNS1_3genE8ELNS1_11target_archE1030ELNS1_3gpuE2ELNS1_3repE0EEENS1_30default_config_static_selectorELNS0_4arch9wavefront6targetE0EEEvT1_.numbered_sgpr, 0
	.set _ZN7rocprim17ROCPRIM_400000_NS6detail17trampoline_kernelINS0_14default_configENS1_25partition_config_selectorILNS1_17partition_subalgoE8ElNS0_10empty_typeEbEEZZNS1_14partition_implILS5_8ELb0ES3_jPlPS6_PKS6_NS0_5tupleIJS9_S6_EEENSD_IJSA_SA_EEENS0_18inequality_wrapperIZN2at6native12_GLOBAL__N_124unique_dim_cuda_templateIjEESt5tupleIJNSH_6TensorESM_SM_EERKSM_lbbbEUlllE0_EEPmJS6_EEE10hipError_tPvRmT3_T4_T5_T6_T7_T9_mT8_P12ihipStream_tbDpT10_ENKUlT_T0_E_clISt17integral_constantIbLb1EES1C_EEDaS17_S18_EUlS17_E_NS1_11comp_targetILNS1_3genE8ELNS1_11target_archE1030ELNS1_3gpuE2ELNS1_3repE0EEENS1_30default_config_static_selectorELNS0_4arch9wavefront6targetE0EEEvT1_.num_named_barrier, 0
	.set _ZN7rocprim17ROCPRIM_400000_NS6detail17trampoline_kernelINS0_14default_configENS1_25partition_config_selectorILNS1_17partition_subalgoE8ElNS0_10empty_typeEbEEZZNS1_14partition_implILS5_8ELb0ES3_jPlPS6_PKS6_NS0_5tupleIJS9_S6_EEENSD_IJSA_SA_EEENS0_18inequality_wrapperIZN2at6native12_GLOBAL__N_124unique_dim_cuda_templateIjEESt5tupleIJNSH_6TensorESM_SM_EERKSM_lbbbEUlllE0_EEPmJS6_EEE10hipError_tPvRmT3_T4_T5_T6_T7_T9_mT8_P12ihipStream_tbDpT10_ENKUlT_T0_E_clISt17integral_constantIbLb1EES1C_EEDaS17_S18_EUlS17_E_NS1_11comp_targetILNS1_3genE8ELNS1_11target_archE1030ELNS1_3gpuE2ELNS1_3repE0EEENS1_30default_config_static_selectorELNS0_4arch9wavefront6targetE0EEEvT1_.private_seg_size, 0
	.set _ZN7rocprim17ROCPRIM_400000_NS6detail17trampoline_kernelINS0_14default_configENS1_25partition_config_selectorILNS1_17partition_subalgoE8ElNS0_10empty_typeEbEEZZNS1_14partition_implILS5_8ELb0ES3_jPlPS6_PKS6_NS0_5tupleIJS9_S6_EEENSD_IJSA_SA_EEENS0_18inequality_wrapperIZN2at6native12_GLOBAL__N_124unique_dim_cuda_templateIjEESt5tupleIJNSH_6TensorESM_SM_EERKSM_lbbbEUlllE0_EEPmJS6_EEE10hipError_tPvRmT3_T4_T5_T6_T7_T9_mT8_P12ihipStream_tbDpT10_ENKUlT_T0_E_clISt17integral_constantIbLb1EES1C_EEDaS17_S18_EUlS17_E_NS1_11comp_targetILNS1_3genE8ELNS1_11target_archE1030ELNS1_3gpuE2ELNS1_3repE0EEENS1_30default_config_static_selectorELNS0_4arch9wavefront6targetE0EEEvT1_.uses_vcc, 0
	.set _ZN7rocprim17ROCPRIM_400000_NS6detail17trampoline_kernelINS0_14default_configENS1_25partition_config_selectorILNS1_17partition_subalgoE8ElNS0_10empty_typeEbEEZZNS1_14partition_implILS5_8ELb0ES3_jPlPS6_PKS6_NS0_5tupleIJS9_S6_EEENSD_IJSA_SA_EEENS0_18inequality_wrapperIZN2at6native12_GLOBAL__N_124unique_dim_cuda_templateIjEESt5tupleIJNSH_6TensorESM_SM_EERKSM_lbbbEUlllE0_EEPmJS6_EEE10hipError_tPvRmT3_T4_T5_T6_T7_T9_mT8_P12ihipStream_tbDpT10_ENKUlT_T0_E_clISt17integral_constantIbLb1EES1C_EEDaS17_S18_EUlS17_E_NS1_11comp_targetILNS1_3genE8ELNS1_11target_archE1030ELNS1_3gpuE2ELNS1_3repE0EEENS1_30default_config_static_selectorELNS0_4arch9wavefront6targetE0EEEvT1_.uses_flat_scratch, 0
	.set _ZN7rocprim17ROCPRIM_400000_NS6detail17trampoline_kernelINS0_14default_configENS1_25partition_config_selectorILNS1_17partition_subalgoE8ElNS0_10empty_typeEbEEZZNS1_14partition_implILS5_8ELb0ES3_jPlPS6_PKS6_NS0_5tupleIJS9_S6_EEENSD_IJSA_SA_EEENS0_18inequality_wrapperIZN2at6native12_GLOBAL__N_124unique_dim_cuda_templateIjEESt5tupleIJNSH_6TensorESM_SM_EERKSM_lbbbEUlllE0_EEPmJS6_EEE10hipError_tPvRmT3_T4_T5_T6_T7_T9_mT8_P12ihipStream_tbDpT10_ENKUlT_T0_E_clISt17integral_constantIbLb1EES1C_EEDaS17_S18_EUlS17_E_NS1_11comp_targetILNS1_3genE8ELNS1_11target_archE1030ELNS1_3gpuE2ELNS1_3repE0EEENS1_30default_config_static_selectorELNS0_4arch9wavefront6targetE0EEEvT1_.has_dyn_sized_stack, 0
	.set _ZN7rocprim17ROCPRIM_400000_NS6detail17trampoline_kernelINS0_14default_configENS1_25partition_config_selectorILNS1_17partition_subalgoE8ElNS0_10empty_typeEbEEZZNS1_14partition_implILS5_8ELb0ES3_jPlPS6_PKS6_NS0_5tupleIJS9_S6_EEENSD_IJSA_SA_EEENS0_18inequality_wrapperIZN2at6native12_GLOBAL__N_124unique_dim_cuda_templateIjEESt5tupleIJNSH_6TensorESM_SM_EERKSM_lbbbEUlllE0_EEPmJS6_EEE10hipError_tPvRmT3_T4_T5_T6_T7_T9_mT8_P12ihipStream_tbDpT10_ENKUlT_T0_E_clISt17integral_constantIbLb1EES1C_EEDaS17_S18_EUlS17_E_NS1_11comp_targetILNS1_3genE8ELNS1_11target_archE1030ELNS1_3gpuE2ELNS1_3repE0EEENS1_30default_config_static_selectorELNS0_4arch9wavefront6targetE0EEEvT1_.has_recursion, 0
	.set _ZN7rocprim17ROCPRIM_400000_NS6detail17trampoline_kernelINS0_14default_configENS1_25partition_config_selectorILNS1_17partition_subalgoE8ElNS0_10empty_typeEbEEZZNS1_14partition_implILS5_8ELb0ES3_jPlPS6_PKS6_NS0_5tupleIJS9_S6_EEENSD_IJSA_SA_EEENS0_18inequality_wrapperIZN2at6native12_GLOBAL__N_124unique_dim_cuda_templateIjEESt5tupleIJNSH_6TensorESM_SM_EERKSM_lbbbEUlllE0_EEPmJS6_EEE10hipError_tPvRmT3_T4_T5_T6_T7_T9_mT8_P12ihipStream_tbDpT10_ENKUlT_T0_E_clISt17integral_constantIbLb1EES1C_EEDaS17_S18_EUlS17_E_NS1_11comp_targetILNS1_3genE8ELNS1_11target_archE1030ELNS1_3gpuE2ELNS1_3repE0EEENS1_30default_config_static_selectorELNS0_4arch9wavefront6targetE0EEEvT1_.has_indirect_call, 0
	.section	.AMDGPU.csdata,"",@progbits
; Kernel info:
; codeLenInByte = 0
; TotalNumSgprs: 0
; NumVgprs: 0
; ScratchSize: 0
; MemoryBound: 0
; FloatMode: 240
; IeeeMode: 1
; LDSByteSize: 0 bytes/workgroup (compile time only)
; SGPRBlocks: 0
; VGPRBlocks: 0
; NumSGPRsForWavesPerEU: 1
; NumVGPRsForWavesPerEU: 1
; NamedBarCnt: 0
; Occupancy: 16
; WaveLimiterHint : 0
; COMPUTE_PGM_RSRC2:SCRATCH_EN: 0
; COMPUTE_PGM_RSRC2:USER_SGPR: 2
; COMPUTE_PGM_RSRC2:TRAP_HANDLER: 0
; COMPUTE_PGM_RSRC2:TGID_X_EN: 1
; COMPUTE_PGM_RSRC2:TGID_Y_EN: 0
; COMPUTE_PGM_RSRC2:TGID_Z_EN: 0
; COMPUTE_PGM_RSRC2:TIDIG_COMP_CNT: 0
	.section	.text._ZN7rocprim17ROCPRIM_400000_NS6detail17trampoline_kernelINS0_14default_configENS1_25partition_config_selectorILNS1_17partition_subalgoE8ElNS0_10empty_typeEbEEZZNS1_14partition_implILS5_8ELb0ES3_jPlPS6_PKS6_NS0_5tupleIJS9_S6_EEENSD_IJSA_SA_EEENS0_18inequality_wrapperIZN2at6native12_GLOBAL__N_124unique_dim_cuda_templateIjEESt5tupleIJNSH_6TensorESM_SM_EERKSM_lbbbEUlllE0_EEPmJS6_EEE10hipError_tPvRmT3_T4_T5_T6_T7_T9_mT8_P12ihipStream_tbDpT10_ENKUlT_T0_E_clISt17integral_constantIbLb1EES1B_IbLb0EEEEDaS17_S18_EUlS17_E_NS1_11comp_targetILNS1_3genE0ELNS1_11target_archE4294967295ELNS1_3gpuE0ELNS1_3repE0EEENS1_30default_config_static_selectorELNS0_4arch9wavefront6targetE0EEEvT1_,"axG",@progbits,_ZN7rocprim17ROCPRIM_400000_NS6detail17trampoline_kernelINS0_14default_configENS1_25partition_config_selectorILNS1_17partition_subalgoE8ElNS0_10empty_typeEbEEZZNS1_14partition_implILS5_8ELb0ES3_jPlPS6_PKS6_NS0_5tupleIJS9_S6_EEENSD_IJSA_SA_EEENS0_18inequality_wrapperIZN2at6native12_GLOBAL__N_124unique_dim_cuda_templateIjEESt5tupleIJNSH_6TensorESM_SM_EERKSM_lbbbEUlllE0_EEPmJS6_EEE10hipError_tPvRmT3_T4_T5_T6_T7_T9_mT8_P12ihipStream_tbDpT10_ENKUlT_T0_E_clISt17integral_constantIbLb1EES1B_IbLb0EEEEDaS17_S18_EUlS17_E_NS1_11comp_targetILNS1_3genE0ELNS1_11target_archE4294967295ELNS1_3gpuE0ELNS1_3repE0EEENS1_30default_config_static_selectorELNS0_4arch9wavefront6targetE0EEEvT1_,comdat
	.globl	_ZN7rocprim17ROCPRIM_400000_NS6detail17trampoline_kernelINS0_14default_configENS1_25partition_config_selectorILNS1_17partition_subalgoE8ElNS0_10empty_typeEbEEZZNS1_14partition_implILS5_8ELb0ES3_jPlPS6_PKS6_NS0_5tupleIJS9_S6_EEENSD_IJSA_SA_EEENS0_18inequality_wrapperIZN2at6native12_GLOBAL__N_124unique_dim_cuda_templateIjEESt5tupleIJNSH_6TensorESM_SM_EERKSM_lbbbEUlllE0_EEPmJS6_EEE10hipError_tPvRmT3_T4_T5_T6_T7_T9_mT8_P12ihipStream_tbDpT10_ENKUlT_T0_E_clISt17integral_constantIbLb1EES1B_IbLb0EEEEDaS17_S18_EUlS17_E_NS1_11comp_targetILNS1_3genE0ELNS1_11target_archE4294967295ELNS1_3gpuE0ELNS1_3repE0EEENS1_30default_config_static_selectorELNS0_4arch9wavefront6targetE0EEEvT1_ ; -- Begin function _ZN7rocprim17ROCPRIM_400000_NS6detail17trampoline_kernelINS0_14default_configENS1_25partition_config_selectorILNS1_17partition_subalgoE8ElNS0_10empty_typeEbEEZZNS1_14partition_implILS5_8ELb0ES3_jPlPS6_PKS6_NS0_5tupleIJS9_S6_EEENSD_IJSA_SA_EEENS0_18inequality_wrapperIZN2at6native12_GLOBAL__N_124unique_dim_cuda_templateIjEESt5tupleIJNSH_6TensorESM_SM_EERKSM_lbbbEUlllE0_EEPmJS6_EEE10hipError_tPvRmT3_T4_T5_T6_T7_T9_mT8_P12ihipStream_tbDpT10_ENKUlT_T0_E_clISt17integral_constantIbLb1EES1B_IbLb0EEEEDaS17_S18_EUlS17_E_NS1_11comp_targetILNS1_3genE0ELNS1_11target_archE4294967295ELNS1_3gpuE0ELNS1_3repE0EEENS1_30default_config_static_selectorELNS0_4arch9wavefront6targetE0EEEvT1_
	.p2align	8
	.type	_ZN7rocprim17ROCPRIM_400000_NS6detail17trampoline_kernelINS0_14default_configENS1_25partition_config_selectorILNS1_17partition_subalgoE8ElNS0_10empty_typeEbEEZZNS1_14partition_implILS5_8ELb0ES3_jPlPS6_PKS6_NS0_5tupleIJS9_S6_EEENSD_IJSA_SA_EEENS0_18inequality_wrapperIZN2at6native12_GLOBAL__N_124unique_dim_cuda_templateIjEESt5tupleIJNSH_6TensorESM_SM_EERKSM_lbbbEUlllE0_EEPmJS6_EEE10hipError_tPvRmT3_T4_T5_T6_T7_T9_mT8_P12ihipStream_tbDpT10_ENKUlT_T0_E_clISt17integral_constantIbLb1EES1B_IbLb0EEEEDaS17_S18_EUlS17_E_NS1_11comp_targetILNS1_3genE0ELNS1_11target_archE4294967295ELNS1_3gpuE0ELNS1_3repE0EEENS1_30default_config_static_selectorELNS0_4arch9wavefront6targetE0EEEvT1_,@function
_ZN7rocprim17ROCPRIM_400000_NS6detail17trampoline_kernelINS0_14default_configENS1_25partition_config_selectorILNS1_17partition_subalgoE8ElNS0_10empty_typeEbEEZZNS1_14partition_implILS5_8ELb0ES3_jPlPS6_PKS6_NS0_5tupleIJS9_S6_EEENSD_IJSA_SA_EEENS0_18inequality_wrapperIZN2at6native12_GLOBAL__N_124unique_dim_cuda_templateIjEESt5tupleIJNSH_6TensorESM_SM_EERKSM_lbbbEUlllE0_EEPmJS6_EEE10hipError_tPvRmT3_T4_T5_T6_T7_T9_mT8_P12ihipStream_tbDpT10_ENKUlT_T0_E_clISt17integral_constantIbLb1EES1B_IbLb0EEEEDaS17_S18_EUlS17_E_NS1_11comp_targetILNS1_3genE0ELNS1_11target_archE4294967295ELNS1_3gpuE0ELNS1_3repE0EEENS1_30default_config_static_selectorELNS0_4arch9wavefront6targetE0EEEvT1_: ; @_ZN7rocprim17ROCPRIM_400000_NS6detail17trampoline_kernelINS0_14default_configENS1_25partition_config_selectorILNS1_17partition_subalgoE8ElNS0_10empty_typeEbEEZZNS1_14partition_implILS5_8ELb0ES3_jPlPS6_PKS6_NS0_5tupleIJS9_S6_EEENSD_IJSA_SA_EEENS0_18inequality_wrapperIZN2at6native12_GLOBAL__N_124unique_dim_cuda_templateIjEESt5tupleIJNSH_6TensorESM_SM_EERKSM_lbbbEUlllE0_EEPmJS6_EEE10hipError_tPvRmT3_T4_T5_T6_T7_T9_mT8_P12ihipStream_tbDpT10_ENKUlT_T0_E_clISt17integral_constantIbLb1EES1B_IbLb0EEEEDaS17_S18_EUlS17_E_NS1_11comp_targetILNS1_3genE0ELNS1_11target_archE4294967295ELNS1_3gpuE0ELNS1_3repE0EEENS1_30default_config_static_selectorELNS0_4arch9wavefront6targetE0EEEvT1_
; %bb.0:
	s_endpgm
	.section	.rodata,"a",@progbits
	.p2align	6, 0x0
	.amdhsa_kernel _ZN7rocprim17ROCPRIM_400000_NS6detail17trampoline_kernelINS0_14default_configENS1_25partition_config_selectorILNS1_17partition_subalgoE8ElNS0_10empty_typeEbEEZZNS1_14partition_implILS5_8ELb0ES3_jPlPS6_PKS6_NS0_5tupleIJS9_S6_EEENSD_IJSA_SA_EEENS0_18inequality_wrapperIZN2at6native12_GLOBAL__N_124unique_dim_cuda_templateIjEESt5tupleIJNSH_6TensorESM_SM_EERKSM_lbbbEUlllE0_EEPmJS6_EEE10hipError_tPvRmT3_T4_T5_T6_T7_T9_mT8_P12ihipStream_tbDpT10_ENKUlT_T0_E_clISt17integral_constantIbLb1EES1B_IbLb0EEEEDaS17_S18_EUlS17_E_NS1_11comp_targetILNS1_3genE0ELNS1_11target_archE4294967295ELNS1_3gpuE0ELNS1_3repE0EEENS1_30default_config_static_selectorELNS0_4arch9wavefront6targetE0EEEvT1_
		.amdhsa_group_segment_fixed_size 0
		.amdhsa_private_segment_fixed_size 0
		.amdhsa_kernarg_size 120
		.amdhsa_user_sgpr_count 2
		.amdhsa_user_sgpr_dispatch_ptr 0
		.amdhsa_user_sgpr_queue_ptr 0
		.amdhsa_user_sgpr_kernarg_segment_ptr 1
		.amdhsa_user_sgpr_dispatch_id 0
		.amdhsa_user_sgpr_kernarg_preload_length 0
		.amdhsa_user_sgpr_kernarg_preload_offset 0
		.amdhsa_user_sgpr_private_segment_size 0
		.amdhsa_wavefront_size32 1
		.amdhsa_uses_dynamic_stack 0
		.amdhsa_enable_private_segment 0
		.amdhsa_system_sgpr_workgroup_id_x 1
		.amdhsa_system_sgpr_workgroup_id_y 0
		.amdhsa_system_sgpr_workgroup_id_z 0
		.amdhsa_system_sgpr_workgroup_info 0
		.amdhsa_system_vgpr_workitem_id 0
		.amdhsa_next_free_vgpr 1
		.amdhsa_next_free_sgpr 1
		.amdhsa_named_barrier_count 0
		.amdhsa_reserve_vcc 0
		.amdhsa_float_round_mode_32 0
		.amdhsa_float_round_mode_16_64 0
		.amdhsa_float_denorm_mode_32 3
		.amdhsa_float_denorm_mode_16_64 3
		.amdhsa_fp16_overflow 0
		.amdhsa_memory_ordered 1
		.amdhsa_forward_progress 1
		.amdhsa_inst_pref_size 1
		.amdhsa_round_robin_scheduling 0
		.amdhsa_exception_fp_ieee_invalid_op 0
		.amdhsa_exception_fp_denorm_src 0
		.amdhsa_exception_fp_ieee_div_zero 0
		.amdhsa_exception_fp_ieee_overflow 0
		.amdhsa_exception_fp_ieee_underflow 0
		.amdhsa_exception_fp_ieee_inexact 0
		.amdhsa_exception_int_div_zero 0
	.end_amdhsa_kernel
	.section	.text._ZN7rocprim17ROCPRIM_400000_NS6detail17trampoline_kernelINS0_14default_configENS1_25partition_config_selectorILNS1_17partition_subalgoE8ElNS0_10empty_typeEbEEZZNS1_14partition_implILS5_8ELb0ES3_jPlPS6_PKS6_NS0_5tupleIJS9_S6_EEENSD_IJSA_SA_EEENS0_18inequality_wrapperIZN2at6native12_GLOBAL__N_124unique_dim_cuda_templateIjEESt5tupleIJNSH_6TensorESM_SM_EERKSM_lbbbEUlllE0_EEPmJS6_EEE10hipError_tPvRmT3_T4_T5_T6_T7_T9_mT8_P12ihipStream_tbDpT10_ENKUlT_T0_E_clISt17integral_constantIbLb1EES1B_IbLb0EEEEDaS17_S18_EUlS17_E_NS1_11comp_targetILNS1_3genE0ELNS1_11target_archE4294967295ELNS1_3gpuE0ELNS1_3repE0EEENS1_30default_config_static_selectorELNS0_4arch9wavefront6targetE0EEEvT1_,"axG",@progbits,_ZN7rocprim17ROCPRIM_400000_NS6detail17trampoline_kernelINS0_14default_configENS1_25partition_config_selectorILNS1_17partition_subalgoE8ElNS0_10empty_typeEbEEZZNS1_14partition_implILS5_8ELb0ES3_jPlPS6_PKS6_NS0_5tupleIJS9_S6_EEENSD_IJSA_SA_EEENS0_18inequality_wrapperIZN2at6native12_GLOBAL__N_124unique_dim_cuda_templateIjEESt5tupleIJNSH_6TensorESM_SM_EERKSM_lbbbEUlllE0_EEPmJS6_EEE10hipError_tPvRmT3_T4_T5_T6_T7_T9_mT8_P12ihipStream_tbDpT10_ENKUlT_T0_E_clISt17integral_constantIbLb1EES1B_IbLb0EEEEDaS17_S18_EUlS17_E_NS1_11comp_targetILNS1_3genE0ELNS1_11target_archE4294967295ELNS1_3gpuE0ELNS1_3repE0EEENS1_30default_config_static_selectorELNS0_4arch9wavefront6targetE0EEEvT1_,comdat
.Lfunc_end1557:
	.size	_ZN7rocprim17ROCPRIM_400000_NS6detail17trampoline_kernelINS0_14default_configENS1_25partition_config_selectorILNS1_17partition_subalgoE8ElNS0_10empty_typeEbEEZZNS1_14partition_implILS5_8ELb0ES3_jPlPS6_PKS6_NS0_5tupleIJS9_S6_EEENSD_IJSA_SA_EEENS0_18inequality_wrapperIZN2at6native12_GLOBAL__N_124unique_dim_cuda_templateIjEESt5tupleIJNSH_6TensorESM_SM_EERKSM_lbbbEUlllE0_EEPmJS6_EEE10hipError_tPvRmT3_T4_T5_T6_T7_T9_mT8_P12ihipStream_tbDpT10_ENKUlT_T0_E_clISt17integral_constantIbLb1EES1B_IbLb0EEEEDaS17_S18_EUlS17_E_NS1_11comp_targetILNS1_3genE0ELNS1_11target_archE4294967295ELNS1_3gpuE0ELNS1_3repE0EEENS1_30default_config_static_selectorELNS0_4arch9wavefront6targetE0EEEvT1_, .Lfunc_end1557-_ZN7rocprim17ROCPRIM_400000_NS6detail17trampoline_kernelINS0_14default_configENS1_25partition_config_selectorILNS1_17partition_subalgoE8ElNS0_10empty_typeEbEEZZNS1_14partition_implILS5_8ELb0ES3_jPlPS6_PKS6_NS0_5tupleIJS9_S6_EEENSD_IJSA_SA_EEENS0_18inequality_wrapperIZN2at6native12_GLOBAL__N_124unique_dim_cuda_templateIjEESt5tupleIJNSH_6TensorESM_SM_EERKSM_lbbbEUlllE0_EEPmJS6_EEE10hipError_tPvRmT3_T4_T5_T6_T7_T9_mT8_P12ihipStream_tbDpT10_ENKUlT_T0_E_clISt17integral_constantIbLb1EES1B_IbLb0EEEEDaS17_S18_EUlS17_E_NS1_11comp_targetILNS1_3genE0ELNS1_11target_archE4294967295ELNS1_3gpuE0ELNS1_3repE0EEENS1_30default_config_static_selectorELNS0_4arch9wavefront6targetE0EEEvT1_
                                        ; -- End function
	.set _ZN7rocprim17ROCPRIM_400000_NS6detail17trampoline_kernelINS0_14default_configENS1_25partition_config_selectorILNS1_17partition_subalgoE8ElNS0_10empty_typeEbEEZZNS1_14partition_implILS5_8ELb0ES3_jPlPS6_PKS6_NS0_5tupleIJS9_S6_EEENSD_IJSA_SA_EEENS0_18inequality_wrapperIZN2at6native12_GLOBAL__N_124unique_dim_cuda_templateIjEESt5tupleIJNSH_6TensorESM_SM_EERKSM_lbbbEUlllE0_EEPmJS6_EEE10hipError_tPvRmT3_T4_T5_T6_T7_T9_mT8_P12ihipStream_tbDpT10_ENKUlT_T0_E_clISt17integral_constantIbLb1EES1B_IbLb0EEEEDaS17_S18_EUlS17_E_NS1_11comp_targetILNS1_3genE0ELNS1_11target_archE4294967295ELNS1_3gpuE0ELNS1_3repE0EEENS1_30default_config_static_selectorELNS0_4arch9wavefront6targetE0EEEvT1_.num_vgpr, 0
	.set _ZN7rocprim17ROCPRIM_400000_NS6detail17trampoline_kernelINS0_14default_configENS1_25partition_config_selectorILNS1_17partition_subalgoE8ElNS0_10empty_typeEbEEZZNS1_14partition_implILS5_8ELb0ES3_jPlPS6_PKS6_NS0_5tupleIJS9_S6_EEENSD_IJSA_SA_EEENS0_18inequality_wrapperIZN2at6native12_GLOBAL__N_124unique_dim_cuda_templateIjEESt5tupleIJNSH_6TensorESM_SM_EERKSM_lbbbEUlllE0_EEPmJS6_EEE10hipError_tPvRmT3_T4_T5_T6_T7_T9_mT8_P12ihipStream_tbDpT10_ENKUlT_T0_E_clISt17integral_constantIbLb1EES1B_IbLb0EEEEDaS17_S18_EUlS17_E_NS1_11comp_targetILNS1_3genE0ELNS1_11target_archE4294967295ELNS1_3gpuE0ELNS1_3repE0EEENS1_30default_config_static_selectorELNS0_4arch9wavefront6targetE0EEEvT1_.num_agpr, 0
	.set _ZN7rocprim17ROCPRIM_400000_NS6detail17trampoline_kernelINS0_14default_configENS1_25partition_config_selectorILNS1_17partition_subalgoE8ElNS0_10empty_typeEbEEZZNS1_14partition_implILS5_8ELb0ES3_jPlPS6_PKS6_NS0_5tupleIJS9_S6_EEENSD_IJSA_SA_EEENS0_18inequality_wrapperIZN2at6native12_GLOBAL__N_124unique_dim_cuda_templateIjEESt5tupleIJNSH_6TensorESM_SM_EERKSM_lbbbEUlllE0_EEPmJS6_EEE10hipError_tPvRmT3_T4_T5_T6_T7_T9_mT8_P12ihipStream_tbDpT10_ENKUlT_T0_E_clISt17integral_constantIbLb1EES1B_IbLb0EEEEDaS17_S18_EUlS17_E_NS1_11comp_targetILNS1_3genE0ELNS1_11target_archE4294967295ELNS1_3gpuE0ELNS1_3repE0EEENS1_30default_config_static_selectorELNS0_4arch9wavefront6targetE0EEEvT1_.numbered_sgpr, 0
	.set _ZN7rocprim17ROCPRIM_400000_NS6detail17trampoline_kernelINS0_14default_configENS1_25partition_config_selectorILNS1_17partition_subalgoE8ElNS0_10empty_typeEbEEZZNS1_14partition_implILS5_8ELb0ES3_jPlPS6_PKS6_NS0_5tupleIJS9_S6_EEENSD_IJSA_SA_EEENS0_18inequality_wrapperIZN2at6native12_GLOBAL__N_124unique_dim_cuda_templateIjEESt5tupleIJNSH_6TensorESM_SM_EERKSM_lbbbEUlllE0_EEPmJS6_EEE10hipError_tPvRmT3_T4_T5_T6_T7_T9_mT8_P12ihipStream_tbDpT10_ENKUlT_T0_E_clISt17integral_constantIbLb1EES1B_IbLb0EEEEDaS17_S18_EUlS17_E_NS1_11comp_targetILNS1_3genE0ELNS1_11target_archE4294967295ELNS1_3gpuE0ELNS1_3repE0EEENS1_30default_config_static_selectorELNS0_4arch9wavefront6targetE0EEEvT1_.num_named_barrier, 0
	.set _ZN7rocprim17ROCPRIM_400000_NS6detail17trampoline_kernelINS0_14default_configENS1_25partition_config_selectorILNS1_17partition_subalgoE8ElNS0_10empty_typeEbEEZZNS1_14partition_implILS5_8ELb0ES3_jPlPS6_PKS6_NS0_5tupleIJS9_S6_EEENSD_IJSA_SA_EEENS0_18inequality_wrapperIZN2at6native12_GLOBAL__N_124unique_dim_cuda_templateIjEESt5tupleIJNSH_6TensorESM_SM_EERKSM_lbbbEUlllE0_EEPmJS6_EEE10hipError_tPvRmT3_T4_T5_T6_T7_T9_mT8_P12ihipStream_tbDpT10_ENKUlT_T0_E_clISt17integral_constantIbLb1EES1B_IbLb0EEEEDaS17_S18_EUlS17_E_NS1_11comp_targetILNS1_3genE0ELNS1_11target_archE4294967295ELNS1_3gpuE0ELNS1_3repE0EEENS1_30default_config_static_selectorELNS0_4arch9wavefront6targetE0EEEvT1_.private_seg_size, 0
	.set _ZN7rocprim17ROCPRIM_400000_NS6detail17trampoline_kernelINS0_14default_configENS1_25partition_config_selectorILNS1_17partition_subalgoE8ElNS0_10empty_typeEbEEZZNS1_14partition_implILS5_8ELb0ES3_jPlPS6_PKS6_NS0_5tupleIJS9_S6_EEENSD_IJSA_SA_EEENS0_18inequality_wrapperIZN2at6native12_GLOBAL__N_124unique_dim_cuda_templateIjEESt5tupleIJNSH_6TensorESM_SM_EERKSM_lbbbEUlllE0_EEPmJS6_EEE10hipError_tPvRmT3_T4_T5_T6_T7_T9_mT8_P12ihipStream_tbDpT10_ENKUlT_T0_E_clISt17integral_constantIbLb1EES1B_IbLb0EEEEDaS17_S18_EUlS17_E_NS1_11comp_targetILNS1_3genE0ELNS1_11target_archE4294967295ELNS1_3gpuE0ELNS1_3repE0EEENS1_30default_config_static_selectorELNS0_4arch9wavefront6targetE0EEEvT1_.uses_vcc, 0
	.set _ZN7rocprim17ROCPRIM_400000_NS6detail17trampoline_kernelINS0_14default_configENS1_25partition_config_selectorILNS1_17partition_subalgoE8ElNS0_10empty_typeEbEEZZNS1_14partition_implILS5_8ELb0ES3_jPlPS6_PKS6_NS0_5tupleIJS9_S6_EEENSD_IJSA_SA_EEENS0_18inequality_wrapperIZN2at6native12_GLOBAL__N_124unique_dim_cuda_templateIjEESt5tupleIJNSH_6TensorESM_SM_EERKSM_lbbbEUlllE0_EEPmJS6_EEE10hipError_tPvRmT3_T4_T5_T6_T7_T9_mT8_P12ihipStream_tbDpT10_ENKUlT_T0_E_clISt17integral_constantIbLb1EES1B_IbLb0EEEEDaS17_S18_EUlS17_E_NS1_11comp_targetILNS1_3genE0ELNS1_11target_archE4294967295ELNS1_3gpuE0ELNS1_3repE0EEENS1_30default_config_static_selectorELNS0_4arch9wavefront6targetE0EEEvT1_.uses_flat_scratch, 0
	.set _ZN7rocprim17ROCPRIM_400000_NS6detail17trampoline_kernelINS0_14default_configENS1_25partition_config_selectorILNS1_17partition_subalgoE8ElNS0_10empty_typeEbEEZZNS1_14partition_implILS5_8ELb0ES3_jPlPS6_PKS6_NS0_5tupleIJS9_S6_EEENSD_IJSA_SA_EEENS0_18inequality_wrapperIZN2at6native12_GLOBAL__N_124unique_dim_cuda_templateIjEESt5tupleIJNSH_6TensorESM_SM_EERKSM_lbbbEUlllE0_EEPmJS6_EEE10hipError_tPvRmT3_T4_T5_T6_T7_T9_mT8_P12ihipStream_tbDpT10_ENKUlT_T0_E_clISt17integral_constantIbLb1EES1B_IbLb0EEEEDaS17_S18_EUlS17_E_NS1_11comp_targetILNS1_3genE0ELNS1_11target_archE4294967295ELNS1_3gpuE0ELNS1_3repE0EEENS1_30default_config_static_selectorELNS0_4arch9wavefront6targetE0EEEvT1_.has_dyn_sized_stack, 0
	.set _ZN7rocprim17ROCPRIM_400000_NS6detail17trampoline_kernelINS0_14default_configENS1_25partition_config_selectorILNS1_17partition_subalgoE8ElNS0_10empty_typeEbEEZZNS1_14partition_implILS5_8ELb0ES3_jPlPS6_PKS6_NS0_5tupleIJS9_S6_EEENSD_IJSA_SA_EEENS0_18inequality_wrapperIZN2at6native12_GLOBAL__N_124unique_dim_cuda_templateIjEESt5tupleIJNSH_6TensorESM_SM_EERKSM_lbbbEUlllE0_EEPmJS6_EEE10hipError_tPvRmT3_T4_T5_T6_T7_T9_mT8_P12ihipStream_tbDpT10_ENKUlT_T0_E_clISt17integral_constantIbLb1EES1B_IbLb0EEEEDaS17_S18_EUlS17_E_NS1_11comp_targetILNS1_3genE0ELNS1_11target_archE4294967295ELNS1_3gpuE0ELNS1_3repE0EEENS1_30default_config_static_selectorELNS0_4arch9wavefront6targetE0EEEvT1_.has_recursion, 0
	.set _ZN7rocprim17ROCPRIM_400000_NS6detail17trampoline_kernelINS0_14default_configENS1_25partition_config_selectorILNS1_17partition_subalgoE8ElNS0_10empty_typeEbEEZZNS1_14partition_implILS5_8ELb0ES3_jPlPS6_PKS6_NS0_5tupleIJS9_S6_EEENSD_IJSA_SA_EEENS0_18inequality_wrapperIZN2at6native12_GLOBAL__N_124unique_dim_cuda_templateIjEESt5tupleIJNSH_6TensorESM_SM_EERKSM_lbbbEUlllE0_EEPmJS6_EEE10hipError_tPvRmT3_T4_T5_T6_T7_T9_mT8_P12ihipStream_tbDpT10_ENKUlT_T0_E_clISt17integral_constantIbLb1EES1B_IbLb0EEEEDaS17_S18_EUlS17_E_NS1_11comp_targetILNS1_3genE0ELNS1_11target_archE4294967295ELNS1_3gpuE0ELNS1_3repE0EEENS1_30default_config_static_selectorELNS0_4arch9wavefront6targetE0EEEvT1_.has_indirect_call, 0
	.section	.AMDGPU.csdata,"",@progbits
; Kernel info:
; codeLenInByte = 4
; TotalNumSgprs: 0
; NumVgprs: 0
; ScratchSize: 0
; MemoryBound: 0
; FloatMode: 240
; IeeeMode: 1
; LDSByteSize: 0 bytes/workgroup (compile time only)
; SGPRBlocks: 0
; VGPRBlocks: 0
; NumSGPRsForWavesPerEU: 1
; NumVGPRsForWavesPerEU: 1
; NamedBarCnt: 0
; Occupancy: 16
; WaveLimiterHint : 0
; COMPUTE_PGM_RSRC2:SCRATCH_EN: 0
; COMPUTE_PGM_RSRC2:USER_SGPR: 2
; COMPUTE_PGM_RSRC2:TRAP_HANDLER: 0
; COMPUTE_PGM_RSRC2:TGID_X_EN: 1
; COMPUTE_PGM_RSRC2:TGID_Y_EN: 0
; COMPUTE_PGM_RSRC2:TGID_Z_EN: 0
; COMPUTE_PGM_RSRC2:TIDIG_COMP_CNT: 0
	.section	.text._ZN7rocprim17ROCPRIM_400000_NS6detail17trampoline_kernelINS0_14default_configENS1_25partition_config_selectorILNS1_17partition_subalgoE8ElNS0_10empty_typeEbEEZZNS1_14partition_implILS5_8ELb0ES3_jPlPS6_PKS6_NS0_5tupleIJS9_S6_EEENSD_IJSA_SA_EEENS0_18inequality_wrapperIZN2at6native12_GLOBAL__N_124unique_dim_cuda_templateIjEESt5tupleIJNSH_6TensorESM_SM_EERKSM_lbbbEUlllE0_EEPmJS6_EEE10hipError_tPvRmT3_T4_T5_T6_T7_T9_mT8_P12ihipStream_tbDpT10_ENKUlT_T0_E_clISt17integral_constantIbLb1EES1B_IbLb0EEEEDaS17_S18_EUlS17_E_NS1_11comp_targetILNS1_3genE5ELNS1_11target_archE942ELNS1_3gpuE9ELNS1_3repE0EEENS1_30default_config_static_selectorELNS0_4arch9wavefront6targetE0EEEvT1_,"axG",@progbits,_ZN7rocprim17ROCPRIM_400000_NS6detail17trampoline_kernelINS0_14default_configENS1_25partition_config_selectorILNS1_17partition_subalgoE8ElNS0_10empty_typeEbEEZZNS1_14partition_implILS5_8ELb0ES3_jPlPS6_PKS6_NS0_5tupleIJS9_S6_EEENSD_IJSA_SA_EEENS0_18inequality_wrapperIZN2at6native12_GLOBAL__N_124unique_dim_cuda_templateIjEESt5tupleIJNSH_6TensorESM_SM_EERKSM_lbbbEUlllE0_EEPmJS6_EEE10hipError_tPvRmT3_T4_T5_T6_T7_T9_mT8_P12ihipStream_tbDpT10_ENKUlT_T0_E_clISt17integral_constantIbLb1EES1B_IbLb0EEEEDaS17_S18_EUlS17_E_NS1_11comp_targetILNS1_3genE5ELNS1_11target_archE942ELNS1_3gpuE9ELNS1_3repE0EEENS1_30default_config_static_selectorELNS0_4arch9wavefront6targetE0EEEvT1_,comdat
	.globl	_ZN7rocprim17ROCPRIM_400000_NS6detail17trampoline_kernelINS0_14default_configENS1_25partition_config_selectorILNS1_17partition_subalgoE8ElNS0_10empty_typeEbEEZZNS1_14partition_implILS5_8ELb0ES3_jPlPS6_PKS6_NS0_5tupleIJS9_S6_EEENSD_IJSA_SA_EEENS0_18inequality_wrapperIZN2at6native12_GLOBAL__N_124unique_dim_cuda_templateIjEESt5tupleIJNSH_6TensorESM_SM_EERKSM_lbbbEUlllE0_EEPmJS6_EEE10hipError_tPvRmT3_T4_T5_T6_T7_T9_mT8_P12ihipStream_tbDpT10_ENKUlT_T0_E_clISt17integral_constantIbLb1EES1B_IbLb0EEEEDaS17_S18_EUlS17_E_NS1_11comp_targetILNS1_3genE5ELNS1_11target_archE942ELNS1_3gpuE9ELNS1_3repE0EEENS1_30default_config_static_selectorELNS0_4arch9wavefront6targetE0EEEvT1_ ; -- Begin function _ZN7rocprim17ROCPRIM_400000_NS6detail17trampoline_kernelINS0_14default_configENS1_25partition_config_selectorILNS1_17partition_subalgoE8ElNS0_10empty_typeEbEEZZNS1_14partition_implILS5_8ELb0ES3_jPlPS6_PKS6_NS0_5tupleIJS9_S6_EEENSD_IJSA_SA_EEENS0_18inequality_wrapperIZN2at6native12_GLOBAL__N_124unique_dim_cuda_templateIjEESt5tupleIJNSH_6TensorESM_SM_EERKSM_lbbbEUlllE0_EEPmJS6_EEE10hipError_tPvRmT3_T4_T5_T6_T7_T9_mT8_P12ihipStream_tbDpT10_ENKUlT_T0_E_clISt17integral_constantIbLb1EES1B_IbLb0EEEEDaS17_S18_EUlS17_E_NS1_11comp_targetILNS1_3genE5ELNS1_11target_archE942ELNS1_3gpuE9ELNS1_3repE0EEENS1_30default_config_static_selectorELNS0_4arch9wavefront6targetE0EEEvT1_
	.p2align	8
	.type	_ZN7rocprim17ROCPRIM_400000_NS6detail17trampoline_kernelINS0_14default_configENS1_25partition_config_selectorILNS1_17partition_subalgoE8ElNS0_10empty_typeEbEEZZNS1_14partition_implILS5_8ELb0ES3_jPlPS6_PKS6_NS0_5tupleIJS9_S6_EEENSD_IJSA_SA_EEENS0_18inequality_wrapperIZN2at6native12_GLOBAL__N_124unique_dim_cuda_templateIjEESt5tupleIJNSH_6TensorESM_SM_EERKSM_lbbbEUlllE0_EEPmJS6_EEE10hipError_tPvRmT3_T4_T5_T6_T7_T9_mT8_P12ihipStream_tbDpT10_ENKUlT_T0_E_clISt17integral_constantIbLb1EES1B_IbLb0EEEEDaS17_S18_EUlS17_E_NS1_11comp_targetILNS1_3genE5ELNS1_11target_archE942ELNS1_3gpuE9ELNS1_3repE0EEENS1_30default_config_static_selectorELNS0_4arch9wavefront6targetE0EEEvT1_,@function
_ZN7rocprim17ROCPRIM_400000_NS6detail17trampoline_kernelINS0_14default_configENS1_25partition_config_selectorILNS1_17partition_subalgoE8ElNS0_10empty_typeEbEEZZNS1_14partition_implILS5_8ELb0ES3_jPlPS6_PKS6_NS0_5tupleIJS9_S6_EEENSD_IJSA_SA_EEENS0_18inequality_wrapperIZN2at6native12_GLOBAL__N_124unique_dim_cuda_templateIjEESt5tupleIJNSH_6TensorESM_SM_EERKSM_lbbbEUlllE0_EEPmJS6_EEE10hipError_tPvRmT3_T4_T5_T6_T7_T9_mT8_P12ihipStream_tbDpT10_ENKUlT_T0_E_clISt17integral_constantIbLb1EES1B_IbLb0EEEEDaS17_S18_EUlS17_E_NS1_11comp_targetILNS1_3genE5ELNS1_11target_archE942ELNS1_3gpuE9ELNS1_3repE0EEENS1_30default_config_static_selectorELNS0_4arch9wavefront6targetE0EEEvT1_: ; @_ZN7rocprim17ROCPRIM_400000_NS6detail17trampoline_kernelINS0_14default_configENS1_25partition_config_selectorILNS1_17partition_subalgoE8ElNS0_10empty_typeEbEEZZNS1_14partition_implILS5_8ELb0ES3_jPlPS6_PKS6_NS0_5tupleIJS9_S6_EEENSD_IJSA_SA_EEENS0_18inequality_wrapperIZN2at6native12_GLOBAL__N_124unique_dim_cuda_templateIjEESt5tupleIJNSH_6TensorESM_SM_EERKSM_lbbbEUlllE0_EEPmJS6_EEE10hipError_tPvRmT3_T4_T5_T6_T7_T9_mT8_P12ihipStream_tbDpT10_ENKUlT_T0_E_clISt17integral_constantIbLb1EES1B_IbLb0EEEEDaS17_S18_EUlS17_E_NS1_11comp_targetILNS1_3genE5ELNS1_11target_archE942ELNS1_3gpuE9ELNS1_3repE0EEENS1_30default_config_static_selectorELNS0_4arch9wavefront6targetE0EEEvT1_
; %bb.0:
	.section	.rodata,"a",@progbits
	.p2align	6, 0x0
	.amdhsa_kernel _ZN7rocprim17ROCPRIM_400000_NS6detail17trampoline_kernelINS0_14default_configENS1_25partition_config_selectorILNS1_17partition_subalgoE8ElNS0_10empty_typeEbEEZZNS1_14partition_implILS5_8ELb0ES3_jPlPS6_PKS6_NS0_5tupleIJS9_S6_EEENSD_IJSA_SA_EEENS0_18inequality_wrapperIZN2at6native12_GLOBAL__N_124unique_dim_cuda_templateIjEESt5tupleIJNSH_6TensorESM_SM_EERKSM_lbbbEUlllE0_EEPmJS6_EEE10hipError_tPvRmT3_T4_T5_T6_T7_T9_mT8_P12ihipStream_tbDpT10_ENKUlT_T0_E_clISt17integral_constantIbLb1EES1B_IbLb0EEEEDaS17_S18_EUlS17_E_NS1_11comp_targetILNS1_3genE5ELNS1_11target_archE942ELNS1_3gpuE9ELNS1_3repE0EEENS1_30default_config_static_selectorELNS0_4arch9wavefront6targetE0EEEvT1_
		.amdhsa_group_segment_fixed_size 0
		.amdhsa_private_segment_fixed_size 0
		.amdhsa_kernarg_size 120
		.amdhsa_user_sgpr_count 2
		.amdhsa_user_sgpr_dispatch_ptr 0
		.amdhsa_user_sgpr_queue_ptr 0
		.amdhsa_user_sgpr_kernarg_segment_ptr 1
		.amdhsa_user_sgpr_dispatch_id 0
		.amdhsa_user_sgpr_kernarg_preload_length 0
		.amdhsa_user_sgpr_kernarg_preload_offset 0
		.amdhsa_user_sgpr_private_segment_size 0
		.amdhsa_wavefront_size32 1
		.amdhsa_uses_dynamic_stack 0
		.amdhsa_enable_private_segment 0
		.amdhsa_system_sgpr_workgroup_id_x 1
		.amdhsa_system_sgpr_workgroup_id_y 0
		.amdhsa_system_sgpr_workgroup_id_z 0
		.amdhsa_system_sgpr_workgroup_info 0
		.amdhsa_system_vgpr_workitem_id 0
		.amdhsa_next_free_vgpr 1
		.amdhsa_next_free_sgpr 1
		.amdhsa_named_barrier_count 0
		.amdhsa_reserve_vcc 0
		.amdhsa_float_round_mode_32 0
		.amdhsa_float_round_mode_16_64 0
		.amdhsa_float_denorm_mode_32 3
		.amdhsa_float_denorm_mode_16_64 3
		.amdhsa_fp16_overflow 0
		.amdhsa_memory_ordered 1
		.amdhsa_forward_progress 1
		.amdhsa_inst_pref_size 0
		.amdhsa_round_robin_scheduling 0
		.amdhsa_exception_fp_ieee_invalid_op 0
		.amdhsa_exception_fp_denorm_src 0
		.amdhsa_exception_fp_ieee_div_zero 0
		.amdhsa_exception_fp_ieee_overflow 0
		.amdhsa_exception_fp_ieee_underflow 0
		.amdhsa_exception_fp_ieee_inexact 0
		.amdhsa_exception_int_div_zero 0
	.end_amdhsa_kernel
	.section	.text._ZN7rocprim17ROCPRIM_400000_NS6detail17trampoline_kernelINS0_14default_configENS1_25partition_config_selectorILNS1_17partition_subalgoE8ElNS0_10empty_typeEbEEZZNS1_14partition_implILS5_8ELb0ES3_jPlPS6_PKS6_NS0_5tupleIJS9_S6_EEENSD_IJSA_SA_EEENS0_18inequality_wrapperIZN2at6native12_GLOBAL__N_124unique_dim_cuda_templateIjEESt5tupleIJNSH_6TensorESM_SM_EERKSM_lbbbEUlllE0_EEPmJS6_EEE10hipError_tPvRmT3_T4_T5_T6_T7_T9_mT8_P12ihipStream_tbDpT10_ENKUlT_T0_E_clISt17integral_constantIbLb1EES1B_IbLb0EEEEDaS17_S18_EUlS17_E_NS1_11comp_targetILNS1_3genE5ELNS1_11target_archE942ELNS1_3gpuE9ELNS1_3repE0EEENS1_30default_config_static_selectorELNS0_4arch9wavefront6targetE0EEEvT1_,"axG",@progbits,_ZN7rocprim17ROCPRIM_400000_NS6detail17trampoline_kernelINS0_14default_configENS1_25partition_config_selectorILNS1_17partition_subalgoE8ElNS0_10empty_typeEbEEZZNS1_14partition_implILS5_8ELb0ES3_jPlPS6_PKS6_NS0_5tupleIJS9_S6_EEENSD_IJSA_SA_EEENS0_18inequality_wrapperIZN2at6native12_GLOBAL__N_124unique_dim_cuda_templateIjEESt5tupleIJNSH_6TensorESM_SM_EERKSM_lbbbEUlllE0_EEPmJS6_EEE10hipError_tPvRmT3_T4_T5_T6_T7_T9_mT8_P12ihipStream_tbDpT10_ENKUlT_T0_E_clISt17integral_constantIbLb1EES1B_IbLb0EEEEDaS17_S18_EUlS17_E_NS1_11comp_targetILNS1_3genE5ELNS1_11target_archE942ELNS1_3gpuE9ELNS1_3repE0EEENS1_30default_config_static_selectorELNS0_4arch9wavefront6targetE0EEEvT1_,comdat
.Lfunc_end1558:
	.size	_ZN7rocprim17ROCPRIM_400000_NS6detail17trampoline_kernelINS0_14default_configENS1_25partition_config_selectorILNS1_17partition_subalgoE8ElNS0_10empty_typeEbEEZZNS1_14partition_implILS5_8ELb0ES3_jPlPS6_PKS6_NS0_5tupleIJS9_S6_EEENSD_IJSA_SA_EEENS0_18inequality_wrapperIZN2at6native12_GLOBAL__N_124unique_dim_cuda_templateIjEESt5tupleIJNSH_6TensorESM_SM_EERKSM_lbbbEUlllE0_EEPmJS6_EEE10hipError_tPvRmT3_T4_T5_T6_T7_T9_mT8_P12ihipStream_tbDpT10_ENKUlT_T0_E_clISt17integral_constantIbLb1EES1B_IbLb0EEEEDaS17_S18_EUlS17_E_NS1_11comp_targetILNS1_3genE5ELNS1_11target_archE942ELNS1_3gpuE9ELNS1_3repE0EEENS1_30default_config_static_selectorELNS0_4arch9wavefront6targetE0EEEvT1_, .Lfunc_end1558-_ZN7rocprim17ROCPRIM_400000_NS6detail17trampoline_kernelINS0_14default_configENS1_25partition_config_selectorILNS1_17partition_subalgoE8ElNS0_10empty_typeEbEEZZNS1_14partition_implILS5_8ELb0ES3_jPlPS6_PKS6_NS0_5tupleIJS9_S6_EEENSD_IJSA_SA_EEENS0_18inequality_wrapperIZN2at6native12_GLOBAL__N_124unique_dim_cuda_templateIjEESt5tupleIJNSH_6TensorESM_SM_EERKSM_lbbbEUlllE0_EEPmJS6_EEE10hipError_tPvRmT3_T4_T5_T6_T7_T9_mT8_P12ihipStream_tbDpT10_ENKUlT_T0_E_clISt17integral_constantIbLb1EES1B_IbLb0EEEEDaS17_S18_EUlS17_E_NS1_11comp_targetILNS1_3genE5ELNS1_11target_archE942ELNS1_3gpuE9ELNS1_3repE0EEENS1_30default_config_static_selectorELNS0_4arch9wavefront6targetE0EEEvT1_
                                        ; -- End function
	.set _ZN7rocprim17ROCPRIM_400000_NS6detail17trampoline_kernelINS0_14default_configENS1_25partition_config_selectorILNS1_17partition_subalgoE8ElNS0_10empty_typeEbEEZZNS1_14partition_implILS5_8ELb0ES3_jPlPS6_PKS6_NS0_5tupleIJS9_S6_EEENSD_IJSA_SA_EEENS0_18inequality_wrapperIZN2at6native12_GLOBAL__N_124unique_dim_cuda_templateIjEESt5tupleIJNSH_6TensorESM_SM_EERKSM_lbbbEUlllE0_EEPmJS6_EEE10hipError_tPvRmT3_T4_T5_T6_T7_T9_mT8_P12ihipStream_tbDpT10_ENKUlT_T0_E_clISt17integral_constantIbLb1EES1B_IbLb0EEEEDaS17_S18_EUlS17_E_NS1_11comp_targetILNS1_3genE5ELNS1_11target_archE942ELNS1_3gpuE9ELNS1_3repE0EEENS1_30default_config_static_selectorELNS0_4arch9wavefront6targetE0EEEvT1_.num_vgpr, 0
	.set _ZN7rocprim17ROCPRIM_400000_NS6detail17trampoline_kernelINS0_14default_configENS1_25partition_config_selectorILNS1_17partition_subalgoE8ElNS0_10empty_typeEbEEZZNS1_14partition_implILS5_8ELb0ES3_jPlPS6_PKS6_NS0_5tupleIJS9_S6_EEENSD_IJSA_SA_EEENS0_18inequality_wrapperIZN2at6native12_GLOBAL__N_124unique_dim_cuda_templateIjEESt5tupleIJNSH_6TensorESM_SM_EERKSM_lbbbEUlllE0_EEPmJS6_EEE10hipError_tPvRmT3_T4_T5_T6_T7_T9_mT8_P12ihipStream_tbDpT10_ENKUlT_T0_E_clISt17integral_constantIbLb1EES1B_IbLb0EEEEDaS17_S18_EUlS17_E_NS1_11comp_targetILNS1_3genE5ELNS1_11target_archE942ELNS1_3gpuE9ELNS1_3repE0EEENS1_30default_config_static_selectorELNS0_4arch9wavefront6targetE0EEEvT1_.num_agpr, 0
	.set _ZN7rocprim17ROCPRIM_400000_NS6detail17trampoline_kernelINS0_14default_configENS1_25partition_config_selectorILNS1_17partition_subalgoE8ElNS0_10empty_typeEbEEZZNS1_14partition_implILS5_8ELb0ES3_jPlPS6_PKS6_NS0_5tupleIJS9_S6_EEENSD_IJSA_SA_EEENS0_18inequality_wrapperIZN2at6native12_GLOBAL__N_124unique_dim_cuda_templateIjEESt5tupleIJNSH_6TensorESM_SM_EERKSM_lbbbEUlllE0_EEPmJS6_EEE10hipError_tPvRmT3_T4_T5_T6_T7_T9_mT8_P12ihipStream_tbDpT10_ENKUlT_T0_E_clISt17integral_constantIbLb1EES1B_IbLb0EEEEDaS17_S18_EUlS17_E_NS1_11comp_targetILNS1_3genE5ELNS1_11target_archE942ELNS1_3gpuE9ELNS1_3repE0EEENS1_30default_config_static_selectorELNS0_4arch9wavefront6targetE0EEEvT1_.numbered_sgpr, 0
	.set _ZN7rocprim17ROCPRIM_400000_NS6detail17trampoline_kernelINS0_14default_configENS1_25partition_config_selectorILNS1_17partition_subalgoE8ElNS0_10empty_typeEbEEZZNS1_14partition_implILS5_8ELb0ES3_jPlPS6_PKS6_NS0_5tupleIJS9_S6_EEENSD_IJSA_SA_EEENS0_18inequality_wrapperIZN2at6native12_GLOBAL__N_124unique_dim_cuda_templateIjEESt5tupleIJNSH_6TensorESM_SM_EERKSM_lbbbEUlllE0_EEPmJS6_EEE10hipError_tPvRmT3_T4_T5_T6_T7_T9_mT8_P12ihipStream_tbDpT10_ENKUlT_T0_E_clISt17integral_constantIbLb1EES1B_IbLb0EEEEDaS17_S18_EUlS17_E_NS1_11comp_targetILNS1_3genE5ELNS1_11target_archE942ELNS1_3gpuE9ELNS1_3repE0EEENS1_30default_config_static_selectorELNS0_4arch9wavefront6targetE0EEEvT1_.num_named_barrier, 0
	.set _ZN7rocprim17ROCPRIM_400000_NS6detail17trampoline_kernelINS0_14default_configENS1_25partition_config_selectorILNS1_17partition_subalgoE8ElNS0_10empty_typeEbEEZZNS1_14partition_implILS5_8ELb0ES3_jPlPS6_PKS6_NS0_5tupleIJS9_S6_EEENSD_IJSA_SA_EEENS0_18inequality_wrapperIZN2at6native12_GLOBAL__N_124unique_dim_cuda_templateIjEESt5tupleIJNSH_6TensorESM_SM_EERKSM_lbbbEUlllE0_EEPmJS6_EEE10hipError_tPvRmT3_T4_T5_T6_T7_T9_mT8_P12ihipStream_tbDpT10_ENKUlT_T0_E_clISt17integral_constantIbLb1EES1B_IbLb0EEEEDaS17_S18_EUlS17_E_NS1_11comp_targetILNS1_3genE5ELNS1_11target_archE942ELNS1_3gpuE9ELNS1_3repE0EEENS1_30default_config_static_selectorELNS0_4arch9wavefront6targetE0EEEvT1_.private_seg_size, 0
	.set _ZN7rocprim17ROCPRIM_400000_NS6detail17trampoline_kernelINS0_14default_configENS1_25partition_config_selectorILNS1_17partition_subalgoE8ElNS0_10empty_typeEbEEZZNS1_14partition_implILS5_8ELb0ES3_jPlPS6_PKS6_NS0_5tupleIJS9_S6_EEENSD_IJSA_SA_EEENS0_18inequality_wrapperIZN2at6native12_GLOBAL__N_124unique_dim_cuda_templateIjEESt5tupleIJNSH_6TensorESM_SM_EERKSM_lbbbEUlllE0_EEPmJS6_EEE10hipError_tPvRmT3_T4_T5_T6_T7_T9_mT8_P12ihipStream_tbDpT10_ENKUlT_T0_E_clISt17integral_constantIbLb1EES1B_IbLb0EEEEDaS17_S18_EUlS17_E_NS1_11comp_targetILNS1_3genE5ELNS1_11target_archE942ELNS1_3gpuE9ELNS1_3repE0EEENS1_30default_config_static_selectorELNS0_4arch9wavefront6targetE0EEEvT1_.uses_vcc, 0
	.set _ZN7rocprim17ROCPRIM_400000_NS6detail17trampoline_kernelINS0_14default_configENS1_25partition_config_selectorILNS1_17partition_subalgoE8ElNS0_10empty_typeEbEEZZNS1_14partition_implILS5_8ELb0ES3_jPlPS6_PKS6_NS0_5tupleIJS9_S6_EEENSD_IJSA_SA_EEENS0_18inequality_wrapperIZN2at6native12_GLOBAL__N_124unique_dim_cuda_templateIjEESt5tupleIJNSH_6TensorESM_SM_EERKSM_lbbbEUlllE0_EEPmJS6_EEE10hipError_tPvRmT3_T4_T5_T6_T7_T9_mT8_P12ihipStream_tbDpT10_ENKUlT_T0_E_clISt17integral_constantIbLb1EES1B_IbLb0EEEEDaS17_S18_EUlS17_E_NS1_11comp_targetILNS1_3genE5ELNS1_11target_archE942ELNS1_3gpuE9ELNS1_3repE0EEENS1_30default_config_static_selectorELNS0_4arch9wavefront6targetE0EEEvT1_.uses_flat_scratch, 0
	.set _ZN7rocprim17ROCPRIM_400000_NS6detail17trampoline_kernelINS0_14default_configENS1_25partition_config_selectorILNS1_17partition_subalgoE8ElNS0_10empty_typeEbEEZZNS1_14partition_implILS5_8ELb0ES3_jPlPS6_PKS6_NS0_5tupleIJS9_S6_EEENSD_IJSA_SA_EEENS0_18inequality_wrapperIZN2at6native12_GLOBAL__N_124unique_dim_cuda_templateIjEESt5tupleIJNSH_6TensorESM_SM_EERKSM_lbbbEUlllE0_EEPmJS6_EEE10hipError_tPvRmT3_T4_T5_T6_T7_T9_mT8_P12ihipStream_tbDpT10_ENKUlT_T0_E_clISt17integral_constantIbLb1EES1B_IbLb0EEEEDaS17_S18_EUlS17_E_NS1_11comp_targetILNS1_3genE5ELNS1_11target_archE942ELNS1_3gpuE9ELNS1_3repE0EEENS1_30default_config_static_selectorELNS0_4arch9wavefront6targetE0EEEvT1_.has_dyn_sized_stack, 0
	.set _ZN7rocprim17ROCPRIM_400000_NS6detail17trampoline_kernelINS0_14default_configENS1_25partition_config_selectorILNS1_17partition_subalgoE8ElNS0_10empty_typeEbEEZZNS1_14partition_implILS5_8ELb0ES3_jPlPS6_PKS6_NS0_5tupleIJS9_S6_EEENSD_IJSA_SA_EEENS0_18inequality_wrapperIZN2at6native12_GLOBAL__N_124unique_dim_cuda_templateIjEESt5tupleIJNSH_6TensorESM_SM_EERKSM_lbbbEUlllE0_EEPmJS6_EEE10hipError_tPvRmT3_T4_T5_T6_T7_T9_mT8_P12ihipStream_tbDpT10_ENKUlT_T0_E_clISt17integral_constantIbLb1EES1B_IbLb0EEEEDaS17_S18_EUlS17_E_NS1_11comp_targetILNS1_3genE5ELNS1_11target_archE942ELNS1_3gpuE9ELNS1_3repE0EEENS1_30default_config_static_selectorELNS0_4arch9wavefront6targetE0EEEvT1_.has_recursion, 0
	.set _ZN7rocprim17ROCPRIM_400000_NS6detail17trampoline_kernelINS0_14default_configENS1_25partition_config_selectorILNS1_17partition_subalgoE8ElNS0_10empty_typeEbEEZZNS1_14partition_implILS5_8ELb0ES3_jPlPS6_PKS6_NS0_5tupleIJS9_S6_EEENSD_IJSA_SA_EEENS0_18inequality_wrapperIZN2at6native12_GLOBAL__N_124unique_dim_cuda_templateIjEESt5tupleIJNSH_6TensorESM_SM_EERKSM_lbbbEUlllE0_EEPmJS6_EEE10hipError_tPvRmT3_T4_T5_T6_T7_T9_mT8_P12ihipStream_tbDpT10_ENKUlT_T0_E_clISt17integral_constantIbLb1EES1B_IbLb0EEEEDaS17_S18_EUlS17_E_NS1_11comp_targetILNS1_3genE5ELNS1_11target_archE942ELNS1_3gpuE9ELNS1_3repE0EEENS1_30default_config_static_selectorELNS0_4arch9wavefront6targetE0EEEvT1_.has_indirect_call, 0
	.section	.AMDGPU.csdata,"",@progbits
; Kernel info:
; codeLenInByte = 0
; TotalNumSgprs: 0
; NumVgprs: 0
; ScratchSize: 0
; MemoryBound: 0
; FloatMode: 240
; IeeeMode: 1
; LDSByteSize: 0 bytes/workgroup (compile time only)
; SGPRBlocks: 0
; VGPRBlocks: 0
; NumSGPRsForWavesPerEU: 1
; NumVGPRsForWavesPerEU: 1
; NamedBarCnt: 0
; Occupancy: 16
; WaveLimiterHint : 0
; COMPUTE_PGM_RSRC2:SCRATCH_EN: 0
; COMPUTE_PGM_RSRC2:USER_SGPR: 2
; COMPUTE_PGM_RSRC2:TRAP_HANDLER: 0
; COMPUTE_PGM_RSRC2:TGID_X_EN: 1
; COMPUTE_PGM_RSRC2:TGID_Y_EN: 0
; COMPUTE_PGM_RSRC2:TGID_Z_EN: 0
; COMPUTE_PGM_RSRC2:TIDIG_COMP_CNT: 0
	.section	.text._ZN7rocprim17ROCPRIM_400000_NS6detail17trampoline_kernelINS0_14default_configENS1_25partition_config_selectorILNS1_17partition_subalgoE8ElNS0_10empty_typeEbEEZZNS1_14partition_implILS5_8ELb0ES3_jPlPS6_PKS6_NS0_5tupleIJS9_S6_EEENSD_IJSA_SA_EEENS0_18inequality_wrapperIZN2at6native12_GLOBAL__N_124unique_dim_cuda_templateIjEESt5tupleIJNSH_6TensorESM_SM_EERKSM_lbbbEUlllE0_EEPmJS6_EEE10hipError_tPvRmT3_T4_T5_T6_T7_T9_mT8_P12ihipStream_tbDpT10_ENKUlT_T0_E_clISt17integral_constantIbLb1EES1B_IbLb0EEEEDaS17_S18_EUlS17_E_NS1_11comp_targetILNS1_3genE4ELNS1_11target_archE910ELNS1_3gpuE8ELNS1_3repE0EEENS1_30default_config_static_selectorELNS0_4arch9wavefront6targetE0EEEvT1_,"axG",@progbits,_ZN7rocprim17ROCPRIM_400000_NS6detail17trampoline_kernelINS0_14default_configENS1_25partition_config_selectorILNS1_17partition_subalgoE8ElNS0_10empty_typeEbEEZZNS1_14partition_implILS5_8ELb0ES3_jPlPS6_PKS6_NS0_5tupleIJS9_S6_EEENSD_IJSA_SA_EEENS0_18inequality_wrapperIZN2at6native12_GLOBAL__N_124unique_dim_cuda_templateIjEESt5tupleIJNSH_6TensorESM_SM_EERKSM_lbbbEUlllE0_EEPmJS6_EEE10hipError_tPvRmT3_T4_T5_T6_T7_T9_mT8_P12ihipStream_tbDpT10_ENKUlT_T0_E_clISt17integral_constantIbLb1EES1B_IbLb0EEEEDaS17_S18_EUlS17_E_NS1_11comp_targetILNS1_3genE4ELNS1_11target_archE910ELNS1_3gpuE8ELNS1_3repE0EEENS1_30default_config_static_selectorELNS0_4arch9wavefront6targetE0EEEvT1_,comdat
	.globl	_ZN7rocprim17ROCPRIM_400000_NS6detail17trampoline_kernelINS0_14default_configENS1_25partition_config_selectorILNS1_17partition_subalgoE8ElNS0_10empty_typeEbEEZZNS1_14partition_implILS5_8ELb0ES3_jPlPS6_PKS6_NS0_5tupleIJS9_S6_EEENSD_IJSA_SA_EEENS0_18inequality_wrapperIZN2at6native12_GLOBAL__N_124unique_dim_cuda_templateIjEESt5tupleIJNSH_6TensorESM_SM_EERKSM_lbbbEUlllE0_EEPmJS6_EEE10hipError_tPvRmT3_T4_T5_T6_T7_T9_mT8_P12ihipStream_tbDpT10_ENKUlT_T0_E_clISt17integral_constantIbLb1EES1B_IbLb0EEEEDaS17_S18_EUlS17_E_NS1_11comp_targetILNS1_3genE4ELNS1_11target_archE910ELNS1_3gpuE8ELNS1_3repE0EEENS1_30default_config_static_selectorELNS0_4arch9wavefront6targetE0EEEvT1_ ; -- Begin function _ZN7rocprim17ROCPRIM_400000_NS6detail17trampoline_kernelINS0_14default_configENS1_25partition_config_selectorILNS1_17partition_subalgoE8ElNS0_10empty_typeEbEEZZNS1_14partition_implILS5_8ELb0ES3_jPlPS6_PKS6_NS0_5tupleIJS9_S6_EEENSD_IJSA_SA_EEENS0_18inequality_wrapperIZN2at6native12_GLOBAL__N_124unique_dim_cuda_templateIjEESt5tupleIJNSH_6TensorESM_SM_EERKSM_lbbbEUlllE0_EEPmJS6_EEE10hipError_tPvRmT3_T4_T5_T6_T7_T9_mT8_P12ihipStream_tbDpT10_ENKUlT_T0_E_clISt17integral_constantIbLb1EES1B_IbLb0EEEEDaS17_S18_EUlS17_E_NS1_11comp_targetILNS1_3genE4ELNS1_11target_archE910ELNS1_3gpuE8ELNS1_3repE0EEENS1_30default_config_static_selectorELNS0_4arch9wavefront6targetE0EEEvT1_
	.p2align	8
	.type	_ZN7rocprim17ROCPRIM_400000_NS6detail17trampoline_kernelINS0_14default_configENS1_25partition_config_selectorILNS1_17partition_subalgoE8ElNS0_10empty_typeEbEEZZNS1_14partition_implILS5_8ELb0ES3_jPlPS6_PKS6_NS0_5tupleIJS9_S6_EEENSD_IJSA_SA_EEENS0_18inequality_wrapperIZN2at6native12_GLOBAL__N_124unique_dim_cuda_templateIjEESt5tupleIJNSH_6TensorESM_SM_EERKSM_lbbbEUlllE0_EEPmJS6_EEE10hipError_tPvRmT3_T4_T5_T6_T7_T9_mT8_P12ihipStream_tbDpT10_ENKUlT_T0_E_clISt17integral_constantIbLb1EES1B_IbLb0EEEEDaS17_S18_EUlS17_E_NS1_11comp_targetILNS1_3genE4ELNS1_11target_archE910ELNS1_3gpuE8ELNS1_3repE0EEENS1_30default_config_static_selectorELNS0_4arch9wavefront6targetE0EEEvT1_,@function
_ZN7rocprim17ROCPRIM_400000_NS6detail17trampoline_kernelINS0_14default_configENS1_25partition_config_selectorILNS1_17partition_subalgoE8ElNS0_10empty_typeEbEEZZNS1_14partition_implILS5_8ELb0ES3_jPlPS6_PKS6_NS0_5tupleIJS9_S6_EEENSD_IJSA_SA_EEENS0_18inequality_wrapperIZN2at6native12_GLOBAL__N_124unique_dim_cuda_templateIjEESt5tupleIJNSH_6TensorESM_SM_EERKSM_lbbbEUlllE0_EEPmJS6_EEE10hipError_tPvRmT3_T4_T5_T6_T7_T9_mT8_P12ihipStream_tbDpT10_ENKUlT_T0_E_clISt17integral_constantIbLb1EES1B_IbLb0EEEEDaS17_S18_EUlS17_E_NS1_11comp_targetILNS1_3genE4ELNS1_11target_archE910ELNS1_3gpuE8ELNS1_3repE0EEENS1_30default_config_static_selectorELNS0_4arch9wavefront6targetE0EEEvT1_: ; @_ZN7rocprim17ROCPRIM_400000_NS6detail17trampoline_kernelINS0_14default_configENS1_25partition_config_selectorILNS1_17partition_subalgoE8ElNS0_10empty_typeEbEEZZNS1_14partition_implILS5_8ELb0ES3_jPlPS6_PKS6_NS0_5tupleIJS9_S6_EEENSD_IJSA_SA_EEENS0_18inequality_wrapperIZN2at6native12_GLOBAL__N_124unique_dim_cuda_templateIjEESt5tupleIJNSH_6TensorESM_SM_EERKSM_lbbbEUlllE0_EEPmJS6_EEE10hipError_tPvRmT3_T4_T5_T6_T7_T9_mT8_P12ihipStream_tbDpT10_ENKUlT_T0_E_clISt17integral_constantIbLb1EES1B_IbLb0EEEEDaS17_S18_EUlS17_E_NS1_11comp_targetILNS1_3genE4ELNS1_11target_archE910ELNS1_3gpuE8ELNS1_3repE0EEENS1_30default_config_static_selectorELNS0_4arch9wavefront6targetE0EEEvT1_
; %bb.0:
	.section	.rodata,"a",@progbits
	.p2align	6, 0x0
	.amdhsa_kernel _ZN7rocprim17ROCPRIM_400000_NS6detail17trampoline_kernelINS0_14default_configENS1_25partition_config_selectorILNS1_17partition_subalgoE8ElNS0_10empty_typeEbEEZZNS1_14partition_implILS5_8ELb0ES3_jPlPS6_PKS6_NS0_5tupleIJS9_S6_EEENSD_IJSA_SA_EEENS0_18inequality_wrapperIZN2at6native12_GLOBAL__N_124unique_dim_cuda_templateIjEESt5tupleIJNSH_6TensorESM_SM_EERKSM_lbbbEUlllE0_EEPmJS6_EEE10hipError_tPvRmT3_T4_T5_T6_T7_T9_mT8_P12ihipStream_tbDpT10_ENKUlT_T0_E_clISt17integral_constantIbLb1EES1B_IbLb0EEEEDaS17_S18_EUlS17_E_NS1_11comp_targetILNS1_3genE4ELNS1_11target_archE910ELNS1_3gpuE8ELNS1_3repE0EEENS1_30default_config_static_selectorELNS0_4arch9wavefront6targetE0EEEvT1_
		.amdhsa_group_segment_fixed_size 0
		.amdhsa_private_segment_fixed_size 0
		.amdhsa_kernarg_size 120
		.amdhsa_user_sgpr_count 2
		.amdhsa_user_sgpr_dispatch_ptr 0
		.amdhsa_user_sgpr_queue_ptr 0
		.amdhsa_user_sgpr_kernarg_segment_ptr 1
		.amdhsa_user_sgpr_dispatch_id 0
		.amdhsa_user_sgpr_kernarg_preload_length 0
		.amdhsa_user_sgpr_kernarg_preload_offset 0
		.amdhsa_user_sgpr_private_segment_size 0
		.amdhsa_wavefront_size32 1
		.amdhsa_uses_dynamic_stack 0
		.amdhsa_enable_private_segment 0
		.amdhsa_system_sgpr_workgroup_id_x 1
		.amdhsa_system_sgpr_workgroup_id_y 0
		.amdhsa_system_sgpr_workgroup_id_z 0
		.amdhsa_system_sgpr_workgroup_info 0
		.amdhsa_system_vgpr_workitem_id 0
		.amdhsa_next_free_vgpr 1
		.amdhsa_next_free_sgpr 1
		.amdhsa_named_barrier_count 0
		.amdhsa_reserve_vcc 0
		.amdhsa_float_round_mode_32 0
		.amdhsa_float_round_mode_16_64 0
		.amdhsa_float_denorm_mode_32 3
		.amdhsa_float_denorm_mode_16_64 3
		.amdhsa_fp16_overflow 0
		.amdhsa_memory_ordered 1
		.amdhsa_forward_progress 1
		.amdhsa_inst_pref_size 0
		.amdhsa_round_robin_scheduling 0
		.amdhsa_exception_fp_ieee_invalid_op 0
		.amdhsa_exception_fp_denorm_src 0
		.amdhsa_exception_fp_ieee_div_zero 0
		.amdhsa_exception_fp_ieee_overflow 0
		.amdhsa_exception_fp_ieee_underflow 0
		.amdhsa_exception_fp_ieee_inexact 0
		.amdhsa_exception_int_div_zero 0
	.end_amdhsa_kernel
	.section	.text._ZN7rocprim17ROCPRIM_400000_NS6detail17trampoline_kernelINS0_14default_configENS1_25partition_config_selectorILNS1_17partition_subalgoE8ElNS0_10empty_typeEbEEZZNS1_14partition_implILS5_8ELb0ES3_jPlPS6_PKS6_NS0_5tupleIJS9_S6_EEENSD_IJSA_SA_EEENS0_18inequality_wrapperIZN2at6native12_GLOBAL__N_124unique_dim_cuda_templateIjEESt5tupleIJNSH_6TensorESM_SM_EERKSM_lbbbEUlllE0_EEPmJS6_EEE10hipError_tPvRmT3_T4_T5_T6_T7_T9_mT8_P12ihipStream_tbDpT10_ENKUlT_T0_E_clISt17integral_constantIbLb1EES1B_IbLb0EEEEDaS17_S18_EUlS17_E_NS1_11comp_targetILNS1_3genE4ELNS1_11target_archE910ELNS1_3gpuE8ELNS1_3repE0EEENS1_30default_config_static_selectorELNS0_4arch9wavefront6targetE0EEEvT1_,"axG",@progbits,_ZN7rocprim17ROCPRIM_400000_NS6detail17trampoline_kernelINS0_14default_configENS1_25partition_config_selectorILNS1_17partition_subalgoE8ElNS0_10empty_typeEbEEZZNS1_14partition_implILS5_8ELb0ES3_jPlPS6_PKS6_NS0_5tupleIJS9_S6_EEENSD_IJSA_SA_EEENS0_18inequality_wrapperIZN2at6native12_GLOBAL__N_124unique_dim_cuda_templateIjEESt5tupleIJNSH_6TensorESM_SM_EERKSM_lbbbEUlllE0_EEPmJS6_EEE10hipError_tPvRmT3_T4_T5_T6_T7_T9_mT8_P12ihipStream_tbDpT10_ENKUlT_T0_E_clISt17integral_constantIbLb1EES1B_IbLb0EEEEDaS17_S18_EUlS17_E_NS1_11comp_targetILNS1_3genE4ELNS1_11target_archE910ELNS1_3gpuE8ELNS1_3repE0EEENS1_30default_config_static_selectorELNS0_4arch9wavefront6targetE0EEEvT1_,comdat
.Lfunc_end1559:
	.size	_ZN7rocprim17ROCPRIM_400000_NS6detail17trampoline_kernelINS0_14default_configENS1_25partition_config_selectorILNS1_17partition_subalgoE8ElNS0_10empty_typeEbEEZZNS1_14partition_implILS5_8ELb0ES3_jPlPS6_PKS6_NS0_5tupleIJS9_S6_EEENSD_IJSA_SA_EEENS0_18inequality_wrapperIZN2at6native12_GLOBAL__N_124unique_dim_cuda_templateIjEESt5tupleIJNSH_6TensorESM_SM_EERKSM_lbbbEUlllE0_EEPmJS6_EEE10hipError_tPvRmT3_T4_T5_T6_T7_T9_mT8_P12ihipStream_tbDpT10_ENKUlT_T0_E_clISt17integral_constantIbLb1EES1B_IbLb0EEEEDaS17_S18_EUlS17_E_NS1_11comp_targetILNS1_3genE4ELNS1_11target_archE910ELNS1_3gpuE8ELNS1_3repE0EEENS1_30default_config_static_selectorELNS0_4arch9wavefront6targetE0EEEvT1_, .Lfunc_end1559-_ZN7rocprim17ROCPRIM_400000_NS6detail17trampoline_kernelINS0_14default_configENS1_25partition_config_selectorILNS1_17partition_subalgoE8ElNS0_10empty_typeEbEEZZNS1_14partition_implILS5_8ELb0ES3_jPlPS6_PKS6_NS0_5tupleIJS9_S6_EEENSD_IJSA_SA_EEENS0_18inequality_wrapperIZN2at6native12_GLOBAL__N_124unique_dim_cuda_templateIjEESt5tupleIJNSH_6TensorESM_SM_EERKSM_lbbbEUlllE0_EEPmJS6_EEE10hipError_tPvRmT3_T4_T5_T6_T7_T9_mT8_P12ihipStream_tbDpT10_ENKUlT_T0_E_clISt17integral_constantIbLb1EES1B_IbLb0EEEEDaS17_S18_EUlS17_E_NS1_11comp_targetILNS1_3genE4ELNS1_11target_archE910ELNS1_3gpuE8ELNS1_3repE0EEENS1_30default_config_static_selectorELNS0_4arch9wavefront6targetE0EEEvT1_
                                        ; -- End function
	.set _ZN7rocprim17ROCPRIM_400000_NS6detail17trampoline_kernelINS0_14default_configENS1_25partition_config_selectorILNS1_17partition_subalgoE8ElNS0_10empty_typeEbEEZZNS1_14partition_implILS5_8ELb0ES3_jPlPS6_PKS6_NS0_5tupleIJS9_S6_EEENSD_IJSA_SA_EEENS0_18inequality_wrapperIZN2at6native12_GLOBAL__N_124unique_dim_cuda_templateIjEESt5tupleIJNSH_6TensorESM_SM_EERKSM_lbbbEUlllE0_EEPmJS6_EEE10hipError_tPvRmT3_T4_T5_T6_T7_T9_mT8_P12ihipStream_tbDpT10_ENKUlT_T0_E_clISt17integral_constantIbLb1EES1B_IbLb0EEEEDaS17_S18_EUlS17_E_NS1_11comp_targetILNS1_3genE4ELNS1_11target_archE910ELNS1_3gpuE8ELNS1_3repE0EEENS1_30default_config_static_selectorELNS0_4arch9wavefront6targetE0EEEvT1_.num_vgpr, 0
	.set _ZN7rocprim17ROCPRIM_400000_NS6detail17trampoline_kernelINS0_14default_configENS1_25partition_config_selectorILNS1_17partition_subalgoE8ElNS0_10empty_typeEbEEZZNS1_14partition_implILS5_8ELb0ES3_jPlPS6_PKS6_NS0_5tupleIJS9_S6_EEENSD_IJSA_SA_EEENS0_18inequality_wrapperIZN2at6native12_GLOBAL__N_124unique_dim_cuda_templateIjEESt5tupleIJNSH_6TensorESM_SM_EERKSM_lbbbEUlllE0_EEPmJS6_EEE10hipError_tPvRmT3_T4_T5_T6_T7_T9_mT8_P12ihipStream_tbDpT10_ENKUlT_T0_E_clISt17integral_constantIbLb1EES1B_IbLb0EEEEDaS17_S18_EUlS17_E_NS1_11comp_targetILNS1_3genE4ELNS1_11target_archE910ELNS1_3gpuE8ELNS1_3repE0EEENS1_30default_config_static_selectorELNS0_4arch9wavefront6targetE0EEEvT1_.num_agpr, 0
	.set _ZN7rocprim17ROCPRIM_400000_NS6detail17trampoline_kernelINS0_14default_configENS1_25partition_config_selectorILNS1_17partition_subalgoE8ElNS0_10empty_typeEbEEZZNS1_14partition_implILS5_8ELb0ES3_jPlPS6_PKS6_NS0_5tupleIJS9_S6_EEENSD_IJSA_SA_EEENS0_18inequality_wrapperIZN2at6native12_GLOBAL__N_124unique_dim_cuda_templateIjEESt5tupleIJNSH_6TensorESM_SM_EERKSM_lbbbEUlllE0_EEPmJS6_EEE10hipError_tPvRmT3_T4_T5_T6_T7_T9_mT8_P12ihipStream_tbDpT10_ENKUlT_T0_E_clISt17integral_constantIbLb1EES1B_IbLb0EEEEDaS17_S18_EUlS17_E_NS1_11comp_targetILNS1_3genE4ELNS1_11target_archE910ELNS1_3gpuE8ELNS1_3repE0EEENS1_30default_config_static_selectorELNS0_4arch9wavefront6targetE0EEEvT1_.numbered_sgpr, 0
	.set _ZN7rocprim17ROCPRIM_400000_NS6detail17trampoline_kernelINS0_14default_configENS1_25partition_config_selectorILNS1_17partition_subalgoE8ElNS0_10empty_typeEbEEZZNS1_14partition_implILS5_8ELb0ES3_jPlPS6_PKS6_NS0_5tupleIJS9_S6_EEENSD_IJSA_SA_EEENS0_18inequality_wrapperIZN2at6native12_GLOBAL__N_124unique_dim_cuda_templateIjEESt5tupleIJNSH_6TensorESM_SM_EERKSM_lbbbEUlllE0_EEPmJS6_EEE10hipError_tPvRmT3_T4_T5_T6_T7_T9_mT8_P12ihipStream_tbDpT10_ENKUlT_T0_E_clISt17integral_constantIbLb1EES1B_IbLb0EEEEDaS17_S18_EUlS17_E_NS1_11comp_targetILNS1_3genE4ELNS1_11target_archE910ELNS1_3gpuE8ELNS1_3repE0EEENS1_30default_config_static_selectorELNS0_4arch9wavefront6targetE0EEEvT1_.num_named_barrier, 0
	.set _ZN7rocprim17ROCPRIM_400000_NS6detail17trampoline_kernelINS0_14default_configENS1_25partition_config_selectorILNS1_17partition_subalgoE8ElNS0_10empty_typeEbEEZZNS1_14partition_implILS5_8ELb0ES3_jPlPS6_PKS6_NS0_5tupleIJS9_S6_EEENSD_IJSA_SA_EEENS0_18inequality_wrapperIZN2at6native12_GLOBAL__N_124unique_dim_cuda_templateIjEESt5tupleIJNSH_6TensorESM_SM_EERKSM_lbbbEUlllE0_EEPmJS6_EEE10hipError_tPvRmT3_T4_T5_T6_T7_T9_mT8_P12ihipStream_tbDpT10_ENKUlT_T0_E_clISt17integral_constantIbLb1EES1B_IbLb0EEEEDaS17_S18_EUlS17_E_NS1_11comp_targetILNS1_3genE4ELNS1_11target_archE910ELNS1_3gpuE8ELNS1_3repE0EEENS1_30default_config_static_selectorELNS0_4arch9wavefront6targetE0EEEvT1_.private_seg_size, 0
	.set _ZN7rocprim17ROCPRIM_400000_NS6detail17trampoline_kernelINS0_14default_configENS1_25partition_config_selectorILNS1_17partition_subalgoE8ElNS0_10empty_typeEbEEZZNS1_14partition_implILS5_8ELb0ES3_jPlPS6_PKS6_NS0_5tupleIJS9_S6_EEENSD_IJSA_SA_EEENS0_18inequality_wrapperIZN2at6native12_GLOBAL__N_124unique_dim_cuda_templateIjEESt5tupleIJNSH_6TensorESM_SM_EERKSM_lbbbEUlllE0_EEPmJS6_EEE10hipError_tPvRmT3_T4_T5_T6_T7_T9_mT8_P12ihipStream_tbDpT10_ENKUlT_T0_E_clISt17integral_constantIbLb1EES1B_IbLb0EEEEDaS17_S18_EUlS17_E_NS1_11comp_targetILNS1_3genE4ELNS1_11target_archE910ELNS1_3gpuE8ELNS1_3repE0EEENS1_30default_config_static_selectorELNS0_4arch9wavefront6targetE0EEEvT1_.uses_vcc, 0
	.set _ZN7rocprim17ROCPRIM_400000_NS6detail17trampoline_kernelINS0_14default_configENS1_25partition_config_selectorILNS1_17partition_subalgoE8ElNS0_10empty_typeEbEEZZNS1_14partition_implILS5_8ELb0ES3_jPlPS6_PKS6_NS0_5tupleIJS9_S6_EEENSD_IJSA_SA_EEENS0_18inequality_wrapperIZN2at6native12_GLOBAL__N_124unique_dim_cuda_templateIjEESt5tupleIJNSH_6TensorESM_SM_EERKSM_lbbbEUlllE0_EEPmJS6_EEE10hipError_tPvRmT3_T4_T5_T6_T7_T9_mT8_P12ihipStream_tbDpT10_ENKUlT_T0_E_clISt17integral_constantIbLb1EES1B_IbLb0EEEEDaS17_S18_EUlS17_E_NS1_11comp_targetILNS1_3genE4ELNS1_11target_archE910ELNS1_3gpuE8ELNS1_3repE0EEENS1_30default_config_static_selectorELNS0_4arch9wavefront6targetE0EEEvT1_.uses_flat_scratch, 0
	.set _ZN7rocprim17ROCPRIM_400000_NS6detail17trampoline_kernelINS0_14default_configENS1_25partition_config_selectorILNS1_17partition_subalgoE8ElNS0_10empty_typeEbEEZZNS1_14partition_implILS5_8ELb0ES3_jPlPS6_PKS6_NS0_5tupleIJS9_S6_EEENSD_IJSA_SA_EEENS0_18inequality_wrapperIZN2at6native12_GLOBAL__N_124unique_dim_cuda_templateIjEESt5tupleIJNSH_6TensorESM_SM_EERKSM_lbbbEUlllE0_EEPmJS6_EEE10hipError_tPvRmT3_T4_T5_T6_T7_T9_mT8_P12ihipStream_tbDpT10_ENKUlT_T0_E_clISt17integral_constantIbLb1EES1B_IbLb0EEEEDaS17_S18_EUlS17_E_NS1_11comp_targetILNS1_3genE4ELNS1_11target_archE910ELNS1_3gpuE8ELNS1_3repE0EEENS1_30default_config_static_selectorELNS0_4arch9wavefront6targetE0EEEvT1_.has_dyn_sized_stack, 0
	.set _ZN7rocprim17ROCPRIM_400000_NS6detail17trampoline_kernelINS0_14default_configENS1_25partition_config_selectorILNS1_17partition_subalgoE8ElNS0_10empty_typeEbEEZZNS1_14partition_implILS5_8ELb0ES3_jPlPS6_PKS6_NS0_5tupleIJS9_S6_EEENSD_IJSA_SA_EEENS0_18inequality_wrapperIZN2at6native12_GLOBAL__N_124unique_dim_cuda_templateIjEESt5tupleIJNSH_6TensorESM_SM_EERKSM_lbbbEUlllE0_EEPmJS6_EEE10hipError_tPvRmT3_T4_T5_T6_T7_T9_mT8_P12ihipStream_tbDpT10_ENKUlT_T0_E_clISt17integral_constantIbLb1EES1B_IbLb0EEEEDaS17_S18_EUlS17_E_NS1_11comp_targetILNS1_3genE4ELNS1_11target_archE910ELNS1_3gpuE8ELNS1_3repE0EEENS1_30default_config_static_selectorELNS0_4arch9wavefront6targetE0EEEvT1_.has_recursion, 0
	.set _ZN7rocprim17ROCPRIM_400000_NS6detail17trampoline_kernelINS0_14default_configENS1_25partition_config_selectorILNS1_17partition_subalgoE8ElNS0_10empty_typeEbEEZZNS1_14partition_implILS5_8ELb0ES3_jPlPS6_PKS6_NS0_5tupleIJS9_S6_EEENSD_IJSA_SA_EEENS0_18inequality_wrapperIZN2at6native12_GLOBAL__N_124unique_dim_cuda_templateIjEESt5tupleIJNSH_6TensorESM_SM_EERKSM_lbbbEUlllE0_EEPmJS6_EEE10hipError_tPvRmT3_T4_T5_T6_T7_T9_mT8_P12ihipStream_tbDpT10_ENKUlT_T0_E_clISt17integral_constantIbLb1EES1B_IbLb0EEEEDaS17_S18_EUlS17_E_NS1_11comp_targetILNS1_3genE4ELNS1_11target_archE910ELNS1_3gpuE8ELNS1_3repE0EEENS1_30default_config_static_selectorELNS0_4arch9wavefront6targetE0EEEvT1_.has_indirect_call, 0
	.section	.AMDGPU.csdata,"",@progbits
; Kernel info:
; codeLenInByte = 0
; TotalNumSgprs: 0
; NumVgprs: 0
; ScratchSize: 0
; MemoryBound: 0
; FloatMode: 240
; IeeeMode: 1
; LDSByteSize: 0 bytes/workgroup (compile time only)
; SGPRBlocks: 0
; VGPRBlocks: 0
; NumSGPRsForWavesPerEU: 1
; NumVGPRsForWavesPerEU: 1
; NamedBarCnt: 0
; Occupancy: 16
; WaveLimiterHint : 0
; COMPUTE_PGM_RSRC2:SCRATCH_EN: 0
; COMPUTE_PGM_RSRC2:USER_SGPR: 2
; COMPUTE_PGM_RSRC2:TRAP_HANDLER: 0
; COMPUTE_PGM_RSRC2:TGID_X_EN: 1
; COMPUTE_PGM_RSRC2:TGID_Y_EN: 0
; COMPUTE_PGM_RSRC2:TGID_Z_EN: 0
; COMPUTE_PGM_RSRC2:TIDIG_COMP_CNT: 0
	.section	.text._ZN7rocprim17ROCPRIM_400000_NS6detail17trampoline_kernelINS0_14default_configENS1_25partition_config_selectorILNS1_17partition_subalgoE8ElNS0_10empty_typeEbEEZZNS1_14partition_implILS5_8ELb0ES3_jPlPS6_PKS6_NS0_5tupleIJS9_S6_EEENSD_IJSA_SA_EEENS0_18inequality_wrapperIZN2at6native12_GLOBAL__N_124unique_dim_cuda_templateIjEESt5tupleIJNSH_6TensorESM_SM_EERKSM_lbbbEUlllE0_EEPmJS6_EEE10hipError_tPvRmT3_T4_T5_T6_T7_T9_mT8_P12ihipStream_tbDpT10_ENKUlT_T0_E_clISt17integral_constantIbLb1EES1B_IbLb0EEEEDaS17_S18_EUlS17_E_NS1_11comp_targetILNS1_3genE3ELNS1_11target_archE908ELNS1_3gpuE7ELNS1_3repE0EEENS1_30default_config_static_selectorELNS0_4arch9wavefront6targetE0EEEvT1_,"axG",@progbits,_ZN7rocprim17ROCPRIM_400000_NS6detail17trampoline_kernelINS0_14default_configENS1_25partition_config_selectorILNS1_17partition_subalgoE8ElNS0_10empty_typeEbEEZZNS1_14partition_implILS5_8ELb0ES3_jPlPS6_PKS6_NS0_5tupleIJS9_S6_EEENSD_IJSA_SA_EEENS0_18inequality_wrapperIZN2at6native12_GLOBAL__N_124unique_dim_cuda_templateIjEESt5tupleIJNSH_6TensorESM_SM_EERKSM_lbbbEUlllE0_EEPmJS6_EEE10hipError_tPvRmT3_T4_T5_T6_T7_T9_mT8_P12ihipStream_tbDpT10_ENKUlT_T0_E_clISt17integral_constantIbLb1EES1B_IbLb0EEEEDaS17_S18_EUlS17_E_NS1_11comp_targetILNS1_3genE3ELNS1_11target_archE908ELNS1_3gpuE7ELNS1_3repE0EEENS1_30default_config_static_selectorELNS0_4arch9wavefront6targetE0EEEvT1_,comdat
	.globl	_ZN7rocprim17ROCPRIM_400000_NS6detail17trampoline_kernelINS0_14default_configENS1_25partition_config_selectorILNS1_17partition_subalgoE8ElNS0_10empty_typeEbEEZZNS1_14partition_implILS5_8ELb0ES3_jPlPS6_PKS6_NS0_5tupleIJS9_S6_EEENSD_IJSA_SA_EEENS0_18inequality_wrapperIZN2at6native12_GLOBAL__N_124unique_dim_cuda_templateIjEESt5tupleIJNSH_6TensorESM_SM_EERKSM_lbbbEUlllE0_EEPmJS6_EEE10hipError_tPvRmT3_T4_T5_T6_T7_T9_mT8_P12ihipStream_tbDpT10_ENKUlT_T0_E_clISt17integral_constantIbLb1EES1B_IbLb0EEEEDaS17_S18_EUlS17_E_NS1_11comp_targetILNS1_3genE3ELNS1_11target_archE908ELNS1_3gpuE7ELNS1_3repE0EEENS1_30default_config_static_selectorELNS0_4arch9wavefront6targetE0EEEvT1_ ; -- Begin function _ZN7rocprim17ROCPRIM_400000_NS6detail17trampoline_kernelINS0_14default_configENS1_25partition_config_selectorILNS1_17partition_subalgoE8ElNS0_10empty_typeEbEEZZNS1_14partition_implILS5_8ELb0ES3_jPlPS6_PKS6_NS0_5tupleIJS9_S6_EEENSD_IJSA_SA_EEENS0_18inequality_wrapperIZN2at6native12_GLOBAL__N_124unique_dim_cuda_templateIjEESt5tupleIJNSH_6TensorESM_SM_EERKSM_lbbbEUlllE0_EEPmJS6_EEE10hipError_tPvRmT3_T4_T5_T6_T7_T9_mT8_P12ihipStream_tbDpT10_ENKUlT_T0_E_clISt17integral_constantIbLb1EES1B_IbLb0EEEEDaS17_S18_EUlS17_E_NS1_11comp_targetILNS1_3genE3ELNS1_11target_archE908ELNS1_3gpuE7ELNS1_3repE0EEENS1_30default_config_static_selectorELNS0_4arch9wavefront6targetE0EEEvT1_
	.p2align	8
	.type	_ZN7rocprim17ROCPRIM_400000_NS6detail17trampoline_kernelINS0_14default_configENS1_25partition_config_selectorILNS1_17partition_subalgoE8ElNS0_10empty_typeEbEEZZNS1_14partition_implILS5_8ELb0ES3_jPlPS6_PKS6_NS0_5tupleIJS9_S6_EEENSD_IJSA_SA_EEENS0_18inequality_wrapperIZN2at6native12_GLOBAL__N_124unique_dim_cuda_templateIjEESt5tupleIJNSH_6TensorESM_SM_EERKSM_lbbbEUlllE0_EEPmJS6_EEE10hipError_tPvRmT3_T4_T5_T6_T7_T9_mT8_P12ihipStream_tbDpT10_ENKUlT_T0_E_clISt17integral_constantIbLb1EES1B_IbLb0EEEEDaS17_S18_EUlS17_E_NS1_11comp_targetILNS1_3genE3ELNS1_11target_archE908ELNS1_3gpuE7ELNS1_3repE0EEENS1_30default_config_static_selectorELNS0_4arch9wavefront6targetE0EEEvT1_,@function
_ZN7rocprim17ROCPRIM_400000_NS6detail17trampoline_kernelINS0_14default_configENS1_25partition_config_selectorILNS1_17partition_subalgoE8ElNS0_10empty_typeEbEEZZNS1_14partition_implILS5_8ELb0ES3_jPlPS6_PKS6_NS0_5tupleIJS9_S6_EEENSD_IJSA_SA_EEENS0_18inequality_wrapperIZN2at6native12_GLOBAL__N_124unique_dim_cuda_templateIjEESt5tupleIJNSH_6TensorESM_SM_EERKSM_lbbbEUlllE0_EEPmJS6_EEE10hipError_tPvRmT3_T4_T5_T6_T7_T9_mT8_P12ihipStream_tbDpT10_ENKUlT_T0_E_clISt17integral_constantIbLb1EES1B_IbLb0EEEEDaS17_S18_EUlS17_E_NS1_11comp_targetILNS1_3genE3ELNS1_11target_archE908ELNS1_3gpuE7ELNS1_3repE0EEENS1_30default_config_static_selectorELNS0_4arch9wavefront6targetE0EEEvT1_: ; @_ZN7rocprim17ROCPRIM_400000_NS6detail17trampoline_kernelINS0_14default_configENS1_25partition_config_selectorILNS1_17partition_subalgoE8ElNS0_10empty_typeEbEEZZNS1_14partition_implILS5_8ELb0ES3_jPlPS6_PKS6_NS0_5tupleIJS9_S6_EEENSD_IJSA_SA_EEENS0_18inequality_wrapperIZN2at6native12_GLOBAL__N_124unique_dim_cuda_templateIjEESt5tupleIJNSH_6TensorESM_SM_EERKSM_lbbbEUlllE0_EEPmJS6_EEE10hipError_tPvRmT3_T4_T5_T6_T7_T9_mT8_P12ihipStream_tbDpT10_ENKUlT_T0_E_clISt17integral_constantIbLb1EES1B_IbLb0EEEEDaS17_S18_EUlS17_E_NS1_11comp_targetILNS1_3genE3ELNS1_11target_archE908ELNS1_3gpuE7ELNS1_3repE0EEENS1_30default_config_static_selectorELNS0_4arch9wavefront6targetE0EEEvT1_
; %bb.0:
	.section	.rodata,"a",@progbits
	.p2align	6, 0x0
	.amdhsa_kernel _ZN7rocprim17ROCPRIM_400000_NS6detail17trampoline_kernelINS0_14default_configENS1_25partition_config_selectorILNS1_17partition_subalgoE8ElNS0_10empty_typeEbEEZZNS1_14partition_implILS5_8ELb0ES3_jPlPS6_PKS6_NS0_5tupleIJS9_S6_EEENSD_IJSA_SA_EEENS0_18inequality_wrapperIZN2at6native12_GLOBAL__N_124unique_dim_cuda_templateIjEESt5tupleIJNSH_6TensorESM_SM_EERKSM_lbbbEUlllE0_EEPmJS6_EEE10hipError_tPvRmT3_T4_T5_T6_T7_T9_mT8_P12ihipStream_tbDpT10_ENKUlT_T0_E_clISt17integral_constantIbLb1EES1B_IbLb0EEEEDaS17_S18_EUlS17_E_NS1_11comp_targetILNS1_3genE3ELNS1_11target_archE908ELNS1_3gpuE7ELNS1_3repE0EEENS1_30default_config_static_selectorELNS0_4arch9wavefront6targetE0EEEvT1_
		.amdhsa_group_segment_fixed_size 0
		.amdhsa_private_segment_fixed_size 0
		.amdhsa_kernarg_size 120
		.amdhsa_user_sgpr_count 2
		.amdhsa_user_sgpr_dispatch_ptr 0
		.amdhsa_user_sgpr_queue_ptr 0
		.amdhsa_user_sgpr_kernarg_segment_ptr 1
		.amdhsa_user_sgpr_dispatch_id 0
		.amdhsa_user_sgpr_kernarg_preload_length 0
		.amdhsa_user_sgpr_kernarg_preload_offset 0
		.amdhsa_user_sgpr_private_segment_size 0
		.amdhsa_wavefront_size32 1
		.amdhsa_uses_dynamic_stack 0
		.amdhsa_enable_private_segment 0
		.amdhsa_system_sgpr_workgroup_id_x 1
		.amdhsa_system_sgpr_workgroup_id_y 0
		.amdhsa_system_sgpr_workgroup_id_z 0
		.amdhsa_system_sgpr_workgroup_info 0
		.amdhsa_system_vgpr_workitem_id 0
		.amdhsa_next_free_vgpr 1
		.amdhsa_next_free_sgpr 1
		.amdhsa_named_barrier_count 0
		.amdhsa_reserve_vcc 0
		.amdhsa_float_round_mode_32 0
		.amdhsa_float_round_mode_16_64 0
		.amdhsa_float_denorm_mode_32 3
		.amdhsa_float_denorm_mode_16_64 3
		.amdhsa_fp16_overflow 0
		.amdhsa_memory_ordered 1
		.amdhsa_forward_progress 1
		.amdhsa_inst_pref_size 0
		.amdhsa_round_robin_scheduling 0
		.amdhsa_exception_fp_ieee_invalid_op 0
		.amdhsa_exception_fp_denorm_src 0
		.amdhsa_exception_fp_ieee_div_zero 0
		.amdhsa_exception_fp_ieee_overflow 0
		.amdhsa_exception_fp_ieee_underflow 0
		.amdhsa_exception_fp_ieee_inexact 0
		.amdhsa_exception_int_div_zero 0
	.end_amdhsa_kernel
	.section	.text._ZN7rocprim17ROCPRIM_400000_NS6detail17trampoline_kernelINS0_14default_configENS1_25partition_config_selectorILNS1_17partition_subalgoE8ElNS0_10empty_typeEbEEZZNS1_14partition_implILS5_8ELb0ES3_jPlPS6_PKS6_NS0_5tupleIJS9_S6_EEENSD_IJSA_SA_EEENS0_18inequality_wrapperIZN2at6native12_GLOBAL__N_124unique_dim_cuda_templateIjEESt5tupleIJNSH_6TensorESM_SM_EERKSM_lbbbEUlllE0_EEPmJS6_EEE10hipError_tPvRmT3_T4_T5_T6_T7_T9_mT8_P12ihipStream_tbDpT10_ENKUlT_T0_E_clISt17integral_constantIbLb1EES1B_IbLb0EEEEDaS17_S18_EUlS17_E_NS1_11comp_targetILNS1_3genE3ELNS1_11target_archE908ELNS1_3gpuE7ELNS1_3repE0EEENS1_30default_config_static_selectorELNS0_4arch9wavefront6targetE0EEEvT1_,"axG",@progbits,_ZN7rocprim17ROCPRIM_400000_NS6detail17trampoline_kernelINS0_14default_configENS1_25partition_config_selectorILNS1_17partition_subalgoE8ElNS0_10empty_typeEbEEZZNS1_14partition_implILS5_8ELb0ES3_jPlPS6_PKS6_NS0_5tupleIJS9_S6_EEENSD_IJSA_SA_EEENS0_18inequality_wrapperIZN2at6native12_GLOBAL__N_124unique_dim_cuda_templateIjEESt5tupleIJNSH_6TensorESM_SM_EERKSM_lbbbEUlllE0_EEPmJS6_EEE10hipError_tPvRmT3_T4_T5_T6_T7_T9_mT8_P12ihipStream_tbDpT10_ENKUlT_T0_E_clISt17integral_constantIbLb1EES1B_IbLb0EEEEDaS17_S18_EUlS17_E_NS1_11comp_targetILNS1_3genE3ELNS1_11target_archE908ELNS1_3gpuE7ELNS1_3repE0EEENS1_30default_config_static_selectorELNS0_4arch9wavefront6targetE0EEEvT1_,comdat
.Lfunc_end1560:
	.size	_ZN7rocprim17ROCPRIM_400000_NS6detail17trampoline_kernelINS0_14default_configENS1_25partition_config_selectorILNS1_17partition_subalgoE8ElNS0_10empty_typeEbEEZZNS1_14partition_implILS5_8ELb0ES3_jPlPS6_PKS6_NS0_5tupleIJS9_S6_EEENSD_IJSA_SA_EEENS0_18inequality_wrapperIZN2at6native12_GLOBAL__N_124unique_dim_cuda_templateIjEESt5tupleIJNSH_6TensorESM_SM_EERKSM_lbbbEUlllE0_EEPmJS6_EEE10hipError_tPvRmT3_T4_T5_T6_T7_T9_mT8_P12ihipStream_tbDpT10_ENKUlT_T0_E_clISt17integral_constantIbLb1EES1B_IbLb0EEEEDaS17_S18_EUlS17_E_NS1_11comp_targetILNS1_3genE3ELNS1_11target_archE908ELNS1_3gpuE7ELNS1_3repE0EEENS1_30default_config_static_selectorELNS0_4arch9wavefront6targetE0EEEvT1_, .Lfunc_end1560-_ZN7rocprim17ROCPRIM_400000_NS6detail17trampoline_kernelINS0_14default_configENS1_25partition_config_selectorILNS1_17partition_subalgoE8ElNS0_10empty_typeEbEEZZNS1_14partition_implILS5_8ELb0ES3_jPlPS6_PKS6_NS0_5tupleIJS9_S6_EEENSD_IJSA_SA_EEENS0_18inequality_wrapperIZN2at6native12_GLOBAL__N_124unique_dim_cuda_templateIjEESt5tupleIJNSH_6TensorESM_SM_EERKSM_lbbbEUlllE0_EEPmJS6_EEE10hipError_tPvRmT3_T4_T5_T6_T7_T9_mT8_P12ihipStream_tbDpT10_ENKUlT_T0_E_clISt17integral_constantIbLb1EES1B_IbLb0EEEEDaS17_S18_EUlS17_E_NS1_11comp_targetILNS1_3genE3ELNS1_11target_archE908ELNS1_3gpuE7ELNS1_3repE0EEENS1_30default_config_static_selectorELNS0_4arch9wavefront6targetE0EEEvT1_
                                        ; -- End function
	.set _ZN7rocprim17ROCPRIM_400000_NS6detail17trampoline_kernelINS0_14default_configENS1_25partition_config_selectorILNS1_17partition_subalgoE8ElNS0_10empty_typeEbEEZZNS1_14partition_implILS5_8ELb0ES3_jPlPS6_PKS6_NS0_5tupleIJS9_S6_EEENSD_IJSA_SA_EEENS0_18inequality_wrapperIZN2at6native12_GLOBAL__N_124unique_dim_cuda_templateIjEESt5tupleIJNSH_6TensorESM_SM_EERKSM_lbbbEUlllE0_EEPmJS6_EEE10hipError_tPvRmT3_T4_T5_T6_T7_T9_mT8_P12ihipStream_tbDpT10_ENKUlT_T0_E_clISt17integral_constantIbLb1EES1B_IbLb0EEEEDaS17_S18_EUlS17_E_NS1_11comp_targetILNS1_3genE3ELNS1_11target_archE908ELNS1_3gpuE7ELNS1_3repE0EEENS1_30default_config_static_selectorELNS0_4arch9wavefront6targetE0EEEvT1_.num_vgpr, 0
	.set _ZN7rocprim17ROCPRIM_400000_NS6detail17trampoline_kernelINS0_14default_configENS1_25partition_config_selectorILNS1_17partition_subalgoE8ElNS0_10empty_typeEbEEZZNS1_14partition_implILS5_8ELb0ES3_jPlPS6_PKS6_NS0_5tupleIJS9_S6_EEENSD_IJSA_SA_EEENS0_18inequality_wrapperIZN2at6native12_GLOBAL__N_124unique_dim_cuda_templateIjEESt5tupleIJNSH_6TensorESM_SM_EERKSM_lbbbEUlllE0_EEPmJS6_EEE10hipError_tPvRmT3_T4_T5_T6_T7_T9_mT8_P12ihipStream_tbDpT10_ENKUlT_T0_E_clISt17integral_constantIbLb1EES1B_IbLb0EEEEDaS17_S18_EUlS17_E_NS1_11comp_targetILNS1_3genE3ELNS1_11target_archE908ELNS1_3gpuE7ELNS1_3repE0EEENS1_30default_config_static_selectorELNS0_4arch9wavefront6targetE0EEEvT1_.num_agpr, 0
	.set _ZN7rocprim17ROCPRIM_400000_NS6detail17trampoline_kernelINS0_14default_configENS1_25partition_config_selectorILNS1_17partition_subalgoE8ElNS0_10empty_typeEbEEZZNS1_14partition_implILS5_8ELb0ES3_jPlPS6_PKS6_NS0_5tupleIJS9_S6_EEENSD_IJSA_SA_EEENS0_18inequality_wrapperIZN2at6native12_GLOBAL__N_124unique_dim_cuda_templateIjEESt5tupleIJNSH_6TensorESM_SM_EERKSM_lbbbEUlllE0_EEPmJS6_EEE10hipError_tPvRmT3_T4_T5_T6_T7_T9_mT8_P12ihipStream_tbDpT10_ENKUlT_T0_E_clISt17integral_constantIbLb1EES1B_IbLb0EEEEDaS17_S18_EUlS17_E_NS1_11comp_targetILNS1_3genE3ELNS1_11target_archE908ELNS1_3gpuE7ELNS1_3repE0EEENS1_30default_config_static_selectorELNS0_4arch9wavefront6targetE0EEEvT1_.numbered_sgpr, 0
	.set _ZN7rocprim17ROCPRIM_400000_NS6detail17trampoline_kernelINS0_14default_configENS1_25partition_config_selectorILNS1_17partition_subalgoE8ElNS0_10empty_typeEbEEZZNS1_14partition_implILS5_8ELb0ES3_jPlPS6_PKS6_NS0_5tupleIJS9_S6_EEENSD_IJSA_SA_EEENS0_18inequality_wrapperIZN2at6native12_GLOBAL__N_124unique_dim_cuda_templateIjEESt5tupleIJNSH_6TensorESM_SM_EERKSM_lbbbEUlllE0_EEPmJS6_EEE10hipError_tPvRmT3_T4_T5_T6_T7_T9_mT8_P12ihipStream_tbDpT10_ENKUlT_T0_E_clISt17integral_constantIbLb1EES1B_IbLb0EEEEDaS17_S18_EUlS17_E_NS1_11comp_targetILNS1_3genE3ELNS1_11target_archE908ELNS1_3gpuE7ELNS1_3repE0EEENS1_30default_config_static_selectorELNS0_4arch9wavefront6targetE0EEEvT1_.num_named_barrier, 0
	.set _ZN7rocprim17ROCPRIM_400000_NS6detail17trampoline_kernelINS0_14default_configENS1_25partition_config_selectorILNS1_17partition_subalgoE8ElNS0_10empty_typeEbEEZZNS1_14partition_implILS5_8ELb0ES3_jPlPS6_PKS6_NS0_5tupleIJS9_S6_EEENSD_IJSA_SA_EEENS0_18inequality_wrapperIZN2at6native12_GLOBAL__N_124unique_dim_cuda_templateIjEESt5tupleIJNSH_6TensorESM_SM_EERKSM_lbbbEUlllE0_EEPmJS6_EEE10hipError_tPvRmT3_T4_T5_T6_T7_T9_mT8_P12ihipStream_tbDpT10_ENKUlT_T0_E_clISt17integral_constantIbLb1EES1B_IbLb0EEEEDaS17_S18_EUlS17_E_NS1_11comp_targetILNS1_3genE3ELNS1_11target_archE908ELNS1_3gpuE7ELNS1_3repE0EEENS1_30default_config_static_selectorELNS0_4arch9wavefront6targetE0EEEvT1_.private_seg_size, 0
	.set _ZN7rocprim17ROCPRIM_400000_NS6detail17trampoline_kernelINS0_14default_configENS1_25partition_config_selectorILNS1_17partition_subalgoE8ElNS0_10empty_typeEbEEZZNS1_14partition_implILS5_8ELb0ES3_jPlPS6_PKS6_NS0_5tupleIJS9_S6_EEENSD_IJSA_SA_EEENS0_18inequality_wrapperIZN2at6native12_GLOBAL__N_124unique_dim_cuda_templateIjEESt5tupleIJNSH_6TensorESM_SM_EERKSM_lbbbEUlllE0_EEPmJS6_EEE10hipError_tPvRmT3_T4_T5_T6_T7_T9_mT8_P12ihipStream_tbDpT10_ENKUlT_T0_E_clISt17integral_constantIbLb1EES1B_IbLb0EEEEDaS17_S18_EUlS17_E_NS1_11comp_targetILNS1_3genE3ELNS1_11target_archE908ELNS1_3gpuE7ELNS1_3repE0EEENS1_30default_config_static_selectorELNS0_4arch9wavefront6targetE0EEEvT1_.uses_vcc, 0
	.set _ZN7rocprim17ROCPRIM_400000_NS6detail17trampoline_kernelINS0_14default_configENS1_25partition_config_selectorILNS1_17partition_subalgoE8ElNS0_10empty_typeEbEEZZNS1_14partition_implILS5_8ELb0ES3_jPlPS6_PKS6_NS0_5tupleIJS9_S6_EEENSD_IJSA_SA_EEENS0_18inequality_wrapperIZN2at6native12_GLOBAL__N_124unique_dim_cuda_templateIjEESt5tupleIJNSH_6TensorESM_SM_EERKSM_lbbbEUlllE0_EEPmJS6_EEE10hipError_tPvRmT3_T4_T5_T6_T7_T9_mT8_P12ihipStream_tbDpT10_ENKUlT_T0_E_clISt17integral_constantIbLb1EES1B_IbLb0EEEEDaS17_S18_EUlS17_E_NS1_11comp_targetILNS1_3genE3ELNS1_11target_archE908ELNS1_3gpuE7ELNS1_3repE0EEENS1_30default_config_static_selectorELNS0_4arch9wavefront6targetE0EEEvT1_.uses_flat_scratch, 0
	.set _ZN7rocprim17ROCPRIM_400000_NS6detail17trampoline_kernelINS0_14default_configENS1_25partition_config_selectorILNS1_17partition_subalgoE8ElNS0_10empty_typeEbEEZZNS1_14partition_implILS5_8ELb0ES3_jPlPS6_PKS6_NS0_5tupleIJS9_S6_EEENSD_IJSA_SA_EEENS0_18inequality_wrapperIZN2at6native12_GLOBAL__N_124unique_dim_cuda_templateIjEESt5tupleIJNSH_6TensorESM_SM_EERKSM_lbbbEUlllE0_EEPmJS6_EEE10hipError_tPvRmT3_T4_T5_T6_T7_T9_mT8_P12ihipStream_tbDpT10_ENKUlT_T0_E_clISt17integral_constantIbLb1EES1B_IbLb0EEEEDaS17_S18_EUlS17_E_NS1_11comp_targetILNS1_3genE3ELNS1_11target_archE908ELNS1_3gpuE7ELNS1_3repE0EEENS1_30default_config_static_selectorELNS0_4arch9wavefront6targetE0EEEvT1_.has_dyn_sized_stack, 0
	.set _ZN7rocprim17ROCPRIM_400000_NS6detail17trampoline_kernelINS0_14default_configENS1_25partition_config_selectorILNS1_17partition_subalgoE8ElNS0_10empty_typeEbEEZZNS1_14partition_implILS5_8ELb0ES3_jPlPS6_PKS6_NS0_5tupleIJS9_S6_EEENSD_IJSA_SA_EEENS0_18inequality_wrapperIZN2at6native12_GLOBAL__N_124unique_dim_cuda_templateIjEESt5tupleIJNSH_6TensorESM_SM_EERKSM_lbbbEUlllE0_EEPmJS6_EEE10hipError_tPvRmT3_T4_T5_T6_T7_T9_mT8_P12ihipStream_tbDpT10_ENKUlT_T0_E_clISt17integral_constantIbLb1EES1B_IbLb0EEEEDaS17_S18_EUlS17_E_NS1_11comp_targetILNS1_3genE3ELNS1_11target_archE908ELNS1_3gpuE7ELNS1_3repE0EEENS1_30default_config_static_selectorELNS0_4arch9wavefront6targetE0EEEvT1_.has_recursion, 0
	.set _ZN7rocprim17ROCPRIM_400000_NS6detail17trampoline_kernelINS0_14default_configENS1_25partition_config_selectorILNS1_17partition_subalgoE8ElNS0_10empty_typeEbEEZZNS1_14partition_implILS5_8ELb0ES3_jPlPS6_PKS6_NS0_5tupleIJS9_S6_EEENSD_IJSA_SA_EEENS0_18inequality_wrapperIZN2at6native12_GLOBAL__N_124unique_dim_cuda_templateIjEESt5tupleIJNSH_6TensorESM_SM_EERKSM_lbbbEUlllE0_EEPmJS6_EEE10hipError_tPvRmT3_T4_T5_T6_T7_T9_mT8_P12ihipStream_tbDpT10_ENKUlT_T0_E_clISt17integral_constantIbLb1EES1B_IbLb0EEEEDaS17_S18_EUlS17_E_NS1_11comp_targetILNS1_3genE3ELNS1_11target_archE908ELNS1_3gpuE7ELNS1_3repE0EEENS1_30default_config_static_selectorELNS0_4arch9wavefront6targetE0EEEvT1_.has_indirect_call, 0
	.section	.AMDGPU.csdata,"",@progbits
; Kernel info:
; codeLenInByte = 0
; TotalNumSgprs: 0
; NumVgprs: 0
; ScratchSize: 0
; MemoryBound: 0
; FloatMode: 240
; IeeeMode: 1
; LDSByteSize: 0 bytes/workgroup (compile time only)
; SGPRBlocks: 0
; VGPRBlocks: 0
; NumSGPRsForWavesPerEU: 1
; NumVGPRsForWavesPerEU: 1
; NamedBarCnt: 0
; Occupancy: 16
; WaveLimiterHint : 0
; COMPUTE_PGM_RSRC2:SCRATCH_EN: 0
; COMPUTE_PGM_RSRC2:USER_SGPR: 2
; COMPUTE_PGM_RSRC2:TRAP_HANDLER: 0
; COMPUTE_PGM_RSRC2:TGID_X_EN: 1
; COMPUTE_PGM_RSRC2:TGID_Y_EN: 0
; COMPUTE_PGM_RSRC2:TGID_Z_EN: 0
; COMPUTE_PGM_RSRC2:TIDIG_COMP_CNT: 0
	.section	.text._ZN7rocprim17ROCPRIM_400000_NS6detail17trampoline_kernelINS0_14default_configENS1_25partition_config_selectorILNS1_17partition_subalgoE8ElNS0_10empty_typeEbEEZZNS1_14partition_implILS5_8ELb0ES3_jPlPS6_PKS6_NS0_5tupleIJS9_S6_EEENSD_IJSA_SA_EEENS0_18inequality_wrapperIZN2at6native12_GLOBAL__N_124unique_dim_cuda_templateIjEESt5tupleIJNSH_6TensorESM_SM_EERKSM_lbbbEUlllE0_EEPmJS6_EEE10hipError_tPvRmT3_T4_T5_T6_T7_T9_mT8_P12ihipStream_tbDpT10_ENKUlT_T0_E_clISt17integral_constantIbLb1EES1B_IbLb0EEEEDaS17_S18_EUlS17_E_NS1_11comp_targetILNS1_3genE2ELNS1_11target_archE906ELNS1_3gpuE6ELNS1_3repE0EEENS1_30default_config_static_selectorELNS0_4arch9wavefront6targetE0EEEvT1_,"axG",@progbits,_ZN7rocprim17ROCPRIM_400000_NS6detail17trampoline_kernelINS0_14default_configENS1_25partition_config_selectorILNS1_17partition_subalgoE8ElNS0_10empty_typeEbEEZZNS1_14partition_implILS5_8ELb0ES3_jPlPS6_PKS6_NS0_5tupleIJS9_S6_EEENSD_IJSA_SA_EEENS0_18inequality_wrapperIZN2at6native12_GLOBAL__N_124unique_dim_cuda_templateIjEESt5tupleIJNSH_6TensorESM_SM_EERKSM_lbbbEUlllE0_EEPmJS6_EEE10hipError_tPvRmT3_T4_T5_T6_T7_T9_mT8_P12ihipStream_tbDpT10_ENKUlT_T0_E_clISt17integral_constantIbLb1EES1B_IbLb0EEEEDaS17_S18_EUlS17_E_NS1_11comp_targetILNS1_3genE2ELNS1_11target_archE906ELNS1_3gpuE6ELNS1_3repE0EEENS1_30default_config_static_selectorELNS0_4arch9wavefront6targetE0EEEvT1_,comdat
	.globl	_ZN7rocprim17ROCPRIM_400000_NS6detail17trampoline_kernelINS0_14default_configENS1_25partition_config_selectorILNS1_17partition_subalgoE8ElNS0_10empty_typeEbEEZZNS1_14partition_implILS5_8ELb0ES3_jPlPS6_PKS6_NS0_5tupleIJS9_S6_EEENSD_IJSA_SA_EEENS0_18inequality_wrapperIZN2at6native12_GLOBAL__N_124unique_dim_cuda_templateIjEESt5tupleIJNSH_6TensorESM_SM_EERKSM_lbbbEUlllE0_EEPmJS6_EEE10hipError_tPvRmT3_T4_T5_T6_T7_T9_mT8_P12ihipStream_tbDpT10_ENKUlT_T0_E_clISt17integral_constantIbLb1EES1B_IbLb0EEEEDaS17_S18_EUlS17_E_NS1_11comp_targetILNS1_3genE2ELNS1_11target_archE906ELNS1_3gpuE6ELNS1_3repE0EEENS1_30default_config_static_selectorELNS0_4arch9wavefront6targetE0EEEvT1_ ; -- Begin function _ZN7rocprim17ROCPRIM_400000_NS6detail17trampoline_kernelINS0_14default_configENS1_25partition_config_selectorILNS1_17partition_subalgoE8ElNS0_10empty_typeEbEEZZNS1_14partition_implILS5_8ELb0ES3_jPlPS6_PKS6_NS0_5tupleIJS9_S6_EEENSD_IJSA_SA_EEENS0_18inequality_wrapperIZN2at6native12_GLOBAL__N_124unique_dim_cuda_templateIjEESt5tupleIJNSH_6TensorESM_SM_EERKSM_lbbbEUlllE0_EEPmJS6_EEE10hipError_tPvRmT3_T4_T5_T6_T7_T9_mT8_P12ihipStream_tbDpT10_ENKUlT_T0_E_clISt17integral_constantIbLb1EES1B_IbLb0EEEEDaS17_S18_EUlS17_E_NS1_11comp_targetILNS1_3genE2ELNS1_11target_archE906ELNS1_3gpuE6ELNS1_3repE0EEENS1_30default_config_static_selectorELNS0_4arch9wavefront6targetE0EEEvT1_
	.p2align	8
	.type	_ZN7rocprim17ROCPRIM_400000_NS6detail17trampoline_kernelINS0_14default_configENS1_25partition_config_selectorILNS1_17partition_subalgoE8ElNS0_10empty_typeEbEEZZNS1_14partition_implILS5_8ELb0ES3_jPlPS6_PKS6_NS0_5tupleIJS9_S6_EEENSD_IJSA_SA_EEENS0_18inequality_wrapperIZN2at6native12_GLOBAL__N_124unique_dim_cuda_templateIjEESt5tupleIJNSH_6TensorESM_SM_EERKSM_lbbbEUlllE0_EEPmJS6_EEE10hipError_tPvRmT3_T4_T5_T6_T7_T9_mT8_P12ihipStream_tbDpT10_ENKUlT_T0_E_clISt17integral_constantIbLb1EES1B_IbLb0EEEEDaS17_S18_EUlS17_E_NS1_11comp_targetILNS1_3genE2ELNS1_11target_archE906ELNS1_3gpuE6ELNS1_3repE0EEENS1_30default_config_static_selectorELNS0_4arch9wavefront6targetE0EEEvT1_,@function
_ZN7rocprim17ROCPRIM_400000_NS6detail17trampoline_kernelINS0_14default_configENS1_25partition_config_selectorILNS1_17partition_subalgoE8ElNS0_10empty_typeEbEEZZNS1_14partition_implILS5_8ELb0ES3_jPlPS6_PKS6_NS0_5tupleIJS9_S6_EEENSD_IJSA_SA_EEENS0_18inequality_wrapperIZN2at6native12_GLOBAL__N_124unique_dim_cuda_templateIjEESt5tupleIJNSH_6TensorESM_SM_EERKSM_lbbbEUlllE0_EEPmJS6_EEE10hipError_tPvRmT3_T4_T5_T6_T7_T9_mT8_P12ihipStream_tbDpT10_ENKUlT_T0_E_clISt17integral_constantIbLb1EES1B_IbLb0EEEEDaS17_S18_EUlS17_E_NS1_11comp_targetILNS1_3genE2ELNS1_11target_archE906ELNS1_3gpuE6ELNS1_3repE0EEENS1_30default_config_static_selectorELNS0_4arch9wavefront6targetE0EEEvT1_: ; @_ZN7rocprim17ROCPRIM_400000_NS6detail17trampoline_kernelINS0_14default_configENS1_25partition_config_selectorILNS1_17partition_subalgoE8ElNS0_10empty_typeEbEEZZNS1_14partition_implILS5_8ELb0ES3_jPlPS6_PKS6_NS0_5tupleIJS9_S6_EEENSD_IJSA_SA_EEENS0_18inequality_wrapperIZN2at6native12_GLOBAL__N_124unique_dim_cuda_templateIjEESt5tupleIJNSH_6TensorESM_SM_EERKSM_lbbbEUlllE0_EEPmJS6_EEE10hipError_tPvRmT3_T4_T5_T6_T7_T9_mT8_P12ihipStream_tbDpT10_ENKUlT_T0_E_clISt17integral_constantIbLb1EES1B_IbLb0EEEEDaS17_S18_EUlS17_E_NS1_11comp_targetILNS1_3genE2ELNS1_11target_archE906ELNS1_3gpuE6ELNS1_3repE0EEENS1_30default_config_static_selectorELNS0_4arch9wavefront6targetE0EEEvT1_
; %bb.0:
	.section	.rodata,"a",@progbits
	.p2align	6, 0x0
	.amdhsa_kernel _ZN7rocprim17ROCPRIM_400000_NS6detail17trampoline_kernelINS0_14default_configENS1_25partition_config_selectorILNS1_17partition_subalgoE8ElNS0_10empty_typeEbEEZZNS1_14partition_implILS5_8ELb0ES3_jPlPS6_PKS6_NS0_5tupleIJS9_S6_EEENSD_IJSA_SA_EEENS0_18inequality_wrapperIZN2at6native12_GLOBAL__N_124unique_dim_cuda_templateIjEESt5tupleIJNSH_6TensorESM_SM_EERKSM_lbbbEUlllE0_EEPmJS6_EEE10hipError_tPvRmT3_T4_T5_T6_T7_T9_mT8_P12ihipStream_tbDpT10_ENKUlT_T0_E_clISt17integral_constantIbLb1EES1B_IbLb0EEEEDaS17_S18_EUlS17_E_NS1_11comp_targetILNS1_3genE2ELNS1_11target_archE906ELNS1_3gpuE6ELNS1_3repE0EEENS1_30default_config_static_selectorELNS0_4arch9wavefront6targetE0EEEvT1_
		.amdhsa_group_segment_fixed_size 0
		.amdhsa_private_segment_fixed_size 0
		.amdhsa_kernarg_size 120
		.amdhsa_user_sgpr_count 2
		.amdhsa_user_sgpr_dispatch_ptr 0
		.amdhsa_user_sgpr_queue_ptr 0
		.amdhsa_user_sgpr_kernarg_segment_ptr 1
		.amdhsa_user_sgpr_dispatch_id 0
		.amdhsa_user_sgpr_kernarg_preload_length 0
		.amdhsa_user_sgpr_kernarg_preload_offset 0
		.amdhsa_user_sgpr_private_segment_size 0
		.amdhsa_wavefront_size32 1
		.amdhsa_uses_dynamic_stack 0
		.amdhsa_enable_private_segment 0
		.amdhsa_system_sgpr_workgroup_id_x 1
		.amdhsa_system_sgpr_workgroup_id_y 0
		.amdhsa_system_sgpr_workgroup_id_z 0
		.amdhsa_system_sgpr_workgroup_info 0
		.amdhsa_system_vgpr_workitem_id 0
		.amdhsa_next_free_vgpr 1
		.amdhsa_next_free_sgpr 1
		.amdhsa_named_barrier_count 0
		.amdhsa_reserve_vcc 0
		.amdhsa_float_round_mode_32 0
		.amdhsa_float_round_mode_16_64 0
		.amdhsa_float_denorm_mode_32 3
		.amdhsa_float_denorm_mode_16_64 3
		.amdhsa_fp16_overflow 0
		.amdhsa_memory_ordered 1
		.amdhsa_forward_progress 1
		.amdhsa_inst_pref_size 0
		.amdhsa_round_robin_scheduling 0
		.amdhsa_exception_fp_ieee_invalid_op 0
		.amdhsa_exception_fp_denorm_src 0
		.amdhsa_exception_fp_ieee_div_zero 0
		.amdhsa_exception_fp_ieee_overflow 0
		.amdhsa_exception_fp_ieee_underflow 0
		.amdhsa_exception_fp_ieee_inexact 0
		.amdhsa_exception_int_div_zero 0
	.end_amdhsa_kernel
	.section	.text._ZN7rocprim17ROCPRIM_400000_NS6detail17trampoline_kernelINS0_14default_configENS1_25partition_config_selectorILNS1_17partition_subalgoE8ElNS0_10empty_typeEbEEZZNS1_14partition_implILS5_8ELb0ES3_jPlPS6_PKS6_NS0_5tupleIJS9_S6_EEENSD_IJSA_SA_EEENS0_18inequality_wrapperIZN2at6native12_GLOBAL__N_124unique_dim_cuda_templateIjEESt5tupleIJNSH_6TensorESM_SM_EERKSM_lbbbEUlllE0_EEPmJS6_EEE10hipError_tPvRmT3_T4_T5_T6_T7_T9_mT8_P12ihipStream_tbDpT10_ENKUlT_T0_E_clISt17integral_constantIbLb1EES1B_IbLb0EEEEDaS17_S18_EUlS17_E_NS1_11comp_targetILNS1_3genE2ELNS1_11target_archE906ELNS1_3gpuE6ELNS1_3repE0EEENS1_30default_config_static_selectorELNS0_4arch9wavefront6targetE0EEEvT1_,"axG",@progbits,_ZN7rocprim17ROCPRIM_400000_NS6detail17trampoline_kernelINS0_14default_configENS1_25partition_config_selectorILNS1_17partition_subalgoE8ElNS0_10empty_typeEbEEZZNS1_14partition_implILS5_8ELb0ES3_jPlPS6_PKS6_NS0_5tupleIJS9_S6_EEENSD_IJSA_SA_EEENS0_18inequality_wrapperIZN2at6native12_GLOBAL__N_124unique_dim_cuda_templateIjEESt5tupleIJNSH_6TensorESM_SM_EERKSM_lbbbEUlllE0_EEPmJS6_EEE10hipError_tPvRmT3_T4_T5_T6_T7_T9_mT8_P12ihipStream_tbDpT10_ENKUlT_T0_E_clISt17integral_constantIbLb1EES1B_IbLb0EEEEDaS17_S18_EUlS17_E_NS1_11comp_targetILNS1_3genE2ELNS1_11target_archE906ELNS1_3gpuE6ELNS1_3repE0EEENS1_30default_config_static_selectorELNS0_4arch9wavefront6targetE0EEEvT1_,comdat
.Lfunc_end1561:
	.size	_ZN7rocprim17ROCPRIM_400000_NS6detail17trampoline_kernelINS0_14default_configENS1_25partition_config_selectorILNS1_17partition_subalgoE8ElNS0_10empty_typeEbEEZZNS1_14partition_implILS5_8ELb0ES3_jPlPS6_PKS6_NS0_5tupleIJS9_S6_EEENSD_IJSA_SA_EEENS0_18inequality_wrapperIZN2at6native12_GLOBAL__N_124unique_dim_cuda_templateIjEESt5tupleIJNSH_6TensorESM_SM_EERKSM_lbbbEUlllE0_EEPmJS6_EEE10hipError_tPvRmT3_T4_T5_T6_T7_T9_mT8_P12ihipStream_tbDpT10_ENKUlT_T0_E_clISt17integral_constantIbLb1EES1B_IbLb0EEEEDaS17_S18_EUlS17_E_NS1_11comp_targetILNS1_3genE2ELNS1_11target_archE906ELNS1_3gpuE6ELNS1_3repE0EEENS1_30default_config_static_selectorELNS0_4arch9wavefront6targetE0EEEvT1_, .Lfunc_end1561-_ZN7rocprim17ROCPRIM_400000_NS6detail17trampoline_kernelINS0_14default_configENS1_25partition_config_selectorILNS1_17partition_subalgoE8ElNS0_10empty_typeEbEEZZNS1_14partition_implILS5_8ELb0ES3_jPlPS6_PKS6_NS0_5tupleIJS9_S6_EEENSD_IJSA_SA_EEENS0_18inequality_wrapperIZN2at6native12_GLOBAL__N_124unique_dim_cuda_templateIjEESt5tupleIJNSH_6TensorESM_SM_EERKSM_lbbbEUlllE0_EEPmJS6_EEE10hipError_tPvRmT3_T4_T5_T6_T7_T9_mT8_P12ihipStream_tbDpT10_ENKUlT_T0_E_clISt17integral_constantIbLb1EES1B_IbLb0EEEEDaS17_S18_EUlS17_E_NS1_11comp_targetILNS1_3genE2ELNS1_11target_archE906ELNS1_3gpuE6ELNS1_3repE0EEENS1_30default_config_static_selectorELNS0_4arch9wavefront6targetE0EEEvT1_
                                        ; -- End function
	.set _ZN7rocprim17ROCPRIM_400000_NS6detail17trampoline_kernelINS0_14default_configENS1_25partition_config_selectorILNS1_17partition_subalgoE8ElNS0_10empty_typeEbEEZZNS1_14partition_implILS5_8ELb0ES3_jPlPS6_PKS6_NS0_5tupleIJS9_S6_EEENSD_IJSA_SA_EEENS0_18inequality_wrapperIZN2at6native12_GLOBAL__N_124unique_dim_cuda_templateIjEESt5tupleIJNSH_6TensorESM_SM_EERKSM_lbbbEUlllE0_EEPmJS6_EEE10hipError_tPvRmT3_T4_T5_T6_T7_T9_mT8_P12ihipStream_tbDpT10_ENKUlT_T0_E_clISt17integral_constantIbLb1EES1B_IbLb0EEEEDaS17_S18_EUlS17_E_NS1_11comp_targetILNS1_3genE2ELNS1_11target_archE906ELNS1_3gpuE6ELNS1_3repE0EEENS1_30default_config_static_selectorELNS0_4arch9wavefront6targetE0EEEvT1_.num_vgpr, 0
	.set _ZN7rocprim17ROCPRIM_400000_NS6detail17trampoline_kernelINS0_14default_configENS1_25partition_config_selectorILNS1_17partition_subalgoE8ElNS0_10empty_typeEbEEZZNS1_14partition_implILS5_8ELb0ES3_jPlPS6_PKS6_NS0_5tupleIJS9_S6_EEENSD_IJSA_SA_EEENS0_18inequality_wrapperIZN2at6native12_GLOBAL__N_124unique_dim_cuda_templateIjEESt5tupleIJNSH_6TensorESM_SM_EERKSM_lbbbEUlllE0_EEPmJS6_EEE10hipError_tPvRmT3_T4_T5_T6_T7_T9_mT8_P12ihipStream_tbDpT10_ENKUlT_T0_E_clISt17integral_constantIbLb1EES1B_IbLb0EEEEDaS17_S18_EUlS17_E_NS1_11comp_targetILNS1_3genE2ELNS1_11target_archE906ELNS1_3gpuE6ELNS1_3repE0EEENS1_30default_config_static_selectorELNS0_4arch9wavefront6targetE0EEEvT1_.num_agpr, 0
	.set _ZN7rocprim17ROCPRIM_400000_NS6detail17trampoline_kernelINS0_14default_configENS1_25partition_config_selectorILNS1_17partition_subalgoE8ElNS0_10empty_typeEbEEZZNS1_14partition_implILS5_8ELb0ES3_jPlPS6_PKS6_NS0_5tupleIJS9_S6_EEENSD_IJSA_SA_EEENS0_18inequality_wrapperIZN2at6native12_GLOBAL__N_124unique_dim_cuda_templateIjEESt5tupleIJNSH_6TensorESM_SM_EERKSM_lbbbEUlllE0_EEPmJS6_EEE10hipError_tPvRmT3_T4_T5_T6_T7_T9_mT8_P12ihipStream_tbDpT10_ENKUlT_T0_E_clISt17integral_constantIbLb1EES1B_IbLb0EEEEDaS17_S18_EUlS17_E_NS1_11comp_targetILNS1_3genE2ELNS1_11target_archE906ELNS1_3gpuE6ELNS1_3repE0EEENS1_30default_config_static_selectorELNS0_4arch9wavefront6targetE0EEEvT1_.numbered_sgpr, 0
	.set _ZN7rocprim17ROCPRIM_400000_NS6detail17trampoline_kernelINS0_14default_configENS1_25partition_config_selectorILNS1_17partition_subalgoE8ElNS0_10empty_typeEbEEZZNS1_14partition_implILS5_8ELb0ES3_jPlPS6_PKS6_NS0_5tupleIJS9_S6_EEENSD_IJSA_SA_EEENS0_18inequality_wrapperIZN2at6native12_GLOBAL__N_124unique_dim_cuda_templateIjEESt5tupleIJNSH_6TensorESM_SM_EERKSM_lbbbEUlllE0_EEPmJS6_EEE10hipError_tPvRmT3_T4_T5_T6_T7_T9_mT8_P12ihipStream_tbDpT10_ENKUlT_T0_E_clISt17integral_constantIbLb1EES1B_IbLb0EEEEDaS17_S18_EUlS17_E_NS1_11comp_targetILNS1_3genE2ELNS1_11target_archE906ELNS1_3gpuE6ELNS1_3repE0EEENS1_30default_config_static_selectorELNS0_4arch9wavefront6targetE0EEEvT1_.num_named_barrier, 0
	.set _ZN7rocprim17ROCPRIM_400000_NS6detail17trampoline_kernelINS0_14default_configENS1_25partition_config_selectorILNS1_17partition_subalgoE8ElNS0_10empty_typeEbEEZZNS1_14partition_implILS5_8ELb0ES3_jPlPS6_PKS6_NS0_5tupleIJS9_S6_EEENSD_IJSA_SA_EEENS0_18inequality_wrapperIZN2at6native12_GLOBAL__N_124unique_dim_cuda_templateIjEESt5tupleIJNSH_6TensorESM_SM_EERKSM_lbbbEUlllE0_EEPmJS6_EEE10hipError_tPvRmT3_T4_T5_T6_T7_T9_mT8_P12ihipStream_tbDpT10_ENKUlT_T0_E_clISt17integral_constantIbLb1EES1B_IbLb0EEEEDaS17_S18_EUlS17_E_NS1_11comp_targetILNS1_3genE2ELNS1_11target_archE906ELNS1_3gpuE6ELNS1_3repE0EEENS1_30default_config_static_selectorELNS0_4arch9wavefront6targetE0EEEvT1_.private_seg_size, 0
	.set _ZN7rocprim17ROCPRIM_400000_NS6detail17trampoline_kernelINS0_14default_configENS1_25partition_config_selectorILNS1_17partition_subalgoE8ElNS0_10empty_typeEbEEZZNS1_14partition_implILS5_8ELb0ES3_jPlPS6_PKS6_NS0_5tupleIJS9_S6_EEENSD_IJSA_SA_EEENS0_18inequality_wrapperIZN2at6native12_GLOBAL__N_124unique_dim_cuda_templateIjEESt5tupleIJNSH_6TensorESM_SM_EERKSM_lbbbEUlllE0_EEPmJS6_EEE10hipError_tPvRmT3_T4_T5_T6_T7_T9_mT8_P12ihipStream_tbDpT10_ENKUlT_T0_E_clISt17integral_constantIbLb1EES1B_IbLb0EEEEDaS17_S18_EUlS17_E_NS1_11comp_targetILNS1_3genE2ELNS1_11target_archE906ELNS1_3gpuE6ELNS1_3repE0EEENS1_30default_config_static_selectorELNS0_4arch9wavefront6targetE0EEEvT1_.uses_vcc, 0
	.set _ZN7rocprim17ROCPRIM_400000_NS6detail17trampoline_kernelINS0_14default_configENS1_25partition_config_selectorILNS1_17partition_subalgoE8ElNS0_10empty_typeEbEEZZNS1_14partition_implILS5_8ELb0ES3_jPlPS6_PKS6_NS0_5tupleIJS9_S6_EEENSD_IJSA_SA_EEENS0_18inequality_wrapperIZN2at6native12_GLOBAL__N_124unique_dim_cuda_templateIjEESt5tupleIJNSH_6TensorESM_SM_EERKSM_lbbbEUlllE0_EEPmJS6_EEE10hipError_tPvRmT3_T4_T5_T6_T7_T9_mT8_P12ihipStream_tbDpT10_ENKUlT_T0_E_clISt17integral_constantIbLb1EES1B_IbLb0EEEEDaS17_S18_EUlS17_E_NS1_11comp_targetILNS1_3genE2ELNS1_11target_archE906ELNS1_3gpuE6ELNS1_3repE0EEENS1_30default_config_static_selectorELNS0_4arch9wavefront6targetE0EEEvT1_.uses_flat_scratch, 0
	.set _ZN7rocprim17ROCPRIM_400000_NS6detail17trampoline_kernelINS0_14default_configENS1_25partition_config_selectorILNS1_17partition_subalgoE8ElNS0_10empty_typeEbEEZZNS1_14partition_implILS5_8ELb0ES3_jPlPS6_PKS6_NS0_5tupleIJS9_S6_EEENSD_IJSA_SA_EEENS0_18inequality_wrapperIZN2at6native12_GLOBAL__N_124unique_dim_cuda_templateIjEESt5tupleIJNSH_6TensorESM_SM_EERKSM_lbbbEUlllE0_EEPmJS6_EEE10hipError_tPvRmT3_T4_T5_T6_T7_T9_mT8_P12ihipStream_tbDpT10_ENKUlT_T0_E_clISt17integral_constantIbLb1EES1B_IbLb0EEEEDaS17_S18_EUlS17_E_NS1_11comp_targetILNS1_3genE2ELNS1_11target_archE906ELNS1_3gpuE6ELNS1_3repE0EEENS1_30default_config_static_selectorELNS0_4arch9wavefront6targetE0EEEvT1_.has_dyn_sized_stack, 0
	.set _ZN7rocprim17ROCPRIM_400000_NS6detail17trampoline_kernelINS0_14default_configENS1_25partition_config_selectorILNS1_17partition_subalgoE8ElNS0_10empty_typeEbEEZZNS1_14partition_implILS5_8ELb0ES3_jPlPS6_PKS6_NS0_5tupleIJS9_S6_EEENSD_IJSA_SA_EEENS0_18inequality_wrapperIZN2at6native12_GLOBAL__N_124unique_dim_cuda_templateIjEESt5tupleIJNSH_6TensorESM_SM_EERKSM_lbbbEUlllE0_EEPmJS6_EEE10hipError_tPvRmT3_T4_T5_T6_T7_T9_mT8_P12ihipStream_tbDpT10_ENKUlT_T0_E_clISt17integral_constantIbLb1EES1B_IbLb0EEEEDaS17_S18_EUlS17_E_NS1_11comp_targetILNS1_3genE2ELNS1_11target_archE906ELNS1_3gpuE6ELNS1_3repE0EEENS1_30default_config_static_selectorELNS0_4arch9wavefront6targetE0EEEvT1_.has_recursion, 0
	.set _ZN7rocprim17ROCPRIM_400000_NS6detail17trampoline_kernelINS0_14default_configENS1_25partition_config_selectorILNS1_17partition_subalgoE8ElNS0_10empty_typeEbEEZZNS1_14partition_implILS5_8ELb0ES3_jPlPS6_PKS6_NS0_5tupleIJS9_S6_EEENSD_IJSA_SA_EEENS0_18inequality_wrapperIZN2at6native12_GLOBAL__N_124unique_dim_cuda_templateIjEESt5tupleIJNSH_6TensorESM_SM_EERKSM_lbbbEUlllE0_EEPmJS6_EEE10hipError_tPvRmT3_T4_T5_T6_T7_T9_mT8_P12ihipStream_tbDpT10_ENKUlT_T0_E_clISt17integral_constantIbLb1EES1B_IbLb0EEEEDaS17_S18_EUlS17_E_NS1_11comp_targetILNS1_3genE2ELNS1_11target_archE906ELNS1_3gpuE6ELNS1_3repE0EEENS1_30default_config_static_selectorELNS0_4arch9wavefront6targetE0EEEvT1_.has_indirect_call, 0
	.section	.AMDGPU.csdata,"",@progbits
; Kernel info:
; codeLenInByte = 0
; TotalNumSgprs: 0
; NumVgprs: 0
; ScratchSize: 0
; MemoryBound: 0
; FloatMode: 240
; IeeeMode: 1
; LDSByteSize: 0 bytes/workgroup (compile time only)
; SGPRBlocks: 0
; VGPRBlocks: 0
; NumSGPRsForWavesPerEU: 1
; NumVGPRsForWavesPerEU: 1
; NamedBarCnt: 0
; Occupancy: 16
; WaveLimiterHint : 0
; COMPUTE_PGM_RSRC2:SCRATCH_EN: 0
; COMPUTE_PGM_RSRC2:USER_SGPR: 2
; COMPUTE_PGM_RSRC2:TRAP_HANDLER: 0
; COMPUTE_PGM_RSRC2:TGID_X_EN: 1
; COMPUTE_PGM_RSRC2:TGID_Y_EN: 0
; COMPUTE_PGM_RSRC2:TGID_Z_EN: 0
; COMPUTE_PGM_RSRC2:TIDIG_COMP_CNT: 0
	.section	.text._ZN7rocprim17ROCPRIM_400000_NS6detail17trampoline_kernelINS0_14default_configENS1_25partition_config_selectorILNS1_17partition_subalgoE8ElNS0_10empty_typeEbEEZZNS1_14partition_implILS5_8ELb0ES3_jPlPS6_PKS6_NS0_5tupleIJS9_S6_EEENSD_IJSA_SA_EEENS0_18inequality_wrapperIZN2at6native12_GLOBAL__N_124unique_dim_cuda_templateIjEESt5tupleIJNSH_6TensorESM_SM_EERKSM_lbbbEUlllE0_EEPmJS6_EEE10hipError_tPvRmT3_T4_T5_T6_T7_T9_mT8_P12ihipStream_tbDpT10_ENKUlT_T0_E_clISt17integral_constantIbLb1EES1B_IbLb0EEEEDaS17_S18_EUlS17_E_NS1_11comp_targetILNS1_3genE10ELNS1_11target_archE1200ELNS1_3gpuE4ELNS1_3repE0EEENS1_30default_config_static_selectorELNS0_4arch9wavefront6targetE0EEEvT1_,"axG",@progbits,_ZN7rocprim17ROCPRIM_400000_NS6detail17trampoline_kernelINS0_14default_configENS1_25partition_config_selectorILNS1_17partition_subalgoE8ElNS0_10empty_typeEbEEZZNS1_14partition_implILS5_8ELb0ES3_jPlPS6_PKS6_NS0_5tupleIJS9_S6_EEENSD_IJSA_SA_EEENS0_18inequality_wrapperIZN2at6native12_GLOBAL__N_124unique_dim_cuda_templateIjEESt5tupleIJNSH_6TensorESM_SM_EERKSM_lbbbEUlllE0_EEPmJS6_EEE10hipError_tPvRmT3_T4_T5_T6_T7_T9_mT8_P12ihipStream_tbDpT10_ENKUlT_T0_E_clISt17integral_constantIbLb1EES1B_IbLb0EEEEDaS17_S18_EUlS17_E_NS1_11comp_targetILNS1_3genE10ELNS1_11target_archE1200ELNS1_3gpuE4ELNS1_3repE0EEENS1_30default_config_static_selectorELNS0_4arch9wavefront6targetE0EEEvT1_,comdat
	.globl	_ZN7rocprim17ROCPRIM_400000_NS6detail17trampoline_kernelINS0_14default_configENS1_25partition_config_selectorILNS1_17partition_subalgoE8ElNS0_10empty_typeEbEEZZNS1_14partition_implILS5_8ELb0ES3_jPlPS6_PKS6_NS0_5tupleIJS9_S6_EEENSD_IJSA_SA_EEENS0_18inequality_wrapperIZN2at6native12_GLOBAL__N_124unique_dim_cuda_templateIjEESt5tupleIJNSH_6TensorESM_SM_EERKSM_lbbbEUlllE0_EEPmJS6_EEE10hipError_tPvRmT3_T4_T5_T6_T7_T9_mT8_P12ihipStream_tbDpT10_ENKUlT_T0_E_clISt17integral_constantIbLb1EES1B_IbLb0EEEEDaS17_S18_EUlS17_E_NS1_11comp_targetILNS1_3genE10ELNS1_11target_archE1200ELNS1_3gpuE4ELNS1_3repE0EEENS1_30default_config_static_selectorELNS0_4arch9wavefront6targetE0EEEvT1_ ; -- Begin function _ZN7rocprim17ROCPRIM_400000_NS6detail17trampoline_kernelINS0_14default_configENS1_25partition_config_selectorILNS1_17partition_subalgoE8ElNS0_10empty_typeEbEEZZNS1_14partition_implILS5_8ELb0ES3_jPlPS6_PKS6_NS0_5tupleIJS9_S6_EEENSD_IJSA_SA_EEENS0_18inequality_wrapperIZN2at6native12_GLOBAL__N_124unique_dim_cuda_templateIjEESt5tupleIJNSH_6TensorESM_SM_EERKSM_lbbbEUlllE0_EEPmJS6_EEE10hipError_tPvRmT3_T4_T5_T6_T7_T9_mT8_P12ihipStream_tbDpT10_ENKUlT_T0_E_clISt17integral_constantIbLb1EES1B_IbLb0EEEEDaS17_S18_EUlS17_E_NS1_11comp_targetILNS1_3genE10ELNS1_11target_archE1200ELNS1_3gpuE4ELNS1_3repE0EEENS1_30default_config_static_selectorELNS0_4arch9wavefront6targetE0EEEvT1_
	.p2align	8
	.type	_ZN7rocprim17ROCPRIM_400000_NS6detail17trampoline_kernelINS0_14default_configENS1_25partition_config_selectorILNS1_17partition_subalgoE8ElNS0_10empty_typeEbEEZZNS1_14partition_implILS5_8ELb0ES3_jPlPS6_PKS6_NS0_5tupleIJS9_S6_EEENSD_IJSA_SA_EEENS0_18inequality_wrapperIZN2at6native12_GLOBAL__N_124unique_dim_cuda_templateIjEESt5tupleIJNSH_6TensorESM_SM_EERKSM_lbbbEUlllE0_EEPmJS6_EEE10hipError_tPvRmT3_T4_T5_T6_T7_T9_mT8_P12ihipStream_tbDpT10_ENKUlT_T0_E_clISt17integral_constantIbLb1EES1B_IbLb0EEEEDaS17_S18_EUlS17_E_NS1_11comp_targetILNS1_3genE10ELNS1_11target_archE1200ELNS1_3gpuE4ELNS1_3repE0EEENS1_30default_config_static_selectorELNS0_4arch9wavefront6targetE0EEEvT1_,@function
_ZN7rocprim17ROCPRIM_400000_NS6detail17trampoline_kernelINS0_14default_configENS1_25partition_config_selectorILNS1_17partition_subalgoE8ElNS0_10empty_typeEbEEZZNS1_14partition_implILS5_8ELb0ES3_jPlPS6_PKS6_NS0_5tupleIJS9_S6_EEENSD_IJSA_SA_EEENS0_18inequality_wrapperIZN2at6native12_GLOBAL__N_124unique_dim_cuda_templateIjEESt5tupleIJNSH_6TensorESM_SM_EERKSM_lbbbEUlllE0_EEPmJS6_EEE10hipError_tPvRmT3_T4_T5_T6_T7_T9_mT8_P12ihipStream_tbDpT10_ENKUlT_T0_E_clISt17integral_constantIbLb1EES1B_IbLb0EEEEDaS17_S18_EUlS17_E_NS1_11comp_targetILNS1_3genE10ELNS1_11target_archE1200ELNS1_3gpuE4ELNS1_3repE0EEENS1_30default_config_static_selectorELNS0_4arch9wavefront6targetE0EEEvT1_: ; @_ZN7rocprim17ROCPRIM_400000_NS6detail17trampoline_kernelINS0_14default_configENS1_25partition_config_selectorILNS1_17partition_subalgoE8ElNS0_10empty_typeEbEEZZNS1_14partition_implILS5_8ELb0ES3_jPlPS6_PKS6_NS0_5tupleIJS9_S6_EEENSD_IJSA_SA_EEENS0_18inequality_wrapperIZN2at6native12_GLOBAL__N_124unique_dim_cuda_templateIjEESt5tupleIJNSH_6TensorESM_SM_EERKSM_lbbbEUlllE0_EEPmJS6_EEE10hipError_tPvRmT3_T4_T5_T6_T7_T9_mT8_P12ihipStream_tbDpT10_ENKUlT_T0_E_clISt17integral_constantIbLb1EES1B_IbLb0EEEEDaS17_S18_EUlS17_E_NS1_11comp_targetILNS1_3genE10ELNS1_11target_archE1200ELNS1_3gpuE4ELNS1_3repE0EEENS1_30default_config_static_selectorELNS0_4arch9wavefront6targetE0EEEvT1_
; %bb.0:
	.section	.rodata,"a",@progbits
	.p2align	6, 0x0
	.amdhsa_kernel _ZN7rocprim17ROCPRIM_400000_NS6detail17trampoline_kernelINS0_14default_configENS1_25partition_config_selectorILNS1_17partition_subalgoE8ElNS0_10empty_typeEbEEZZNS1_14partition_implILS5_8ELb0ES3_jPlPS6_PKS6_NS0_5tupleIJS9_S6_EEENSD_IJSA_SA_EEENS0_18inequality_wrapperIZN2at6native12_GLOBAL__N_124unique_dim_cuda_templateIjEESt5tupleIJNSH_6TensorESM_SM_EERKSM_lbbbEUlllE0_EEPmJS6_EEE10hipError_tPvRmT3_T4_T5_T6_T7_T9_mT8_P12ihipStream_tbDpT10_ENKUlT_T0_E_clISt17integral_constantIbLb1EES1B_IbLb0EEEEDaS17_S18_EUlS17_E_NS1_11comp_targetILNS1_3genE10ELNS1_11target_archE1200ELNS1_3gpuE4ELNS1_3repE0EEENS1_30default_config_static_selectorELNS0_4arch9wavefront6targetE0EEEvT1_
		.amdhsa_group_segment_fixed_size 0
		.amdhsa_private_segment_fixed_size 0
		.amdhsa_kernarg_size 120
		.amdhsa_user_sgpr_count 2
		.amdhsa_user_sgpr_dispatch_ptr 0
		.amdhsa_user_sgpr_queue_ptr 0
		.amdhsa_user_sgpr_kernarg_segment_ptr 1
		.amdhsa_user_sgpr_dispatch_id 0
		.amdhsa_user_sgpr_kernarg_preload_length 0
		.amdhsa_user_sgpr_kernarg_preload_offset 0
		.amdhsa_user_sgpr_private_segment_size 0
		.amdhsa_wavefront_size32 1
		.amdhsa_uses_dynamic_stack 0
		.amdhsa_enable_private_segment 0
		.amdhsa_system_sgpr_workgroup_id_x 1
		.amdhsa_system_sgpr_workgroup_id_y 0
		.amdhsa_system_sgpr_workgroup_id_z 0
		.amdhsa_system_sgpr_workgroup_info 0
		.amdhsa_system_vgpr_workitem_id 0
		.amdhsa_next_free_vgpr 1
		.amdhsa_next_free_sgpr 1
		.amdhsa_named_barrier_count 0
		.amdhsa_reserve_vcc 0
		.amdhsa_float_round_mode_32 0
		.amdhsa_float_round_mode_16_64 0
		.amdhsa_float_denorm_mode_32 3
		.amdhsa_float_denorm_mode_16_64 3
		.amdhsa_fp16_overflow 0
		.amdhsa_memory_ordered 1
		.amdhsa_forward_progress 1
		.amdhsa_inst_pref_size 0
		.amdhsa_round_robin_scheduling 0
		.amdhsa_exception_fp_ieee_invalid_op 0
		.amdhsa_exception_fp_denorm_src 0
		.amdhsa_exception_fp_ieee_div_zero 0
		.amdhsa_exception_fp_ieee_overflow 0
		.amdhsa_exception_fp_ieee_underflow 0
		.amdhsa_exception_fp_ieee_inexact 0
		.amdhsa_exception_int_div_zero 0
	.end_amdhsa_kernel
	.section	.text._ZN7rocprim17ROCPRIM_400000_NS6detail17trampoline_kernelINS0_14default_configENS1_25partition_config_selectorILNS1_17partition_subalgoE8ElNS0_10empty_typeEbEEZZNS1_14partition_implILS5_8ELb0ES3_jPlPS6_PKS6_NS0_5tupleIJS9_S6_EEENSD_IJSA_SA_EEENS0_18inequality_wrapperIZN2at6native12_GLOBAL__N_124unique_dim_cuda_templateIjEESt5tupleIJNSH_6TensorESM_SM_EERKSM_lbbbEUlllE0_EEPmJS6_EEE10hipError_tPvRmT3_T4_T5_T6_T7_T9_mT8_P12ihipStream_tbDpT10_ENKUlT_T0_E_clISt17integral_constantIbLb1EES1B_IbLb0EEEEDaS17_S18_EUlS17_E_NS1_11comp_targetILNS1_3genE10ELNS1_11target_archE1200ELNS1_3gpuE4ELNS1_3repE0EEENS1_30default_config_static_selectorELNS0_4arch9wavefront6targetE0EEEvT1_,"axG",@progbits,_ZN7rocprim17ROCPRIM_400000_NS6detail17trampoline_kernelINS0_14default_configENS1_25partition_config_selectorILNS1_17partition_subalgoE8ElNS0_10empty_typeEbEEZZNS1_14partition_implILS5_8ELb0ES3_jPlPS6_PKS6_NS0_5tupleIJS9_S6_EEENSD_IJSA_SA_EEENS0_18inequality_wrapperIZN2at6native12_GLOBAL__N_124unique_dim_cuda_templateIjEESt5tupleIJNSH_6TensorESM_SM_EERKSM_lbbbEUlllE0_EEPmJS6_EEE10hipError_tPvRmT3_T4_T5_T6_T7_T9_mT8_P12ihipStream_tbDpT10_ENKUlT_T0_E_clISt17integral_constantIbLb1EES1B_IbLb0EEEEDaS17_S18_EUlS17_E_NS1_11comp_targetILNS1_3genE10ELNS1_11target_archE1200ELNS1_3gpuE4ELNS1_3repE0EEENS1_30default_config_static_selectorELNS0_4arch9wavefront6targetE0EEEvT1_,comdat
.Lfunc_end1562:
	.size	_ZN7rocprim17ROCPRIM_400000_NS6detail17trampoline_kernelINS0_14default_configENS1_25partition_config_selectorILNS1_17partition_subalgoE8ElNS0_10empty_typeEbEEZZNS1_14partition_implILS5_8ELb0ES3_jPlPS6_PKS6_NS0_5tupleIJS9_S6_EEENSD_IJSA_SA_EEENS0_18inequality_wrapperIZN2at6native12_GLOBAL__N_124unique_dim_cuda_templateIjEESt5tupleIJNSH_6TensorESM_SM_EERKSM_lbbbEUlllE0_EEPmJS6_EEE10hipError_tPvRmT3_T4_T5_T6_T7_T9_mT8_P12ihipStream_tbDpT10_ENKUlT_T0_E_clISt17integral_constantIbLb1EES1B_IbLb0EEEEDaS17_S18_EUlS17_E_NS1_11comp_targetILNS1_3genE10ELNS1_11target_archE1200ELNS1_3gpuE4ELNS1_3repE0EEENS1_30default_config_static_selectorELNS0_4arch9wavefront6targetE0EEEvT1_, .Lfunc_end1562-_ZN7rocprim17ROCPRIM_400000_NS6detail17trampoline_kernelINS0_14default_configENS1_25partition_config_selectorILNS1_17partition_subalgoE8ElNS0_10empty_typeEbEEZZNS1_14partition_implILS5_8ELb0ES3_jPlPS6_PKS6_NS0_5tupleIJS9_S6_EEENSD_IJSA_SA_EEENS0_18inequality_wrapperIZN2at6native12_GLOBAL__N_124unique_dim_cuda_templateIjEESt5tupleIJNSH_6TensorESM_SM_EERKSM_lbbbEUlllE0_EEPmJS6_EEE10hipError_tPvRmT3_T4_T5_T6_T7_T9_mT8_P12ihipStream_tbDpT10_ENKUlT_T0_E_clISt17integral_constantIbLb1EES1B_IbLb0EEEEDaS17_S18_EUlS17_E_NS1_11comp_targetILNS1_3genE10ELNS1_11target_archE1200ELNS1_3gpuE4ELNS1_3repE0EEENS1_30default_config_static_selectorELNS0_4arch9wavefront6targetE0EEEvT1_
                                        ; -- End function
	.set _ZN7rocprim17ROCPRIM_400000_NS6detail17trampoline_kernelINS0_14default_configENS1_25partition_config_selectorILNS1_17partition_subalgoE8ElNS0_10empty_typeEbEEZZNS1_14partition_implILS5_8ELb0ES3_jPlPS6_PKS6_NS0_5tupleIJS9_S6_EEENSD_IJSA_SA_EEENS0_18inequality_wrapperIZN2at6native12_GLOBAL__N_124unique_dim_cuda_templateIjEESt5tupleIJNSH_6TensorESM_SM_EERKSM_lbbbEUlllE0_EEPmJS6_EEE10hipError_tPvRmT3_T4_T5_T6_T7_T9_mT8_P12ihipStream_tbDpT10_ENKUlT_T0_E_clISt17integral_constantIbLb1EES1B_IbLb0EEEEDaS17_S18_EUlS17_E_NS1_11comp_targetILNS1_3genE10ELNS1_11target_archE1200ELNS1_3gpuE4ELNS1_3repE0EEENS1_30default_config_static_selectorELNS0_4arch9wavefront6targetE0EEEvT1_.num_vgpr, 0
	.set _ZN7rocprim17ROCPRIM_400000_NS6detail17trampoline_kernelINS0_14default_configENS1_25partition_config_selectorILNS1_17partition_subalgoE8ElNS0_10empty_typeEbEEZZNS1_14partition_implILS5_8ELb0ES3_jPlPS6_PKS6_NS0_5tupleIJS9_S6_EEENSD_IJSA_SA_EEENS0_18inequality_wrapperIZN2at6native12_GLOBAL__N_124unique_dim_cuda_templateIjEESt5tupleIJNSH_6TensorESM_SM_EERKSM_lbbbEUlllE0_EEPmJS6_EEE10hipError_tPvRmT3_T4_T5_T6_T7_T9_mT8_P12ihipStream_tbDpT10_ENKUlT_T0_E_clISt17integral_constantIbLb1EES1B_IbLb0EEEEDaS17_S18_EUlS17_E_NS1_11comp_targetILNS1_3genE10ELNS1_11target_archE1200ELNS1_3gpuE4ELNS1_3repE0EEENS1_30default_config_static_selectorELNS0_4arch9wavefront6targetE0EEEvT1_.num_agpr, 0
	.set _ZN7rocprim17ROCPRIM_400000_NS6detail17trampoline_kernelINS0_14default_configENS1_25partition_config_selectorILNS1_17partition_subalgoE8ElNS0_10empty_typeEbEEZZNS1_14partition_implILS5_8ELb0ES3_jPlPS6_PKS6_NS0_5tupleIJS9_S6_EEENSD_IJSA_SA_EEENS0_18inequality_wrapperIZN2at6native12_GLOBAL__N_124unique_dim_cuda_templateIjEESt5tupleIJNSH_6TensorESM_SM_EERKSM_lbbbEUlllE0_EEPmJS6_EEE10hipError_tPvRmT3_T4_T5_T6_T7_T9_mT8_P12ihipStream_tbDpT10_ENKUlT_T0_E_clISt17integral_constantIbLb1EES1B_IbLb0EEEEDaS17_S18_EUlS17_E_NS1_11comp_targetILNS1_3genE10ELNS1_11target_archE1200ELNS1_3gpuE4ELNS1_3repE0EEENS1_30default_config_static_selectorELNS0_4arch9wavefront6targetE0EEEvT1_.numbered_sgpr, 0
	.set _ZN7rocprim17ROCPRIM_400000_NS6detail17trampoline_kernelINS0_14default_configENS1_25partition_config_selectorILNS1_17partition_subalgoE8ElNS0_10empty_typeEbEEZZNS1_14partition_implILS5_8ELb0ES3_jPlPS6_PKS6_NS0_5tupleIJS9_S6_EEENSD_IJSA_SA_EEENS0_18inequality_wrapperIZN2at6native12_GLOBAL__N_124unique_dim_cuda_templateIjEESt5tupleIJNSH_6TensorESM_SM_EERKSM_lbbbEUlllE0_EEPmJS6_EEE10hipError_tPvRmT3_T4_T5_T6_T7_T9_mT8_P12ihipStream_tbDpT10_ENKUlT_T0_E_clISt17integral_constantIbLb1EES1B_IbLb0EEEEDaS17_S18_EUlS17_E_NS1_11comp_targetILNS1_3genE10ELNS1_11target_archE1200ELNS1_3gpuE4ELNS1_3repE0EEENS1_30default_config_static_selectorELNS0_4arch9wavefront6targetE0EEEvT1_.num_named_barrier, 0
	.set _ZN7rocprim17ROCPRIM_400000_NS6detail17trampoline_kernelINS0_14default_configENS1_25partition_config_selectorILNS1_17partition_subalgoE8ElNS0_10empty_typeEbEEZZNS1_14partition_implILS5_8ELb0ES3_jPlPS6_PKS6_NS0_5tupleIJS9_S6_EEENSD_IJSA_SA_EEENS0_18inequality_wrapperIZN2at6native12_GLOBAL__N_124unique_dim_cuda_templateIjEESt5tupleIJNSH_6TensorESM_SM_EERKSM_lbbbEUlllE0_EEPmJS6_EEE10hipError_tPvRmT3_T4_T5_T6_T7_T9_mT8_P12ihipStream_tbDpT10_ENKUlT_T0_E_clISt17integral_constantIbLb1EES1B_IbLb0EEEEDaS17_S18_EUlS17_E_NS1_11comp_targetILNS1_3genE10ELNS1_11target_archE1200ELNS1_3gpuE4ELNS1_3repE0EEENS1_30default_config_static_selectorELNS0_4arch9wavefront6targetE0EEEvT1_.private_seg_size, 0
	.set _ZN7rocprim17ROCPRIM_400000_NS6detail17trampoline_kernelINS0_14default_configENS1_25partition_config_selectorILNS1_17partition_subalgoE8ElNS0_10empty_typeEbEEZZNS1_14partition_implILS5_8ELb0ES3_jPlPS6_PKS6_NS0_5tupleIJS9_S6_EEENSD_IJSA_SA_EEENS0_18inequality_wrapperIZN2at6native12_GLOBAL__N_124unique_dim_cuda_templateIjEESt5tupleIJNSH_6TensorESM_SM_EERKSM_lbbbEUlllE0_EEPmJS6_EEE10hipError_tPvRmT3_T4_T5_T6_T7_T9_mT8_P12ihipStream_tbDpT10_ENKUlT_T0_E_clISt17integral_constantIbLb1EES1B_IbLb0EEEEDaS17_S18_EUlS17_E_NS1_11comp_targetILNS1_3genE10ELNS1_11target_archE1200ELNS1_3gpuE4ELNS1_3repE0EEENS1_30default_config_static_selectorELNS0_4arch9wavefront6targetE0EEEvT1_.uses_vcc, 0
	.set _ZN7rocprim17ROCPRIM_400000_NS6detail17trampoline_kernelINS0_14default_configENS1_25partition_config_selectorILNS1_17partition_subalgoE8ElNS0_10empty_typeEbEEZZNS1_14partition_implILS5_8ELb0ES3_jPlPS6_PKS6_NS0_5tupleIJS9_S6_EEENSD_IJSA_SA_EEENS0_18inequality_wrapperIZN2at6native12_GLOBAL__N_124unique_dim_cuda_templateIjEESt5tupleIJNSH_6TensorESM_SM_EERKSM_lbbbEUlllE0_EEPmJS6_EEE10hipError_tPvRmT3_T4_T5_T6_T7_T9_mT8_P12ihipStream_tbDpT10_ENKUlT_T0_E_clISt17integral_constantIbLb1EES1B_IbLb0EEEEDaS17_S18_EUlS17_E_NS1_11comp_targetILNS1_3genE10ELNS1_11target_archE1200ELNS1_3gpuE4ELNS1_3repE0EEENS1_30default_config_static_selectorELNS0_4arch9wavefront6targetE0EEEvT1_.uses_flat_scratch, 0
	.set _ZN7rocprim17ROCPRIM_400000_NS6detail17trampoline_kernelINS0_14default_configENS1_25partition_config_selectorILNS1_17partition_subalgoE8ElNS0_10empty_typeEbEEZZNS1_14partition_implILS5_8ELb0ES3_jPlPS6_PKS6_NS0_5tupleIJS9_S6_EEENSD_IJSA_SA_EEENS0_18inequality_wrapperIZN2at6native12_GLOBAL__N_124unique_dim_cuda_templateIjEESt5tupleIJNSH_6TensorESM_SM_EERKSM_lbbbEUlllE0_EEPmJS6_EEE10hipError_tPvRmT3_T4_T5_T6_T7_T9_mT8_P12ihipStream_tbDpT10_ENKUlT_T0_E_clISt17integral_constantIbLb1EES1B_IbLb0EEEEDaS17_S18_EUlS17_E_NS1_11comp_targetILNS1_3genE10ELNS1_11target_archE1200ELNS1_3gpuE4ELNS1_3repE0EEENS1_30default_config_static_selectorELNS0_4arch9wavefront6targetE0EEEvT1_.has_dyn_sized_stack, 0
	.set _ZN7rocprim17ROCPRIM_400000_NS6detail17trampoline_kernelINS0_14default_configENS1_25partition_config_selectorILNS1_17partition_subalgoE8ElNS0_10empty_typeEbEEZZNS1_14partition_implILS5_8ELb0ES3_jPlPS6_PKS6_NS0_5tupleIJS9_S6_EEENSD_IJSA_SA_EEENS0_18inequality_wrapperIZN2at6native12_GLOBAL__N_124unique_dim_cuda_templateIjEESt5tupleIJNSH_6TensorESM_SM_EERKSM_lbbbEUlllE0_EEPmJS6_EEE10hipError_tPvRmT3_T4_T5_T6_T7_T9_mT8_P12ihipStream_tbDpT10_ENKUlT_T0_E_clISt17integral_constantIbLb1EES1B_IbLb0EEEEDaS17_S18_EUlS17_E_NS1_11comp_targetILNS1_3genE10ELNS1_11target_archE1200ELNS1_3gpuE4ELNS1_3repE0EEENS1_30default_config_static_selectorELNS0_4arch9wavefront6targetE0EEEvT1_.has_recursion, 0
	.set _ZN7rocprim17ROCPRIM_400000_NS6detail17trampoline_kernelINS0_14default_configENS1_25partition_config_selectorILNS1_17partition_subalgoE8ElNS0_10empty_typeEbEEZZNS1_14partition_implILS5_8ELb0ES3_jPlPS6_PKS6_NS0_5tupleIJS9_S6_EEENSD_IJSA_SA_EEENS0_18inequality_wrapperIZN2at6native12_GLOBAL__N_124unique_dim_cuda_templateIjEESt5tupleIJNSH_6TensorESM_SM_EERKSM_lbbbEUlllE0_EEPmJS6_EEE10hipError_tPvRmT3_T4_T5_T6_T7_T9_mT8_P12ihipStream_tbDpT10_ENKUlT_T0_E_clISt17integral_constantIbLb1EES1B_IbLb0EEEEDaS17_S18_EUlS17_E_NS1_11comp_targetILNS1_3genE10ELNS1_11target_archE1200ELNS1_3gpuE4ELNS1_3repE0EEENS1_30default_config_static_selectorELNS0_4arch9wavefront6targetE0EEEvT1_.has_indirect_call, 0
	.section	.AMDGPU.csdata,"",@progbits
; Kernel info:
; codeLenInByte = 0
; TotalNumSgprs: 0
; NumVgprs: 0
; ScratchSize: 0
; MemoryBound: 0
; FloatMode: 240
; IeeeMode: 1
; LDSByteSize: 0 bytes/workgroup (compile time only)
; SGPRBlocks: 0
; VGPRBlocks: 0
; NumSGPRsForWavesPerEU: 1
; NumVGPRsForWavesPerEU: 1
; NamedBarCnt: 0
; Occupancy: 16
; WaveLimiterHint : 0
; COMPUTE_PGM_RSRC2:SCRATCH_EN: 0
; COMPUTE_PGM_RSRC2:USER_SGPR: 2
; COMPUTE_PGM_RSRC2:TRAP_HANDLER: 0
; COMPUTE_PGM_RSRC2:TGID_X_EN: 1
; COMPUTE_PGM_RSRC2:TGID_Y_EN: 0
; COMPUTE_PGM_RSRC2:TGID_Z_EN: 0
; COMPUTE_PGM_RSRC2:TIDIG_COMP_CNT: 0
	.section	.text._ZN7rocprim17ROCPRIM_400000_NS6detail17trampoline_kernelINS0_14default_configENS1_25partition_config_selectorILNS1_17partition_subalgoE8ElNS0_10empty_typeEbEEZZNS1_14partition_implILS5_8ELb0ES3_jPlPS6_PKS6_NS0_5tupleIJS9_S6_EEENSD_IJSA_SA_EEENS0_18inequality_wrapperIZN2at6native12_GLOBAL__N_124unique_dim_cuda_templateIjEESt5tupleIJNSH_6TensorESM_SM_EERKSM_lbbbEUlllE0_EEPmJS6_EEE10hipError_tPvRmT3_T4_T5_T6_T7_T9_mT8_P12ihipStream_tbDpT10_ENKUlT_T0_E_clISt17integral_constantIbLb1EES1B_IbLb0EEEEDaS17_S18_EUlS17_E_NS1_11comp_targetILNS1_3genE9ELNS1_11target_archE1100ELNS1_3gpuE3ELNS1_3repE0EEENS1_30default_config_static_selectorELNS0_4arch9wavefront6targetE0EEEvT1_,"axG",@progbits,_ZN7rocprim17ROCPRIM_400000_NS6detail17trampoline_kernelINS0_14default_configENS1_25partition_config_selectorILNS1_17partition_subalgoE8ElNS0_10empty_typeEbEEZZNS1_14partition_implILS5_8ELb0ES3_jPlPS6_PKS6_NS0_5tupleIJS9_S6_EEENSD_IJSA_SA_EEENS0_18inequality_wrapperIZN2at6native12_GLOBAL__N_124unique_dim_cuda_templateIjEESt5tupleIJNSH_6TensorESM_SM_EERKSM_lbbbEUlllE0_EEPmJS6_EEE10hipError_tPvRmT3_T4_T5_T6_T7_T9_mT8_P12ihipStream_tbDpT10_ENKUlT_T0_E_clISt17integral_constantIbLb1EES1B_IbLb0EEEEDaS17_S18_EUlS17_E_NS1_11comp_targetILNS1_3genE9ELNS1_11target_archE1100ELNS1_3gpuE3ELNS1_3repE0EEENS1_30default_config_static_selectorELNS0_4arch9wavefront6targetE0EEEvT1_,comdat
	.globl	_ZN7rocprim17ROCPRIM_400000_NS6detail17trampoline_kernelINS0_14default_configENS1_25partition_config_selectorILNS1_17partition_subalgoE8ElNS0_10empty_typeEbEEZZNS1_14partition_implILS5_8ELb0ES3_jPlPS6_PKS6_NS0_5tupleIJS9_S6_EEENSD_IJSA_SA_EEENS0_18inequality_wrapperIZN2at6native12_GLOBAL__N_124unique_dim_cuda_templateIjEESt5tupleIJNSH_6TensorESM_SM_EERKSM_lbbbEUlllE0_EEPmJS6_EEE10hipError_tPvRmT3_T4_T5_T6_T7_T9_mT8_P12ihipStream_tbDpT10_ENKUlT_T0_E_clISt17integral_constantIbLb1EES1B_IbLb0EEEEDaS17_S18_EUlS17_E_NS1_11comp_targetILNS1_3genE9ELNS1_11target_archE1100ELNS1_3gpuE3ELNS1_3repE0EEENS1_30default_config_static_selectorELNS0_4arch9wavefront6targetE0EEEvT1_ ; -- Begin function _ZN7rocprim17ROCPRIM_400000_NS6detail17trampoline_kernelINS0_14default_configENS1_25partition_config_selectorILNS1_17partition_subalgoE8ElNS0_10empty_typeEbEEZZNS1_14partition_implILS5_8ELb0ES3_jPlPS6_PKS6_NS0_5tupleIJS9_S6_EEENSD_IJSA_SA_EEENS0_18inequality_wrapperIZN2at6native12_GLOBAL__N_124unique_dim_cuda_templateIjEESt5tupleIJNSH_6TensorESM_SM_EERKSM_lbbbEUlllE0_EEPmJS6_EEE10hipError_tPvRmT3_T4_T5_T6_T7_T9_mT8_P12ihipStream_tbDpT10_ENKUlT_T0_E_clISt17integral_constantIbLb1EES1B_IbLb0EEEEDaS17_S18_EUlS17_E_NS1_11comp_targetILNS1_3genE9ELNS1_11target_archE1100ELNS1_3gpuE3ELNS1_3repE0EEENS1_30default_config_static_selectorELNS0_4arch9wavefront6targetE0EEEvT1_
	.p2align	8
	.type	_ZN7rocprim17ROCPRIM_400000_NS6detail17trampoline_kernelINS0_14default_configENS1_25partition_config_selectorILNS1_17partition_subalgoE8ElNS0_10empty_typeEbEEZZNS1_14partition_implILS5_8ELb0ES3_jPlPS6_PKS6_NS0_5tupleIJS9_S6_EEENSD_IJSA_SA_EEENS0_18inequality_wrapperIZN2at6native12_GLOBAL__N_124unique_dim_cuda_templateIjEESt5tupleIJNSH_6TensorESM_SM_EERKSM_lbbbEUlllE0_EEPmJS6_EEE10hipError_tPvRmT3_T4_T5_T6_T7_T9_mT8_P12ihipStream_tbDpT10_ENKUlT_T0_E_clISt17integral_constantIbLb1EES1B_IbLb0EEEEDaS17_S18_EUlS17_E_NS1_11comp_targetILNS1_3genE9ELNS1_11target_archE1100ELNS1_3gpuE3ELNS1_3repE0EEENS1_30default_config_static_selectorELNS0_4arch9wavefront6targetE0EEEvT1_,@function
_ZN7rocprim17ROCPRIM_400000_NS6detail17trampoline_kernelINS0_14default_configENS1_25partition_config_selectorILNS1_17partition_subalgoE8ElNS0_10empty_typeEbEEZZNS1_14partition_implILS5_8ELb0ES3_jPlPS6_PKS6_NS0_5tupleIJS9_S6_EEENSD_IJSA_SA_EEENS0_18inequality_wrapperIZN2at6native12_GLOBAL__N_124unique_dim_cuda_templateIjEESt5tupleIJNSH_6TensorESM_SM_EERKSM_lbbbEUlllE0_EEPmJS6_EEE10hipError_tPvRmT3_T4_T5_T6_T7_T9_mT8_P12ihipStream_tbDpT10_ENKUlT_T0_E_clISt17integral_constantIbLb1EES1B_IbLb0EEEEDaS17_S18_EUlS17_E_NS1_11comp_targetILNS1_3genE9ELNS1_11target_archE1100ELNS1_3gpuE3ELNS1_3repE0EEENS1_30default_config_static_selectorELNS0_4arch9wavefront6targetE0EEEvT1_: ; @_ZN7rocprim17ROCPRIM_400000_NS6detail17trampoline_kernelINS0_14default_configENS1_25partition_config_selectorILNS1_17partition_subalgoE8ElNS0_10empty_typeEbEEZZNS1_14partition_implILS5_8ELb0ES3_jPlPS6_PKS6_NS0_5tupleIJS9_S6_EEENSD_IJSA_SA_EEENS0_18inequality_wrapperIZN2at6native12_GLOBAL__N_124unique_dim_cuda_templateIjEESt5tupleIJNSH_6TensorESM_SM_EERKSM_lbbbEUlllE0_EEPmJS6_EEE10hipError_tPvRmT3_T4_T5_T6_T7_T9_mT8_P12ihipStream_tbDpT10_ENKUlT_T0_E_clISt17integral_constantIbLb1EES1B_IbLb0EEEEDaS17_S18_EUlS17_E_NS1_11comp_targetILNS1_3genE9ELNS1_11target_archE1100ELNS1_3gpuE3ELNS1_3repE0EEENS1_30default_config_static_selectorELNS0_4arch9wavefront6targetE0EEEvT1_
; %bb.0:
	.section	.rodata,"a",@progbits
	.p2align	6, 0x0
	.amdhsa_kernel _ZN7rocprim17ROCPRIM_400000_NS6detail17trampoline_kernelINS0_14default_configENS1_25partition_config_selectorILNS1_17partition_subalgoE8ElNS0_10empty_typeEbEEZZNS1_14partition_implILS5_8ELb0ES3_jPlPS6_PKS6_NS0_5tupleIJS9_S6_EEENSD_IJSA_SA_EEENS0_18inequality_wrapperIZN2at6native12_GLOBAL__N_124unique_dim_cuda_templateIjEESt5tupleIJNSH_6TensorESM_SM_EERKSM_lbbbEUlllE0_EEPmJS6_EEE10hipError_tPvRmT3_T4_T5_T6_T7_T9_mT8_P12ihipStream_tbDpT10_ENKUlT_T0_E_clISt17integral_constantIbLb1EES1B_IbLb0EEEEDaS17_S18_EUlS17_E_NS1_11comp_targetILNS1_3genE9ELNS1_11target_archE1100ELNS1_3gpuE3ELNS1_3repE0EEENS1_30default_config_static_selectorELNS0_4arch9wavefront6targetE0EEEvT1_
		.amdhsa_group_segment_fixed_size 0
		.amdhsa_private_segment_fixed_size 0
		.amdhsa_kernarg_size 120
		.amdhsa_user_sgpr_count 2
		.amdhsa_user_sgpr_dispatch_ptr 0
		.amdhsa_user_sgpr_queue_ptr 0
		.amdhsa_user_sgpr_kernarg_segment_ptr 1
		.amdhsa_user_sgpr_dispatch_id 0
		.amdhsa_user_sgpr_kernarg_preload_length 0
		.amdhsa_user_sgpr_kernarg_preload_offset 0
		.amdhsa_user_sgpr_private_segment_size 0
		.amdhsa_wavefront_size32 1
		.amdhsa_uses_dynamic_stack 0
		.amdhsa_enable_private_segment 0
		.amdhsa_system_sgpr_workgroup_id_x 1
		.amdhsa_system_sgpr_workgroup_id_y 0
		.amdhsa_system_sgpr_workgroup_id_z 0
		.amdhsa_system_sgpr_workgroup_info 0
		.amdhsa_system_vgpr_workitem_id 0
		.amdhsa_next_free_vgpr 1
		.amdhsa_next_free_sgpr 1
		.amdhsa_named_barrier_count 0
		.amdhsa_reserve_vcc 0
		.amdhsa_float_round_mode_32 0
		.amdhsa_float_round_mode_16_64 0
		.amdhsa_float_denorm_mode_32 3
		.amdhsa_float_denorm_mode_16_64 3
		.amdhsa_fp16_overflow 0
		.amdhsa_memory_ordered 1
		.amdhsa_forward_progress 1
		.amdhsa_inst_pref_size 0
		.amdhsa_round_robin_scheduling 0
		.amdhsa_exception_fp_ieee_invalid_op 0
		.amdhsa_exception_fp_denorm_src 0
		.amdhsa_exception_fp_ieee_div_zero 0
		.amdhsa_exception_fp_ieee_overflow 0
		.amdhsa_exception_fp_ieee_underflow 0
		.amdhsa_exception_fp_ieee_inexact 0
		.amdhsa_exception_int_div_zero 0
	.end_amdhsa_kernel
	.section	.text._ZN7rocprim17ROCPRIM_400000_NS6detail17trampoline_kernelINS0_14default_configENS1_25partition_config_selectorILNS1_17partition_subalgoE8ElNS0_10empty_typeEbEEZZNS1_14partition_implILS5_8ELb0ES3_jPlPS6_PKS6_NS0_5tupleIJS9_S6_EEENSD_IJSA_SA_EEENS0_18inequality_wrapperIZN2at6native12_GLOBAL__N_124unique_dim_cuda_templateIjEESt5tupleIJNSH_6TensorESM_SM_EERKSM_lbbbEUlllE0_EEPmJS6_EEE10hipError_tPvRmT3_T4_T5_T6_T7_T9_mT8_P12ihipStream_tbDpT10_ENKUlT_T0_E_clISt17integral_constantIbLb1EES1B_IbLb0EEEEDaS17_S18_EUlS17_E_NS1_11comp_targetILNS1_3genE9ELNS1_11target_archE1100ELNS1_3gpuE3ELNS1_3repE0EEENS1_30default_config_static_selectorELNS0_4arch9wavefront6targetE0EEEvT1_,"axG",@progbits,_ZN7rocprim17ROCPRIM_400000_NS6detail17trampoline_kernelINS0_14default_configENS1_25partition_config_selectorILNS1_17partition_subalgoE8ElNS0_10empty_typeEbEEZZNS1_14partition_implILS5_8ELb0ES3_jPlPS6_PKS6_NS0_5tupleIJS9_S6_EEENSD_IJSA_SA_EEENS0_18inequality_wrapperIZN2at6native12_GLOBAL__N_124unique_dim_cuda_templateIjEESt5tupleIJNSH_6TensorESM_SM_EERKSM_lbbbEUlllE0_EEPmJS6_EEE10hipError_tPvRmT3_T4_T5_T6_T7_T9_mT8_P12ihipStream_tbDpT10_ENKUlT_T0_E_clISt17integral_constantIbLb1EES1B_IbLb0EEEEDaS17_S18_EUlS17_E_NS1_11comp_targetILNS1_3genE9ELNS1_11target_archE1100ELNS1_3gpuE3ELNS1_3repE0EEENS1_30default_config_static_selectorELNS0_4arch9wavefront6targetE0EEEvT1_,comdat
.Lfunc_end1563:
	.size	_ZN7rocprim17ROCPRIM_400000_NS6detail17trampoline_kernelINS0_14default_configENS1_25partition_config_selectorILNS1_17partition_subalgoE8ElNS0_10empty_typeEbEEZZNS1_14partition_implILS5_8ELb0ES3_jPlPS6_PKS6_NS0_5tupleIJS9_S6_EEENSD_IJSA_SA_EEENS0_18inequality_wrapperIZN2at6native12_GLOBAL__N_124unique_dim_cuda_templateIjEESt5tupleIJNSH_6TensorESM_SM_EERKSM_lbbbEUlllE0_EEPmJS6_EEE10hipError_tPvRmT3_T4_T5_T6_T7_T9_mT8_P12ihipStream_tbDpT10_ENKUlT_T0_E_clISt17integral_constantIbLb1EES1B_IbLb0EEEEDaS17_S18_EUlS17_E_NS1_11comp_targetILNS1_3genE9ELNS1_11target_archE1100ELNS1_3gpuE3ELNS1_3repE0EEENS1_30default_config_static_selectorELNS0_4arch9wavefront6targetE0EEEvT1_, .Lfunc_end1563-_ZN7rocprim17ROCPRIM_400000_NS6detail17trampoline_kernelINS0_14default_configENS1_25partition_config_selectorILNS1_17partition_subalgoE8ElNS0_10empty_typeEbEEZZNS1_14partition_implILS5_8ELb0ES3_jPlPS6_PKS6_NS0_5tupleIJS9_S6_EEENSD_IJSA_SA_EEENS0_18inequality_wrapperIZN2at6native12_GLOBAL__N_124unique_dim_cuda_templateIjEESt5tupleIJNSH_6TensorESM_SM_EERKSM_lbbbEUlllE0_EEPmJS6_EEE10hipError_tPvRmT3_T4_T5_T6_T7_T9_mT8_P12ihipStream_tbDpT10_ENKUlT_T0_E_clISt17integral_constantIbLb1EES1B_IbLb0EEEEDaS17_S18_EUlS17_E_NS1_11comp_targetILNS1_3genE9ELNS1_11target_archE1100ELNS1_3gpuE3ELNS1_3repE0EEENS1_30default_config_static_selectorELNS0_4arch9wavefront6targetE0EEEvT1_
                                        ; -- End function
	.set _ZN7rocprim17ROCPRIM_400000_NS6detail17trampoline_kernelINS0_14default_configENS1_25partition_config_selectorILNS1_17partition_subalgoE8ElNS0_10empty_typeEbEEZZNS1_14partition_implILS5_8ELb0ES3_jPlPS6_PKS6_NS0_5tupleIJS9_S6_EEENSD_IJSA_SA_EEENS0_18inequality_wrapperIZN2at6native12_GLOBAL__N_124unique_dim_cuda_templateIjEESt5tupleIJNSH_6TensorESM_SM_EERKSM_lbbbEUlllE0_EEPmJS6_EEE10hipError_tPvRmT3_T4_T5_T6_T7_T9_mT8_P12ihipStream_tbDpT10_ENKUlT_T0_E_clISt17integral_constantIbLb1EES1B_IbLb0EEEEDaS17_S18_EUlS17_E_NS1_11comp_targetILNS1_3genE9ELNS1_11target_archE1100ELNS1_3gpuE3ELNS1_3repE0EEENS1_30default_config_static_selectorELNS0_4arch9wavefront6targetE0EEEvT1_.num_vgpr, 0
	.set _ZN7rocprim17ROCPRIM_400000_NS6detail17trampoline_kernelINS0_14default_configENS1_25partition_config_selectorILNS1_17partition_subalgoE8ElNS0_10empty_typeEbEEZZNS1_14partition_implILS5_8ELb0ES3_jPlPS6_PKS6_NS0_5tupleIJS9_S6_EEENSD_IJSA_SA_EEENS0_18inequality_wrapperIZN2at6native12_GLOBAL__N_124unique_dim_cuda_templateIjEESt5tupleIJNSH_6TensorESM_SM_EERKSM_lbbbEUlllE0_EEPmJS6_EEE10hipError_tPvRmT3_T4_T5_T6_T7_T9_mT8_P12ihipStream_tbDpT10_ENKUlT_T0_E_clISt17integral_constantIbLb1EES1B_IbLb0EEEEDaS17_S18_EUlS17_E_NS1_11comp_targetILNS1_3genE9ELNS1_11target_archE1100ELNS1_3gpuE3ELNS1_3repE0EEENS1_30default_config_static_selectorELNS0_4arch9wavefront6targetE0EEEvT1_.num_agpr, 0
	.set _ZN7rocprim17ROCPRIM_400000_NS6detail17trampoline_kernelINS0_14default_configENS1_25partition_config_selectorILNS1_17partition_subalgoE8ElNS0_10empty_typeEbEEZZNS1_14partition_implILS5_8ELb0ES3_jPlPS6_PKS6_NS0_5tupleIJS9_S6_EEENSD_IJSA_SA_EEENS0_18inequality_wrapperIZN2at6native12_GLOBAL__N_124unique_dim_cuda_templateIjEESt5tupleIJNSH_6TensorESM_SM_EERKSM_lbbbEUlllE0_EEPmJS6_EEE10hipError_tPvRmT3_T4_T5_T6_T7_T9_mT8_P12ihipStream_tbDpT10_ENKUlT_T0_E_clISt17integral_constantIbLb1EES1B_IbLb0EEEEDaS17_S18_EUlS17_E_NS1_11comp_targetILNS1_3genE9ELNS1_11target_archE1100ELNS1_3gpuE3ELNS1_3repE0EEENS1_30default_config_static_selectorELNS0_4arch9wavefront6targetE0EEEvT1_.numbered_sgpr, 0
	.set _ZN7rocprim17ROCPRIM_400000_NS6detail17trampoline_kernelINS0_14default_configENS1_25partition_config_selectorILNS1_17partition_subalgoE8ElNS0_10empty_typeEbEEZZNS1_14partition_implILS5_8ELb0ES3_jPlPS6_PKS6_NS0_5tupleIJS9_S6_EEENSD_IJSA_SA_EEENS0_18inequality_wrapperIZN2at6native12_GLOBAL__N_124unique_dim_cuda_templateIjEESt5tupleIJNSH_6TensorESM_SM_EERKSM_lbbbEUlllE0_EEPmJS6_EEE10hipError_tPvRmT3_T4_T5_T6_T7_T9_mT8_P12ihipStream_tbDpT10_ENKUlT_T0_E_clISt17integral_constantIbLb1EES1B_IbLb0EEEEDaS17_S18_EUlS17_E_NS1_11comp_targetILNS1_3genE9ELNS1_11target_archE1100ELNS1_3gpuE3ELNS1_3repE0EEENS1_30default_config_static_selectorELNS0_4arch9wavefront6targetE0EEEvT1_.num_named_barrier, 0
	.set _ZN7rocprim17ROCPRIM_400000_NS6detail17trampoline_kernelINS0_14default_configENS1_25partition_config_selectorILNS1_17partition_subalgoE8ElNS0_10empty_typeEbEEZZNS1_14partition_implILS5_8ELb0ES3_jPlPS6_PKS6_NS0_5tupleIJS9_S6_EEENSD_IJSA_SA_EEENS0_18inequality_wrapperIZN2at6native12_GLOBAL__N_124unique_dim_cuda_templateIjEESt5tupleIJNSH_6TensorESM_SM_EERKSM_lbbbEUlllE0_EEPmJS6_EEE10hipError_tPvRmT3_T4_T5_T6_T7_T9_mT8_P12ihipStream_tbDpT10_ENKUlT_T0_E_clISt17integral_constantIbLb1EES1B_IbLb0EEEEDaS17_S18_EUlS17_E_NS1_11comp_targetILNS1_3genE9ELNS1_11target_archE1100ELNS1_3gpuE3ELNS1_3repE0EEENS1_30default_config_static_selectorELNS0_4arch9wavefront6targetE0EEEvT1_.private_seg_size, 0
	.set _ZN7rocprim17ROCPRIM_400000_NS6detail17trampoline_kernelINS0_14default_configENS1_25partition_config_selectorILNS1_17partition_subalgoE8ElNS0_10empty_typeEbEEZZNS1_14partition_implILS5_8ELb0ES3_jPlPS6_PKS6_NS0_5tupleIJS9_S6_EEENSD_IJSA_SA_EEENS0_18inequality_wrapperIZN2at6native12_GLOBAL__N_124unique_dim_cuda_templateIjEESt5tupleIJNSH_6TensorESM_SM_EERKSM_lbbbEUlllE0_EEPmJS6_EEE10hipError_tPvRmT3_T4_T5_T6_T7_T9_mT8_P12ihipStream_tbDpT10_ENKUlT_T0_E_clISt17integral_constantIbLb1EES1B_IbLb0EEEEDaS17_S18_EUlS17_E_NS1_11comp_targetILNS1_3genE9ELNS1_11target_archE1100ELNS1_3gpuE3ELNS1_3repE0EEENS1_30default_config_static_selectorELNS0_4arch9wavefront6targetE0EEEvT1_.uses_vcc, 0
	.set _ZN7rocprim17ROCPRIM_400000_NS6detail17trampoline_kernelINS0_14default_configENS1_25partition_config_selectorILNS1_17partition_subalgoE8ElNS0_10empty_typeEbEEZZNS1_14partition_implILS5_8ELb0ES3_jPlPS6_PKS6_NS0_5tupleIJS9_S6_EEENSD_IJSA_SA_EEENS0_18inequality_wrapperIZN2at6native12_GLOBAL__N_124unique_dim_cuda_templateIjEESt5tupleIJNSH_6TensorESM_SM_EERKSM_lbbbEUlllE0_EEPmJS6_EEE10hipError_tPvRmT3_T4_T5_T6_T7_T9_mT8_P12ihipStream_tbDpT10_ENKUlT_T0_E_clISt17integral_constantIbLb1EES1B_IbLb0EEEEDaS17_S18_EUlS17_E_NS1_11comp_targetILNS1_3genE9ELNS1_11target_archE1100ELNS1_3gpuE3ELNS1_3repE0EEENS1_30default_config_static_selectorELNS0_4arch9wavefront6targetE0EEEvT1_.uses_flat_scratch, 0
	.set _ZN7rocprim17ROCPRIM_400000_NS6detail17trampoline_kernelINS0_14default_configENS1_25partition_config_selectorILNS1_17partition_subalgoE8ElNS0_10empty_typeEbEEZZNS1_14partition_implILS5_8ELb0ES3_jPlPS6_PKS6_NS0_5tupleIJS9_S6_EEENSD_IJSA_SA_EEENS0_18inequality_wrapperIZN2at6native12_GLOBAL__N_124unique_dim_cuda_templateIjEESt5tupleIJNSH_6TensorESM_SM_EERKSM_lbbbEUlllE0_EEPmJS6_EEE10hipError_tPvRmT3_T4_T5_T6_T7_T9_mT8_P12ihipStream_tbDpT10_ENKUlT_T0_E_clISt17integral_constantIbLb1EES1B_IbLb0EEEEDaS17_S18_EUlS17_E_NS1_11comp_targetILNS1_3genE9ELNS1_11target_archE1100ELNS1_3gpuE3ELNS1_3repE0EEENS1_30default_config_static_selectorELNS0_4arch9wavefront6targetE0EEEvT1_.has_dyn_sized_stack, 0
	.set _ZN7rocprim17ROCPRIM_400000_NS6detail17trampoline_kernelINS0_14default_configENS1_25partition_config_selectorILNS1_17partition_subalgoE8ElNS0_10empty_typeEbEEZZNS1_14partition_implILS5_8ELb0ES3_jPlPS6_PKS6_NS0_5tupleIJS9_S6_EEENSD_IJSA_SA_EEENS0_18inequality_wrapperIZN2at6native12_GLOBAL__N_124unique_dim_cuda_templateIjEESt5tupleIJNSH_6TensorESM_SM_EERKSM_lbbbEUlllE0_EEPmJS6_EEE10hipError_tPvRmT3_T4_T5_T6_T7_T9_mT8_P12ihipStream_tbDpT10_ENKUlT_T0_E_clISt17integral_constantIbLb1EES1B_IbLb0EEEEDaS17_S18_EUlS17_E_NS1_11comp_targetILNS1_3genE9ELNS1_11target_archE1100ELNS1_3gpuE3ELNS1_3repE0EEENS1_30default_config_static_selectorELNS0_4arch9wavefront6targetE0EEEvT1_.has_recursion, 0
	.set _ZN7rocprim17ROCPRIM_400000_NS6detail17trampoline_kernelINS0_14default_configENS1_25partition_config_selectorILNS1_17partition_subalgoE8ElNS0_10empty_typeEbEEZZNS1_14partition_implILS5_8ELb0ES3_jPlPS6_PKS6_NS0_5tupleIJS9_S6_EEENSD_IJSA_SA_EEENS0_18inequality_wrapperIZN2at6native12_GLOBAL__N_124unique_dim_cuda_templateIjEESt5tupleIJNSH_6TensorESM_SM_EERKSM_lbbbEUlllE0_EEPmJS6_EEE10hipError_tPvRmT3_T4_T5_T6_T7_T9_mT8_P12ihipStream_tbDpT10_ENKUlT_T0_E_clISt17integral_constantIbLb1EES1B_IbLb0EEEEDaS17_S18_EUlS17_E_NS1_11comp_targetILNS1_3genE9ELNS1_11target_archE1100ELNS1_3gpuE3ELNS1_3repE0EEENS1_30default_config_static_selectorELNS0_4arch9wavefront6targetE0EEEvT1_.has_indirect_call, 0
	.section	.AMDGPU.csdata,"",@progbits
; Kernel info:
; codeLenInByte = 0
; TotalNumSgprs: 0
; NumVgprs: 0
; ScratchSize: 0
; MemoryBound: 0
; FloatMode: 240
; IeeeMode: 1
; LDSByteSize: 0 bytes/workgroup (compile time only)
; SGPRBlocks: 0
; VGPRBlocks: 0
; NumSGPRsForWavesPerEU: 1
; NumVGPRsForWavesPerEU: 1
; NamedBarCnt: 0
; Occupancy: 16
; WaveLimiterHint : 0
; COMPUTE_PGM_RSRC2:SCRATCH_EN: 0
; COMPUTE_PGM_RSRC2:USER_SGPR: 2
; COMPUTE_PGM_RSRC2:TRAP_HANDLER: 0
; COMPUTE_PGM_RSRC2:TGID_X_EN: 1
; COMPUTE_PGM_RSRC2:TGID_Y_EN: 0
; COMPUTE_PGM_RSRC2:TGID_Z_EN: 0
; COMPUTE_PGM_RSRC2:TIDIG_COMP_CNT: 0
	.section	.text._ZN7rocprim17ROCPRIM_400000_NS6detail17trampoline_kernelINS0_14default_configENS1_25partition_config_selectorILNS1_17partition_subalgoE8ElNS0_10empty_typeEbEEZZNS1_14partition_implILS5_8ELb0ES3_jPlPS6_PKS6_NS0_5tupleIJS9_S6_EEENSD_IJSA_SA_EEENS0_18inequality_wrapperIZN2at6native12_GLOBAL__N_124unique_dim_cuda_templateIjEESt5tupleIJNSH_6TensorESM_SM_EERKSM_lbbbEUlllE0_EEPmJS6_EEE10hipError_tPvRmT3_T4_T5_T6_T7_T9_mT8_P12ihipStream_tbDpT10_ENKUlT_T0_E_clISt17integral_constantIbLb1EES1B_IbLb0EEEEDaS17_S18_EUlS17_E_NS1_11comp_targetILNS1_3genE8ELNS1_11target_archE1030ELNS1_3gpuE2ELNS1_3repE0EEENS1_30default_config_static_selectorELNS0_4arch9wavefront6targetE0EEEvT1_,"axG",@progbits,_ZN7rocprim17ROCPRIM_400000_NS6detail17trampoline_kernelINS0_14default_configENS1_25partition_config_selectorILNS1_17partition_subalgoE8ElNS0_10empty_typeEbEEZZNS1_14partition_implILS5_8ELb0ES3_jPlPS6_PKS6_NS0_5tupleIJS9_S6_EEENSD_IJSA_SA_EEENS0_18inequality_wrapperIZN2at6native12_GLOBAL__N_124unique_dim_cuda_templateIjEESt5tupleIJNSH_6TensorESM_SM_EERKSM_lbbbEUlllE0_EEPmJS6_EEE10hipError_tPvRmT3_T4_T5_T6_T7_T9_mT8_P12ihipStream_tbDpT10_ENKUlT_T0_E_clISt17integral_constantIbLb1EES1B_IbLb0EEEEDaS17_S18_EUlS17_E_NS1_11comp_targetILNS1_3genE8ELNS1_11target_archE1030ELNS1_3gpuE2ELNS1_3repE0EEENS1_30default_config_static_selectorELNS0_4arch9wavefront6targetE0EEEvT1_,comdat
	.globl	_ZN7rocprim17ROCPRIM_400000_NS6detail17trampoline_kernelINS0_14default_configENS1_25partition_config_selectorILNS1_17partition_subalgoE8ElNS0_10empty_typeEbEEZZNS1_14partition_implILS5_8ELb0ES3_jPlPS6_PKS6_NS0_5tupleIJS9_S6_EEENSD_IJSA_SA_EEENS0_18inequality_wrapperIZN2at6native12_GLOBAL__N_124unique_dim_cuda_templateIjEESt5tupleIJNSH_6TensorESM_SM_EERKSM_lbbbEUlllE0_EEPmJS6_EEE10hipError_tPvRmT3_T4_T5_T6_T7_T9_mT8_P12ihipStream_tbDpT10_ENKUlT_T0_E_clISt17integral_constantIbLb1EES1B_IbLb0EEEEDaS17_S18_EUlS17_E_NS1_11comp_targetILNS1_3genE8ELNS1_11target_archE1030ELNS1_3gpuE2ELNS1_3repE0EEENS1_30default_config_static_selectorELNS0_4arch9wavefront6targetE0EEEvT1_ ; -- Begin function _ZN7rocprim17ROCPRIM_400000_NS6detail17trampoline_kernelINS0_14default_configENS1_25partition_config_selectorILNS1_17partition_subalgoE8ElNS0_10empty_typeEbEEZZNS1_14partition_implILS5_8ELb0ES3_jPlPS6_PKS6_NS0_5tupleIJS9_S6_EEENSD_IJSA_SA_EEENS0_18inequality_wrapperIZN2at6native12_GLOBAL__N_124unique_dim_cuda_templateIjEESt5tupleIJNSH_6TensorESM_SM_EERKSM_lbbbEUlllE0_EEPmJS6_EEE10hipError_tPvRmT3_T4_T5_T6_T7_T9_mT8_P12ihipStream_tbDpT10_ENKUlT_T0_E_clISt17integral_constantIbLb1EES1B_IbLb0EEEEDaS17_S18_EUlS17_E_NS1_11comp_targetILNS1_3genE8ELNS1_11target_archE1030ELNS1_3gpuE2ELNS1_3repE0EEENS1_30default_config_static_selectorELNS0_4arch9wavefront6targetE0EEEvT1_
	.p2align	8
	.type	_ZN7rocprim17ROCPRIM_400000_NS6detail17trampoline_kernelINS0_14default_configENS1_25partition_config_selectorILNS1_17partition_subalgoE8ElNS0_10empty_typeEbEEZZNS1_14partition_implILS5_8ELb0ES3_jPlPS6_PKS6_NS0_5tupleIJS9_S6_EEENSD_IJSA_SA_EEENS0_18inequality_wrapperIZN2at6native12_GLOBAL__N_124unique_dim_cuda_templateIjEESt5tupleIJNSH_6TensorESM_SM_EERKSM_lbbbEUlllE0_EEPmJS6_EEE10hipError_tPvRmT3_T4_T5_T6_T7_T9_mT8_P12ihipStream_tbDpT10_ENKUlT_T0_E_clISt17integral_constantIbLb1EES1B_IbLb0EEEEDaS17_S18_EUlS17_E_NS1_11comp_targetILNS1_3genE8ELNS1_11target_archE1030ELNS1_3gpuE2ELNS1_3repE0EEENS1_30default_config_static_selectorELNS0_4arch9wavefront6targetE0EEEvT1_,@function
_ZN7rocprim17ROCPRIM_400000_NS6detail17trampoline_kernelINS0_14default_configENS1_25partition_config_selectorILNS1_17partition_subalgoE8ElNS0_10empty_typeEbEEZZNS1_14partition_implILS5_8ELb0ES3_jPlPS6_PKS6_NS0_5tupleIJS9_S6_EEENSD_IJSA_SA_EEENS0_18inequality_wrapperIZN2at6native12_GLOBAL__N_124unique_dim_cuda_templateIjEESt5tupleIJNSH_6TensorESM_SM_EERKSM_lbbbEUlllE0_EEPmJS6_EEE10hipError_tPvRmT3_T4_T5_T6_T7_T9_mT8_P12ihipStream_tbDpT10_ENKUlT_T0_E_clISt17integral_constantIbLb1EES1B_IbLb0EEEEDaS17_S18_EUlS17_E_NS1_11comp_targetILNS1_3genE8ELNS1_11target_archE1030ELNS1_3gpuE2ELNS1_3repE0EEENS1_30default_config_static_selectorELNS0_4arch9wavefront6targetE0EEEvT1_: ; @_ZN7rocprim17ROCPRIM_400000_NS6detail17trampoline_kernelINS0_14default_configENS1_25partition_config_selectorILNS1_17partition_subalgoE8ElNS0_10empty_typeEbEEZZNS1_14partition_implILS5_8ELb0ES3_jPlPS6_PKS6_NS0_5tupleIJS9_S6_EEENSD_IJSA_SA_EEENS0_18inequality_wrapperIZN2at6native12_GLOBAL__N_124unique_dim_cuda_templateIjEESt5tupleIJNSH_6TensorESM_SM_EERKSM_lbbbEUlllE0_EEPmJS6_EEE10hipError_tPvRmT3_T4_T5_T6_T7_T9_mT8_P12ihipStream_tbDpT10_ENKUlT_T0_E_clISt17integral_constantIbLb1EES1B_IbLb0EEEEDaS17_S18_EUlS17_E_NS1_11comp_targetILNS1_3genE8ELNS1_11target_archE1030ELNS1_3gpuE2ELNS1_3repE0EEENS1_30default_config_static_selectorELNS0_4arch9wavefront6targetE0EEEvT1_
; %bb.0:
	.section	.rodata,"a",@progbits
	.p2align	6, 0x0
	.amdhsa_kernel _ZN7rocprim17ROCPRIM_400000_NS6detail17trampoline_kernelINS0_14default_configENS1_25partition_config_selectorILNS1_17partition_subalgoE8ElNS0_10empty_typeEbEEZZNS1_14partition_implILS5_8ELb0ES3_jPlPS6_PKS6_NS0_5tupleIJS9_S6_EEENSD_IJSA_SA_EEENS0_18inequality_wrapperIZN2at6native12_GLOBAL__N_124unique_dim_cuda_templateIjEESt5tupleIJNSH_6TensorESM_SM_EERKSM_lbbbEUlllE0_EEPmJS6_EEE10hipError_tPvRmT3_T4_T5_T6_T7_T9_mT8_P12ihipStream_tbDpT10_ENKUlT_T0_E_clISt17integral_constantIbLb1EES1B_IbLb0EEEEDaS17_S18_EUlS17_E_NS1_11comp_targetILNS1_3genE8ELNS1_11target_archE1030ELNS1_3gpuE2ELNS1_3repE0EEENS1_30default_config_static_selectorELNS0_4arch9wavefront6targetE0EEEvT1_
		.amdhsa_group_segment_fixed_size 0
		.amdhsa_private_segment_fixed_size 0
		.amdhsa_kernarg_size 120
		.amdhsa_user_sgpr_count 2
		.amdhsa_user_sgpr_dispatch_ptr 0
		.amdhsa_user_sgpr_queue_ptr 0
		.amdhsa_user_sgpr_kernarg_segment_ptr 1
		.amdhsa_user_sgpr_dispatch_id 0
		.amdhsa_user_sgpr_kernarg_preload_length 0
		.amdhsa_user_sgpr_kernarg_preload_offset 0
		.amdhsa_user_sgpr_private_segment_size 0
		.amdhsa_wavefront_size32 1
		.amdhsa_uses_dynamic_stack 0
		.amdhsa_enable_private_segment 0
		.amdhsa_system_sgpr_workgroup_id_x 1
		.amdhsa_system_sgpr_workgroup_id_y 0
		.amdhsa_system_sgpr_workgroup_id_z 0
		.amdhsa_system_sgpr_workgroup_info 0
		.amdhsa_system_vgpr_workitem_id 0
		.amdhsa_next_free_vgpr 1
		.amdhsa_next_free_sgpr 1
		.amdhsa_named_barrier_count 0
		.amdhsa_reserve_vcc 0
		.amdhsa_float_round_mode_32 0
		.amdhsa_float_round_mode_16_64 0
		.amdhsa_float_denorm_mode_32 3
		.amdhsa_float_denorm_mode_16_64 3
		.amdhsa_fp16_overflow 0
		.amdhsa_memory_ordered 1
		.amdhsa_forward_progress 1
		.amdhsa_inst_pref_size 0
		.amdhsa_round_robin_scheduling 0
		.amdhsa_exception_fp_ieee_invalid_op 0
		.amdhsa_exception_fp_denorm_src 0
		.amdhsa_exception_fp_ieee_div_zero 0
		.amdhsa_exception_fp_ieee_overflow 0
		.amdhsa_exception_fp_ieee_underflow 0
		.amdhsa_exception_fp_ieee_inexact 0
		.amdhsa_exception_int_div_zero 0
	.end_amdhsa_kernel
	.section	.text._ZN7rocprim17ROCPRIM_400000_NS6detail17trampoline_kernelINS0_14default_configENS1_25partition_config_selectorILNS1_17partition_subalgoE8ElNS0_10empty_typeEbEEZZNS1_14partition_implILS5_8ELb0ES3_jPlPS6_PKS6_NS0_5tupleIJS9_S6_EEENSD_IJSA_SA_EEENS0_18inequality_wrapperIZN2at6native12_GLOBAL__N_124unique_dim_cuda_templateIjEESt5tupleIJNSH_6TensorESM_SM_EERKSM_lbbbEUlllE0_EEPmJS6_EEE10hipError_tPvRmT3_T4_T5_T6_T7_T9_mT8_P12ihipStream_tbDpT10_ENKUlT_T0_E_clISt17integral_constantIbLb1EES1B_IbLb0EEEEDaS17_S18_EUlS17_E_NS1_11comp_targetILNS1_3genE8ELNS1_11target_archE1030ELNS1_3gpuE2ELNS1_3repE0EEENS1_30default_config_static_selectorELNS0_4arch9wavefront6targetE0EEEvT1_,"axG",@progbits,_ZN7rocprim17ROCPRIM_400000_NS6detail17trampoline_kernelINS0_14default_configENS1_25partition_config_selectorILNS1_17partition_subalgoE8ElNS0_10empty_typeEbEEZZNS1_14partition_implILS5_8ELb0ES3_jPlPS6_PKS6_NS0_5tupleIJS9_S6_EEENSD_IJSA_SA_EEENS0_18inequality_wrapperIZN2at6native12_GLOBAL__N_124unique_dim_cuda_templateIjEESt5tupleIJNSH_6TensorESM_SM_EERKSM_lbbbEUlllE0_EEPmJS6_EEE10hipError_tPvRmT3_T4_T5_T6_T7_T9_mT8_P12ihipStream_tbDpT10_ENKUlT_T0_E_clISt17integral_constantIbLb1EES1B_IbLb0EEEEDaS17_S18_EUlS17_E_NS1_11comp_targetILNS1_3genE8ELNS1_11target_archE1030ELNS1_3gpuE2ELNS1_3repE0EEENS1_30default_config_static_selectorELNS0_4arch9wavefront6targetE0EEEvT1_,comdat
.Lfunc_end1564:
	.size	_ZN7rocprim17ROCPRIM_400000_NS6detail17trampoline_kernelINS0_14default_configENS1_25partition_config_selectorILNS1_17partition_subalgoE8ElNS0_10empty_typeEbEEZZNS1_14partition_implILS5_8ELb0ES3_jPlPS6_PKS6_NS0_5tupleIJS9_S6_EEENSD_IJSA_SA_EEENS0_18inequality_wrapperIZN2at6native12_GLOBAL__N_124unique_dim_cuda_templateIjEESt5tupleIJNSH_6TensorESM_SM_EERKSM_lbbbEUlllE0_EEPmJS6_EEE10hipError_tPvRmT3_T4_T5_T6_T7_T9_mT8_P12ihipStream_tbDpT10_ENKUlT_T0_E_clISt17integral_constantIbLb1EES1B_IbLb0EEEEDaS17_S18_EUlS17_E_NS1_11comp_targetILNS1_3genE8ELNS1_11target_archE1030ELNS1_3gpuE2ELNS1_3repE0EEENS1_30default_config_static_selectorELNS0_4arch9wavefront6targetE0EEEvT1_, .Lfunc_end1564-_ZN7rocprim17ROCPRIM_400000_NS6detail17trampoline_kernelINS0_14default_configENS1_25partition_config_selectorILNS1_17partition_subalgoE8ElNS0_10empty_typeEbEEZZNS1_14partition_implILS5_8ELb0ES3_jPlPS6_PKS6_NS0_5tupleIJS9_S6_EEENSD_IJSA_SA_EEENS0_18inequality_wrapperIZN2at6native12_GLOBAL__N_124unique_dim_cuda_templateIjEESt5tupleIJNSH_6TensorESM_SM_EERKSM_lbbbEUlllE0_EEPmJS6_EEE10hipError_tPvRmT3_T4_T5_T6_T7_T9_mT8_P12ihipStream_tbDpT10_ENKUlT_T0_E_clISt17integral_constantIbLb1EES1B_IbLb0EEEEDaS17_S18_EUlS17_E_NS1_11comp_targetILNS1_3genE8ELNS1_11target_archE1030ELNS1_3gpuE2ELNS1_3repE0EEENS1_30default_config_static_selectorELNS0_4arch9wavefront6targetE0EEEvT1_
                                        ; -- End function
	.set _ZN7rocprim17ROCPRIM_400000_NS6detail17trampoline_kernelINS0_14default_configENS1_25partition_config_selectorILNS1_17partition_subalgoE8ElNS0_10empty_typeEbEEZZNS1_14partition_implILS5_8ELb0ES3_jPlPS6_PKS6_NS0_5tupleIJS9_S6_EEENSD_IJSA_SA_EEENS0_18inequality_wrapperIZN2at6native12_GLOBAL__N_124unique_dim_cuda_templateIjEESt5tupleIJNSH_6TensorESM_SM_EERKSM_lbbbEUlllE0_EEPmJS6_EEE10hipError_tPvRmT3_T4_T5_T6_T7_T9_mT8_P12ihipStream_tbDpT10_ENKUlT_T0_E_clISt17integral_constantIbLb1EES1B_IbLb0EEEEDaS17_S18_EUlS17_E_NS1_11comp_targetILNS1_3genE8ELNS1_11target_archE1030ELNS1_3gpuE2ELNS1_3repE0EEENS1_30default_config_static_selectorELNS0_4arch9wavefront6targetE0EEEvT1_.num_vgpr, 0
	.set _ZN7rocprim17ROCPRIM_400000_NS6detail17trampoline_kernelINS0_14default_configENS1_25partition_config_selectorILNS1_17partition_subalgoE8ElNS0_10empty_typeEbEEZZNS1_14partition_implILS5_8ELb0ES3_jPlPS6_PKS6_NS0_5tupleIJS9_S6_EEENSD_IJSA_SA_EEENS0_18inequality_wrapperIZN2at6native12_GLOBAL__N_124unique_dim_cuda_templateIjEESt5tupleIJNSH_6TensorESM_SM_EERKSM_lbbbEUlllE0_EEPmJS6_EEE10hipError_tPvRmT3_T4_T5_T6_T7_T9_mT8_P12ihipStream_tbDpT10_ENKUlT_T0_E_clISt17integral_constantIbLb1EES1B_IbLb0EEEEDaS17_S18_EUlS17_E_NS1_11comp_targetILNS1_3genE8ELNS1_11target_archE1030ELNS1_3gpuE2ELNS1_3repE0EEENS1_30default_config_static_selectorELNS0_4arch9wavefront6targetE0EEEvT1_.num_agpr, 0
	.set _ZN7rocprim17ROCPRIM_400000_NS6detail17trampoline_kernelINS0_14default_configENS1_25partition_config_selectorILNS1_17partition_subalgoE8ElNS0_10empty_typeEbEEZZNS1_14partition_implILS5_8ELb0ES3_jPlPS6_PKS6_NS0_5tupleIJS9_S6_EEENSD_IJSA_SA_EEENS0_18inequality_wrapperIZN2at6native12_GLOBAL__N_124unique_dim_cuda_templateIjEESt5tupleIJNSH_6TensorESM_SM_EERKSM_lbbbEUlllE0_EEPmJS6_EEE10hipError_tPvRmT3_T4_T5_T6_T7_T9_mT8_P12ihipStream_tbDpT10_ENKUlT_T0_E_clISt17integral_constantIbLb1EES1B_IbLb0EEEEDaS17_S18_EUlS17_E_NS1_11comp_targetILNS1_3genE8ELNS1_11target_archE1030ELNS1_3gpuE2ELNS1_3repE0EEENS1_30default_config_static_selectorELNS0_4arch9wavefront6targetE0EEEvT1_.numbered_sgpr, 0
	.set _ZN7rocprim17ROCPRIM_400000_NS6detail17trampoline_kernelINS0_14default_configENS1_25partition_config_selectorILNS1_17partition_subalgoE8ElNS0_10empty_typeEbEEZZNS1_14partition_implILS5_8ELb0ES3_jPlPS6_PKS6_NS0_5tupleIJS9_S6_EEENSD_IJSA_SA_EEENS0_18inequality_wrapperIZN2at6native12_GLOBAL__N_124unique_dim_cuda_templateIjEESt5tupleIJNSH_6TensorESM_SM_EERKSM_lbbbEUlllE0_EEPmJS6_EEE10hipError_tPvRmT3_T4_T5_T6_T7_T9_mT8_P12ihipStream_tbDpT10_ENKUlT_T0_E_clISt17integral_constantIbLb1EES1B_IbLb0EEEEDaS17_S18_EUlS17_E_NS1_11comp_targetILNS1_3genE8ELNS1_11target_archE1030ELNS1_3gpuE2ELNS1_3repE0EEENS1_30default_config_static_selectorELNS0_4arch9wavefront6targetE0EEEvT1_.num_named_barrier, 0
	.set _ZN7rocprim17ROCPRIM_400000_NS6detail17trampoline_kernelINS0_14default_configENS1_25partition_config_selectorILNS1_17partition_subalgoE8ElNS0_10empty_typeEbEEZZNS1_14partition_implILS5_8ELb0ES3_jPlPS6_PKS6_NS0_5tupleIJS9_S6_EEENSD_IJSA_SA_EEENS0_18inequality_wrapperIZN2at6native12_GLOBAL__N_124unique_dim_cuda_templateIjEESt5tupleIJNSH_6TensorESM_SM_EERKSM_lbbbEUlllE0_EEPmJS6_EEE10hipError_tPvRmT3_T4_T5_T6_T7_T9_mT8_P12ihipStream_tbDpT10_ENKUlT_T0_E_clISt17integral_constantIbLb1EES1B_IbLb0EEEEDaS17_S18_EUlS17_E_NS1_11comp_targetILNS1_3genE8ELNS1_11target_archE1030ELNS1_3gpuE2ELNS1_3repE0EEENS1_30default_config_static_selectorELNS0_4arch9wavefront6targetE0EEEvT1_.private_seg_size, 0
	.set _ZN7rocprim17ROCPRIM_400000_NS6detail17trampoline_kernelINS0_14default_configENS1_25partition_config_selectorILNS1_17partition_subalgoE8ElNS0_10empty_typeEbEEZZNS1_14partition_implILS5_8ELb0ES3_jPlPS6_PKS6_NS0_5tupleIJS9_S6_EEENSD_IJSA_SA_EEENS0_18inequality_wrapperIZN2at6native12_GLOBAL__N_124unique_dim_cuda_templateIjEESt5tupleIJNSH_6TensorESM_SM_EERKSM_lbbbEUlllE0_EEPmJS6_EEE10hipError_tPvRmT3_T4_T5_T6_T7_T9_mT8_P12ihipStream_tbDpT10_ENKUlT_T0_E_clISt17integral_constantIbLb1EES1B_IbLb0EEEEDaS17_S18_EUlS17_E_NS1_11comp_targetILNS1_3genE8ELNS1_11target_archE1030ELNS1_3gpuE2ELNS1_3repE0EEENS1_30default_config_static_selectorELNS0_4arch9wavefront6targetE0EEEvT1_.uses_vcc, 0
	.set _ZN7rocprim17ROCPRIM_400000_NS6detail17trampoline_kernelINS0_14default_configENS1_25partition_config_selectorILNS1_17partition_subalgoE8ElNS0_10empty_typeEbEEZZNS1_14partition_implILS5_8ELb0ES3_jPlPS6_PKS6_NS0_5tupleIJS9_S6_EEENSD_IJSA_SA_EEENS0_18inequality_wrapperIZN2at6native12_GLOBAL__N_124unique_dim_cuda_templateIjEESt5tupleIJNSH_6TensorESM_SM_EERKSM_lbbbEUlllE0_EEPmJS6_EEE10hipError_tPvRmT3_T4_T5_T6_T7_T9_mT8_P12ihipStream_tbDpT10_ENKUlT_T0_E_clISt17integral_constantIbLb1EES1B_IbLb0EEEEDaS17_S18_EUlS17_E_NS1_11comp_targetILNS1_3genE8ELNS1_11target_archE1030ELNS1_3gpuE2ELNS1_3repE0EEENS1_30default_config_static_selectorELNS0_4arch9wavefront6targetE0EEEvT1_.uses_flat_scratch, 0
	.set _ZN7rocprim17ROCPRIM_400000_NS6detail17trampoline_kernelINS0_14default_configENS1_25partition_config_selectorILNS1_17partition_subalgoE8ElNS0_10empty_typeEbEEZZNS1_14partition_implILS5_8ELb0ES3_jPlPS6_PKS6_NS0_5tupleIJS9_S6_EEENSD_IJSA_SA_EEENS0_18inequality_wrapperIZN2at6native12_GLOBAL__N_124unique_dim_cuda_templateIjEESt5tupleIJNSH_6TensorESM_SM_EERKSM_lbbbEUlllE0_EEPmJS6_EEE10hipError_tPvRmT3_T4_T5_T6_T7_T9_mT8_P12ihipStream_tbDpT10_ENKUlT_T0_E_clISt17integral_constantIbLb1EES1B_IbLb0EEEEDaS17_S18_EUlS17_E_NS1_11comp_targetILNS1_3genE8ELNS1_11target_archE1030ELNS1_3gpuE2ELNS1_3repE0EEENS1_30default_config_static_selectorELNS0_4arch9wavefront6targetE0EEEvT1_.has_dyn_sized_stack, 0
	.set _ZN7rocprim17ROCPRIM_400000_NS6detail17trampoline_kernelINS0_14default_configENS1_25partition_config_selectorILNS1_17partition_subalgoE8ElNS0_10empty_typeEbEEZZNS1_14partition_implILS5_8ELb0ES3_jPlPS6_PKS6_NS0_5tupleIJS9_S6_EEENSD_IJSA_SA_EEENS0_18inequality_wrapperIZN2at6native12_GLOBAL__N_124unique_dim_cuda_templateIjEESt5tupleIJNSH_6TensorESM_SM_EERKSM_lbbbEUlllE0_EEPmJS6_EEE10hipError_tPvRmT3_T4_T5_T6_T7_T9_mT8_P12ihipStream_tbDpT10_ENKUlT_T0_E_clISt17integral_constantIbLb1EES1B_IbLb0EEEEDaS17_S18_EUlS17_E_NS1_11comp_targetILNS1_3genE8ELNS1_11target_archE1030ELNS1_3gpuE2ELNS1_3repE0EEENS1_30default_config_static_selectorELNS0_4arch9wavefront6targetE0EEEvT1_.has_recursion, 0
	.set _ZN7rocprim17ROCPRIM_400000_NS6detail17trampoline_kernelINS0_14default_configENS1_25partition_config_selectorILNS1_17partition_subalgoE8ElNS0_10empty_typeEbEEZZNS1_14partition_implILS5_8ELb0ES3_jPlPS6_PKS6_NS0_5tupleIJS9_S6_EEENSD_IJSA_SA_EEENS0_18inequality_wrapperIZN2at6native12_GLOBAL__N_124unique_dim_cuda_templateIjEESt5tupleIJNSH_6TensorESM_SM_EERKSM_lbbbEUlllE0_EEPmJS6_EEE10hipError_tPvRmT3_T4_T5_T6_T7_T9_mT8_P12ihipStream_tbDpT10_ENKUlT_T0_E_clISt17integral_constantIbLb1EES1B_IbLb0EEEEDaS17_S18_EUlS17_E_NS1_11comp_targetILNS1_3genE8ELNS1_11target_archE1030ELNS1_3gpuE2ELNS1_3repE0EEENS1_30default_config_static_selectorELNS0_4arch9wavefront6targetE0EEEvT1_.has_indirect_call, 0
	.section	.AMDGPU.csdata,"",@progbits
; Kernel info:
; codeLenInByte = 0
; TotalNumSgprs: 0
; NumVgprs: 0
; ScratchSize: 0
; MemoryBound: 0
; FloatMode: 240
; IeeeMode: 1
; LDSByteSize: 0 bytes/workgroup (compile time only)
; SGPRBlocks: 0
; VGPRBlocks: 0
; NumSGPRsForWavesPerEU: 1
; NumVGPRsForWavesPerEU: 1
; NamedBarCnt: 0
; Occupancy: 16
; WaveLimiterHint : 0
; COMPUTE_PGM_RSRC2:SCRATCH_EN: 0
; COMPUTE_PGM_RSRC2:USER_SGPR: 2
; COMPUTE_PGM_RSRC2:TRAP_HANDLER: 0
; COMPUTE_PGM_RSRC2:TGID_X_EN: 1
; COMPUTE_PGM_RSRC2:TGID_Y_EN: 0
; COMPUTE_PGM_RSRC2:TGID_Z_EN: 0
; COMPUTE_PGM_RSRC2:TIDIG_COMP_CNT: 0
	.section	.text._ZN7rocprim17ROCPRIM_400000_NS6detail17trampoline_kernelINS0_14default_configENS1_25partition_config_selectorILNS1_17partition_subalgoE8ElNS0_10empty_typeEbEEZZNS1_14partition_implILS5_8ELb0ES3_jPlPS6_PKS6_NS0_5tupleIJS9_S6_EEENSD_IJSA_SA_EEENS0_18inequality_wrapperIZN2at6native12_GLOBAL__N_124unique_dim_cuda_templateIjEESt5tupleIJNSH_6TensorESM_SM_EERKSM_lbbbEUlllE0_EEPmJS6_EEE10hipError_tPvRmT3_T4_T5_T6_T7_T9_mT8_P12ihipStream_tbDpT10_ENKUlT_T0_E_clISt17integral_constantIbLb0EES1B_IbLb1EEEEDaS17_S18_EUlS17_E_NS1_11comp_targetILNS1_3genE0ELNS1_11target_archE4294967295ELNS1_3gpuE0ELNS1_3repE0EEENS1_30default_config_static_selectorELNS0_4arch9wavefront6targetE0EEEvT1_,"axG",@progbits,_ZN7rocprim17ROCPRIM_400000_NS6detail17trampoline_kernelINS0_14default_configENS1_25partition_config_selectorILNS1_17partition_subalgoE8ElNS0_10empty_typeEbEEZZNS1_14partition_implILS5_8ELb0ES3_jPlPS6_PKS6_NS0_5tupleIJS9_S6_EEENSD_IJSA_SA_EEENS0_18inequality_wrapperIZN2at6native12_GLOBAL__N_124unique_dim_cuda_templateIjEESt5tupleIJNSH_6TensorESM_SM_EERKSM_lbbbEUlllE0_EEPmJS6_EEE10hipError_tPvRmT3_T4_T5_T6_T7_T9_mT8_P12ihipStream_tbDpT10_ENKUlT_T0_E_clISt17integral_constantIbLb0EES1B_IbLb1EEEEDaS17_S18_EUlS17_E_NS1_11comp_targetILNS1_3genE0ELNS1_11target_archE4294967295ELNS1_3gpuE0ELNS1_3repE0EEENS1_30default_config_static_selectorELNS0_4arch9wavefront6targetE0EEEvT1_,comdat
	.globl	_ZN7rocprim17ROCPRIM_400000_NS6detail17trampoline_kernelINS0_14default_configENS1_25partition_config_selectorILNS1_17partition_subalgoE8ElNS0_10empty_typeEbEEZZNS1_14partition_implILS5_8ELb0ES3_jPlPS6_PKS6_NS0_5tupleIJS9_S6_EEENSD_IJSA_SA_EEENS0_18inequality_wrapperIZN2at6native12_GLOBAL__N_124unique_dim_cuda_templateIjEESt5tupleIJNSH_6TensorESM_SM_EERKSM_lbbbEUlllE0_EEPmJS6_EEE10hipError_tPvRmT3_T4_T5_T6_T7_T9_mT8_P12ihipStream_tbDpT10_ENKUlT_T0_E_clISt17integral_constantIbLb0EES1B_IbLb1EEEEDaS17_S18_EUlS17_E_NS1_11comp_targetILNS1_3genE0ELNS1_11target_archE4294967295ELNS1_3gpuE0ELNS1_3repE0EEENS1_30default_config_static_selectorELNS0_4arch9wavefront6targetE0EEEvT1_ ; -- Begin function _ZN7rocprim17ROCPRIM_400000_NS6detail17trampoline_kernelINS0_14default_configENS1_25partition_config_selectorILNS1_17partition_subalgoE8ElNS0_10empty_typeEbEEZZNS1_14partition_implILS5_8ELb0ES3_jPlPS6_PKS6_NS0_5tupleIJS9_S6_EEENSD_IJSA_SA_EEENS0_18inequality_wrapperIZN2at6native12_GLOBAL__N_124unique_dim_cuda_templateIjEESt5tupleIJNSH_6TensorESM_SM_EERKSM_lbbbEUlllE0_EEPmJS6_EEE10hipError_tPvRmT3_T4_T5_T6_T7_T9_mT8_P12ihipStream_tbDpT10_ENKUlT_T0_E_clISt17integral_constantIbLb0EES1B_IbLb1EEEEDaS17_S18_EUlS17_E_NS1_11comp_targetILNS1_3genE0ELNS1_11target_archE4294967295ELNS1_3gpuE0ELNS1_3repE0EEENS1_30default_config_static_selectorELNS0_4arch9wavefront6targetE0EEEvT1_
	.p2align	8
	.type	_ZN7rocprim17ROCPRIM_400000_NS6detail17trampoline_kernelINS0_14default_configENS1_25partition_config_selectorILNS1_17partition_subalgoE8ElNS0_10empty_typeEbEEZZNS1_14partition_implILS5_8ELb0ES3_jPlPS6_PKS6_NS0_5tupleIJS9_S6_EEENSD_IJSA_SA_EEENS0_18inequality_wrapperIZN2at6native12_GLOBAL__N_124unique_dim_cuda_templateIjEESt5tupleIJNSH_6TensorESM_SM_EERKSM_lbbbEUlllE0_EEPmJS6_EEE10hipError_tPvRmT3_T4_T5_T6_T7_T9_mT8_P12ihipStream_tbDpT10_ENKUlT_T0_E_clISt17integral_constantIbLb0EES1B_IbLb1EEEEDaS17_S18_EUlS17_E_NS1_11comp_targetILNS1_3genE0ELNS1_11target_archE4294967295ELNS1_3gpuE0ELNS1_3repE0EEENS1_30default_config_static_selectorELNS0_4arch9wavefront6targetE0EEEvT1_,@function
_ZN7rocprim17ROCPRIM_400000_NS6detail17trampoline_kernelINS0_14default_configENS1_25partition_config_selectorILNS1_17partition_subalgoE8ElNS0_10empty_typeEbEEZZNS1_14partition_implILS5_8ELb0ES3_jPlPS6_PKS6_NS0_5tupleIJS9_S6_EEENSD_IJSA_SA_EEENS0_18inequality_wrapperIZN2at6native12_GLOBAL__N_124unique_dim_cuda_templateIjEESt5tupleIJNSH_6TensorESM_SM_EERKSM_lbbbEUlllE0_EEPmJS6_EEE10hipError_tPvRmT3_T4_T5_T6_T7_T9_mT8_P12ihipStream_tbDpT10_ENKUlT_T0_E_clISt17integral_constantIbLb0EES1B_IbLb1EEEEDaS17_S18_EUlS17_E_NS1_11comp_targetILNS1_3genE0ELNS1_11target_archE4294967295ELNS1_3gpuE0ELNS1_3repE0EEENS1_30default_config_static_selectorELNS0_4arch9wavefront6targetE0EEEvT1_: ; @_ZN7rocprim17ROCPRIM_400000_NS6detail17trampoline_kernelINS0_14default_configENS1_25partition_config_selectorILNS1_17partition_subalgoE8ElNS0_10empty_typeEbEEZZNS1_14partition_implILS5_8ELb0ES3_jPlPS6_PKS6_NS0_5tupleIJS9_S6_EEENSD_IJSA_SA_EEENS0_18inequality_wrapperIZN2at6native12_GLOBAL__N_124unique_dim_cuda_templateIjEESt5tupleIJNSH_6TensorESM_SM_EERKSM_lbbbEUlllE0_EEPmJS6_EEE10hipError_tPvRmT3_T4_T5_T6_T7_T9_mT8_P12ihipStream_tbDpT10_ENKUlT_T0_E_clISt17integral_constantIbLb0EES1B_IbLb1EEEEDaS17_S18_EUlS17_E_NS1_11comp_targetILNS1_3genE0ELNS1_11target_archE4294967295ELNS1_3gpuE0ELNS1_3repE0EEENS1_30default_config_static_selectorELNS0_4arch9wavefront6targetE0EEEvT1_
; %bb.0:
	s_clause 0x1
	s_load_b256 s[12:19], s[0:1], 0x40
	s_load_b128 s[8:11], s[0:1], 0x60
	v_cmp_ne_u32_e64 s3, 0, v0
	v_cmp_eq_u32_e64 s2, 0, v0
	s_and_saveexec_b32 s4, s2
	s_cbranch_execz .LBB1565_4
; %bb.1:
	s_mov_b32 s6, exec_lo
	s_mov_b32 s5, exec_lo
	v_mbcnt_lo_u32_b32 v1, s6, 0
                                        ; implicit-def: $vgpr2
	s_delay_alu instid0(VALU_DEP_1)
	v_cmpx_eq_u32_e32 0, v1
	s_cbranch_execz .LBB1565_3
; %bb.2:
	s_load_b64 s[20:21], s[0:1], 0x78
	s_bcnt1_i32_b32 s6, s6
	s_delay_alu instid0(SALU_CYCLE_1)
	v_dual_mov_b32 v2, 0 :: v_dual_mov_b32 v3, s6
	s_wait_xcnt 0x0
	s_wait_kmcnt 0x0
	global_atomic_add_u32 v2, v2, v3, s[20:21] th:TH_ATOMIC_RETURN scope:SCOPE_DEV
.LBB1565_3:
	s_wait_xcnt 0x0
	s_or_b32 exec_lo, exec_lo, s5
	s_wait_loadcnt 0x0
	v_readfirstlane_b32 s5, v2
	s_delay_alu instid0(VALU_DEP_1)
	v_dual_mov_b32 v2, 0 :: v_dual_add_nc_u32 v1, s5, v1
	ds_store_b32 v2, v1
.LBB1565_4:
	s_or_b32 exec_lo, exec_lo, s4
	v_dual_mov_b32 v3, 0 :: v_dual_lshlrev_b32 v18, 3, v0
	s_clause 0x2
	s_load_b128 s[4:7], s[0:1], 0x8
	s_load_b64 s[20:21], s[0:1], 0x28
	s_load_b32 s22, s[0:1], 0x70
	s_wait_dscnt 0x0
	s_barrier_signal -1
	s_barrier_wait -1
	ds_load_b32 v1, v3
	s_wait_dscnt 0x0
	s_barrier_signal -1
	s_barrier_wait -1
	s_wait_kmcnt 0x0
	global_load_b64 v[4:5], v3, s[14:15]
	s_wait_xcnt 0x0
	s_mov_b32 s15, 0
	s_lshl_b64 s[0:1], s[6:7], 3
	s_mul_i32 s14, s22, 0xe00
	s_add_co_i32 s26, s22, -1
	s_add_nc_u64 s[24:25], s[6:7], s[14:15]
	s_add_co_i32 s14, s14, s6
	v_cmp_le_u64_e64 s15, s[16:17], s[24:25]
	v_mul_lo_u32 v2, 0xe00, v1
	v_readfirstlane_b32 s22, v1
	s_sub_co_i32 s23, s16, s14
	s_add_nc_u64 s[0:1], s[4:5], s[0:1]
	s_cmp_eq_u32 s22, s26
	s_cselect_b32 s16, -1, 0
	s_delay_alu instid0(SALU_CYCLE_1) | instskip(SKIP_2) | instid1(SALU_CYCLE_1)
	s_and_b32 s24, s15, s16
	v_lshlrev_b64_e32 v[2:3], 3, v[2:3]
	s_xor_b32 s17, s24, -1
	s_and_b32 vcc_lo, exec_lo, s17
	s_delay_alu instid0(VALU_DEP_1)
	v_add_nc_u64_e32 v[20:21], s[0:1], v[2:3]
	s_mov_b32 s0, -1
	s_wait_loadcnt 0x0
	v_readfirstlane_b32 s14, v4
	v_readfirstlane_b32 s15, v5
	s_cbranch_vccz .LBB1565_6
; %bb.5:
	v_readfirstlane_b32 s0, v20
	v_readfirstlane_b32 s1, v21
	v_lshlrev_b32_e32 v1, 3, v0
	s_clause 0x6
	global_load_b64 v[2:3], v0, s[0:1] scale_offset
	global_load_b64 v[4:5], v0, s[0:1] offset:4096 scale_offset
	global_load_b64 v[6:7], v0, s[0:1] offset:8192 scale_offset
	;; [unrolled: 1-line block ×6, first 2 shown]
	s_wait_xcnt 0x0
	s_mov_b32 s0, 0
	s_wait_loadcnt 0x5
	ds_store_2addr_stride64_b64 v1, v[2:3], v[4:5] offset1:8
	s_wait_loadcnt 0x3
	ds_store_2addr_stride64_b64 v1, v[6:7], v[8:9] offset0:16 offset1:24
	s_wait_loadcnt 0x1
	ds_store_2addr_stride64_b64 v1, v[10:11], v[12:13] offset0:32 offset1:40
	s_wait_loadcnt 0x0
	ds_store_b64 v1, v[14:15] offset:24576
	s_wait_dscnt 0x0
	s_barrier_signal -1
	s_barrier_wait -1
.LBB1565_6:
	s_and_not1_b32 vcc_lo, exec_lo, s0
	s_addk_co_i32 s23, 0xe00
	s_cbranch_vccnz .LBB1565_22
; %bb.7:
	v_mov_b32_e32 v2, 0
	s_mov_b32 s0, exec_lo
	s_delay_alu instid0(VALU_DEP_1)
	v_dual_mov_b32 v3, v2 :: v_dual_mov_b32 v4, v2
	v_dual_mov_b32 v5, v2 :: v_dual_mov_b32 v6, v2
	v_dual_mov_b32 v7, v2 :: v_dual_mov_b32 v8, v2
	v_dual_mov_b32 v9, v2 :: v_dual_mov_b32 v10, v2
	v_dual_mov_b32 v11, v2 :: v_dual_mov_b32 v12, v2
	v_dual_mov_b32 v13, v2 :: v_dual_mov_b32 v14, v2
	v_mov_b32_e32 v15, v2
	v_cmpx_gt_u32_e64 s23, v0
	s_cbranch_execz .LBB1565_9
; %bb.8:
	v_readfirstlane_b32 s4, v20
	v_readfirstlane_b32 s5, v21
	v_dual_mov_b32 v6, v2 :: v_dual_mov_b32 v7, v2
	v_dual_mov_b32 v8, v2 :: v_dual_mov_b32 v9, v2
	global_load_b64 v[4:5], v0, s[4:5] scale_offset
	v_dual_mov_b32 v10, v2 :: v_dual_mov_b32 v11, v2
	v_dual_mov_b32 v12, v2 :: v_dual_mov_b32 v13, v2
	;; [unrolled: 1-line block ×4, first 2 shown]
	s_wait_loadcnt 0x0
	v_mov_b64_e32 v[2:3], v[4:5]
	v_mov_b64_e32 v[4:5], v[6:7]
	;; [unrolled: 1-line block ×8, first 2 shown]
.LBB1565_9:
	s_or_b32 exec_lo, exec_lo, s0
	v_or_b32_e32 v1, 0x200, v0
	s_mov_b32 s0, exec_lo
	s_delay_alu instid0(VALU_DEP_1)
	v_cmpx_gt_u32_e64 s23, v1
	s_cbranch_execz .LBB1565_11
; %bb.10:
	v_readfirstlane_b32 s4, v20
	v_readfirstlane_b32 s5, v21
	global_load_b64 v[4:5], v0, s[4:5] offset:4096 scale_offset
.LBB1565_11:
	s_wait_xcnt 0x0
	s_or_b32 exec_lo, exec_lo, s0
	v_or_b32_e32 v1, 0x400, v0
	s_mov_b32 s0, exec_lo
	s_delay_alu instid0(VALU_DEP_1)
	v_cmpx_gt_u32_e64 s23, v1
	s_cbranch_execz .LBB1565_13
; %bb.12:
	v_readfirstlane_b32 s4, v20
	v_readfirstlane_b32 s5, v21
	global_load_b64 v[6:7], v0, s[4:5] offset:8192 scale_offset
.LBB1565_13:
	s_wait_xcnt 0x0
	;; [unrolled: 12-line block ×6, first 2 shown]
	s_or_b32 exec_lo, exec_lo, s0
	v_lshlrev_b32_e32 v1, 3, v0
	s_wait_loadcnt 0x0
	ds_store_2addr_stride64_b64 v1, v[2:3], v[4:5] offset1:8
	ds_store_2addr_stride64_b64 v1, v[6:7], v[8:9] offset0:16 offset1:24
	ds_store_2addr_stride64_b64 v1, v[10:11], v[12:13] offset0:32 offset1:40
	ds_store_b64 v1, v[14:15] offset:24576
	s_wait_dscnt 0x0
	s_barrier_signal -1
	s_barrier_wait -1
.LBB1565_22:
	v_mul_u32_u24_e32 v1, 7, v0
	s_cmp_lg_u32 s22, 0
	s_cselect_b32 s25, -1, 0
	s_delay_alu instid0(VALU_DEP_1)
	v_lshlrev_b32_e32 v26, 3, v1
	s_cmp_lg_u64 s[6:7], 0
	v_cmp_gt_i64_e64 s7, s[18:19], 0
	s_cselect_b32 s0, -1, 0
	s_mov_b32 s6, 0
	ds_load_2addr_b64 v[10:13], v26 offset1:1
	ds_load_2addr_b64 v[6:9], v26 offset0:2 offset1:3
	ds_load_2addr_b64 v[2:5], v26 offset0:4 offset1:5
	ds_load_b64 v[14:15], v26 offset:48
	s_or_b32 s0, s0, s25
	s_wait_dscnt 0x0
	s_and_b32 vcc_lo, exec_lo, s0
	s_barrier_signal -1
	s_barrier_wait -1
	s_cbranch_vccz .LBB1565_38
; %bb.23:
	global_load_b64 v[20:21], v[20:21], off offset:-8
	v_cndmask_b32_e64 v27, 0, 1, s7
	v_lshlrev_b32_e32 v28, 3, v0
	s_and_b32 vcc_lo, exec_lo, s17
	s_delay_alu instid0(VALU_DEP_2)
	v_cmp_ne_u32_e64 s0, 1, v27
	ds_store_b64 v28, v[14:15]
	s_cbranch_vccz .LBB1565_40
; %bb.24:
	s_and_b32 vcc_lo, exec_lo, s0
	s_cbranch_vccnz .LBB1565_41
; %bb.25:
	v_mul_u64_e32 v[16:17], s[18:19], v[4:5]
	v_mul_u64_e32 v[22:23], s[18:19], v[14:15]
	s_add_nc_u64 s[4:5], s[18:19], -1
	s_mov_b32 s26, 0
	s_mov_b64 s[0:1], s[4:5]
                                        ; implicit-def: $sgpr6
	s_delay_alu instid0(VALU_DEP_2) | instskip(NEXT) | instid1(VALU_DEP_2)
	v_lshl_add_u64 v[16:17], v[16:17], 2, s[8:9]
	v_lshl_add_u64 v[22:23], v[22:23], 2, s[8:9]
	s_delay_alu instid0(VALU_DEP_2)
	v_mov_b64_e32 v[24:25], v[16:17]
.LBB1565_26:                            ; =>This Inner Loop Header: Depth=1
	global_load_b32 v19, v[24:25], off
	global_load_b32 v29, v[22:23], off
	s_cmp_eq_u64 s[0:1], 0
	s_add_nc_u64 s[28:29], s[0:1], -1
	s_cselect_b32 s1, -1, 0
	s_wait_xcnt 0x1
	v_add_nc_u64_e32 v[24:25], 4, v[24:25]
	s_wait_xcnt 0x0
	v_add_nc_u64_e32 v[22:23], 4, v[22:23]
	s_wait_loadcnt 0x0
	v_cmp_ne_u32_e32 vcc_lo, v19, v29
	v_cmp_eq_u32_e64 s0, v19, v29
	s_or_b32 s1, vcc_lo, s1
	s_delay_alu instid0(SALU_CYCLE_1) | instskip(NEXT) | instid1(SALU_CYCLE_1)
	s_and_b32 s1, exec_lo, s1
	s_or_b32 s26, s1, s26
	s_and_not1_b32 s6, s6, exec_lo
	s_and_b32 s27, s0, exec_lo
	s_mov_b64 s[0:1], s[28:29]
	s_or_b32 s6, s6, s27
	s_and_not1_b32 exec_lo, exec_lo, s26
	s_cbranch_execnz .LBB1565_26
; %bb.27:
	s_or_b32 exec_lo, exec_lo, s26
	v_mul_u64_e32 v[22:23], s[18:19], v[2:3]
	s_mov_b32 s27, 0
	s_mov_b64 s[0:1], s[4:5]
                                        ; implicit-def: $sgpr26
	s_delay_alu instid0(VALU_DEP_1) | instskip(NEXT) | instid1(VALU_DEP_1)
	v_lshl_add_u64 v[22:23], v[22:23], 2, s[8:9]
	v_mov_b64_e32 v[24:25], v[22:23]
.LBB1565_28:                            ; =>This Inner Loop Header: Depth=1
	global_load_b32 v19, v[24:25], off
	global_load_b32 v29, v[16:17], off
	s_cmp_eq_u64 s[0:1], 0
	s_add_nc_u64 s[28:29], s[0:1], -1
	s_cselect_b32 s1, -1, 0
	s_wait_xcnt 0x1
	v_add_nc_u64_e32 v[24:25], 4, v[24:25]
	s_wait_xcnt 0x0
	v_add_nc_u64_e32 v[16:17], 4, v[16:17]
	s_wait_loadcnt 0x0
	v_cmp_ne_u32_e32 vcc_lo, v19, v29
	v_cmp_eq_u32_e64 s0, v19, v29
	s_or_b32 s1, vcc_lo, s1
	s_delay_alu instid0(SALU_CYCLE_1) | instskip(NEXT) | instid1(SALU_CYCLE_1)
	s_and_b32 s1, exec_lo, s1
	s_or_b32 s27, s1, s27
	s_and_not1_b32 s26, s26, exec_lo
	s_and_b32 s30, s0, exec_lo
	s_mov_b64 s[0:1], s[28:29]
	s_or_b32 s26, s26, s30
	s_and_not1_b32 exec_lo, exec_lo, s27
	s_cbranch_execnz .LBB1565_28
; %bb.29:
	s_or_b32 exec_lo, exec_lo, s27
	v_mul_u64_e32 v[16:17], s[18:19], v[8:9]
	s_mov_b32 s28, 0
	s_mov_b64 s[0:1], s[4:5]
                                        ; implicit-def: $sgpr27
	s_delay_alu instid0(VALU_DEP_1) | instskip(NEXT) | instid1(VALU_DEP_1)
	v_lshl_add_u64 v[16:17], v[16:17], 2, s[8:9]
	v_mov_b64_e32 v[24:25], v[16:17]
.LBB1565_30:                            ; =>This Inner Loop Header: Depth=1
	global_load_b32 v19, v[24:25], off
	global_load_b32 v29, v[22:23], off
	s_cmp_eq_u64 s[0:1], 0
	s_add_nc_u64 s[30:31], s[0:1], -1
	s_cselect_b32 s1, -1, 0
	s_wait_xcnt 0x1
	v_add_nc_u64_e32 v[24:25], 4, v[24:25]
	s_wait_xcnt 0x0
	v_add_nc_u64_e32 v[22:23], 4, v[22:23]
	s_wait_loadcnt 0x0
	v_cmp_ne_u32_e32 vcc_lo, v19, v29
	v_cmp_eq_u32_e64 s0, v19, v29
	s_or_b32 s1, vcc_lo, s1
	s_delay_alu instid0(SALU_CYCLE_1) | instskip(NEXT) | instid1(SALU_CYCLE_1)
	s_and_b32 s1, exec_lo, s1
	s_or_b32 s28, s1, s28
	s_and_not1_b32 s27, s27, exec_lo
	s_and_b32 s29, s0, exec_lo
	s_mov_b64 s[0:1], s[30:31]
	s_or_b32 s27, s27, s29
	s_and_not1_b32 exec_lo, exec_lo, s28
	s_cbranch_execnz .LBB1565_30
; %bb.31:
	s_or_b32 exec_lo, exec_lo, s28
	v_mul_u64_e32 v[22:23], s[18:19], v[6:7]
	s_mov_b32 s29, 0
	s_mov_b64 s[0:1], s[4:5]
                                        ; implicit-def: $sgpr28
	s_delay_alu instid0(VALU_DEP_1) | instskip(NEXT) | instid1(VALU_DEP_1)
	v_lshl_add_u64 v[22:23], v[22:23], 2, s[8:9]
	v_mov_b64_e32 v[24:25], v[22:23]
.LBB1565_32:                            ; =>This Inner Loop Header: Depth=1
	global_load_b32 v19, v[24:25], off
	global_load_b32 v29, v[16:17], off
	s_cmp_eq_u64 s[0:1], 0
	s_add_nc_u64 s[30:31], s[0:1], -1
	s_cselect_b32 s1, -1, 0
	s_wait_xcnt 0x1
	v_add_nc_u64_e32 v[24:25], 4, v[24:25]
	s_wait_xcnt 0x0
	v_add_nc_u64_e32 v[16:17], 4, v[16:17]
	s_wait_loadcnt 0x0
	v_cmp_ne_u32_e32 vcc_lo, v19, v29
	v_cmp_eq_u32_e64 s0, v19, v29
	s_or_b32 s1, vcc_lo, s1
	s_delay_alu instid0(SALU_CYCLE_1) | instskip(NEXT) | instid1(SALU_CYCLE_1)
	s_and_b32 s1, exec_lo, s1
	s_or_b32 s29, s1, s29
	s_and_not1_b32 s28, s28, exec_lo
	s_and_b32 s33, s0, exec_lo
	s_mov_b64 s[0:1], s[30:31]
	s_or_b32 s28, s28, s33
	s_and_not1_b32 exec_lo, exec_lo, s29
	s_cbranch_execnz .LBB1565_32
; %bb.33:
	s_or_b32 exec_lo, exec_lo, s29
	v_mul_u64_e32 v[16:17], s[18:19], v[12:13]
	s_mov_b32 s30, 0
	s_mov_b64 s[0:1], s[4:5]
                                        ; implicit-def: $sgpr29
	s_delay_alu instid0(VALU_DEP_1) | instskip(NEXT) | instid1(VALU_DEP_1)
	v_lshl_add_u64 v[16:17], v[16:17], 2, s[8:9]
	v_mov_b64_e32 v[24:25], v[16:17]
.LBB1565_34:                            ; =>This Inner Loop Header: Depth=1
	global_load_b32 v19, v[24:25], off
	global_load_b32 v29, v[22:23], off
	s_cmp_eq_u64 s[0:1], 0
	s_add_nc_u64 s[34:35], s[0:1], -1
	s_cselect_b32 s1, -1, 0
	s_wait_xcnt 0x1
	v_add_nc_u64_e32 v[24:25], 4, v[24:25]
	s_wait_xcnt 0x0
	v_add_nc_u64_e32 v[22:23], 4, v[22:23]
	s_wait_loadcnt 0x0
	v_cmp_ne_u32_e32 vcc_lo, v19, v29
	v_cmp_eq_u32_e64 s0, v19, v29
	s_or_b32 s1, vcc_lo, s1
	s_delay_alu instid0(SALU_CYCLE_1) | instskip(NEXT) | instid1(SALU_CYCLE_1)
	s_and_b32 s1, exec_lo, s1
	s_or_b32 s30, s1, s30
	s_and_not1_b32 s29, s29, exec_lo
	s_and_b32 s31, s0, exec_lo
	s_mov_b64 s[0:1], s[34:35]
	s_or_b32 s29, s29, s31
	s_and_not1_b32 exec_lo, exec_lo, s30
	s_cbranch_execnz .LBB1565_34
; %bb.35:
	s_or_b32 exec_lo, exec_lo, s30
	v_mul_u64_e32 v[22:23], s[18:19], v[10:11]
	s_mov_b32 s30, 0
                                        ; implicit-def: $sgpr1
	s_delay_alu instid0(VALU_DEP_1)
	v_lshl_add_u64 v[22:23], v[22:23], 2, s[8:9]
.LBB1565_36:                            ; =>This Inner Loop Header: Depth=1
	global_load_b32 v19, v[22:23], off
	global_load_b32 v24, v[16:17], off
	s_cmp_eq_u64 s[4:5], 0
	s_add_nc_u64 s[34:35], s[4:5], -1
	s_cselect_b32 s4, -1, 0
	s_wait_xcnt 0x1
	v_add_nc_u64_e32 v[22:23], 4, v[22:23]
	s_wait_xcnt 0x0
	v_add_nc_u64_e32 v[16:17], 4, v[16:17]
	s_wait_loadcnt 0x0
	v_cmp_ne_u32_e32 vcc_lo, v19, v24
	v_cmp_eq_u32_e64 s0, v19, v24
	s_or_b32 s4, vcc_lo, s4
	s_delay_alu instid0(SALU_CYCLE_1) | instskip(NEXT) | instid1(SALU_CYCLE_1)
	s_and_b32 s4, exec_lo, s4
	s_or_b32 s30, s4, s30
	s_and_not1_b32 s1, s1, exec_lo
	s_and_b32 s0, s0, exec_lo
	s_mov_b64 s[4:5], s[34:35]
	s_or_b32 s1, s1, s0
	s_and_not1_b32 exec_lo, exec_lo, s30
	s_cbranch_execnz .LBB1565_36
; %bb.37:
	s_or_b32 exec_lo, exec_lo, s30
	s_xor_b32 s0, s28, -1
	s_delay_alu instid0(SALU_CYCLE_1) | instskip(SKIP_1) | instid1(SALU_CYCLE_1)
	v_cndmask_b32_e64 v16, 0, 1, s0
	s_xor_b32 s0, s29, -1
	v_cndmask_b32_e64 v17, 0, 1, s0
	s_xor_b32 s0, s26, -1
	s_delay_alu instid0(VALU_DEP_2) | instskip(SKIP_2) | instid1(SALU_CYCLE_1)
	v_lshlrev_b16 v16, 8, v16
	v_cndmask_b32_e64 v30, 0, 1, s0
	s_xor_b32 s0, s6, -1
	v_cndmask_b32_e64 v19, 0, 1, s0
	s_delay_alu instid0(VALU_DEP_3) | instskip(SKIP_1) | instid1(VALU_DEP_1)
	v_lshrrev_b32_e32 v16, 8, v16
	s_xor_b32 s0, s27, -1
	v_and_b32_e32 v16, 1, v16
	s_delay_alu instid0(VALU_DEP_1) | instskip(NEXT) | instid1(VALU_DEP_1)
	v_lshlrev_b16 v16, 8, v16
	v_or_b32_e32 v16, v17, v16
	v_cndmask_b32_e64 v17, 0, 1, s0
	s_xor_b32 s0, s1, -1
	s_delay_alu instid0(VALU_DEP_2)
	v_lshlrev_b32_e32 v16, 16, v16
	s_branch .LBB1565_42
.LBB1565_38:
                                        ; implicit-def: $sgpr0
                                        ; implicit-def: $vgpr19
                                        ; implicit-def: $vgpr30
                                        ; implicit-def: $vgpr17
                                        ; implicit-def: $vgpr22
	s_branch .LBB1565_95
.LBB1565_39:
                                        ; implicit-def: $vgpr32
                                        ; implicit-def: $vgpr31
                                        ; implicit-def: $vgpr20
	s_branch .LBB1565_164
.LBB1565_40:
                                        ; implicit-def: $sgpr0
                                        ; implicit-def: $vgpr19
                                        ; implicit-def: $vgpr30
                                        ; implicit-def: $vgpr17
                                        ; implicit-def: $vgpr22
	s_cbranch_execnz .LBB1565_49
	s_branch .LBB1565_94
.LBB1565_41:
	v_dual_mov_b32 v16, 0 :: v_dual_mov_b32 v19, 0
	v_dual_mov_b32 v30, 0 :: v_dual_mov_b32 v17, 0
	s_mov_b32 s0, 0
.LBB1565_42:
	s_wait_loadcnt 0x0
	v_mov_b64_e32 v[22:23], v[20:21]
	s_wait_dscnt 0x0
	s_barrier_signal -1
	s_barrier_wait -1
	s_and_saveexec_b32 s1, s3
; %bb.43:
	v_add_nc_u32_e32 v22, -8, v28
	ds_load_b64 v[22:23], v22
; %bb.44:
	s_or_b32 exec_lo, exec_lo, s1
	v_cndmask_b32_e64 v24, 0, 1, s0
	v_lshrrev_b32_e32 v25, 16, v16
	s_mov_b32 s4, 0
	s_and_not1_b32 vcc_lo, exec_lo, s7
	s_mov_b32 s0, 0
	v_lshlrev_b16 v24, 8, v24
	s_delay_alu instid0(VALU_DEP_1) | instskip(SKIP_1) | instid1(VALU_DEP_2)
	v_bitop3_b16 v24, v16, v24, 0xff bitop3:0xec
	v_perm_b32 v16, v25, v16, 0xc0c0304
	v_and_b32_e32 v29, 0xffff, v24
	s_cbranch_vccnz .LBB1565_48
; %bb.45:
	s_wait_dscnt 0x0
	v_mul_u64_e32 v[22:23], s[18:19], v[22:23]
	v_mul_u64_e32 v[24:25], s[18:19], v[10:11]
	s_add_nc_u64 s[0:1], s[18:19], -1
	s_mov_b32 s5, 0
                                        ; implicit-def: $sgpr6
	s_delay_alu instid0(VALU_DEP_2) | instskip(NEXT) | instid1(VALU_DEP_2)
	v_lshl_add_u64 v[22:23], v[22:23], 2, s[8:9]
	v_lshl_add_u64 v[24:25], v[24:25], 2, s[8:9]
.LBB1565_46:                            ; =>This Inner Loop Header: Depth=1
	global_load_b32 v31, v[22:23], off
	global_load_b32 v32, v[24:25], off
	s_cmp_eq_u64 s[0:1], 0
	s_add_nc_u64 s[26:27], s[0:1], -1
	s_cselect_b32 s1, -1, 0
	s_wait_xcnt 0x1
	v_add_nc_u64_e32 v[22:23], 4, v[22:23]
	s_wait_xcnt 0x0
	v_add_nc_u64_e32 v[24:25], 4, v[24:25]
	s_wait_loadcnt 0x0
	v_cmp_ne_u32_e32 vcc_lo, v31, v32
	v_cmp_eq_u32_e64 s0, v31, v32
	s_or_b32 s1, vcc_lo, s1
	s_delay_alu instid0(SALU_CYCLE_1) | instskip(NEXT) | instid1(SALU_CYCLE_1)
	s_and_b32 s1, exec_lo, s1
	s_or_b32 s5, s1, s5
	s_and_not1_b32 s6, s6, exec_lo
	s_and_b32 s28, s0, exec_lo
	s_mov_b64 s[0:1], s[26:27]
	s_or_b32 s6, s6, s28
	s_and_not1_b32 exec_lo, exec_lo, s5
	s_cbranch_execnz .LBB1565_46
; %bb.47:
	s_or_b32 exec_lo, exec_lo, s5
	s_xor_b32 s0, s6, -1
.LBB1565_48:
	s_wait_dscnt 0x0
	s_delay_alu instid0(VALU_DEP_1)
	v_lshl_or_b32 v22, v16, 16, v29
	s_and_b32 vcc_lo, exec_lo, s4
	s_cbranch_vccz .LBB1565_94
.LBB1565_49:
	v_add_nc_u32_e32 v16, 6, v1
	s_mov_b32 s5, 0
	s_mov_b32 s4, 0
	s_mov_b32 s6, exec_lo
	s_wait_xcnt 0x0
	v_cmpx_gt_u32_e64 s23, v16
	s_cbranch_execz .LBB1565_55
; %bb.50:
	s_and_not1_b32 vcc_lo, exec_lo, s7
	s_mov_b32 s0, 0
	s_cbranch_vccnz .LBB1565_54
; %bb.51:
	v_mul_u64_e32 v[16:17], s[18:19], v[4:5]
	v_mul_u64_e32 v[22:23], s[18:19], v[14:15]
	s_add_nc_u64 s[0:1], s[18:19], -1
                                        ; implicit-def: $sgpr7
	s_delay_alu instid0(VALU_DEP_2) | instskip(NEXT) | instid1(VALU_DEP_2)
	v_lshl_add_u64 v[16:17], v[16:17], 2, s[8:9]
	v_lshl_add_u64 v[22:23], v[22:23], 2, s[8:9]
.LBB1565_52:                            ; =>This Inner Loop Header: Depth=1
	global_load_b32 v19, v[16:17], off
	global_load_b32 v24, v[22:23], off
	s_cmp_eq_u64 s[0:1], 0
	s_add_nc_u64 s[26:27], s[0:1], -1
	s_cselect_b32 s1, -1, 0
	s_wait_xcnt 0x1
	v_add_nc_u64_e32 v[16:17], 4, v[16:17]
	s_wait_xcnt 0x0
	v_add_nc_u64_e32 v[22:23], 4, v[22:23]
	s_wait_loadcnt 0x0
	v_cmp_ne_u32_e32 vcc_lo, v19, v24
	v_cmp_eq_u32_e64 s0, v19, v24
	s_or_b32 s1, vcc_lo, s1
	s_delay_alu instid0(SALU_CYCLE_1) | instskip(NEXT) | instid1(SALU_CYCLE_1)
	s_and_b32 s1, exec_lo, s1
	s_or_b32 s4, s1, s4
	s_and_not1_b32 s7, s7, exec_lo
	s_and_b32 s28, s0, exec_lo
	s_mov_b64 s[0:1], s[26:27]
	s_or_b32 s7, s7, s28
	s_and_not1_b32 exec_lo, exec_lo, s4
	s_cbranch_execnz .LBB1565_52
; %bb.53:
	s_or_b32 exec_lo, exec_lo, s4
	s_xor_b32 s0, s7, -1
.LBB1565_54:
	s_delay_alu instid0(SALU_CYCLE_1)
	s_and_b32 s4, s0, exec_lo
.LBB1565_55:
	s_or_b32 exec_lo, exec_lo, s6
	v_add_nc_u32_e32 v16, 5, v1
	s_mov_b32 s6, exec_lo
	s_delay_alu instid0(VALU_DEP_1)
	v_cmpx_gt_u32_e64 s23, v16
	s_cbranch_execz .LBB1565_61
; %bb.56:
	v_cmp_ne_u32_e32 vcc_lo, 1, v27
	s_mov_b32 s0, 0
	s_cbranch_vccnz .LBB1565_60
; %bb.57:
	v_mul_u64_e32 v[16:17], s[18:19], v[2:3]
	v_mul_u64_e32 v[22:23], s[18:19], v[4:5]
	s_add_nc_u64 s[0:1], s[18:19], -1
	s_mov_b32 s5, 0
                                        ; implicit-def: $sgpr7
	s_delay_alu instid0(VALU_DEP_2) | instskip(NEXT) | instid1(VALU_DEP_2)
	v_lshl_add_u64 v[16:17], v[16:17], 2, s[8:9]
	v_lshl_add_u64 v[22:23], v[22:23], 2, s[8:9]
.LBB1565_58:                            ; =>This Inner Loop Header: Depth=1
	global_load_b32 v19, v[16:17], off
	global_load_b32 v24, v[22:23], off
	s_cmp_eq_u64 s[0:1], 0
	s_add_nc_u64 s[26:27], s[0:1], -1
	s_cselect_b32 s1, -1, 0
	s_wait_xcnt 0x1
	v_add_nc_u64_e32 v[16:17], 4, v[16:17]
	s_wait_xcnt 0x0
	v_add_nc_u64_e32 v[22:23], 4, v[22:23]
	s_wait_loadcnt 0x0
	v_cmp_ne_u32_e32 vcc_lo, v19, v24
	v_cmp_eq_u32_e64 s0, v19, v24
	s_or_b32 s1, vcc_lo, s1
	s_delay_alu instid0(SALU_CYCLE_1) | instskip(NEXT) | instid1(SALU_CYCLE_1)
	s_and_b32 s1, exec_lo, s1
	s_or_b32 s5, s1, s5
	s_and_not1_b32 s7, s7, exec_lo
	s_and_b32 s28, s0, exec_lo
	s_mov_b64 s[0:1], s[26:27]
	s_or_b32 s7, s7, s28
	s_and_not1_b32 exec_lo, exec_lo, s5
	s_cbranch_execnz .LBB1565_58
; %bb.59:
	s_or_b32 exec_lo, exec_lo, s5
	s_xor_b32 s0, s7, -1
.LBB1565_60:
	s_delay_alu instid0(SALU_CYCLE_1)
	s_and_b32 s5, s0, exec_lo
.LBB1565_61:
	s_or_b32 exec_lo, exec_lo, s6
	v_add_nc_u32_e32 v16, 4, v1
	s_mov_b32 s7, 0
	s_mov_b32 s6, 0
	s_mov_b32 s26, exec_lo
	s_delay_alu instid0(VALU_DEP_1)
	v_cmpx_gt_u32_e64 s23, v16
	s_cbranch_execz .LBB1565_67
; %bb.62:
	v_cmp_ne_u32_e32 vcc_lo, 1, v27
	s_mov_b32 s0, 0
	s_cbranch_vccnz .LBB1565_66
; %bb.63:
	v_mul_u64_e32 v[16:17], s[18:19], v[8:9]
	v_mul_u64_e32 v[22:23], s[18:19], v[2:3]
	s_add_nc_u64 s[0:1], s[18:19], -1
                                        ; implicit-def: $sgpr27
	s_delay_alu instid0(VALU_DEP_2) | instskip(NEXT) | instid1(VALU_DEP_2)
	v_lshl_add_u64 v[16:17], v[16:17], 2, s[8:9]
	v_lshl_add_u64 v[22:23], v[22:23], 2, s[8:9]
.LBB1565_64:                            ; =>This Inner Loop Header: Depth=1
	global_load_b32 v19, v[16:17], off
	global_load_b32 v24, v[22:23], off
	s_cmp_eq_u64 s[0:1], 0
	s_add_nc_u64 s[28:29], s[0:1], -1
	s_cselect_b32 s1, -1, 0
	s_wait_xcnt 0x1
	v_add_nc_u64_e32 v[16:17], 4, v[16:17]
	s_wait_xcnt 0x0
	v_add_nc_u64_e32 v[22:23], 4, v[22:23]
	s_wait_loadcnt 0x0
	v_cmp_ne_u32_e32 vcc_lo, v19, v24
	v_cmp_eq_u32_e64 s0, v19, v24
	s_or_b32 s1, vcc_lo, s1
	s_delay_alu instid0(SALU_CYCLE_1) | instskip(NEXT) | instid1(SALU_CYCLE_1)
	s_and_b32 s1, exec_lo, s1
	s_or_b32 s6, s1, s6
	s_and_not1_b32 s27, s27, exec_lo
	s_and_b32 s30, s0, exec_lo
	s_mov_b64 s[0:1], s[28:29]
	s_or_b32 s27, s27, s30
	s_and_not1_b32 exec_lo, exec_lo, s6
	s_cbranch_execnz .LBB1565_64
; %bb.65:
	s_or_b32 exec_lo, exec_lo, s6
	s_xor_b32 s0, s27, -1
.LBB1565_66:
	s_delay_alu instid0(SALU_CYCLE_1)
	s_and_b32 s6, s0, exec_lo
.LBB1565_67:
	s_or_b32 exec_lo, exec_lo, s26
	v_add_nc_u32_e32 v16, 3, v1
	s_mov_b32 s26, exec_lo
	s_delay_alu instid0(VALU_DEP_1)
	v_cmpx_gt_u32_e64 s23, v16
	s_cbranch_execz .LBB1565_73
; %bb.68:
	v_cmp_ne_u32_e32 vcc_lo, 1, v27
	s_mov_b32 s0, 0
	s_cbranch_vccnz .LBB1565_72
; %bb.69:
	v_mul_u64_e32 v[16:17], s[18:19], v[6:7]
	v_mul_u64_e32 v[22:23], s[18:19], v[8:9]
	s_add_nc_u64 s[0:1], s[18:19], -1
	s_mov_b32 s7, 0
                                        ; implicit-def: $sgpr27
	s_delay_alu instid0(VALU_DEP_2) | instskip(NEXT) | instid1(VALU_DEP_2)
	v_lshl_add_u64 v[16:17], v[16:17], 2, s[8:9]
	v_lshl_add_u64 v[22:23], v[22:23], 2, s[8:9]
.LBB1565_70:                            ; =>This Inner Loop Header: Depth=1
	global_load_b32 v19, v[16:17], off
	global_load_b32 v24, v[22:23], off
	s_cmp_eq_u64 s[0:1], 0
	s_add_nc_u64 s[28:29], s[0:1], -1
	s_cselect_b32 s1, -1, 0
	s_wait_xcnt 0x1
	v_add_nc_u64_e32 v[16:17], 4, v[16:17]
	s_wait_xcnt 0x0
	v_add_nc_u64_e32 v[22:23], 4, v[22:23]
	s_wait_loadcnt 0x0
	v_cmp_ne_u32_e32 vcc_lo, v19, v24
	v_cmp_eq_u32_e64 s0, v19, v24
	s_or_b32 s1, vcc_lo, s1
	s_delay_alu instid0(SALU_CYCLE_1) | instskip(NEXT) | instid1(SALU_CYCLE_1)
	s_and_b32 s1, exec_lo, s1
	s_or_b32 s7, s1, s7
	s_and_not1_b32 s27, s27, exec_lo
	s_and_b32 s30, s0, exec_lo
	s_mov_b64 s[0:1], s[28:29]
	s_or_b32 s27, s27, s30
	s_and_not1_b32 exec_lo, exec_lo, s7
	s_cbranch_execnz .LBB1565_70
; %bb.71:
	s_or_b32 exec_lo, exec_lo, s7
	s_xor_b32 s0, s27, -1
.LBB1565_72:
	s_delay_alu instid0(SALU_CYCLE_1)
	s_and_b32 s7, s0, exec_lo
.LBB1565_73:
	s_or_b32 exec_lo, exec_lo, s26
	v_add_nc_u32_e32 v16, 2, v1
	s_mov_b32 s26, 0
	s_mov_b32 s27, 0
	s_mov_b32 s28, exec_lo
	s_delay_alu instid0(VALU_DEP_1)
	v_cmpx_gt_u32_e64 s23, v16
	s_cbranch_execz .LBB1565_79
; %bb.74:
	v_cmp_ne_u32_e32 vcc_lo, 1, v27
	s_mov_b32 s0, 0
	s_cbranch_vccnz .LBB1565_78
; %bb.75:
	v_mul_u64_e32 v[16:17], s[18:19], v[12:13]
	v_mul_u64_e32 v[22:23], s[18:19], v[6:7]
	s_add_nc_u64 s[0:1], s[18:19], -1
                                        ; implicit-def: $sgpr29
	s_delay_alu instid0(VALU_DEP_2) | instskip(NEXT) | instid1(VALU_DEP_2)
	v_lshl_add_u64 v[16:17], v[16:17], 2, s[8:9]
	v_lshl_add_u64 v[22:23], v[22:23], 2, s[8:9]
.LBB1565_76:                            ; =>This Inner Loop Header: Depth=1
	global_load_b32 v19, v[16:17], off
	global_load_b32 v24, v[22:23], off
	s_cmp_eq_u64 s[0:1], 0
	s_add_nc_u64 s[30:31], s[0:1], -1
	s_cselect_b32 s1, -1, 0
	s_wait_xcnt 0x1
	v_add_nc_u64_e32 v[16:17], 4, v[16:17]
	s_wait_xcnt 0x0
	v_add_nc_u64_e32 v[22:23], 4, v[22:23]
	s_wait_loadcnt 0x0
	v_cmp_ne_u32_e32 vcc_lo, v19, v24
	v_cmp_eq_u32_e64 s0, v19, v24
	s_or_b32 s1, vcc_lo, s1
	s_delay_alu instid0(SALU_CYCLE_1) | instskip(NEXT) | instid1(SALU_CYCLE_1)
	s_and_b32 s1, exec_lo, s1
	s_or_b32 s27, s1, s27
	s_and_not1_b32 s29, s29, exec_lo
	s_and_b32 s33, s0, exec_lo
	s_mov_b64 s[0:1], s[30:31]
	s_or_b32 s29, s29, s33
	s_and_not1_b32 exec_lo, exec_lo, s27
	s_cbranch_execnz .LBB1565_76
; %bb.77:
	s_or_b32 exec_lo, exec_lo, s27
	s_xor_b32 s0, s29, -1
.LBB1565_78:
	s_delay_alu instid0(SALU_CYCLE_1)
	s_and_b32 s27, s0, exec_lo
.LBB1565_79:
	s_or_b32 exec_lo, exec_lo, s28
	v_add_nc_u32_e32 v16, 1, v1
	s_mov_b32 s28, exec_lo
	s_delay_alu instid0(VALU_DEP_1)
	v_cmpx_gt_u32_e64 s23, v16
	s_cbranch_execz .LBB1565_85
; %bb.80:
	v_cmp_ne_u32_e32 vcc_lo, 1, v27
	s_mov_b32 s0, 0
	s_cbranch_vccnz .LBB1565_84
; %bb.81:
	v_mul_u64_e32 v[16:17], s[18:19], v[10:11]
	v_mul_u64_e32 v[22:23], s[18:19], v[12:13]
	s_add_nc_u64 s[0:1], s[18:19], -1
	s_mov_b32 s26, 0
                                        ; implicit-def: $sgpr29
	s_delay_alu instid0(VALU_DEP_2) | instskip(NEXT) | instid1(VALU_DEP_2)
	v_lshl_add_u64 v[16:17], v[16:17], 2, s[8:9]
	v_lshl_add_u64 v[22:23], v[22:23], 2, s[8:9]
.LBB1565_82:                            ; =>This Inner Loop Header: Depth=1
	global_load_b32 v19, v[16:17], off
	global_load_b32 v24, v[22:23], off
	s_cmp_eq_u64 s[0:1], 0
	s_add_nc_u64 s[30:31], s[0:1], -1
	s_cselect_b32 s1, -1, 0
	s_wait_xcnt 0x1
	v_add_nc_u64_e32 v[16:17], 4, v[16:17]
	s_wait_xcnt 0x0
	v_add_nc_u64_e32 v[22:23], 4, v[22:23]
	s_wait_loadcnt 0x0
	v_cmp_ne_u32_e32 vcc_lo, v19, v24
	v_cmp_eq_u32_e64 s0, v19, v24
	s_or_b32 s1, vcc_lo, s1
	s_delay_alu instid0(SALU_CYCLE_1) | instskip(NEXT) | instid1(SALU_CYCLE_1)
	s_and_b32 s1, exec_lo, s1
	s_or_b32 s26, s1, s26
	s_and_not1_b32 s29, s29, exec_lo
	s_and_b32 s33, s0, exec_lo
	s_mov_b64 s[0:1], s[30:31]
	s_or_b32 s29, s29, s33
	s_and_not1_b32 exec_lo, exec_lo, s26
	s_cbranch_execnz .LBB1565_82
; %bb.83:
	s_or_b32 exec_lo, exec_lo, s26
	s_xor_b32 s0, s29, -1
.LBB1565_84:
	s_delay_alu instid0(SALU_CYCLE_1)
	s_and_b32 s26, s0, exec_lo
.LBB1565_85:
	s_or_b32 exec_lo, exec_lo, s28
	s_wait_loadcnt_dscnt 0x0
	s_barrier_signal -1
	s_barrier_wait -1
	s_and_saveexec_b32 s0, s3
; %bb.86:
	v_add_nc_u32_e32 v16, -8, v28
	ds_load_b64 v[20:21], v16
; %bb.87:
	s_or_b32 exec_lo, exec_lo, s0
	v_cndmask_b32_e64 v16, 0, 1, s7
	v_cndmask_b32_e64 v17, 0, 1, s27
	;; [unrolled: 1-line block ×3, first 2 shown]
	s_mov_b32 s0, 0
	s_mov_b32 s7, exec_lo
	v_lshlrev_b16 v16, 8, v16
	s_delay_alu instid0(VALU_DEP_2) | instskip(NEXT) | instid1(VALU_DEP_2)
	v_lshlrev_b16 v19, 8, v19
	v_or_b32_e32 v16, v17, v16
	s_delay_alu instid0(VALU_DEP_2) | instskip(NEXT) | instid1(VALU_DEP_2)
	v_and_b32_e32 v22, 0xffff, v19
	v_lshlrev_b32_e32 v23, 16, v16
	v_cmpx_gt_u32_e64 s23, v1
	s_cbranch_execz .LBB1565_93
; %bb.88:
	v_cmp_ne_u32_e32 vcc_lo, 1, v27
	s_cbranch_vccnz .LBB1565_92
; %bb.89:
	s_wait_dscnt 0x0
	v_mul_u64_e32 v[16:17], s[18:19], v[20:21]
	v_mul_u64_e32 v[20:21], s[18:19], v[10:11]
	s_add_nc_u64 s[0:1], s[18:19], -1
	s_mov_b32 s26, 0
                                        ; implicit-def: $sgpr27
	s_delay_alu instid0(VALU_DEP_2) | instskip(NEXT) | instid1(VALU_DEP_2)
	v_lshl_add_u64 v[16:17], v[16:17], 2, s[8:9]
	v_lshl_add_u64 v[20:21], v[20:21], 2, s[8:9]
.LBB1565_90:                            ; =>This Inner Loop Header: Depth=1
	global_load_b32 v19, v[16:17], off
	global_load_b32 v24, v[20:21], off
	s_cmp_eq_u64 s[0:1], 0
	s_add_nc_u64 s[28:29], s[0:1], -1
	s_cselect_b32 s1, -1, 0
	s_wait_xcnt 0x1
	v_add_nc_u64_e32 v[16:17], 4, v[16:17]
	s_wait_xcnt 0x0
	v_add_nc_u64_e32 v[20:21], 4, v[20:21]
	s_wait_loadcnt 0x0
	v_cmp_ne_u32_e32 vcc_lo, v19, v24
	v_cmp_eq_u32_e64 s0, v19, v24
	s_or_b32 s1, vcc_lo, s1
	s_delay_alu instid0(SALU_CYCLE_1) | instskip(NEXT) | instid1(SALU_CYCLE_1)
	s_and_b32 s1, exec_lo, s1
	s_or_b32 s26, s1, s26
	s_and_not1_b32 s27, s27, exec_lo
	s_and_b32 s30, s0, exec_lo
	s_mov_b64 s[0:1], s[28:29]
	s_or_b32 s27, s27, s30
	s_and_not1_b32 exec_lo, exec_lo, s26
	s_cbranch_execnz .LBB1565_90
; %bb.91:
	s_or_b32 exec_lo, exec_lo, s26
	s_xor_b32 s0, s27, -1
.LBB1565_92:
	s_delay_alu instid0(SALU_CYCLE_1)
	s_and_b32 s0, s0, exec_lo
.LBB1565_93:
	s_or_b32 exec_lo, exec_lo, s7
	v_cndmask_b32_e64 v17, 0, 1, s6
	v_cndmask_b32_e64 v30, 0, 1, s5
	;; [unrolled: 1-line block ×3, first 2 shown]
	v_or_b32_e32 v22, v22, v23
.LBB1565_94:
	s_mov_b32 s6, -1
	s_cbranch_execnz .LBB1565_39
.LBB1565_95:
	v_cmp_gt_i64_e64 s7, s[18:19], 0
	v_mad_i32_i24 v26, 0xffffffd0, v0, v26
	s_and_b32 vcc_lo, exec_lo, s17
	ds_store_b64 v26, v[14:15]
	s_cbranch_vccz .LBB1565_110
; %bb.96:
	s_and_not1_b32 vcc_lo, exec_lo, s7
	s_cbranch_vccnz .LBB1565_111
; %bb.97:
	v_mul_u64_e32 v[16:17], s[18:19], v[4:5]
	s_wait_loadcnt_dscnt 0x1
	v_mul_u64_e32 v[20:21], s[18:19], v[14:15]
	s_add_nc_u64 s[4:5], s[18:19], -1
	s_mov_b32 s27, 0
	s_mov_b64 s[0:1], s[4:5]
                                        ; implicit-def: $sgpr26
	s_delay_alu instid0(VALU_DEP_2) | instskip(NEXT) | instid1(VALU_DEP_2)
	v_lshl_add_u64 v[16:17], v[16:17], 2, s[8:9]
	v_lshl_add_u64 v[20:21], v[20:21], 2, s[8:9]
	s_delay_alu instid0(VALU_DEP_2)
	v_mov_b64_e32 v[22:23], v[16:17]
.LBB1565_98:                            ; =>This Inner Loop Header: Depth=1
	global_load_b32 v19, v[22:23], off
	global_load_b32 v24, v[20:21], off
	s_cmp_eq_u64 s[0:1], 0
	s_add_nc_u64 s[28:29], s[0:1], -1
	s_cselect_b32 s1, -1, 0
	s_wait_xcnt 0x1
	v_add_nc_u64_e32 v[22:23], 4, v[22:23]
	s_wait_xcnt 0x0
	v_add_nc_u64_e32 v[20:21], 4, v[20:21]
	s_wait_loadcnt 0x0
	v_cmp_ne_u32_e32 vcc_lo, v19, v24
	v_cmp_eq_u32_e64 s0, v19, v24
	s_or_b32 s1, vcc_lo, s1
	s_delay_alu instid0(SALU_CYCLE_1) | instskip(NEXT) | instid1(SALU_CYCLE_1)
	s_and_b32 s1, exec_lo, s1
	s_or_b32 s27, s1, s27
	s_and_not1_b32 s26, s26, exec_lo
	s_and_b32 s30, s0, exec_lo
	s_mov_b64 s[0:1], s[28:29]
	s_or_b32 s26, s26, s30
	s_and_not1_b32 exec_lo, exec_lo, s27
	s_cbranch_execnz .LBB1565_98
; %bb.99:
	s_or_b32 exec_lo, exec_lo, s27
	v_mul_u64_e32 v[20:21], s[18:19], v[2:3]
	s_mov_b32 s28, 0
	s_mov_b64 s[0:1], s[4:5]
                                        ; implicit-def: $sgpr27
	s_delay_alu instid0(VALU_DEP_1) | instskip(NEXT) | instid1(VALU_DEP_1)
	v_lshl_add_u64 v[20:21], v[20:21], 2, s[8:9]
	v_mov_b64_e32 v[22:23], v[20:21]
.LBB1565_100:                           ; =>This Inner Loop Header: Depth=1
	global_load_b32 v19, v[22:23], off
	global_load_b32 v24, v[16:17], off
	s_cmp_eq_u64 s[0:1], 0
	s_add_nc_u64 s[30:31], s[0:1], -1
	s_cselect_b32 s1, -1, 0
	s_wait_xcnt 0x1
	v_add_nc_u64_e32 v[22:23], 4, v[22:23]
	s_wait_xcnt 0x0
	v_add_nc_u64_e32 v[16:17], 4, v[16:17]
	s_wait_loadcnt 0x0
	v_cmp_ne_u32_e32 vcc_lo, v19, v24
	v_cmp_eq_u32_e64 s0, v19, v24
	s_or_b32 s1, vcc_lo, s1
	s_delay_alu instid0(SALU_CYCLE_1) | instskip(NEXT) | instid1(SALU_CYCLE_1)
	s_and_b32 s1, exec_lo, s1
	s_or_b32 s28, s1, s28
	s_and_not1_b32 s27, s27, exec_lo
	s_and_b32 s29, s0, exec_lo
	s_mov_b64 s[0:1], s[30:31]
	s_or_b32 s27, s27, s29
	s_and_not1_b32 exec_lo, exec_lo, s28
	s_cbranch_execnz .LBB1565_100
; %bb.101:
	s_or_b32 exec_lo, exec_lo, s28
	v_mul_u64_e32 v[16:17], s[18:19], v[8:9]
	s_mov_b32 s29, 0
	s_mov_b64 s[0:1], s[4:5]
                                        ; implicit-def: $sgpr28
	s_delay_alu instid0(VALU_DEP_1) | instskip(NEXT) | instid1(VALU_DEP_1)
	v_lshl_add_u64 v[16:17], v[16:17], 2, s[8:9]
	v_mov_b64_e32 v[22:23], v[16:17]
.LBB1565_102:                           ; =>This Inner Loop Header: Depth=1
	global_load_b32 v19, v[22:23], off
	global_load_b32 v24, v[20:21], off
	s_cmp_eq_u64 s[0:1], 0
	s_add_nc_u64 s[30:31], s[0:1], -1
	s_cselect_b32 s1, -1, 0
	s_wait_xcnt 0x1
	v_add_nc_u64_e32 v[22:23], 4, v[22:23]
	s_wait_xcnt 0x0
	v_add_nc_u64_e32 v[20:21], 4, v[20:21]
	s_wait_loadcnt 0x0
	v_cmp_ne_u32_e32 vcc_lo, v19, v24
	v_cmp_eq_u32_e64 s0, v19, v24
	s_or_b32 s1, vcc_lo, s1
	s_delay_alu instid0(SALU_CYCLE_1) | instskip(NEXT) | instid1(SALU_CYCLE_1)
	s_and_b32 s1, exec_lo, s1
	s_or_b32 s29, s1, s29
	s_and_not1_b32 s28, s28, exec_lo
	s_and_b32 s33, s0, exec_lo
	s_mov_b64 s[0:1], s[30:31]
	s_or_b32 s28, s28, s33
	s_and_not1_b32 exec_lo, exec_lo, s29
	s_cbranch_execnz .LBB1565_102
; %bb.103:
	s_or_b32 exec_lo, exec_lo, s29
	v_mul_u64_e32 v[20:21], s[18:19], v[6:7]
	s_mov_b32 s30, 0
	s_mov_b64 s[0:1], s[4:5]
                                        ; implicit-def: $sgpr29
	s_delay_alu instid0(VALU_DEP_1) | instskip(NEXT) | instid1(VALU_DEP_1)
	v_lshl_add_u64 v[20:21], v[20:21], 2, s[8:9]
	v_mov_b64_e32 v[22:23], v[20:21]
.LBB1565_104:                           ; =>This Inner Loop Header: Depth=1
	global_load_b32 v19, v[22:23], off
	global_load_b32 v24, v[16:17], off
	s_cmp_eq_u64 s[0:1], 0
	s_add_nc_u64 s[34:35], s[0:1], -1
	s_cselect_b32 s1, -1, 0
	s_wait_xcnt 0x1
	v_add_nc_u64_e32 v[22:23], 4, v[22:23]
	s_wait_xcnt 0x0
	v_add_nc_u64_e32 v[16:17], 4, v[16:17]
	s_wait_loadcnt 0x0
	v_cmp_ne_u32_e32 vcc_lo, v19, v24
	v_cmp_eq_u32_e64 s0, v19, v24
	s_or_b32 s1, vcc_lo, s1
	s_delay_alu instid0(SALU_CYCLE_1) | instskip(NEXT) | instid1(SALU_CYCLE_1)
	s_and_b32 s1, exec_lo, s1
	s_or_b32 s30, s1, s30
	s_and_not1_b32 s29, s29, exec_lo
	s_and_b32 s31, s0, exec_lo
	s_mov_b64 s[0:1], s[34:35]
	s_or_b32 s29, s29, s31
	s_and_not1_b32 exec_lo, exec_lo, s30
	s_cbranch_execnz .LBB1565_104
; %bb.105:
	s_or_b32 exec_lo, exec_lo, s30
	v_mul_u64_e32 v[16:17], s[18:19], v[12:13]
	s_mov_b32 s31, 0
	s_mov_b64 s[0:1], s[4:5]
                                        ; implicit-def: $sgpr30
	s_delay_alu instid0(VALU_DEP_1) | instskip(NEXT) | instid1(VALU_DEP_1)
	v_lshl_add_u64 v[16:17], v[16:17], 2, s[8:9]
	v_mov_b64_e32 v[22:23], v[16:17]
.LBB1565_106:                           ; =>This Inner Loop Header: Depth=1
	global_load_b32 v19, v[22:23], off
	global_load_b32 v24, v[20:21], off
	s_cmp_eq_u64 s[0:1], 0
	s_add_nc_u64 s[34:35], s[0:1], -1
	s_cselect_b32 s1, -1, 0
	s_wait_xcnt 0x1
	v_add_nc_u64_e32 v[22:23], 4, v[22:23]
	s_wait_xcnt 0x0
	v_add_nc_u64_e32 v[20:21], 4, v[20:21]
	s_wait_loadcnt 0x0
	v_cmp_ne_u32_e32 vcc_lo, v19, v24
	v_cmp_eq_u32_e64 s0, v19, v24
	s_or_b32 s1, vcc_lo, s1
	s_delay_alu instid0(SALU_CYCLE_1) | instskip(NEXT) | instid1(SALU_CYCLE_1)
	s_and_b32 s1, exec_lo, s1
	s_or_b32 s31, s1, s31
	s_and_not1_b32 s30, s30, exec_lo
	s_and_b32 s33, s0, exec_lo
	s_mov_b64 s[0:1], s[34:35]
	s_or_b32 s30, s30, s33
	s_and_not1_b32 exec_lo, exec_lo, s31
	s_cbranch_execnz .LBB1565_106
; %bb.107:
	s_or_b32 exec_lo, exec_lo, s31
	v_mul_u64_e32 v[20:21], s[18:19], v[10:11]
	s_mov_b32 s31, 0
                                        ; implicit-def: $sgpr1
	s_delay_alu instid0(VALU_DEP_1)
	v_lshl_add_u64 v[20:21], v[20:21], 2, s[8:9]
.LBB1565_108:                           ; =>This Inner Loop Header: Depth=1
	global_load_b32 v19, v[20:21], off
	global_load_b32 v22, v[16:17], off
	s_cmp_eq_u64 s[4:5], 0
	s_add_nc_u64 s[34:35], s[4:5], -1
	s_cselect_b32 s4, -1, 0
	s_wait_xcnt 0x1
	v_add_nc_u64_e32 v[20:21], 4, v[20:21]
	s_wait_xcnt 0x0
	v_add_nc_u64_e32 v[16:17], 4, v[16:17]
	s_wait_loadcnt 0x0
	v_cmp_ne_u32_e32 vcc_lo, v19, v22
	v_cmp_eq_u32_e64 s0, v19, v22
	s_or_b32 s4, vcc_lo, s4
	s_delay_alu instid0(SALU_CYCLE_1) | instskip(NEXT) | instid1(SALU_CYCLE_1)
	s_and_b32 s4, exec_lo, s4
	s_or_b32 s31, s4, s31
	s_and_not1_b32 s1, s1, exec_lo
	s_and_b32 s0, s0, exec_lo
	s_mov_b64 s[4:5], s[34:35]
	s_or_b32 s1, s1, s0
	s_and_not1_b32 exec_lo, exec_lo, s31
	s_cbranch_execnz .LBB1565_108
; %bb.109:
	s_or_b32 exec_lo, exec_lo, s31
	s_xor_b32 s0, s29, -1
	s_delay_alu instid0(SALU_CYCLE_1) | instskip(SKIP_1) | instid1(SALU_CYCLE_1)
	v_cndmask_b32_e64 v16, 0, 1, s0
	s_xor_b32 s0, s30, -1
	v_cndmask_b32_e64 v17, 0, 1, s0
	s_xor_b32 s0, s27, -1
	s_delay_alu instid0(VALU_DEP_2) | instskip(SKIP_2) | instid1(SALU_CYCLE_1)
	v_lshlrev_b16 v16, 8, v16
	v_cndmask_b32_e64 v30, 0, 1, s0
	s_xor_b32 s0, s26, -1
	v_cndmask_b32_e64 v19, 0, 1, s0
	s_delay_alu instid0(VALU_DEP_3) | instskip(SKIP_1) | instid1(VALU_DEP_1)
	v_lshrrev_b32_e32 v16, 8, v16
	s_xor_b32 s0, s28, -1
	v_and_b32_e32 v16, 1, v16
	s_delay_alu instid0(VALU_DEP_1) | instskip(NEXT) | instid1(VALU_DEP_1)
	v_lshlrev_b16 v16, 8, v16
	v_or_b32_e32 v16, v17, v16
	v_cndmask_b32_e64 v17, 0, 1, s0
	s_xor_b32 s0, s1, -1
	s_delay_alu instid0(VALU_DEP_2)
	v_lshlrev_b32_e32 v16, 16, v16
	s_branch .LBB1565_112
.LBB1565_110:
                                        ; implicit-def: $sgpr0
                                        ; implicit-def: $vgpr19
                                        ; implicit-def: $vgpr30
                                        ; implicit-def: $vgpr17
                                        ; implicit-def: $vgpr22
                                        ; implicit-def: $vgpr32
                                        ; implicit-def: $vgpr31
                                        ; implicit-def: $vgpr20
	s_cbranch_execnz .LBB1565_119
	s_branch .LBB1565_164
.LBB1565_111:
	v_dual_mov_b32 v16, 0 :: v_dual_mov_b32 v19, 0
	v_dual_mov_b32 v30, 0 :: v_dual_mov_b32 v17, 0
	s_mov_b32 s0, 0
.LBB1565_112:
	s_wait_loadcnt_dscnt 0x1
	s_delay_alu instid0(VALU_DEP_1)
	v_dual_lshrrev_b32 v31, 16, v16 :: v_dual_lshrrev_b32 v20, 24, v16
	v_cndmask_b32_e64 v32, 0, 1, s0
	v_mov_b32_e32 v16, 1
	s_wait_dscnt 0x0
	s_barrier_signal -1
	s_barrier_wait -1
                                        ; implicit-def: $sgpr0
                                        ; implicit-def: $vgpr22
	s_and_saveexec_b32 s1, s3
	s_delay_alu instid0(SALU_CYCLE_1)
	s_xor_b32 s4, exec_lo, s1
	s_cbranch_execz .LBB1565_118
; %bb.113:
	v_lshlrev_b16 v21, 8, v20
	v_lshlrev_b16 v22, 8, v32
	s_and_not1_b32 vcc_lo, exec_lo, s7
	s_mov_b32 s0, 0
	s_delay_alu instid0(VALU_DEP_2) | instskip(NEXT) | instid1(VALU_DEP_1)
	v_bitop3_b16 v21, v31, v21, 0xff bitop3:0xec
	v_dual_lshlrev_b32 v21, 16, v21 :: v_dual_bitop2_b32 v22, 1, v22 bitop3:0x54
	s_delay_alu instid0(VALU_DEP_1) | instskip(NEXT) | instid1(VALU_DEP_1)
	v_and_b32_e32 v22, 0xffff, v22
	v_or_b32_e32 v21, v22, v21
	s_cbranch_vccnz .LBB1565_117
; %bb.114:
	v_add_nc_u32_e32 v22, -8, v26
	v_mul_u64_e32 v[24:25], s[18:19], v[10:11]
	s_add_nc_u64 s[0:1], s[18:19], -1
	s_mov_b32 s5, 0
                                        ; implicit-def: $sgpr26
	ds_load_b64 v[22:23], v22
	s_wait_dscnt 0x0
	v_mul_u64_e32 v[22:23], s[18:19], v[22:23]
	v_lshl_add_u64 v[24:25], v[24:25], 2, s[8:9]
	s_delay_alu instid0(VALU_DEP_2)
	v_lshl_add_u64 v[22:23], v[22:23], 2, s[8:9]
.LBB1565_115:                           ; =>This Inner Loop Header: Depth=1
	global_load_b32 v27, v[22:23], off
	global_load_b32 v28, v[24:25], off
	s_cmp_eq_u64 s[0:1], 0
	s_add_nc_u64 s[28:29], s[0:1], -1
	s_cselect_b32 s1, -1, 0
	s_wait_xcnt 0x1
	v_add_nc_u64_e32 v[22:23], 4, v[22:23]
	s_wait_xcnt 0x0
	v_add_nc_u64_e32 v[24:25], 4, v[24:25]
	s_wait_loadcnt 0x0
	v_cmp_ne_u32_e32 vcc_lo, v27, v28
	v_cmp_eq_u32_e64 s0, v27, v28
	s_or_b32 s1, vcc_lo, s1
	s_delay_alu instid0(SALU_CYCLE_1) | instskip(NEXT) | instid1(SALU_CYCLE_1)
	s_and_b32 s1, exec_lo, s1
	s_or_b32 s5, s1, s5
	s_and_not1_b32 s26, s26, exec_lo
	s_and_b32 s27, s0, exec_lo
	s_mov_b64 s[0:1], s[28:29]
	s_or_b32 s26, s26, s27
	s_and_not1_b32 exec_lo, exec_lo, s5
	s_cbranch_execnz .LBB1565_115
; %bb.116:
	s_or_b32 exec_lo, exec_lo, s5
	s_xor_b32 s0, s26, -1
.LBB1565_117:
	s_delay_alu instid0(VALU_DEP_1)
	v_perm_b32 v22, v21, v21, 0x3020104
	s_or_b32 s6, s6, exec_lo
.LBB1565_118:
	s_or_b32 exec_lo, exec_lo, s4
	s_branch .LBB1565_164
.LBB1565_119:
	v_add_nc_u32_e32 v16, 6, v1
	s_mov_b32 s5, 0
	s_mov_b32 s4, 0
	s_mov_b32 s26, exec_lo
	s_wait_xcnt 0x0
	v_cmpx_gt_u32_e64 s23, v16
	s_cbranch_execz .LBB1565_125
; %bb.120:
	s_and_not1_b32 vcc_lo, exec_lo, s7
	s_mov_b32 s0, 0
	s_cbranch_vccnz .LBB1565_124
; %bb.121:
	v_mul_u64_e32 v[16:17], s[18:19], v[4:5]
	s_wait_loadcnt_dscnt 0x1
	v_mul_u64_e32 v[20:21], s[18:19], v[14:15]
	s_add_nc_u64 s[0:1], s[18:19], -1
                                        ; implicit-def: $sgpr27
	s_delay_alu instid0(VALU_DEP_2) | instskip(NEXT) | instid1(VALU_DEP_2)
	v_lshl_add_u64 v[16:17], v[16:17], 2, s[8:9]
	v_lshl_add_u64 v[20:21], v[20:21], 2, s[8:9]
.LBB1565_122:                           ; =>This Inner Loop Header: Depth=1
	global_load_b32 v19, v[16:17], off
	global_load_b32 v22, v[20:21], off
	s_cmp_eq_u64 s[0:1], 0
	s_add_nc_u64 s[28:29], s[0:1], -1
	s_cselect_b32 s1, -1, 0
	s_wait_xcnt 0x1
	v_add_nc_u64_e32 v[16:17], 4, v[16:17]
	s_wait_xcnt 0x0
	v_add_nc_u64_e32 v[20:21], 4, v[20:21]
	s_wait_loadcnt 0x0
	v_cmp_ne_u32_e32 vcc_lo, v19, v22
	v_cmp_eq_u32_e64 s0, v19, v22
	s_or_b32 s1, vcc_lo, s1
	s_delay_alu instid0(SALU_CYCLE_1) | instskip(NEXT) | instid1(SALU_CYCLE_1)
	s_and_b32 s1, exec_lo, s1
	s_or_b32 s4, s1, s4
	s_and_not1_b32 s27, s27, exec_lo
	s_and_b32 s30, s0, exec_lo
	s_mov_b64 s[0:1], s[28:29]
	s_or_b32 s27, s27, s30
	s_and_not1_b32 exec_lo, exec_lo, s4
	s_cbranch_execnz .LBB1565_122
; %bb.123:
	s_or_b32 exec_lo, exec_lo, s4
	s_xor_b32 s0, s27, -1
.LBB1565_124:
	s_delay_alu instid0(SALU_CYCLE_1)
	s_and_b32 s4, s0, exec_lo
.LBB1565_125:
	s_or_b32 exec_lo, exec_lo, s26
	v_add_nc_u32_e32 v16, 5, v1
	s_mov_b32 s26, exec_lo
	s_delay_alu instid0(VALU_DEP_1)
	v_cmpx_gt_u32_e64 s23, v16
	s_cbranch_execz .LBB1565_131
; %bb.126:
	s_and_not1_b32 vcc_lo, exec_lo, s7
	s_mov_b32 s0, 0
	s_cbranch_vccnz .LBB1565_130
; %bb.127:
	v_mul_u64_e32 v[16:17], s[18:19], v[2:3]
	s_wait_loadcnt_dscnt 0x1
	v_mul_u64_e32 v[20:21], s[18:19], v[4:5]
	s_add_nc_u64 s[0:1], s[18:19], -1
	s_mov_b32 s5, 0
                                        ; implicit-def: $sgpr27
	s_delay_alu instid0(VALU_DEP_2) | instskip(NEXT) | instid1(VALU_DEP_2)
	v_lshl_add_u64 v[16:17], v[16:17], 2, s[8:9]
	v_lshl_add_u64 v[20:21], v[20:21], 2, s[8:9]
.LBB1565_128:                           ; =>This Inner Loop Header: Depth=1
	global_load_b32 v19, v[16:17], off
	global_load_b32 v22, v[20:21], off
	s_cmp_eq_u64 s[0:1], 0
	s_add_nc_u64 s[28:29], s[0:1], -1
	s_cselect_b32 s1, -1, 0
	s_wait_xcnt 0x1
	v_add_nc_u64_e32 v[16:17], 4, v[16:17]
	s_wait_xcnt 0x0
	v_add_nc_u64_e32 v[20:21], 4, v[20:21]
	s_wait_loadcnt 0x0
	v_cmp_ne_u32_e32 vcc_lo, v19, v22
	v_cmp_eq_u32_e64 s0, v19, v22
	s_or_b32 s1, vcc_lo, s1
	s_delay_alu instid0(SALU_CYCLE_1) | instskip(NEXT) | instid1(SALU_CYCLE_1)
	s_and_b32 s1, exec_lo, s1
	s_or_b32 s5, s1, s5
	s_and_not1_b32 s27, s27, exec_lo
	s_and_b32 s30, s0, exec_lo
	s_mov_b64 s[0:1], s[28:29]
	s_or_b32 s27, s27, s30
	s_and_not1_b32 exec_lo, exec_lo, s5
	s_cbranch_execnz .LBB1565_128
; %bb.129:
	s_or_b32 exec_lo, exec_lo, s5
	s_xor_b32 s0, s27, -1
.LBB1565_130:
	s_delay_alu instid0(SALU_CYCLE_1)
	s_and_b32 s5, s0, exec_lo
.LBB1565_131:
	s_or_b32 exec_lo, exec_lo, s26
	v_add_nc_u32_e32 v16, 4, v1
	s_mov_b32 s26, 0
	s_mov_b32 s27, 0
	s_mov_b32 s28, exec_lo
	s_delay_alu instid0(VALU_DEP_1)
	v_cmpx_gt_u32_e64 s23, v16
	s_cbranch_execz .LBB1565_137
; %bb.132:
	s_and_not1_b32 vcc_lo, exec_lo, s7
	s_mov_b32 s0, 0
	s_cbranch_vccnz .LBB1565_136
; %bb.133:
	v_mul_u64_e32 v[16:17], s[18:19], v[8:9]
	s_wait_loadcnt_dscnt 0x1
	v_mul_u64_e32 v[20:21], s[18:19], v[2:3]
	s_add_nc_u64 s[0:1], s[18:19], -1
                                        ; implicit-def: $sgpr29
	s_delay_alu instid0(VALU_DEP_2) | instskip(NEXT) | instid1(VALU_DEP_2)
	v_lshl_add_u64 v[16:17], v[16:17], 2, s[8:9]
	v_lshl_add_u64 v[20:21], v[20:21], 2, s[8:9]
.LBB1565_134:                           ; =>This Inner Loop Header: Depth=1
	global_load_b32 v19, v[16:17], off
	global_load_b32 v22, v[20:21], off
	s_cmp_eq_u64 s[0:1], 0
	s_add_nc_u64 s[30:31], s[0:1], -1
	s_cselect_b32 s1, -1, 0
	s_wait_xcnt 0x1
	v_add_nc_u64_e32 v[16:17], 4, v[16:17]
	s_wait_xcnt 0x0
	v_add_nc_u64_e32 v[20:21], 4, v[20:21]
	s_wait_loadcnt 0x0
	v_cmp_ne_u32_e32 vcc_lo, v19, v22
	v_cmp_eq_u32_e64 s0, v19, v22
	s_or_b32 s1, vcc_lo, s1
	s_delay_alu instid0(SALU_CYCLE_1) | instskip(NEXT) | instid1(SALU_CYCLE_1)
	s_and_b32 s1, exec_lo, s1
	s_or_b32 s27, s1, s27
	s_and_not1_b32 s29, s29, exec_lo
	s_and_b32 s33, s0, exec_lo
	s_mov_b64 s[0:1], s[30:31]
	s_or_b32 s29, s29, s33
	s_and_not1_b32 exec_lo, exec_lo, s27
	s_cbranch_execnz .LBB1565_134
; %bb.135:
	s_or_b32 exec_lo, exec_lo, s27
	s_xor_b32 s0, s29, -1
.LBB1565_136:
	s_delay_alu instid0(SALU_CYCLE_1)
	s_and_b32 s27, s0, exec_lo
.LBB1565_137:
	s_or_b32 exec_lo, exec_lo, s28
	v_add_nc_u32_e32 v16, 3, v1
	s_mov_b32 s28, exec_lo
	s_delay_alu instid0(VALU_DEP_1)
	v_cmpx_gt_u32_e64 s23, v16
	s_cbranch_execz .LBB1565_143
; %bb.138:
	s_and_not1_b32 vcc_lo, exec_lo, s7
	s_mov_b32 s0, 0
	s_cbranch_vccnz .LBB1565_142
; %bb.139:
	v_mul_u64_e32 v[16:17], s[18:19], v[6:7]
	s_wait_loadcnt_dscnt 0x1
	v_mul_u64_e32 v[20:21], s[18:19], v[8:9]
	s_add_nc_u64 s[0:1], s[18:19], -1
	s_mov_b32 s26, 0
                                        ; implicit-def: $sgpr29
	s_delay_alu instid0(VALU_DEP_2) | instskip(NEXT) | instid1(VALU_DEP_2)
	v_lshl_add_u64 v[16:17], v[16:17], 2, s[8:9]
	v_lshl_add_u64 v[20:21], v[20:21], 2, s[8:9]
.LBB1565_140:                           ; =>This Inner Loop Header: Depth=1
	global_load_b32 v19, v[16:17], off
	global_load_b32 v22, v[20:21], off
	s_cmp_eq_u64 s[0:1], 0
	s_add_nc_u64 s[30:31], s[0:1], -1
	s_cselect_b32 s1, -1, 0
	s_wait_xcnt 0x1
	v_add_nc_u64_e32 v[16:17], 4, v[16:17]
	s_wait_xcnt 0x0
	v_add_nc_u64_e32 v[20:21], 4, v[20:21]
	s_wait_loadcnt 0x0
	v_cmp_ne_u32_e32 vcc_lo, v19, v22
	v_cmp_eq_u32_e64 s0, v19, v22
	s_or_b32 s1, vcc_lo, s1
	s_delay_alu instid0(SALU_CYCLE_1) | instskip(NEXT) | instid1(SALU_CYCLE_1)
	s_and_b32 s1, exec_lo, s1
	s_or_b32 s26, s1, s26
	s_and_not1_b32 s29, s29, exec_lo
	s_and_b32 s33, s0, exec_lo
	s_mov_b64 s[0:1], s[30:31]
	s_or_b32 s29, s29, s33
	s_and_not1_b32 exec_lo, exec_lo, s26
	s_cbranch_execnz .LBB1565_140
; %bb.141:
	s_or_b32 exec_lo, exec_lo, s26
	s_xor_b32 s0, s29, -1
.LBB1565_142:
	s_delay_alu instid0(SALU_CYCLE_1)
	s_and_b32 s26, s0, exec_lo
.LBB1565_143:
	s_or_b32 exec_lo, exec_lo, s28
	v_add_nc_u32_e32 v16, 2, v1
	s_mov_b32 s28, 0
	s_mov_b32 s29, 0
	s_mov_b32 s30, exec_lo
	s_delay_alu instid0(VALU_DEP_1)
	v_cmpx_gt_u32_e64 s23, v16
	s_cbranch_execz .LBB1565_149
; %bb.144:
	s_and_not1_b32 vcc_lo, exec_lo, s7
	s_mov_b32 s0, 0
	s_cbranch_vccnz .LBB1565_148
; %bb.145:
	v_mul_u64_e32 v[16:17], s[18:19], v[12:13]
	s_wait_loadcnt_dscnt 0x1
	v_mul_u64_e32 v[20:21], s[18:19], v[6:7]
	s_add_nc_u64 s[0:1], s[18:19], -1
                                        ; implicit-def: $sgpr31
	s_delay_alu instid0(VALU_DEP_2) | instskip(NEXT) | instid1(VALU_DEP_2)
	v_lshl_add_u64 v[16:17], v[16:17], 2, s[8:9]
	v_lshl_add_u64 v[20:21], v[20:21], 2, s[8:9]
.LBB1565_146:                           ; =>This Inner Loop Header: Depth=1
	global_load_b32 v19, v[16:17], off
	global_load_b32 v22, v[20:21], off
	s_cmp_eq_u64 s[0:1], 0
	s_add_nc_u64 s[34:35], s[0:1], -1
	s_cselect_b32 s1, -1, 0
	s_wait_xcnt 0x1
	v_add_nc_u64_e32 v[16:17], 4, v[16:17]
	s_wait_xcnt 0x0
	v_add_nc_u64_e32 v[20:21], 4, v[20:21]
	s_wait_loadcnt 0x0
	v_cmp_ne_u32_e32 vcc_lo, v19, v22
	v_cmp_eq_u32_e64 s0, v19, v22
	s_or_b32 s1, vcc_lo, s1
	s_delay_alu instid0(SALU_CYCLE_1) | instskip(NEXT) | instid1(SALU_CYCLE_1)
	s_and_b32 s1, exec_lo, s1
	s_or_b32 s29, s1, s29
	s_and_not1_b32 s31, s31, exec_lo
	s_and_b32 s33, s0, exec_lo
	s_mov_b64 s[0:1], s[34:35]
	s_or_b32 s31, s31, s33
	s_and_not1_b32 exec_lo, exec_lo, s29
	s_cbranch_execnz .LBB1565_146
; %bb.147:
	s_or_b32 exec_lo, exec_lo, s29
	s_xor_b32 s0, s31, -1
.LBB1565_148:
	s_delay_alu instid0(SALU_CYCLE_1)
	s_and_b32 s29, s0, exec_lo
.LBB1565_149:
	s_or_b32 exec_lo, exec_lo, s30
	v_add_nc_u32_e32 v16, 1, v1
	s_mov_b32 s30, exec_lo
	s_delay_alu instid0(VALU_DEP_1)
	v_cmpx_gt_u32_e64 s23, v16
	s_cbranch_execz .LBB1565_155
; %bb.150:
	s_and_not1_b32 vcc_lo, exec_lo, s7
	s_mov_b32 s0, 0
	s_cbranch_vccnz .LBB1565_154
; %bb.151:
	v_mul_u64_e32 v[16:17], s[18:19], v[10:11]
	s_wait_loadcnt_dscnt 0x1
	v_mul_u64_e32 v[20:21], s[18:19], v[12:13]
	s_add_nc_u64 s[0:1], s[18:19], -1
	s_mov_b32 s28, 0
                                        ; implicit-def: $sgpr31
	s_delay_alu instid0(VALU_DEP_2) | instskip(NEXT) | instid1(VALU_DEP_2)
	v_lshl_add_u64 v[16:17], v[16:17], 2, s[8:9]
	v_lshl_add_u64 v[20:21], v[20:21], 2, s[8:9]
.LBB1565_152:                           ; =>This Inner Loop Header: Depth=1
	global_load_b32 v19, v[16:17], off
	global_load_b32 v22, v[20:21], off
	s_cmp_eq_u64 s[0:1], 0
	s_add_nc_u64 s[34:35], s[0:1], -1
	s_cselect_b32 s1, -1, 0
	s_wait_xcnt 0x1
	v_add_nc_u64_e32 v[16:17], 4, v[16:17]
	s_wait_xcnt 0x0
	v_add_nc_u64_e32 v[20:21], 4, v[20:21]
	s_wait_loadcnt 0x0
	v_cmp_ne_u32_e32 vcc_lo, v19, v22
	v_cmp_eq_u32_e64 s0, v19, v22
	s_or_b32 s1, vcc_lo, s1
	s_delay_alu instid0(SALU_CYCLE_1) | instskip(NEXT) | instid1(SALU_CYCLE_1)
	s_and_b32 s1, exec_lo, s1
	s_or_b32 s28, s1, s28
	s_and_not1_b32 s31, s31, exec_lo
	s_and_b32 s33, s0, exec_lo
	s_mov_b64 s[0:1], s[34:35]
	s_or_b32 s31, s31, s33
	s_and_not1_b32 exec_lo, exec_lo, s28
	s_cbranch_execnz .LBB1565_152
; %bb.153:
	s_or_b32 exec_lo, exec_lo, s28
	s_xor_b32 s0, s31, -1
.LBB1565_154:
	s_delay_alu instid0(SALU_CYCLE_1)
	s_and_b32 s28, s0, exec_lo
.LBB1565_155:
	s_or_b32 exec_lo, exec_lo, s30
	v_cndmask_b32_e64 v17, 0, 1, s27
	v_cndmask_b32_e64 v30, 0, 1, s5
	;; [unrolled: 1-line block ×4, first 2 shown]
	s_wait_loadcnt_dscnt 0x1
	v_cndmask_b32_e64 v20, 0, 1, s26
	v_cndmask_b32_e64 v32, 0, 1, s28
	v_mov_b32_e32 v16, 1
	s_wait_dscnt 0x0
	s_barrier_signal -1
	s_barrier_wait -1
                                        ; implicit-def: $sgpr0
                                        ; implicit-def: $vgpr22
	s_and_saveexec_b32 s4, s3
	s_cbranch_execz .LBB1565_163
; %bb.156:
	v_lshlrev_b16 v21, 8, v32
	v_lshlrev_b16 v22, 8, v20
	s_mov_b32 s0, 0
	s_mov_b32 s3, exec_lo
	s_delay_alu instid0(VALU_DEP_1) | instskip(NEXT) | instid1(VALU_DEP_1)
	v_or_b32_e32 v22, v31, v22
	v_dual_lshlrev_b32 v22, 16, v22 :: v_dual_bitop2_b32 v21, 1, v21 bitop3:0x54
	s_delay_alu instid0(VALU_DEP_1) | instskip(NEXT) | instid1(VALU_DEP_1)
	v_and_b32_e32 v21, 0xffff, v21
	v_or_b32_e32 v21, v21, v22
	v_cmpx_gt_u32_e64 s23, v1
	s_cbranch_execz .LBB1565_162
; %bb.157:
	s_and_not1_b32 vcc_lo, exec_lo, s7
	s_cbranch_vccnz .LBB1565_161
; %bb.158:
	v_add_nc_u32_e32 v22, -8, v26
	v_mul_u64_e32 v[24:25], s[18:19], v[10:11]
	s_add_nc_u64 s[0:1], s[18:19], -1
	s_mov_b32 s5, 0
                                        ; implicit-def: $sgpr7
	ds_load_b64 v[22:23], v22
	s_wait_dscnt 0x0
	v_mul_u64_e32 v[22:23], s[18:19], v[22:23]
	v_lshl_add_u64 v[24:25], v[24:25], 2, s[8:9]
	s_delay_alu instid0(VALU_DEP_2)
	v_lshl_add_u64 v[22:23], v[22:23], 2, s[8:9]
.LBB1565_159:                           ; =>This Inner Loop Header: Depth=1
	global_load_b32 v26, v[22:23], off
	global_load_b32 v27, v[24:25], off
	s_cmp_eq_u64 s[0:1], 0
	s_add_nc_u64 s[8:9], s[0:1], -1
	s_cselect_b32 s1, -1, 0
	s_wait_xcnt 0x1
	v_add_nc_u64_e32 v[22:23], 4, v[22:23]
	s_wait_xcnt 0x0
	v_add_nc_u64_e32 v[24:25], 4, v[24:25]
	s_wait_loadcnt 0x0
	v_cmp_ne_u32_e32 vcc_lo, v26, v27
	v_cmp_eq_u32_e64 s0, v26, v27
	s_or_b32 s1, vcc_lo, s1
	s_delay_alu instid0(SALU_CYCLE_1) | instskip(NEXT) | instid1(SALU_CYCLE_1)
	s_and_b32 s1, exec_lo, s1
	s_or_b32 s5, s1, s5
	s_and_not1_b32 s7, s7, exec_lo
	s_and_b32 s18, s0, exec_lo
	s_mov_b64 s[0:1], s[8:9]
	s_or_b32 s7, s7, s18
	s_and_not1_b32 exec_lo, exec_lo, s5
	s_cbranch_execnz .LBB1565_159
; %bb.160:
	s_or_b32 exec_lo, exec_lo, s5
	s_xor_b32 s0, s7, -1
.LBB1565_161:
	s_delay_alu instid0(SALU_CYCLE_1)
	s_and_b32 s0, s0, exec_lo
.LBB1565_162:
	s_or_b32 exec_lo, exec_lo, s3
	s_delay_alu instid0(VALU_DEP_2)
	v_perm_b32 v22, v21, v21, 0x3020104
	s_or_b32 s6, s6, exec_lo
.LBB1565_163:
	s_or_b32 exec_lo, exec_lo, s4
.LBB1565_164:
	s_wait_xcnt 0x0
	s_and_saveexec_b32 s1, s6
	s_cbranch_execz .LBB1565_166
; %bb.165:
	s_wait_loadcnt_dscnt 0x0
	v_dual_lshrrev_b32 v20, 24, v22 :: v_dual_lshrrev_b32 v31, 16, v22
	v_lshrrev_b32_e32 v32, 8, v22
	v_cndmask_b32_e64 v16, 0, 1, s0
.LBB1565_166:
	s_or_b32 exec_lo, exec_lo, s1
	s_delay_alu instid0(SALU_CYCLE_1)
	s_and_not1_b32 vcc_lo, exec_lo, s24
	s_cbranch_vccnz .LBB1565_170
; %bb.167:
	s_delay_alu instid0(VALU_DEP_1)
	v_perm_b32 v16, v16, v32, 0xc0c0004
	s_wait_loadcnt_dscnt 0x0
	v_perm_b32 v20, v31, v20, 0xc0c0004
	v_cmp_gt_u32_e32 vcc_lo, s23, v1
	v_and_b32_e32 v19, 0xff, v19
	v_perm_b32 v17, v17, v30, 0xc0c0004
	v_add_nc_u32_e32 v21, 1, v1
	v_lshl_or_b32 v16, v20, 16, v16
	s_delay_alu instid0(VALU_DEP_4) | instskip(NEXT) | instid1(VALU_DEP_2)
	v_dual_add_nc_u32 v22, 4, v1 :: v_dual_lshlrev_b32 v19, 16, v19
	v_cndmask_b32_e32 v20, 0, v16, vcc_lo
	s_delay_alu instid0(VALU_DEP_4) | instskip(SKIP_1) | instid1(VALU_DEP_3)
	v_cmp_gt_u32_e32 vcc_lo, s23, v21
	v_add_nc_u32_e32 v21, 2, v1
	v_and_b32_e32 v20, 0xff, v20
	s_delay_alu instid0(VALU_DEP_1) | instskip(NEXT) | instid1(VALU_DEP_3)
	v_cndmask_b32_e32 v20, v20, v16, vcc_lo
	v_cmp_gt_u32_e32 vcc_lo, s23, v21
	s_delay_alu instid0(VALU_DEP_2) | instskip(SKIP_2) | instid1(VALU_DEP_3)
	v_and_b32_e32 v20, 0xffff, v20
	v_or_b32_e32 v23, v17, v19
	v_bitop3_b32 v17, v17, 0xffff00, v19 bitop3:0xc8
	v_cndmask_b32_e32 v19, v20, v16, vcc_lo
	v_cmp_gt_u32_e32 vcc_lo, s23, v22
	v_add_nc_u32_e32 v20, 5, v1
	s_delay_alu instid0(VALU_DEP_3) | instskip(SKIP_1) | instid1(VALU_DEP_3)
	v_and_b32_e32 v19, 0xffffff, v19
	v_dual_add_nc_u32 v21, 3, v1 :: v_dual_cndmask_b32 v17, v17, v23, vcc_lo
	v_cmp_gt_u32_e64 s0, s23, v20
	s_delay_alu instid0(VALU_DEP_2) | instskip(NEXT) | instid1(VALU_DEP_3)
	v_cmp_gt_u32_e64 s1, s23, v21
	v_and_b32_e32 v17, 0xffff00ff, v17
	s_or_b32 vcc_lo, s0, vcc_lo
	s_delay_alu instid0(VALU_DEP_1) | instskip(SKIP_1) | instid1(VALU_DEP_1)
	v_dual_cndmask_b32 v19, v19, v16, s1 :: v_dual_cndmask_b32 v17, v17, v23, s0
	s_mov_b32 s0, exec_lo
	v_dual_cndmask_b32 v16, v19, v16 :: v_dual_add_nc_u32 v1, 6, v1
	s_delay_alu instid0(VALU_DEP_2) | instskip(NEXT) | instid1(VALU_DEP_2)
	v_dual_lshrrev_b32 v30, 8, v17 :: v_dual_lshrrev_b32 v19, 16, v17
	v_lshrrev_b32_e32 v32, 8, v16
	v_lshrrev_b64 v[20:21], 24, v[16:17]
	v_lshrrev_b32_e32 v31, 16, v16
	v_cmpx_le_u32_e64 s23, v1
; %bb.168:
	v_mov_b32_e32 v19, 0
; %bb.169:
	s_or_b32 exec_lo, exec_lo, s0
.LBB1565_170:
	s_delay_alu instid0(VALU_DEP_1)
	v_and_b32_e32 v1, 0xff, v16
	s_wait_loadcnt_dscnt 0x0
	v_and_b32_e32 v21, 0xff, v32
	v_and_b32_e32 v33, 0xff, v31
	;; [unrolled: 1-line block ×4, first 2 shown]
	v_mbcnt_lo_u32_b32 v37, -1, 0
	v_and_b32_e32 v36, 0xff, v30
	v_add3_u32 v22, v21, v1, v33
	v_and_b32_e32 v23, 0xff, v19
	s_delay_alu instid0(VALU_DEP_4) | instskip(SKIP_1) | instid1(VALU_DEP_3)
	v_dual_lshrrev_b32 v38, 5, v0 :: v_dual_bitop2_b32 v24, 15, v37 bitop3:0x40
	s_and_b32 vcc_lo, exec_lo, s25
	v_add3_u32 v22, v22, v34, v35
	s_mov_b32 s7, -1
	s_delay_alu instid0(VALU_DEP_2) | instskip(SKIP_1) | instid1(VALU_DEP_3)
	v_cmp_eq_u32_e64 s0, 0, v24
	v_cmp_lt_u32_e64 s3, 1, v24
	v_add3_u32 v39, v22, v36, v23
	v_and_b32_e32 v22, 16, v37
	v_or_b32_e32 v23, 31, v0
	v_cmp_lt_u32_e64 s4, 3, v24
	v_cmp_lt_u32_e64 s1, 7, v24
	s_barrier_signal -1
	v_cmp_eq_u32_e64 s6, 0, v22
	v_cmp_eq_u32_e64 s5, v0, v23
	s_barrier_wait -1
                                        ; implicit-def: $vgpr25
                                        ; implicit-def: $vgpr26
                                        ; implicit-def: $vgpr27
                                        ; implicit-def: $vgpr28
                                        ; implicit-def: $vgpr29
                                        ; implicit-def: $vgpr40
                                        ; implicit-def: $vgpr41
                                        ; implicit-def: $vgpr24
                                        ; implicit-def: $vgpr22
	s_cbranch_vccz .LBB1565_197
; %bb.171:
	v_mov_b32_dpp v22, v39 row_shr:1 row_mask:0xf bank_mask:0xf
	s_delay_alu instid0(VALU_DEP_1) | instskip(NEXT) | instid1(VALU_DEP_1)
	v_cndmask_b32_e64 v22, v22, 0, s0
	v_add_nc_u32_e32 v22, v22, v39
	s_delay_alu instid0(VALU_DEP_1) | instskip(NEXT) | instid1(VALU_DEP_1)
	v_mov_b32_dpp v23, v22 row_shr:2 row_mask:0xf bank_mask:0xf
	v_cndmask_b32_e64 v23, 0, v23, s3
	s_delay_alu instid0(VALU_DEP_1) | instskip(NEXT) | instid1(VALU_DEP_1)
	v_add_nc_u32_e32 v22, v22, v23
	v_mov_b32_dpp v23, v22 row_shr:4 row_mask:0xf bank_mask:0xf
	s_delay_alu instid0(VALU_DEP_1) | instskip(NEXT) | instid1(VALU_DEP_1)
	v_cndmask_b32_e64 v23, 0, v23, s4
	v_add_nc_u32_e32 v22, v22, v23
	s_delay_alu instid0(VALU_DEP_1) | instskip(NEXT) | instid1(VALU_DEP_1)
	v_mov_b32_dpp v23, v22 row_shr:8 row_mask:0xf bank_mask:0xf
	v_cndmask_b32_e64 v23, 0, v23, s1
	s_delay_alu instid0(VALU_DEP_1) | instskip(SKIP_3) | instid1(VALU_DEP_1)
	v_add_nc_u32_e32 v22, v22, v23
	ds_swizzle_b32 v23, v22 offset:swizzle(BROADCAST,32,15)
	s_wait_dscnt 0x0
	v_cndmask_b32_e64 v23, v23, 0, s6
	v_add_nc_u32_e32 v22, v22, v23
	s_and_saveexec_b32 s7, s5
; %bb.172:
	v_lshlrev_b32_e32 v23, 2, v38
	ds_store_b32 v23, v22
; %bb.173:
	s_or_b32 exec_lo, exec_lo, s7
	s_delay_alu instid0(SALU_CYCLE_1)
	s_mov_b32 s7, exec_lo
	s_wait_dscnt 0x0
	s_barrier_signal -1
	s_barrier_wait -1
	v_cmpx_gt_u32_e32 16, v0
	s_cbranch_execz .LBB1565_175
; %bb.174:
	v_lshlrev_b32_e32 v23, 2, v0
	ds_load_b32 v24, v23
	s_wait_dscnt 0x0
	v_mov_b32_dpp v25, v24 row_shr:1 row_mask:0xf bank_mask:0xf
	s_delay_alu instid0(VALU_DEP_1) | instskip(NEXT) | instid1(VALU_DEP_1)
	v_cndmask_b32_e64 v25, v25, 0, s0
	v_add_nc_u32_e32 v24, v25, v24
	s_delay_alu instid0(VALU_DEP_1) | instskip(NEXT) | instid1(VALU_DEP_1)
	v_mov_b32_dpp v25, v24 row_shr:2 row_mask:0xf bank_mask:0xf
	v_cndmask_b32_e64 v25, 0, v25, s3
	s_delay_alu instid0(VALU_DEP_1) | instskip(NEXT) | instid1(VALU_DEP_1)
	v_add_nc_u32_e32 v24, v24, v25
	v_mov_b32_dpp v25, v24 row_shr:4 row_mask:0xf bank_mask:0xf
	s_delay_alu instid0(VALU_DEP_1) | instskip(NEXT) | instid1(VALU_DEP_1)
	v_cndmask_b32_e64 v25, 0, v25, s4
	v_add_nc_u32_e32 v24, v24, v25
	s_delay_alu instid0(VALU_DEP_1) | instskip(NEXT) | instid1(VALU_DEP_1)
	v_mov_b32_dpp v25, v24 row_shr:8 row_mask:0xf bank_mask:0xf
	v_cndmask_b32_e64 v25, 0, v25, s1
	s_delay_alu instid0(VALU_DEP_1)
	v_add_nc_u32_e32 v24, v24, v25
	ds_store_b32 v23, v24
.LBB1565_175:
	s_or_b32 exec_lo, exec_lo, s7
	s_delay_alu instid0(SALU_CYCLE_1)
	s_mov_b32 s8, exec_lo
	v_cmp_gt_u32_e32 vcc_lo, 32, v0
	s_wait_dscnt 0x0
	s_barrier_signal -1
	s_barrier_wait -1
                                        ; implicit-def: $vgpr40
	v_cmpx_lt_u32_e32 31, v0
	s_cbranch_execz .LBB1565_177
; %bb.176:
	v_lshl_add_u32 v23, v38, 2, -4
	ds_load_b32 v40, v23
	s_wait_dscnt 0x0
	v_add_nc_u32_e32 v22, v40, v22
.LBB1565_177:
	s_or_b32 exec_lo, exec_lo, s8
	v_sub_co_u32 v23, s7, v37, 1
	s_delay_alu instid0(VALU_DEP_1) | instskip(NEXT) | instid1(VALU_DEP_1)
	v_cmp_gt_i32_e64 s8, 0, v23
	v_cndmask_b32_e64 v23, v23, v37, s8
	s_delay_alu instid0(VALU_DEP_1)
	v_lshlrev_b32_e32 v23, 2, v23
	ds_bpermute_b32 v41, v23, v22
	s_and_saveexec_b32 s8, vcc_lo
	s_cbranch_execz .LBB1565_196
; %bb.178:
	v_mov_b32_e32 v29, 0
	ds_load_b32 v22, v29 offset:60
	s_and_saveexec_b32 s9, s7
	s_cbranch_execz .LBB1565_180
; %bb.179:
	s_add_co_i32 s18, s22, 32
	s_delay_alu instid0(SALU_CYCLE_1)
	v_dual_mov_b32 v23, 1 :: v_dual_mov_b32 v24, s18
	s_wait_dscnt 0x0
	global_store_b64 v24, v[22:23], s[10:11] scale_offset scope:SCOPE_DEV
.LBB1565_180:
	s_wait_xcnt 0x0
	s_or_b32 exec_lo, exec_lo, s9
	v_xad_u32 v24, v37, -1, s22
	s_mov_b32 s18, 0
	s_mov_b32 s9, exec_lo
	s_delay_alu instid0(VALU_DEP_1) | instskip(SKIP_4) | instid1(VALU_DEP_1)
	v_add_nc_u32_e32 v28, 32, v24
	global_load_b64 v[26:27], v28, s[10:11] scale_offset scope:SCOPE_DEV
	s_wait_loadcnt 0x0
	v_and_b32_e32 v23, 0xff, v27
	s_wait_xcnt 0x0
	v_cmpx_eq_u16_e32 0, v23
	s_cbranch_execz .LBB1565_184
; %bb.181:
	v_lshl_add_u64 v[28:29], v[28:29], 3, s[10:11]
.LBB1565_182:                           ; =>This Inner Loop Header: Depth=1
	global_load_b64 v[26:27], v[28:29], off scope:SCOPE_DEV
	s_wait_loadcnt 0x0
	v_and_b32_e32 v23, 0xff, v27
	s_delay_alu instid0(VALU_DEP_1)
	v_cmp_ne_u16_e32 vcc_lo, 0, v23
	s_or_b32 s18, vcc_lo, s18
	s_wait_xcnt 0x0
	s_and_not1_b32 exec_lo, exec_lo, s18
	s_cbranch_execnz .LBB1565_182
; %bb.183:
	s_or_b32 exec_lo, exec_lo, s18
.LBB1565_184:
	s_delay_alu instid0(SALU_CYCLE_1)
	s_or_b32 exec_lo, exec_lo, s9
	v_cmp_ne_u32_e32 vcc_lo, 31, v37
	v_lshlrev_b32_e64 v43, v37, -1
	v_lshl_or_b32 v50, v37, 2, 64
	v_dual_add_nc_u32 v45, 2, v37 :: v_dual_add_nc_u32 v47, 4, v37
	v_add_co_ci_u32_e64 v23, null, 0, v37, vcc_lo
	v_dual_add_nc_u32 v49, 8, v37 :: v_dual_add_nc_u32 v51, 16, v37
	s_delay_alu instid0(VALU_DEP_2)
	v_lshlrev_b32_e32 v42, 2, v23
	v_and_b32_e32 v23, 0xff, v27
	ds_bpermute_b32 v25, v42, v26
	v_cmp_eq_u16_e32 vcc_lo, 2, v23
	v_and_or_b32 v23, vcc_lo, v43, 0x80000000
	v_cmp_gt_u32_e32 vcc_lo, 30, v37
	s_delay_alu instid0(VALU_DEP_2) | instskip(SKIP_1) | instid1(VALU_DEP_2)
	v_ctz_i32_b32_e32 v23, v23
	v_cndmask_b32_e64 v28, 0, 2, vcc_lo
	v_cmp_lt_u32_e32 vcc_lo, v37, v23
	s_delay_alu instid0(VALU_DEP_2) | instskip(SKIP_3) | instid1(VALU_DEP_2)
	v_add_lshl_u32 v44, v28, v37, 2
	s_wait_dscnt 0x0
	v_cndmask_b32_e32 v25, 0, v25, vcc_lo
	v_cmp_gt_u32_e32 vcc_lo, 28, v37
	v_add_nc_u32_e32 v25, v25, v26
	v_cndmask_b32_e64 v28, 0, 4, vcc_lo
	v_cmp_le_u32_e32 vcc_lo, v45, v23
	ds_bpermute_b32 v26, v44, v25
	v_add_lshl_u32 v46, v28, v37, 2
	s_wait_dscnt 0x0
	v_cndmask_b32_e32 v26, 0, v26, vcc_lo
	v_cmp_gt_u32_e32 vcc_lo, 24, v37
	v_cndmask_b32_e64 v28, 0, 8, vcc_lo
	v_cmp_le_u32_e32 vcc_lo, v47, v23
	s_delay_alu instid0(VALU_DEP_4) | instskip(NEXT) | instid1(VALU_DEP_3)
	v_add_nc_u32_e32 v25, v25, v26
	v_add_lshl_u32 v48, v28, v37, 2
	ds_bpermute_b32 v26, v46, v25
	s_wait_dscnt 0x0
	v_cndmask_b32_e32 v26, 0, v26, vcc_lo
	v_cmp_le_u32_e32 vcc_lo, v49, v23
	s_delay_alu instid0(VALU_DEP_2) | instskip(SKIP_4) | instid1(VALU_DEP_2)
	v_add_nc_u32_e32 v25, v25, v26
	ds_bpermute_b32 v26, v48, v25
	s_wait_dscnt 0x0
	v_cndmask_b32_e32 v26, 0, v26, vcc_lo
	v_cmp_le_u32_e32 vcc_lo, v51, v23
	v_add_nc_u32_e32 v25, v25, v26
	ds_bpermute_b32 v26, v50, v25
	s_wait_dscnt 0x0
	v_cndmask_b32_e32 v23, 0, v26, vcc_lo
	s_delay_alu instid0(VALU_DEP_1)
	v_dual_mov_b32 v25, 0 :: v_dual_add_nc_u32 v26, v25, v23
	s_branch .LBB1565_187
.LBB1565_185:                           ;   in Loop: Header=BB1565_187 Depth=1
	s_or_b32 exec_lo, exec_lo, s9
	v_and_b32_e32 v28, 0xff, v27
	ds_bpermute_b32 v29, v42, v26
	v_subrev_nc_u32_e32 v24, 32, v24
	s_mov_b32 s9, 0
	v_cmp_eq_u16_e32 vcc_lo, 2, v28
	v_and_or_b32 v28, vcc_lo, v43, 0x80000000
	s_delay_alu instid0(VALU_DEP_1) | instskip(NEXT) | instid1(VALU_DEP_1)
	v_ctz_i32_b32_e32 v28, v28
	v_cmp_lt_u32_e32 vcc_lo, v37, v28
	s_wait_dscnt 0x0
	v_cndmask_b32_e32 v29, 0, v29, vcc_lo
	v_cmp_le_u32_e32 vcc_lo, v45, v28
	s_delay_alu instid0(VALU_DEP_2) | instskip(SKIP_4) | instid1(VALU_DEP_2)
	v_add_nc_u32_e32 v26, v29, v26
	ds_bpermute_b32 v29, v44, v26
	s_wait_dscnt 0x0
	v_cndmask_b32_e32 v29, 0, v29, vcc_lo
	v_cmp_le_u32_e32 vcc_lo, v47, v28
	v_add_nc_u32_e32 v26, v26, v29
	ds_bpermute_b32 v29, v46, v26
	s_wait_dscnt 0x0
	v_cndmask_b32_e32 v29, 0, v29, vcc_lo
	v_cmp_le_u32_e32 vcc_lo, v49, v28
	s_delay_alu instid0(VALU_DEP_2) | instskip(SKIP_4) | instid1(VALU_DEP_2)
	v_add_nc_u32_e32 v26, v26, v29
	ds_bpermute_b32 v29, v48, v26
	s_wait_dscnt 0x0
	v_cndmask_b32_e32 v29, 0, v29, vcc_lo
	v_cmp_le_u32_e32 vcc_lo, v51, v28
	v_add_nc_u32_e32 v26, v26, v29
	ds_bpermute_b32 v29, v50, v26
	s_wait_dscnt 0x0
	v_cndmask_b32_e32 v28, 0, v29, vcc_lo
	s_delay_alu instid0(VALU_DEP_1)
	v_add3_u32 v26, v28, v23, v26
.LBB1565_186:                           ;   in Loop: Header=BB1565_187 Depth=1
	s_and_b32 vcc_lo, exec_lo, s9
	s_cbranch_vccnz .LBB1565_192
.LBB1565_187:                           ; =>This Loop Header: Depth=1
                                        ;     Child Loop BB1565_190 Depth 2
	v_and_b32_e32 v23, 0xff, v27
	s_mov_b32 s9, -1
                                        ; implicit-def: $vgpr27
	s_delay_alu instid0(VALU_DEP_1)
	v_cmp_ne_u16_e32 vcc_lo, 2, v23
	v_mov_b32_e32 v23, v26
                                        ; implicit-def: $vgpr26
	s_cmp_lg_u32 vcc_lo, exec_lo
	s_cbranch_scc1 .LBB1565_186
; %bb.188:                              ;   in Loop: Header=BB1565_187 Depth=1
	global_load_b64 v[26:27], v24, s[10:11] scale_offset scope:SCOPE_DEV
	s_mov_b32 s9, exec_lo
	s_wait_loadcnt 0x0
	v_and_b32_e32 v28, 0xff, v27
	s_wait_xcnt 0x0
	s_delay_alu instid0(VALU_DEP_1)
	v_cmpx_eq_u16_e32 0, v28
	s_cbranch_execz .LBB1565_185
; %bb.189:                              ;   in Loop: Header=BB1565_187 Depth=1
	v_lshl_add_u64 v[28:29], v[24:25], 3, s[10:11]
	s_mov_b32 s18, 0
.LBB1565_190:                           ;   Parent Loop BB1565_187 Depth=1
                                        ; =>  This Inner Loop Header: Depth=2
	global_load_b64 v[26:27], v[28:29], off scope:SCOPE_DEV
	s_wait_loadcnt 0x0
	v_and_b32_e32 v52, 0xff, v27
	s_delay_alu instid0(VALU_DEP_1)
	v_cmp_ne_u16_e32 vcc_lo, 0, v52
	s_or_b32 s18, vcc_lo, s18
	s_wait_xcnt 0x0
	s_and_not1_b32 exec_lo, exec_lo, s18
	s_cbranch_execnz .LBB1565_190
; %bb.191:                              ;   in Loop: Header=BB1565_187 Depth=1
	s_or_b32 exec_lo, exec_lo, s18
	s_branch .LBB1565_185
.LBB1565_192:
	s_and_saveexec_b32 s9, s7
	s_cbranch_execz .LBB1565_194
; %bb.193:
	s_add_co_i32 s18, s22, 32
	v_dual_mov_b32 v25, 2 :: v_dual_add_nc_u32 v24, v23, v22
	v_dual_mov_b32 v26, s18 :: v_dual_mov_b32 v27, 0
	global_store_b64 v26, v[24:25], s[10:11] scale_offset scope:SCOPE_DEV
	ds_store_b64 v27, v[22:23] offset:28672
.LBB1565_194:
	s_wait_xcnt 0x0
	s_or_b32 exec_lo, exec_lo, s9
	s_delay_alu instid0(SALU_CYCLE_1)
	s_and_b32 exec_lo, exec_lo, s2
; %bb.195:
	v_mov_b32_e32 v22, 0
	ds_store_b32 v22, v23 offset:60
.LBB1565_196:
	s_or_b32 exec_lo, exec_lo, s8
	s_wait_dscnt 0x0
	v_dual_mov_b32 v22, 0 :: v_dual_cndmask_b32 v24, v41, v40, s7
	s_wait_storecnt 0x0
	s_barrier_signal -1
	s_barrier_wait -1
	ds_load_b32 v23, v22 offset:60
	v_cndmask_b32_e64 v24, v24, 0, s2
	s_wait_dscnt 0x0
	s_barrier_signal -1
	s_barrier_wait -1
	s_mov_b32 s7, 0
	v_add_nc_u32_e32 v41, v23, v24
	ds_load_b64 v[22:23], v22 offset:28672
	v_add_nc_u32_e32 v40, v41, v1
	s_delay_alu instid0(VALU_DEP_1) | instskip(NEXT) | instid1(VALU_DEP_1)
	v_add_nc_u32_e32 v29, v40, v21
	v_add_nc_u32_e32 v28, v29, v33
	s_wait_dscnt 0x0
	s_delay_alu instid0(VALU_DEP_1) | instskip(NEXT) | instid1(VALU_DEP_1)
	v_dual_mov_b32 v24, v23 :: v_dual_add_nc_u32 v27, v28, v34
	v_add_nc_u32_e32 v26, v27, v35
	s_delay_alu instid0(VALU_DEP_1)
	v_add_nc_u32_e32 v25, v26, v36
.LBB1565_197:
	s_and_b32 vcc_lo, exec_lo, s7
	s_cbranch_vccz .LBB1565_207
; %bb.198:
	v_mov_b32_dpp v22, v39 row_shr:1 row_mask:0xf bank_mask:0xf
	s_delay_alu instid0(VALU_DEP_1) | instskip(NEXT) | instid1(VALU_DEP_1)
	v_cndmask_b32_e64 v22, v22, 0, s0
	v_add_nc_u32_e32 v22, v22, v39
	s_delay_alu instid0(VALU_DEP_1) | instskip(NEXT) | instid1(VALU_DEP_1)
	v_mov_b32_dpp v23, v22 row_shr:2 row_mask:0xf bank_mask:0xf
	v_cndmask_b32_e64 v23, 0, v23, s3
	s_delay_alu instid0(VALU_DEP_1) | instskip(NEXT) | instid1(VALU_DEP_1)
	v_add_nc_u32_e32 v22, v22, v23
	v_mov_b32_dpp v23, v22 row_shr:4 row_mask:0xf bank_mask:0xf
	s_delay_alu instid0(VALU_DEP_1) | instskip(NEXT) | instid1(VALU_DEP_1)
	v_cndmask_b32_e64 v23, 0, v23, s4
	v_add_nc_u32_e32 v22, v22, v23
	s_delay_alu instid0(VALU_DEP_1) | instskip(NEXT) | instid1(VALU_DEP_1)
	v_mov_b32_dpp v23, v22 row_shr:8 row_mask:0xf bank_mask:0xf
	v_cndmask_b32_e64 v23, 0, v23, s1
	s_delay_alu instid0(VALU_DEP_1) | instskip(SKIP_3) | instid1(VALU_DEP_1)
	v_add_nc_u32_e32 v22, v22, v23
	ds_swizzle_b32 v23, v22 offset:swizzle(BROADCAST,32,15)
	s_wait_dscnt 0x0
	v_cndmask_b32_e64 v23, v23, 0, s6
	v_add_nc_u32_e32 v22, v22, v23
	s_and_saveexec_b32 s6, s5
; %bb.199:
	v_lshlrev_b32_e32 v23, 2, v38
	ds_store_b32 v23, v22
; %bb.200:
	s_or_b32 exec_lo, exec_lo, s6
	s_delay_alu instid0(SALU_CYCLE_1)
	s_mov_b32 s5, exec_lo
	s_wait_dscnt 0x0
	s_barrier_signal -1
	s_barrier_wait -1
	v_cmpx_gt_u32_e32 16, v0
	s_cbranch_execz .LBB1565_202
; %bb.201:
	v_lshlrev_b32_e32 v23, 2, v0
	ds_load_b32 v24, v23
	s_wait_dscnt 0x0
	v_mov_b32_dpp v25, v24 row_shr:1 row_mask:0xf bank_mask:0xf
	s_delay_alu instid0(VALU_DEP_1) | instskip(NEXT) | instid1(VALU_DEP_1)
	v_cndmask_b32_e64 v25, v25, 0, s0
	v_add_nc_u32_e32 v24, v25, v24
	s_delay_alu instid0(VALU_DEP_1) | instskip(NEXT) | instid1(VALU_DEP_1)
	v_mov_b32_dpp v25, v24 row_shr:2 row_mask:0xf bank_mask:0xf
	v_cndmask_b32_e64 v25, 0, v25, s3
	s_delay_alu instid0(VALU_DEP_1) | instskip(NEXT) | instid1(VALU_DEP_1)
	v_add_nc_u32_e32 v24, v24, v25
	v_mov_b32_dpp v25, v24 row_shr:4 row_mask:0xf bank_mask:0xf
	s_delay_alu instid0(VALU_DEP_1) | instskip(NEXT) | instid1(VALU_DEP_1)
	v_cndmask_b32_e64 v25, 0, v25, s4
	v_add_nc_u32_e32 v24, v24, v25
	s_delay_alu instid0(VALU_DEP_1) | instskip(NEXT) | instid1(VALU_DEP_1)
	v_mov_b32_dpp v25, v24 row_shr:8 row_mask:0xf bank_mask:0xf
	v_cndmask_b32_e64 v25, 0, v25, s1
	s_delay_alu instid0(VALU_DEP_1)
	v_add_nc_u32_e32 v24, v24, v25
	ds_store_b32 v23, v24
.LBB1565_202:
	s_or_b32 exec_lo, exec_lo, s5
	v_dual_mov_b32 v23, 0 :: v_dual_mov_b32 v24, 0
	s_mov_b32 s0, exec_lo
	s_wait_dscnt 0x0
	s_barrier_signal -1
	s_barrier_wait -1
	v_cmpx_lt_u32_e32 31, v0
; %bb.203:
	v_lshl_add_u32 v24, v38, 2, -4
	ds_load_b32 v24, v24
; %bb.204:
	s_or_b32 exec_lo, exec_lo, s0
	v_sub_co_u32 v25, vcc_lo, v37, 1
	s_wait_dscnt 0x0
	v_add_nc_u32_e32 v22, v24, v22
	s_delay_alu instid0(VALU_DEP_2) | instskip(NEXT) | instid1(VALU_DEP_1)
	v_cmp_gt_i32_e64 s0, 0, v25
	v_cndmask_b32_e64 v25, v25, v37, s0
	s_delay_alu instid0(VALU_DEP_1)
	v_lshlrev_b32_e32 v25, 2, v25
	ds_bpermute_b32 v25, v25, v22
	ds_load_b32 v22, v23 offset:60
	s_and_saveexec_b32 s0, s2
	s_cbranch_execz .LBB1565_206
; %bb.205:
	v_dual_mov_b32 v26, 0 :: v_dual_mov_b32 v23, 2
	s_wait_dscnt 0x0
	global_store_b64 v26, v[22:23], s[10:11] offset:256 scope:SCOPE_DEV
.LBB1565_206:
	s_wait_xcnt 0x0
	s_or_b32 exec_lo, exec_lo, s0
	s_wait_dscnt 0x1
	v_cndmask_b32_e32 v23, v25, v24, vcc_lo
	s_wait_storecnt_dscnt 0x0
	s_barrier_signal -1
	s_barrier_wait -1
	s_delay_alu instid0(VALU_DEP_1) | instskip(NEXT) | instid1(VALU_DEP_1)
	v_cndmask_b32_e64 v41, v23, 0, s2
	v_dual_mov_b32 v24, 0 :: v_dual_add_nc_u32 v40, v41, v1
	s_delay_alu instid0(VALU_DEP_1) | instskip(NEXT) | instid1(VALU_DEP_1)
	v_add_nc_u32_e32 v29, v40, v21
	v_add_nc_u32_e32 v28, v29, v33
	s_delay_alu instid0(VALU_DEP_1) | instskip(NEXT) | instid1(VALU_DEP_1)
	v_add_nc_u32_e32 v27, v28, v34
	v_add_nc_u32_e32 v26, v27, v35
	s_delay_alu instid0(VALU_DEP_1)
	v_add_nc_u32_e32 v25, v26, v36
.LBB1565_207:
	v_and_b32_e32 v1, 1, v16
	v_cmp_gt_u32_e32 vcc_lo, 0x201, v22
	s_mov_b32 s1, -1
	s_delay_alu instid0(VALU_DEP_2)
	v_cmp_eq_u32_e64 s0, 1, v1
	s_cbranch_vccnz .LBB1565_211
; %bb.208:
	s_and_b32 vcc_lo, exec_lo, s1
	s_cbranch_vccnz .LBB1565_226
.LBB1565_209:
	s_and_b32 s0, s2, s16
	s_delay_alu instid0(SALU_CYCLE_1)
	s_and_saveexec_b32 s1, s0
	s_cbranch_execnz .LBB1565_243
.LBB1565_210:
	s_endpgm
.LBB1565_211:
	v_add_nc_u32_e32 v16, v24, v22
	s_delay_alu instid0(VALU_DEP_1) | instskip(SKIP_1) | instid1(SALU_CYCLE_1)
	v_cmp_lt_u32_e32 vcc_lo, v41, v16
	s_or_b32 s1, s17, vcc_lo
	s_and_b32 s1, s1, s0
	s_delay_alu instid0(SALU_CYCLE_1)
	s_and_saveexec_b32 s0, s1
	s_cbranch_execz .LBB1565_213
; %bb.212:
	s_lshl_b64 s[4:5], s[14:15], 3
	s_delay_alu instid0(SALU_CYCLE_1)
	s_add_nc_u64 s[4:5], s[20:21], s[4:5]
	global_store_b64 v41, v[10:11], s[4:5] scale_offset
.LBB1565_213:
	s_wait_xcnt 0x0
	s_or_b32 exec_lo, exec_lo, s0
	v_and_b32_e32 v21, 1, v32
	v_cmp_lt_u32_e32 vcc_lo, v40, v16
	s_delay_alu instid0(VALU_DEP_2) | instskip(SKIP_1) | instid1(SALU_CYCLE_1)
	v_cmp_eq_u32_e64 s0, 1, v21
	s_or_b32 s1, s17, vcc_lo
	s_and_b32 s1, s1, s0
	s_delay_alu instid0(SALU_CYCLE_1)
	s_and_saveexec_b32 s0, s1
	s_cbranch_execz .LBB1565_215
; %bb.214:
	s_lshl_b64 s[4:5], s[14:15], 3
	s_delay_alu instid0(SALU_CYCLE_1)
	s_add_nc_u64 s[4:5], s[20:21], s[4:5]
	global_store_b64 v40, v[12:13], s[4:5] scale_offset
.LBB1565_215:
	s_wait_xcnt 0x0
	s_or_b32 exec_lo, exec_lo, s0
	v_and_b32_e32 v21, 1, v31
	v_cmp_lt_u32_e32 vcc_lo, v29, v16
	s_delay_alu instid0(VALU_DEP_2) | instskip(SKIP_1) | instid1(SALU_CYCLE_1)
	v_cmp_eq_u32_e64 s0, 1, v21
	;; [unrolled: 17-line block ×6, first 2 shown]
	s_or_b32 s1, s17, vcc_lo
	s_and_b32 s1, s1, s0
	s_delay_alu instid0(SALU_CYCLE_1)
	s_and_saveexec_b32 s0, s1
	s_cbranch_execz .LBB1565_225
; %bb.224:
	s_lshl_b64 s[4:5], s[14:15], 3
	s_delay_alu instid0(SALU_CYCLE_1)
	s_add_nc_u64 s[4:5], s[20:21], s[4:5]
	global_store_b64 v25, v[14:15], s[4:5] scale_offset
.LBB1565_225:
	s_wait_xcnt 0x0
	s_or_b32 exec_lo, exec_lo, s0
	s_branch .LBB1565_209
.LBB1565_226:
	s_mov_b32 s0, exec_lo
	v_cmpx_eq_u32_e32 1, v1
; %bb.227:
	v_sub_nc_u32_e32 v1, v41, v24
	s_delay_alu instid0(VALU_DEP_1)
	v_lshlrev_b32_e32 v1, 3, v1
	ds_store_b64 v1, v[10:11]
; %bb.228:
	s_or_b32 exec_lo, exec_lo, s0
	v_and_b32_e32 v1, 1, v32
	s_mov_b32 s0, exec_lo
	s_delay_alu instid0(VALU_DEP_1)
	v_cmpx_eq_u32_e32 1, v1
; %bb.229:
	v_sub_nc_u32_e32 v1, v40, v24
	s_delay_alu instid0(VALU_DEP_1)
	v_lshlrev_b32_e32 v1, 3, v1
	ds_store_b64 v1, v[12:13]
; %bb.230:
	s_or_b32 exec_lo, exec_lo, s0
	v_and_b32_e32 v1, 1, v31
	s_mov_b32 s0, exec_lo
	s_delay_alu instid0(VALU_DEP_1)
	;; [unrolled: 11-line block ×6, first 2 shown]
	v_cmpx_eq_u32_e32 1, v1
; %bb.239:
	v_sub_nc_u32_e32 v1, v25, v24
	s_delay_alu instid0(VALU_DEP_1)
	v_lshlrev_b32_e32 v1, 3, v1
	ds_store_b64 v1, v[14:15]
; %bb.240:
	s_or_b32 exec_lo, exec_lo, s0
	v_mov_b32_e32 v25, 0
	s_lshl_b64 s[0:1], s[14:15], 3
	s_wait_storecnt_dscnt 0x0
	s_barrier_signal -1
	s_barrier_wait -1
	v_lshlrev_b64_e32 v[2:3], 3, v[24:25]
	v_mov_b32_e32 v19, v25
	s_delay_alu instid0(VALU_DEP_2) | instskip(SKIP_1) | instid1(VALU_DEP_1)
	v_add_nc_u64_e32 v[2:3], s[0:1], v[2:3]
	s_mov_b32 s0, 0
	v_add_nc_u64_e32 v[2:3], s[20:21], v[2:3]
	s_delay_alu instid0(VALU_DEP_1)
	v_add_nc_u64_e32 v[2:3], v[2:3], v[18:19]
.LBB1565_241:                           ; =>This Inner Loop Header: Depth=1
	ds_load_b64 v[4:5], v18
	v_add_nc_u32_e32 v0, 0x200, v0
	v_add_nc_u32_e32 v18, 0x1000, v18
	s_delay_alu instid0(VALU_DEP_2)
	v_cmp_ge_u32_e32 vcc_lo, v0, v22
	s_or_b32 s0, vcc_lo, s0
	s_wait_dscnt 0x0
	global_store_b64 v[2:3], v[4:5], off
	s_wait_xcnt 0x0
	v_add_nc_u64_e32 v[2:3], 0x1000, v[2:3]
	s_and_not1_b32 exec_lo, exec_lo, s0
	s_cbranch_execnz .LBB1565_241
; %bb.242:
	s_or_b32 exec_lo, exec_lo, s0
	s_and_b32 s0, s2, s16
	s_delay_alu instid0(SALU_CYCLE_1)
	s_and_saveexec_b32 s1, s0
	s_cbranch_execz .LBB1565_210
.LBB1565_243:
	v_mov_b32_e32 v23, 0
	s_delay_alu instid0(VALU_DEP_1) | instskip(SKIP_1) | instid1(VALU_DEP_1)
	v_add_nc_u64_e32 v[0:1], s[14:15], v[22:23]
	v_mov_b32_e32 v25, v23
	v_add_nc_u64_e32 v[0:1], v[0:1], v[24:25]
	global_store_b64 v23, v[0:1], s[12:13]
	s_endpgm
	.section	.rodata,"a",@progbits
	.p2align	6, 0x0
	.amdhsa_kernel _ZN7rocprim17ROCPRIM_400000_NS6detail17trampoline_kernelINS0_14default_configENS1_25partition_config_selectorILNS1_17partition_subalgoE8ElNS0_10empty_typeEbEEZZNS1_14partition_implILS5_8ELb0ES3_jPlPS6_PKS6_NS0_5tupleIJS9_S6_EEENSD_IJSA_SA_EEENS0_18inequality_wrapperIZN2at6native12_GLOBAL__N_124unique_dim_cuda_templateIjEESt5tupleIJNSH_6TensorESM_SM_EERKSM_lbbbEUlllE0_EEPmJS6_EEE10hipError_tPvRmT3_T4_T5_T6_T7_T9_mT8_P12ihipStream_tbDpT10_ENKUlT_T0_E_clISt17integral_constantIbLb0EES1B_IbLb1EEEEDaS17_S18_EUlS17_E_NS1_11comp_targetILNS1_3genE0ELNS1_11target_archE4294967295ELNS1_3gpuE0ELNS1_3repE0EEENS1_30default_config_static_selectorELNS0_4arch9wavefront6targetE0EEEvT1_
		.amdhsa_group_segment_fixed_size 28680
		.amdhsa_private_segment_fixed_size 0
		.amdhsa_kernarg_size 136
		.amdhsa_user_sgpr_count 2
		.amdhsa_user_sgpr_dispatch_ptr 0
		.amdhsa_user_sgpr_queue_ptr 0
		.amdhsa_user_sgpr_kernarg_segment_ptr 1
		.amdhsa_user_sgpr_dispatch_id 0
		.amdhsa_user_sgpr_kernarg_preload_length 0
		.amdhsa_user_sgpr_kernarg_preload_offset 0
		.amdhsa_user_sgpr_private_segment_size 0
		.amdhsa_wavefront_size32 1
		.amdhsa_uses_dynamic_stack 0
		.amdhsa_enable_private_segment 0
		.amdhsa_system_sgpr_workgroup_id_x 1
		.amdhsa_system_sgpr_workgroup_id_y 0
		.amdhsa_system_sgpr_workgroup_id_z 0
		.amdhsa_system_sgpr_workgroup_info 0
		.amdhsa_system_vgpr_workitem_id 0
		.amdhsa_next_free_vgpr 53
		.amdhsa_next_free_sgpr 36
		.amdhsa_named_barrier_count 0
		.amdhsa_reserve_vcc 1
		.amdhsa_float_round_mode_32 0
		.amdhsa_float_round_mode_16_64 0
		.amdhsa_float_denorm_mode_32 3
		.amdhsa_float_denorm_mode_16_64 3
		.amdhsa_fp16_overflow 0
		.amdhsa_memory_ordered 1
		.amdhsa_forward_progress 1
		.amdhsa_inst_pref_size 83
		.amdhsa_round_robin_scheduling 0
		.amdhsa_exception_fp_ieee_invalid_op 0
		.amdhsa_exception_fp_denorm_src 0
		.amdhsa_exception_fp_ieee_div_zero 0
		.amdhsa_exception_fp_ieee_overflow 0
		.amdhsa_exception_fp_ieee_underflow 0
		.amdhsa_exception_fp_ieee_inexact 0
		.amdhsa_exception_int_div_zero 0
	.end_amdhsa_kernel
	.section	.text._ZN7rocprim17ROCPRIM_400000_NS6detail17trampoline_kernelINS0_14default_configENS1_25partition_config_selectorILNS1_17partition_subalgoE8ElNS0_10empty_typeEbEEZZNS1_14partition_implILS5_8ELb0ES3_jPlPS6_PKS6_NS0_5tupleIJS9_S6_EEENSD_IJSA_SA_EEENS0_18inequality_wrapperIZN2at6native12_GLOBAL__N_124unique_dim_cuda_templateIjEESt5tupleIJNSH_6TensorESM_SM_EERKSM_lbbbEUlllE0_EEPmJS6_EEE10hipError_tPvRmT3_T4_T5_T6_T7_T9_mT8_P12ihipStream_tbDpT10_ENKUlT_T0_E_clISt17integral_constantIbLb0EES1B_IbLb1EEEEDaS17_S18_EUlS17_E_NS1_11comp_targetILNS1_3genE0ELNS1_11target_archE4294967295ELNS1_3gpuE0ELNS1_3repE0EEENS1_30default_config_static_selectorELNS0_4arch9wavefront6targetE0EEEvT1_,"axG",@progbits,_ZN7rocprim17ROCPRIM_400000_NS6detail17trampoline_kernelINS0_14default_configENS1_25partition_config_selectorILNS1_17partition_subalgoE8ElNS0_10empty_typeEbEEZZNS1_14partition_implILS5_8ELb0ES3_jPlPS6_PKS6_NS0_5tupleIJS9_S6_EEENSD_IJSA_SA_EEENS0_18inequality_wrapperIZN2at6native12_GLOBAL__N_124unique_dim_cuda_templateIjEESt5tupleIJNSH_6TensorESM_SM_EERKSM_lbbbEUlllE0_EEPmJS6_EEE10hipError_tPvRmT3_T4_T5_T6_T7_T9_mT8_P12ihipStream_tbDpT10_ENKUlT_T0_E_clISt17integral_constantIbLb0EES1B_IbLb1EEEEDaS17_S18_EUlS17_E_NS1_11comp_targetILNS1_3genE0ELNS1_11target_archE4294967295ELNS1_3gpuE0ELNS1_3repE0EEENS1_30default_config_static_selectorELNS0_4arch9wavefront6targetE0EEEvT1_,comdat
.Lfunc_end1565:
	.size	_ZN7rocprim17ROCPRIM_400000_NS6detail17trampoline_kernelINS0_14default_configENS1_25partition_config_selectorILNS1_17partition_subalgoE8ElNS0_10empty_typeEbEEZZNS1_14partition_implILS5_8ELb0ES3_jPlPS6_PKS6_NS0_5tupleIJS9_S6_EEENSD_IJSA_SA_EEENS0_18inequality_wrapperIZN2at6native12_GLOBAL__N_124unique_dim_cuda_templateIjEESt5tupleIJNSH_6TensorESM_SM_EERKSM_lbbbEUlllE0_EEPmJS6_EEE10hipError_tPvRmT3_T4_T5_T6_T7_T9_mT8_P12ihipStream_tbDpT10_ENKUlT_T0_E_clISt17integral_constantIbLb0EES1B_IbLb1EEEEDaS17_S18_EUlS17_E_NS1_11comp_targetILNS1_3genE0ELNS1_11target_archE4294967295ELNS1_3gpuE0ELNS1_3repE0EEENS1_30default_config_static_selectorELNS0_4arch9wavefront6targetE0EEEvT1_, .Lfunc_end1565-_ZN7rocprim17ROCPRIM_400000_NS6detail17trampoline_kernelINS0_14default_configENS1_25partition_config_selectorILNS1_17partition_subalgoE8ElNS0_10empty_typeEbEEZZNS1_14partition_implILS5_8ELb0ES3_jPlPS6_PKS6_NS0_5tupleIJS9_S6_EEENSD_IJSA_SA_EEENS0_18inequality_wrapperIZN2at6native12_GLOBAL__N_124unique_dim_cuda_templateIjEESt5tupleIJNSH_6TensorESM_SM_EERKSM_lbbbEUlllE0_EEPmJS6_EEE10hipError_tPvRmT3_T4_T5_T6_T7_T9_mT8_P12ihipStream_tbDpT10_ENKUlT_T0_E_clISt17integral_constantIbLb0EES1B_IbLb1EEEEDaS17_S18_EUlS17_E_NS1_11comp_targetILNS1_3genE0ELNS1_11target_archE4294967295ELNS1_3gpuE0ELNS1_3repE0EEENS1_30default_config_static_selectorELNS0_4arch9wavefront6targetE0EEEvT1_
                                        ; -- End function
	.set _ZN7rocprim17ROCPRIM_400000_NS6detail17trampoline_kernelINS0_14default_configENS1_25partition_config_selectorILNS1_17partition_subalgoE8ElNS0_10empty_typeEbEEZZNS1_14partition_implILS5_8ELb0ES3_jPlPS6_PKS6_NS0_5tupleIJS9_S6_EEENSD_IJSA_SA_EEENS0_18inequality_wrapperIZN2at6native12_GLOBAL__N_124unique_dim_cuda_templateIjEESt5tupleIJNSH_6TensorESM_SM_EERKSM_lbbbEUlllE0_EEPmJS6_EEE10hipError_tPvRmT3_T4_T5_T6_T7_T9_mT8_P12ihipStream_tbDpT10_ENKUlT_T0_E_clISt17integral_constantIbLb0EES1B_IbLb1EEEEDaS17_S18_EUlS17_E_NS1_11comp_targetILNS1_3genE0ELNS1_11target_archE4294967295ELNS1_3gpuE0ELNS1_3repE0EEENS1_30default_config_static_selectorELNS0_4arch9wavefront6targetE0EEEvT1_.num_vgpr, 53
	.set _ZN7rocprim17ROCPRIM_400000_NS6detail17trampoline_kernelINS0_14default_configENS1_25partition_config_selectorILNS1_17partition_subalgoE8ElNS0_10empty_typeEbEEZZNS1_14partition_implILS5_8ELb0ES3_jPlPS6_PKS6_NS0_5tupleIJS9_S6_EEENSD_IJSA_SA_EEENS0_18inequality_wrapperIZN2at6native12_GLOBAL__N_124unique_dim_cuda_templateIjEESt5tupleIJNSH_6TensorESM_SM_EERKSM_lbbbEUlllE0_EEPmJS6_EEE10hipError_tPvRmT3_T4_T5_T6_T7_T9_mT8_P12ihipStream_tbDpT10_ENKUlT_T0_E_clISt17integral_constantIbLb0EES1B_IbLb1EEEEDaS17_S18_EUlS17_E_NS1_11comp_targetILNS1_3genE0ELNS1_11target_archE4294967295ELNS1_3gpuE0ELNS1_3repE0EEENS1_30default_config_static_selectorELNS0_4arch9wavefront6targetE0EEEvT1_.num_agpr, 0
	.set _ZN7rocprim17ROCPRIM_400000_NS6detail17trampoline_kernelINS0_14default_configENS1_25partition_config_selectorILNS1_17partition_subalgoE8ElNS0_10empty_typeEbEEZZNS1_14partition_implILS5_8ELb0ES3_jPlPS6_PKS6_NS0_5tupleIJS9_S6_EEENSD_IJSA_SA_EEENS0_18inequality_wrapperIZN2at6native12_GLOBAL__N_124unique_dim_cuda_templateIjEESt5tupleIJNSH_6TensorESM_SM_EERKSM_lbbbEUlllE0_EEPmJS6_EEE10hipError_tPvRmT3_T4_T5_T6_T7_T9_mT8_P12ihipStream_tbDpT10_ENKUlT_T0_E_clISt17integral_constantIbLb0EES1B_IbLb1EEEEDaS17_S18_EUlS17_E_NS1_11comp_targetILNS1_3genE0ELNS1_11target_archE4294967295ELNS1_3gpuE0ELNS1_3repE0EEENS1_30default_config_static_selectorELNS0_4arch9wavefront6targetE0EEEvT1_.numbered_sgpr, 36
	.set _ZN7rocprim17ROCPRIM_400000_NS6detail17trampoline_kernelINS0_14default_configENS1_25partition_config_selectorILNS1_17partition_subalgoE8ElNS0_10empty_typeEbEEZZNS1_14partition_implILS5_8ELb0ES3_jPlPS6_PKS6_NS0_5tupleIJS9_S6_EEENSD_IJSA_SA_EEENS0_18inequality_wrapperIZN2at6native12_GLOBAL__N_124unique_dim_cuda_templateIjEESt5tupleIJNSH_6TensorESM_SM_EERKSM_lbbbEUlllE0_EEPmJS6_EEE10hipError_tPvRmT3_T4_T5_T6_T7_T9_mT8_P12ihipStream_tbDpT10_ENKUlT_T0_E_clISt17integral_constantIbLb0EES1B_IbLb1EEEEDaS17_S18_EUlS17_E_NS1_11comp_targetILNS1_3genE0ELNS1_11target_archE4294967295ELNS1_3gpuE0ELNS1_3repE0EEENS1_30default_config_static_selectorELNS0_4arch9wavefront6targetE0EEEvT1_.num_named_barrier, 0
	.set _ZN7rocprim17ROCPRIM_400000_NS6detail17trampoline_kernelINS0_14default_configENS1_25partition_config_selectorILNS1_17partition_subalgoE8ElNS0_10empty_typeEbEEZZNS1_14partition_implILS5_8ELb0ES3_jPlPS6_PKS6_NS0_5tupleIJS9_S6_EEENSD_IJSA_SA_EEENS0_18inequality_wrapperIZN2at6native12_GLOBAL__N_124unique_dim_cuda_templateIjEESt5tupleIJNSH_6TensorESM_SM_EERKSM_lbbbEUlllE0_EEPmJS6_EEE10hipError_tPvRmT3_T4_T5_T6_T7_T9_mT8_P12ihipStream_tbDpT10_ENKUlT_T0_E_clISt17integral_constantIbLb0EES1B_IbLb1EEEEDaS17_S18_EUlS17_E_NS1_11comp_targetILNS1_3genE0ELNS1_11target_archE4294967295ELNS1_3gpuE0ELNS1_3repE0EEENS1_30default_config_static_selectorELNS0_4arch9wavefront6targetE0EEEvT1_.private_seg_size, 0
	.set _ZN7rocprim17ROCPRIM_400000_NS6detail17trampoline_kernelINS0_14default_configENS1_25partition_config_selectorILNS1_17partition_subalgoE8ElNS0_10empty_typeEbEEZZNS1_14partition_implILS5_8ELb0ES3_jPlPS6_PKS6_NS0_5tupleIJS9_S6_EEENSD_IJSA_SA_EEENS0_18inequality_wrapperIZN2at6native12_GLOBAL__N_124unique_dim_cuda_templateIjEESt5tupleIJNSH_6TensorESM_SM_EERKSM_lbbbEUlllE0_EEPmJS6_EEE10hipError_tPvRmT3_T4_T5_T6_T7_T9_mT8_P12ihipStream_tbDpT10_ENKUlT_T0_E_clISt17integral_constantIbLb0EES1B_IbLb1EEEEDaS17_S18_EUlS17_E_NS1_11comp_targetILNS1_3genE0ELNS1_11target_archE4294967295ELNS1_3gpuE0ELNS1_3repE0EEENS1_30default_config_static_selectorELNS0_4arch9wavefront6targetE0EEEvT1_.uses_vcc, 1
	.set _ZN7rocprim17ROCPRIM_400000_NS6detail17trampoline_kernelINS0_14default_configENS1_25partition_config_selectorILNS1_17partition_subalgoE8ElNS0_10empty_typeEbEEZZNS1_14partition_implILS5_8ELb0ES3_jPlPS6_PKS6_NS0_5tupleIJS9_S6_EEENSD_IJSA_SA_EEENS0_18inequality_wrapperIZN2at6native12_GLOBAL__N_124unique_dim_cuda_templateIjEESt5tupleIJNSH_6TensorESM_SM_EERKSM_lbbbEUlllE0_EEPmJS6_EEE10hipError_tPvRmT3_T4_T5_T6_T7_T9_mT8_P12ihipStream_tbDpT10_ENKUlT_T0_E_clISt17integral_constantIbLb0EES1B_IbLb1EEEEDaS17_S18_EUlS17_E_NS1_11comp_targetILNS1_3genE0ELNS1_11target_archE4294967295ELNS1_3gpuE0ELNS1_3repE0EEENS1_30default_config_static_selectorELNS0_4arch9wavefront6targetE0EEEvT1_.uses_flat_scratch, 0
	.set _ZN7rocprim17ROCPRIM_400000_NS6detail17trampoline_kernelINS0_14default_configENS1_25partition_config_selectorILNS1_17partition_subalgoE8ElNS0_10empty_typeEbEEZZNS1_14partition_implILS5_8ELb0ES3_jPlPS6_PKS6_NS0_5tupleIJS9_S6_EEENSD_IJSA_SA_EEENS0_18inequality_wrapperIZN2at6native12_GLOBAL__N_124unique_dim_cuda_templateIjEESt5tupleIJNSH_6TensorESM_SM_EERKSM_lbbbEUlllE0_EEPmJS6_EEE10hipError_tPvRmT3_T4_T5_T6_T7_T9_mT8_P12ihipStream_tbDpT10_ENKUlT_T0_E_clISt17integral_constantIbLb0EES1B_IbLb1EEEEDaS17_S18_EUlS17_E_NS1_11comp_targetILNS1_3genE0ELNS1_11target_archE4294967295ELNS1_3gpuE0ELNS1_3repE0EEENS1_30default_config_static_selectorELNS0_4arch9wavefront6targetE0EEEvT1_.has_dyn_sized_stack, 0
	.set _ZN7rocprim17ROCPRIM_400000_NS6detail17trampoline_kernelINS0_14default_configENS1_25partition_config_selectorILNS1_17partition_subalgoE8ElNS0_10empty_typeEbEEZZNS1_14partition_implILS5_8ELb0ES3_jPlPS6_PKS6_NS0_5tupleIJS9_S6_EEENSD_IJSA_SA_EEENS0_18inequality_wrapperIZN2at6native12_GLOBAL__N_124unique_dim_cuda_templateIjEESt5tupleIJNSH_6TensorESM_SM_EERKSM_lbbbEUlllE0_EEPmJS6_EEE10hipError_tPvRmT3_T4_T5_T6_T7_T9_mT8_P12ihipStream_tbDpT10_ENKUlT_T0_E_clISt17integral_constantIbLb0EES1B_IbLb1EEEEDaS17_S18_EUlS17_E_NS1_11comp_targetILNS1_3genE0ELNS1_11target_archE4294967295ELNS1_3gpuE0ELNS1_3repE0EEENS1_30default_config_static_selectorELNS0_4arch9wavefront6targetE0EEEvT1_.has_recursion, 0
	.set _ZN7rocprim17ROCPRIM_400000_NS6detail17trampoline_kernelINS0_14default_configENS1_25partition_config_selectorILNS1_17partition_subalgoE8ElNS0_10empty_typeEbEEZZNS1_14partition_implILS5_8ELb0ES3_jPlPS6_PKS6_NS0_5tupleIJS9_S6_EEENSD_IJSA_SA_EEENS0_18inequality_wrapperIZN2at6native12_GLOBAL__N_124unique_dim_cuda_templateIjEESt5tupleIJNSH_6TensorESM_SM_EERKSM_lbbbEUlllE0_EEPmJS6_EEE10hipError_tPvRmT3_T4_T5_T6_T7_T9_mT8_P12ihipStream_tbDpT10_ENKUlT_T0_E_clISt17integral_constantIbLb0EES1B_IbLb1EEEEDaS17_S18_EUlS17_E_NS1_11comp_targetILNS1_3genE0ELNS1_11target_archE4294967295ELNS1_3gpuE0ELNS1_3repE0EEENS1_30default_config_static_selectorELNS0_4arch9wavefront6targetE0EEEvT1_.has_indirect_call, 0
	.section	.AMDGPU.csdata,"",@progbits
; Kernel info:
; codeLenInByte = 10604
; TotalNumSgprs: 38
; NumVgprs: 53
; ScratchSize: 0
; MemoryBound: 0
; FloatMode: 240
; IeeeMode: 1
; LDSByteSize: 28680 bytes/workgroup (compile time only)
; SGPRBlocks: 0
; VGPRBlocks: 3
; NumSGPRsForWavesPerEU: 38
; NumVGPRsForWavesPerEU: 53
; NamedBarCnt: 0
; Occupancy: 16
; WaveLimiterHint : 1
; COMPUTE_PGM_RSRC2:SCRATCH_EN: 0
; COMPUTE_PGM_RSRC2:USER_SGPR: 2
; COMPUTE_PGM_RSRC2:TRAP_HANDLER: 0
; COMPUTE_PGM_RSRC2:TGID_X_EN: 1
; COMPUTE_PGM_RSRC2:TGID_Y_EN: 0
; COMPUTE_PGM_RSRC2:TGID_Z_EN: 0
; COMPUTE_PGM_RSRC2:TIDIG_COMP_CNT: 0
	.section	.text._ZN7rocprim17ROCPRIM_400000_NS6detail17trampoline_kernelINS0_14default_configENS1_25partition_config_selectorILNS1_17partition_subalgoE8ElNS0_10empty_typeEbEEZZNS1_14partition_implILS5_8ELb0ES3_jPlPS6_PKS6_NS0_5tupleIJS9_S6_EEENSD_IJSA_SA_EEENS0_18inequality_wrapperIZN2at6native12_GLOBAL__N_124unique_dim_cuda_templateIjEESt5tupleIJNSH_6TensorESM_SM_EERKSM_lbbbEUlllE0_EEPmJS6_EEE10hipError_tPvRmT3_T4_T5_T6_T7_T9_mT8_P12ihipStream_tbDpT10_ENKUlT_T0_E_clISt17integral_constantIbLb0EES1B_IbLb1EEEEDaS17_S18_EUlS17_E_NS1_11comp_targetILNS1_3genE5ELNS1_11target_archE942ELNS1_3gpuE9ELNS1_3repE0EEENS1_30default_config_static_selectorELNS0_4arch9wavefront6targetE0EEEvT1_,"axG",@progbits,_ZN7rocprim17ROCPRIM_400000_NS6detail17trampoline_kernelINS0_14default_configENS1_25partition_config_selectorILNS1_17partition_subalgoE8ElNS0_10empty_typeEbEEZZNS1_14partition_implILS5_8ELb0ES3_jPlPS6_PKS6_NS0_5tupleIJS9_S6_EEENSD_IJSA_SA_EEENS0_18inequality_wrapperIZN2at6native12_GLOBAL__N_124unique_dim_cuda_templateIjEESt5tupleIJNSH_6TensorESM_SM_EERKSM_lbbbEUlllE0_EEPmJS6_EEE10hipError_tPvRmT3_T4_T5_T6_T7_T9_mT8_P12ihipStream_tbDpT10_ENKUlT_T0_E_clISt17integral_constantIbLb0EES1B_IbLb1EEEEDaS17_S18_EUlS17_E_NS1_11comp_targetILNS1_3genE5ELNS1_11target_archE942ELNS1_3gpuE9ELNS1_3repE0EEENS1_30default_config_static_selectorELNS0_4arch9wavefront6targetE0EEEvT1_,comdat
	.globl	_ZN7rocprim17ROCPRIM_400000_NS6detail17trampoline_kernelINS0_14default_configENS1_25partition_config_selectorILNS1_17partition_subalgoE8ElNS0_10empty_typeEbEEZZNS1_14partition_implILS5_8ELb0ES3_jPlPS6_PKS6_NS0_5tupleIJS9_S6_EEENSD_IJSA_SA_EEENS0_18inequality_wrapperIZN2at6native12_GLOBAL__N_124unique_dim_cuda_templateIjEESt5tupleIJNSH_6TensorESM_SM_EERKSM_lbbbEUlllE0_EEPmJS6_EEE10hipError_tPvRmT3_T4_T5_T6_T7_T9_mT8_P12ihipStream_tbDpT10_ENKUlT_T0_E_clISt17integral_constantIbLb0EES1B_IbLb1EEEEDaS17_S18_EUlS17_E_NS1_11comp_targetILNS1_3genE5ELNS1_11target_archE942ELNS1_3gpuE9ELNS1_3repE0EEENS1_30default_config_static_selectorELNS0_4arch9wavefront6targetE0EEEvT1_ ; -- Begin function _ZN7rocprim17ROCPRIM_400000_NS6detail17trampoline_kernelINS0_14default_configENS1_25partition_config_selectorILNS1_17partition_subalgoE8ElNS0_10empty_typeEbEEZZNS1_14partition_implILS5_8ELb0ES3_jPlPS6_PKS6_NS0_5tupleIJS9_S6_EEENSD_IJSA_SA_EEENS0_18inequality_wrapperIZN2at6native12_GLOBAL__N_124unique_dim_cuda_templateIjEESt5tupleIJNSH_6TensorESM_SM_EERKSM_lbbbEUlllE0_EEPmJS6_EEE10hipError_tPvRmT3_T4_T5_T6_T7_T9_mT8_P12ihipStream_tbDpT10_ENKUlT_T0_E_clISt17integral_constantIbLb0EES1B_IbLb1EEEEDaS17_S18_EUlS17_E_NS1_11comp_targetILNS1_3genE5ELNS1_11target_archE942ELNS1_3gpuE9ELNS1_3repE0EEENS1_30default_config_static_selectorELNS0_4arch9wavefront6targetE0EEEvT1_
	.p2align	8
	.type	_ZN7rocprim17ROCPRIM_400000_NS6detail17trampoline_kernelINS0_14default_configENS1_25partition_config_selectorILNS1_17partition_subalgoE8ElNS0_10empty_typeEbEEZZNS1_14partition_implILS5_8ELb0ES3_jPlPS6_PKS6_NS0_5tupleIJS9_S6_EEENSD_IJSA_SA_EEENS0_18inequality_wrapperIZN2at6native12_GLOBAL__N_124unique_dim_cuda_templateIjEESt5tupleIJNSH_6TensorESM_SM_EERKSM_lbbbEUlllE0_EEPmJS6_EEE10hipError_tPvRmT3_T4_T5_T6_T7_T9_mT8_P12ihipStream_tbDpT10_ENKUlT_T0_E_clISt17integral_constantIbLb0EES1B_IbLb1EEEEDaS17_S18_EUlS17_E_NS1_11comp_targetILNS1_3genE5ELNS1_11target_archE942ELNS1_3gpuE9ELNS1_3repE0EEENS1_30default_config_static_selectorELNS0_4arch9wavefront6targetE0EEEvT1_,@function
_ZN7rocprim17ROCPRIM_400000_NS6detail17trampoline_kernelINS0_14default_configENS1_25partition_config_selectorILNS1_17partition_subalgoE8ElNS0_10empty_typeEbEEZZNS1_14partition_implILS5_8ELb0ES3_jPlPS6_PKS6_NS0_5tupleIJS9_S6_EEENSD_IJSA_SA_EEENS0_18inequality_wrapperIZN2at6native12_GLOBAL__N_124unique_dim_cuda_templateIjEESt5tupleIJNSH_6TensorESM_SM_EERKSM_lbbbEUlllE0_EEPmJS6_EEE10hipError_tPvRmT3_T4_T5_T6_T7_T9_mT8_P12ihipStream_tbDpT10_ENKUlT_T0_E_clISt17integral_constantIbLb0EES1B_IbLb1EEEEDaS17_S18_EUlS17_E_NS1_11comp_targetILNS1_3genE5ELNS1_11target_archE942ELNS1_3gpuE9ELNS1_3repE0EEENS1_30default_config_static_selectorELNS0_4arch9wavefront6targetE0EEEvT1_: ; @_ZN7rocprim17ROCPRIM_400000_NS6detail17trampoline_kernelINS0_14default_configENS1_25partition_config_selectorILNS1_17partition_subalgoE8ElNS0_10empty_typeEbEEZZNS1_14partition_implILS5_8ELb0ES3_jPlPS6_PKS6_NS0_5tupleIJS9_S6_EEENSD_IJSA_SA_EEENS0_18inequality_wrapperIZN2at6native12_GLOBAL__N_124unique_dim_cuda_templateIjEESt5tupleIJNSH_6TensorESM_SM_EERKSM_lbbbEUlllE0_EEPmJS6_EEE10hipError_tPvRmT3_T4_T5_T6_T7_T9_mT8_P12ihipStream_tbDpT10_ENKUlT_T0_E_clISt17integral_constantIbLb0EES1B_IbLb1EEEEDaS17_S18_EUlS17_E_NS1_11comp_targetILNS1_3genE5ELNS1_11target_archE942ELNS1_3gpuE9ELNS1_3repE0EEENS1_30default_config_static_selectorELNS0_4arch9wavefront6targetE0EEEvT1_
; %bb.0:
	.section	.rodata,"a",@progbits
	.p2align	6, 0x0
	.amdhsa_kernel _ZN7rocprim17ROCPRIM_400000_NS6detail17trampoline_kernelINS0_14default_configENS1_25partition_config_selectorILNS1_17partition_subalgoE8ElNS0_10empty_typeEbEEZZNS1_14partition_implILS5_8ELb0ES3_jPlPS6_PKS6_NS0_5tupleIJS9_S6_EEENSD_IJSA_SA_EEENS0_18inequality_wrapperIZN2at6native12_GLOBAL__N_124unique_dim_cuda_templateIjEESt5tupleIJNSH_6TensorESM_SM_EERKSM_lbbbEUlllE0_EEPmJS6_EEE10hipError_tPvRmT3_T4_T5_T6_T7_T9_mT8_P12ihipStream_tbDpT10_ENKUlT_T0_E_clISt17integral_constantIbLb0EES1B_IbLb1EEEEDaS17_S18_EUlS17_E_NS1_11comp_targetILNS1_3genE5ELNS1_11target_archE942ELNS1_3gpuE9ELNS1_3repE0EEENS1_30default_config_static_selectorELNS0_4arch9wavefront6targetE0EEEvT1_
		.amdhsa_group_segment_fixed_size 0
		.amdhsa_private_segment_fixed_size 0
		.amdhsa_kernarg_size 136
		.amdhsa_user_sgpr_count 2
		.amdhsa_user_sgpr_dispatch_ptr 0
		.amdhsa_user_sgpr_queue_ptr 0
		.amdhsa_user_sgpr_kernarg_segment_ptr 1
		.amdhsa_user_sgpr_dispatch_id 0
		.amdhsa_user_sgpr_kernarg_preload_length 0
		.amdhsa_user_sgpr_kernarg_preload_offset 0
		.amdhsa_user_sgpr_private_segment_size 0
		.amdhsa_wavefront_size32 1
		.amdhsa_uses_dynamic_stack 0
		.amdhsa_enable_private_segment 0
		.amdhsa_system_sgpr_workgroup_id_x 1
		.amdhsa_system_sgpr_workgroup_id_y 0
		.amdhsa_system_sgpr_workgroup_id_z 0
		.amdhsa_system_sgpr_workgroup_info 0
		.amdhsa_system_vgpr_workitem_id 0
		.amdhsa_next_free_vgpr 1
		.amdhsa_next_free_sgpr 1
		.amdhsa_named_barrier_count 0
		.amdhsa_reserve_vcc 0
		.amdhsa_float_round_mode_32 0
		.amdhsa_float_round_mode_16_64 0
		.amdhsa_float_denorm_mode_32 3
		.amdhsa_float_denorm_mode_16_64 3
		.amdhsa_fp16_overflow 0
		.amdhsa_memory_ordered 1
		.amdhsa_forward_progress 1
		.amdhsa_inst_pref_size 0
		.amdhsa_round_robin_scheduling 0
		.amdhsa_exception_fp_ieee_invalid_op 0
		.amdhsa_exception_fp_denorm_src 0
		.amdhsa_exception_fp_ieee_div_zero 0
		.amdhsa_exception_fp_ieee_overflow 0
		.amdhsa_exception_fp_ieee_underflow 0
		.amdhsa_exception_fp_ieee_inexact 0
		.amdhsa_exception_int_div_zero 0
	.end_amdhsa_kernel
	.section	.text._ZN7rocprim17ROCPRIM_400000_NS6detail17trampoline_kernelINS0_14default_configENS1_25partition_config_selectorILNS1_17partition_subalgoE8ElNS0_10empty_typeEbEEZZNS1_14partition_implILS5_8ELb0ES3_jPlPS6_PKS6_NS0_5tupleIJS9_S6_EEENSD_IJSA_SA_EEENS0_18inequality_wrapperIZN2at6native12_GLOBAL__N_124unique_dim_cuda_templateIjEESt5tupleIJNSH_6TensorESM_SM_EERKSM_lbbbEUlllE0_EEPmJS6_EEE10hipError_tPvRmT3_T4_T5_T6_T7_T9_mT8_P12ihipStream_tbDpT10_ENKUlT_T0_E_clISt17integral_constantIbLb0EES1B_IbLb1EEEEDaS17_S18_EUlS17_E_NS1_11comp_targetILNS1_3genE5ELNS1_11target_archE942ELNS1_3gpuE9ELNS1_3repE0EEENS1_30default_config_static_selectorELNS0_4arch9wavefront6targetE0EEEvT1_,"axG",@progbits,_ZN7rocprim17ROCPRIM_400000_NS6detail17trampoline_kernelINS0_14default_configENS1_25partition_config_selectorILNS1_17partition_subalgoE8ElNS0_10empty_typeEbEEZZNS1_14partition_implILS5_8ELb0ES3_jPlPS6_PKS6_NS0_5tupleIJS9_S6_EEENSD_IJSA_SA_EEENS0_18inequality_wrapperIZN2at6native12_GLOBAL__N_124unique_dim_cuda_templateIjEESt5tupleIJNSH_6TensorESM_SM_EERKSM_lbbbEUlllE0_EEPmJS6_EEE10hipError_tPvRmT3_T4_T5_T6_T7_T9_mT8_P12ihipStream_tbDpT10_ENKUlT_T0_E_clISt17integral_constantIbLb0EES1B_IbLb1EEEEDaS17_S18_EUlS17_E_NS1_11comp_targetILNS1_3genE5ELNS1_11target_archE942ELNS1_3gpuE9ELNS1_3repE0EEENS1_30default_config_static_selectorELNS0_4arch9wavefront6targetE0EEEvT1_,comdat
.Lfunc_end1566:
	.size	_ZN7rocprim17ROCPRIM_400000_NS6detail17trampoline_kernelINS0_14default_configENS1_25partition_config_selectorILNS1_17partition_subalgoE8ElNS0_10empty_typeEbEEZZNS1_14partition_implILS5_8ELb0ES3_jPlPS6_PKS6_NS0_5tupleIJS9_S6_EEENSD_IJSA_SA_EEENS0_18inequality_wrapperIZN2at6native12_GLOBAL__N_124unique_dim_cuda_templateIjEESt5tupleIJNSH_6TensorESM_SM_EERKSM_lbbbEUlllE0_EEPmJS6_EEE10hipError_tPvRmT3_T4_T5_T6_T7_T9_mT8_P12ihipStream_tbDpT10_ENKUlT_T0_E_clISt17integral_constantIbLb0EES1B_IbLb1EEEEDaS17_S18_EUlS17_E_NS1_11comp_targetILNS1_3genE5ELNS1_11target_archE942ELNS1_3gpuE9ELNS1_3repE0EEENS1_30default_config_static_selectorELNS0_4arch9wavefront6targetE0EEEvT1_, .Lfunc_end1566-_ZN7rocprim17ROCPRIM_400000_NS6detail17trampoline_kernelINS0_14default_configENS1_25partition_config_selectorILNS1_17partition_subalgoE8ElNS0_10empty_typeEbEEZZNS1_14partition_implILS5_8ELb0ES3_jPlPS6_PKS6_NS0_5tupleIJS9_S6_EEENSD_IJSA_SA_EEENS0_18inequality_wrapperIZN2at6native12_GLOBAL__N_124unique_dim_cuda_templateIjEESt5tupleIJNSH_6TensorESM_SM_EERKSM_lbbbEUlllE0_EEPmJS6_EEE10hipError_tPvRmT3_T4_T5_T6_T7_T9_mT8_P12ihipStream_tbDpT10_ENKUlT_T0_E_clISt17integral_constantIbLb0EES1B_IbLb1EEEEDaS17_S18_EUlS17_E_NS1_11comp_targetILNS1_3genE5ELNS1_11target_archE942ELNS1_3gpuE9ELNS1_3repE0EEENS1_30default_config_static_selectorELNS0_4arch9wavefront6targetE0EEEvT1_
                                        ; -- End function
	.set _ZN7rocprim17ROCPRIM_400000_NS6detail17trampoline_kernelINS0_14default_configENS1_25partition_config_selectorILNS1_17partition_subalgoE8ElNS0_10empty_typeEbEEZZNS1_14partition_implILS5_8ELb0ES3_jPlPS6_PKS6_NS0_5tupleIJS9_S6_EEENSD_IJSA_SA_EEENS0_18inequality_wrapperIZN2at6native12_GLOBAL__N_124unique_dim_cuda_templateIjEESt5tupleIJNSH_6TensorESM_SM_EERKSM_lbbbEUlllE0_EEPmJS6_EEE10hipError_tPvRmT3_T4_T5_T6_T7_T9_mT8_P12ihipStream_tbDpT10_ENKUlT_T0_E_clISt17integral_constantIbLb0EES1B_IbLb1EEEEDaS17_S18_EUlS17_E_NS1_11comp_targetILNS1_3genE5ELNS1_11target_archE942ELNS1_3gpuE9ELNS1_3repE0EEENS1_30default_config_static_selectorELNS0_4arch9wavefront6targetE0EEEvT1_.num_vgpr, 0
	.set _ZN7rocprim17ROCPRIM_400000_NS6detail17trampoline_kernelINS0_14default_configENS1_25partition_config_selectorILNS1_17partition_subalgoE8ElNS0_10empty_typeEbEEZZNS1_14partition_implILS5_8ELb0ES3_jPlPS6_PKS6_NS0_5tupleIJS9_S6_EEENSD_IJSA_SA_EEENS0_18inequality_wrapperIZN2at6native12_GLOBAL__N_124unique_dim_cuda_templateIjEESt5tupleIJNSH_6TensorESM_SM_EERKSM_lbbbEUlllE0_EEPmJS6_EEE10hipError_tPvRmT3_T4_T5_T6_T7_T9_mT8_P12ihipStream_tbDpT10_ENKUlT_T0_E_clISt17integral_constantIbLb0EES1B_IbLb1EEEEDaS17_S18_EUlS17_E_NS1_11comp_targetILNS1_3genE5ELNS1_11target_archE942ELNS1_3gpuE9ELNS1_3repE0EEENS1_30default_config_static_selectorELNS0_4arch9wavefront6targetE0EEEvT1_.num_agpr, 0
	.set _ZN7rocprim17ROCPRIM_400000_NS6detail17trampoline_kernelINS0_14default_configENS1_25partition_config_selectorILNS1_17partition_subalgoE8ElNS0_10empty_typeEbEEZZNS1_14partition_implILS5_8ELb0ES3_jPlPS6_PKS6_NS0_5tupleIJS9_S6_EEENSD_IJSA_SA_EEENS0_18inequality_wrapperIZN2at6native12_GLOBAL__N_124unique_dim_cuda_templateIjEESt5tupleIJNSH_6TensorESM_SM_EERKSM_lbbbEUlllE0_EEPmJS6_EEE10hipError_tPvRmT3_T4_T5_T6_T7_T9_mT8_P12ihipStream_tbDpT10_ENKUlT_T0_E_clISt17integral_constantIbLb0EES1B_IbLb1EEEEDaS17_S18_EUlS17_E_NS1_11comp_targetILNS1_3genE5ELNS1_11target_archE942ELNS1_3gpuE9ELNS1_3repE0EEENS1_30default_config_static_selectorELNS0_4arch9wavefront6targetE0EEEvT1_.numbered_sgpr, 0
	.set _ZN7rocprim17ROCPRIM_400000_NS6detail17trampoline_kernelINS0_14default_configENS1_25partition_config_selectorILNS1_17partition_subalgoE8ElNS0_10empty_typeEbEEZZNS1_14partition_implILS5_8ELb0ES3_jPlPS6_PKS6_NS0_5tupleIJS9_S6_EEENSD_IJSA_SA_EEENS0_18inequality_wrapperIZN2at6native12_GLOBAL__N_124unique_dim_cuda_templateIjEESt5tupleIJNSH_6TensorESM_SM_EERKSM_lbbbEUlllE0_EEPmJS6_EEE10hipError_tPvRmT3_T4_T5_T6_T7_T9_mT8_P12ihipStream_tbDpT10_ENKUlT_T0_E_clISt17integral_constantIbLb0EES1B_IbLb1EEEEDaS17_S18_EUlS17_E_NS1_11comp_targetILNS1_3genE5ELNS1_11target_archE942ELNS1_3gpuE9ELNS1_3repE0EEENS1_30default_config_static_selectorELNS0_4arch9wavefront6targetE0EEEvT1_.num_named_barrier, 0
	.set _ZN7rocprim17ROCPRIM_400000_NS6detail17trampoline_kernelINS0_14default_configENS1_25partition_config_selectorILNS1_17partition_subalgoE8ElNS0_10empty_typeEbEEZZNS1_14partition_implILS5_8ELb0ES3_jPlPS6_PKS6_NS0_5tupleIJS9_S6_EEENSD_IJSA_SA_EEENS0_18inequality_wrapperIZN2at6native12_GLOBAL__N_124unique_dim_cuda_templateIjEESt5tupleIJNSH_6TensorESM_SM_EERKSM_lbbbEUlllE0_EEPmJS6_EEE10hipError_tPvRmT3_T4_T5_T6_T7_T9_mT8_P12ihipStream_tbDpT10_ENKUlT_T0_E_clISt17integral_constantIbLb0EES1B_IbLb1EEEEDaS17_S18_EUlS17_E_NS1_11comp_targetILNS1_3genE5ELNS1_11target_archE942ELNS1_3gpuE9ELNS1_3repE0EEENS1_30default_config_static_selectorELNS0_4arch9wavefront6targetE0EEEvT1_.private_seg_size, 0
	.set _ZN7rocprim17ROCPRIM_400000_NS6detail17trampoline_kernelINS0_14default_configENS1_25partition_config_selectorILNS1_17partition_subalgoE8ElNS0_10empty_typeEbEEZZNS1_14partition_implILS5_8ELb0ES3_jPlPS6_PKS6_NS0_5tupleIJS9_S6_EEENSD_IJSA_SA_EEENS0_18inequality_wrapperIZN2at6native12_GLOBAL__N_124unique_dim_cuda_templateIjEESt5tupleIJNSH_6TensorESM_SM_EERKSM_lbbbEUlllE0_EEPmJS6_EEE10hipError_tPvRmT3_T4_T5_T6_T7_T9_mT8_P12ihipStream_tbDpT10_ENKUlT_T0_E_clISt17integral_constantIbLb0EES1B_IbLb1EEEEDaS17_S18_EUlS17_E_NS1_11comp_targetILNS1_3genE5ELNS1_11target_archE942ELNS1_3gpuE9ELNS1_3repE0EEENS1_30default_config_static_selectorELNS0_4arch9wavefront6targetE0EEEvT1_.uses_vcc, 0
	.set _ZN7rocprim17ROCPRIM_400000_NS6detail17trampoline_kernelINS0_14default_configENS1_25partition_config_selectorILNS1_17partition_subalgoE8ElNS0_10empty_typeEbEEZZNS1_14partition_implILS5_8ELb0ES3_jPlPS6_PKS6_NS0_5tupleIJS9_S6_EEENSD_IJSA_SA_EEENS0_18inequality_wrapperIZN2at6native12_GLOBAL__N_124unique_dim_cuda_templateIjEESt5tupleIJNSH_6TensorESM_SM_EERKSM_lbbbEUlllE0_EEPmJS6_EEE10hipError_tPvRmT3_T4_T5_T6_T7_T9_mT8_P12ihipStream_tbDpT10_ENKUlT_T0_E_clISt17integral_constantIbLb0EES1B_IbLb1EEEEDaS17_S18_EUlS17_E_NS1_11comp_targetILNS1_3genE5ELNS1_11target_archE942ELNS1_3gpuE9ELNS1_3repE0EEENS1_30default_config_static_selectorELNS0_4arch9wavefront6targetE0EEEvT1_.uses_flat_scratch, 0
	.set _ZN7rocprim17ROCPRIM_400000_NS6detail17trampoline_kernelINS0_14default_configENS1_25partition_config_selectorILNS1_17partition_subalgoE8ElNS0_10empty_typeEbEEZZNS1_14partition_implILS5_8ELb0ES3_jPlPS6_PKS6_NS0_5tupleIJS9_S6_EEENSD_IJSA_SA_EEENS0_18inequality_wrapperIZN2at6native12_GLOBAL__N_124unique_dim_cuda_templateIjEESt5tupleIJNSH_6TensorESM_SM_EERKSM_lbbbEUlllE0_EEPmJS6_EEE10hipError_tPvRmT3_T4_T5_T6_T7_T9_mT8_P12ihipStream_tbDpT10_ENKUlT_T0_E_clISt17integral_constantIbLb0EES1B_IbLb1EEEEDaS17_S18_EUlS17_E_NS1_11comp_targetILNS1_3genE5ELNS1_11target_archE942ELNS1_3gpuE9ELNS1_3repE0EEENS1_30default_config_static_selectorELNS0_4arch9wavefront6targetE0EEEvT1_.has_dyn_sized_stack, 0
	.set _ZN7rocprim17ROCPRIM_400000_NS6detail17trampoline_kernelINS0_14default_configENS1_25partition_config_selectorILNS1_17partition_subalgoE8ElNS0_10empty_typeEbEEZZNS1_14partition_implILS5_8ELb0ES3_jPlPS6_PKS6_NS0_5tupleIJS9_S6_EEENSD_IJSA_SA_EEENS0_18inequality_wrapperIZN2at6native12_GLOBAL__N_124unique_dim_cuda_templateIjEESt5tupleIJNSH_6TensorESM_SM_EERKSM_lbbbEUlllE0_EEPmJS6_EEE10hipError_tPvRmT3_T4_T5_T6_T7_T9_mT8_P12ihipStream_tbDpT10_ENKUlT_T0_E_clISt17integral_constantIbLb0EES1B_IbLb1EEEEDaS17_S18_EUlS17_E_NS1_11comp_targetILNS1_3genE5ELNS1_11target_archE942ELNS1_3gpuE9ELNS1_3repE0EEENS1_30default_config_static_selectorELNS0_4arch9wavefront6targetE0EEEvT1_.has_recursion, 0
	.set _ZN7rocprim17ROCPRIM_400000_NS6detail17trampoline_kernelINS0_14default_configENS1_25partition_config_selectorILNS1_17partition_subalgoE8ElNS0_10empty_typeEbEEZZNS1_14partition_implILS5_8ELb0ES3_jPlPS6_PKS6_NS0_5tupleIJS9_S6_EEENSD_IJSA_SA_EEENS0_18inequality_wrapperIZN2at6native12_GLOBAL__N_124unique_dim_cuda_templateIjEESt5tupleIJNSH_6TensorESM_SM_EERKSM_lbbbEUlllE0_EEPmJS6_EEE10hipError_tPvRmT3_T4_T5_T6_T7_T9_mT8_P12ihipStream_tbDpT10_ENKUlT_T0_E_clISt17integral_constantIbLb0EES1B_IbLb1EEEEDaS17_S18_EUlS17_E_NS1_11comp_targetILNS1_3genE5ELNS1_11target_archE942ELNS1_3gpuE9ELNS1_3repE0EEENS1_30default_config_static_selectorELNS0_4arch9wavefront6targetE0EEEvT1_.has_indirect_call, 0
	.section	.AMDGPU.csdata,"",@progbits
; Kernel info:
; codeLenInByte = 0
; TotalNumSgprs: 0
; NumVgprs: 0
; ScratchSize: 0
; MemoryBound: 0
; FloatMode: 240
; IeeeMode: 1
; LDSByteSize: 0 bytes/workgroup (compile time only)
; SGPRBlocks: 0
; VGPRBlocks: 0
; NumSGPRsForWavesPerEU: 1
; NumVGPRsForWavesPerEU: 1
; NamedBarCnt: 0
; Occupancy: 16
; WaveLimiterHint : 0
; COMPUTE_PGM_RSRC2:SCRATCH_EN: 0
; COMPUTE_PGM_RSRC2:USER_SGPR: 2
; COMPUTE_PGM_RSRC2:TRAP_HANDLER: 0
; COMPUTE_PGM_RSRC2:TGID_X_EN: 1
; COMPUTE_PGM_RSRC2:TGID_Y_EN: 0
; COMPUTE_PGM_RSRC2:TGID_Z_EN: 0
; COMPUTE_PGM_RSRC2:TIDIG_COMP_CNT: 0
	.section	.text._ZN7rocprim17ROCPRIM_400000_NS6detail17trampoline_kernelINS0_14default_configENS1_25partition_config_selectorILNS1_17partition_subalgoE8ElNS0_10empty_typeEbEEZZNS1_14partition_implILS5_8ELb0ES3_jPlPS6_PKS6_NS0_5tupleIJS9_S6_EEENSD_IJSA_SA_EEENS0_18inequality_wrapperIZN2at6native12_GLOBAL__N_124unique_dim_cuda_templateIjEESt5tupleIJNSH_6TensorESM_SM_EERKSM_lbbbEUlllE0_EEPmJS6_EEE10hipError_tPvRmT3_T4_T5_T6_T7_T9_mT8_P12ihipStream_tbDpT10_ENKUlT_T0_E_clISt17integral_constantIbLb0EES1B_IbLb1EEEEDaS17_S18_EUlS17_E_NS1_11comp_targetILNS1_3genE4ELNS1_11target_archE910ELNS1_3gpuE8ELNS1_3repE0EEENS1_30default_config_static_selectorELNS0_4arch9wavefront6targetE0EEEvT1_,"axG",@progbits,_ZN7rocprim17ROCPRIM_400000_NS6detail17trampoline_kernelINS0_14default_configENS1_25partition_config_selectorILNS1_17partition_subalgoE8ElNS0_10empty_typeEbEEZZNS1_14partition_implILS5_8ELb0ES3_jPlPS6_PKS6_NS0_5tupleIJS9_S6_EEENSD_IJSA_SA_EEENS0_18inequality_wrapperIZN2at6native12_GLOBAL__N_124unique_dim_cuda_templateIjEESt5tupleIJNSH_6TensorESM_SM_EERKSM_lbbbEUlllE0_EEPmJS6_EEE10hipError_tPvRmT3_T4_T5_T6_T7_T9_mT8_P12ihipStream_tbDpT10_ENKUlT_T0_E_clISt17integral_constantIbLb0EES1B_IbLb1EEEEDaS17_S18_EUlS17_E_NS1_11comp_targetILNS1_3genE4ELNS1_11target_archE910ELNS1_3gpuE8ELNS1_3repE0EEENS1_30default_config_static_selectorELNS0_4arch9wavefront6targetE0EEEvT1_,comdat
	.globl	_ZN7rocprim17ROCPRIM_400000_NS6detail17trampoline_kernelINS0_14default_configENS1_25partition_config_selectorILNS1_17partition_subalgoE8ElNS0_10empty_typeEbEEZZNS1_14partition_implILS5_8ELb0ES3_jPlPS6_PKS6_NS0_5tupleIJS9_S6_EEENSD_IJSA_SA_EEENS0_18inequality_wrapperIZN2at6native12_GLOBAL__N_124unique_dim_cuda_templateIjEESt5tupleIJNSH_6TensorESM_SM_EERKSM_lbbbEUlllE0_EEPmJS6_EEE10hipError_tPvRmT3_T4_T5_T6_T7_T9_mT8_P12ihipStream_tbDpT10_ENKUlT_T0_E_clISt17integral_constantIbLb0EES1B_IbLb1EEEEDaS17_S18_EUlS17_E_NS1_11comp_targetILNS1_3genE4ELNS1_11target_archE910ELNS1_3gpuE8ELNS1_3repE0EEENS1_30default_config_static_selectorELNS0_4arch9wavefront6targetE0EEEvT1_ ; -- Begin function _ZN7rocprim17ROCPRIM_400000_NS6detail17trampoline_kernelINS0_14default_configENS1_25partition_config_selectorILNS1_17partition_subalgoE8ElNS0_10empty_typeEbEEZZNS1_14partition_implILS5_8ELb0ES3_jPlPS6_PKS6_NS0_5tupleIJS9_S6_EEENSD_IJSA_SA_EEENS0_18inequality_wrapperIZN2at6native12_GLOBAL__N_124unique_dim_cuda_templateIjEESt5tupleIJNSH_6TensorESM_SM_EERKSM_lbbbEUlllE0_EEPmJS6_EEE10hipError_tPvRmT3_T4_T5_T6_T7_T9_mT8_P12ihipStream_tbDpT10_ENKUlT_T0_E_clISt17integral_constantIbLb0EES1B_IbLb1EEEEDaS17_S18_EUlS17_E_NS1_11comp_targetILNS1_3genE4ELNS1_11target_archE910ELNS1_3gpuE8ELNS1_3repE0EEENS1_30default_config_static_selectorELNS0_4arch9wavefront6targetE0EEEvT1_
	.p2align	8
	.type	_ZN7rocprim17ROCPRIM_400000_NS6detail17trampoline_kernelINS0_14default_configENS1_25partition_config_selectorILNS1_17partition_subalgoE8ElNS0_10empty_typeEbEEZZNS1_14partition_implILS5_8ELb0ES3_jPlPS6_PKS6_NS0_5tupleIJS9_S6_EEENSD_IJSA_SA_EEENS0_18inequality_wrapperIZN2at6native12_GLOBAL__N_124unique_dim_cuda_templateIjEESt5tupleIJNSH_6TensorESM_SM_EERKSM_lbbbEUlllE0_EEPmJS6_EEE10hipError_tPvRmT3_T4_T5_T6_T7_T9_mT8_P12ihipStream_tbDpT10_ENKUlT_T0_E_clISt17integral_constantIbLb0EES1B_IbLb1EEEEDaS17_S18_EUlS17_E_NS1_11comp_targetILNS1_3genE4ELNS1_11target_archE910ELNS1_3gpuE8ELNS1_3repE0EEENS1_30default_config_static_selectorELNS0_4arch9wavefront6targetE0EEEvT1_,@function
_ZN7rocprim17ROCPRIM_400000_NS6detail17trampoline_kernelINS0_14default_configENS1_25partition_config_selectorILNS1_17partition_subalgoE8ElNS0_10empty_typeEbEEZZNS1_14partition_implILS5_8ELb0ES3_jPlPS6_PKS6_NS0_5tupleIJS9_S6_EEENSD_IJSA_SA_EEENS0_18inequality_wrapperIZN2at6native12_GLOBAL__N_124unique_dim_cuda_templateIjEESt5tupleIJNSH_6TensorESM_SM_EERKSM_lbbbEUlllE0_EEPmJS6_EEE10hipError_tPvRmT3_T4_T5_T6_T7_T9_mT8_P12ihipStream_tbDpT10_ENKUlT_T0_E_clISt17integral_constantIbLb0EES1B_IbLb1EEEEDaS17_S18_EUlS17_E_NS1_11comp_targetILNS1_3genE4ELNS1_11target_archE910ELNS1_3gpuE8ELNS1_3repE0EEENS1_30default_config_static_selectorELNS0_4arch9wavefront6targetE0EEEvT1_: ; @_ZN7rocprim17ROCPRIM_400000_NS6detail17trampoline_kernelINS0_14default_configENS1_25partition_config_selectorILNS1_17partition_subalgoE8ElNS0_10empty_typeEbEEZZNS1_14partition_implILS5_8ELb0ES3_jPlPS6_PKS6_NS0_5tupleIJS9_S6_EEENSD_IJSA_SA_EEENS0_18inequality_wrapperIZN2at6native12_GLOBAL__N_124unique_dim_cuda_templateIjEESt5tupleIJNSH_6TensorESM_SM_EERKSM_lbbbEUlllE0_EEPmJS6_EEE10hipError_tPvRmT3_T4_T5_T6_T7_T9_mT8_P12ihipStream_tbDpT10_ENKUlT_T0_E_clISt17integral_constantIbLb0EES1B_IbLb1EEEEDaS17_S18_EUlS17_E_NS1_11comp_targetILNS1_3genE4ELNS1_11target_archE910ELNS1_3gpuE8ELNS1_3repE0EEENS1_30default_config_static_selectorELNS0_4arch9wavefront6targetE0EEEvT1_
; %bb.0:
	.section	.rodata,"a",@progbits
	.p2align	6, 0x0
	.amdhsa_kernel _ZN7rocprim17ROCPRIM_400000_NS6detail17trampoline_kernelINS0_14default_configENS1_25partition_config_selectorILNS1_17partition_subalgoE8ElNS0_10empty_typeEbEEZZNS1_14partition_implILS5_8ELb0ES3_jPlPS6_PKS6_NS0_5tupleIJS9_S6_EEENSD_IJSA_SA_EEENS0_18inequality_wrapperIZN2at6native12_GLOBAL__N_124unique_dim_cuda_templateIjEESt5tupleIJNSH_6TensorESM_SM_EERKSM_lbbbEUlllE0_EEPmJS6_EEE10hipError_tPvRmT3_T4_T5_T6_T7_T9_mT8_P12ihipStream_tbDpT10_ENKUlT_T0_E_clISt17integral_constantIbLb0EES1B_IbLb1EEEEDaS17_S18_EUlS17_E_NS1_11comp_targetILNS1_3genE4ELNS1_11target_archE910ELNS1_3gpuE8ELNS1_3repE0EEENS1_30default_config_static_selectorELNS0_4arch9wavefront6targetE0EEEvT1_
		.amdhsa_group_segment_fixed_size 0
		.amdhsa_private_segment_fixed_size 0
		.amdhsa_kernarg_size 136
		.amdhsa_user_sgpr_count 2
		.amdhsa_user_sgpr_dispatch_ptr 0
		.amdhsa_user_sgpr_queue_ptr 0
		.amdhsa_user_sgpr_kernarg_segment_ptr 1
		.amdhsa_user_sgpr_dispatch_id 0
		.amdhsa_user_sgpr_kernarg_preload_length 0
		.amdhsa_user_sgpr_kernarg_preload_offset 0
		.amdhsa_user_sgpr_private_segment_size 0
		.amdhsa_wavefront_size32 1
		.amdhsa_uses_dynamic_stack 0
		.amdhsa_enable_private_segment 0
		.amdhsa_system_sgpr_workgroup_id_x 1
		.amdhsa_system_sgpr_workgroup_id_y 0
		.amdhsa_system_sgpr_workgroup_id_z 0
		.amdhsa_system_sgpr_workgroup_info 0
		.amdhsa_system_vgpr_workitem_id 0
		.amdhsa_next_free_vgpr 1
		.amdhsa_next_free_sgpr 1
		.amdhsa_named_barrier_count 0
		.amdhsa_reserve_vcc 0
		.amdhsa_float_round_mode_32 0
		.amdhsa_float_round_mode_16_64 0
		.amdhsa_float_denorm_mode_32 3
		.amdhsa_float_denorm_mode_16_64 3
		.amdhsa_fp16_overflow 0
		.amdhsa_memory_ordered 1
		.amdhsa_forward_progress 1
		.amdhsa_inst_pref_size 0
		.amdhsa_round_robin_scheduling 0
		.amdhsa_exception_fp_ieee_invalid_op 0
		.amdhsa_exception_fp_denorm_src 0
		.amdhsa_exception_fp_ieee_div_zero 0
		.amdhsa_exception_fp_ieee_overflow 0
		.amdhsa_exception_fp_ieee_underflow 0
		.amdhsa_exception_fp_ieee_inexact 0
		.amdhsa_exception_int_div_zero 0
	.end_amdhsa_kernel
	.section	.text._ZN7rocprim17ROCPRIM_400000_NS6detail17trampoline_kernelINS0_14default_configENS1_25partition_config_selectorILNS1_17partition_subalgoE8ElNS0_10empty_typeEbEEZZNS1_14partition_implILS5_8ELb0ES3_jPlPS6_PKS6_NS0_5tupleIJS9_S6_EEENSD_IJSA_SA_EEENS0_18inequality_wrapperIZN2at6native12_GLOBAL__N_124unique_dim_cuda_templateIjEESt5tupleIJNSH_6TensorESM_SM_EERKSM_lbbbEUlllE0_EEPmJS6_EEE10hipError_tPvRmT3_T4_T5_T6_T7_T9_mT8_P12ihipStream_tbDpT10_ENKUlT_T0_E_clISt17integral_constantIbLb0EES1B_IbLb1EEEEDaS17_S18_EUlS17_E_NS1_11comp_targetILNS1_3genE4ELNS1_11target_archE910ELNS1_3gpuE8ELNS1_3repE0EEENS1_30default_config_static_selectorELNS0_4arch9wavefront6targetE0EEEvT1_,"axG",@progbits,_ZN7rocprim17ROCPRIM_400000_NS6detail17trampoline_kernelINS0_14default_configENS1_25partition_config_selectorILNS1_17partition_subalgoE8ElNS0_10empty_typeEbEEZZNS1_14partition_implILS5_8ELb0ES3_jPlPS6_PKS6_NS0_5tupleIJS9_S6_EEENSD_IJSA_SA_EEENS0_18inequality_wrapperIZN2at6native12_GLOBAL__N_124unique_dim_cuda_templateIjEESt5tupleIJNSH_6TensorESM_SM_EERKSM_lbbbEUlllE0_EEPmJS6_EEE10hipError_tPvRmT3_T4_T5_T6_T7_T9_mT8_P12ihipStream_tbDpT10_ENKUlT_T0_E_clISt17integral_constantIbLb0EES1B_IbLb1EEEEDaS17_S18_EUlS17_E_NS1_11comp_targetILNS1_3genE4ELNS1_11target_archE910ELNS1_3gpuE8ELNS1_3repE0EEENS1_30default_config_static_selectorELNS0_4arch9wavefront6targetE0EEEvT1_,comdat
.Lfunc_end1567:
	.size	_ZN7rocprim17ROCPRIM_400000_NS6detail17trampoline_kernelINS0_14default_configENS1_25partition_config_selectorILNS1_17partition_subalgoE8ElNS0_10empty_typeEbEEZZNS1_14partition_implILS5_8ELb0ES3_jPlPS6_PKS6_NS0_5tupleIJS9_S6_EEENSD_IJSA_SA_EEENS0_18inequality_wrapperIZN2at6native12_GLOBAL__N_124unique_dim_cuda_templateIjEESt5tupleIJNSH_6TensorESM_SM_EERKSM_lbbbEUlllE0_EEPmJS6_EEE10hipError_tPvRmT3_T4_T5_T6_T7_T9_mT8_P12ihipStream_tbDpT10_ENKUlT_T0_E_clISt17integral_constantIbLb0EES1B_IbLb1EEEEDaS17_S18_EUlS17_E_NS1_11comp_targetILNS1_3genE4ELNS1_11target_archE910ELNS1_3gpuE8ELNS1_3repE0EEENS1_30default_config_static_selectorELNS0_4arch9wavefront6targetE0EEEvT1_, .Lfunc_end1567-_ZN7rocprim17ROCPRIM_400000_NS6detail17trampoline_kernelINS0_14default_configENS1_25partition_config_selectorILNS1_17partition_subalgoE8ElNS0_10empty_typeEbEEZZNS1_14partition_implILS5_8ELb0ES3_jPlPS6_PKS6_NS0_5tupleIJS9_S6_EEENSD_IJSA_SA_EEENS0_18inequality_wrapperIZN2at6native12_GLOBAL__N_124unique_dim_cuda_templateIjEESt5tupleIJNSH_6TensorESM_SM_EERKSM_lbbbEUlllE0_EEPmJS6_EEE10hipError_tPvRmT3_T4_T5_T6_T7_T9_mT8_P12ihipStream_tbDpT10_ENKUlT_T0_E_clISt17integral_constantIbLb0EES1B_IbLb1EEEEDaS17_S18_EUlS17_E_NS1_11comp_targetILNS1_3genE4ELNS1_11target_archE910ELNS1_3gpuE8ELNS1_3repE0EEENS1_30default_config_static_selectorELNS0_4arch9wavefront6targetE0EEEvT1_
                                        ; -- End function
	.set _ZN7rocprim17ROCPRIM_400000_NS6detail17trampoline_kernelINS0_14default_configENS1_25partition_config_selectorILNS1_17partition_subalgoE8ElNS0_10empty_typeEbEEZZNS1_14partition_implILS5_8ELb0ES3_jPlPS6_PKS6_NS0_5tupleIJS9_S6_EEENSD_IJSA_SA_EEENS0_18inequality_wrapperIZN2at6native12_GLOBAL__N_124unique_dim_cuda_templateIjEESt5tupleIJNSH_6TensorESM_SM_EERKSM_lbbbEUlllE0_EEPmJS6_EEE10hipError_tPvRmT3_T4_T5_T6_T7_T9_mT8_P12ihipStream_tbDpT10_ENKUlT_T0_E_clISt17integral_constantIbLb0EES1B_IbLb1EEEEDaS17_S18_EUlS17_E_NS1_11comp_targetILNS1_3genE4ELNS1_11target_archE910ELNS1_3gpuE8ELNS1_3repE0EEENS1_30default_config_static_selectorELNS0_4arch9wavefront6targetE0EEEvT1_.num_vgpr, 0
	.set _ZN7rocprim17ROCPRIM_400000_NS6detail17trampoline_kernelINS0_14default_configENS1_25partition_config_selectorILNS1_17partition_subalgoE8ElNS0_10empty_typeEbEEZZNS1_14partition_implILS5_8ELb0ES3_jPlPS6_PKS6_NS0_5tupleIJS9_S6_EEENSD_IJSA_SA_EEENS0_18inequality_wrapperIZN2at6native12_GLOBAL__N_124unique_dim_cuda_templateIjEESt5tupleIJNSH_6TensorESM_SM_EERKSM_lbbbEUlllE0_EEPmJS6_EEE10hipError_tPvRmT3_T4_T5_T6_T7_T9_mT8_P12ihipStream_tbDpT10_ENKUlT_T0_E_clISt17integral_constantIbLb0EES1B_IbLb1EEEEDaS17_S18_EUlS17_E_NS1_11comp_targetILNS1_3genE4ELNS1_11target_archE910ELNS1_3gpuE8ELNS1_3repE0EEENS1_30default_config_static_selectorELNS0_4arch9wavefront6targetE0EEEvT1_.num_agpr, 0
	.set _ZN7rocprim17ROCPRIM_400000_NS6detail17trampoline_kernelINS0_14default_configENS1_25partition_config_selectorILNS1_17partition_subalgoE8ElNS0_10empty_typeEbEEZZNS1_14partition_implILS5_8ELb0ES3_jPlPS6_PKS6_NS0_5tupleIJS9_S6_EEENSD_IJSA_SA_EEENS0_18inequality_wrapperIZN2at6native12_GLOBAL__N_124unique_dim_cuda_templateIjEESt5tupleIJNSH_6TensorESM_SM_EERKSM_lbbbEUlllE0_EEPmJS6_EEE10hipError_tPvRmT3_T4_T5_T6_T7_T9_mT8_P12ihipStream_tbDpT10_ENKUlT_T0_E_clISt17integral_constantIbLb0EES1B_IbLb1EEEEDaS17_S18_EUlS17_E_NS1_11comp_targetILNS1_3genE4ELNS1_11target_archE910ELNS1_3gpuE8ELNS1_3repE0EEENS1_30default_config_static_selectorELNS0_4arch9wavefront6targetE0EEEvT1_.numbered_sgpr, 0
	.set _ZN7rocprim17ROCPRIM_400000_NS6detail17trampoline_kernelINS0_14default_configENS1_25partition_config_selectorILNS1_17partition_subalgoE8ElNS0_10empty_typeEbEEZZNS1_14partition_implILS5_8ELb0ES3_jPlPS6_PKS6_NS0_5tupleIJS9_S6_EEENSD_IJSA_SA_EEENS0_18inequality_wrapperIZN2at6native12_GLOBAL__N_124unique_dim_cuda_templateIjEESt5tupleIJNSH_6TensorESM_SM_EERKSM_lbbbEUlllE0_EEPmJS6_EEE10hipError_tPvRmT3_T4_T5_T6_T7_T9_mT8_P12ihipStream_tbDpT10_ENKUlT_T0_E_clISt17integral_constantIbLb0EES1B_IbLb1EEEEDaS17_S18_EUlS17_E_NS1_11comp_targetILNS1_3genE4ELNS1_11target_archE910ELNS1_3gpuE8ELNS1_3repE0EEENS1_30default_config_static_selectorELNS0_4arch9wavefront6targetE0EEEvT1_.num_named_barrier, 0
	.set _ZN7rocprim17ROCPRIM_400000_NS6detail17trampoline_kernelINS0_14default_configENS1_25partition_config_selectorILNS1_17partition_subalgoE8ElNS0_10empty_typeEbEEZZNS1_14partition_implILS5_8ELb0ES3_jPlPS6_PKS6_NS0_5tupleIJS9_S6_EEENSD_IJSA_SA_EEENS0_18inequality_wrapperIZN2at6native12_GLOBAL__N_124unique_dim_cuda_templateIjEESt5tupleIJNSH_6TensorESM_SM_EERKSM_lbbbEUlllE0_EEPmJS6_EEE10hipError_tPvRmT3_T4_T5_T6_T7_T9_mT8_P12ihipStream_tbDpT10_ENKUlT_T0_E_clISt17integral_constantIbLb0EES1B_IbLb1EEEEDaS17_S18_EUlS17_E_NS1_11comp_targetILNS1_3genE4ELNS1_11target_archE910ELNS1_3gpuE8ELNS1_3repE0EEENS1_30default_config_static_selectorELNS0_4arch9wavefront6targetE0EEEvT1_.private_seg_size, 0
	.set _ZN7rocprim17ROCPRIM_400000_NS6detail17trampoline_kernelINS0_14default_configENS1_25partition_config_selectorILNS1_17partition_subalgoE8ElNS0_10empty_typeEbEEZZNS1_14partition_implILS5_8ELb0ES3_jPlPS6_PKS6_NS0_5tupleIJS9_S6_EEENSD_IJSA_SA_EEENS0_18inequality_wrapperIZN2at6native12_GLOBAL__N_124unique_dim_cuda_templateIjEESt5tupleIJNSH_6TensorESM_SM_EERKSM_lbbbEUlllE0_EEPmJS6_EEE10hipError_tPvRmT3_T4_T5_T6_T7_T9_mT8_P12ihipStream_tbDpT10_ENKUlT_T0_E_clISt17integral_constantIbLb0EES1B_IbLb1EEEEDaS17_S18_EUlS17_E_NS1_11comp_targetILNS1_3genE4ELNS1_11target_archE910ELNS1_3gpuE8ELNS1_3repE0EEENS1_30default_config_static_selectorELNS0_4arch9wavefront6targetE0EEEvT1_.uses_vcc, 0
	.set _ZN7rocprim17ROCPRIM_400000_NS6detail17trampoline_kernelINS0_14default_configENS1_25partition_config_selectorILNS1_17partition_subalgoE8ElNS0_10empty_typeEbEEZZNS1_14partition_implILS5_8ELb0ES3_jPlPS6_PKS6_NS0_5tupleIJS9_S6_EEENSD_IJSA_SA_EEENS0_18inequality_wrapperIZN2at6native12_GLOBAL__N_124unique_dim_cuda_templateIjEESt5tupleIJNSH_6TensorESM_SM_EERKSM_lbbbEUlllE0_EEPmJS6_EEE10hipError_tPvRmT3_T4_T5_T6_T7_T9_mT8_P12ihipStream_tbDpT10_ENKUlT_T0_E_clISt17integral_constantIbLb0EES1B_IbLb1EEEEDaS17_S18_EUlS17_E_NS1_11comp_targetILNS1_3genE4ELNS1_11target_archE910ELNS1_3gpuE8ELNS1_3repE0EEENS1_30default_config_static_selectorELNS0_4arch9wavefront6targetE0EEEvT1_.uses_flat_scratch, 0
	.set _ZN7rocprim17ROCPRIM_400000_NS6detail17trampoline_kernelINS0_14default_configENS1_25partition_config_selectorILNS1_17partition_subalgoE8ElNS0_10empty_typeEbEEZZNS1_14partition_implILS5_8ELb0ES3_jPlPS6_PKS6_NS0_5tupleIJS9_S6_EEENSD_IJSA_SA_EEENS0_18inequality_wrapperIZN2at6native12_GLOBAL__N_124unique_dim_cuda_templateIjEESt5tupleIJNSH_6TensorESM_SM_EERKSM_lbbbEUlllE0_EEPmJS6_EEE10hipError_tPvRmT3_T4_T5_T6_T7_T9_mT8_P12ihipStream_tbDpT10_ENKUlT_T0_E_clISt17integral_constantIbLb0EES1B_IbLb1EEEEDaS17_S18_EUlS17_E_NS1_11comp_targetILNS1_3genE4ELNS1_11target_archE910ELNS1_3gpuE8ELNS1_3repE0EEENS1_30default_config_static_selectorELNS0_4arch9wavefront6targetE0EEEvT1_.has_dyn_sized_stack, 0
	.set _ZN7rocprim17ROCPRIM_400000_NS6detail17trampoline_kernelINS0_14default_configENS1_25partition_config_selectorILNS1_17partition_subalgoE8ElNS0_10empty_typeEbEEZZNS1_14partition_implILS5_8ELb0ES3_jPlPS6_PKS6_NS0_5tupleIJS9_S6_EEENSD_IJSA_SA_EEENS0_18inequality_wrapperIZN2at6native12_GLOBAL__N_124unique_dim_cuda_templateIjEESt5tupleIJNSH_6TensorESM_SM_EERKSM_lbbbEUlllE0_EEPmJS6_EEE10hipError_tPvRmT3_T4_T5_T6_T7_T9_mT8_P12ihipStream_tbDpT10_ENKUlT_T0_E_clISt17integral_constantIbLb0EES1B_IbLb1EEEEDaS17_S18_EUlS17_E_NS1_11comp_targetILNS1_3genE4ELNS1_11target_archE910ELNS1_3gpuE8ELNS1_3repE0EEENS1_30default_config_static_selectorELNS0_4arch9wavefront6targetE0EEEvT1_.has_recursion, 0
	.set _ZN7rocprim17ROCPRIM_400000_NS6detail17trampoline_kernelINS0_14default_configENS1_25partition_config_selectorILNS1_17partition_subalgoE8ElNS0_10empty_typeEbEEZZNS1_14partition_implILS5_8ELb0ES3_jPlPS6_PKS6_NS0_5tupleIJS9_S6_EEENSD_IJSA_SA_EEENS0_18inequality_wrapperIZN2at6native12_GLOBAL__N_124unique_dim_cuda_templateIjEESt5tupleIJNSH_6TensorESM_SM_EERKSM_lbbbEUlllE0_EEPmJS6_EEE10hipError_tPvRmT3_T4_T5_T6_T7_T9_mT8_P12ihipStream_tbDpT10_ENKUlT_T0_E_clISt17integral_constantIbLb0EES1B_IbLb1EEEEDaS17_S18_EUlS17_E_NS1_11comp_targetILNS1_3genE4ELNS1_11target_archE910ELNS1_3gpuE8ELNS1_3repE0EEENS1_30default_config_static_selectorELNS0_4arch9wavefront6targetE0EEEvT1_.has_indirect_call, 0
	.section	.AMDGPU.csdata,"",@progbits
; Kernel info:
; codeLenInByte = 0
; TotalNumSgprs: 0
; NumVgprs: 0
; ScratchSize: 0
; MemoryBound: 0
; FloatMode: 240
; IeeeMode: 1
; LDSByteSize: 0 bytes/workgroup (compile time only)
; SGPRBlocks: 0
; VGPRBlocks: 0
; NumSGPRsForWavesPerEU: 1
; NumVGPRsForWavesPerEU: 1
; NamedBarCnt: 0
; Occupancy: 16
; WaveLimiterHint : 0
; COMPUTE_PGM_RSRC2:SCRATCH_EN: 0
; COMPUTE_PGM_RSRC2:USER_SGPR: 2
; COMPUTE_PGM_RSRC2:TRAP_HANDLER: 0
; COMPUTE_PGM_RSRC2:TGID_X_EN: 1
; COMPUTE_PGM_RSRC2:TGID_Y_EN: 0
; COMPUTE_PGM_RSRC2:TGID_Z_EN: 0
; COMPUTE_PGM_RSRC2:TIDIG_COMP_CNT: 0
	.section	.text._ZN7rocprim17ROCPRIM_400000_NS6detail17trampoline_kernelINS0_14default_configENS1_25partition_config_selectorILNS1_17partition_subalgoE8ElNS0_10empty_typeEbEEZZNS1_14partition_implILS5_8ELb0ES3_jPlPS6_PKS6_NS0_5tupleIJS9_S6_EEENSD_IJSA_SA_EEENS0_18inequality_wrapperIZN2at6native12_GLOBAL__N_124unique_dim_cuda_templateIjEESt5tupleIJNSH_6TensorESM_SM_EERKSM_lbbbEUlllE0_EEPmJS6_EEE10hipError_tPvRmT3_T4_T5_T6_T7_T9_mT8_P12ihipStream_tbDpT10_ENKUlT_T0_E_clISt17integral_constantIbLb0EES1B_IbLb1EEEEDaS17_S18_EUlS17_E_NS1_11comp_targetILNS1_3genE3ELNS1_11target_archE908ELNS1_3gpuE7ELNS1_3repE0EEENS1_30default_config_static_selectorELNS0_4arch9wavefront6targetE0EEEvT1_,"axG",@progbits,_ZN7rocprim17ROCPRIM_400000_NS6detail17trampoline_kernelINS0_14default_configENS1_25partition_config_selectorILNS1_17partition_subalgoE8ElNS0_10empty_typeEbEEZZNS1_14partition_implILS5_8ELb0ES3_jPlPS6_PKS6_NS0_5tupleIJS9_S6_EEENSD_IJSA_SA_EEENS0_18inequality_wrapperIZN2at6native12_GLOBAL__N_124unique_dim_cuda_templateIjEESt5tupleIJNSH_6TensorESM_SM_EERKSM_lbbbEUlllE0_EEPmJS6_EEE10hipError_tPvRmT3_T4_T5_T6_T7_T9_mT8_P12ihipStream_tbDpT10_ENKUlT_T0_E_clISt17integral_constantIbLb0EES1B_IbLb1EEEEDaS17_S18_EUlS17_E_NS1_11comp_targetILNS1_3genE3ELNS1_11target_archE908ELNS1_3gpuE7ELNS1_3repE0EEENS1_30default_config_static_selectorELNS0_4arch9wavefront6targetE0EEEvT1_,comdat
	.globl	_ZN7rocprim17ROCPRIM_400000_NS6detail17trampoline_kernelINS0_14default_configENS1_25partition_config_selectorILNS1_17partition_subalgoE8ElNS0_10empty_typeEbEEZZNS1_14partition_implILS5_8ELb0ES3_jPlPS6_PKS6_NS0_5tupleIJS9_S6_EEENSD_IJSA_SA_EEENS0_18inequality_wrapperIZN2at6native12_GLOBAL__N_124unique_dim_cuda_templateIjEESt5tupleIJNSH_6TensorESM_SM_EERKSM_lbbbEUlllE0_EEPmJS6_EEE10hipError_tPvRmT3_T4_T5_T6_T7_T9_mT8_P12ihipStream_tbDpT10_ENKUlT_T0_E_clISt17integral_constantIbLb0EES1B_IbLb1EEEEDaS17_S18_EUlS17_E_NS1_11comp_targetILNS1_3genE3ELNS1_11target_archE908ELNS1_3gpuE7ELNS1_3repE0EEENS1_30default_config_static_selectorELNS0_4arch9wavefront6targetE0EEEvT1_ ; -- Begin function _ZN7rocprim17ROCPRIM_400000_NS6detail17trampoline_kernelINS0_14default_configENS1_25partition_config_selectorILNS1_17partition_subalgoE8ElNS0_10empty_typeEbEEZZNS1_14partition_implILS5_8ELb0ES3_jPlPS6_PKS6_NS0_5tupleIJS9_S6_EEENSD_IJSA_SA_EEENS0_18inequality_wrapperIZN2at6native12_GLOBAL__N_124unique_dim_cuda_templateIjEESt5tupleIJNSH_6TensorESM_SM_EERKSM_lbbbEUlllE0_EEPmJS6_EEE10hipError_tPvRmT3_T4_T5_T6_T7_T9_mT8_P12ihipStream_tbDpT10_ENKUlT_T0_E_clISt17integral_constantIbLb0EES1B_IbLb1EEEEDaS17_S18_EUlS17_E_NS1_11comp_targetILNS1_3genE3ELNS1_11target_archE908ELNS1_3gpuE7ELNS1_3repE0EEENS1_30default_config_static_selectorELNS0_4arch9wavefront6targetE0EEEvT1_
	.p2align	8
	.type	_ZN7rocprim17ROCPRIM_400000_NS6detail17trampoline_kernelINS0_14default_configENS1_25partition_config_selectorILNS1_17partition_subalgoE8ElNS0_10empty_typeEbEEZZNS1_14partition_implILS5_8ELb0ES3_jPlPS6_PKS6_NS0_5tupleIJS9_S6_EEENSD_IJSA_SA_EEENS0_18inequality_wrapperIZN2at6native12_GLOBAL__N_124unique_dim_cuda_templateIjEESt5tupleIJNSH_6TensorESM_SM_EERKSM_lbbbEUlllE0_EEPmJS6_EEE10hipError_tPvRmT3_T4_T5_T6_T7_T9_mT8_P12ihipStream_tbDpT10_ENKUlT_T0_E_clISt17integral_constantIbLb0EES1B_IbLb1EEEEDaS17_S18_EUlS17_E_NS1_11comp_targetILNS1_3genE3ELNS1_11target_archE908ELNS1_3gpuE7ELNS1_3repE0EEENS1_30default_config_static_selectorELNS0_4arch9wavefront6targetE0EEEvT1_,@function
_ZN7rocprim17ROCPRIM_400000_NS6detail17trampoline_kernelINS0_14default_configENS1_25partition_config_selectorILNS1_17partition_subalgoE8ElNS0_10empty_typeEbEEZZNS1_14partition_implILS5_8ELb0ES3_jPlPS6_PKS6_NS0_5tupleIJS9_S6_EEENSD_IJSA_SA_EEENS0_18inequality_wrapperIZN2at6native12_GLOBAL__N_124unique_dim_cuda_templateIjEESt5tupleIJNSH_6TensorESM_SM_EERKSM_lbbbEUlllE0_EEPmJS6_EEE10hipError_tPvRmT3_T4_T5_T6_T7_T9_mT8_P12ihipStream_tbDpT10_ENKUlT_T0_E_clISt17integral_constantIbLb0EES1B_IbLb1EEEEDaS17_S18_EUlS17_E_NS1_11comp_targetILNS1_3genE3ELNS1_11target_archE908ELNS1_3gpuE7ELNS1_3repE0EEENS1_30default_config_static_selectorELNS0_4arch9wavefront6targetE0EEEvT1_: ; @_ZN7rocprim17ROCPRIM_400000_NS6detail17trampoline_kernelINS0_14default_configENS1_25partition_config_selectorILNS1_17partition_subalgoE8ElNS0_10empty_typeEbEEZZNS1_14partition_implILS5_8ELb0ES3_jPlPS6_PKS6_NS0_5tupleIJS9_S6_EEENSD_IJSA_SA_EEENS0_18inequality_wrapperIZN2at6native12_GLOBAL__N_124unique_dim_cuda_templateIjEESt5tupleIJNSH_6TensorESM_SM_EERKSM_lbbbEUlllE0_EEPmJS6_EEE10hipError_tPvRmT3_T4_T5_T6_T7_T9_mT8_P12ihipStream_tbDpT10_ENKUlT_T0_E_clISt17integral_constantIbLb0EES1B_IbLb1EEEEDaS17_S18_EUlS17_E_NS1_11comp_targetILNS1_3genE3ELNS1_11target_archE908ELNS1_3gpuE7ELNS1_3repE0EEENS1_30default_config_static_selectorELNS0_4arch9wavefront6targetE0EEEvT1_
; %bb.0:
	.section	.rodata,"a",@progbits
	.p2align	6, 0x0
	.amdhsa_kernel _ZN7rocprim17ROCPRIM_400000_NS6detail17trampoline_kernelINS0_14default_configENS1_25partition_config_selectorILNS1_17partition_subalgoE8ElNS0_10empty_typeEbEEZZNS1_14partition_implILS5_8ELb0ES3_jPlPS6_PKS6_NS0_5tupleIJS9_S6_EEENSD_IJSA_SA_EEENS0_18inequality_wrapperIZN2at6native12_GLOBAL__N_124unique_dim_cuda_templateIjEESt5tupleIJNSH_6TensorESM_SM_EERKSM_lbbbEUlllE0_EEPmJS6_EEE10hipError_tPvRmT3_T4_T5_T6_T7_T9_mT8_P12ihipStream_tbDpT10_ENKUlT_T0_E_clISt17integral_constantIbLb0EES1B_IbLb1EEEEDaS17_S18_EUlS17_E_NS1_11comp_targetILNS1_3genE3ELNS1_11target_archE908ELNS1_3gpuE7ELNS1_3repE0EEENS1_30default_config_static_selectorELNS0_4arch9wavefront6targetE0EEEvT1_
		.amdhsa_group_segment_fixed_size 0
		.amdhsa_private_segment_fixed_size 0
		.amdhsa_kernarg_size 136
		.amdhsa_user_sgpr_count 2
		.amdhsa_user_sgpr_dispatch_ptr 0
		.amdhsa_user_sgpr_queue_ptr 0
		.amdhsa_user_sgpr_kernarg_segment_ptr 1
		.amdhsa_user_sgpr_dispatch_id 0
		.amdhsa_user_sgpr_kernarg_preload_length 0
		.amdhsa_user_sgpr_kernarg_preload_offset 0
		.amdhsa_user_sgpr_private_segment_size 0
		.amdhsa_wavefront_size32 1
		.amdhsa_uses_dynamic_stack 0
		.amdhsa_enable_private_segment 0
		.amdhsa_system_sgpr_workgroup_id_x 1
		.amdhsa_system_sgpr_workgroup_id_y 0
		.amdhsa_system_sgpr_workgroup_id_z 0
		.amdhsa_system_sgpr_workgroup_info 0
		.amdhsa_system_vgpr_workitem_id 0
		.amdhsa_next_free_vgpr 1
		.amdhsa_next_free_sgpr 1
		.amdhsa_named_barrier_count 0
		.amdhsa_reserve_vcc 0
		.amdhsa_float_round_mode_32 0
		.amdhsa_float_round_mode_16_64 0
		.amdhsa_float_denorm_mode_32 3
		.amdhsa_float_denorm_mode_16_64 3
		.amdhsa_fp16_overflow 0
		.amdhsa_memory_ordered 1
		.amdhsa_forward_progress 1
		.amdhsa_inst_pref_size 0
		.amdhsa_round_robin_scheduling 0
		.amdhsa_exception_fp_ieee_invalid_op 0
		.amdhsa_exception_fp_denorm_src 0
		.amdhsa_exception_fp_ieee_div_zero 0
		.amdhsa_exception_fp_ieee_overflow 0
		.amdhsa_exception_fp_ieee_underflow 0
		.amdhsa_exception_fp_ieee_inexact 0
		.amdhsa_exception_int_div_zero 0
	.end_amdhsa_kernel
	.section	.text._ZN7rocprim17ROCPRIM_400000_NS6detail17trampoline_kernelINS0_14default_configENS1_25partition_config_selectorILNS1_17partition_subalgoE8ElNS0_10empty_typeEbEEZZNS1_14partition_implILS5_8ELb0ES3_jPlPS6_PKS6_NS0_5tupleIJS9_S6_EEENSD_IJSA_SA_EEENS0_18inequality_wrapperIZN2at6native12_GLOBAL__N_124unique_dim_cuda_templateIjEESt5tupleIJNSH_6TensorESM_SM_EERKSM_lbbbEUlllE0_EEPmJS6_EEE10hipError_tPvRmT3_T4_T5_T6_T7_T9_mT8_P12ihipStream_tbDpT10_ENKUlT_T0_E_clISt17integral_constantIbLb0EES1B_IbLb1EEEEDaS17_S18_EUlS17_E_NS1_11comp_targetILNS1_3genE3ELNS1_11target_archE908ELNS1_3gpuE7ELNS1_3repE0EEENS1_30default_config_static_selectorELNS0_4arch9wavefront6targetE0EEEvT1_,"axG",@progbits,_ZN7rocprim17ROCPRIM_400000_NS6detail17trampoline_kernelINS0_14default_configENS1_25partition_config_selectorILNS1_17partition_subalgoE8ElNS0_10empty_typeEbEEZZNS1_14partition_implILS5_8ELb0ES3_jPlPS6_PKS6_NS0_5tupleIJS9_S6_EEENSD_IJSA_SA_EEENS0_18inequality_wrapperIZN2at6native12_GLOBAL__N_124unique_dim_cuda_templateIjEESt5tupleIJNSH_6TensorESM_SM_EERKSM_lbbbEUlllE0_EEPmJS6_EEE10hipError_tPvRmT3_T4_T5_T6_T7_T9_mT8_P12ihipStream_tbDpT10_ENKUlT_T0_E_clISt17integral_constantIbLb0EES1B_IbLb1EEEEDaS17_S18_EUlS17_E_NS1_11comp_targetILNS1_3genE3ELNS1_11target_archE908ELNS1_3gpuE7ELNS1_3repE0EEENS1_30default_config_static_selectorELNS0_4arch9wavefront6targetE0EEEvT1_,comdat
.Lfunc_end1568:
	.size	_ZN7rocprim17ROCPRIM_400000_NS6detail17trampoline_kernelINS0_14default_configENS1_25partition_config_selectorILNS1_17partition_subalgoE8ElNS0_10empty_typeEbEEZZNS1_14partition_implILS5_8ELb0ES3_jPlPS6_PKS6_NS0_5tupleIJS9_S6_EEENSD_IJSA_SA_EEENS0_18inequality_wrapperIZN2at6native12_GLOBAL__N_124unique_dim_cuda_templateIjEESt5tupleIJNSH_6TensorESM_SM_EERKSM_lbbbEUlllE0_EEPmJS6_EEE10hipError_tPvRmT3_T4_T5_T6_T7_T9_mT8_P12ihipStream_tbDpT10_ENKUlT_T0_E_clISt17integral_constantIbLb0EES1B_IbLb1EEEEDaS17_S18_EUlS17_E_NS1_11comp_targetILNS1_3genE3ELNS1_11target_archE908ELNS1_3gpuE7ELNS1_3repE0EEENS1_30default_config_static_selectorELNS0_4arch9wavefront6targetE0EEEvT1_, .Lfunc_end1568-_ZN7rocprim17ROCPRIM_400000_NS6detail17trampoline_kernelINS0_14default_configENS1_25partition_config_selectorILNS1_17partition_subalgoE8ElNS0_10empty_typeEbEEZZNS1_14partition_implILS5_8ELb0ES3_jPlPS6_PKS6_NS0_5tupleIJS9_S6_EEENSD_IJSA_SA_EEENS0_18inequality_wrapperIZN2at6native12_GLOBAL__N_124unique_dim_cuda_templateIjEESt5tupleIJNSH_6TensorESM_SM_EERKSM_lbbbEUlllE0_EEPmJS6_EEE10hipError_tPvRmT3_T4_T5_T6_T7_T9_mT8_P12ihipStream_tbDpT10_ENKUlT_T0_E_clISt17integral_constantIbLb0EES1B_IbLb1EEEEDaS17_S18_EUlS17_E_NS1_11comp_targetILNS1_3genE3ELNS1_11target_archE908ELNS1_3gpuE7ELNS1_3repE0EEENS1_30default_config_static_selectorELNS0_4arch9wavefront6targetE0EEEvT1_
                                        ; -- End function
	.set _ZN7rocprim17ROCPRIM_400000_NS6detail17trampoline_kernelINS0_14default_configENS1_25partition_config_selectorILNS1_17partition_subalgoE8ElNS0_10empty_typeEbEEZZNS1_14partition_implILS5_8ELb0ES3_jPlPS6_PKS6_NS0_5tupleIJS9_S6_EEENSD_IJSA_SA_EEENS0_18inequality_wrapperIZN2at6native12_GLOBAL__N_124unique_dim_cuda_templateIjEESt5tupleIJNSH_6TensorESM_SM_EERKSM_lbbbEUlllE0_EEPmJS6_EEE10hipError_tPvRmT3_T4_T5_T6_T7_T9_mT8_P12ihipStream_tbDpT10_ENKUlT_T0_E_clISt17integral_constantIbLb0EES1B_IbLb1EEEEDaS17_S18_EUlS17_E_NS1_11comp_targetILNS1_3genE3ELNS1_11target_archE908ELNS1_3gpuE7ELNS1_3repE0EEENS1_30default_config_static_selectorELNS0_4arch9wavefront6targetE0EEEvT1_.num_vgpr, 0
	.set _ZN7rocprim17ROCPRIM_400000_NS6detail17trampoline_kernelINS0_14default_configENS1_25partition_config_selectorILNS1_17partition_subalgoE8ElNS0_10empty_typeEbEEZZNS1_14partition_implILS5_8ELb0ES3_jPlPS6_PKS6_NS0_5tupleIJS9_S6_EEENSD_IJSA_SA_EEENS0_18inequality_wrapperIZN2at6native12_GLOBAL__N_124unique_dim_cuda_templateIjEESt5tupleIJNSH_6TensorESM_SM_EERKSM_lbbbEUlllE0_EEPmJS6_EEE10hipError_tPvRmT3_T4_T5_T6_T7_T9_mT8_P12ihipStream_tbDpT10_ENKUlT_T0_E_clISt17integral_constantIbLb0EES1B_IbLb1EEEEDaS17_S18_EUlS17_E_NS1_11comp_targetILNS1_3genE3ELNS1_11target_archE908ELNS1_3gpuE7ELNS1_3repE0EEENS1_30default_config_static_selectorELNS0_4arch9wavefront6targetE0EEEvT1_.num_agpr, 0
	.set _ZN7rocprim17ROCPRIM_400000_NS6detail17trampoline_kernelINS0_14default_configENS1_25partition_config_selectorILNS1_17partition_subalgoE8ElNS0_10empty_typeEbEEZZNS1_14partition_implILS5_8ELb0ES3_jPlPS6_PKS6_NS0_5tupleIJS9_S6_EEENSD_IJSA_SA_EEENS0_18inequality_wrapperIZN2at6native12_GLOBAL__N_124unique_dim_cuda_templateIjEESt5tupleIJNSH_6TensorESM_SM_EERKSM_lbbbEUlllE0_EEPmJS6_EEE10hipError_tPvRmT3_T4_T5_T6_T7_T9_mT8_P12ihipStream_tbDpT10_ENKUlT_T0_E_clISt17integral_constantIbLb0EES1B_IbLb1EEEEDaS17_S18_EUlS17_E_NS1_11comp_targetILNS1_3genE3ELNS1_11target_archE908ELNS1_3gpuE7ELNS1_3repE0EEENS1_30default_config_static_selectorELNS0_4arch9wavefront6targetE0EEEvT1_.numbered_sgpr, 0
	.set _ZN7rocprim17ROCPRIM_400000_NS6detail17trampoline_kernelINS0_14default_configENS1_25partition_config_selectorILNS1_17partition_subalgoE8ElNS0_10empty_typeEbEEZZNS1_14partition_implILS5_8ELb0ES3_jPlPS6_PKS6_NS0_5tupleIJS9_S6_EEENSD_IJSA_SA_EEENS0_18inequality_wrapperIZN2at6native12_GLOBAL__N_124unique_dim_cuda_templateIjEESt5tupleIJNSH_6TensorESM_SM_EERKSM_lbbbEUlllE0_EEPmJS6_EEE10hipError_tPvRmT3_T4_T5_T6_T7_T9_mT8_P12ihipStream_tbDpT10_ENKUlT_T0_E_clISt17integral_constantIbLb0EES1B_IbLb1EEEEDaS17_S18_EUlS17_E_NS1_11comp_targetILNS1_3genE3ELNS1_11target_archE908ELNS1_3gpuE7ELNS1_3repE0EEENS1_30default_config_static_selectorELNS0_4arch9wavefront6targetE0EEEvT1_.num_named_barrier, 0
	.set _ZN7rocprim17ROCPRIM_400000_NS6detail17trampoline_kernelINS0_14default_configENS1_25partition_config_selectorILNS1_17partition_subalgoE8ElNS0_10empty_typeEbEEZZNS1_14partition_implILS5_8ELb0ES3_jPlPS6_PKS6_NS0_5tupleIJS9_S6_EEENSD_IJSA_SA_EEENS0_18inequality_wrapperIZN2at6native12_GLOBAL__N_124unique_dim_cuda_templateIjEESt5tupleIJNSH_6TensorESM_SM_EERKSM_lbbbEUlllE0_EEPmJS6_EEE10hipError_tPvRmT3_T4_T5_T6_T7_T9_mT8_P12ihipStream_tbDpT10_ENKUlT_T0_E_clISt17integral_constantIbLb0EES1B_IbLb1EEEEDaS17_S18_EUlS17_E_NS1_11comp_targetILNS1_3genE3ELNS1_11target_archE908ELNS1_3gpuE7ELNS1_3repE0EEENS1_30default_config_static_selectorELNS0_4arch9wavefront6targetE0EEEvT1_.private_seg_size, 0
	.set _ZN7rocprim17ROCPRIM_400000_NS6detail17trampoline_kernelINS0_14default_configENS1_25partition_config_selectorILNS1_17partition_subalgoE8ElNS0_10empty_typeEbEEZZNS1_14partition_implILS5_8ELb0ES3_jPlPS6_PKS6_NS0_5tupleIJS9_S6_EEENSD_IJSA_SA_EEENS0_18inequality_wrapperIZN2at6native12_GLOBAL__N_124unique_dim_cuda_templateIjEESt5tupleIJNSH_6TensorESM_SM_EERKSM_lbbbEUlllE0_EEPmJS6_EEE10hipError_tPvRmT3_T4_T5_T6_T7_T9_mT8_P12ihipStream_tbDpT10_ENKUlT_T0_E_clISt17integral_constantIbLb0EES1B_IbLb1EEEEDaS17_S18_EUlS17_E_NS1_11comp_targetILNS1_3genE3ELNS1_11target_archE908ELNS1_3gpuE7ELNS1_3repE0EEENS1_30default_config_static_selectorELNS0_4arch9wavefront6targetE0EEEvT1_.uses_vcc, 0
	.set _ZN7rocprim17ROCPRIM_400000_NS6detail17trampoline_kernelINS0_14default_configENS1_25partition_config_selectorILNS1_17partition_subalgoE8ElNS0_10empty_typeEbEEZZNS1_14partition_implILS5_8ELb0ES3_jPlPS6_PKS6_NS0_5tupleIJS9_S6_EEENSD_IJSA_SA_EEENS0_18inequality_wrapperIZN2at6native12_GLOBAL__N_124unique_dim_cuda_templateIjEESt5tupleIJNSH_6TensorESM_SM_EERKSM_lbbbEUlllE0_EEPmJS6_EEE10hipError_tPvRmT3_T4_T5_T6_T7_T9_mT8_P12ihipStream_tbDpT10_ENKUlT_T0_E_clISt17integral_constantIbLb0EES1B_IbLb1EEEEDaS17_S18_EUlS17_E_NS1_11comp_targetILNS1_3genE3ELNS1_11target_archE908ELNS1_3gpuE7ELNS1_3repE0EEENS1_30default_config_static_selectorELNS0_4arch9wavefront6targetE0EEEvT1_.uses_flat_scratch, 0
	.set _ZN7rocprim17ROCPRIM_400000_NS6detail17trampoline_kernelINS0_14default_configENS1_25partition_config_selectorILNS1_17partition_subalgoE8ElNS0_10empty_typeEbEEZZNS1_14partition_implILS5_8ELb0ES3_jPlPS6_PKS6_NS0_5tupleIJS9_S6_EEENSD_IJSA_SA_EEENS0_18inequality_wrapperIZN2at6native12_GLOBAL__N_124unique_dim_cuda_templateIjEESt5tupleIJNSH_6TensorESM_SM_EERKSM_lbbbEUlllE0_EEPmJS6_EEE10hipError_tPvRmT3_T4_T5_T6_T7_T9_mT8_P12ihipStream_tbDpT10_ENKUlT_T0_E_clISt17integral_constantIbLb0EES1B_IbLb1EEEEDaS17_S18_EUlS17_E_NS1_11comp_targetILNS1_3genE3ELNS1_11target_archE908ELNS1_3gpuE7ELNS1_3repE0EEENS1_30default_config_static_selectorELNS0_4arch9wavefront6targetE0EEEvT1_.has_dyn_sized_stack, 0
	.set _ZN7rocprim17ROCPRIM_400000_NS6detail17trampoline_kernelINS0_14default_configENS1_25partition_config_selectorILNS1_17partition_subalgoE8ElNS0_10empty_typeEbEEZZNS1_14partition_implILS5_8ELb0ES3_jPlPS6_PKS6_NS0_5tupleIJS9_S6_EEENSD_IJSA_SA_EEENS0_18inequality_wrapperIZN2at6native12_GLOBAL__N_124unique_dim_cuda_templateIjEESt5tupleIJNSH_6TensorESM_SM_EERKSM_lbbbEUlllE0_EEPmJS6_EEE10hipError_tPvRmT3_T4_T5_T6_T7_T9_mT8_P12ihipStream_tbDpT10_ENKUlT_T0_E_clISt17integral_constantIbLb0EES1B_IbLb1EEEEDaS17_S18_EUlS17_E_NS1_11comp_targetILNS1_3genE3ELNS1_11target_archE908ELNS1_3gpuE7ELNS1_3repE0EEENS1_30default_config_static_selectorELNS0_4arch9wavefront6targetE0EEEvT1_.has_recursion, 0
	.set _ZN7rocprim17ROCPRIM_400000_NS6detail17trampoline_kernelINS0_14default_configENS1_25partition_config_selectorILNS1_17partition_subalgoE8ElNS0_10empty_typeEbEEZZNS1_14partition_implILS5_8ELb0ES3_jPlPS6_PKS6_NS0_5tupleIJS9_S6_EEENSD_IJSA_SA_EEENS0_18inequality_wrapperIZN2at6native12_GLOBAL__N_124unique_dim_cuda_templateIjEESt5tupleIJNSH_6TensorESM_SM_EERKSM_lbbbEUlllE0_EEPmJS6_EEE10hipError_tPvRmT3_T4_T5_T6_T7_T9_mT8_P12ihipStream_tbDpT10_ENKUlT_T0_E_clISt17integral_constantIbLb0EES1B_IbLb1EEEEDaS17_S18_EUlS17_E_NS1_11comp_targetILNS1_3genE3ELNS1_11target_archE908ELNS1_3gpuE7ELNS1_3repE0EEENS1_30default_config_static_selectorELNS0_4arch9wavefront6targetE0EEEvT1_.has_indirect_call, 0
	.section	.AMDGPU.csdata,"",@progbits
; Kernel info:
; codeLenInByte = 0
; TotalNumSgprs: 0
; NumVgprs: 0
; ScratchSize: 0
; MemoryBound: 0
; FloatMode: 240
; IeeeMode: 1
; LDSByteSize: 0 bytes/workgroup (compile time only)
; SGPRBlocks: 0
; VGPRBlocks: 0
; NumSGPRsForWavesPerEU: 1
; NumVGPRsForWavesPerEU: 1
; NamedBarCnt: 0
; Occupancy: 16
; WaveLimiterHint : 0
; COMPUTE_PGM_RSRC2:SCRATCH_EN: 0
; COMPUTE_PGM_RSRC2:USER_SGPR: 2
; COMPUTE_PGM_RSRC2:TRAP_HANDLER: 0
; COMPUTE_PGM_RSRC2:TGID_X_EN: 1
; COMPUTE_PGM_RSRC2:TGID_Y_EN: 0
; COMPUTE_PGM_RSRC2:TGID_Z_EN: 0
; COMPUTE_PGM_RSRC2:TIDIG_COMP_CNT: 0
	.section	.text._ZN7rocprim17ROCPRIM_400000_NS6detail17trampoline_kernelINS0_14default_configENS1_25partition_config_selectorILNS1_17partition_subalgoE8ElNS0_10empty_typeEbEEZZNS1_14partition_implILS5_8ELb0ES3_jPlPS6_PKS6_NS0_5tupleIJS9_S6_EEENSD_IJSA_SA_EEENS0_18inequality_wrapperIZN2at6native12_GLOBAL__N_124unique_dim_cuda_templateIjEESt5tupleIJNSH_6TensorESM_SM_EERKSM_lbbbEUlllE0_EEPmJS6_EEE10hipError_tPvRmT3_T4_T5_T6_T7_T9_mT8_P12ihipStream_tbDpT10_ENKUlT_T0_E_clISt17integral_constantIbLb0EES1B_IbLb1EEEEDaS17_S18_EUlS17_E_NS1_11comp_targetILNS1_3genE2ELNS1_11target_archE906ELNS1_3gpuE6ELNS1_3repE0EEENS1_30default_config_static_selectorELNS0_4arch9wavefront6targetE0EEEvT1_,"axG",@progbits,_ZN7rocprim17ROCPRIM_400000_NS6detail17trampoline_kernelINS0_14default_configENS1_25partition_config_selectorILNS1_17partition_subalgoE8ElNS0_10empty_typeEbEEZZNS1_14partition_implILS5_8ELb0ES3_jPlPS6_PKS6_NS0_5tupleIJS9_S6_EEENSD_IJSA_SA_EEENS0_18inequality_wrapperIZN2at6native12_GLOBAL__N_124unique_dim_cuda_templateIjEESt5tupleIJNSH_6TensorESM_SM_EERKSM_lbbbEUlllE0_EEPmJS6_EEE10hipError_tPvRmT3_T4_T5_T6_T7_T9_mT8_P12ihipStream_tbDpT10_ENKUlT_T0_E_clISt17integral_constantIbLb0EES1B_IbLb1EEEEDaS17_S18_EUlS17_E_NS1_11comp_targetILNS1_3genE2ELNS1_11target_archE906ELNS1_3gpuE6ELNS1_3repE0EEENS1_30default_config_static_selectorELNS0_4arch9wavefront6targetE0EEEvT1_,comdat
	.globl	_ZN7rocprim17ROCPRIM_400000_NS6detail17trampoline_kernelINS0_14default_configENS1_25partition_config_selectorILNS1_17partition_subalgoE8ElNS0_10empty_typeEbEEZZNS1_14partition_implILS5_8ELb0ES3_jPlPS6_PKS6_NS0_5tupleIJS9_S6_EEENSD_IJSA_SA_EEENS0_18inequality_wrapperIZN2at6native12_GLOBAL__N_124unique_dim_cuda_templateIjEESt5tupleIJNSH_6TensorESM_SM_EERKSM_lbbbEUlllE0_EEPmJS6_EEE10hipError_tPvRmT3_T4_T5_T6_T7_T9_mT8_P12ihipStream_tbDpT10_ENKUlT_T0_E_clISt17integral_constantIbLb0EES1B_IbLb1EEEEDaS17_S18_EUlS17_E_NS1_11comp_targetILNS1_3genE2ELNS1_11target_archE906ELNS1_3gpuE6ELNS1_3repE0EEENS1_30default_config_static_selectorELNS0_4arch9wavefront6targetE0EEEvT1_ ; -- Begin function _ZN7rocprim17ROCPRIM_400000_NS6detail17trampoline_kernelINS0_14default_configENS1_25partition_config_selectorILNS1_17partition_subalgoE8ElNS0_10empty_typeEbEEZZNS1_14partition_implILS5_8ELb0ES3_jPlPS6_PKS6_NS0_5tupleIJS9_S6_EEENSD_IJSA_SA_EEENS0_18inequality_wrapperIZN2at6native12_GLOBAL__N_124unique_dim_cuda_templateIjEESt5tupleIJNSH_6TensorESM_SM_EERKSM_lbbbEUlllE0_EEPmJS6_EEE10hipError_tPvRmT3_T4_T5_T6_T7_T9_mT8_P12ihipStream_tbDpT10_ENKUlT_T0_E_clISt17integral_constantIbLb0EES1B_IbLb1EEEEDaS17_S18_EUlS17_E_NS1_11comp_targetILNS1_3genE2ELNS1_11target_archE906ELNS1_3gpuE6ELNS1_3repE0EEENS1_30default_config_static_selectorELNS0_4arch9wavefront6targetE0EEEvT1_
	.p2align	8
	.type	_ZN7rocprim17ROCPRIM_400000_NS6detail17trampoline_kernelINS0_14default_configENS1_25partition_config_selectorILNS1_17partition_subalgoE8ElNS0_10empty_typeEbEEZZNS1_14partition_implILS5_8ELb0ES3_jPlPS6_PKS6_NS0_5tupleIJS9_S6_EEENSD_IJSA_SA_EEENS0_18inequality_wrapperIZN2at6native12_GLOBAL__N_124unique_dim_cuda_templateIjEESt5tupleIJNSH_6TensorESM_SM_EERKSM_lbbbEUlllE0_EEPmJS6_EEE10hipError_tPvRmT3_T4_T5_T6_T7_T9_mT8_P12ihipStream_tbDpT10_ENKUlT_T0_E_clISt17integral_constantIbLb0EES1B_IbLb1EEEEDaS17_S18_EUlS17_E_NS1_11comp_targetILNS1_3genE2ELNS1_11target_archE906ELNS1_3gpuE6ELNS1_3repE0EEENS1_30default_config_static_selectorELNS0_4arch9wavefront6targetE0EEEvT1_,@function
_ZN7rocprim17ROCPRIM_400000_NS6detail17trampoline_kernelINS0_14default_configENS1_25partition_config_selectorILNS1_17partition_subalgoE8ElNS0_10empty_typeEbEEZZNS1_14partition_implILS5_8ELb0ES3_jPlPS6_PKS6_NS0_5tupleIJS9_S6_EEENSD_IJSA_SA_EEENS0_18inequality_wrapperIZN2at6native12_GLOBAL__N_124unique_dim_cuda_templateIjEESt5tupleIJNSH_6TensorESM_SM_EERKSM_lbbbEUlllE0_EEPmJS6_EEE10hipError_tPvRmT3_T4_T5_T6_T7_T9_mT8_P12ihipStream_tbDpT10_ENKUlT_T0_E_clISt17integral_constantIbLb0EES1B_IbLb1EEEEDaS17_S18_EUlS17_E_NS1_11comp_targetILNS1_3genE2ELNS1_11target_archE906ELNS1_3gpuE6ELNS1_3repE0EEENS1_30default_config_static_selectorELNS0_4arch9wavefront6targetE0EEEvT1_: ; @_ZN7rocprim17ROCPRIM_400000_NS6detail17trampoline_kernelINS0_14default_configENS1_25partition_config_selectorILNS1_17partition_subalgoE8ElNS0_10empty_typeEbEEZZNS1_14partition_implILS5_8ELb0ES3_jPlPS6_PKS6_NS0_5tupleIJS9_S6_EEENSD_IJSA_SA_EEENS0_18inequality_wrapperIZN2at6native12_GLOBAL__N_124unique_dim_cuda_templateIjEESt5tupleIJNSH_6TensorESM_SM_EERKSM_lbbbEUlllE0_EEPmJS6_EEE10hipError_tPvRmT3_T4_T5_T6_T7_T9_mT8_P12ihipStream_tbDpT10_ENKUlT_T0_E_clISt17integral_constantIbLb0EES1B_IbLb1EEEEDaS17_S18_EUlS17_E_NS1_11comp_targetILNS1_3genE2ELNS1_11target_archE906ELNS1_3gpuE6ELNS1_3repE0EEENS1_30default_config_static_selectorELNS0_4arch9wavefront6targetE0EEEvT1_
; %bb.0:
	.section	.rodata,"a",@progbits
	.p2align	6, 0x0
	.amdhsa_kernel _ZN7rocprim17ROCPRIM_400000_NS6detail17trampoline_kernelINS0_14default_configENS1_25partition_config_selectorILNS1_17partition_subalgoE8ElNS0_10empty_typeEbEEZZNS1_14partition_implILS5_8ELb0ES3_jPlPS6_PKS6_NS0_5tupleIJS9_S6_EEENSD_IJSA_SA_EEENS0_18inequality_wrapperIZN2at6native12_GLOBAL__N_124unique_dim_cuda_templateIjEESt5tupleIJNSH_6TensorESM_SM_EERKSM_lbbbEUlllE0_EEPmJS6_EEE10hipError_tPvRmT3_T4_T5_T6_T7_T9_mT8_P12ihipStream_tbDpT10_ENKUlT_T0_E_clISt17integral_constantIbLb0EES1B_IbLb1EEEEDaS17_S18_EUlS17_E_NS1_11comp_targetILNS1_3genE2ELNS1_11target_archE906ELNS1_3gpuE6ELNS1_3repE0EEENS1_30default_config_static_selectorELNS0_4arch9wavefront6targetE0EEEvT1_
		.amdhsa_group_segment_fixed_size 0
		.amdhsa_private_segment_fixed_size 0
		.amdhsa_kernarg_size 136
		.amdhsa_user_sgpr_count 2
		.amdhsa_user_sgpr_dispatch_ptr 0
		.amdhsa_user_sgpr_queue_ptr 0
		.amdhsa_user_sgpr_kernarg_segment_ptr 1
		.amdhsa_user_sgpr_dispatch_id 0
		.amdhsa_user_sgpr_kernarg_preload_length 0
		.amdhsa_user_sgpr_kernarg_preload_offset 0
		.amdhsa_user_sgpr_private_segment_size 0
		.amdhsa_wavefront_size32 1
		.amdhsa_uses_dynamic_stack 0
		.amdhsa_enable_private_segment 0
		.amdhsa_system_sgpr_workgroup_id_x 1
		.amdhsa_system_sgpr_workgroup_id_y 0
		.amdhsa_system_sgpr_workgroup_id_z 0
		.amdhsa_system_sgpr_workgroup_info 0
		.amdhsa_system_vgpr_workitem_id 0
		.amdhsa_next_free_vgpr 1
		.amdhsa_next_free_sgpr 1
		.amdhsa_named_barrier_count 0
		.amdhsa_reserve_vcc 0
		.amdhsa_float_round_mode_32 0
		.amdhsa_float_round_mode_16_64 0
		.amdhsa_float_denorm_mode_32 3
		.amdhsa_float_denorm_mode_16_64 3
		.amdhsa_fp16_overflow 0
		.amdhsa_memory_ordered 1
		.amdhsa_forward_progress 1
		.amdhsa_inst_pref_size 0
		.amdhsa_round_robin_scheduling 0
		.amdhsa_exception_fp_ieee_invalid_op 0
		.amdhsa_exception_fp_denorm_src 0
		.amdhsa_exception_fp_ieee_div_zero 0
		.amdhsa_exception_fp_ieee_overflow 0
		.amdhsa_exception_fp_ieee_underflow 0
		.amdhsa_exception_fp_ieee_inexact 0
		.amdhsa_exception_int_div_zero 0
	.end_amdhsa_kernel
	.section	.text._ZN7rocprim17ROCPRIM_400000_NS6detail17trampoline_kernelINS0_14default_configENS1_25partition_config_selectorILNS1_17partition_subalgoE8ElNS0_10empty_typeEbEEZZNS1_14partition_implILS5_8ELb0ES3_jPlPS6_PKS6_NS0_5tupleIJS9_S6_EEENSD_IJSA_SA_EEENS0_18inequality_wrapperIZN2at6native12_GLOBAL__N_124unique_dim_cuda_templateIjEESt5tupleIJNSH_6TensorESM_SM_EERKSM_lbbbEUlllE0_EEPmJS6_EEE10hipError_tPvRmT3_T4_T5_T6_T7_T9_mT8_P12ihipStream_tbDpT10_ENKUlT_T0_E_clISt17integral_constantIbLb0EES1B_IbLb1EEEEDaS17_S18_EUlS17_E_NS1_11comp_targetILNS1_3genE2ELNS1_11target_archE906ELNS1_3gpuE6ELNS1_3repE0EEENS1_30default_config_static_selectorELNS0_4arch9wavefront6targetE0EEEvT1_,"axG",@progbits,_ZN7rocprim17ROCPRIM_400000_NS6detail17trampoline_kernelINS0_14default_configENS1_25partition_config_selectorILNS1_17partition_subalgoE8ElNS0_10empty_typeEbEEZZNS1_14partition_implILS5_8ELb0ES3_jPlPS6_PKS6_NS0_5tupleIJS9_S6_EEENSD_IJSA_SA_EEENS0_18inequality_wrapperIZN2at6native12_GLOBAL__N_124unique_dim_cuda_templateIjEESt5tupleIJNSH_6TensorESM_SM_EERKSM_lbbbEUlllE0_EEPmJS6_EEE10hipError_tPvRmT3_T4_T5_T6_T7_T9_mT8_P12ihipStream_tbDpT10_ENKUlT_T0_E_clISt17integral_constantIbLb0EES1B_IbLb1EEEEDaS17_S18_EUlS17_E_NS1_11comp_targetILNS1_3genE2ELNS1_11target_archE906ELNS1_3gpuE6ELNS1_3repE0EEENS1_30default_config_static_selectorELNS0_4arch9wavefront6targetE0EEEvT1_,comdat
.Lfunc_end1569:
	.size	_ZN7rocprim17ROCPRIM_400000_NS6detail17trampoline_kernelINS0_14default_configENS1_25partition_config_selectorILNS1_17partition_subalgoE8ElNS0_10empty_typeEbEEZZNS1_14partition_implILS5_8ELb0ES3_jPlPS6_PKS6_NS0_5tupleIJS9_S6_EEENSD_IJSA_SA_EEENS0_18inequality_wrapperIZN2at6native12_GLOBAL__N_124unique_dim_cuda_templateIjEESt5tupleIJNSH_6TensorESM_SM_EERKSM_lbbbEUlllE0_EEPmJS6_EEE10hipError_tPvRmT3_T4_T5_T6_T7_T9_mT8_P12ihipStream_tbDpT10_ENKUlT_T0_E_clISt17integral_constantIbLb0EES1B_IbLb1EEEEDaS17_S18_EUlS17_E_NS1_11comp_targetILNS1_3genE2ELNS1_11target_archE906ELNS1_3gpuE6ELNS1_3repE0EEENS1_30default_config_static_selectorELNS0_4arch9wavefront6targetE0EEEvT1_, .Lfunc_end1569-_ZN7rocprim17ROCPRIM_400000_NS6detail17trampoline_kernelINS0_14default_configENS1_25partition_config_selectorILNS1_17partition_subalgoE8ElNS0_10empty_typeEbEEZZNS1_14partition_implILS5_8ELb0ES3_jPlPS6_PKS6_NS0_5tupleIJS9_S6_EEENSD_IJSA_SA_EEENS0_18inequality_wrapperIZN2at6native12_GLOBAL__N_124unique_dim_cuda_templateIjEESt5tupleIJNSH_6TensorESM_SM_EERKSM_lbbbEUlllE0_EEPmJS6_EEE10hipError_tPvRmT3_T4_T5_T6_T7_T9_mT8_P12ihipStream_tbDpT10_ENKUlT_T0_E_clISt17integral_constantIbLb0EES1B_IbLb1EEEEDaS17_S18_EUlS17_E_NS1_11comp_targetILNS1_3genE2ELNS1_11target_archE906ELNS1_3gpuE6ELNS1_3repE0EEENS1_30default_config_static_selectorELNS0_4arch9wavefront6targetE0EEEvT1_
                                        ; -- End function
	.set _ZN7rocprim17ROCPRIM_400000_NS6detail17trampoline_kernelINS0_14default_configENS1_25partition_config_selectorILNS1_17partition_subalgoE8ElNS0_10empty_typeEbEEZZNS1_14partition_implILS5_8ELb0ES3_jPlPS6_PKS6_NS0_5tupleIJS9_S6_EEENSD_IJSA_SA_EEENS0_18inequality_wrapperIZN2at6native12_GLOBAL__N_124unique_dim_cuda_templateIjEESt5tupleIJNSH_6TensorESM_SM_EERKSM_lbbbEUlllE0_EEPmJS6_EEE10hipError_tPvRmT3_T4_T5_T6_T7_T9_mT8_P12ihipStream_tbDpT10_ENKUlT_T0_E_clISt17integral_constantIbLb0EES1B_IbLb1EEEEDaS17_S18_EUlS17_E_NS1_11comp_targetILNS1_3genE2ELNS1_11target_archE906ELNS1_3gpuE6ELNS1_3repE0EEENS1_30default_config_static_selectorELNS0_4arch9wavefront6targetE0EEEvT1_.num_vgpr, 0
	.set _ZN7rocprim17ROCPRIM_400000_NS6detail17trampoline_kernelINS0_14default_configENS1_25partition_config_selectorILNS1_17partition_subalgoE8ElNS0_10empty_typeEbEEZZNS1_14partition_implILS5_8ELb0ES3_jPlPS6_PKS6_NS0_5tupleIJS9_S6_EEENSD_IJSA_SA_EEENS0_18inequality_wrapperIZN2at6native12_GLOBAL__N_124unique_dim_cuda_templateIjEESt5tupleIJNSH_6TensorESM_SM_EERKSM_lbbbEUlllE0_EEPmJS6_EEE10hipError_tPvRmT3_T4_T5_T6_T7_T9_mT8_P12ihipStream_tbDpT10_ENKUlT_T0_E_clISt17integral_constantIbLb0EES1B_IbLb1EEEEDaS17_S18_EUlS17_E_NS1_11comp_targetILNS1_3genE2ELNS1_11target_archE906ELNS1_3gpuE6ELNS1_3repE0EEENS1_30default_config_static_selectorELNS0_4arch9wavefront6targetE0EEEvT1_.num_agpr, 0
	.set _ZN7rocprim17ROCPRIM_400000_NS6detail17trampoline_kernelINS0_14default_configENS1_25partition_config_selectorILNS1_17partition_subalgoE8ElNS0_10empty_typeEbEEZZNS1_14partition_implILS5_8ELb0ES3_jPlPS6_PKS6_NS0_5tupleIJS9_S6_EEENSD_IJSA_SA_EEENS0_18inequality_wrapperIZN2at6native12_GLOBAL__N_124unique_dim_cuda_templateIjEESt5tupleIJNSH_6TensorESM_SM_EERKSM_lbbbEUlllE0_EEPmJS6_EEE10hipError_tPvRmT3_T4_T5_T6_T7_T9_mT8_P12ihipStream_tbDpT10_ENKUlT_T0_E_clISt17integral_constantIbLb0EES1B_IbLb1EEEEDaS17_S18_EUlS17_E_NS1_11comp_targetILNS1_3genE2ELNS1_11target_archE906ELNS1_3gpuE6ELNS1_3repE0EEENS1_30default_config_static_selectorELNS0_4arch9wavefront6targetE0EEEvT1_.numbered_sgpr, 0
	.set _ZN7rocprim17ROCPRIM_400000_NS6detail17trampoline_kernelINS0_14default_configENS1_25partition_config_selectorILNS1_17partition_subalgoE8ElNS0_10empty_typeEbEEZZNS1_14partition_implILS5_8ELb0ES3_jPlPS6_PKS6_NS0_5tupleIJS9_S6_EEENSD_IJSA_SA_EEENS0_18inequality_wrapperIZN2at6native12_GLOBAL__N_124unique_dim_cuda_templateIjEESt5tupleIJNSH_6TensorESM_SM_EERKSM_lbbbEUlllE0_EEPmJS6_EEE10hipError_tPvRmT3_T4_T5_T6_T7_T9_mT8_P12ihipStream_tbDpT10_ENKUlT_T0_E_clISt17integral_constantIbLb0EES1B_IbLb1EEEEDaS17_S18_EUlS17_E_NS1_11comp_targetILNS1_3genE2ELNS1_11target_archE906ELNS1_3gpuE6ELNS1_3repE0EEENS1_30default_config_static_selectorELNS0_4arch9wavefront6targetE0EEEvT1_.num_named_barrier, 0
	.set _ZN7rocprim17ROCPRIM_400000_NS6detail17trampoline_kernelINS0_14default_configENS1_25partition_config_selectorILNS1_17partition_subalgoE8ElNS0_10empty_typeEbEEZZNS1_14partition_implILS5_8ELb0ES3_jPlPS6_PKS6_NS0_5tupleIJS9_S6_EEENSD_IJSA_SA_EEENS0_18inequality_wrapperIZN2at6native12_GLOBAL__N_124unique_dim_cuda_templateIjEESt5tupleIJNSH_6TensorESM_SM_EERKSM_lbbbEUlllE0_EEPmJS6_EEE10hipError_tPvRmT3_T4_T5_T6_T7_T9_mT8_P12ihipStream_tbDpT10_ENKUlT_T0_E_clISt17integral_constantIbLb0EES1B_IbLb1EEEEDaS17_S18_EUlS17_E_NS1_11comp_targetILNS1_3genE2ELNS1_11target_archE906ELNS1_3gpuE6ELNS1_3repE0EEENS1_30default_config_static_selectorELNS0_4arch9wavefront6targetE0EEEvT1_.private_seg_size, 0
	.set _ZN7rocprim17ROCPRIM_400000_NS6detail17trampoline_kernelINS0_14default_configENS1_25partition_config_selectorILNS1_17partition_subalgoE8ElNS0_10empty_typeEbEEZZNS1_14partition_implILS5_8ELb0ES3_jPlPS6_PKS6_NS0_5tupleIJS9_S6_EEENSD_IJSA_SA_EEENS0_18inequality_wrapperIZN2at6native12_GLOBAL__N_124unique_dim_cuda_templateIjEESt5tupleIJNSH_6TensorESM_SM_EERKSM_lbbbEUlllE0_EEPmJS6_EEE10hipError_tPvRmT3_T4_T5_T6_T7_T9_mT8_P12ihipStream_tbDpT10_ENKUlT_T0_E_clISt17integral_constantIbLb0EES1B_IbLb1EEEEDaS17_S18_EUlS17_E_NS1_11comp_targetILNS1_3genE2ELNS1_11target_archE906ELNS1_3gpuE6ELNS1_3repE0EEENS1_30default_config_static_selectorELNS0_4arch9wavefront6targetE0EEEvT1_.uses_vcc, 0
	.set _ZN7rocprim17ROCPRIM_400000_NS6detail17trampoline_kernelINS0_14default_configENS1_25partition_config_selectorILNS1_17partition_subalgoE8ElNS0_10empty_typeEbEEZZNS1_14partition_implILS5_8ELb0ES3_jPlPS6_PKS6_NS0_5tupleIJS9_S6_EEENSD_IJSA_SA_EEENS0_18inequality_wrapperIZN2at6native12_GLOBAL__N_124unique_dim_cuda_templateIjEESt5tupleIJNSH_6TensorESM_SM_EERKSM_lbbbEUlllE0_EEPmJS6_EEE10hipError_tPvRmT3_T4_T5_T6_T7_T9_mT8_P12ihipStream_tbDpT10_ENKUlT_T0_E_clISt17integral_constantIbLb0EES1B_IbLb1EEEEDaS17_S18_EUlS17_E_NS1_11comp_targetILNS1_3genE2ELNS1_11target_archE906ELNS1_3gpuE6ELNS1_3repE0EEENS1_30default_config_static_selectorELNS0_4arch9wavefront6targetE0EEEvT1_.uses_flat_scratch, 0
	.set _ZN7rocprim17ROCPRIM_400000_NS6detail17trampoline_kernelINS0_14default_configENS1_25partition_config_selectorILNS1_17partition_subalgoE8ElNS0_10empty_typeEbEEZZNS1_14partition_implILS5_8ELb0ES3_jPlPS6_PKS6_NS0_5tupleIJS9_S6_EEENSD_IJSA_SA_EEENS0_18inequality_wrapperIZN2at6native12_GLOBAL__N_124unique_dim_cuda_templateIjEESt5tupleIJNSH_6TensorESM_SM_EERKSM_lbbbEUlllE0_EEPmJS6_EEE10hipError_tPvRmT3_T4_T5_T6_T7_T9_mT8_P12ihipStream_tbDpT10_ENKUlT_T0_E_clISt17integral_constantIbLb0EES1B_IbLb1EEEEDaS17_S18_EUlS17_E_NS1_11comp_targetILNS1_3genE2ELNS1_11target_archE906ELNS1_3gpuE6ELNS1_3repE0EEENS1_30default_config_static_selectorELNS0_4arch9wavefront6targetE0EEEvT1_.has_dyn_sized_stack, 0
	.set _ZN7rocprim17ROCPRIM_400000_NS6detail17trampoline_kernelINS0_14default_configENS1_25partition_config_selectorILNS1_17partition_subalgoE8ElNS0_10empty_typeEbEEZZNS1_14partition_implILS5_8ELb0ES3_jPlPS6_PKS6_NS0_5tupleIJS9_S6_EEENSD_IJSA_SA_EEENS0_18inequality_wrapperIZN2at6native12_GLOBAL__N_124unique_dim_cuda_templateIjEESt5tupleIJNSH_6TensorESM_SM_EERKSM_lbbbEUlllE0_EEPmJS6_EEE10hipError_tPvRmT3_T4_T5_T6_T7_T9_mT8_P12ihipStream_tbDpT10_ENKUlT_T0_E_clISt17integral_constantIbLb0EES1B_IbLb1EEEEDaS17_S18_EUlS17_E_NS1_11comp_targetILNS1_3genE2ELNS1_11target_archE906ELNS1_3gpuE6ELNS1_3repE0EEENS1_30default_config_static_selectorELNS0_4arch9wavefront6targetE0EEEvT1_.has_recursion, 0
	.set _ZN7rocprim17ROCPRIM_400000_NS6detail17trampoline_kernelINS0_14default_configENS1_25partition_config_selectorILNS1_17partition_subalgoE8ElNS0_10empty_typeEbEEZZNS1_14partition_implILS5_8ELb0ES3_jPlPS6_PKS6_NS0_5tupleIJS9_S6_EEENSD_IJSA_SA_EEENS0_18inequality_wrapperIZN2at6native12_GLOBAL__N_124unique_dim_cuda_templateIjEESt5tupleIJNSH_6TensorESM_SM_EERKSM_lbbbEUlllE0_EEPmJS6_EEE10hipError_tPvRmT3_T4_T5_T6_T7_T9_mT8_P12ihipStream_tbDpT10_ENKUlT_T0_E_clISt17integral_constantIbLb0EES1B_IbLb1EEEEDaS17_S18_EUlS17_E_NS1_11comp_targetILNS1_3genE2ELNS1_11target_archE906ELNS1_3gpuE6ELNS1_3repE0EEENS1_30default_config_static_selectorELNS0_4arch9wavefront6targetE0EEEvT1_.has_indirect_call, 0
	.section	.AMDGPU.csdata,"",@progbits
; Kernel info:
; codeLenInByte = 0
; TotalNumSgprs: 0
; NumVgprs: 0
; ScratchSize: 0
; MemoryBound: 0
; FloatMode: 240
; IeeeMode: 1
; LDSByteSize: 0 bytes/workgroup (compile time only)
; SGPRBlocks: 0
; VGPRBlocks: 0
; NumSGPRsForWavesPerEU: 1
; NumVGPRsForWavesPerEU: 1
; NamedBarCnt: 0
; Occupancy: 16
; WaveLimiterHint : 0
; COMPUTE_PGM_RSRC2:SCRATCH_EN: 0
; COMPUTE_PGM_RSRC2:USER_SGPR: 2
; COMPUTE_PGM_RSRC2:TRAP_HANDLER: 0
; COMPUTE_PGM_RSRC2:TGID_X_EN: 1
; COMPUTE_PGM_RSRC2:TGID_Y_EN: 0
; COMPUTE_PGM_RSRC2:TGID_Z_EN: 0
; COMPUTE_PGM_RSRC2:TIDIG_COMP_CNT: 0
	.section	.text._ZN7rocprim17ROCPRIM_400000_NS6detail17trampoline_kernelINS0_14default_configENS1_25partition_config_selectorILNS1_17partition_subalgoE8ElNS0_10empty_typeEbEEZZNS1_14partition_implILS5_8ELb0ES3_jPlPS6_PKS6_NS0_5tupleIJS9_S6_EEENSD_IJSA_SA_EEENS0_18inequality_wrapperIZN2at6native12_GLOBAL__N_124unique_dim_cuda_templateIjEESt5tupleIJNSH_6TensorESM_SM_EERKSM_lbbbEUlllE0_EEPmJS6_EEE10hipError_tPvRmT3_T4_T5_T6_T7_T9_mT8_P12ihipStream_tbDpT10_ENKUlT_T0_E_clISt17integral_constantIbLb0EES1B_IbLb1EEEEDaS17_S18_EUlS17_E_NS1_11comp_targetILNS1_3genE10ELNS1_11target_archE1200ELNS1_3gpuE4ELNS1_3repE0EEENS1_30default_config_static_selectorELNS0_4arch9wavefront6targetE0EEEvT1_,"axG",@progbits,_ZN7rocprim17ROCPRIM_400000_NS6detail17trampoline_kernelINS0_14default_configENS1_25partition_config_selectorILNS1_17partition_subalgoE8ElNS0_10empty_typeEbEEZZNS1_14partition_implILS5_8ELb0ES3_jPlPS6_PKS6_NS0_5tupleIJS9_S6_EEENSD_IJSA_SA_EEENS0_18inequality_wrapperIZN2at6native12_GLOBAL__N_124unique_dim_cuda_templateIjEESt5tupleIJNSH_6TensorESM_SM_EERKSM_lbbbEUlllE0_EEPmJS6_EEE10hipError_tPvRmT3_T4_T5_T6_T7_T9_mT8_P12ihipStream_tbDpT10_ENKUlT_T0_E_clISt17integral_constantIbLb0EES1B_IbLb1EEEEDaS17_S18_EUlS17_E_NS1_11comp_targetILNS1_3genE10ELNS1_11target_archE1200ELNS1_3gpuE4ELNS1_3repE0EEENS1_30default_config_static_selectorELNS0_4arch9wavefront6targetE0EEEvT1_,comdat
	.globl	_ZN7rocprim17ROCPRIM_400000_NS6detail17trampoline_kernelINS0_14default_configENS1_25partition_config_selectorILNS1_17partition_subalgoE8ElNS0_10empty_typeEbEEZZNS1_14partition_implILS5_8ELb0ES3_jPlPS6_PKS6_NS0_5tupleIJS9_S6_EEENSD_IJSA_SA_EEENS0_18inequality_wrapperIZN2at6native12_GLOBAL__N_124unique_dim_cuda_templateIjEESt5tupleIJNSH_6TensorESM_SM_EERKSM_lbbbEUlllE0_EEPmJS6_EEE10hipError_tPvRmT3_T4_T5_T6_T7_T9_mT8_P12ihipStream_tbDpT10_ENKUlT_T0_E_clISt17integral_constantIbLb0EES1B_IbLb1EEEEDaS17_S18_EUlS17_E_NS1_11comp_targetILNS1_3genE10ELNS1_11target_archE1200ELNS1_3gpuE4ELNS1_3repE0EEENS1_30default_config_static_selectorELNS0_4arch9wavefront6targetE0EEEvT1_ ; -- Begin function _ZN7rocprim17ROCPRIM_400000_NS6detail17trampoline_kernelINS0_14default_configENS1_25partition_config_selectorILNS1_17partition_subalgoE8ElNS0_10empty_typeEbEEZZNS1_14partition_implILS5_8ELb0ES3_jPlPS6_PKS6_NS0_5tupleIJS9_S6_EEENSD_IJSA_SA_EEENS0_18inequality_wrapperIZN2at6native12_GLOBAL__N_124unique_dim_cuda_templateIjEESt5tupleIJNSH_6TensorESM_SM_EERKSM_lbbbEUlllE0_EEPmJS6_EEE10hipError_tPvRmT3_T4_T5_T6_T7_T9_mT8_P12ihipStream_tbDpT10_ENKUlT_T0_E_clISt17integral_constantIbLb0EES1B_IbLb1EEEEDaS17_S18_EUlS17_E_NS1_11comp_targetILNS1_3genE10ELNS1_11target_archE1200ELNS1_3gpuE4ELNS1_3repE0EEENS1_30default_config_static_selectorELNS0_4arch9wavefront6targetE0EEEvT1_
	.p2align	8
	.type	_ZN7rocprim17ROCPRIM_400000_NS6detail17trampoline_kernelINS0_14default_configENS1_25partition_config_selectorILNS1_17partition_subalgoE8ElNS0_10empty_typeEbEEZZNS1_14partition_implILS5_8ELb0ES3_jPlPS6_PKS6_NS0_5tupleIJS9_S6_EEENSD_IJSA_SA_EEENS0_18inequality_wrapperIZN2at6native12_GLOBAL__N_124unique_dim_cuda_templateIjEESt5tupleIJNSH_6TensorESM_SM_EERKSM_lbbbEUlllE0_EEPmJS6_EEE10hipError_tPvRmT3_T4_T5_T6_T7_T9_mT8_P12ihipStream_tbDpT10_ENKUlT_T0_E_clISt17integral_constantIbLb0EES1B_IbLb1EEEEDaS17_S18_EUlS17_E_NS1_11comp_targetILNS1_3genE10ELNS1_11target_archE1200ELNS1_3gpuE4ELNS1_3repE0EEENS1_30default_config_static_selectorELNS0_4arch9wavefront6targetE0EEEvT1_,@function
_ZN7rocprim17ROCPRIM_400000_NS6detail17trampoline_kernelINS0_14default_configENS1_25partition_config_selectorILNS1_17partition_subalgoE8ElNS0_10empty_typeEbEEZZNS1_14partition_implILS5_8ELb0ES3_jPlPS6_PKS6_NS0_5tupleIJS9_S6_EEENSD_IJSA_SA_EEENS0_18inequality_wrapperIZN2at6native12_GLOBAL__N_124unique_dim_cuda_templateIjEESt5tupleIJNSH_6TensorESM_SM_EERKSM_lbbbEUlllE0_EEPmJS6_EEE10hipError_tPvRmT3_T4_T5_T6_T7_T9_mT8_P12ihipStream_tbDpT10_ENKUlT_T0_E_clISt17integral_constantIbLb0EES1B_IbLb1EEEEDaS17_S18_EUlS17_E_NS1_11comp_targetILNS1_3genE10ELNS1_11target_archE1200ELNS1_3gpuE4ELNS1_3repE0EEENS1_30default_config_static_selectorELNS0_4arch9wavefront6targetE0EEEvT1_: ; @_ZN7rocprim17ROCPRIM_400000_NS6detail17trampoline_kernelINS0_14default_configENS1_25partition_config_selectorILNS1_17partition_subalgoE8ElNS0_10empty_typeEbEEZZNS1_14partition_implILS5_8ELb0ES3_jPlPS6_PKS6_NS0_5tupleIJS9_S6_EEENSD_IJSA_SA_EEENS0_18inequality_wrapperIZN2at6native12_GLOBAL__N_124unique_dim_cuda_templateIjEESt5tupleIJNSH_6TensorESM_SM_EERKSM_lbbbEUlllE0_EEPmJS6_EEE10hipError_tPvRmT3_T4_T5_T6_T7_T9_mT8_P12ihipStream_tbDpT10_ENKUlT_T0_E_clISt17integral_constantIbLb0EES1B_IbLb1EEEEDaS17_S18_EUlS17_E_NS1_11comp_targetILNS1_3genE10ELNS1_11target_archE1200ELNS1_3gpuE4ELNS1_3repE0EEENS1_30default_config_static_selectorELNS0_4arch9wavefront6targetE0EEEvT1_
; %bb.0:
	.section	.rodata,"a",@progbits
	.p2align	6, 0x0
	.amdhsa_kernel _ZN7rocprim17ROCPRIM_400000_NS6detail17trampoline_kernelINS0_14default_configENS1_25partition_config_selectorILNS1_17partition_subalgoE8ElNS0_10empty_typeEbEEZZNS1_14partition_implILS5_8ELb0ES3_jPlPS6_PKS6_NS0_5tupleIJS9_S6_EEENSD_IJSA_SA_EEENS0_18inequality_wrapperIZN2at6native12_GLOBAL__N_124unique_dim_cuda_templateIjEESt5tupleIJNSH_6TensorESM_SM_EERKSM_lbbbEUlllE0_EEPmJS6_EEE10hipError_tPvRmT3_T4_T5_T6_T7_T9_mT8_P12ihipStream_tbDpT10_ENKUlT_T0_E_clISt17integral_constantIbLb0EES1B_IbLb1EEEEDaS17_S18_EUlS17_E_NS1_11comp_targetILNS1_3genE10ELNS1_11target_archE1200ELNS1_3gpuE4ELNS1_3repE0EEENS1_30default_config_static_selectorELNS0_4arch9wavefront6targetE0EEEvT1_
		.amdhsa_group_segment_fixed_size 0
		.amdhsa_private_segment_fixed_size 0
		.amdhsa_kernarg_size 136
		.amdhsa_user_sgpr_count 2
		.amdhsa_user_sgpr_dispatch_ptr 0
		.amdhsa_user_sgpr_queue_ptr 0
		.amdhsa_user_sgpr_kernarg_segment_ptr 1
		.amdhsa_user_sgpr_dispatch_id 0
		.amdhsa_user_sgpr_kernarg_preload_length 0
		.amdhsa_user_sgpr_kernarg_preload_offset 0
		.amdhsa_user_sgpr_private_segment_size 0
		.amdhsa_wavefront_size32 1
		.amdhsa_uses_dynamic_stack 0
		.amdhsa_enable_private_segment 0
		.amdhsa_system_sgpr_workgroup_id_x 1
		.amdhsa_system_sgpr_workgroup_id_y 0
		.amdhsa_system_sgpr_workgroup_id_z 0
		.amdhsa_system_sgpr_workgroup_info 0
		.amdhsa_system_vgpr_workitem_id 0
		.amdhsa_next_free_vgpr 1
		.amdhsa_next_free_sgpr 1
		.amdhsa_named_barrier_count 0
		.amdhsa_reserve_vcc 0
		.amdhsa_float_round_mode_32 0
		.amdhsa_float_round_mode_16_64 0
		.amdhsa_float_denorm_mode_32 3
		.amdhsa_float_denorm_mode_16_64 3
		.amdhsa_fp16_overflow 0
		.amdhsa_memory_ordered 1
		.amdhsa_forward_progress 1
		.amdhsa_inst_pref_size 0
		.amdhsa_round_robin_scheduling 0
		.amdhsa_exception_fp_ieee_invalid_op 0
		.amdhsa_exception_fp_denorm_src 0
		.amdhsa_exception_fp_ieee_div_zero 0
		.amdhsa_exception_fp_ieee_overflow 0
		.amdhsa_exception_fp_ieee_underflow 0
		.amdhsa_exception_fp_ieee_inexact 0
		.amdhsa_exception_int_div_zero 0
	.end_amdhsa_kernel
	.section	.text._ZN7rocprim17ROCPRIM_400000_NS6detail17trampoline_kernelINS0_14default_configENS1_25partition_config_selectorILNS1_17partition_subalgoE8ElNS0_10empty_typeEbEEZZNS1_14partition_implILS5_8ELb0ES3_jPlPS6_PKS6_NS0_5tupleIJS9_S6_EEENSD_IJSA_SA_EEENS0_18inequality_wrapperIZN2at6native12_GLOBAL__N_124unique_dim_cuda_templateIjEESt5tupleIJNSH_6TensorESM_SM_EERKSM_lbbbEUlllE0_EEPmJS6_EEE10hipError_tPvRmT3_T4_T5_T6_T7_T9_mT8_P12ihipStream_tbDpT10_ENKUlT_T0_E_clISt17integral_constantIbLb0EES1B_IbLb1EEEEDaS17_S18_EUlS17_E_NS1_11comp_targetILNS1_3genE10ELNS1_11target_archE1200ELNS1_3gpuE4ELNS1_3repE0EEENS1_30default_config_static_selectorELNS0_4arch9wavefront6targetE0EEEvT1_,"axG",@progbits,_ZN7rocprim17ROCPRIM_400000_NS6detail17trampoline_kernelINS0_14default_configENS1_25partition_config_selectorILNS1_17partition_subalgoE8ElNS0_10empty_typeEbEEZZNS1_14partition_implILS5_8ELb0ES3_jPlPS6_PKS6_NS0_5tupleIJS9_S6_EEENSD_IJSA_SA_EEENS0_18inequality_wrapperIZN2at6native12_GLOBAL__N_124unique_dim_cuda_templateIjEESt5tupleIJNSH_6TensorESM_SM_EERKSM_lbbbEUlllE0_EEPmJS6_EEE10hipError_tPvRmT3_T4_T5_T6_T7_T9_mT8_P12ihipStream_tbDpT10_ENKUlT_T0_E_clISt17integral_constantIbLb0EES1B_IbLb1EEEEDaS17_S18_EUlS17_E_NS1_11comp_targetILNS1_3genE10ELNS1_11target_archE1200ELNS1_3gpuE4ELNS1_3repE0EEENS1_30default_config_static_selectorELNS0_4arch9wavefront6targetE0EEEvT1_,comdat
.Lfunc_end1570:
	.size	_ZN7rocprim17ROCPRIM_400000_NS6detail17trampoline_kernelINS0_14default_configENS1_25partition_config_selectorILNS1_17partition_subalgoE8ElNS0_10empty_typeEbEEZZNS1_14partition_implILS5_8ELb0ES3_jPlPS6_PKS6_NS0_5tupleIJS9_S6_EEENSD_IJSA_SA_EEENS0_18inequality_wrapperIZN2at6native12_GLOBAL__N_124unique_dim_cuda_templateIjEESt5tupleIJNSH_6TensorESM_SM_EERKSM_lbbbEUlllE0_EEPmJS6_EEE10hipError_tPvRmT3_T4_T5_T6_T7_T9_mT8_P12ihipStream_tbDpT10_ENKUlT_T0_E_clISt17integral_constantIbLb0EES1B_IbLb1EEEEDaS17_S18_EUlS17_E_NS1_11comp_targetILNS1_3genE10ELNS1_11target_archE1200ELNS1_3gpuE4ELNS1_3repE0EEENS1_30default_config_static_selectorELNS0_4arch9wavefront6targetE0EEEvT1_, .Lfunc_end1570-_ZN7rocprim17ROCPRIM_400000_NS6detail17trampoline_kernelINS0_14default_configENS1_25partition_config_selectorILNS1_17partition_subalgoE8ElNS0_10empty_typeEbEEZZNS1_14partition_implILS5_8ELb0ES3_jPlPS6_PKS6_NS0_5tupleIJS9_S6_EEENSD_IJSA_SA_EEENS0_18inequality_wrapperIZN2at6native12_GLOBAL__N_124unique_dim_cuda_templateIjEESt5tupleIJNSH_6TensorESM_SM_EERKSM_lbbbEUlllE0_EEPmJS6_EEE10hipError_tPvRmT3_T4_T5_T6_T7_T9_mT8_P12ihipStream_tbDpT10_ENKUlT_T0_E_clISt17integral_constantIbLb0EES1B_IbLb1EEEEDaS17_S18_EUlS17_E_NS1_11comp_targetILNS1_3genE10ELNS1_11target_archE1200ELNS1_3gpuE4ELNS1_3repE0EEENS1_30default_config_static_selectorELNS0_4arch9wavefront6targetE0EEEvT1_
                                        ; -- End function
	.set _ZN7rocprim17ROCPRIM_400000_NS6detail17trampoline_kernelINS0_14default_configENS1_25partition_config_selectorILNS1_17partition_subalgoE8ElNS0_10empty_typeEbEEZZNS1_14partition_implILS5_8ELb0ES3_jPlPS6_PKS6_NS0_5tupleIJS9_S6_EEENSD_IJSA_SA_EEENS0_18inequality_wrapperIZN2at6native12_GLOBAL__N_124unique_dim_cuda_templateIjEESt5tupleIJNSH_6TensorESM_SM_EERKSM_lbbbEUlllE0_EEPmJS6_EEE10hipError_tPvRmT3_T4_T5_T6_T7_T9_mT8_P12ihipStream_tbDpT10_ENKUlT_T0_E_clISt17integral_constantIbLb0EES1B_IbLb1EEEEDaS17_S18_EUlS17_E_NS1_11comp_targetILNS1_3genE10ELNS1_11target_archE1200ELNS1_3gpuE4ELNS1_3repE0EEENS1_30default_config_static_selectorELNS0_4arch9wavefront6targetE0EEEvT1_.num_vgpr, 0
	.set _ZN7rocprim17ROCPRIM_400000_NS6detail17trampoline_kernelINS0_14default_configENS1_25partition_config_selectorILNS1_17partition_subalgoE8ElNS0_10empty_typeEbEEZZNS1_14partition_implILS5_8ELb0ES3_jPlPS6_PKS6_NS0_5tupleIJS9_S6_EEENSD_IJSA_SA_EEENS0_18inequality_wrapperIZN2at6native12_GLOBAL__N_124unique_dim_cuda_templateIjEESt5tupleIJNSH_6TensorESM_SM_EERKSM_lbbbEUlllE0_EEPmJS6_EEE10hipError_tPvRmT3_T4_T5_T6_T7_T9_mT8_P12ihipStream_tbDpT10_ENKUlT_T0_E_clISt17integral_constantIbLb0EES1B_IbLb1EEEEDaS17_S18_EUlS17_E_NS1_11comp_targetILNS1_3genE10ELNS1_11target_archE1200ELNS1_3gpuE4ELNS1_3repE0EEENS1_30default_config_static_selectorELNS0_4arch9wavefront6targetE0EEEvT1_.num_agpr, 0
	.set _ZN7rocprim17ROCPRIM_400000_NS6detail17trampoline_kernelINS0_14default_configENS1_25partition_config_selectorILNS1_17partition_subalgoE8ElNS0_10empty_typeEbEEZZNS1_14partition_implILS5_8ELb0ES3_jPlPS6_PKS6_NS0_5tupleIJS9_S6_EEENSD_IJSA_SA_EEENS0_18inequality_wrapperIZN2at6native12_GLOBAL__N_124unique_dim_cuda_templateIjEESt5tupleIJNSH_6TensorESM_SM_EERKSM_lbbbEUlllE0_EEPmJS6_EEE10hipError_tPvRmT3_T4_T5_T6_T7_T9_mT8_P12ihipStream_tbDpT10_ENKUlT_T0_E_clISt17integral_constantIbLb0EES1B_IbLb1EEEEDaS17_S18_EUlS17_E_NS1_11comp_targetILNS1_3genE10ELNS1_11target_archE1200ELNS1_3gpuE4ELNS1_3repE0EEENS1_30default_config_static_selectorELNS0_4arch9wavefront6targetE0EEEvT1_.numbered_sgpr, 0
	.set _ZN7rocprim17ROCPRIM_400000_NS6detail17trampoline_kernelINS0_14default_configENS1_25partition_config_selectorILNS1_17partition_subalgoE8ElNS0_10empty_typeEbEEZZNS1_14partition_implILS5_8ELb0ES3_jPlPS6_PKS6_NS0_5tupleIJS9_S6_EEENSD_IJSA_SA_EEENS0_18inequality_wrapperIZN2at6native12_GLOBAL__N_124unique_dim_cuda_templateIjEESt5tupleIJNSH_6TensorESM_SM_EERKSM_lbbbEUlllE0_EEPmJS6_EEE10hipError_tPvRmT3_T4_T5_T6_T7_T9_mT8_P12ihipStream_tbDpT10_ENKUlT_T0_E_clISt17integral_constantIbLb0EES1B_IbLb1EEEEDaS17_S18_EUlS17_E_NS1_11comp_targetILNS1_3genE10ELNS1_11target_archE1200ELNS1_3gpuE4ELNS1_3repE0EEENS1_30default_config_static_selectorELNS0_4arch9wavefront6targetE0EEEvT1_.num_named_barrier, 0
	.set _ZN7rocprim17ROCPRIM_400000_NS6detail17trampoline_kernelINS0_14default_configENS1_25partition_config_selectorILNS1_17partition_subalgoE8ElNS0_10empty_typeEbEEZZNS1_14partition_implILS5_8ELb0ES3_jPlPS6_PKS6_NS0_5tupleIJS9_S6_EEENSD_IJSA_SA_EEENS0_18inequality_wrapperIZN2at6native12_GLOBAL__N_124unique_dim_cuda_templateIjEESt5tupleIJNSH_6TensorESM_SM_EERKSM_lbbbEUlllE0_EEPmJS6_EEE10hipError_tPvRmT3_T4_T5_T6_T7_T9_mT8_P12ihipStream_tbDpT10_ENKUlT_T0_E_clISt17integral_constantIbLb0EES1B_IbLb1EEEEDaS17_S18_EUlS17_E_NS1_11comp_targetILNS1_3genE10ELNS1_11target_archE1200ELNS1_3gpuE4ELNS1_3repE0EEENS1_30default_config_static_selectorELNS0_4arch9wavefront6targetE0EEEvT1_.private_seg_size, 0
	.set _ZN7rocprim17ROCPRIM_400000_NS6detail17trampoline_kernelINS0_14default_configENS1_25partition_config_selectorILNS1_17partition_subalgoE8ElNS0_10empty_typeEbEEZZNS1_14partition_implILS5_8ELb0ES3_jPlPS6_PKS6_NS0_5tupleIJS9_S6_EEENSD_IJSA_SA_EEENS0_18inequality_wrapperIZN2at6native12_GLOBAL__N_124unique_dim_cuda_templateIjEESt5tupleIJNSH_6TensorESM_SM_EERKSM_lbbbEUlllE0_EEPmJS6_EEE10hipError_tPvRmT3_T4_T5_T6_T7_T9_mT8_P12ihipStream_tbDpT10_ENKUlT_T0_E_clISt17integral_constantIbLb0EES1B_IbLb1EEEEDaS17_S18_EUlS17_E_NS1_11comp_targetILNS1_3genE10ELNS1_11target_archE1200ELNS1_3gpuE4ELNS1_3repE0EEENS1_30default_config_static_selectorELNS0_4arch9wavefront6targetE0EEEvT1_.uses_vcc, 0
	.set _ZN7rocprim17ROCPRIM_400000_NS6detail17trampoline_kernelINS0_14default_configENS1_25partition_config_selectorILNS1_17partition_subalgoE8ElNS0_10empty_typeEbEEZZNS1_14partition_implILS5_8ELb0ES3_jPlPS6_PKS6_NS0_5tupleIJS9_S6_EEENSD_IJSA_SA_EEENS0_18inequality_wrapperIZN2at6native12_GLOBAL__N_124unique_dim_cuda_templateIjEESt5tupleIJNSH_6TensorESM_SM_EERKSM_lbbbEUlllE0_EEPmJS6_EEE10hipError_tPvRmT3_T4_T5_T6_T7_T9_mT8_P12ihipStream_tbDpT10_ENKUlT_T0_E_clISt17integral_constantIbLb0EES1B_IbLb1EEEEDaS17_S18_EUlS17_E_NS1_11comp_targetILNS1_3genE10ELNS1_11target_archE1200ELNS1_3gpuE4ELNS1_3repE0EEENS1_30default_config_static_selectorELNS0_4arch9wavefront6targetE0EEEvT1_.uses_flat_scratch, 0
	.set _ZN7rocprim17ROCPRIM_400000_NS6detail17trampoline_kernelINS0_14default_configENS1_25partition_config_selectorILNS1_17partition_subalgoE8ElNS0_10empty_typeEbEEZZNS1_14partition_implILS5_8ELb0ES3_jPlPS6_PKS6_NS0_5tupleIJS9_S6_EEENSD_IJSA_SA_EEENS0_18inequality_wrapperIZN2at6native12_GLOBAL__N_124unique_dim_cuda_templateIjEESt5tupleIJNSH_6TensorESM_SM_EERKSM_lbbbEUlllE0_EEPmJS6_EEE10hipError_tPvRmT3_T4_T5_T6_T7_T9_mT8_P12ihipStream_tbDpT10_ENKUlT_T0_E_clISt17integral_constantIbLb0EES1B_IbLb1EEEEDaS17_S18_EUlS17_E_NS1_11comp_targetILNS1_3genE10ELNS1_11target_archE1200ELNS1_3gpuE4ELNS1_3repE0EEENS1_30default_config_static_selectorELNS0_4arch9wavefront6targetE0EEEvT1_.has_dyn_sized_stack, 0
	.set _ZN7rocprim17ROCPRIM_400000_NS6detail17trampoline_kernelINS0_14default_configENS1_25partition_config_selectorILNS1_17partition_subalgoE8ElNS0_10empty_typeEbEEZZNS1_14partition_implILS5_8ELb0ES3_jPlPS6_PKS6_NS0_5tupleIJS9_S6_EEENSD_IJSA_SA_EEENS0_18inequality_wrapperIZN2at6native12_GLOBAL__N_124unique_dim_cuda_templateIjEESt5tupleIJNSH_6TensorESM_SM_EERKSM_lbbbEUlllE0_EEPmJS6_EEE10hipError_tPvRmT3_T4_T5_T6_T7_T9_mT8_P12ihipStream_tbDpT10_ENKUlT_T0_E_clISt17integral_constantIbLb0EES1B_IbLb1EEEEDaS17_S18_EUlS17_E_NS1_11comp_targetILNS1_3genE10ELNS1_11target_archE1200ELNS1_3gpuE4ELNS1_3repE0EEENS1_30default_config_static_selectorELNS0_4arch9wavefront6targetE0EEEvT1_.has_recursion, 0
	.set _ZN7rocprim17ROCPRIM_400000_NS6detail17trampoline_kernelINS0_14default_configENS1_25partition_config_selectorILNS1_17partition_subalgoE8ElNS0_10empty_typeEbEEZZNS1_14partition_implILS5_8ELb0ES3_jPlPS6_PKS6_NS0_5tupleIJS9_S6_EEENSD_IJSA_SA_EEENS0_18inequality_wrapperIZN2at6native12_GLOBAL__N_124unique_dim_cuda_templateIjEESt5tupleIJNSH_6TensorESM_SM_EERKSM_lbbbEUlllE0_EEPmJS6_EEE10hipError_tPvRmT3_T4_T5_T6_T7_T9_mT8_P12ihipStream_tbDpT10_ENKUlT_T0_E_clISt17integral_constantIbLb0EES1B_IbLb1EEEEDaS17_S18_EUlS17_E_NS1_11comp_targetILNS1_3genE10ELNS1_11target_archE1200ELNS1_3gpuE4ELNS1_3repE0EEENS1_30default_config_static_selectorELNS0_4arch9wavefront6targetE0EEEvT1_.has_indirect_call, 0
	.section	.AMDGPU.csdata,"",@progbits
; Kernel info:
; codeLenInByte = 0
; TotalNumSgprs: 0
; NumVgprs: 0
; ScratchSize: 0
; MemoryBound: 0
; FloatMode: 240
; IeeeMode: 1
; LDSByteSize: 0 bytes/workgroup (compile time only)
; SGPRBlocks: 0
; VGPRBlocks: 0
; NumSGPRsForWavesPerEU: 1
; NumVGPRsForWavesPerEU: 1
; NamedBarCnt: 0
; Occupancy: 16
; WaveLimiterHint : 0
; COMPUTE_PGM_RSRC2:SCRATCH_EN: 0
; COMPUTE_PGM_RSRC2:USER_SGPR: 2
; COMPUTE_PGM_RSRC2:TRAP_HANDLER: 0
; COMPUTE_PGM_RSRC2:TGID_X_EN: 1
; COMPUTE_PGM_RSRC2:TGID_Y_EN: 0
; COMPUTE_PGM_RSRC2:TGID_Z_EN: 0
; COMPUTE_PGM_RSRC2:TIDIG_COMP_CNT: 0
	.section	.text._ZN7rocprim17ROCPRIM_400000_NS6detail17trampoline_kernelINS0_14default_configENS1_25partition_config_selectorILNS1_17partition_subalgoE8ElNS0_10empty_typeEbEEZZNS1_14partition_implILS5_8ELb0ES3_jPlPS6_PKS6_NS0_5tupleIJS9_S6_EEENSD_IJSA_SA_EEENS0_18inequality_wrapperIZN2at6native12_GLOBAL__N_124unique_dim_cuda_templateIjEESt5tupleIJNSH_6TensorESM_SM_EERKSM_lbbbEUlllE0_EEPmJS6_EEE10hipError_tPvRmT3_T4_T5_T6_T7_T9_mT8_P12ihipStream_tbDpT10_ENKUlT_T0_E_clISt17integral_constantIbLb0EES1B_IbLb1EEEEDaS17_S18_EUlS17_E_NS1_11comp_targetILNS1_3genE9ELNS1_11target_archE1100ELNS1_3gpuE3ELNS1_3repE0EEENS1_30default_config_static_selectorELNS0_4arch9wavefront6targetE0EEEvT1_,"axG",@progbits,_ZN7rocprim17ROCPRIM_400000_NS6detail17trampoline_kernelINS0_14default_configENS1_25partition_config_selectorILNS1_17partition_subalgoE8ElNS0_10empty_typeEbEEZZNS1_14partition_implILS5_8ELb0ES3_jPlPS6_PKS6_NS0_5tupleIJS9_S6_EEENSD_IJSA_SA_EEENS0_18inequality_wrapperIZN2at6native12_GLOBAL__N_124unique_dim_cuda_templateIjEESt5tupleIJNSH_6TensorESM_SM_EERKSM_lbbbEUlllE0_EEPmJS6_EEE10hipError_tPvRmT3_T4_T5_T6_T7_T9_mT8_P12ihipStream_tbDpT10_ENKUlT_T0_E_clISt17integral_constantIbLb0EES1B_IbLb1EEEEDaS17_S18_EUlS17_E_NS1_11comp_targetILNS1_3genE9ELNS1_11target_archE1100ELNS1_3gpuE3ELNS1_3repE0EEENS1_30default_config_static_selectorELNS0_4arch9wavefront6targetE0EEEvT1_,comdat
	.globl	_ZN7rocprim17ROCPRIM_400000_NS6detail17trampoline_kernelINS0_14default_configENS1_25partition_config_selectorILNS1_17partition_subalgoE8ElNS0_10empty_typeEbEEZZNS1_14partition_implILS5_8ELb0ES3_jPlPS6_PKS6_NS0_5tupleIJS9_S6_EEENSD_IJSA_SA_EEENS0_18inequality_wrapperIZN2at6native12_GLOBAL__N_124unique_dim_cuda_templateIjEESt5tupleIJNSH_6TensorESM_SM_EERKSM_lbbbEUlllE0_EEPmJS6_EEE10hipError_tPvRmT3_T4_T5_T6_T7_T9_mT8_P12ihipStream_tbDpT10_ENKUlT_T0_E_clISt17integral_constantIbLb0EES1B_IbLb1EEEEDaS17_S18_EUlS17_E_NS1_11comp_targetILNS1_3genE9ELNS1_11target_archE1100ELNS1_3gpuE3ELNS1_3repE0EEENS1_30default_config_static_selectorELNS0_4arch9wavefront6targetE0EEEvT1_ ; -- Begin function _ZN7rocprim17ROCPRIM_400000_NS6detail17trampoline_kernelINS0_14default_configENS1_25partition_config_selectorILNS1_17partition_subalgoE8ElNS0_10empty_typeEbEEZZNS1_14partition_implILS5_8ELb0ES3_jPlPS6_PKS6_NS0_5tupleIJS9_S6_EEENSD_IJSA_SA_EEENS0_18inequality_wrapperIZN2at6native12_GLOBAL__N_124unique_dim_cuda_templateIjEESt5tupleIJNSH_6TensorESM_SM_EERKSM_lbbbEUlllE0_EEPmJS6_EEE10hipError_tPvRmT3_T4_T5_T6_T7_T9_mT8_P12ihipStream_tbDpT10_ENKUlT_T0_E_clISt17integral_constantIbLb0EES1B_IbLb1EEEEDaS17_S18_EUlS17_E_NS1_11comp_targetILNS1_3genE9ELNS1_11target_archE1100ELNS1_3gpuE3ELNS1_3repE0EEENS1_30default_config_static_selectorELNS0_4arch9wavefront6targetE0EEEvT1_
	.p2align	8
	.type	_ZN7rocprim17ROCPRIM_400000_NS6detail17trampoline_kernelINS0_14default_configENS1_25partition_config_selectorILNS1_17partition_subalgoE8ElNS0_10empty_typeEbEEZZNS1_14partition_implILS5_8ELb0ES3_jPlPS6_PKS6_NS0_5tupleIJS9_S6_EEENSD_IJSA_SA_EEENS0_18inequality_wrapperIZN2at6native12_GLOBAL__N_124unique_dim_cuda_templateIjEESt5tupleIJNSH_6TensorESM_SM_EERKSM_lbbbEUlllE0_EEPmJS6_EEE10hipError_tPvRmT3_T4_T5_T6_T7_T9_mT8_P12ihipStream_tbDpT10_ENKUlT_T0_E_clISt17integral_constantIbLb0EES1B_IbLb1EEEEDaS17_S18_EUlS17_E_NS1_11comp_targetILNS1_3genE9ELNS1_11target_archE1100ELNS1_3gpuE3ELNS1_3repE0EEENS1_30default_config_static_selectorELNS0_4arch9wavefront6targetE0EEEvT1_,@function
_ZN7rocprim17ROCPRIM_400000_NS6detail17trampoline_kernelINS0_14default_configENS1_25partition_config_selectorILNS1_17partition_subalgoE8ElNS0_10empty_typeEbEEZZNS1_14partition_implILS5_8ELb0ES3_jPlPS6_PKS6_NS0_5tupleIJS9_S6_EEENSD_IJSA_SA_EEENS0_18inequality_wrapperIZN2at6native12_GLOBAL__N_124unique_dim_cuda_templateIjEESt5tupleIJNSH_6TensorESM_SM_EERKSM_lbbbEUlllE0_EEPmJS6_EEE10hipError_tPvRmT3_T4_T5_T6_T7_T9_mT8_P12ihipStream_tbDpT10_ENKUlT_T0_E_clISt17integral_constantIbLb0EES1B_IbLb1EEEEDaS17_S18_EUlS17_E_NS1_11comp_targetILNS1_3genE9ELNS1_11target_archE1100ELNS1_3gpuE3ELNS1_3repE0EEENS1_30default_config_static_selectorELNS0_4arch9wavefront6targetE0EEEvT1_: ; @_ZN7rocprim17ROCPRIM_400000_NS6detail17trampoline_kernelINS0_14default_configENS1_25partition_config_selectorILNS1_17partition_subalgoE8ElNS0_10empty_typeEbEEZZNS1_14partition_implILS5_8ELb0ES3_jPlPS6_PKS6_NS0_5tupleIJS9_S6_EEENSD_IJSA_SA_EEENS0_18inequality_wrapperIZN2at6native12_GLOBAL__N_124unique_dim_cuda_templateIjEESt5tupleIJNSH_6TensorESM_SM_EERKSM_lbbbEUlllE0_EEPmJS6_EEE10hipError_tPvRmT3_T4_T5_T6_T7_T9_mT8_P12ihipStream_tbDpT10_ENKUlT_T0_E_clISt17integral_constantIbLb0EES1B_IbLb1EEEEDaS17_S18_EUlS17_E_NS1_11comp_targetILNS1_3genE9ELNS1_11target_archE1100ELNS1_3gpuE3ELNS1_3repE0EEENS1_30default_config_static_selectorELNS0_4arch9wavefront6targetE0EEEvT1_
; %bb.0:
	.section	.rodata,"a",@progbits
	.p2align	6, 0x0
	.amdhsa_kernel _ZN7rocprim17ROCPRIM_400000_NS6detail17trampoline_kernelINS0_14default_configENS1_25partition_config_selectorILNS1_17partition_subalgoE8ElNS0_10empty_typeEbEEZZNS1_14partition_implILS5_8ELb0ES3_jPlPS6_PKS6_NS0_5tupleIJS9_S6_EEENSD_IJSA_SA_EEENS0_18inequality_wrapperIZN2at6native12_GLOBAL__N_124unique_dim_cuda_templateIjEESt5tupleIJNSH_6TensorESM_SM_EERKSM_lbbbEUlllE0_EEPmJS6_EEE10hipError_tPvRmT3_T4_T5_T6_T7_T9_mT8_P12ihipStream_tbDpT10_ENKUlT_T0_E_clISt17integral_constantIbLb0EES1B_IbLb1EEEEDaS17_S18_EUlS17_E_NS1_11comp_targetILNS1_3genE9ELNS1_11target_archE1100ELNS1_3gpuE3ELNS1_3repE0EEENS1_30default_config_static_selectorELNS0_4arch9wavefront6targetE0EEEvT1_
		.amdhsa_group_segment_fixed_size 0
		.amdhsa_private_segment_fixed_size 0
		.amdhsa_kernarg_size 136
		.amdhsa_user_sgpr_count 2
		.amdhsa_user_sgpr_dispatch_ptr 0
		.amdhsa_user_sgpr_queue_ptr 0
		.amdhsa_user_sgpr_kernarg_segment_ptr 1
		.amdhsa_user_sgpr_dispatch_id 0
		.amdhsa_user_sgpr_kernarg_preload_length 0
		.amdhsa_user_sgpr_kernarg_preload_offset 0
		.amdhsa_user_sgpr_private_segment_size 0
		.amdhsa_wavefront_size32 1
		.amdhsa_uses_dynamic_stack 0
		.amdhsa_enable_private_segment 0
		.amdhsa_system_sgpr_workgroup_id_x 1
		.amdhsa_system_sgpr_workgroup_id_y 0
		.amdhsa_system_sgpr_workgroup_id_z 0
		.amdhsa_system_sgpr_workgroup_info 0
		.amdhsa_system_vgpr_workitem_id 0
		.amdhsa_next_free_vgpr 1
		.amdhsa_next_free_sgpr 1
		.amdhsa_named_barrier_count 0
		.amdhsa_reserve_vcc 0
		.amdhsa_float_round_mode_32 0
		.amdhsa_float_round_mode_16_64 0
		.amdhsa_float_denorm_mode_32 3
		.amdhsa_float_denorm_mode_16_64 3
		.amdhsa_fp16_overflow 0
		.amdhsa_memory_ordered 1
		.amdhsa_forward_progress 1
		.amdhsa_inst_pref_size 0
		.amdhsa_round_robin_scheduling 0
		.amdhsa_exception_fp_ieee_invalid_op 0
		.amdhsa_exception_fp_denorm_src 0
		.amdhsa_exception_fp_ieee_div_zero 0
		.amdhsa_exception_fp_ieee_overflow 0
		.amdhsa_exception_fp_ieee_underflow 0
		.amdhsa_exception_fp_ieee_inexact 0
		.amdhsa_exception_int_div_zero 0
	.end_amdhsa_kernel
	.section	.text._ZN7rocprim17ROCPRIM_400000_NS6detail17trampoline_kernelINS0_14default_configENS1_25partition_config_selectorILNS1_17partition_subalgoE8ElNS0_10empty_typeEbEEZZNS1_14partition_implILS5_8ELb0ES3_jPlPS6_PKS6_NS0_5tupleIJS9_S6_EEENSD_IJSA_SA_EEENS0_18inequality_wrapperIZN2at6native12_GLOBAL__N_124unique_dim_cuda_templateIjEESt5tupleIJNSH_6TensorESM_SM_EERKSM_lbbbEUlllE0_EEPmJS6_EEE10hipError_tPvRmT3_T4_T5_T6_T7_T9_mT8_P12ihipStream_tbDpT10_ENKUlT_T0_E_clISt17integral_constantIbLb0EES1B_IbLb1EEEEDaS17_S18_EUlS17_E_NS1_11comp_targetILNS1_3genE9ELNS1_11target_archE1100ELNS1_3gpuE3ELNS1_3repE0EEENS1_30default_config_static_selectorELNS0_4arch9wavefront6targetE0EEEvT1_,"axG",@progbits,_ZN7rocprim17ROCPRIM_400000_NS6detail17trampoline_kernelINS0_14default_configENS1_25partition_config_selectorILNS1_17partition_subalgoE8ElNS0_10empty_typeEbEEZZNS1_14partition_implILS5_8ELb0ES3_jPlPS6_PKS6_NS0_5tupleIJS9_S6_EEENSD_IJSA_SA_EEENS0_18inequality_wrapperIZN2at6native12_GLOBAL__N_124unique_dim_cuda_templateIjEESt5tupleIJNSH_6TensorESM_SM_EERKSM_lbbbEUlllE0_EEPmJS6_EEE10hipError_tPvRmT3_T4_T5_T6_T7_T9_mT8_P12ihipStream_tbDpT10_ENKUlT_T0_E_clISt17integral_constantIbLb0EES1B_IbLb1EEEEDaS17_S18_EUlS17_E_NS1_11comp_targetILNS1_3genE9ELNS1_11target_archE1100ELNS1_3gpuE3ELNS1_3repE0EEENS1_30default_config_static_selectorELNS0_4arch9wavefront6targetE0EEEvT1_,comdat
.Lfunc_end1571:
	.size	_ZN7rocprim17ROCPRIM_400000_NS6detail17trampoline_kernelINS0_14default_configENS1_25partition_config_selectorILNS1_17partition_subalgoE8ElNS0_10empty_typeEbEEZZNS1_14partition_implILS5_8ELb0ES3_jPlPS6_PKS6_NS0_5tupleIJS9_S6_EEENSD_IJSA_SA_EEENS0_18inequality_wrapperIZN2at6native12_GLOBAL__N_124unique_dim_cuda_templateIjEESt5tupleIJNSH_6TensorESM_SM_EERKSM_lbbbEUlllE0_EEPmJS6_EEE10hipError_tPvRmT3_T4_T5_T6_T7_T9_mT8_P12ihipStream_tbDpT10_ENKUlT_T0_E_clISt17integral_constantIbLb0EES1B_IbLb1EEEEDaS17_S18_EUlS17_E_NS1_11comp_targetILNS1_3genE9ELNS1_11target_archE1100ELNS1_3gpuE3ELNS1_3repE0EEENS1_30default_config_static_selectorELNS0_4arch9wavefront6targetE0EEEvT1_, .Lfunc_end1571-_ZN7rocprim17ROCPRIM_400000_NS6detail17trampoline_kernelINS0_14default_configENS1_25partition_config_selectorILNS1_17partition_subalgoE8ElNS0_10empty_typeEbEEZZNS1_14partition_implILS5_8ELb0ES3_jPlPS6_PKS6_NS0_5tupleIJS9_S6_EEENSD_IJSA_SA_EEENS0_18inequality_wrapperIZN2at6native12_GLOBAL__N_124unique_dim_cuda_templateIjEESt5tupleIJNSH_6TensorESM_SM_EERKSM_lbbbEUlllE0_EEPmJS6_EEE10hipError_tPvRmT3_T4_T5_T6_T7_T9_mT8_P12ihipStream_tbDpT10_ENKUlT_T0_E_clISt17integral_constantIbLb0EES1B_IbLb1EEEEDaS17_S18_EUlS17_E_NS1_11comp_targetILNS1_3genE9ELNS1_11target_archE1100ELNS1_3gpuE3ELNS1_3repE0EEENS1_30default_config_static_selectorELNS0_4arch9wavefront6targetE0EEEvT1_
                                        ; -- End function
	.set _ZN7rocprim17ROCPRIM_400000_NS6detail17trampoline_kernelINS0_14default_configENS1_25partition_config_selectorILNS1_17partition_subalgoE8ElNS0_10empty_typeEbEEZZNS1_14partition_implILS5_8ELb0ES3_jPlPS6_PKS6_NS0_5tupleIJS9_S6_EEENSD_IJSA_SA_EEENS0_18inequality_wrapperIZN2at6native12_GLOBAL__N_124unique_dim_cuda_templateIjEESt5tupleIJNSH_6TensorESM_SM_EERKSM_lbbbEUlllE0_EEPmJS6_EEE10hipError_tPvRmT3_T4_T5_T6_T7_T9_mT8_P12ihipStream_tbDpT10_ENKUlT_T0_E_clISt17integral_constantIbLb0EES1B_IbLb1EEEEDaS17_S18_EUlS17_E_NS1_11comp_targetILNS1_3genE9ELNS1_11target_archE1100ELNS1_3gpuE3ELNS1_3repE0EEENS1_30default_config_static_selectorELNS0_4arch9wavefront6targetE0EEEvT1_.num_vgpr, 0
	.set _ZN7rocprim17ROCPRIM_400000_NS6detail17trampoline_kernelINS0_14default_configENS1_25partition_config_selectorILNS1_17partition_subalgoE8ElNS0_10empty_typeEbEEZZNS1_14partition_implILS5_8ELb0ES3_jPlPS6_PKS6_NS0_5tupleIJS9_S6_EEENSD_IJSA_SA_EEENS0_18inequality_wrapperIZN2at6native12_GLOBAL__N_124unique_dim_cuda_templateIjEESt5tupleIJNSH_6TensorESM_SM_EERKSM_lbbbEUlllE0_EEPmJS6_EEE10hipError_tPvRmT3_T4_T5_T6_T7_T9_mT8_P12ihipStream_tbDpT10_ENKUlT_T0_E_clISt17integral_constantIbLb0EES1B_IbLb1EEEEDaS17_S18_EUlS17_E_NS1_11comp_targetILNS1_3genE9ELNS1_11target_archE1100ELNS1_3gpuE3ELNS1_3repE0EEENS1_30default_config_static_selectorELNS0_4arch9wavefront6targetE0EEEvT1_.num_agpr, 0
	.set _ZN7rocprim17ROCPRIM_400000_NS6detail17trampoline_kernelINS0_14default_configENS1_25partition_config_selectorILNS1_17partition_subalgoE8ElNS0_10empty_typeEbEEZZNS1_14partition_implILS5_8ELb0ES3_jPlPS6_PKS6_NS0_5tupleIJS9_S6_EEENSD_IJSA_SA_EEENS0_18inequality_wrapperIZN2at6native12_GLOBAL__N_124unique_dim_cuda_templateIjEESt5tupleIJNSH_6TensorESM_SM_EERKSM_lbbbEUlllE0_EEPmJS6_EEE10hipError_tPvRmT3_T4_T5_T6_T7_T9_mT8_P12ihipStream_tbDpT10_ENKUlT_T0_E_clISt17integral_constantIbLb0EES1B_IbLb1EEEEDaS17_S18_EUlS17_E_NS1_11comp_targetILNS1_3genE9ELNS1_11target_archE1100ELNS1_3gpuE3ELNS1_3repE0EEENS1_30default_config_static_selectorELNS0_4arch9wavefront6targetE0EEEvT1_.numbered_sgpr, 0
	.set _ZN7rocprim17ROCPRIM_400000_NS6detail17trampoline_kernelINS0_14default_configENS1_25partition_config_selectorILNS1_17partition_subalgoE8ElNS0_10empty_typeEbEEZZNS1_14partition_implILS5_8ELb0ES3_jPlPS6_PKS6_NS0_5tupleIJS9_S6_EEENSD_IJSA_SA_EEENS0_18inequality_wrapperIZN2at6native12_GLOBAL__N_124unique_dim_cuda_templateIjEESt5tupleIJNSH_6TensorESM_SM_EERKSM_lbbbEUlllE0_EEPmJS6_EEE10hipError_tPvRmT3_T4_T5_T6_T7_T9_mT8_P12ihipStream_tbDpT10_ENKUlT_T0_E_clISt17integral_constantIbLb0EES1B_IbLb1EEEEDaS17_S18_EUlS17_E_NS1_11comp_targetILNS1_3genE9ELNS1_11target_archE1100ELNS1_3gpuE3ELNS1_3repE0EEENS1_30default_config_static_selectorELNS0_4arch9wavefront6targetE0EEEvT1_.num_named_barrier, 0
	.set _ZN7rocprim17ROCPRIM_400000_NS6detail17trampoline_kernelINS0_14default_configENS1_25partition_config_selectorILNS1_17partition_subalgoE8ElNS0_10empty_typeEbEEZZNS1_14partition_implILS5_8ELb0ES3_jPlPS6_PKS6_NS0_5tupleIJS9_S6_EEENSD_IJSA_SA_EEENS0_18inequality_wrapperIZN2at6native12_GLOBAL__N_124unique_dim_cuda_templateIjEESt5tupleIJNSH_6TensorESM_SM_EERKSM_lbbbEUlllE0_EEPmJS6_EEE10hipError_tPvRmT3_T4_T5_T6_T7_T9_mT8_P12ihipStream_tbDpT10_ENKUlT_T0_E_clISt17integral_constantIbLb0EES1B_IbLb1EEEEDaS17_S18_EUlS17_E_NS1_11comp_targetILNS1_3genE9ELNS1_11target_archE1100ELNS1_3gpuE3ELNS1_3repE0EEENS1_30default_config_static_selectorELNS0_4arch9wavefront6targetE0EEEvT1_.private_seg_size, 0
	.set _ZN7rocprim17ROCPRIM_400000_NS6detail17trampoline_kernelINS0_14default_configENS1_25partition_config_selectorILNS1_17partition_subalgoE8ElNS0_10empty_typeEbEEZZNS1_14partition_implILS5_8ELb0ES3_jPlPS6_PKS6_NS0_5tupleIJS9_S6_EEENSD_IJSA_SA_EEENS0_18inequality_wrapperIZN2at6native12_GLOBAL__N_124unique_dim_cuda_templateIjEESt5tupleIJNSH_6TensorESM_SM_EERKSM_lbbbEUlllE0_EEPmJS6_EEE10hipError_tPvRmT3_T4_T5_T6_T7_T9_mT8_P12ihipStream_tbDpT10_ENKUlT_T0_E_clISt17integral_constantIbLb0EES1B_IbLb1EEEEDaS17_S18_EUlS17_E_NS1_11comp_targetILNS1_3genE9ELNS1_11target_archE1100ELNS1_3gpuE3ELNS1_3repE0EEENS1_30default_config_static_selectorELNS0_4arch9wavefront6targetE0EEEvT1_.uses_vcc, 0
	.set _ZN7rocprim17ROCPRIM_400000_NS6detail17trampoline_kernelINS0_14default_configENS1_25partition_config_selectorILNS1_17partition_subalgoE8ElNS0_10empty_typeEbEEZZNS1_14partition_implILS5_8ELb0ES3_jPlPS6_PKS6_NS0_5tupleIJS9_S6_EEENSD_IJSA_SA_EEENS0_18inequality_wrapperIZN2at6native12_GLOBAL__N_124unique_dim_cuda_templateIjEESt5tupleIJNSH_6TensorESM_SM_EERKSM_lbbbEUlllE0_EEPmJS6_EEE10hipError_tPvRmT3_T4_T5_T6_T7_T9_mT8_P12ihipStream_tbDpT10_ENKUlT_T0_E_clISt17integral_constantIbLb0EES1B_IbLb1EEEEDaS17_S18_EUlS17_E_NS1_11comp_targetILNS1_3genE9ELNS1_11target_archE1100ELNS1_3gpuE3ELNS1_3repE0EEENS1_30default_config_static_selectorELNS0_4arch9wavefront6targetE0EEEvT1_.uses_flat_scratch, 0
	.set _ZN7rocprim17ROCPRIM_400000_NS6detail17trampoline_kernelINS0_14default_configENS1_25partition_config_selectorILNS1_17partition_subalgoE8ElNS0_10empty_typeEbEEZZNS1_14partition_implILS5_8ELb0ES3_jPlPS6_PKS6_NS0_5tupleIJS9_S6_EEENSD_IJSA_SA_EEENS0_18inequality_wrapperIZN2at6native12_GLOBAL__N_124unique_dim_cuda_templateIjEESt5tupleIJNSH_6TensorESM_SM_EERKSM_lbbbEUlllE0_EEPmJS6_EEE10hipError_tPvRmT3_T4_T5_T6_T7_T9_mT8_P12ihipStream_tbDpT10_ENKUlT_T0_E_clISt17integral_constantIbLb0EES1B_IbLb1EEEEDaS17_S18_EUlS17_E_NS1_11comp_targetILNS1_3genE9ELNS1_11target_archE1100ELNS1_3gpuE3ELNS1_3repE0EEENS1_30default_config_static_selectorELNS0_4arch9wavefront6targetE0EEEvT1_.has_dyn_sized_stack, 0
	.set _ZN7rocprim17ROCPRIM_400000_NS6detail17trampoline_kernelINS0_14default_configENS1_25partition_config_selectorILNS1_17partition_subalgoE8ElNS0_10empty_typeEbEEZZNS1_14partition_implILS5_8ELb0ES3_jPlPS6_PKS6_NS0_5tupleIJS9_S6_EEENSD_IJSA_SA_EEENS0_18inequality_wrapperIZN2at6native12_GLOBAL__N_124unique_dim_cuda_templateIjEESt5tupleIJNSH_6TensorESM_SM_EERKSM_lbbbEUlllE0_EEPmJS6_EEE10hipError_tPvRmT3_T4_T5_T6_T7_T9_mT8_P12ihipStream_tbDpT10_ENKUlT_T0_E_clISt17integral_constantIbLb0EES1B_IbLb1EEEEDaS17_S18_EUlS17_E_NS1_11comp_targetILNS1_3genE9ELNS1_11target_archE1100ELNS1_3gpuE3ELNS1_3repE0EEENS1_30default_config_static_selectorELNS0_4arch9wavefront6targetE0EEEvT1_.has_recursion, 0
	.set _ZN7rocprim17ROCPRIM_400000_NS6detail17trampoline_kernelINS0_14default_configENS1_25partition_config_selectorILNS1_17partition_subalgoE8ElNS0_10empty_typeEbEEZZNS1_14partition_implILS5_8ELb0ES3_jPlPS6_PKS6_NS0_5tupleIJS9_S6_EEENSD_IJSA_SA_EEENS0_18inequality_wrapperIZN2at6native12_GLOBAL__N_124unique_dim_cuda_templateIjEESt5tupleIJNSH_6TensorESM_SM_EERKSM_lbbbEUlllE0_EEPmJS6_EEE10hipError_tPvRmT3_T4_T5_T6_T7_T9_mT8_P12ihipStream_tbDpT10_ENKUlT_T0_E_clISt17integral_constantIbLb0EES1B_IbLb1EEEEDaS17_S18_EUlS17_E_NS1_11comp_targetILNS1_3genE9ELNS1_11target_archE1100ELNS1_3gpuE3ELNS1_3repE0EEENS1_30default_config_static_selectorELNS0_4arch9wavefront6targetE0EEEvT1_.has_indirect_call, 0
	.section	.AMDGPU.csdata,"",@progbits
; Kernel info:
; codeLenInByte = 0
; TotalNumSgprs: 0
; NumVgprs: 0
; ScratchSize: 0
; MemoryBound: 0
; FloatMode: 240
; IeeeMode: 1
; LDSByteSize: 0 bytes/workgroup (compile time only)
; SGPRBlocks: 0
; VGPRBlocks: 0
; NumSGPRsForWavesPerEU: 1
; NumVGPRsForWavesPerEU: 1
; NamedBarCnt: 0
; Occupancy: 16
; WaveLimiterHint : 0
; COMPUTE_PGM_RSRC2:SCRATCH_EN: 0
; COMPUTE_PGM_RSRC2:USER_SGPR: 2
; COMPUTE_PGM_RSRC2:TRAP_HANDLER: 0
; COMPUTE_PGM_RSRC2:TGID_X_EN: 1
; COMPUTE_PGM_RSRC2:TGID_Y_EN: 0
; COMPUTE_PGM_RSRC2:TGID_Z_EN: 0
; COMPUTE_PGM_RSRC2:TIDIG_COMP_CNT: 0
	.section	.text._ZN7rocprim17ROCPRIM_400000_NS6detail17trampoline_kernelINS0_14default_configENS1_25partition_config_selectorILNS1_17partition_subalgoE8ElNS0_10empty_typeEbEEZZNS1_14partition_implILS5_8ELb0ES3_jPlPS6_PKS6_NS0_5tupleIJS9_S6_EEENSD_IJSA_SA_EEENS0_18inequality_wrapperIZN2at6native12_GLOBAL__N_124unique_dim_cuda_templateIjEESt5tupleIJNSH_6TensorESM_SM_EERKSM_lbbbEUlllE0_EEPmJS6_EEE10hipError_tPvRmT3_T4_T5_T6_T7_T9_mT8_P12ihipStream_tbDpT10_ENKUlT_T0_E_clISt17integral_constantIbLb0EES1B_IbLb1EEEEDaS17_S18_EUlS17_E_NS1_11comp_targetILNS1_3genE8ELNS1_11target_archE1030ELNS1_3gpuE2ELNS1_3repE0EEENS1_30default_config_static_selectorELNS0_4arch9wavefront6targetE0EEEvT1_,"axG",@progbits,_ZN7rocprim17ROCPRIM_400000_NS6detail17trampoline_kernelINS0_14default_configENS1_25partition_config_selectorILNS1_17partition_subalgoE8ElNS0_10empty_typeEbEEZZNS1_14partition_implILS5_8ELb0ES3_jPlPS6_PKS6_NS0_5tupleIJS9_S6_EEENSD_IJSA_SA_EEENS0_18inequality_wrapperIZN2at6native12_GLOBAL__N_124unique_dim_cuda_templateIjEESt5tupleIJNSH_6TensorESM_SM_EERKSM_lbbbEUlllE0_EEPmJS6_EEE10hipError_tPvRmT3_T4_T5_T6_T7_T9_mT8_P12ihipStream_tbDpT10_ENKUlT_T0_E_clISt17integral_constantIbLb0EES1B_IbLb1EEEEDaS17_S18_EUlS17_E_NS1_11comp_targetILNS1_3genE8ELNS1_11target_archE1030ELNS1_3gpuE2ELNS1_3repE0EEENS1_30default_config_static_selectorELNS0_4arch9wavefront6targetE0EEEvT1_,comdat
	.globl	_ZN7rocprim17ROCPRIM_400000_NS6detail17trampoline_kernelINS0_14default_configENS1_25partition_config_selectorILNS1_17partition_subalgoE8ElNS0_10empty_typeEbEEZZNS1_14partition_implILS5_8ELb0ES3_jPlPS6_PKS6_NS0_5tupleIJS9_S6_EEENSD_IJSA_SA_EEENS0_18inequality_wrapperIZN2at6native12_GLOBAL__N_124unique_dim_cuda_templateIjEESt5tupleIJNSH_6TensorESM_SM_EERKSM_lbbbEUlllE0_EEPmJS6_EEE10hipError_tPvRmT3_T4_T5_T6_T7_T9_mT8_P12ihipStream_tbDpT10_ENKUlT_T0_E_clISt17integral_constantIbLb0EES1B_IbLb1EEEEDaS17_S18_EUlS17_E_NS1_11comp_targetILNS1_3genE8ELNS1_11target_archE1030ELNS1_3gpuE2ELNS1_3repE0EEENS1_30default_config_static_selectorELNS0_4arch9wavefront6targetE0EEEvT1_ ; -- Begin function _ZN7rocprim17ROCPRIM_400000_NS6detail17trampoline_kernelINS0_14default_configENS1_25partition_config_selectorILNS1_17partition_subalgoE8ElNS0_10empty_typeEbEEZZNS1_14partition_implILS5_8ELb0ES3_jPlPS6_PKS6_NS0_5tupleIJS9_S6_EEENSD_IJSA_SA_EEENS0_18inequality_wrapperIZN2at6native12_GLOBAL__N_124unique_dim_cuda_templateIjEESt5tupleIJNSH_6TensorESM_SM_EERKSM_lbbbEUlllE0_EEPmJS6_EEE10hipError_tPvRmT3_T4_T5_T6_T7_T9_mT8_P12ihipStream_tbDpT10_ENKUlT_T0_E_clISt17integral_constantIbLb0EES1B_IbLb1EEEEDaS17_S18_EUlS17_E_NS1_11comp_targetILNS1_3genE8ELNS1_11target_archE1030ELNS1_3gpuE2ELNS1_3repE0EEENS1_30default_config_static_selectorELNS0_4arch9wavefront6targetE0EEEvT1_
	.p2align	8
	.type	_ZN7rocprim17ROCPRIM_400000_NS6detail17trampoline_kernelINS0_14default_configENS1_25partition_config_selectorILNS1_17partition_subalgoE8ElNS0_10empty_typeEbEEZZNS1_14partition_implILS5_8ELb0ES3_jPlPS6_PKS6_NS0_5tupleIJS9_S6_EEENSD_IJSA_SA_EEENS0_18inequality_wrapperIZN2at6native12_GLOBAL__N_124unique_dim_cuda_templateIjEESt5tupleIJNSH_6TensorESM_SM_EERKSM_lbbbEUlllE0_EEPmJS6_EEE10hipError_tPvRmT3_T4_T5_T6_T7_T9_mT8_P12ihipStream_tbDpT10_ENKUlT_T0_E_clISt17integral_constantIbLb0EES1B_IbLb1EEEEDaS17_S18_EUlS17_E_NS1_11comp_targetILNS1_3genE8ELNS1_11target_archE1030ELNS1_3gpuE2ELNS1_3repE0EEENS1_30default_config_static_selectorELNS0_4arch9wavefront6targetE0EEEvT1_,@function
_ZN7rocprim17ROCPRIM_400000_NS6detail17trampoline_kernelINS0_14default_configENS1_25partition_config_selectorILNS1_17partition_subalgoE8ElNS0_10empty_typeEbEEZZNS1_14partition_implILS5_8ELb0ES3_jPlPS6_PKS6_NS0_5tupleIJS9_S6_EEENSD_IJSA_SA_EEENS0_18inequality_wrapperIZN2at6native12_GLOBAL__N_124unique_dim_cuda_templateIjEESt5tupleIJNSH_6TensorESM_SM_EERKSM_lbbbEUlllE0_EEPmJS6_EEE10hipError_tPvRmT3_T4_T5_T6_T7_T9_mT8_P12ihipStream_tbDpT10_ENKUlT_T0_E_clISt17integral_constantIbLb0EES1B_IbLb1EEEEDaS17_S18_EUlS17_E_NS1_11comp_targetILNS1_3genE8ELNS1_11target_archE1030ELNS1_3gpuE2ELNS1_3repE0EEENS1_30default_config_static_selectorELNS0_4arch9wavefront6targetE0EEEvT1_: ; @_ZN7rocprim17ROCPRIM_400000_NS6detail17trampoline_kernelINS0_14default_configENS1_25partition_config_selectorILNS1_17partition_subalgoE8ElNS0_10empty_typeEbEEZZNS1_14partition_implILS5_8ELb0ES3_jPlPS6_PKS6_NS0_5tupleIJS9_S6_EEENSD_IJSA_SA_EEENS0_18inequality_wrapperIZN2at6native12_GLOBAL__N_124unique_dim_cuda_templateIjEESt5tupleIJNSH_6TensorESM_SM_EERKSM_lbbbEUlllE0_EEPmJS6_EEE10hipError_tPvRmT3_T4_T5_T6_T7_T9_mT8_P12ihipStream_tbDpT10_ENKUlT_T0_E_clISt17integral_constantIbLb0EES1B_IbLb1EEEEDaS17_S18_EUlS17_E_NS1_11comp_targetILNS1_3genE8ELNS1_11target_archE1030ELNS1_3gpuE2ELNS1_3repE0EEENS1_30default_config_static_selectorELNS0_4arch9wavefront6targetE0EEEvT1_
; %bb.0:
	.section	.rodata,"a",@progbits
	.p2align	6, 0x0
	.amdhsa_kernel _ZN7rocprim17ROCPRIM_400000_NS6detail17trampoline_kernelINS0_14default_configENS1_25partition_config_selectorILNS1_17partition_subalgoE8ElNS0_10empty_typeEbEEZZNS1_14partition_implILS5_8ELb0ES3_jPlPS6_PKS6_NS0_5tupleIJS9_S6_EEENSD_IJSA_SA_EEENS0_18inequality_wrapperIZN2at6native12_GLOBAL__N_124unique_dim_cuda_templateIjEESt5tupleIJNSH_6TensorESM_SM_EERKSM_lbbbEUlllE0_EEPmJS6_EEE10hipError_tPvRmT3_T4_T5_T6_T7_T9_mT8_P12ihipStream_tbDpT10_ENKUlT_T0_E_clISt17integral_constantIbLb0EES1B_IbLb1EEEEDaS17_S18_EUlS17_E_NS1_11comp_targetILNS1_3genE8ELNS1_11target_archE1030ELNS1_3gpuE2ELNS1_3repE0EEENS1_30default_config_static_selectorELNS0_4arch9wavefront6targetE0EEEvT1_
		.amdhsa_group_segment_fixed_size 0
		.amdhsa_private_segment_fixed_size 0
		.amdhsa_kernarg_size 136
		.amdhsa_user_sgpr_count 2
		.amdhsa_user_sgpr_dispatch_ptr 0
		.amdhsa_user_sgpr_queue_ptr 0
		.amdhsa_user_sgpr_kernarg_segment_ptr 1
		.amdhsa_user_sgpr_dispatch_id 0
		.amdhsa_user_sgpr_kernarg_preload_length 0
		.amdhsa_user_sgpr_kernarg_preload_offset 0
		.amdhsa_user_sgpr_private_segment_size 0
		.amdhsa_wavefront_size32 1
		.amdhsa_uses_dynamic_stack 0
		.amdhsa_enable_private_segment 0
		.amdhsa_system_sgpr_workgroup_id_x 1
		.amdhsa_system_sgpr_workgroup_id_y 0
		.amdhsa_system_sgpr_workgroup_id_z 0
		.amdhsa_system_sgpr_workgroup_info 0
		.amdhsa_system_vgpr_workitem_id 0
		.amdhsa_next_free_vgpr 1
		.amdhsa_next_free_sgpr 1
		.amdhsa_named_barrier_count 0
		.amdhsa_reserve_vcc 0
		.amdhsa_float_round_mode_32 0
		.amdhsa_float_round_mode_16_64 0
		.amdhsa_float_denorm_mode_32 3
		.amdhsa_float_denorm_mode_16_64 3
		.amdhsa_fp16_overflow 0
		.amdhsa_memory_ordered 1
		.amdhsa_forward_progress 1
		.amdhsa_inst_pref_size 0
		.amdhsa_round_robin_scheduling 0
		.amdhsa_exception_fp_ieee_invalid_op 0
		.amdhsa_exception_fp_denorm_src 0
		.amdhsa_exception_fp_ieee_div_zero 0
		.amdhsa_exception_fp_ieee_overflow 0
		.amdhsa_exception_fp_ieee_underflow 0
		.amdhsa_exception_fp_ieee_inexact 0
		.amdhsa_exception_int_div_zero 0
	.end_amdhsa_kernel
	.section	.text._ZN7rocprim17ROCPRIM_400000_NS6detail17trampoline_kernelINS0_14default_configENS1_25partition_config_selectorILNS1_17partition_subalgoE8ElNS0_10empty_typeEbEEZZNS1_14partition_implILS5_8ELb0ES3_jPlPS6_PKS6_NS0_5tupleIJS9_S6_EEENSD_IJSA_SA_EEENS0_18inequality_wrapperIZN2at6native12_GLOBAL__N_124unique_dim_cuda_templateIjEESt5tupleIJNSH_6TensorESM_SM_EERKSM_lbbbEUlllE0_EEPmJS6_EEE10hipError_tPvRmT3_T4_T5_T6_T7_T9_mT8_P12ihipStream_tbDpT10_ENKUlT_T0_E_clISt17integral_constantIbLb0EES1B_IbLb1EEEEDaS17_S18_EUlS17_E_NS1_11comp_targetILNS1_3genE8ELNS1_11target_archE1030ELNS1_3gpuE2ELNS1_3repE0EEENS1_30default_config_static_selectorELNS0_4arch9wavefront6targetE0EEEvT1_,"axG",@progbits,_ZN7rocprim17ROCPRIM_400000_NS6detail17trampoline_kernelINS0_14default_configENS1_25partition_config_selectorILNS1_17partition_subalgoE8ElNS0_10empty_typeEbEEZZNS1_14partition_implILS5_8ELb0ES3_jPlPS6_PKS6_NS0_5tupleIJS9_S6_EEENSD_IJSA_SA_EEENS0_18inequality_wrapperIZN2at6native12_GLOBAL__N_124unique_dim_cuda_templateIjEESt5tupleIJNSH_6TensorESM_SM_EERKSM_lbbbEUlllE0_EEPmJS6_EEE10hipError_tPvRmT3_T4_T5_T6_T7_T9_mT8_P12ihipStream_tbDpT10_ENKUlT_T0_E_clISt17integral_constantIbLb0EES1B_IbLb1EEEEDaS17_S18_EUlS17_E_NS1_11comp_targetILNS1_3genE8ELNS1_11target_archE1030ELNS1_3gpuE2ELNS1_3repE0EEENS1_30default_config_static_selectorELNS0_4arch9wavefront6targetE0EEEvT1_,comdat
.Lfunc_end1572:
	.size	_ZN7rocprim17ROCPRIM_400000_NS6detail17trampoline_kernelINS0_14default_configENS1_25partition_config_selectorILNS1_17partition_subalgoE8ElNS0_10empty_typeEbEEZZNS1_14partition_implILS5_8ELb0ES3_jPlPS6_PKS6_NS0_5tupleIJS9_S6_EEENSD_IJSA_SA_EEENS0_18inequality_wrapperIZN2at6native12_GLOBAL__N_124unique_dim_cuda_templateIjEESt5tupleIJNSH_6TensorESM_SM_EERKSM_lbbbEUlllE0_EEPmJS6_EEE10hipError_tPvRmT3_T4_T5_T6_T7_T9_mT8_P12ihipStream_tbDpT10_ENKUlT_T0_E_clISt17integral_constantIbLb0EES1B_IbLb1EEEEDaS17_S18_EUlS17_E_NS1_11comp_targetILNS1_3genE8ELNS1_11target_archE1030ELNS1_3gpuE2ELNS1_3repE0EEENS1_30default_config_static_selectorELNS0_4arch9wavefront6targetE0EEEvT1_, .Lfunc_end1572-_ZN7rocprim17ROCPRIM_400000_NS6detail17trampoline_kernelINS0_14default_configENS1_25partition_config_selectorILNS1_17partition_subalgoE8ElNS0_10empty_typeEbEEZZNS1_14partition_implILS5_8ELb0ES3_jPlPS6_PKS6_NS0_5tupleIJS9_S6_EEENSD_IJSA_SA_EEENS0_18inequality_wrapperIZN2at6native12_GLOBAL__N_124unique_dim_cuda_templateIjEESt5tupleIJNSH_6TensorESM_SM_EERKSM_lbbbEUlllE0_EEPmJS6_EEE10hipError_tPvRmT3_T4_T5_T6_T7_T9_mT8_P12ihipStream_tbDpT10_ENKUlT_T0_E_clISt17integral_constantIbLb0EES1B_IbLb1EEEEDaS17_S18_EUlS17_E_NS1_11comp_targetILNS1_3genE8ELNS1_11target_archE1030ELNS1_3gpuE2ELNS1_3repE0EEENS1_30default_config_static_selectorELNS0_4arch9wavefront6targetE0EEEvT1_
                                        ; -- End function
	.set _ZN7rocprim17ROCPRIM_400000_NS6detail17trampoline_kernelINS0_14default_configENS1_25partition_config_selectorILNS1_17partition_subalgoE8ElNS0_10empty_typeEbEEZZNS1_14partition_implILS5_8ELb0ES3_jPlPS6_PKS6_NS0_5tupleIJS9_S6_EEENSD_IJSA_SA_EEENS0_18inequality_wrapperIZN2at6native12_GLOBAL__N_124unique_dim_cuda_templateIjEESt5tupleIJNSH_6TensorESM_SM_EERKSM_lbbbEUlllE0_EEPmJS6_EEE10hipError_tPvRmT3_T4_T5_T6_T7_T9_mT8_P12ihipStream_tbDpT10_ENKUlT_T0_E_clISt17integral_constantIbLb0EES1B_IbLb1EEEEDaS17_S18_EUlS17_E_NS1_11comp_targetILNS1_3genE8ELNS1_11target_archE1030ELNS1_3gpuE2ELNS1_3repE0EEENS1_30default_config_static_selectorELNS0_4arch9wavefront6targetE0EEEvT1_.num_vgpr, 0
	.set _ZN7rocprim17ROCPRIM_400000_NS6detail17trampoline_kernelINS0_14default_configENS1_25partition_config_selectorILNS1_17partition_subalgoE8ElNS0_10empty_typeEbEEZZNS1_14partition_implILS5_8ELb0ES3_jPlPS6_PKS6_NS0_5tupleIJS9_S6_EEENSD_IJSA_SA_EEENS0_18inequality_wrapperIZN2at6native12_GLOBAL__N_124unique_dim_cuda_templateIjEESt5tupleIJNSH_6TensorESM_SM_EERKSM_lbbbEUlllE0_EEPmJS6_EEE10hipError_tPvRmT3_T4_T5_T6_T7_T9_mT8_P12ihipStream_tbDpT10_ENKUlT_T0_E_clISt17integral_constantIbLb0EES1B_IbLb1EEEEDaS17_S18_EUlS17_E_NS1_11comp_targetILNS1_3genE8ELNS1_11target_archE1030ELNS1_3gpuE2ELNS1_3repE0EEENS1_30default_config_static_selectorELNS0_4arch9wavefront6targetE0EEEvT1_.num_agpr, 0
	.set _ZN7rocprim17ROCPRIM_400000_NS6detail17trampoline_kernelINS0_14default_configENS1_25partition_config_selectorILNS1_17partition_subalgoE8ElNS0_10empty_typeEbEEZZNS1_14partition_implILS5_8ELb0ES3_jPlPS6_PKS6_NS0_5tupleIJS9_S6_EEENSD_IJSA_SA_EEENS0_18inequality_wrapperIZN2at6native12_GLOBAL__N_124unique_dim_cuda_templateIjEESt5tupleIJNSH_6TensorESM_SM_EERKSM_lbbbEUlllE0_EEPmJS6_EEE10hipError_tPvRmT3_T4_T5_T6_T7_T9_mT8_P12ihipStream_tbDpT10_ENKUlT_T0_E_clISt17integral_constantIbLb0EES1B_IbLb1EEEEDaS17_S18_EUlS17_E_NS1_11comp_targetILNS1_3genE8ELNS1_11target_archE1030ELNS1_3gpuE2ELNS1_3repE0EEENS1_30default_config_static_selectorELNS0_4arch9wavefront6targetE0EEEvT1_.numbered_sgpr, 0
	.set _ZN7rocprim17ROCPRIM_400000_NS6detail17trampoline_kernelINS0_14default_configENS1_25partition_config_selectorILNS1_17partition_subalgoE8ElNS0_10empty_typeEbEEZZNS1_14partition_implILS5_8ELb0ES3_jPlPS6_PKS6_NS0_5tupleIJS9_S6_EEENSD_IJSA_SA_EEENS0_18inequality_wrapperIZN2at6native12_GLOBAL__N_124unique_dim_cuda_templateIjEESt5tupleIJNSH_6TensorESM_SM_EERKSM_lbbbEUlllE0_EEPmJS6_EEE10hipError_tPvRmT3_T4_T5_T6_T7_T9_mT8_P12ihipStream_tbDpT10_ENKUlT_T0_E_clISt17integral_constantIbLb0EES1B_IbLb1EEEEDaS17_S18_EUlS17_E_NS1_11comp_targetILNS1_3genE8ELNS1_11target_archE1030ELNS1_3gpuE2ELNS1_3repE0EEENS1_30default_config_static_selectorELNS0_4arch9wavefront6targetE0EEEvT1_.num_named_barrier, 0
	.set _ZN7rocprim17ROCPRIM_400000_NS6detail17trampoline_kernelINS0_14default_configENS1_25partition_config_selectorILNS1_17partition_subalgoE8ElNS0_10empty_typeEbEEZZNS1_14partition_implILS5_8ELb0ES3_jPlPS6_PKS6_NS0_5tupleIJS9_S6_EEENSD_IJSA_SA_EEENS0_18inequality_wrapperIZN2at6native12_GLOBAL__N_124unique_dim_cuda_templateIjEESt5tupleIJNSH_6TensorESM_SM_EERKSM_lbbbEUlllE0_EEPmJS6_EEE10hipError_tPvRmT3_T4_T5_T6_T7_T9_mT8_P12ihipStream_tbDpT10_ENKUlT_T0_E_clISt17integral_constantIbLb0EES1B_IbLb1EEEEDaS17_S18_EUlS17_E_NS1_11comp_targetILNS1_3genE8ELNS1_11target_archE1030ELNS1_3gpuE2ELNS1_3repE0EEENS1_30default_config_static_selectorELNS0_4arch9wavefront6targetE0EEEvT1_.private_seg_size, 0
	.set _ZN7rocprim17ROCPRIM_400000_NS6detail17trampoline_kernelINS0_14default_configENS1_25partition_config_selectorILNS1_17partition_subalgoE8ElNS0_10empty_typeEbEEZZNS1_14partition_implILS5_8ELb0ES3_jPlPS6_PKS6_NS0_5tupleIJS9_S6_EEENSD_IJSA_SA_EEENS0_18inequality_wrapperIZN2at6native12_GLOBAL__N_124unique_dim_cuda_templateIjEESt5tupleIJNSH_6TensorESM_SM_EERKSM_lbbbEUlllE0_EEPmJS6_EEE10hipError_tPvRmT3_T4_T5_T6_T7_T9_mT8_P12ihipStream_tbDpT10_ENKUlT_T0_E_clISt17integral_constantIbLb0EES1B_IbLb1EEEEDaS17_S18_EUlS17_E_NS1_11comp_targetILNS1_3genE8ELNS1_11target_archE1030ELNS1_3gpuE2ELNS1_3repE0EEENS1_30default_config_static_selectorELNS0_4arch9wavefront6targetE0EEEvT1_.uses_vcc, 0
	.set _ZN7rocprim17ROCPRIM_400000_NS6detail17trampoline_kernelINS0_14default_configENS1_25partition_config_selectorILNS1_17partition_subalgoE8ElNS0_10empty_typeEbEEZZNS1_14partition_implILS5_8ELb0ES3_jPlPS6_PKS6_NS0_5tupleIJS9_S6_EEENSD_IJSA_SA_EEENS0_18inequality_wrapperIZN2at6native12_GLOBAL__N_124unique_dim_cuda_templateIjEESt5tupleIJNSH_6TensorESM_SM_EERKSM_lbbbEUlllE0_EEPmJS6_EEE10hipError_tPvRmT3_T4_T5_T6_T7_T9_mT8_P12ihipStream_tbDpT10_ENKUlT_T0_E_clISt17integral_constantIbLb0EES1B_IbLb1EEEEDaS17_S18_EUlS17_E_NS1_11comp_targetILNS1_3genE8ELNS1_11target_archE1030ELNS1_3gpuE2ELNS1_3repE0EEENS1_30default_config_static_selectorELNS0_4arch9wavefront6targetE0EEEvT1_.uses_flat_scratch, 0
	.set _ZN7rocprim17ROCPRIM_400000_NS6detail17trampoline_kernelINS0_14default_configENS1_25partition_config_selectorILNS1_17partition_subalgoE8ElNS0_10empty_typeEbEEZZNS1_14partition_implILS5_8ELb0ES3_jPlPS6_PKS6_NS0_5tupleIJS9_S6_EEENSD_IJSA_SA_EEENS0_18inequality_wrapperIZN2at6native12_GLOBAL__N_124unique_dim_cuda_templateIjEESt5tupleIJNSH_6TensorESM_SM_EERKSM_lbbbEUlllE0_EEPmJS6_EEE10hipError_tPvRmT3_T4_T5_T6_T7_T9_mT8_P12ihipStream_tbDpT10_ENKUlT_T0_E_clISt17integral_constantIbLb0EES1B_IbLb1EEEEDaS17_S18_EUlS17_E_NS1_11comp_targetILNS1_3genE8ELNS1_11target_archE1030ELNS1_3gpuE2ELNS1_3repE0EEENS1_30default_config_static_selectorELNS0_4arch9wavefront6targetE0EEEvT1_.has_dyn_sized_stack, 0
	.set _ZN7rocprim17ROCPRIM_400000_NS6detail17trampoline_kernelINS0_14default_configENS1_25partition_config_selectorILNS1_17partition_subalgoE8ElNS0_10empty_typeEbEEZZNS1_14partition_implILS5_8ELb0ES3_jPlPS6_PKS6_NS0_5tupleIJS9_S6_EEENSD_IJSA_SA_EEENS0_18inequality_wrapperIZN2at6native12_GLOBAL__N_124unique_dim_cuda_templateIjEESt5tupleIJNSH_6TensorESM_SM_EERKSM_lbbbEUlllE0_EEPmJS6_EEE10hipError_tPvRmT3_T4_T5_T6_T7_T9_mT8_P12ihipStream_tbDpT10_ENKUlT_T0_E_clISt17integral_constantIbLb0EES1B_IbLb1EEEEDaS17_S18_EUlS17_E_NS1_11comp_targetILNS1_3genE8ELNS1_11target_archE1030ELNS1_3gpuE2ELNS1_3repE0EEENS1_30default_config_static_selectorELNS0_4arch9wavefront6targetE0EEEvT1_.has_recursion, 0
	.set _ZN7rocprim17ROCPRIM_400000_NS6detail17trampoline_kernelINS0_14default_configENS1_25partition_config_selectorILNS1_17partition_subalgoE8ElNS0_10empty_typeEbEEZZNS1_14partition_implILS5_8ELb0ES3_jPlPS6_PKS6_NS0_5tupleIJS9_S6_EEENSD_IJSA_SA_EEENS0_18inequality_wrapperIZN2at6native12_GLOBAL__N_124unique_dim_cuda_templateIjEESt5tupleIJNSH_6TensorESM_SM_EERKSM_lbbbEUlllE0_EEPmJS6_EEE10hipError_tPvRmT3_T4_T5_T6_T7_T9_mT8_P12ihipStream_tbDpT10_ENKUlT_T0_E_clISt17integral_constantIbLb0EES1B_IbLb1EEEEDaS17_S18_EUlS17_E_NS1_11comp_targetILNS1_3genE8ELNS1_11target_archE1030ELNS1_3gpuE2ELNS1_3repE0EEENS1_30default_config_static_selectorELNS0_4arch9wavefront6targetE0EEEvT1_.has_indirect_call, 0
	.section	.AMDGPU.csdata,"",@progbits
; Kernel info:
; codeLenInByte = 0
; TotalNumSgprs: 0
; NumVgprs: 0
; ScratchSize: 0
; MemoryBound: 0
; FloatMode: 240
; IeeeMode: 1
; LDSByteSize: 0 bytes/workgroup (compile time only)
; SGPRBlocks: 0
; VGPRBlocks: 0
; NumSGPRsForWavesPerEU: 1
; NumVGPRsForWavesPerEU: 1
; NamedBarCnt: 0
; Occupancy: 16
; WaveLimiterHint : 0
; COMPUTE_PGM_RSRC2:SCRATCH_EN: 0
; COMPUTE_PGM_RSRC2:USER_SGPR: 2
; COMPUTE_PGM_RSRC2:TRAP_HANDLER: 0
; COMPUTE_PGM_RSRC2:TGID_X_EN: 1
; COMPUTE_PGM_RSRC2:TGID_Y_EN: 0
; COMPUTE_PGM_RSRC2:TGID_Z_EN: 0
; COMPUTE_PGM_RSRC2:TIDIG_COMP_CNT: 0
	.section	.text._ZN7rocprim17ROCPRIM_400000_NS6detail17trampoline_kernelINS0_14default_configENS1_25partition_config_selectorILNS1_17partition_subalgoE9EllbEEZZNS1_14partition_implILS5_9ELb0ES3_jPlS8_PNS0_10empty_typeENS0_5tupleIJS8_S9_EEENSB_IJS8_SA_EEENS0_18inequality_wrapperIZN2at6native12_GLOBAL__N_124unique_dim_cuda_templateIjEESt5tupleIJNSF_6TensorESK_SK_EERKSK_lbbbEUlllE0_EEPmJS9_EEE10hipError_tPvRmT3_T4_T5_T6_T7_T9_mT8_P12ihipStream_tbDpT10_ENKUlT_T0_E_clISt17integral_constantIbLb0EES1A_EEDaS15_S16_EUlS15_E_NS1_11comp_targetILNS1_3genE0ELNS1_11target_archE4294967295ELNS1_3gpuE0ELNS1_3repE0EEENS1_30default_config_static_selectorELNS0_4arch9wavefront6targetE0EEEvT1_,"axG",@progbits,_ZN7rocprim17ROCPRIM_400000_NS6detail17trampoline_kernelINS0_14default_configENS1_25partition_config_selectorILNS1_17partition_subalgoE9EllbEEZZNS1_14partition_implILS5_9ELb0ES3_jPlS8_PNS0_10empty_typeENS0_5tupleIJS8_S9_EEENSB_IJS8_SA_EEENS0_18inequality_wrapperIZN2at6native12_GLOBAL__N_124unique_dim_cuda_templateIjEESt5tupleIJNSF_6TensorESK_SK_EERKSK_lbbbEUlllE0_EEPmJS9_EEE10hipError_tPvRmT3_T4_T5_T6_T7_T9_mT8_P12ihipStream_tbDpT10_ENKUlT_T0_E_clISt17integral_constantIbLb0EES1A_EEDaS15_S16_EUlS15_E_NS1_11comp_targetILNS1_3genE0ELNS1_11target_archE4294967295ELNS1_3gpuE0ELNS1_3repE0EEENS1_30default_config_static_selectorELNS0_4arch9wavefront6targetE0EEEvT1_,comdat
	.globl	_ZN7rocprim17ROCPRIM_400000_NS6detail17trampoline_kernelINS0_14default_configENS1_25partition_config_selectorILNS1_17partition_subalgoE9EllbEEZZNS1_14partition_implILS5_9ELb0ES3_jPlS8_PNS0_10empty_typeENS0_5tupleIJS8_S9_EEENSB_IJS8_SA_EEENS0_18inequality_wrapperIZN2at6native12_GLOBAL__N_124unique_dim_cuda_templateIjEESt5tupleIJNSF_6TensorESK_SK_EERKSK_lbbbEUlllE0_EEPmJS9_EEE10hipError_tPvRmT3_T4_T5_T6_T7_T9_mT8_P12ihipStream_tbDpT10_ENKUlT_T0_E_clISt17integral_constantIbLb0EES1A_EEDaS15_S16_EUlS15_E_NS1_11comp_targetILNS1_3genE0ELNS1_11target_archE4294967295ELNS1_3gpuE0ELNS1_3repE0EEENS1_30default_config_static_selectorELNS0_4arch9wavefront6targetE0EEEvT1_ ; -- Begin function _ZN7rocprim17ROCPRIM_400000_NS6detail17trampoline_kernelINS0_14default_configENS1_25partition_config_selectorILNS1_17partition_subalgoE9EllbEEZZNS1_14partition_implILS5_9ELb0ES3_jPlS8_PNS0_10empty_typeENS0_5tupleIJS8_S9_EEENSB_IJS8_SA_EEENS0_18inequality_wrapperIZN2at6native12_GLOBAL__N_124unique_dim_cuda_templateIjEESt5tupleIJNSF_6TensorESK_SK_EERKSK_lbbbEUlllE0_EEPmJS9_EEE10hipError_tPvRmT3_T4_T5_T6_T7_T9_mT8_P12ihipStream_tbDpT10_ENKUlT_T0_E_clISt17integral_constantIbLb0EES1A_EEDaS15_S16_EUlS15_E_NS1_11comp_targetILNS1_3genE0ELNS1_11target_archE4294967295ELNS1_3gpuE0ELNS1_3repE0EEENS1_30default_config_static_selectorELNS0_4arch9wavefront6targetE0EEEvT1_
	.p2align	8
	.type	_ZN7rocprim17ROCPRIM_400000_NS6detail17trampoline_kernelINS0_14default_configENS1_25partition_config_selectorILNS1_17partition_subalgoE9EllbEEZZNS1_14partition_implILS5_9ELb0ES3_jPlS8_PNS0_10empty_typeENS0_5tupleIJS8_S9_EEENSB_IJS8_SA_EEENS0_18inequality_wrapperIZN2at6native12_GLOBAL__N_124unique_dim_cuda_templateIjEESt5tupleIJNSF_6TensorESK_SK_EERKSK_lbbbEUlllE0_EEPmJS9_EEE10hipError_tPvRmT3_T4_T5_T6_T7_T9_mT8_P12ihipStream_tbDpT10_ENKUlT_T0_E_clISt17integral_constantIbLb0EES1A_EEDaS15_S16_EUlS15_E_NS1_11comp_targetILNS1_3genE0ELNS1_11target_archE4294967295ELNS1_3gpuE0ELNS1_3repE0EEENS1_30default_config_static_selectorELNS0_4arch9wavefront6targetE0EEEvT1_,@function
_ZN7rocprim17ROCPRIM_400000_NS6detail17trampoline_kernelINS0_14default_configENS1_25partition_config_selectorILNS1_17partition_subalgoE9EllbEEZZNS1_14partition_implILS5_9ELb0ES3_jPlS8_PNS0_10empty_typeENS0_5tupleIJS8_S9_EEENSB_IJS8_SA_EEENS0_18inequality_wrapperIZN2at6native12_GLOBAL__N_124unique_dim_cuda_templateIjEESt5tupleIJNSF_6TensorESK_SK_EERKSK_lbbbEUlllE0_EEPmJS9_EEE10hipError_tPvRmT3_T4_T5_T6_T7_T9_mT8_P12ihipStream_tbDpT10_ENKUlT_T0_E_clISt17integral_constantIbLb0EES1A_EEDaS15_S16_EUlS15_E_NS1_11comp_targetILNS1_3genE0ELNS1_11target_archE4294967295ELNS1_3gpuE0ELNS1_3repE0EEENS1_30default_config_static_selectorELNS0_4arch9wavefront6targetE0EEEvT1_: ; @_ZN7rocprim17ROCPRIM_400000_NS6detail17trampoline_kernelINS0_14default_configENS1_25partition_config_selectorILNS1_17partition_subalgoE9EllbEEZZNS1_14partition_implILS5_9ELb0ES3_jPlS8_PNS0_10empty_typeENS0_5tupleIJS8_S9_EEENSB_IJS8_SA_EEENS0_18inequality_wrapperIZN2at6native12_GLOBAL__N_124unique_dim_cuda_templateIjEESt5tupleIJNSF_6TensorESK_SK_EERKSK_lbbbEUlllE0_EEPmJS9_EEE10hipError_tPvRmT3_T4_T5_T6_T7_T9_mT8_P12ihipStream_tbDpT10_ENKUlT_T0_E_clISt17integral_constantIbLb0EES1A_EEDaS15_S16_EUlS15_E_NS1_11comp_targetILNS1_3genE0ELNS1_11target_archE4294967295ELNS1_3gpuE0ELNS1_3repE0EEENS1_30default_config_static_selectorELNS0_4arch9wavefront6targetE0EEEvT1_
; %bb.0:
	s_clause 0x2
	s_load_b128 s[4:7], s[0:1], 0x8
	s_load_b256 s[12:19], s[0:1], 0x40
	s_load_b32 s2, s[0:1], 0x70
	s_bfe_u32 s10, ttmp6, 0x4000c
	s_and_b32 s8, ttmp6, 15
	s_add_co_i32 s10, s10, 1
	s_load_b64 s[20:21], s[0:1], 0x18
	s_mul_i32 s10, ttmp9, s10
	s_getreg_b32 s24, hwreg(HW_REG_IB_STS2, 6, 4)
	s_add_co_i32 s10, s8, s10
	s_mov_b32 s9, 0
	v_dual_mov_b32 v1, v0 :: v_dual_lshlrev_b32 v34, 3, v0
	s_mov_b32 s11, s9
	s_mov_b32 s3, -1
	s_wait_kmcnt 0x0
	s_lshl_b64 s[22:23], s[6:7], 3
	s_load_b64 s[14:15], s[14:15], 0x0
	s_mul_i32 s8, s2, 0x280
	s_cmp_eq_u32 s24, 0
	s_add_nc_u64 s[24:25], s[6:7], s[8:9]
	s_cselect_b32 s26, ttmp9, s10
	s_add_co_i32 s8, s8, s6
	v_cmp_le_u64_e64 s9, s[16:17], s[24:25]
	s_sub_co_i32 s27, s16, s8
	s_add_co_i32 s2, s2, -1
	s_addk_co_i32 s27, 0x280
	s_cmp_eq_u32 s26, s2
	s_mul_i32 s10, s26, 0x280
	s_cselect_b32 s24, -1, 0
	s_add_nc_u64 s[4:5], s[4:5], s[22:23]
	s_and_b32 s28, s24, s9
	s_lshl_b64 s[16:17], s[10:11], 3
	s_xor_b32 s25, s28, -1
	s_add_nc_u64 s[4:5], s[4:5], s[16:17]
	s_and_b32 vcc_lo, exec_lo, s25
	s_cbranch_vccz .LBB1573_2
; %bb.1:
	s_clause 0x4
	global_load_b64 v[2:3], v0, s[4:5] scale_offset
	global_load_b64 v[4:5], v0, s[4:5] offset:1024 scale_offset
	global_load_b64 v[6:7], v0, s[4:5] offset:2048 scale_offset
	;; [unrolled: 1-line block ×4, first 2 shown]
	v_lshlrev_b32_e32 v12, 3, v0
	s_mov_b32 s3, 0
	s_wait_loadcnt 0x3
	ds_store_2addr_stride64_b64 v12, v[2:3], v[4:5] offset1:2
	s_wait_loadcnt 0x1
	ds_store_2addr_stride64_b64 v12, v[6:7], v[8:9] offset0:4 offset1:6
	s_wait_loadcnt 0x0
	ds_store_b64 v12, v[10:11] offset:4096
	s_wait_dscnt 0x0
	s_barrier_signal -1
	s_barrier_wait -1
.LBB1573_2:
	s_load_b128 s[8:11], s[0:1], 0x60
	v_cmp_gt_u32_e64 s2, s27, v0
	s_and_not1_b32 vcc_lo, exec_lo, s3
	s_cbranch_vccnz .LBB1573_14
; %bb.3:
	v_mov_b32_e32 v2, 0
	s_delay_alu instid0(VALU_DEP_1)
	v_dual_mov_b32 v3, v2 :: v_dual_mov_b32 v4, v2
	v_dual_mov_b32 v5, v2 :: v_dual_mov_b32 v6, v2
	;; [unrolled: 1-line block ×4, first 2 shown]
	v_mov_b32_e32 v11, v2
	s_and_saveexec_b32 s3, s2
	s_cbranch_execz .LBB1573_5
; %bb.4:
	global_load_b64 v[4:5], v0, s[4:5] scale_offset
	v_dual_mov_b32 v6, v2 :: v_dual_mov_b32 v7, v2
	v_dual_mov_b32 v8, v2 :: v_dual_mov_b32 v9, v2
	;; [unrolled: 1-line block ×4, first 2 shown]
	s_wait_loadcnt 0x0
	v_mov_b64_e32 v[2:3], v[4:5]
	v_mov_b64_e32 v[4:5], v[6:7]
	;; [unrolled: 1-line block ×8, first 2 shown]
.LBB1573_5:
	s_or_b32 exec_lo, exec_lo, s3
	v_or_b32_e32 v12, 0x80, v0
	s_mov_b32 s2, exec_lo
	s_delay_alu instid0(VALU_DEP_1)
	v_cmpx_gt_u32_e64 s27, v12
	s_cbranch_execz .LBB1573_7
; %bb.6:
	global_load_b64 v[4:5], v0, s[4:5] offset:1024 scale_offset
.LBB1573_7:
	s_wait_xcnt 0x0
	s_or_b32 exec_lo, exec_lo, s2
	v_or_b32_e32 v12, 0x100, v0
	s_mov_b32 s2, exec_lo
	s_delay_alu instid0(VALU_DEP_1)
	v_cmpx_gt_u32_e64 s27, v12
	s_cbranch_execz .LBB1573_9
; %bb.8:
	global_load_b64 v[6:7], v0, s[4:5] offset:2048 scale_offset
.LBB1573_9:
	s_wait_xcnt 0x0
	;; [unrolled: 10-line block ×4, first 2 shown]
	s_or_b32 exec_lo, exec_lo, s2
	v_lshlrev_b32_e32 v12, 3, v0
	s_wait_loadcnt 0x0
	ds_store_2addr_stride64_b64 v12, v[2:3], v[4:5] offset1:2
	ds_store_2addr_stride64_b64 v12, v[6:7], v[8:9] offset0:4 offset1:6
	ds_store_b64 v12, v[10:11] offset:4096
	s_wait_dscnt 0x0
	s_barrier_signal -1
	s_barrier_wait -1
.LBB1573_14:
	v_mul_u32_u24_e32 v30, 5, v0
	s_add_nc_u64 s[2:3], s[20:21], s[22:23]
	s_and_b32 vcc_lo, exec_lo, s25
	s_add_nc_u64 s[2:3], s[2:3], s[16:17]
	s_delay_alu instid0(VALU_DEP_1)
	v_lshlrev_b32_e32 v28, 3, v30
	s_mov_b32 s16, -1
	ds_load_2addr_b64 v[14:17], v28 offset1:1
	ds_load_2addr_b64 v[10:13], v28 offset0:2 offset1:3
	ds_load_b64 v[20:21], v28 offset:32
	s_wait_dscnt 0x0
	s_barrier_signal -1
	s_barrier_wait -1
	s_cbranch_vccz .LBB1573_16
; %bb.15:
	s_clause 0x4
	global_load_b64 v[2:3], v0, s[2:3] scale_offset
	global_load_b64 v[4:5], v0, s[2:3] offset:1024 scale_offset
	global_load_b64 v[6:7], v0, s[2:3] offset:2048 scale_offset
	;; [unrolled: 1-line block ×4, first 2 shown]
	v_lshlrev_b32_e32 v22, 3, v0
	s_mov_b32 s16, 0
	s_wait_loadcnt 0x3
	ds_store_2addr_stride64_b64 v22, v[2:3], v[4:5] offset1:2
	s_wait_loadcnt 0x1
	ds_store_2addr_stride64_b64 v22, v[6:7], v[8:9] offset0:4 offset1:6
	s_wait_loadcnt 0x0
	ds_store_b64 v22, v[18:19] offset:4096
	s_wait_dscnt 0x0
	s_barrier_signal -1
	s_barrier_wait -1
.LBB1573_16:
	s_and_not1_b32 vcc_lo, exec_lo, s16
	s_cbranch_vccnz .LBB1573_28
; %bb.17:
	s_mov_b32 s16, exec_lo
                                        ; implicit-def: $vgpr2_vgpr3
	v_cmpx_gt_u32_e64 s27, v0
	s_cbranch_execz .LBB1573_19
; %bb.18:
	global_load_b64 v[2:3], v0, s[2:3] scale_offset
.LBB1573_19:
	s_wait_xcnt 0x0
	s_or_b32 exec_lo, exec_lo, s16
	v_or_b32_e32 v4, 0x80, v0
	s_delay_alu instid0(VALU_DEP_1)
	v_cmp_gt_u32_e32 vcc_lo, s27, v4
                                        ; implicit-def: $vgpr4_vgpr5
	s_and_saveexec_b32 s16, vcc_lo
	s_cbranch_execz .LBB1573_21
; %bb.20:
	global_load_b64 v[4:5], v0, s[2:3] offset:1024 scale_offset
.LBB1573_21:
	s_wait_xcnt 0x0
	s_or_b32 exec_lo, exec_lo, s16
	v_or_b32_e32 v6, 0x100, v0
	s_delay_alu instid0(VALU_DEP_1)
	v_cmp_gt_u32_e32 vcc_lo, s27, v6
                                        ; implicit-def: $vgpr6_vgpr7
	s_and_saveexec_b32 s16, vcc_lo
	s_cbranch_execz .LBB1573_23
; %bb.22:
	global_load_b64 v[6:7], v0, s[2:3] offset:2048 scale_offset
.LBB1573_23:
	s_wait_xcnt 0x0
	s_or_b32 exec_lo, exec_lo, s16
	v_or_b32_e32 v8, 0x180, v0
	s_delay_alu instid0(VALU_DEP_1)
	v_cmp_gt_u32_e32 vcc_lo, s27, v8
                                        ; implicit-def: $vgpr8_vgpr9
	s_and_saveexec_b32 s16, vcc_lo
	s_cbranch_execz .LBB1573_25
; %bb.24:
	global_load_b64 v[8:9], v0, s[2:3] offset:3072 scale_offset
.LBB1573_25:
	s_wait_xcnt 0x0
	s_or_b32 exec_lo, exec_lo, s16
	v_or_b32_e32 v18, 0x200, v0
	s_delay_alu instid0(VALU_DEP_1)
	v_cmp_gt_u32_e32 vcc_lo, s27, v18
                                        ; implicit-def: $vgpr18_vgpr19
	s_and_saveexec_b32 s16, vcc_lo
	s_cbranch_execz .LBB1573_27
; %bb.26:
	global_load_b64 v[18:19], v0, s[2:3] offset:4096 scale_offset
.LBB1573_27:
	s_wait_xcnt 0x0
	s_or_b32 exec_lo, exec_lo, s16
	v_lshlrev_b32_e32 v22, 5, v0
	s_delay_alu instid0(VALU_DEP_1)
	v_sub_nc_u32_e32 v22, v28, v22
	s_wait_loadcnt 0x0
	ds_store_2addr_stride64_b64 v22, v[2:3], v[4:5] offset1:2
	ds_store_2addr_stride64_b64 v22, v[6:7], v[8:9] offset0:4 offset1:6
	ds_store_b64 v22, v[18:19] offset:4096
	s_wait_dscnt 0x0
	s_barrier_signal -1
	s_barrier_wait -1
.LBB1573_28:
	ds_load_b64 v[18:19], v28 offset:32
	ds_load_2addr_b64 v[2:5], v28 offset0:2 offset1:3
	ds_load_2addr_b64 v[6:9], v28 offset1:1
	s_cmp_lg_u32 s26, 0
	v_cmp_gt_i64_e64 s17, s[18:19], 0
	s_cselect_b32 s16, -1, 0
	s_cmp_lg_u64 s[6:7], 0
	s_mov_b32 s6, 0
	s_cselect_b32 s2, -1, 0
	s_wait_dscnt 0x0
	s_or_b32 s2, s16, s2
	s_barrier_signal -1
	s_and_b32 vcc_lo, exec_lo, s2
	s_barrier_wait -1
	s_cbranch_vccz .LBB1573_40
; %bb.29:
	s_add_nc_u64 s[2:3], s[4:5], -8
	v_cndmask_b32_e64 v29, 0, 1, s17
	s_load_b64 s[4:5], s[2:3], 0x0
	v_lshlrev_b32_e32 v31, 3, v0
	s_and_b32 vcc_lo, exec_lo, s25
	s_wait_xcnt 0x0
	v_cmp_ne_u32_e64 s2, 1, v29
	ds_store_b64 v31, v[20:21]
	s_cbranch_vccz .LBB1573_42
; %bb.30:
	s_and_b32 vcc_lo, exec_lo, s2
	s_cbranch_vccnz .LBB1573_43
; %bb.31:
	v_mul_u64_e32 v[22:23], s[18:19], v[12:13]
	v_mul_u64_e32 v[24:25], s[18:19], v[20:21]
	s_add_nc_u64 s[6:7], s[18:19], -1
	s_mov_b32 s21, 0
	s_mov_b64 s[2:3], s[6:7]
                                        ; implicit-def: $sgpr20
	s_wait_kmcnt 0x0
	s_delay_alu instid0(VALU_DEP_2) | instskip(NEXT) | instid1(VALU_DEP_2)
	v_lshl_add_u64 v[22:23], v[22:23], 2, s[8:9]
	v_lshl_add_u64 v[24:25], v[24:25], 2, s[8:9]
	s_delay_alu instid0(VALU_DEP_2)
	v_mov_b64_e32 v[26:27], v[22:23]
.LBB1573_32:                            ; =>This Inner Loop Header: Depth=1
	global_load_b32 v32, v[26:27], off
	global_load_b32 v33, v[24:25], off
	s_cmp_eq_u64 s[2:3], 0
	s_add_nc_u64 s[22:23], s[2:3], -1
	s_cselect_b32 s3, -1, 0
	s_wait_xcnt 0x1
	v_add_nc_u64_e32 v[26:27], 4, v[26:27]
	s_wait_xcnt 0x0
	v_add_nc_u64_e32 v[24:25], 4, v[24:25]
	s_wait_loadcnt 0x0
	v_cmp_ne_u32_e32 vcc_lo, v32, v33
	v_cmp_eq_u32_e64 s2, v32, v33
	s_or_b32 s3, vcc_lo, s3
	s_delay_alu instid0(SALU_CYCLE_1) | instskip(NEXT) | instid1(SALU_CYCLE_1)
	s_and_b32 s3, exec_lo, s3
	s_or_b32 s21, s3, s21
	s_and_not1_b32 s20, s20, exec_lo
	s_and_b32 s29, s2, exec_lo
	s_mov_b64 s[2:3], s[22:23]
	s_or_b32 s20, s20, s29
	s_and_not1_b32 exec_lo, exec_lo, s21
	s_cbranch_execnz .LBB1573_32
; %bb.33:
	s_or_b32 exec_lo, exec_lo, s21
	v_mul_u64_e32 v[24:25], s[18:19], v[10:11]
	s_mov_b32 s22, 0
	s_mov_b64 s[2:3], s[6:7]
                                        ; implicit-def: $sgpr21
	s_delay_alu instid0(VALU_DEP_1) | instskip(NEXT) | instid1(VALU_DEP_1)
	v_lshl_add_u64 v[24:25], v[24:25], 2, s[8:9]
	v_mov_b64_e32 v[26:27], v[24:25]
.LBB1573_34:                            ; =>This Inner Loop Header: Depth=1
	global_load_b32 v32, v[26:27], off
	global_load_b32 v33, v[22:23], off
	s_cmp_eq_u64 s[2:3], 0
	s_add_nc_u64 s[30:31], s[2:3], -1
	s_cselect_b32 s3, -1, 0
	s_wait_xcnt 0x1
	v_add_nc_u64_e32 v[26:27], 4, v[26:27]
	s_wait_xcnt 0x0
	v_add_nc_u64_e32 v[22:23], 4, v[22:23]
	s_wait_loadcnt 0x0
	v_cmp_ne_u32_e32 vcc_lo, v32, v33
	v_cmp_eq_u32_e64 s2, v32, v33
	s_or_b32 s3, vcc_lo, s3
	s_delay_alu instid0(SALU_CYCLE_1) | instskip(NEXT) | instid1(SALU_CYCLE_1)
	s_and_b32 s3, exec_lo, s3
	s_or_b32 s22, s3, s22
	s_and_not1_b32 s21, s21, exec_lo
	s_and_b32 s23, s2, exec_lo
	s_mov_b64 s[2:3], s[30:31]
	s_or_b32 s21, s21, s23
	s_and_not1_b32 exec_lo, exec_lo, s22
	s_cbranch_execnz .LBB1573_34
; %bb.35:
	s_or_b32 exec_lo, exec_lo, s22
	v_mul_u64_e32 v[22:23], s[18:19], v[16:17]
	s_mov_b32 s23, 0
	s_mov_b64 s[2:3], s[6:7]
                                        ; implicit-def: $sgpr22
	s_delay_alu instid0(VALU_DEP_1) | instskip(NEXT) | instid1(VALU_DEP_1)
	v_lshl_add_u64 v[22:23], v[22:23], 2, s[8:9]
	v_mov_b64_e32 v[26:27], v[22:23]
.LBB1573_36:                            ; =>This Inner Loop Header: Depth=1
	global_load_b32 v32, v[26:27], off
	global_load_b32 v33, v[24:25], off
	s_cmp_eq_u64 s[2:3], 0
	s_add_nc_u64 s[30:31], s[2:3], -1
	s_cselect_b32 s3, -1, 0
	s_wait_xcnt 0x1
	v_add_nc_u64_e32 v[26:27], 4, v[26:27]
	s_wait_xcnt 0x0
	v_add_nc_u64_e32 v[24:25], 4, v[24:25]
	s_wait_loadcnt 0x0
	v_cmp_ne_u32_e32 vcc_lo, v32, v33
	v_cmp_eq_u32_e64 s2, v32, v33
	s_or_b32 s3, vcc_lo, s3
	s_delay_alu instid0(SALU_CYCLE_1) | instskip(NEXT) | instid1(SALU_CYCLE_1)
	s_and_b32 s3, exec_lo, s3
	s_or_b32 s23, s3, s23
	s_and_not1_b32 s22, s22, exec_lo
	s_and_b32 s29, s2, exec_lo
	s_mov_b64 s[2:3], s[30:31]
	s_or_b32 s22, s22, s29
	s_and_not1_b32 exec_lo, exec_lo, s23
	s_cbranch_execnz .LBB1573_36
; %bb.37:
	s_or_b32 exec_lo, exec_lo, s23
	v_mul_u64_e32 v[24:25], s[18:19], v[14:15]
	s_mov_b32 s23, 0
                                        ; implicit-def: $sgpr3
	s_delay_alu instid0(VALU_DEP_1)
	v_lshl_add_u64 v[24:25], v[24:25], 2, s[8:9]
.LBB1573_38:                            ; =>This Inner Loop Header: Depth=1
	global_load_b32 v26, v[24:25], off
	global_load_b32 v27, v[22:23], off
	s_cmp_eq_u64 s[6:7], 0
	s_add_nc_u64 s[30:31], s[6:7], -1
	s_cselect_b32 s6, -1, 0
	s_wait_xcnt 0x1
	v_add_nc_u64_e32 v[24:25], 4, v[24:25]
	s_wait_xcnt 0x0
	v_add_nc_u64_e32 v[22:23], 4, v[22:23]
	s_wait_loadcnt 0x0
	v_cmp_ne_u32_e32 vcc_lo, v26, v27
	v_cmp_eq_u32_e64 s2, v26, v27
	s_or_b32 s6, vcc_lo, s6
	s_delay_alu instid0(SALU_CYCLE_1) | instskip(NEXT) | instid1(SALU_CYCLE_1)
	s_and_b32 s6, exec_lo, s6
	s_or_b32 s23, s6, s23
	s_and_not1_b32 s3, s3, exec_lo
	s_and_b32 s2, s2, exec_lo
	s_mov_b64 s[6:7], s[30:31]
	s_or_b32 s3, s3, s2
	s_and_not1_b32 exec_lo, exec_lo, s23
	s_cbranch_execnz .LBB1573_38
; %bb.39:
	s_or_b32 exec_lo, exec_lo, s23
	s_xor_b32 s2, s21, -1
	s_xor_b32 s3, s3, -1
	v_cndmask_b32_e64 v22, 0, 1, s2
	s_xor_b32 s2, s22, -1
	s_delay_alu instid0(SALU_CYCLE_1) | instskip(SKIP_1) | instid1(VALU_DEP_2)
	v_cndmask_b32_e64 v23, 0, 1, s2
	s_xor_b32 s2, s20, -1
	v_lshlrev_b16 v22, 8, v22
	v_cndmask_b32_e64 v35, 0, 1, s2
	s_delay_alu instid0(VALU_DEP_2) | instskip(NEXT) | instid1(VALU_DEP_1)
	v_lshrrev_b32_e32 v22, 8, v22
	v_lshlrev_b16 v22, 8, v22
	s_delay_alu instid0(VALU_DEP_1) | instskip(NEXT) | instid1(VALU_DEP_1)
	v_or_b32_e32 v22, v23, v22
	v_lshlrev_b32_e32 v24, 16, v22
	s_branch .LBB1573_44
.LBB1573_40:
                                        ; implicit-def: $sgpr2
                                        ; implicit-def: $vgpr35
                                        ; implicit-def: $vgpr25
	s_branch .LBB1573_85
.LBB1573_41:
                                        ; implicit-def: $vgpr24
                                        ; implicit-def: $vgpr23
                                        ; implicit-def: $vgpr36
                                        ; implicit-def: $vgpr22
	s_branch .LBB1573_138
.LBB1573_42:
                                        ; implicit-def: $sgpr2
                                        ; implicit-def: $vgpr35
                                        ; implicit-def: $vgpr25
	s_cbranch_execnz .LBB1573_51
	s_branch .LBB1573_84
.LBB1573_43:
	v_dual_mov_b32 v24, 0 :: v_dual_mov_b32 v35, 0
	s_mov_b32 s3, 0
.LBB1573_44:
	s_wait_kmcnt 0x0
	v_mov_b64_e32 v[22:23], s[4:5]
	s_mov_b32 s2, 0
	s_mov_b32 s6, exec_lo
	s_wait_dscnt 0x0
	s_barrier_signal -1
	s_barrier_wait -1
	v_cmpx_ne_u32_e32 0, v0
; %bb.45:
	v_add_nc_u32_e32 v22, -8, v31
	ds_load_b64 v[22:23], v22
; %bb.46:
	s_or_b32 exec_lo, exec_lo, s6
	v_cndmask_b32_e64 v25, 0, 1, s3
	v_lshrrev_b32_e32 v26, 16, v24
	s_and_not1_b32 vcc_lo, exec_lo, s17
	s_delay_alu instid0(VALU_DEP_2) | instskip(NEXT) | instid1(VALU_DEP_2)
	v_lshlrev_b16 v25, 8, v25
	v_perm_b32 v26, v26, v24, 0xc0c0304
	s_delay_alu instid0(VALU_DEP_2) | instskip(NEXT) | instid1(VALU_DEP_1)
	v_bitop3_b16 v25, v24, v25, 0xff bitop3:0xec
	v_and_b32_e32 v27, 0xffff, v25
	s_cbranch_vccnz .LBB1573_50
; %bb.47:
	s_wait_dscnt 0x0
	v_mul_u64_e32 v[22:23], s[18:19], v[22:23]
	v_mul_u64_e32 v[24:25], s[18:19], v[14:15]
	s_add_nc_u64 s[2:3], s[18:19], -1
	s_mov_b32 s6, 0
                                        ; implicit-def: $sgpr7
	s_delay_alu instid0(VALU_DEP_2) | instskip(NEXT) | instid1(VALU_DEP_2)
	v_lshl_add_u64 v[22:23], v[22:23], 2, s[8:9]
	v_lshl_add_u64 v[24:25], v[24:25], 2, s[8:9]
.LBB1573_48:                            ; =>This Inner Loop Header: Depth=1
	global_load_b32 v32, v[22:23], off
	global_load_b32 v33, v[24:25], off
	s_cmp_eq_u64 s[2:3], 0
	s_add_nc_u64 s[20:21], s[2:3], -1
	s_cselect_b32 s3, -1, 0
	s_wait_xcnt 0x1
	v_add_nc_u64_e32 v[22:23], 4, v[22:23]
	s_wait_xcnt 0x0
	v_add_nc_u64_e32 v[24:25], 4, v[24:25]
	s_wait_loadcnt 0x0
	v_cmp_ne_u32_e32 vcc_lo, v32, v33
	v_cmp_eq_u32_e64 s2, v32, v33
	s_or_b32 s3, vcc_lo, s3
	s_delay_alu instid0(SALU_CYCLE_1) | instskip(NEXT) | instid1(SALU_CYCLE_1)
	s_and_b32 s3, exec_lo, s3
	s_or_b32 s6, s3, s6
	s_and_not1_b32 s7, s7, exec_lo
	s_and_b32 s22, s2, exec_lo
	s_mov_b64 s[2:3], s[20:21]
	s_or_b32 s7, s7, s22
	s_and_not1_b32 exec_lo, exec_lo, s6
	s_cbranch_execnz .LBB1573_48
; %bb.49:
	s_or_b32 exec_lo, exec_lo, s6
	s_xor_b32 s2, s7, -1
.LBB1573_50:
	s_delay_alu instid0(VALU_DEP_1)
	v_lshl_or_b32 v25, v26, 16, v27
	s_branch .LBB1573_84
.LBB1573_51:
	s_wait_dscnt 0x0
	v_add_nc_u32_e32 v22, 4, v30
	s_mov_b32 s7, 0
	s_mov_b32 s6, 0
	s_mov_b32 s20, exec_lo
	s_delay_alu instid0(VALU_DEP_1)
	v_cmpx_gt_u32_e64 s27, v22
	s_cbranch_execz .LBB1573_57
; %bb.52:
	s_and_not1_b32 vcc_lo, exec_lo, s17
	s_mov_b32 s2, 0
	s_cbranch_vccnz .LBB1573_56
; %bb.53:
	v_mul_u64_e32 v[22:23], s[18:19], v[12:13]
	v_mul_u64_e32 v[24:25], s[18:19], v[20:21]
	s_add_nc_u64 s[2:3], s[18:19], -1
                                        ; implicit-def: $sgpr17
	s_wait_kmcnt 0x0
	s_delay_alu instid0(VALU_DEP_2) | instskip(NEXT) | instid1(VALU_DEP_2)
	v_lshl_add_u64 v[22:23], v[22:23], 2, s[8:9]
	v_lshl_add_u64 v[24:25], v[24:25], 2, s[8:9]
.LBB1573_54:                            ; =>This Inner Loop Header: Depth=1
	global_load_b32 v26, v[22:23], off
	global_load_b32 v27, v[24:25], off
	s_cmp_eq_u64 s[2:3], 0
	s_add_nc_u64 s[22:23], s[2:3], -1
	s_cselect_b32 s3, -1, 0
	s_wait_xcnt 0x1
	v_add_nc_u64_e32 v[22:23], 4, v[22:23]
	s_wait_xcnt 0x0
	v_add_nc_u64_e32 v[24:25], 4, v[24:25]
	s_wait_loadcnt 0x0
	v_cmp_ne_u32_e32 vcc_lo, v26, v27
	v_cmp_eq_u32_e64 s2, v26, v27
	s_or_b32 s3, vcc_lo, s3
	s_delay_alu instid0(SALU_CYCLE_1) | instskip(NEXT) | instid1(SALU_CYCLE_1)
	s_and_b32 s3, exec_lo, s3
	s_or_b32 s6, s3, s6
	s_and_not1_b32 s17, s17, exec_lo
	s_and_b32 s21, s2, exec_lo
	s_mov_b64 s[2:3], s[22:23]
	s_or_b32 s17, s17, s21
	s_and_not1_b32 exec_lo, exec_lo, s6
	s_cbranch_execnz .LBB1573_54
; %bb.55:
	s_or_b32 exec_lo, exec_lo, s6
	s_xor_b32 s2, s17, -1
.LBB1573_56:
	s_delay_alu instid0(SALU_CYCLE_1)
	s_and_b32 s6, s2, exec_lo
.LBB1573_57:
	s_or_b32 exec_lo, exec_lo, s20
	v_add_nc_u32_e32 v22, 3, v30
	s_mov_b32 s17, exec_lo
	s_delay_alu instid0(VALU_DEP_1)
	v_cmpx_gt_u32_e64 s27, v22
	s_cbranch_execz .LBB1573_63
; %bb.58:
	v_cmp_ne_u32_e32 vcc_lo, 1, v29
	s_mov_b32 s2, 0
	s_cbranch_vccnz .LBB1573_62
; %bb.59:
	v_mul_u64_e32 v[22:23], s[18:19], v[10:11]
	v_mul_u64_e32 v[24:25], s[18:19], v[12:13]
	s_add_nc_u64 s[2:3], s[18:19], -1
	s_mov_b32 s7, 0
                                        ; implicit-def: $sgpr20
	s_wait_kmcnt 0x0
	s_delay_alu instid0(VALU_DEP_2) | instskip(NEXT) | instid1(VALU_DEP_2)
	v_lshl_add_u64 v[22:23], v[22:23], 2, s[8:9]
	v_lshl_add_u64 v[24:25], v[24:25], 2, s[8:9]
.LBB1573_60:                            ; =>This Inner Loop Header: Depth=1
	global_load_b32 v26, v[22:23], off
	global_load_b32 v27, v[24:25], off
	s_cmp_eq_u64 s[2:3], 0
	s_add_nc_u64 s[22:23], s[2:3], -1
	s_cselect_b32 s3, -1, 0
	s_wait_xcnt 0x1
	v_add_nc_u64_e32 v[22:23], 4, v[22:23]
	s_wait_xcnt 0x0
	v_add_nc_u64_e32 v[24:25], 4, v[24:25]
	s_wait_loadcnt 0x0
	v_cmp_ne_u32_e32 vcc_lo, v26, v27
	v_cmp_eq_u32_e64 s2, v26, v27
	s_or_b32 s3, vcc_lo, s3
	s_delay_alu instid0(SALU_CYCLE_1) | instskip(NEXT) | instid1(SALU_CYCLE_1)
	s_and_b32 s3, exec_lo, s3
	s_or_b32 s7, s3, s7
	s_and_not1_b32 s20, s20, exec_lo
	s_and_b32 s21, s2, exec_lo
	s_mov_b64 s[2:3], s[22:23]
	s_or_b32 s20, s20, s21
	s_and_not1_b32 exec_lo, exec_lo, s7
	s_cbranch_execnz .LBB1573_60
; %bb.61:
	s_or_b32 exec_lo, exec_lo, s7
	s_xor_b32 s2, s20, -1
.LBB1573_62:
	s_delay_alu instid0(SALU_CYCLE_1)
	s_and_b32 s7, s2, exec_lo
.LBB1573_63:
	s_or_b32 exec_lo, exec_lo, s17
	v_add_nc_u32_e32 v22, 2, v30
	s_mov_b32 s17, 0
	s_mov_b32 s20, 0
	s_mov_b32 s21, exec_lo
	s_delay_alu instid0(VALU_DEP_1)
	v_cmpx_gt_u32_e64 s27, v22
	s_cbranch_execz .LBB1573_69
; %bb.64:
	v_cmp_ne_u32_e32 vcc_lo, 1, v29
	s_mov_b32 s2, 0
	s_cbranch_vccnz .LBB1573_68
; %bb.65:
	v_mul_u64_e32 v[22:23], s[18:19], v[16:17]
	v_mul_u64_e32 v[24:25], s[18:19], v[10:11]
	s_add_nc_u64 s[2:3], s[18:19], -1
                                        ; implicit-def: $sgpr22
	s_wait_kmcnt 0x0
	s_delay_alu instid0(VALU_DEP_2) | instskip(NEXT) | instid1(VALU_DEP_2)
	v_lshl_add_u64 v[22:23], v[22:23], 2, s[8:9]
	v_lshl_add_u64 v[24:25], v[24:25], 2, s[8:9]
.LBB1573_66:                            ; =>This Inner Loop Header: Depth=1
	global_load_b32 v26, v[22:23], off
	global_load_b32 v27, v[24:25], off
	s_cmp_eq_u64 s[2:3], 0
	s_add_nc_u64 s[30:31], s[2:3], -1
	s_cselect_b32 s3, -1, 0
	s_wait_xcnt 0x1
	v_add_nc_u64_e32 v[22:23], 4, v[22:23]
	s_wait_xcnt 0x0
	v_add_nc_u64_e32 v[24:25], 4, v[24:25]
	s_wait_loadcnt 0x0
	v_cmp_ne_u32_e32 vcc_lo, v26, v27
	v_cmp_eq_u32_e64 s2, v26, v27
	s_or_b32 s3, vcc_lo, s3
	s_delay_alu instid0(SALU_CYCLE_1) | instskip(NEXT) | instid1(SALU_CYCLE_1)
	s_and_b32 s3, exec_lo, s3
	s_or_b32 s20, s3, s20
	s_and_not1_b32 s22, s22, exec_lo
	s_and_b32 s23, s2, exec_lo
	s_mov_b64 s[2:3], s[30:31]
	s_or_b32 s22, s22, s23
	s_and_not1_b32 exec_lo, exec_lo, s20
	s_cbranch_execnz .LBB1573_66
; %bb.67:
	s_or_b32 exec_lo, exec_lo, s20
	s_xor_b32 s2, s22, -1
.LBB1573_68:
	s_delay_alu instid0(SALU_CYCLE_1)
	s_and_b32 s20, s2, exec_lo
.LBB1573_69:
	s_or_b32 exec_lo, exec_lo, s21
	v_add_nc_u32_e32 v22, 1, v30
	s_mov_b32 s21, exec_lo
	s_delay_alu instid0(VALU_DEP_1)
	v_cmpx_gt_u32_e64 s27, v22
	s_cbranch_execz .LBB1573_75
; %bb.70:
	v_cmp_ne_u32_e32 vcc_lo, 1, v29
	s_mov_b32 s2, 0
	s_cbranch_vccnz .LBB1573_74
; %bb.71:
	v_mul_u64_e32 v[22:23], s[18:19], v[14:15]
	v_mul_u64_e32 v[24:25], s[18:19], v[16:17]
	s_add_nc_u64 s[2:3], s[18:19], -1
	s_mov_b32 s17, 0
                                        ; implicit-def: $sgpr22
	s_wait_kmcnt 0x0
	s_delay_alu instid0(VALU_DEP_2) | instskip(NEXT) | instid1(VALU_DEP_2)
	v_lshl_add_u64 v[22:23], v[22:23], 2, s[8:9]
	v_lshl_add_u64 v[24:25], v[24:25], 2, s[8:9]
.LBB1573_72:                            ; =>This Inner Loop Header: Depth=1
	global_load_b32 v26, v[22:23], off
	global_load_b32 v27, v[24:25], off
	s_cmp_eq_u64 s[2:3], 0
	s_add_nc_u64 s[30:31], s[2:3], -1
	s_cselect_b32 s3, -1, 0
	s_wait_xcnt 0x1
	v_add_nc_u64_e32 v[22:23], 4, v[22:23]
	s_wait_xcnt 0x0
	v_add_nc_u64_e32 v[24:25], 4, v[24:25]
	s_wait_loadcnt 0x0
	v_cmp_ne_u32_e32 vcc_lo, v26, v27
	v_cmp_eq_u32_e64 s2, v26, v27
	s_or_b32 s3, vcc_lo, s3
	s_delay_alu instid0(SALU_CYCLE_1) | instskip(NEXT) | instid1(SALU_CYCLE_1)
	s_and_b32 s3, exec_lo, s3
	s_or_b32 s17, s3, s17
	s_and_not1_b32 s22, s22, exec_lo
	s_and_b32 s23, s2, exec_lo
	s_mov_b64 s[2:3], s[30:31]
	s_or_b32 s22, s22, s23
	s_and_not1_b32 exec_lo, exec_lo, s17
	s_cbranch_execnz .LBB1573_72
; %bb.73:
	s_or_b32 exec_lo, exec_lo, s17
	s_xor_b32 s2, s22, -1
.LBB1573_74:
	s_delay_alu instid0(SALU_CYCLE_1)
	s_and_b32 s17, s2, exec_lo
.LBB1573_75:
	s_or_b32 exec_lo, exec_lo, s21
	s_wait_kmcnt 0x0
	v_mov_b64_e32 v[22:23], s[4:5]
	s_mov_b32 s2, 0
	s_mov_b32 s3, exec_lo
	s_barrier_signal -1
	s_barrier_wait -1
	v_cmpx_ne_u32_e32 0, v0
; %bb.76:
	v_add_nc_u32_e32 v22, -8, v31
	ds_load_b64 v[22:23], v22
; %bb.77:
	s_or_b32 exec_lo, exec_lo, s3
	v_cndmask_b32_e64 v24, 0, 1, s7
	v_cndmask_b32_e64 v25, 0, 1, s20
	;; [unrolled: 1-line block ×3, first 2 shown]
	s_mov_b32 s4, exec_lo
	s_delay_alu instid0(VALU_DEP_3) | instskip(NEXT) | instid1(VALU_DEP_2)
	v_lshlrev_b16 v24, 8, v24
	v_lshlrev_b16 v26, 8, v26
	s_delay_alu instid0(VALU_DEP_2) | instskip(NEXT) | instid1(VALU_DEP_2)
	v_or_b32_e32 v24, v25, v24
	v_and_b32_e32 v26, 0xffff, v26
	s_delay_alu instid0(VALU_DEP_2)
	v_lshlrev_b32_e32 v27, 16, v24
	v_cmpx_gt_u32_e64 s27, v30
	s_cbranch_execz .LBB1573_83
; %bb.78:
	v_cmp_ne_u32_e32 vcc_lo, 1, v29
	s_cbranch_vccnz .LBB1573_82
; %bb.79:
	s_wait_dscnt 0x0
	v_mul_u64_e32 v[22:23], s[18:19], v[22:23]
	v_mul_u64_e32 v[24:25], s[18:19], v[14:15]
	s_add_nc_u64 s[2:3], s[18:19], -1
	s_mov_b32 s5, 0
                                        ; implicit-def: $sgpr7
	s_delay_alu instid0(VALU_DEP_2) | instskip(NEXT) | instid1(VALU_DEP_2)
	v_lshl_add_u64 v[22:23], v[22:23], 2, s[8:9]
	v_lshl_add_u64 v[24:25], v[24:25], 2, s[8:9]
.LBB1573_80:                            ; =>This Inner Loop Header: Depth=1
	global_load_b32 v29, v[22:23], off
	global_load_b32 v31, v[24:25], off
	s_cmp_eq_u64 s[2:3], 0
	s_add_nc_u64 s[20:21], s[2:3], -1
	s_cselect_b32 s3, -1, 0
	s_wait_xcnt 0x1
	v_add_nc_u64_e32 v[22:23], 4, v[22:23]
	s_wait_xcnt 0x0
	v_add_nc_u64_e32 v[24:25], 4, v[24:25]
	s_wait_loadcnt 0x0
	v_cmp_ne_u32_e32 vcc_lo, v29, v31
	v_cmp_eq_u32_e64 s2, v29, v31
	s_or_b32 s3, vcc_lo, s3
	s_delay_alu instid0(SALU_CYCLE_1) | instskip(NEXT) | instid1(SALU_CYCLE_1)
	s_and_b32 s3, exec_lo, s3
	s_or_b32 s5, s3, s5
	s_and_not1_b32 s7, s7, exec_lo
	s_and_b32 s17, s2, exec_lo
	s_mov_b64 s[2:3], s[20:21]
	s_or_b32 s7, s7, s17
	s_and_not1_b32 exec_lo, exec_lo, s5
	s_cbranch_execnz .LBB1573_80
; %bb.81:
	s_or_b32 exec_lo, exec_lo, s5
	s_xor_b32 s2, s7, -1
.LBB1573_82:
	s_delay_alu instid0(SALU_CYCLE_1)
	s_and_b32 s2, s2, exec_lo
.LBB1573_83:
	s_or_b32 exec_lo, exec_lo, s4
	v_cndmask_b32_e64 v35, 0, 1, s6
	v_or_b32_e32 v25, v26, v27
.LBB1573_84:
	s_mov_b32 s6, -1
	s_cbranch_execnz .LBB1573_41
.LBB1573_85:
	s_wait_dscnt 0x0
	v_lshlrev_b32_e32 v22, 5, v0
	v_cmp_gt_i64_e64 s7, s[18:19], 0
	s_and_b32 vcc_lo, exec_lo, s25
	v_sub_nc_u32_e32 v31, v28, v22
	ds_store_b64 v31, v[20:21]
	s_cbranch_vccz .LBB1573_96
; %bb.86:
	s_and_not1_b32 vcc_lo, exec_lo, s7
	s_cbranch_vccnz .LBB1573_97
; %bb.87:
	v_mul_u64_e32 v[22:23], s[18:19], v[12:13]
	v_mul_u64_e32 v[24:25], s[18:19], v[20:21]
	s_wait_kmcnt 0x0
	s_add_nc_u64 s[4:5], s[18:19], -1
	s_mov_b32 s20, 0
	s_mov_b64 s[2:3], s[4:5]
                                        ; implicit-def: $sgpr17
	s_delay_alu instid0(VALU_DEP_2) | instskip(NEXT) | instid1(VALU_DEP_2)
	v_lshl_add_u64 v[22:23], v[22:23], 2, s[8:9]
	v_lshl_add_u64 v[24:25], v[24:25], 2, s[8:9]
	s_delay_alu instid0(VALU_DEP_2)
	v_mov_b64_e32 v[26:27], v[22:23]
.LBB1573_88:                            ; =>This Inner Loop Header: Depth=1
	global_load_b32 v28, v[26:27], off
	global_load_b32 v29, v[24:25], off
	s_cmp_eq_u64 s[2:3], 0
	s_add_nc_u64 s[22:23], s[2:3], -1
	s_cselect_b32 s3, -1, 0
	s_wait_xcnt 0x1
	v_add_nc_u64_e32 v[26:27], 4, v[26:27]
	s_wait_xcnt 0x0
	v_add_nc_u64_e32 v[24:25], 4, v[24:25]
	s_wait_loadcnt 0x0
	v_cmp_ne_u32_e32 vcc_lo, v28, v29
	v_cmp_eq_u32_e64 s2, v28, v29
	s_or_b32 s3, vcc_lo, s3
	s_delay_alu instid0(SALU_CYCLE_1) | instskip(NEXT) | instid1(SALU_CYCLE_1)
	s_and_b32 s3, exec_lo, s3
	s_or_b32 s20, s3, s20
	s_and_not1_b32 s17, s17, exec_lo
	s_and_b32 s21, s2, exec_lo
	s_mov_b64 s[2:3], s[22:23]
	s_or_b32 s17, s17, s21
	s_and_not1_b32 exec_lo, exec_lo, s20
	s_cbranch_execnz .LBB1573_88
; %bb.89:
	s_or_b32 exec_lo, exec_lo, s20
	v_mul_u64_e32 v[24:25], s[18:19], v[10:11]
	s_mov_b32 s21, 0
	s_mov_b64 s[2:3], s[4:5]
                                        ; implicit-def: $sgpr20
	s_delay_alu instid0(VALU_DEP_1) | instskip(NEXT) | instid1(VALU_DEP_1)
	v_lshl_add_u64 v[24:25], v[24:25], 2, s[8:9]
	v_mov_b64_e32 v[26:27], v[24:25]
.LBB1573_90:                            ; =>This Inner Loop Header: Depth=1
	global_load_b32 v28, v[26:27], off
	global_load_b32 v29, v[22:23], off
	s_cmp_eq_u64 s[2:3], 0
	s_add_nc_u64 s[22:23], s[2:3], -1
	s_cselect_b32 s3, -1, 0
	s_wait_xcnt 0x1
	v_add_nc_u64_e32 v[26:27], 4, v[26:27]
	s_wait_xcnt 0x0
	v_add_nc_u64_e32 v[22:23], 4, v[22:23]
	s_wait_loadcnt 0x0
	v_cmp_ne_u32_e32 vcc_lo, v28, v29
	v_cmp_eq_u32_e64 s2, v28, v29
	s_or_b32 s3, vcc_lo, s3
	s_delay_alu instid0(SALU_CYCLE_1) | instskip(NEXT) | instid1(SALU_CYCLE_1)
	s_and_b32 s3, exec_lo, s3
	s_or_b32 s21, s3, s21
	s_and_not1_b32 s20, s20, exec_lo
	s_and_b32 s29, s2, exec_lo
	s_mov_b64 s[2:3], s[22:23]
	s_or_b32 s20, s20, s29
	s_and_not1_b32 exec_lo, exec_lo, s21
	s_cbranch_execnz .LBB1573_90
; %bb.91:
	s_or_b32 exec_lo, exec_lo, s21
	v_mul_u64_e32 v[22:23], s[18:19], v[16:17]
	s_mov_b32 s22, 0
	s_mov_b64 s[2:3], s[4:5]
                                        ; implicit-def: $sgpr21
	s_delay_alu instid0(VALU_DEP_1) | instskip(NEXT) | instid1(VALU_DEP_1)
	v_lshl_add_u64 v[22:23], v[22:23], 2, s[8:9]
	v_mov_b64_e32 v[26:27], v[22:23]
.LBB1573_92:                            ; =>This Inner Loop Header: Depth=1
	global_load_b32 v28, v[26:27], off
	global_load_b32 v29, v[24:25], off
	s_cmp_eq_u64 s[2:3], 0
	s_add_nc_u64 s[30:31], s[2:3], -1
	s_cselect_b32 s3, -1, 0
	s_wait_xcnt 0x1
	v_add_nc_u64_e32 v[26:27], 4, v[26:27]
	s_wait_xcnt 0x0
	v_add_nc_u64_e32 v[24:25], 4, v[24:25]
	s_wait_loadcnt 0x0
	v_cmp_ne_u32_e32 vcc_lo, v28, v29
	v_cmp_eq_u32_e64 s2, v28, v29
	s_or_b32 s3, vcc_lo, s3
	s_delay_alu instid0(SALU_CYCLE_1) | instskip(NEXT) | instid1(SALU_CYCLE_1)
	s_and_b32 s3, exec_lo, s3
	s_or_b32 s22, s3, s22
	s_and_not1_b32 s21, s21, exec_lo
	s_and_b32 s23, s2, exec_lo
	s_mov_b64 s[2:3], s[30:31]
	s_or_b32 s21, s21, s23
	s_and_not1_b32 exec_lo, exec_lo, s22
	s_cbranch_execnz .LBB1573_92
; %bb.93:
	s_or_b32 exec_lo, exec_lo, s22
	v_mul_u64_e32 v[24:25], s[18:19], v[14:15]
	s_mov_b32 s22, 0
                                        ; implicit-def: $sgpr3
	s_delay_alu instid0(VALU_DEP_1)
	v_lshl_add_u64 v[24:25], v[24:25], 2, s[8:9]
.LBB1573_94:                            ; =>This Inner Loop Header: Depth=1
	global_load_b32 v26, v[24:25], off
	global_load_b32 v27, v[22:23], off
	s_cmp_eq_u64 s[4:5], 0
	s_add_nc_u64 s[30:31], s[4:5], -1
	s_cselect_b32 s4, -1, 0
	s_wait_xcnt 0x1
	v_add_nc_u64_e32 v[24:25], 4, v[24:25]
	s_wait_xcnt 0x0
	v_add_nc_u64_e32 v[22:23], 4, v[22:23]
	s_wait_loadcnt 0x0
	v_cmp_ne_u32_e32 vcc_lo, v26, v27
	v_cmp_eq_u32_e64 s2, v26, v27
	s_or_b32 s4, vcc_lo, s4
	s_delay_alu instid0(SALU_CYCLE_1) | instskip(NEXT) | instid1(SALU_CYCLE_1)
	s_and_b32 s4, exec_lo, s4
	s_or_b32 s22, s4, s22
	s_and_not1_b32 s3, s3, exec_lo
	s_and_b32 s2, s2, exec_lo
	s_mov_b64 s[4:5], s[30:31]
	s_or_b32 s3, s3, s2
	s_and_not1_b32 exec_lo, exec_lo, s22
	s_cbranch_execnz .LBB1573_94
; %bb.95:
	s_or_b32 exec_lo, exec_lo, s22
	s_xor_b32 s2, s20, -1
	s_delay_alu instid0(SALU_CYCLE_1) | instskip(SKIP_1) | instid1(SALU_CYCLE_1)
	v_cndmask_b32_e64 v22, 0, 1, s2
	s_xor_b32 s2, s21, -1
	v_cndmask_b32_e64 v23, 0, 1, s2
	s_xor_b32 s2, s17, -1
	s_delay_alu instid0(VALU_DEP_2) | instskip(SKIP_2) | instid1(VALU_DEP_2)
	v_lshlrev_b16 v22, 8, v22
	v_cndmask_b32_e64 v35, 0, 1, s2
	s_xor_b32 s2, s3, -1
	v_lshrrev_b32_e32 v22, 8, v22
	s_delay_alu instid0(VALU_DEP_1) | instskip(NEXT) | instid1(VALU_DEP_1)
	v_lshlrev_b16 v22, 8, v22
	v_or_b32_e32 v22, v23, v22
	s_delay_alu instid0(VALU_DEP_1)
	v_lshlrev_b32_e32 v22, 16, v22
	s_branch .LBB1573_98
.LBB1573_96:
	s_wait_kmcnt 0x0
                                        ; implicit-def: $sgpr2
                                        ; implicit-def: $vgpr35
                                        ; implicit-def: $vgpr25
                                        ; implicit-def: $vgpr24
                                        ; implicit-def: $vgpr23
                                        ; implicit-def: $vgpr36
                                        ; implicit-def: $vgpr22
	s_cbranch_execnz .LBB1573_105
	s_branch .LBB1573_138
.LBB1573_97:
	v_dual_mov_b32 v22, 0 :: v_dual_mov_b32 v35, 0
	s_mov_b32 s2, 0
.LBB1573_98:
	s_delay_alu instid0(VALU_DEP_1)
	v_dual_lshrrev_b32 v36, 16, v22 :: v_dual_lshrrev_b32 v22, 24, v22
	v_cndmask_b32_e64 v23, 0, 1, s2
	v_mov_b32_e32 v24, 1
	s_wait_kmcnt 0x0
	s_mov_b32 s4, 0
	s_wait_dscnt 0x0
	s_barrier_signal -1
	s_barrier_wait -1
                                        ; implicit-def: $sgpr2
                                        ; implicit-def: $vgpr25
	s_mov_b32 s3, exec_lo
	v_cmpx_ne_u32_e32 0, v0
	s_xor_b32 s5, exec_lo, s3
	s_cbranch_execz .LBB1573_104
; %bb.99:
	v_lshlrev_b16 v25, 8, v22
	v_lshlrev_b16 v26, 8, v23
	s_and_not1_b32 vcc_lo, exec_lo, s7
	s_mov_b32 s2, 0
	s_delay_alu instid0(VALU_DEP_2) | instskip(NEXT) | instid1(VALU_DEP_1)
	v_bitop3_b16 v25, v36, v25, 0xff bitop3:0xec
	v_dual_lshlrev_b32 v25, 16, v25 :: v_dual_bitop2_b32 v26, 1, v26 bitop3:0x54
	s_delay_alu instid0(VALU_DEP_1) | instskip(NEXT) | instid1(VALU_DEP_1)
	v_and_b32_e32 v26, 0xffff, v26
	v_or_b32_e32 v25, v26, v25
	s_cbranch_vccnz .LBB1573_103
; %bb.100:
	v_add_nc_u32_e32 v26, -8, v31
	v_mul_u64_e32 v[28:29], s[18:19], v[14:15]
	s_add_nc_u64 s[2:3], s[18:19], -1
	s_mov_b32 s17, 0
                                        ; implicit-def: $sgpr20
	ds_load_b64 v[26:27], v26
	s_wait_dscnt 0x0
	v_mul_u64_e32 v[26:27], s[18:19], v[26:27]
	v_lshl_add_u64 v[28:29], v[28:29], 2, s[8:9]
	s_delay_alu instid0(VALU_DEP_2)
	v_lshl_add_u64 v[26:27], v[26:27], 2, s[8:9]
.LBB1573_101:                           ; =>This Inner Loop Header: Depth=1
	global_load_b32 v32, v[26:27], off
	global_load_b32 v33, v[28:29], off
	s_cmp_eq_u64 s[2:3], 0
	s_add_nc_u64 s[22:23], s[2:3], -1
	s_cselect_b32 s3, -1, 0
	s_wait_xcnt 0x1
	v_add_nc_u64_e32 v[26:27], 4, v[26:27]
	s_wait_xcnt 0x0
	v_add_nc_u64_e32 v[28:29], 4, v[28:29]
	s_wait_loadcnt 0x0
	v_cmp_ne_u32_e32 vcc_lo, v32, v33
	v_cmp_eq_u32_e64 s2, v32, v33
	s_or_b32 s3, vcc_lo, s3
	s_delay_alu instid0(SALU_CYCLE_1) | instskip(NEXT) | instid1(SALU_CYCLE_1)
	s_and_b32 s3, exec_lo, s3
	s_or_b32 s17, s3, s17
	s_and_not1_b32 s20, s20, exec_lo
	s_and_b32 s21, s2, exec_lo
	s_mov_b64 s[2:3], s[22:23]
	s_or_b32 s20, s20, s21
	s_and_not1_b32 exec_lo, exec_lo, s17
	s_cbranch_execnz .LBB1573_101
; %bb.102:
	s_or_b32 exec_lo, exec_lo, s17
	s_xor_b32 s2, s20, -1
.LBB1573_103:
	s_delay_alu instid0(VALU_DEP_1)
	v_perm_b32 v25, v25, v25, 0x3020104
	s_or_b32 s6, s6, exec_lo
.LBB1573_104:
	s_or_b32 exec_lo, exec_lo, s5
	s_delay_alu instid0(SALU_CYCLE_1)
	s_and_b32 vcc_lo, exec_lo, s4
	s_cbranch_vccz .LBB1573_138
.LBB1573_105:
	v_add_nc_u32_e32 v22, 4, v30
	s_mov_b32 s4, 0
	s_mov_b32 s5, 0
	s_mov_b32 s17, exec_lo
	s_delay_alu instid0(VALU_DEP_1)
	v_cmpx_gt_u32_e64 s27, v22
	s_cbranch_execz .LBB1573_111
; %bb.106:
	s_and_not1_b32 vcc_lo, exec_lo, s7
	s_mov_b32 s2, 0
	s_cbranch_vccnz .LBB1573_110
; %bb.107:
	v_mul_u64_e32 v[22:23], s[18:19], v[12:13]
	v_mul_u64_e32 v[24:25], s[18:19], v[20:21]
	s_add_nc_u64 s[2:3], s[18:19], -1
                                        ; implicit-def: $sgpr20
	s_delay_alu instid0(VALU_DEP_2) | instskip(NEXT) | instid1(VALU_DEP_2)
	v_lshl_add_u64 v[22:23], v[22:23], 2, s[8:9]
	v_lshl_add_u64 v[24:25], v[24:25], 2, s[8:9]
.LBB1573_108:                           ; =>This Inner Loop Header: Depth=1
	global_load_b32 v26, v[22:23], off
	global_load_b32 v27, v[24:25], off
	s_cmp_eq_u64 s[2:3], 0
	s_add_nc_u64 s[22:23], s[2:3], -1
	s_cselect_b32 s3, -1, 0
	s_wait_xcnt 0x1
	v_add_nc_u64_e32 v[22:23], 4, v[22:23]
	s_wait_xcnt 0x0
	v_add_nc_u64_e32 v[24:25], 4, v[24:25]
	s_wait_loadcnt 0x0
	v_cmp_ne_u32_e32 vcc_lo, v26, v27
	v_cmp_eq_u32_e64 s2, v26, v27
	s_or_b32 s3, vcc_lo, s3
	s_delay_alu instid0(SALU_CYCLE_1) | instskip(NEXT) | instid1(SALU_CYCLE_1)
	s_and_b32 s3, exec_lo, s3
	s_or_b32 s5, s3, s5
	s_and_not1_b32 s20, s20, exec_lo
	s_and_b32 s21, s2, exec_lo
	s_mov_b64 s[2:3], s[22:23]
	s_or_b32 s20, s20, s21
	s_and_not1_b32 exec_lo, exec_lo, s5
	s_cbranch_execnz .LBB1573_108
; %bb.109:
	s_or_b32 exec_lo, exec_lo, s5
	s_xor_b32 s2, s20, -1
.LBB1573_110:
	s_delay_alu instid0(SALU_CYCLE_1)
	s_and_b32 s5, s2, exec_lo
.LBB1573_111:
	s_or_b32 exec_lo, exec_lo, s17
	v_add_nc_u32_e32 v22, 3, v30
	s_mov_b32 s17, exec_lo
	s_delay_alu instid0(VALU_DEP_1)
	v_cmpx_gt_u32_e64 s27, v22
	s_cbranch_execz .LBB1573_117
; %bb.112:
	s_and_not1_b32 vcc_lo, exec_lo, s7
	s_mov_b32 s2, 0
	s_cbranch_vccnz .LBB1573_116
; %bb.113:
	v_mul_u64_e32 v[22:23], s[18:19], v[10:11]
	v_mul_u64_e32 v[24:25], s[18:19], v[12:13]
	s_add_nc_u64 s[2:3], s[18:19], -1
	s_mov_b32 s4, 0
                                        ; implicit-def: $sgpr20
	s_delay_alu instid0(VALU_DEP_2) | instskip(NEXT) | instid1(VALU_DEP_2)
	v_lshl_add_u64 v[22:23], v[22:23], 2, s[8:9]
	v_lshl_add_u64 v[24:25], v[24:25], 2, s[8:9]
.LBB1573_114:                           ; =>This Inner Loop Header: Depth=1
	global_load_b32 v26, v[22:23], off
	global_load_b32 v27, v[24:25], off
	s_cmp_eq_u64 s[2:3], 0
	s_add_nc_u64 s[22:23], s[2:3], -1
	s_cselect_b32 s3, -1, 0
	s_wait_xcnt 0x1
	v_add_nc_u64_e32 v[22:23], 4, v[22:23]
	s_wait_xcnt 0x0
	v_add_nc_u64_e32 v[24:25], 4, v[24:25]
	s_wait_loadcnt 0x0
	v_cmp_ne_u32_e32 vcc_lo, v26, v27
	v_cmp_eq_u32_e64 s2, v26, v27
	s_or_b32 s3, vcc_lo, s3
	s_delay_alu instid0(SALU_CYCLE_1) | instskip(NEXT) | instid1(SALU_CYCLE_1)
	s_and_b32 s3, exec_lo, s3
	s_or_b32 s4, s3, s4
	s_and_not1_b32 s20, s20, exec_lo
	s_and_b32 s21, s2, exec_lo
	s_mov_b64 s[2:3], s[22:23]
	s_or_b32 s20, s20, s21
	s_and_not1_b32 exec_lo, exec_lo, s4
	s_cbranch_execnz .LBB1573_114
; %bb.115:
	s_or_b32 exec_lo, exec_lo, s4
	s_xor_b32 s2, s20, -1
.LBB1573_116:
	s_delay_alu instid0(SALU_CYCLE_1)
	s_and_b32 s4, s2, exec_lo
.LBB1573_117:
	s_or_b32 exec_lo, exec_lo, s17
	v_add_nc_u32_e32 v22, 2, v30
	s_mov_b32 s17, 0
	s_mov_b32 s20, 0
	s_mov_b32 s21, exec_lo
	s_delay_alu instid0(VALU_DEP_1)
	v_cmpx_gt_u32_e64 s27, v22
	s_cbranch_execz .LBB1573_123
; %bb.118:
	s_and_not1_b32 vcc_lo, exec_lo, s7
	s_mov_b32 s2, 0
	s_cbranch_vccnz .LBB1573_122
; %bb.119:
	v_mul_u64_e32 v[22:23], s[18:19], v[16:17]
	v_mul_u64_e32 v[24:25], s[18:19], v[10:11]
	s_add_nc_u64 s[2:3], s[18:19], -1
                                        ; implicit-def: $sgpr22
	s_delay_alu instid0(VALU_DEP_2) | instskip(NEXT) | instid1(VALU_DEP_2)
	v_lshl_add_u64 v[22:23], v[22:23], 2, s[8:9]
	v_lshl_add_u64 v[24:25], v[24:25], 2, s[8:9]
.LBB1573_120:                           ; =>This Inner Loop Header: Depth=1
	global_load_b32 v26, v[22:23], off
	global_load_b32 v27, v[24:25], off
	s_cmp_eq_u64 s[2:3], 0
	s_add_nc_u64 s[30:31], s[2:3], -1
	s_cselect_b32 s3, -1, 0
	s_wait_xcnt 0x1
	v_add_nc_u64_e32 v[22:23], 4, v[22:23]
	s_wait_xcnt 0x0
	v_add_nc_u64_e32 v[24:25], 4, v[24:25]
	s_wait_loadcnt 0x0
	v_cmp_ne_u32_e32 vcc_lo, v26, v27
	v_cmp_eq_u32_e64 s2, v26, v27
	s_or_b32 s3, vcc_lo, s3
	s_delay_alu instid0(SALU_CYCLE_1) | instskip(NEXT) | instid1(SALU_CYCLE_1)
	s_and_b32 s3, exec_lo, s3
	s_or_b32 s20, s3, s20
	s_and_not1_b32 s22, s22, exec_lo
	s_and_b32 s23, s2, exec_lo
	s_mov_b64 s[2:3], s[30:31]
	s_or_b32 s22, s22, s23
	s_and_not1_b32 exec_lo, exec_lo, s20
	s_cbranch_execnz .LBB1573_120
; %bb.121:
	s_or_b32 exec_lo, exec_lo, s20
	s_xor_b32 s2, s22, -1
.LBB1573_122:
	s_delay_alu instid0(SALU_CYCLE_1)
	s_and_b32 s20, s2, exec_lo
.LBB1573_123:
	s_or_b32 exec_lo, exec_lo, s21
	v_add_nc_u32_e32 v22, 1, v30
	s_mov_b32 s21, exec_lo
	s_delay_alu instid0(VALU_DEP_1)
	v_cmpx_gt_u32_e64 s27, v22
	s_cbranch_execz .LBB1573_129
; %bb.124:
	s_and_not1_b32 vcc_lo, exec_lo, s7
	s_mov_b32 s2, 0
	s_cbranch_vccnz .LBB1573_128
; %bb.125:
	v_mul_u64_e32 v[22:23], s[18:19], v[14:15]
	v_mul_u64_e32 v[24:25], s[18:19], v[16:17]
	s_add_nc_u64 s[2:3], s[18:19], -1
	s_mov_b32 s17, 0
                                        ; implicit-def: $sgpr22
	s_delay_alu instid0(VALU_DEP_2) | instskip(NEXT) | instid1(VALU_DEP_2)
	v_lshl_add_u64 v[22:23], v[22:23], 2, s[8:9]
	v_lshl_add_u64 v[24:25], v[24:25], 2, s[8:9]
.LBB1573_126:                           ; =>This Inner Loop Header: Depth=1
	global_load_b32 v26, v[22:23], off
	global_load_b32 v27, v[24:25], off
	s_cmp_eq_u64 s[2:3], 0
	s_add_nc_u64 s[30:31], s[2:3], -1
	s_cselect_b32 s3, -1, 0
	s_wait_xcnt 0x1
	v_add_nc_u64_e32 v[22:23], 4, v[22:23]
	s_wait_xcnt 0x0
	v_add_nc_u64_e32 v[24:25], 4, v[24:25]
	s_wait_loadcnt 0x0
	v_cmp_ne_u32_e32 vcc_lo, v26, v27
	v_cmp_eq_u32_e64 s2, v26, v27
	s_or_b32 s3, vcc_lo, s3
	s_delay_alu instid0(SALU_CYCLE_1) | instskip(NEXT) | instid1(SALU_CYCLE_1)
	s_and_b32 s3, exec_lo, s3
	s_or_b32 s17, s3, s17
	s_and_not1_b32 s22, s22, exec_lo
	s_and_b32 s23, s2, exec_lo
	s_mov_b64 s[2:3], s[30:31]
	s_or_b32 s22, s22, s23
	s_and_not1_b32 exec_lo, exec_lo, s17
	s_cbranch_execnz .LBB1573_126
; %bb.127:
	s_or_b32 exec_lo, exec_lo, s17
	s_xor_b32 s2, s22, -1
.LBB1573_128:
	s_delay_alu instid0(SALU_CYCLE_1)
	s_and_b32 s17, s2, exec_lo
.LBB1573_129:
	s_or_b32 exec_lo, exec_lo, s21
	v_cndmask_b32_e64 v35, 0, 1, s5
	v_cndmask_b32_e64 v36, 0, 1, s20
	;; [unrolled: 1-line block ×4, first 2 shown]
	v_mov_b32_e32 v24, 1
	s_mov_b32 s2, 0
	s_mov_b32 s4, exec_lo
	s_wait_dscnt 0x0
	s_barrier_signal -1
	s_barrier_wait -1
                                        ; implicit-def: $vgpr25
	v_cmpx_ne_u32_e32 0, v0
	s_cbranch_execz .LBB1573_137
; %bb.130:
	v_lshlrev_b16 v25, 8, v23
	v_lshlrev_b16 v26, 8, v22
	s_mov_b32 s5, exec_lo
	s_delay_alu instid0(VALU_DEP_1) | instskip(NEXT) | instid1(VALU_DEP_1)
	v_or_b32_e32 v26, v36, v26
	v_dual_lshlrev_b32 v26, 16, v26 :: v_dual_bitop2_b32 v25, 1, v25 bitop3:0x54
	s_delay_alu instid0(VALU_DEP_1) | instskip(NEXT) | instid1(VALU_DEP_1)
	v_and_b32_e32 v25, 0xffff, v25
	v_or_b32_e32 v25, v25, v26
	v_cmpx_gt_u32_e64 s27, v30
	s_cbranch_execz .LBB1573_136
; %bb.131:
	s_and_not1_b32 vcc_lo, exec_lo, s7
	s_cbranch_vccnz .LBB1573_135
; %bb.132:
	v_add_nc_u32_e32 v26, -8, v31
	v_mul_u64_e32 v[28:29], s[18:19], v[14:15]
	s_add_nc_u64 s[2:3], s[18:19], -1
	s_mov_b32 s7, 0
	ds_load_b64 v[26:27], v26
	s_wait_dscnt 0x0
	v_mul_u64_e32 v[26:27], s[18:19], v[26:27]
	v_lshl_add_u64 v[28:29], v[28:29], 2, s[8:9]
	s_delay_alu instid0(VALU_DEP_2)
	v_lshl_add_u64 v[26:27], v[26:27], 2, s[8:9]
                                        ; implicit-def: $sgpr8
.LBB1573_133:                           ; =>This Inner Loop Header: Depth=1
	global_load_b32 v31, v[26:27], off
	global_load_b32 v32, v[28:29], off
	s_cmp_eq_u64 s[2:3], 0
	s_add_nc_u64 s[18:19], s[2:3], -1
	s_cselect_b32 s3, -1, 0
	s_wait_xcnt 0x1
	v_add_nc_u64_e32 v[26:27], 4, v[26:27]
	s_wait_xcnt 0x0
	v_add_nc_u64_e32 v[28:29], 4, v[28:29]
	s_wait_loadcnt 0x0
	v_cmp_ne_u32_e32 vcc_lo, v31, v32
	v_cmp_eq_u32_e64 s2, v31, v32
	s_or_b32 s3, vcc_lo, s3
	s_delay_alu instid0(SALU_CYCLE_1) | instskip(NEXT) | instid1(SALU_CYCLE_1)
	s_and_b32 s3, exec_lo, s3
	s_or_b32 s7, s3, s7
	s_and_not1_b32 s8, s8, exec_lo
	s_and_b32 s9, s2, exec_lo
	s_mov_b64 s[2:3], s[18:19]
	s_or_b32 s8, s8, s9
	s_and_not1_b32 exec_lo, exec_lo, s7
	s_cbranch_execnz .LBB1573_133
; %bb.134:
	s_or_b32 exec_lo, exec_lo, s7
	s_xor_b32 s2, s8, -1
.LBB1573_135:
	s_delay_alu instid0(SALU_CYCLE_1)
	s_and_b32 s2, s2, exec_lo
.LBB1573_136:
	s_or_b32 exec_lo, exec_lo, s5
	s_delay_alu instid0(VALU_DEP_2)
	v_perm_b32 v25, v25, v25, 0x3020104
	s_or_b32 s6, s6, exec_lo
.LBB1573_137:
	s_or_b32 exec_lo, exec_lo, s4
.LBB1573_138:
	s_and_saveexec_b32 s3, s6
	s_cbranch_execz .LBB1573_140
; %bb.139:
	s_wait_dscnt 0x0
	v_dual_lshrrev_b32 v22, 24, v25 :: v_dual_lshrrev_b32 v36, 16, v25
	v_lshrrev_b32_e32 v23, 8, v25
	v_cndmask_b32_e64 v24, 0, 1, s2
.LBB1573_140:
	s_or_b32 exec_lo, exec_lo, s3
	s_delay_alu instid0(SALU_CYCLE_1)
	s_and_not1_b32 vcc_lo, exec_lo, s28
	s_cbranch_vccnz .LBB1573_144
; %bb.141:
	s_wait_dscnt 0x0
	v_perm_b32 v23, v24, v23, 0xc0c0004
	v_perm_b32 v22, v36, v22, 0xc0c0004
	v_cmp_gt_u32_e32 vcc_lo, s27, v30
	v_dual_add_nc_u32 v24, 1, v30 :: v_dual_add_nc_u32 v26, 4, v30
	v_and_b32_e32 v35, 0xff, v35
	s_delay_alu instid0(VALU_DEP_4) | instskip(SKIP_1) | instid1(VALU_DEP_2)
	v_lshl_or_b32 v22, v22, 16, v23
	s_mov_b32 s2, exec_lo
	v_and_b32_e32 v25, 0xffff, v35
	s_delay_alu instid0(VALU_DEP_2) | instskip(SKIP_2) | instid1(VALU_DEP_3)
	v_cndmask_b32_e32 v23, 0, v22, vcc_lo
	v_cmp_gt_u32_e32 vcc_lo, s27, v24
	v_add_nc_u32_e32 v24, 2, v30
	v_and_b32_e32 v23, 0xff, v23
	s_delay_alu instid0(VALU_DEP_1) | instskip(NEXT) | instid1(VALU_DEP_3)
	v_cndmask_b32_e32 v23, v23, v22, vcc_lo
	v_cmp_gt_u32_e32 vcc_lo, s27, v24
	v_add_nc_u32_e32 v24, 3, v30
	s_delay_alu instid0(VALU_DEP_3) | instskip(NEXT) | instid1(VALU_DEP_1)
	v_and_b32_e32 v23, 0xffff, v23
	v_cndmask_b32_e32 v23, v23, v22, vcc_lo
	s_delay_alu instid0(VALU_DEP_3) | instskip(NEXT) | instid1(VALU_DEP_2)
	v_cmp_gt_u32_e32 vcc_lo, s27, v24
	v_and_b32_e32 v23, 0xffffff, v23
	s_delay_alu instid0(VALU_DEP_1) | instskip(NEXT) | instid1(VALU_DEP_1)
	v_cndmask_b32_e32 v24, v23, v22, vcc_lo
	v_lshrrev_b64 v[22:23], 24, v[24:25]
	v_dual_lshrrev_b32 v36, 16, v24 :: v_dual_lshrrev_b32 v23, 8, v24
	v_cmpx_le_u32_e64 s27, v26
; %bb.142:
	v_mov_b32_e32 v35, 0
; %bb.143:
	s_or_b32 exec_lo, exec_lo, s2
.LBB1573_144:
	s_delay_alu instid0(VALU_DEP_1)
	v_and_b32_e32 v25, 0xff, v24
	s_wait_dscnt 0x0
	v_and_b32_e32 v37, 0xff, v23
	v_and_b32_e32 v38, 0xff, v36
	v_mbcnt_lo_u32_b32 v40, -1, 0
	v_and_b32_e32 v39, 0xff, v22
	v_and_b32_e32 v26, 0xff, v35
	s_wait_kmcnt 0x0
	v_readfirstlane_b32 s8, v0
	v_add3_u32 v27, v37, v25, v38
	v_and_b32_e32 v28, 15, v40
	s_and_b32 vcc_lo, exec_lo, s16
	v_lshrrev_b32_e32 v41, 5, v0
	s_mov_b32 s9, -1
	v_add3_u32 v42, v27, v39, v26
	v_and_b32_e32 v26, 16, v40
	v_or_b32_e32 v27, 31, v0
	v_cmp_eq_u32_e64 s4, 0, v28
	v_cmp_lt_u32_e64 s6, 1, v28
	v_cmp_lt_u32_e64 s7, 3, v28
	;; [unrolled: 1-line block ×3, first 2 shown]
	v_cmp_eq_u32_e64 s3, 0, v26
	v_cmp_eq_u32_e64 s2, v0, v27
	s_barrier_signal -1
	s_barrier_wait -1
                                        ; implicit-def: $vgpr28
                                        ; implicit-def: $vgpr29
                                        ; implicit-def: $vgpr30
                                        ; implicit-def: $vgpr31
                                        ; implicit-def: $vgpr32
                                        ; implicit-def: $vgpr26
	s_cbranch_vccz .LBB1573_171
; %bb.145:
	v_mov_b32_dpp v26, v42 row_shr:1 row_mask:0xf bank_mask:0xf
	s_delay_alu instid0(VALU_DEP_1) | instskip(NEXT) | instid1(VALU_DEP_1)
	v_cndmask_b32_e64 v26, v26, 0, s4
	v_add_nc_u32_e32 v26, v26, v42
	s_delay_alu instid0(VALU_DEP_1) | instskip(NEXT) | instid1(VALU_DEP_1)
	v_mov_b32_dpp v27, v26 row_shr:2 row_mask:0xf bank_mask:0xf
	v_cndmask_b32_e64 v27, 0, v27, s6
	s_delay_alu instid0(VALU_DEP_1) | instskip(NEXT) | instid1(VALU_DEP_1)
	v_add_nc_u32_e32 v26, v26, v27
	v_mov_b32_dpp v27, v26 row_shr:4 row_mask:0xf bank_mask:0xf
	s_delay_alu instid0(VALU_DEP_1) | instskip(NEXT) | instid1(VALU_DEP_1)
	v_cndmask_b32_e64 v27, 0, v27, s7
	v_add_nc_u32_e32 v26, v26, v27
	s_delay_alu instid0(VALU_DEP_1) | instskip(NEXT) | instid1(VALU_DEP_1)
	v_mov_b32_dpp v27, v26 row_shr:8 row_mask:0xf bank_mask:0xf
	v_cndmask_b32_e64 v27, 0, v27, s5
	s_delay_alu instid0(VALU_DEP_1) | instskip(SKIP_3) | instid1(VALU_DEP_1)
	v_add_nc_u32_e32 v26, v26, v27
	ds_swizzle_b32 v27, v26 offset:swizzle(BROADCAST,32,15)
	s_wait_dscnt 0x0
	v_cndmask_b32_e64 v27, v27, 0, s3
	v_add_nc_u32_e32 v26, v26, v27
	s_and_saveexec_b32 s8, s2
; %bb.146:
	v_lshlrev_b32_e32 v27, 2, v41
	ds_store_b32 v27, v26
; %bb.147:
	s_or_b32 exec_lo, exec_lo, s8
	s_delay_alu instid0(SALU_CYCLE_1)
	s_mov_b32 s8, exec_lo
	s_wait_dscnt 0x0
	s_barrier_signal -1
	s_barrier_wait -1
	v_cmpx_gt_u32_e32 4, v0
	s_cbranch_execz .LBB1573_149
; %bb.148:
	v_and_b32_e32 v29, 3, v40
	s_delay_alu instid0(VALU_DEP_1) | instskip(SKIP_4) | instid1(VALU_DEP_1)
	v_cmp_ne_u32_e32 vcc_lo, 0, v29
	v_lshlrev_b32_e32 v27, 2, v0
	ds_load_b32 v28, v27
	s_wait_dscnt 0x0
	v_mov_b32_dpp v30, v28 row_shr:1 row_mask:0xf bank_mask:0xf
	v_cndmask_b32_e32 v30, 0, v30, vcc_lo
	v_cmp_lt_u32_e32 vcc_lo, 1, v29
	s_delay_alu instid0(VALU_DEP_2) | instskip(NEXT) | instid1(VALU_DEP_1)
	v_add_nc_u32_e32 v28, v30, v28
	v_mov_b32_dpp v30, v28 row_shr:2 row_mask:0xf bank_mask:0xf
	s_delay_alu instid0(VALU_DEP_1) | instskip(NEXT) | instid1(VALU_DEP_1)
	v_cndmask_b32_e32 v29, 0, v30, vcc_lo
	v_add_nc_u32_e32 v28, v28, v29
	ds_store_b32 v27, v28
.LBB1573_149:
	s_or_b32 exec_lo, exec_lo, s8
	s_delay_alu instid0(SALU_CYCLE_1)
	s_mov_b32 s9, exec_lo
	v_cmp_gt_u32_e32 vcc_lo, 32, v0
	s_wait_dscnt 0x0
	s_barrier_signal -1
	s_barrier_wait -1
                                        ; implicit-def: $vgpr43
	v_cmpx_lt_u32_e32 31, v0
	s_cbranch_execz .LBB1573_151
; %bb.150:
	v_lshl_add_u32 v27, v41, 2, -4
	ds_load_b32 v43, v27
	s_wait_dscnt 0x0
	v_add_nc_u32_e32 v26, v43, v26
.LBB1573_151:
	s_or_b32 exec_lo, exec_lo, s9
	v_sub_co_u32 v27, s8, v40, 1
	s_delay_alu instid0(VALU_DEP_1) | instskip(NEXT) | instid1(VALU_DEP_1)
	v_cmp_gt_i32_e64 s9, 0, v27
	v_cndmask_b32_e64 v27, v27, v40, s9
	s_delay_alu instid0(VALU_DEP_1)
	v_lshlrev_b32_e32 v27, 2, v27
	ds_bpermute_b32 v44, v27, v26
	s_and_saveexec_b32 s9, vcc_lo
	s_cbranch_execz .LBB1573_170
; %bb.152:
	v_mov_b32_e32 v33, 0
	ds_load_b32 v26, v33 offset:12
	s_and_saveexec_b32 s16, s8
	s_cbranch_execz .LBB1573_154
; %bb.153:
	s_add_co_i32 s17, s26, 32
	s_delay_alu instid0(SALU_CYCLE_1)
	v_dual_mov_b32 v27, 1 :: v_dual_mov_b32 v28, s17
	s_wait_dscnt 0x0
	global_store_b64 v28, v[26:27], s[10:11] scale_offset scope:SCOPE_DEV
.LBB1573_154:
	s_wait_xcnt 0x0
	s_or_b32 exec_lo, exec_lo, s16
	v_xad_u32 v28, v40, -1, s26
	s_mov_b32 s17, 0
	s_mov_b32 s16, exec_lo
	s_delay_alu instid0(VALU_DEP_1) | instskip(SKIP_4) | instid1(VALU_DEP_1)
	v_add_nc_u32_e32 v32, 32, v28
	global_load_b64 v[30:31], v32, s[10:11] scale_offset scope:SCOPE_DEV
	s_wait_loadcnt 0x0
	v_and_b32_e32 v27, 0xff, v31
	s_wait_xcnt 0x0
	v_cmpx_eq_u16_e32 0, v27
	s_cbranch_execz .LBB1573_158
; %bb.155:
	v_lshl_add_u64 v[32:33], v[32:33], 3, s[10:11]
.LBB1573_156:                           ; =>This Inner Loop Header: Depth=1
	global_load_b64 v[30:31], v[32:33], off scope:SCOPE_DEV
	s_wait_loadcnt 0x0
	v_and_b32_e32 v27, 0xff, v31
	s_delay_alu instid0(VALU_DEP_1)
	v_cmp_ne_u16_e32 vcc_lo, 0, v27
	s_or_b32 s17, vcc_lo, s17
	s_wait_xcnt 0x0
	s_and_not1_b32 exec_lo, exec_lo, s17
	s_cbranch_execnz .LBB1573_156
; %bb.157:
	s_or_b32 exec_lo, exec_lo, s17
.LBB1573_158:
	s_delay_alu instid0(SALU_CYCLE_1)
	s_or_b32 exec_lo, exec_lo, s16
	v_cmp_ne_u32_e32 vcc_lo, 31, v40
	v_lshlrev_b32_e64 v46, v40, -1
	v_lshl_or_b32 v53, v40, 2, 64
	v_dual_add_nc_u32 v48, 2, v40 :: v_dual_add_nc_u32 v50, 4, v40
	v_add_co_ci_u32_e64 v27, null, 0, v40, vcc_lo
	v_dual_add_nc_u32 v52, 8, v40 :: v_dual_add_nc_u32 v54, 16, v40
	s_delay_alu instid0(VALU_DEP_2)
	v_lshlrev_b32_e32 v45, 2, v27
	v_and_b32_e32 v27, 0xff, v31
	ds_bpermute_b32 v29, v45, v30
	v_cmp_eq_u16_e32 vcc_lo, 2, v27
	v_and_or_b32 v27, vcc_lo, v46, 0x80000000
	v_cmp_gt_u32_e32 vcc_lo, 30, v40
	s_delay_alu instid0(VALU_DEP_2) | instskip(SKIP_1) | instid1(VALU_DEP_2)
	v_ctz_i32_b32_e32 v27, v27
	v_cndmask_b32_e64 v32, 0, 2, vcc_lo
	v_cmp_lt_u32_e32 vcc_lo, v40, v27
	s_delay_alu instid0(VALU_DEP_2) | instskip(SKIP_3) | instid1(VALU_DEP_2)
	v_add_lshl_u32 v47, v32, v40, 2
	s_wait_dscnt 0x0
	v_cndmask_b32_e32 v29, 0, v29, vcc_lo
	v_cmp_gt_u32_e32 vcc_lo, 28, v40
	v_add_nc_u32_e32 v29, v29, v30
	v_cndmask_b32_e64 v32, 0, 4, vcc_lo
	v_cmp_le_u32_e32 vcc_lo, v48, v27
	ds_bpermute_b32 v30, v47, v29
	v_add_lshl_u32 v49, v32, v40, 2
	s_wait_dscnt 0x0
	v_cndmask_b32_e32 v30, 0, v30, vcc_lo
	v_cmp_gt_u32_e32 vcc_lo, 24, v40
	v_cndmask_b32_e64 v32, 0, 8, vcc_lo
	v_cmp_le_u32_e32 vcc_lo, v50, v27
	s_delay_alu instid0(VALU_DEP_4) | instskip(NEXT) | instid1(VALU_DEP_3)
	v_add_nc_u32_e32 v29, v29, v30
	v_add_lshl_u32 v51, v32, v40, 2
	ds_bpermute_b32 v30, v49, v29
	s_wait_dscnt 0x0
	v_cndmask_b32_e32 v30, 0, v30, vcc_lo
	v_cmp_le_u32_e32 vcc_lo, v52, v27
	s_delay_alu instid0(VALU_DEP_2) | instskip(SKIP_4) | instid1(VALU_DEP_2)
	v_add_nc_u32_e32 v29, v29, v30
	ds_bpermute_b32 v30, v51, v29
	s_wait_dscnt 0x0
	v_cndmask_b32_e32 v30, 0, v30, vcc_lo
	v_cmp_le_u32_e32 vcc_lo, v54, v27
	v_add_nc_u32_e32 v29, v29, v30
	ds_bpermute_b32 v30, v53, v29
	s_wait_dscnt 0x0
	v_cndmask_b32_e32 v27, 0, v30, vcc_lo
	s_delay_alu instid0(VALU_DEP_1)
	v_dual_mov_b32 v29, 0 :: v_dual_add_nc_u32 v30, v29, v27
	s_branch .LBB1573_161
.LBB1573_159:                           ;   in Loop: Header=BB1573_161 Depth=1
	s_or_b32 exec_lo, exec_lo, s16
	v_and_b32_e32 v32, 0xff, v31
	ds_bpermute_b32 v33, v45, v30
	v_subrev_nc_u32_e32 v28, 32, v28
	s_mov_b32 s16, 0
	v_cmp_eq_u16_e32 vcc_lo, 2, v32
	v_and_or_b32 v32, vcc_lo, v46, 0x80000000
	s_delay_alu instid0(VALU_DEP_1) | instskip(NEXT) | instid1(VALU_DEP_1)
	v_ctz_i32_b32_e32 v32, v32
	v_cmp_lt_u32_e32 vcc_lo, v40, v32
	s_wait_dscnt 0x0
	v_cndmask_b32_e32 v33, 0, v33, vcc_lo
	v_cmp_le_u32_e32 vcc_lo, v48, v32
	s_delay_alu instid0(VALU_DEP_2) | instskip(SKIP_4) | instid1(VALU_DEP_2)
	v_add_nc_u32_e32 v30, v33, v30
	ds_bpermute_b32 v33, v47, v30
	s_wait_dscnt 0x0
	v_cndmask_b32_e32 v33, 0, v33, vcc_lo
	v_cmp_le_u32_e32 vcc_lo, v50, v32
	v_add_nc_u32_e32 v30, v30, v33
	ds_bpermute_b32 v33, v49, v30
	s_wait_dscnt 0x0
	v_cndmask_b32_e32 v33, 0, v33, vcc_lo
	v_cmp_le_u32_e32 vcc_lo, v52, v32
	s_delay_alu instid0(VALU_DEP_2) | instskip(SKIP_4) | instid1(VALU_DEP_2)
	v_add_nc_u32_e32 v30, v30, v33
	ds_bpermute_b32 v33, v51, v30
	s_wait_dscnt 0x0
	v_cndmask_b32_e32 v33, 0, v33, vcc_lo
	v_cmp_le_u32_e32 vcc_lo, v54, v32
	v_add_nc_u32_e32 v30, v30, v33
	ds_bpermute_b32 v33, v53, v30
	s_wait_dscnt 0x0
	v_cndmask_b32_e32 v32, 0, v33, vcc_lo
	s_delay_alu instid0(VALU_DEP_1)
	v_add3_u32 v30, v32, v27, v30
.LBB1573_160:                           ;   in Loop: Header=BB1573_161 Depth=1
	s_and_b32 vcc_lo, exec_lo, s16
	s_cbranch_vccnz .LBB1573_166
.LBB1573_161:                           ; =>This Loop Header: Depth=1
                                        ;     Child Loop BB1573_164 Depth 2
	v_and_b32_e32 v27, 0xff, v31
	s_mov_b32 s16, -1
                                        ; implicit-def: $vgpr31
	s_delay_alu instid0(VALU_DEP_1)
	v_cmp_ne_u16_e32 vcc_lo, 2, v27
	v_mov_b32_e32 v27, v30
                                        ; implicit-def: $vgpr30
	s_cmp_lg_u32 vcc_lo, exec_lo
	s_cbranch_scc1 .LBB1573_160
; %bb.162:                              ;   in Loop: Header=BB1573_161 Depth=1
	global_load_b64 v[30:31], v28, s[10:11] scale_offset scope:SCOPE_DEV
	s_mov_b32 s16, exec_lo
	s_wait_loadcnt 0x0
	v_and_b32_e32 v32, 0xff, v31
	s_wait_xcnt 0x0
	s_delay_alu instid0(VALU_DEP_1)
	v_cmpx_eq_u16_e32 0, v32
	s_cbranch_execz .LBB1573_159
; %bb.163:                              ;   in Loop: Header=BB1573_161 Depth=1
	v_lshl_add_u64 v[32:33], v[28:29], 3, s[10:11]
	s_mov_b32 s17, 0
.LBB1573_164:                           ;   Parent Loop BB1573_161 Depth=1
                                        ; =>  This Inner Loop Header: Depth=2
	global_load_b64 v[30:31], v[32:33], off scope:SCOPE_DEV
	s_wait_loadcnt 0x0
	v_and_b32_e32 v55, 0xff, v31
	s_delay_alu instid0(VALU_DEP_1)
	v_cmp_ne_u16_e32 vcc_lo, 0, v55
	s_or_b32 s17, vcc_lo, s17
	s_wait_xcnt 0x0
	s_and_not1_b32 exec_lo, exec_lo, s17
	s_cbranch_execnz .LBB1573_164
; %bb.165:                              ;   in Loop: Header=BB1573_161 Depth=1
	s_or_b32 exec_lo, exec_lo, s17
	s_branch .LBB1573_159
.LBB1573_166:
	s_and_saveexec_b32 s16, s8
	s_cbranch_execz .LBB1573_168
; %bb.167:
	s_add_co_i32 s17, s26, 32
	v_dual_mov_b32 v29, 2 :: v_dual_add_nc_u32 v28, v27, v26
	v_dual_mov_b32 v30, s17 :: v_dual_mov_b32 v31, 0
	global_store_b64 v30, v[28:29], s[10:11] scale_offset scope:SCOPE_DEV
	ds_store_b64 v31, v[26:27] offset:5120
.LBB1573_168:
	s_wait_xcnt 0x0
	s_or_b32 exec_lo, exec_lo, s16
	v_cmp_eq_u32_e32 vcc_lo, 0, v0
	s_and_b32 exec_lo, exec_lo, vcc_lo
; %bb.169:
	v_mov_b32_e32 v26, 0
	ds_store_b32 v26, v27 offset:12
.LBB1573_170:
	s_or_b32 exec_lo, exec_lo, s9
	s_wait_dscnt 0x0
	v_dual_mov_b32 v26, 0 :: v_dual_cndmask_b32 v28, v44, v43, s8
	s_wait_storecnt 0x0
	s_barrier_signal -1
	s_barrier_wait -1
	ds_load_b32 v27, v26 offset:12
	v_cmp_ne_u32_e32 vcc_lo, 0, v0
	s_wait_dscnt 0x0
	s_barrier_signal -1
	s_barrier_wait -1
	v_cndmask_b32_e32 v28, 0, v28, vcc_lo
	s_mov_b32 s9, 0
	s_delay_alu instid0(VALU_DEP_1) | instskip(SKIP_2) | instid1(VALU_DEP_1)
	v_add_nc_u32_e32 v32, v27, v28
	ds_load_b64 v[26:27], v26 offset:5120
	v_add_nc_u32_e32 v31, v32, v25
	v_add_nc_u32_e32 v30, v31, v37
	s_delay_alu instid0(VALU_DEP_1) | instskip(NEXT) | instid1(VALU_DEP_1)
	v_add_nc_u32_e32 v29, v30, v38
	v_add_nc_u32_e32 v28, v29, v39
	s_wait_dscnt 0x0
	v_readfirstlane_b32 s8, v27
.LBB1573_171:
	s_and_b32 vcc_lo, exec_lo, s9
	s_cbranch_vccz .LBB1573_181
; %bb.172:
	v_mov_b32_dpp v26, v42 row_shr:1 row_mask:0xf bank_mask:0xf
	s_delay_alu instid0(VALU_DEP_1) | instskip(NEXT) | instid1(VALU_DEP_1)
	v_cndmask_b32_e64 v26, v26, 0, s4
	v_add_nc_u32_e32 v26, v26, v42
	s_delay_alu instid0(VALU_DEP_1) | instskip(NEXT) | instid1(VALU_DEP_1)
	v_mov_b32_dpp v27, v26 row_shr:2 row_mask:0xf bank_mask:0xf
	v_cndmask_b32_e64 v27, 0, v27, s6
	s_delay_alu instid0(VALU_DEP_1) | instskip(NEXT) | instid1(VALU_DEP_1)
	v_add_nc_u32_e32 v26, v26, v27
	v_mov_b32_dpp v27, v26 row_shr:4 row_mask:0xf bank_mask:0xf
	s_delay_alu instid0(VALU_DEP_1) | instskip(NEXT) | instid1(VALU_DEP_1)
	v_cndmask_b32_e64 v27, 0, v27, s7
	v_add_nc_u32_e32 v26, v26, v27
	s_delay_alu instid0(VALU_DEP_1) | instskip(NEXT) | instid1(VALU_DEP_1)
	v_mov_b32_dpp v27, v26 row_shr:8 row_mask:0xf bank_mask:0xf
	v_cndmask_b32_e64 v27, 0, v27, s5
	s_delay_alu instid0(VALU_DEP_1) | instskip(SKIP_3) | instid1(VALU_DEP_1)
	v_add_nc_u32_e32 v26, v26, v27
	ds_swizzle_b32 v27, v26 offset:swizzle(BROADCAST,32,15)
	s_wait_dscnt 0x0
	v_cndmask_b32_e64 v27, v27, 0, s3
	v_add_nc_u32_e32 v26, v26, v27
	s_and_saveexec_b32 s3, s2
; %bb.173:
	v_lshlrev_b32_e32 v27, 2, v41
	ds_store_b32 v27, v26
; %bb.174:
	s_or_b32 exec_lo, exec_lo, s3
	s_delay_alu instid0(SALU_CYCLE_1)
	s_mov_b32 s2, exec_lo
	s_wait_dscnt 0x0
	s_barrier_signal -1
	s_barrier_wait -1
	v_cmpx_gt_u32_e32 4, v0
	s_cbranch_execz .LBB1573_176
; %bb.175:
	v_and_b32_e32 v29, 3, v40
	s_delay_alu instid0(VALU_DEP_1) | instskip(SKIP_4) | instid1(VALU_DEP_1)
	v_cmp_ne_u32_e32 vcc_lo, 0, v29
	v_lshlrev_b32_e32 v27, 2, v0
	ds_load_b32 v28, v27
	s_wait_dscnt 0x0
	v_mov_b32_dpp v30, v28 row_shr:1 row_mask:0xf bank_mask:0xf
	v_cndmask_b32_e32 v30, 0, v30, vcc_lo
	v_cmp_lt_u32_e32 vcc_lo, 1, v29
	s_delay_alu instid0(VALU_DEP_2) | instskip(NEXT) | instid1(VALU_DEP_1)
	v_add_nc_u32_e32 v28, v30, v28
	v_mov_b32_dpp v30, v28 row_shr:2 row_mask:0xf bank_mask:0xf
	s_delay_alu instid0(VALU_DEP_1) | instskip(NEXT) | instid1(VALU_DEP_1)
	v_cndmask_b32_e32 v29, 0, v30, vcc_lo
	v_add_nc_u32_e32 v28, v28, v29
	ds_store_b32 v27, v28
.LBB1573_176:
	s_or_b32 exec_lo, exec_lo, s2
	v_dual_mov_b32 v27, 0 :: v_dual_mov_b32 v28, 0
	s_mov_b32 s2, exec_lo
	s_wait_dscnt 0x0
	s_barrier_signal -1
	s_barrier_wait -1
	v_cmpx_lt_u32_e32 31, v0
; %bb.177:
	v_lshl_add_u32 v28, v41, 2, -4
	ds_load_b32 v28, v28
; %bb.178:
	s_or_b32 exec_lo, exec_lo, s2
	v_sub_co_u32 v29, vcc_lo, v40, 1
	s_mov_b32 s8, 0
	s_wait_dscnt 0x0
	v_add_nc_u32_e32 v26, v28, v26
	v_cmp_gt_i32_e64 s2, 0, v29
	s_delay_alu instid0(VALU_DEP_1) | instskip(SKIP_1) | instid1(VALU_DEP_2)
	v_cndmask_b32_e64 v29, v29, v40, s2
	v_cmp_eq_u32_e64 s2, 0, v0
	v_lshlrev_b32_e32 v29, 2, v29
	ds_bpermute_b32 v29, v29, v26
	ds_load_b32 v26, v27 offset:12
	s_and_saveexec_b32 s3, s2
	s_cbranch_execz .LBB1573_180
; %bb.179:
	v_dual_mov_b32 v30, 0 :: v_dual_mov_b32 v27, 2
	s_wait_dscnt 0x0
	global_store_b64 v30, v[26:27], s[10:11] offset:256 scope:SCOPE_DEV
.LBB1573_180:
	s_wait_xcnt 0x0
	s_or_b32 exec_lo, exec_lo, s3
	s_wait_dscnt 0x1
	v_cndmask_b32_e32 v27, v29, v28, vcc_lo
	s_wait_storecnt_dscnt 0x0
	s_barrier_signal -1
	s_barrier_wait -1
	s_delay_alu instid0(VALU_DEP_1) | instskip(NEXT) | instid1(VALU_DEP_1)
	v_cndmask_b32_e64 v32, v27, 0, s2
	v_add_nc_u32_e32 v31, v32, v25
	s_delay_alu instid0(VALU_DEP_1) | instskip(NEXT) | instid1(VALU_DEP_1)
	v_add_nc_u32_e32 v30, v31, v37
	v_add_nc_u32_e32 v29, v30, v38
	s_delay_alu instid0(VALU_DEP_1)
	v_add_nc_u32_e32 v28, v29, v39
.LBB1573_181:
	s_load_b128 s[4:7], s[0:1], 0x28
	s_delay_alu instid0(VALU_DEP_1)
	v_dual_add_nc_u32 v25, s8, v26 :: v_dual_bitop2_b32 v24, 1, v24 bitop3:0x40
	s_wait_xcnt 0x0
	v_cmp_gt_u32_e64 s0, 0x81, v26
	s_mov_b32 s3, -1
	v_cmp_lt_u32_e64 s1, v32, v25
	v_cmp_eq_u32_e64 s2, 1, v24
	s_and_b32 vcc_lo, exec_lo, s0
	s_cbranch_vccz .LBB1573_193
; %bb.182:
	s_or_b32 s1, s25, s1
	s_delay_alu instid0(SALU_CYCLE_1) | instskip(NEXT) | instid1(SALU_CYCLE_1)
	s_and_b32 s2, s1, s2
	s_and_saveexec_b32 s1, s2
	s_cbranch_execz .LBB1573_184
; %bb.183:
	s_lshl_b64 s[2:3], s[14:15], 3
	s_wait_kmcnt 0x0
	s_add_nc_u64 s[2:3], s[4:5], s[2:3]
	global_store_b64 v32, v[14:15], s[2:3] scale_offset
.LBB1573_184:
	s_wait_xcnt 0x0
	s_or_b32 exec_lo, exec_lo, s1
	v_and_b32_e32 v27, 1, v23
	v_cmp_lt_u32_e32 vcc_lo, v31, v25
	s_delay_alu instid0(VALU_DEP_2) | instskip(SKIP_1) | instid1(SALU_CYCLE_1)
	v_cmp_eq_u32_e64 s1, 1, v27
	s_or_b32 s2, s25, vcc_lo
	s_and_b32 s2, s2, s1
	s_delay_alu instid0(SALU_CYCLE_1)
	s_and_saveexec_b32 s1, s2
	s_cbranch_execz .LBB1573_186
; %bb.185:
	s_lshl_b64 s[2:3], s[14:15], 3
	s_wait_kmcnt 0x0
	s_add_nc_u64 s[2:3], s[4:5], s[2:3]
	global_store_b64 v31, v[16:17], s[2:3] scale_offset
.LBB1573_186:
	s_wait_xcnt 0x0
	s_or_b32 exec_lo, exec_lo, s1
	v_and_b32_e32 v27, 1, v36
	v_cmp_lt_u32_e32 vcc_lo, v30, v25
	s_delay_alu instid0(VALU_DEP_2) | instskip(SKIP_1) | instid1(SALU_CYCLE_1)
	v_cmp_eq_u32_e64 s1, 1, v27
	s_or_b32 s2, s25, vcc_lo
	s_and_b32 s2, s2, s1
	s_delay_alu instid0(SALU_CYCLE_1)
	;; [unrolled: 17-line block ×4, first 2 shown]
	s_and_saveexec_b32 s1, s2
	s_cbranch_execz .LBB1573_192
; %bb.191:
	s_lshl_b64 s[2:3], s[14:15], 3
	s_wait_kmcnt 0x0
	s_add_nc_u64 s[2:3], s[4:5], s[2:3]
	global_store_b64 v28, v[20:21], s[2:3] scale_offset
.LBB1573_192:
	s_wait_xcnt 0x0
	s_or_b32 exec_lo, exec_lo, s1
	s_mov_b32 s3, 0
.LBB1573_193:
	s_delay_alu instid0(SALU_CYCLE_1)
	s_and_b32 vcc_lo, exec_lo, s3
	s_cbranch_vccz .LBB1573_207
; %bb.194:
	s_mov_b32 s1, exec_lo
	v_cmpx_eq_u32_e32 1, v24
; %bb.195:
	v_subrev_nc_u32_e32 v27, s8, v32
	s_delay_alu instid0(VALU_DEP_1)
	v_lshlrev_b32_e32 v27, 3, v27
	ds_store_b64 v27, v[14:15]
; %bb.196:
	s_or_b32 exec_lo, exec_lo, s1
	v_and_b32_e32 v14, 1, v23
	s_mov_b32 s1, exec_lo
	s_delay_alu instid0(VALU_DEP_1)
	v_cmpx_eq_u32_e32 1, v14
; %bb.197:
	v_subrev_nc_u32_e32 v14, s8, v31
	s_delay_alu instid0(VALU_DEP_1)
	v_lshlrev_b32_e32 v14, 3, v14
	ds_store_b64 v14, v[16:17]
; %bb.198:
	s_or_b32 exec_lo, exec_lo, s1
	v_and_b32_e32 v14, 1, v36
	s_mov_b32 s1, exec_lo
	s_delay_alu instid0(VALU_DEP_1)
	;; [unrolled: 11-line block ×4, first 2 shown]
	v_cmpx_eq_u32_e32 1, v10
; %bb.203:
	v_subrev_nc_u32_e32 v10, s8, v28
	s_delay_alu instid0(VALU_DEP_1)
	v_lshlrev_b32_e32 v10, 3, v10
	ds_store_b64 v10, v[20:21]
; %bb.204:
	s_or_b32 exec_lo, exec_lo, s1
	s_mov_b32 s9, 0
	v_dual_mov_b32 v11, v1 :: v_dual_lshlrev_b32 v10, 3, v0
	s_lshl_b64 s[2:3], s[8:9], 3
	s_wait_storecnt_dscnt 0x0
	s_wait_kmcnt 0x0
	s_add_nc_u64 s[2:3], s[4:5], s[2:3]
	s_lshl_b64 s[4:5], s[14:15], 3
	s_barrier_signal -1
	s_add_nc_u64 s[2:3], s[2:3], s[4:5]
	s_barrier_wait -1
.LBB1573_205:                           ; =>This Inner Loop Header: Depth=1
	ds_load_b64 v[12:13], v10
	v_add_nc_u32_e32 v10, 0x400, v10
	s_wait_dscnt 0x0
	global_store_b64 v11, v[12:13], s[2:3] scale_offset
	s_wait_xcnt 0x0
	v_add_nc_u32_e32 v11, 0x80, v11
	s_delay_alu instid0(VALU_DEP_1) | instskip(SKIP_1) | instid1(SALU_CYCLE_1)
	v_cmp_ge_u32_e32 vcc_lo, v11, v26
	s_or_b32 s9, vcc_lo, s9
	s_and_not1_b32 exec_lo, exec_lo, s9
	s_cbranch_execnz .LBB1573_205
; %bb.206:
	s_or_b32 exec_lo, exec_lo, s9
.LBB1573_207:
	s_delay_alu instid0(SALU_CYCLE_1)
	s_and_b32 vcc_lo, exec_lo, s0
	s_mov_b32 s0, -1
	s_wait_storecnt 0x0
	s_barrier_signal -1
	s_barrier_wait -1
	s_cbranch_vccz .LBB1573_219
; %bb.208:
	v_cmp_lt_u32_e32 vcc_lo, v32, v25
	v_cmp_eq_u32_e64 s0, 1, v24
	s_or_b32 s1, s25, vcc_lo
	s_delay_alu instid0(SALU_CYCLE_1) | instskip(NEXT) | instid1(SALU_CYCLE_1)
	s_and_b32 s1, s1, s0
	s_and_saveexec_b32 s0, s1
	s_cbranch_execz .LBB1573_210
; %bb.209:
	s_lshl_b64 s[2:3], s[14:15], 3
	s_wait_kmcnt 0x0
	s_add_nc_u64 s[2:3], s[6:7], s[2:3]
	global_store_b64 v32, v[6:7], s[2:3] scale_offset
.LBB1573_210:
	s_wait_xcnt 0x0
	s_or_b32 exec_lo, exec_lo, s0
	v_and_b32_e32 v10, 1, v23
	v_cmp_lt_u32_e32 vcc_lo, v31, v25
	s_delay_alu instid0(VALU_DEP_2) | instskip(SKIP_1) | instid1(SALU_CYCLE_1)
	v_cmp_eq_u32_e64 s0, 1, v10
	s_or_b32 s1, s25, vcc_lo
	s_and_b32 s1, s1, s0
	s_delay_alu instid0(SALU_CYCLE_1)
	s_and_saveexec_b32 s0, s1
	s_cbranch_execz .LBB1573_212
; %bb.211:
	s_lshl_b64 s[2:3], s[14:15], 3
	s_wait_kmcnt 0x0
	s_add_nc_u64 s[2:3], s[6:7], s[2:3]
	global_store_b64 v31, v[8:9], s[2:3] scale_offset
.LBB1573_212:
	s_wait_xcnt 0x0
	s_or_b32 exec_lo, exec_lo, s0
	v_and_b32_e32 v10, 1, v36
	v_cmp_lt_u32_e32 vcc_lo, v30, v25
	s_delay_alu instid0(VALU_DEP_2) | instskip(SKIP_1) | instid1(SALU_CYCLE_1)
	v_cmp_eq_u32_e64 s0, 1, v10
	s_or_b32 s1, s25, vcc_lo
	s_and_b32 s1, s1, s0
	s_delay_alu instid0(SALU_CYCLE_1)
	;; [unrolled: 17-line block ×4, first 2 shown]
	s_and_saveexec_b32 s0, s1
	s_cbranch_execz .LBB1573_218
; %bb.217:
	s_lshl_b64 s[2:3], s[14:15], 3
	s_wait_kmcnt 0x0
	s_add_nc_u64 s[2:3], s[6:7], s[2:3]
	global_store_b64 v28, v[18:19], s[2:3] scale_offset
.LBB1573_218:
	s_wait_xcnt 0x0
	s_or_b32 exec_lo, exec_lo, s0
	s_mov_b32 s0, 0
.LBB1573_219:
	s_delay_alu instid0(SALU_CYCLE_1)
	s_and_b32 vcc_lo, exec_lo, s0
	s_cbranch_vccz .LBB1573_233
; %bb.220:
	s_mov_b32 s0, exec_lo
	v_cmpx_eq_u32_e32 1, v24
; %bb.221:
	v_subrev_nc_u32_e32 v10, s8, v32
	s_delay_alu instid0(VALU_DEP_1)
	v_lshlrev_b32_e32 v10, 3, v10
	ds_store_b64 v10, v[6:7]
; %bb.222:
	s_or_b32 exec_lo, exec_lo, s0
	v_and_b32_e32 v6, 1, v23
	s_mov_b32 s0, exec_lo
	s_delay_alu instid0(VALU_DEP_1)
	v_cmpx_eq_u32_e32 1, v6
; %bb.223:
	v_subrev_nc_u32_e32 v6, s8, v31
	s_delay_alu instid0(VALU_DEP_1)
	v_lshlrev_b32_e32 v6, 3, v6
	ds_store_b64 v6, v[8:9]
; %bb.224:
	s_or_b32 exec_lo, exec_lo, s0
	v_and_b32_e32 v6, 1, v36
	s_mov_b32 s0, exec_lo
	s_delay_alu instid0(VALU_DEP_1)
	;; [unrolled: 11-line block ×4, first 2 shown]
	v_cmpx_eq_u32_e32 1, v2
; %bb.229:
	v_subrev_nc_u32_e32 v2, s8, v28
	s_delay_alu instid0(VALU_DEP_1)
	v_lshlrev_b32_e32 v2, 3, v2
	ds_store_b64 v2, v[18:19]
; %bb.230:
	s_or_b32 exec_lo, exec_lo, s0
	s_mov_b32 s9, 0
	s_lshl_b64 s[2:3], s[14:15], 3
	s_lshl_b64 s[0:1], s[8:9], 3
	s_wait_storecnt_dscnt 0x0
	s_wait_kmcnt 0x0
	s_add_nc_u64 s[0:1], s[6:7], s[0:1]
	s_barrier_signal -1
	s_add_nc_u64 s[0:1], s[0:1], s[2:3]
	s_barrier_wait -1
.LBB1573_231:                           ; =>This Inner Loop Header: Depth=1
	ds_load_b64 v[2:3], v34
	v_add_nc_u32_e32 v34, 0x400, v34
	s_wait_dscnt 0x0
	global_store_b64 v1, v[2:3], s[0:1] scale_offset
	s_wait_xcnt 0x0
	v_add_nc_u32_e32 v1, 0x80, v1
	s_delay_alu instid0(VALU_DEP_1) | instskip(SKIP_1) | instid1(SALU_CYCLE_1)
	v_cmp_ge_u32_e32 vcc_lo, v1, v26
	s_or_b32 s9, vcc_lo, s9
	s_and_not1_b32 exec_lo, exec_lo, s9
	s_cbranch_execnz .LBB1573_231
; %bb.232:
	s_or_b32 exec_lo, exec_lo, s9
.LBB1573_233:
	v_cmp_eq_u32_e32 vcc_lo, 0, v0
	s_mov_b32 s9, 0
	s_and_b32 s0, vcc_lo, s24
	s_delay_alu instid0(SALU_CYCLE_1)
	s_and_saveexec_b32 s1, s0
	s_cbranch_execz .LBB1573_235
; %bb.234:
	v_mov_b32_e32 v27, 0
	s_delay_alu instid0(VALU_DEP_1) | instskip(NEXT) | instid1(VALU_DEP_1)
	v_add_nc_u64_e32 v[0:1], s[14:15], v[26:27]
	v_add_nc_u64_e32 v[0:1], s[8:9], v[0:1]
	global_store_b64 v27, v[0:1], s[12:13]
.LBB1573_235:
	s_endpgm
	.section	.rodata,"a",@progbits
	.p2align	6, 0x0
	.amdhsa_kernel _ZN7rocprim17ROCPRIM_400000_NS6detail17trampoline_kernelINS0_14default_configENS1_25partition_config_selectorILNS1_17partition_subalgoE9EllbEEZZNS1_14partition_implILS5_9ELb0ES3_jPlS8_PNS0_10empty_typeENS0_5tupleIJS8_S9_EEENSB_IJS8_SA_EEENS0_18inequality_wrapperIZN2at6native12_GLOBAL__N_124unique_dim_cuda_templateIjEESt5tupleIJNSF_6TensorESK_SK_EERKSK_lbbbEUlllE0_EEPmJS9_EEE10hipError_tPvRmT3_T4_T5_T6_T7_T9_mT8_P12ihipStream_tbDpT10_ENKUlT_T0_E_clISt17integral_constantIbLb0EES1A_EEDaS15_S16_EUlS15_E_NS1_11comp_targetILNS1_3genE0ELNS1_11target_archE4294967295ELNS1_3gpuE0ELNS1_3repE0EEENS1_30default_config_static_selectorELNS0_4arch9wavefront6targetE0EEEvT1_
		.amdhsa_group_segment_fixed_size 5128
		.amdhsa_private_segment_fixed_size 0
		.amdhsa_kernarg_size 120
		.amdhsa_user_sgpr_count 2
		.amdhsa_user_sgpr_dispatch_ptr 0
		.amdhsa_user_sgpr_queue_ptr 0
		.amdhsa_user_sgpr_kernarg_segment_ptr 1
		.amdhsa_user_sgpr_dispatch_id 0
		.amdhsa_user_sgpr_kernarg_preload_length 0
		.amdhsa_user_sgpr_kernarg_preload_offset 0
		.amdhsa_user_sgpr_private_segment_size 0
		.amdhsa_wavefront_size32 1
		.amdhsa_uses_dynamic_stack 0
		.amdhsa_enable_private_segment 0
		.amdhsa_system_sgpr_workgroup_id_x 1
		.amdhsa_system_sgpr_workgroup_id_y 0
		.amdhsa_system_sgpr_workgroup_id_z 0
		.amdhsa_system_sgpr_workgroup_info 0
		.amdhsa_system_vgpr_workitem_id 0
		.amdhsa_next_free_vgpr 56
		.amdhsa_next_free_sgpr 32
		.amdhsa_named_barrier_count 0
		.amdhsa_reserve_vcc 1
		.amdhsa_float_round_mode_32 0
		.amdhsa_float_round_mode_16_64 0
		.amdhsa_float_denorm_mode_32 3
		.amdhsa_float_denorm_mode_16_64 3
		.amdhsa_fp16_overflow 0
		.amdhsa_memory_ordered 1
		.amdhsa_forward_progress 1
		.amdhsa_inst_pref_size 74
		.amdhsa_round_robin_scheduling 0
		.amdhsa_exception_fp_ieee_invalid_op 0
		.amdhsa_exception_fp_denorm_src 0
		.amdhsa_exception_fp_ieee_div_zero 0
		.amdhsa_exception_fp_ieee_overflow 0
		.amdhsa_exception_fp_ieee_underflow 0
		.amdhsa_exception_fp_ieee_inexact 0
		.amdhsa_exception_int_div_zero 0
	.end_amdhsa_kernel
	.section	.text._ZN7rocprim17ROCPRIM_400000_NS6detail17trampoline_kernelINS0_14default_configENS1_25partition_config_selectorILNS1_17partition_subalgoE9EllbEEZZNS1_14partition_implILS5_9ELb0ES3_jPlS8_PNS0_10empty_typeENS0_5tupleIJS8_S9_EEENSB_IJS8_SA_EEENS0_18inequality_wrapperIZN2at6native12_GLOBAL__N_124unique_dim_cuda_templateIjEESt5tupleIJNSF_6TensorESK_SK_EERKSK_lbbbEUlllE0_EEPmJS9_EEE10hipError_tPvRmT3_T4_T5_T6_T7_T9_mT8_P12ihipStream_tbDpT10_ENKUlT_T0_E_clISt17integral_constantIbLb0EES1A_EEDaS15_S16_EUlS15_E_NS1_11comp_targetILNS1_3genE0ELNS1_11target_archE4294967295ELNS1_3gpuE0ELNS1_3repE0EEENS1_30default_config_static_selectorELNS0_4arch9wavefront6targetE0EEEvT1_,"axG",@progbits,_ZN7rocprim17ROCPRIM_400000_NS6detail17trampoline_kernelINS0_14default_configENS1_25partition_config_selectorILNS1_17partition_subalgoE9EllbEEZZNS1_14partition_implILS5_9ELb0ES3_jPlS8_PNS0_10empty_typeENS0_5tupleIJS8_S9_EEENSB_IJS8_SA_EEENS0_18inequality_wrapperIZN2at6native12_GLOBAL__N_124unique_dim_cuda_templateIjEESt5tupleIJNSF_6TensorESK_SK_EERKSK_lbbbEUlllE0_EEPmJS9_EEE10hipError_tPvRmT3_T4_T5_T6_T7_T9_mT8_P12ihipStream_tbDpT10_ENKUlT_T0_E_clISt17integral_constantIbLb0EES1A_EEDaS15_S16_EUlS15_E_NS1_11comp_targetILNS1_3genE0ELNS1_11target_archE4294967295ELNS1_3gpuE0ELNS1_3repE0EEENS1_30default_config_static_selectorELNS0_4arch9wavefront6targetE0EEEvT1_,comdat
.Lfunc_end1573:
	.size	_ZN7rocprim17ROCPRIM_400000_NS6detail17trampoline_kernelINS0_14default_configENS1_25partition_config_selectorILNS1_17partition_subalgoE9EllbEEZZNS1_14partition_implILS5_9ELb0ES3_jPlS8_PNS0_10empty_typeENS0_5tupleIJS8_S9_EEENSB_IJS8_SA_EEENS0_18inequality_wrapperIZN2at6native12_GLOBAL__N_124unique_dim_cuda_templateIjEESt5tupleIJNSF_6TensorESK_SK_EERKSK_lbbbEUlllE0_EEPmJS9_EEE10hipError_tPvRmT3_T4_T5_T6_T7_T9_mT8_P12ihipStream_tbDpT10_ENKUlT_T0_E_clISt17integral_constantIbLb0EES1A_EEDaS15_S16_EUlS15_E_NS1_11comp_targetILNS1_3genE0ELNS1_11target_archE4294967295ELNS1_3gpuE0ELNS1_3repE0EEENS1_30default_config_static_selectorELNS0_4arch9wavefront6targetE0EEEvT1_, .Lfunc_end1573-_ZN7rocprim17ROCPRIM_400000_NS6detail17trampoline_kernelINS0_14default_configENS1_25partition_config_selectorILNS1_17partition_subalgoE9EllbEEZZNS1_14partition_implILS5_9ELb0ES3_jPlS8_PNS0_10empty_typeENS0_5tupleIJS8_S9_EEENSB_IJS8_SA_EEENS0_18inequality_wrapperIZN2at6native12_GLOBAL__N_124unique_dim_cuda_templateIjEESt5tupleIJNSF_6TensorESK_SK_EERKSK_lbbbEUlllE0_EEPmJS9_EEE10hipError_tPvRmT3_T4_T5_T6_T7_T9_mT8_P12ihipStream_tbDpT10_ENKUlT_T0_E_clISt17integral_constantIbLb0EES1A_EEDaS15_S16_EUlS15_E_NS1_11comp_targetILNS1_3genE0ELNS1_11target_archE4294967295ELNS1_3gpuE0ELNS1_3repE0EEENS1_30default_config_static_selectorELNS0_4arch9wavefront6targetE0EEEvT1_
                                        ; -- End function
	.set _ZN7rocprim17ROCPRIM_400000_NS6detail17trampoline_kernelINS0_14default_configENS1_25partition_config_selectorILNS1_17partition_subalgoE9EllbEEZZNS1_14partition_implILS5_9ELb0ES3_jPlS8_PNS0_10empty_typeENS0_5tupleIJS8_S9_EEENSB_IJS8_SA_EEENS0_18inequality_wrapperIZN2at6native12_GLOBAL__N_124unique_dim_cuda_templateIjEESt5tupleIJNSF_6TensorESK_SK_EERKSK_lbbbEUlllE0_EEPmJS9_EEE10hipError_tPvRmT3_T4_T5_T6_T7_T9_mT8_P12ihipStream_tbDpT10_ENKUlT_T0_E_clISt17integral_constantIbLb0EES1A_EEDaS15_S16_EUlS15_E_NS1_11comp_targetILNS1_3genE0ELNS1_11target_archE4294967295ELNS1_3gpuE0ELNS1_3repE0EEENS1_30default_config_static_selectorELNS0_4arch9wavefront6targetE0EEEvT1_.num_vgpr, 56
	.set _ZN7rocprim17ROCPRIM_400000_NS6detail17trampoline_kernelINS0_14default_configENS1_25partition_config_selectorILNS1_17partition_subalgoE9EllbEEZZNS1_14partition_implILS5_9ELb0ES3_jPlS8_PNS0_10empty_typeENS0_5tupleIJS8_S9_EEENSB_IJS8_SA_EEENS0_18inequality_wrapperIZN2at6native12_GLOBAL__N_124unique_dim_cuda_templateIjEESt5tupleIJNSF_6TensorESK_SK_EERKSK_lbbbEUlllE0_EEPmJS9_EEE10hipError_tPvRmT3_T4_T5_T6_T7_T9_mT8_P12ihipStream_tbDpT10_ENKUlT_T0_E_clISt17integral_constantIbLb0EES1A_EEDaS15_S16_EUlS15_E_NS1_11comp_targetILNS1_3genE0ELNS1_11target_archE4294967295ELNS1_3gpuE0ELNS1_3repE0EEENS1_30default_config_static_selectorELNS0_4arch9wavefront6targetE0EEEvT1_.num_agpr, 0
	.set _ZN7rocprim17ROCPRIM_400000_NS6detail17trampoline_kernelINS0_14default_configENS1_25partition_config_selectorILNS1_17partition_subalgoE9EllbEEZZNS1_14partition_implILS5_9ELb0ES3_jPlS8_PNS0_10empty_typeENS0_5tupleIJS8_S9_EEENSB_IJS8_SA_EEENS0_18inequality_wrapperIZN2at6native12_GLOBAL__N_124unique_dim_cuda_templateIjEESt5tupleIJNSF_6TensorESK_SK_EERKSK_lbbbEUlllE0_EEPmJS9_EEE10hipError_tPvRmT3_T4_T5_T6_T7_T9_mT8_P12ihipStream_tbDpT10_ENKUlT_T0_E_clISt17integral_constantIbLb0EES1A_EEDaS15_S16_EUlS15_E_NS1_11comp_targetILNS1_3genE0ELNS1_11target_archE4294967295ELNS1_3gpuE0ELNS1_3repE0EEENS1_30default_config_static_selectorELNS0_4arch9wavefront6targetE0EEEvT1_.numbered_sgpr, 32
	.set _ZN7rocprim17ROCPRIM_400000_NS6detail17trampoline_kernelINS0_14default_configENS1_25partition_config_selectorILNS1_17partition_subalgoE9EllbEEZZNS1_14partition_implILS5_9ELb0ES3_jPlS8_PNS0_10empty_typeENS0_5tupleIJS8_S9_EEENSB_IJS8_SA_EEENS0_18inequality_wrapperIZN2at6native12_GLOBAL__N_124unique_dim_cuda_templateIjEESt5tupleIJNSF_6TensorESK_SK_EERKSK_lbbbEUlllE0_EEPmJS9_EEE10hipError_tPvRmT3_T4_T5_T6_T7_T9_mT8_P12ihipStream_tbDpT10_ENKUlT_T0_E_clISt17integral_constantIbLb0EES1A_EEDaS15_S16_EUlS15_E_NS1_11comp_targetILNS1_3genE0ELNS1_11target_archE4294967295ELNS1_3gpuE0ELNS1_3repE0EEENS1_30default_config_static_selectorELNS0_4arch9wavefront6targetE0EEEvT1_.num_named_barrier, 0
	.set _ZN7rocprim17ROCPRIM_400000_NS6detail17trampoline_kernelINS0_14default_configENS1_25partition_config_selectorILNS1_17partition_subalgoE9EllbEEZZNS1_14partition_implILS5_9ELb0ES3_jPlS8_PNS0_10empty_typeENS0_5tupleIJS8_S9_EEENSB_IJS8_SA_EEENS0_18inequality_wrapperIZN2at6native12_GLOBAL__N_124unique_dim_cuda_templateIjEESt5tupleIJNSF_6TensorESK_SK_EERKSK_lbbbEUlllE0_EEPmJS9_EEE10hipError_tPvRmT3_T4_T5_T6_T7_T9_mT8_P12ihipStream_tbDpT10_ENKUlT_T0_E_clISt17integral_constantIbLb0EES1A_EEDaS15_S16_EUlS15_E_NS1_11comp_targetILNS1_3genE0ELNS1_11target_archE4294967295ELNS1_3gpuE0ELNS1_3repE0EEENS1_30default_config_static_selectorELNS0_4arch9wavefront6targetE0EEEvT1_.private_seg_size, 0
	.set _ZN7rocprim17ROCPRIM_400000_NS6detail17trampoline_kernelINS0_14default_configENS1_25partition_config_selectorILNS1_17partition_subalgoE9EllbEEZZNS1_14partition_implILS5_9ELb0ES3_jPlS8_PNS0_10empty_typeENS0_5tupleIJS8_S9_EEENSB_IJS8_SA_EEENS0_18inequality_wrapperIZN2at6native12_GLOBAL__N_124unique_dim_cuda_templateIjEESt5tupleIJNSF_6TensorESK_SK_EERKSK_lbbbEUlllE0_EEPmJS9_EEE10hipError_tPvRmT3_T4_T5_T6_T7_T9_mT8_P12ihipStream_tbDpT10_ENKUlT_T0_E_clISt17integral_constantIbLb0EES1A_EEDaS15_S16_EUlS15_E_NS1_11comp_targetILNS1_3genE0ELNS1_11target_archE4294967295ELNS1_3gpuE0ELNS1_3repE0EEENS1_30default_config_static_selectorELNS0_4arch9wavefront6targetE0EEEvT1_.uses_vcc, 1
	.set _ZN7rocprim17ROCPRIM_400000_NS6detail17trampoline_kernelINS0_14default_configENS1_25partition_config_selectorILNS1_17partition_subalgoE9EllbEEZZNS1_14partition_implILS5_9ELb0ES3_jPlS8_PNS0_10empty_typeENS0_5tupleIJS8_S9_EEENSB_IJS8_SA_EEENS0_18inequality_wrapperIZN2at6native12_GLOBAL__N_124unique_dim_cuda_templateIjEESt5tupleIJNSF_6TensorESK_SK_EERKSK_lbbbEUlllE0_EEPmJS9_EEE10hipError_tPvRmT3_T4_T5_T6_T7_T9_mT8_P12ihipStream_tbDpT10_ENKUlT_T0_E_clISt17integral_constantIbLb0EES1A_EEDaS15_S16_EUlS15_E_NS1_11comp_targetILNS1_3genE0ELNS1_11target_archE4294967295ELNS1_3gpuE0ELNS1_3repE0EEENS1_30default_config_static_selectorELNS0_4arch9wavefront6targetE0EEEvT1_.uses_flat_scratch, 0
	.set _ZN7rocprim17ROCPRIM_400000_NS6detail17trampoline_kernelINS0_14default_configENS1_25partition_config_selectorILNS1_17partition_subalgoE9EllbEEZZNS1_14partition_implILS5_9ELb0ES3_jPlS8_PNS0_10empty_typeENS0_5tupleIJS8_S9_EEENSB_IJS8_SA_EEENS0_18inequality_wrapperIZN2at6native12_GLOBAL__N_124unique_dim_cuda_templateIjEESt5tupleIJNSF_6TensorESK_SK_EERKSK_lbbbEUlllE0_EEPmJS9_EEE10hipError_tPvRmT3_T4_T5_T6_T7_T9_mT8_P12ihipStream_tbDpT10_ENKUlT_T0_E_clISt17integral_constantIbLb0EES1A_EEDaS15_S16_EUlS15_E_NS1_11comp_targetILNS1_3genE0ELNS1_11target_archE4294967295ELNS1_3gpuE0ELNS1_3repE0EEENS1_30default_config_static_selectorELNS0_4arch9wavefront6targetE0EEEvT1_.has_dyn_sized_stack, 0
	.set _ZN7rocprim17ROCPRIM_400000_NS6detail17trampoline_kernelINS0_14default_configENS1_25partition_config_selectorILNS1_17partition_subalgoE9EllbEEZZNS1_14partition_implILS5_9ELb0ES3_jPlS8_PNS0_10empty_typeENS0_5tupleIJS8_S9_EEENSB_IJS8_SA_EEENS0_18inequality_wrapperIZN2at6native12_GLOBAL__N_124unique_dim_cuda_templateIjEESt5tupleIJNSF_6TensorESK_SK_EERKSK_lbbbEUlllE0_EEPmJS9_EEE10hipError_tPvRmT3_T4_T5_T6_T7_T9_mT8_P12ihipStream_tbDpT10_ENKUlT_T0_E_clISt17integral_constantIbLb0EES1A_EEDaS15_S16_EUlS15_E_NS1_11comp_targetILNS1_3genE0ELNS1_11target_archE4294967295ELNS1_3gpuE0ELNS1_3repE0EEENS1_30default_config_static_selectorELNS0_4arch9wavefront6targetE0EEEvT1_.has_recursion, 0
	.set _ZN7rocprim17ROCPRIM_400000_NS6detail17trampoline_kernelINS0_14default_configENS1_25partition_config_selectorILNS1_17partition_subalgoE9EllbEEZZNS1_14partition_implILS5_9ELb0ES3_jPlS8_PNS0_10empty_typeENS0_5tupleIJS8_S9_EEENSB_IJS8_SA_EEENS0_18inequality_wrapperIZN2at6native12_GLOBAL__N_124unique_dim_cuda_templateIjEESt5tupleIJNSF_6TensorESK_SK_EERKSK_lbbbEUlllE0_EEPmJS9_EEE10hipError_tPvRmT3_T4_T5_T6_T7_T9_mT8_P12ihipStream_tbDpT10_ENKUlT_T0_E_clISt17integral_constantIbLb0EES1A_EEDaS15_S16_EUlS15_E_NS1_11comp_targetILNS1_3genE0ELNS1_11target_archE4294967295ELNS1_3gpuE0ELNS1_3repE0EEENS1_30default_config_static_selectorELNS0_4arch9wavefront6targetE0EEEvT1_.has_indirect_call, 0
	.section	.AMDGPU.csdata,"",@progbits
; Kernel info:
; codeLenInByte = 9388
; TotalNumSgprs: 34
; NumVgprs: 56
; ScratchSize: 0
; MemoryBound: 0
; FloatMode: 240
; IeeeMode: 1
; LDSByteSize: 5128 bytes/workgroup (compile time only)
; SGPRBlocks: 0
; VGPRBlocks: 3
; NumSGPRsForWavesPerEU: 34
; NumVGPRsForWavesPerEU: 56
; NamedBarCnt: 0
; Occupancy: 16
; WaveLimiterHint : 1
; COMPUTE_PGM_RSRC2:SCRATCH_EN: 0
; COMPUTE_PGM_RSRC2:USER_SGPR: 2
; COMPUTE_PGM_RSRC2:TRAP_HANDLER: 0
; COMPUTE_PGM_RSRC2:TGID_X_EN: 1
; COMPUTE_PGM_RSRC2:TGID_Y_EN: 0
; COMPUTE_PGM_RSRC2:TGID_Z_EN: 0
; COMPUTE_PGM_RSRC2:TIDIG_COMP_CNT: 0
	.section	.text._ZN7rocprim17ROCPRIM_400000_NS6detail17trampoline_kernelINS0_14default_configENS1_25partition_config_selectorILNS1_17partition_subalgoE9EllbEEZZNS1_14partition_implILS5_9ELb0ES3_jPlS8_PNS0_10empty_typeENS0_5tupleIJS8_S9_EEENSB_IJS8_SA_EEENS0_18inequality_wrapperIZN2at6native12_GLOBAL__N_124unique_dim_cuda_templateIjEESt5tupleIJNSF_6TensorESK_SK_EERKSK_lbbbEUlllE0_EEPmJS9_EEE10hipError_tPvRmT3_T4_T5_T6_T7_T9_mT8_P12ihipStream_tbDpT10_ENKUlT_T0_E_clISt17integral_constantIbLb0EES1A_EEDaS15_S16_EUlS15_E_NS1_11comp_targetILNS1_3genE5ELNS1_11target_archE942ELNS1_3gpuE9ELNS1_3repE0EEENS1_30default_config_static_selectorELNS0_4arch9wavefront6targetE0EEEvT1_,"axG",@progbits,_ZN7rocprim17ROCPRIM_400000_NS6detail17trampoline_kernelINS0_14default_configENS1_25partition_config_selectorILNS1_17partition_subalgoE9EllbEEZZNS1_14partition_implILS5_9ELb0ES3_jPlS8_PNS0_10empty_typeENS0_5tupleIJS8_S9_EEENSB_IJS8_SA_EEENS0_18inequality_wrapperIZN2at6native12_GLOBAL__N_124unique_dim_cuda_templateIjEESt5tupleIJNSF_6TensorESK_SK_EERKSK_lbbbEUlllE0_EEPmJS9_EEE10hipError_tPvRmT3_T4_T5_T6_T7_T9_mT8_P12ihipStream_tbDpT10_ENKUlT_T0_E_clISt17integral_constantIbLb0EES1A_EEDaS15_S16_EUlS15_E_NS1_11comp_targetILNS1_3genE5ELNS1_11target_archE942ELNS1_3gpuE9ELNS1_3repE0EEENS1_30default_config_static_selectorELNS0_4arch9wavefront6targetE0EEEvT1_,comdat
	.globl	_ZN7rocprim17ROCPRIM_400000_NS6detail17trampoline_kernelINS0_14default_configENS1_25partition_config_selectorILNS1_17partition_subalgoE9EllbEEZZNS1_14partition_implILS5_9ELb0ES3_jPlS8_PNS0_10empty_typeENS0_5tupleIJS8_S9_EEENSB_IJS8_SA_EEENS0_18inequality_wrapperIZN2at6native12_GLOBAL__N_124unique_dim_cuda_templateIjEESt5tupleIJNSF_6TensorESK_SK_EERKSK_lbbbEUlllE0_EEPmJS9_EEE10hipError_tPvRmT3_T4_T5_T6_T7_T9_mT8_P12ihipStream_tbDpT10_ENKUlT_T0_E_clISt17integral_constantIbLb0EES1A_EEDaS15_S16_EUlS15_E_NS1_11comp_targetILNS1_3genE5ELNS1_11target_archE942ELNS1_3gpuE9ELNS1_3repE0EEENS1_30default_config_static_selectorELNS0_4arch9wavefront6targetE0EEEvT1_ ; -- Begin function _ZN7rocprim17ROCPRIM_400000_NS6detail17trampoline_kernelINS0_14default_configENS1_25partition_config_selectorILNS1_17partition_subalgoE9EllbEEZZNS1_14partition_implILS5_9ELb0ES3_jPlS8_PNS0_10empty_typeENS0_5tupleIJS8_S9_EEENSB_IJS8_SA_EEENS0_18inequality_wrapperIZN2at6native12_GLOBAL__N_124unique_dim_cuda_templateIjEESt5tupleIJNSF_6TensorESK_SK_EERKSK_lbbbEUlllE0_EEPmJS9_EEE10hipError_tPvRmT3_T4_T5_T6_T7_T9_mT8_P12ihipStream_tbDpT10_ENKUlT_T0_E_clISt17integral_constantIbLb0EES1A_EEDaS15_S16_EUlS15_E_NS1_11comp_targetILNS1_3genE5ELNS1_11target_archE942ELNS1_3gpuE9ELNS1_3repE0EEENS1_30default_config_static_selectorELNS0_4arch9wavefront6targetE0EEEvT1_
	.p2align	8
	.type	_ZN7rocprim17ROCPRIM_400000_NS6detail17trampoline_kernelINS0_14default_configENS1_25partition_config_selectorILNS1_17partition_subalgoE9EllbEEZZNS1_14partition_implILS5_9ELb0ES3_jPlS8_PNS0_10empty_typeENS0_5tupleIJS8_S9_EEENSB_IJS8_SA_EEENS0_18inequality_wrapperIZN2at6native12_GLOBAL__N_124unique_dim_cuda_templateIjEESt5tupleIJNSF_6TensorESK_SK_EERKSK_lbbbEUlllE0_EEPmJS9_EEE10hipError_tPvRmT3_T4_T5_T6_T7_T9_mT8_P12ihipStream_tbDpT10_ENKUlT_T0_E_clISt17integral_constantIbLb0EES1A_EEDaS15_S16_EUlS15_E_NS1_11comp_targetILNS1_3genE5ELNS1_11target_archE942ELNS1_3gpuE9ELNS1_3repE0EEENS1_30default_config_static_selectorELNS0_4arch9wavefront6targetE0EEEvT1_,@function
_ZN7rocprim17ROCPRIM_400000_NS6detail17trampoline_kernelINS0_14default_configENS1_25partition_config_selectorILNS1_17partition_subalgoE9EllbEEZZNS1_14partition_implILS5_9ELb0ES3_jPlS8_PNS0_10empty_typeENS0_5tupleIJS8_S9_EEENSB_IJS8_SA_EEENS0_18inequality_wrapperIZN2at6native12_GLOBAL__N_124unique_dim_cuda_templateIjEESt5tupleIJNSF_6TensorESK_SK_EERKSK_lbbbEUlllE0_EEPmJS9_EEE10hipError_tPvRmT3_T4_T5_T6_T7_T9_mT8_P12ihipStream_tbDpT10_ENKUlT_T0_E_clISt17integral_constantIbLb0EES1A_EEDaS15_S16_EUlS15_E_NS1_11comp_targetILNS1_3genE5ELNS1_11target_archE942ELNS1_3gpuE9ELNS1_3repE0EEENS1_30default_config_static_selectorELNS0_4arch9wavefront6targetE0EEEvT1_: ; @_ZN7rocprim17ROCPRIM_400000_NS6detail17trampoline_kernelINS0_14default_configENS1_25partition_config_selectorILNS1_17partition_subalgoE9EllbEEZZNS1_14partition_implILS5_9ELb0ES3_jPlS8_PNS0_10empty_typeENS0_5tupleIJS8_S9_EEENSB_IJS8_SA_EEENS0_18inequality_wrapperIZN2at6native12_GLOBAL__N_124unique_dim_cuda_templateIjEESt5tupleIJNSF_6TensorESK_SK_EERKSK_lbbbEUlllE0_EEPmJS9_EEE10hipError_tPvRmT3_T4_T5_T6_T7_T9_mT8_P12ihipStream_tbDpT10_ENKUlT_T0_E_clISt17integral_constantIbLb0EES1A_EEDaS15_S16_EUlS15_E_NS1_11comp_targetILNS1_3genE5ELNS1_11target_archE942ELNS1_3gpuE9ELNS1_3repE0EEENS1_30default_config_static_selectorELNS0_4arch9wavefront6targetE0EEEvT1_
; %bb.0:
	.section	.rodata,"a",@progbits
	.p2align	6, 0x0
	.amdhsa_kernel _ZN7rocprim17ROCPRIM_400000_NS6detail17trampoline_kernelINS0_14default_configENS1_25partition_config_selectorILNS1_17partition_subalgoE9EllbEEZZNS1_14partition_implILS5_9ELb0ES3_jPlS8_PNS0_10empty_typeENS0_5tupleIJS8_S9_EEENSB_IJS8_SA_EEENS0_18inequality_wrapperIZN2at6native12_GLOBAL__N_124unique_dim_cuda_templateIjEESt5tupleIJNSF_6TensorESK_SK_EERKSK_lbbbEUlllE0_EEPmJS9_EEE10hipError_tPvRmT3_T4_T5_T6_T7_T9_mT8_P12ihipStream_tbDpT10_ENKUlT_T0_E_clISt17integral_constantIbLb0EES1A_EEDaS15_S16_EUlS15_E_NS1_11comp_targetILNS1_3genE5ELNS1_11target_archE942ELNS1_3gpuE9ELNS1_3repE0EEENS1_30default_config_static_selectorELNS0_4arch9wavefront6targetE0EEEvT1_
		.amdhsa_group_segment_fixed_size 0
		.amdhsa_private_segment_fixed_size 0
		.amdhsa_kernarg_size 120
		.amdhsa_user_sgpr_count 2
		.amdhsa_user_sgpr_dispatch_ptr 0
		.amdhsa_user_sgpr_queue_ptr 0
		.amdhsa_user_sgpr_kernarg_segment_ptr 1
		.amdhsa_user_sgpr_dispatch_id 0
		.amdhsa_user_sgpr_kernarg_preload_length 0
		.amdhsa_user_sgpr_kernarg_preload_offset 0
		.amdhsa_user_sgpr_private_segment_size 0
		.amdhsa_wavefront_size32 1
		.amdhsa_uses_dynamic_stack 0
		.amdhsa_enable_private_segment 0
		.amdhsa_system_sgpr_workgroup_id_x 1
		.amdhsa_system_sgpr_workgroup_id_y 0
		.amdhsa_system_sgpr_workgroup_id_z 0
		.amdhsa_system_sgpr_workgroup_info 0
		.amdhsa_system_vgpr_workitem_id 0
		.amdhsa_next_free_vgpr 1
		.amdhsa_next_free_sgpr 1
		.amdhsa_named_barrier_count 0
		.amdhsa_reserve_vcc 0
		.amdhsa_float_round_mode_32 0
		.amdhsa_float_round_mode_16_64 0
		.amdhsa_float_denorm_mode_32 3
		.amdhsa_float_denorm_mode_16_64 3
		.amdhsa_fp16_overflow 0
		.amdhsa_memory_ordered 1
		.amdhsa_forward_progress 1
		.amdhsa_inst_pref_size 0
		.amdhsa_round_robin_scheduling 0
		.amdhsa_exception_fp_ieee_invalid_op 0
		.amdhsa_exception_fp_denorm_src 0
		.amdhsa_exception_fp_ieee_div_zero 0
		.amdhsa_exception_fp_ieee_overflow 0
		.amdhsa_exception_fp_ieee_underflow 0
		.amdhsa_exception_fp_ieee_inexact 0
		.amdhsa_exception_int_div_zero 0
	.end_amdhsa_kernel
	.section	.text._ZN7rocprim17ROCPRIM_400000_NS6detail17trampoline_kernelINS0_14default_configENS1_25partition_config_selectorILNS1_17partition_subalgoE9EllbEEZZNS1_14partition_implILS5_9ELb0ES3_jPlS8_PNS0_10empty_typeENS0_5tupleIJS8_S9_EEENSB_IJS8_SA_EEENS0_18inequality_wrapperIZN2at6native12_GLOBAL__N_124unique_dim_cuda_templateIjEESt5tupleIJNSF_6TensorESK_SK_EERKSK_lbbbEUlllE0_EEPmJS9_EEE10hipError_tPvRmT3_T4_T5_T6_T7_T9_mT8_P12ihipStream_tbDpT10_ENKUlT_T0_E_clISt17integral_constantIbLb0EES1A_EEDaS15_S16_EUlS15_E_NS1_11comp_targetILNS1_3genE5ELNS1_11target_archE942ELNS1_3gpuE9ELNS1_3repE0EEENS1_30default_config_static_selectorELNS0_4arch9wavefront6targetE0EEEvT1_,"axG",@progbits,_ZN7rocprim17ROCPRIM_400000_NS6detail17trampoline_kernelINS0_14default_configENS1_25partition_config_selectorILNS1_17partition_subalgoE9EllbEEZZNS1_14partition_implILS5_9ELb0ES3_jPlS8_PNS0_10empty_typeENS0_5tupleIJS8_S9_EEENSB_IJS8_SA_EEENS0_18inequality_wrapperIZN2at6native12_GLOBAL__N_124unique_dim_cuda_templateIjEESt5tupleIJNSF_6TensorESK_SK_EERKSK_lbbbEUlllE0_EEPmJS9_EEE10hipError_tPvRmT3_T4_T5_T6_T7_T9_mT8_P12ihipStream_tbDpT10_ENKUlT_T0_E_clISt17integral_constantIbLb0EES1A_EEDaS15_S16_EUlS15_E_NS1_11comp_targetILNS1_3genE5ELNS1_11target_archE942ELNS1_3gpuE9ELNS1_3repE0EEENS1_30default_config_static_selectorELNS0_4arch9wavefront6targetE0EEEvT1_,comdat
.Lfunc_end1574:
	.size	_ZN7rocprim17ROCPRIM_400000_NS6detail17trampoline_kernelINS0_14default_configENS1_25partition_config_selectorILNS1_17partition_subalgoE9EllbEEZZNS1_14partition_implILS5_9ELb0ES3_jPlS8_PNS0_10empty_typeENS0_5tupleIJS8_S9_EEENSB_IJS8_SA_EEENS0_18inequality_wrapperIZN2at6native12_GLOBAL__N_124unique_dim_cuda_templateIjEESt5tupleIJNSF_6TensorESK_SK_EERKSK_lbbbEUlllE0_EEPmJS9_EEE10hipError_tPvRmT3_T4_T5_T6_T7_T9_mT8_P12ihipStream_tbDpT10_ENKUlT_T0_E_clISt17integral_constantIbLb0EES1A_EEDaS15_S16_EUlS15_E_NS1_11comp_targetILNS1_3genE5ELNS1_11target_archE942ELNS1_3gpuE9ELNS1_3repE0EEENS1_30default_config_static_selectorELNS0_4arch9wavefront6targetE0EEEvT1_, .Lfunc_end1574-_ZN7rocprim17ROCPRIM_400000_NS6detail17trampoline_kernelINS0_14default_configENS1_25partition_config_selectorILNS1_17partition_subalgoE9EllbEEZZNS1_14partition_implILS5_9ELb0ES3_jPlS8_PNS0_10empty_typeENS0_5tupleIJS8_S9_EEENSB_IJS8_SA_EEENS0_18inequality_wrapperIZN2at6native12_GLOBAL__N_124unique_dim_cuda_templateIjEESt5tupleIJNSF_6TensorESK_SK_EERKSK_lbbbEUlllE0_EEPmJS9_EEE10hipError_tPvRmT3_T4_T5_T6_T7_T9_mT8_P12ihipStream_tbDpT10_ENKUlT_T0_E_clISt17integral_constantIbLb0EES1A_EEDaS15_S16_EUlS15_E_NS1_11comp_targetILNS1_3genE5ELNS1_11target_archE942ELNS1_3gpuE9ELNS1_3repE0EEENS1_30default_config_static_selectorELNS0_4arch9wavefront6targetE0EEEvT1_
                                        ; -- End function
	.set _ZN7rocprim17ROCPRIM_400000_NS6detail17trampoline_kernelINS0_14default_configENS1_25partition_config_selectorILNS1_17partition_subalgoE9EllbEEZZNS1_14partition_implILS5_9ELb0ES3_jPlS8_PNS0_10empty_typeENS0_5tupleIJS8_S9_EEENSB_IJS8_SA_EEENS0_18inequality_wrapperIZN2at6native12_GLOBAL__N_124unique_dim_cuda_templateIjEESt5tupleIJNSF_6TensorESK_SK_EERKSK_lbbbEUlllE0_EEPmJS9_EEE10hipError_tPvRmT3_T4_T5_T6_T7_T9_mT8_P12ihipStream_tbDpT10_ENKUlT_T0_E_clISt17integral_constantIbLb0EES1A_EEDaS15_S16_EUlS15_E_NS1_11comp_targetILNS1_3genE5ELNS1_11target_archE942ELNS1_3gpuE9ELNS1_3repE0EEENS1_30default_config_static_selectorELNS0_4arch9wavefront6targetE0EEEvT1_.num_vgpr, 0
	.set _ZN7rocprim17ROCPRIM_400000_NS6detail17trampoline_kernelINS0_14default_configENS1_25partition_config_selectorILNS1_17partition_subalgoE9EllbEEZZNS1_14partition_implILS5_9ELb0ES3_jPlS8_PNS0_10empty_typeENS0_5tupleIJS8_S9_EEENSB_IJS8_SA_EEENS0_18inequality_wrapperIZN2at6native12_GLOBAL__N_124unique_dim_cuda_templateIjEESt5tupleIJNSF_6TensorESK_SK_EERKSK_lbbbEUlllE0_EEPmJS9_EEE10hipError_tPvRmT3_T4_T5_T6_T7_T9_mT8_P12ihipStream_tbDpT10_ENKUlT_T0_E_clISt17integral_constantIbLb0EES1A_EEDaS15_S16_EUlS15_E_NS1_11comp_targetILNS1_3genE5ELNS1_11target_archE942ELNS1_3gpuE9ELNS1_3repE0EEENS1_30default_config_static_selectorELNS0_4arch9wavefront6targetE0EEEvT1_.num_agpr, 0
	.set _ZN7rocprim17ROCPRIM_400000_NS6detail17trampoline_kernelINS0_14default_configENS1_25partition_config_selectorILNS1_17partition_subalgoE9EllbEEZZNS1_14partition_implILS5_9ELb0ES3_jPlS8_PNS0_10empty_typeENS0_5tupleIJS8_S9_EEENSB_IJS8_SA_EEENS0_18inequality_wrapperIZN2at6native12_GLOBAL__N_124unique_dim_cuda_templateIjEESt5tupleIJNSF_6TensorESK_SK_EERKSK_lbbbEUlllE0_EEPmJS9_EEE10hipError_tPvRmT3_T4_T5_T6_T7_T9_mT8_P12ihipStream_tbDpT10_ENKUlT_T0_E_clISt17integral_constantIbLb0EES1A_EEDaS15_S16_EUlS15_E_NS1_11comp_targetILNS1_3genE5ELNS1_11target_archE942ELNS1_3gpuE9ELNS1_3repE0EEENS1_30default_config_static_selectorELNS0_4arch9wavefront6targetE0EEEvT1_.numbered_sgpr, 0
	.set _ZN7rocprim17ROCPRIM_400000_NS6detail17trampoline_kernelINS0_14default_configENS1_25partition_config_selectorILNS1_17partition_subalgoE9EllbEEZZNS1_14partition_implILS5_9ELb0ES3_jPlS8_PNS0_10empty_typeENS0_5tupleIJS8_S9_EEENSB_IJS8_SA_EEENS0_18inequality_wrapperIZN2at6native12_GLOBAL__N_124unique_dim_cuda_templateIjEESt5tupleIJNSF_6TensorESK_SK_EERKSK_lbbbEUlllE0_EEPmJS9_EEE10hipError_tPvRmT3_T4_T5_T6_T7_T9_mT8_P12ihipStream_tbDpT10_ENKUlT_T0_E_clISt17integral_constantIbLb0EES1A_EEDaS15_S16_EUlS15_E_NS1_11comp_targetILNS1_3genE5ELNS1_11target_archE942ELNS1_3gpuE9ELNS1_3repE0EEENS1_30default_config_static_selectorELNS0_4arch9wavefront6targetE0EEEvT1_.num_named_barrier, 0
	.set _ZN7rocprim17ROCPRIM_400000_NS6detail17trampoline_kernelINS0_14default_configENS1_25partition_config_selectorILNS1_17partition_subalgoE9EllbEEZZNS1_14partition_implILS5_9ELb0ES3_jPlS8_PNS0_10empty_typeENS0_5tupleIJS8_S9_EEENSB_IJS8_SA_EEENS0_18inequality_wrapperIZN2at6native12_GLOBAL__N_124unique_dim_cuda_templateIjEESt5tupleIJNSF_6TensorESK_SK_EERKSK_lbbbEUlllE0_EEPmJS9_EEE10hipError_tPvRmT3_T4_T5_T6_T7_T9_mT8_P12ihipStream_tbDpT10_ENKUlT_T0_E_clISt17integral_constantIbLb0EES1A_EEDaS15_S16_EUlS15_E_NS1_11comp_targetILNS1_3genE5ELNS1_11target_archE942ELNS1_3gpuE9ELNS1_3repE0EEENS1_30default_config_static_selectorELNS0_4arch9wavefront6targetE0EEEvT1_.private_seg_size, 0
	.set _ZN7rocprim17ROCPRIM_400000_NS6detail17trampoline_kernelINS0_14default_configENS1_25partition_config_selectorILNS1_17partition_subalgoE9EllbEEZZNS1_14partition_implILS5_9ELb0ES3_jPlS8_PNS0_10empty_typeENS0_5tupleIJS8_S9_EEENSB_IJS8_SA_EEENS0_18inequality_wrapperIZN2at6native12_GLOBAL__N_124unique_dim_cuda_templateIjEESt5tupleIJNSF_6TensorESK_SK_EERKSK_lbbbEUlllE0_EEPmJS9_EEE10hipError_tPvRmT3_T4_T5_T6_T7_T9_mT8_P12ihipStream_tbDpT10_ENKUlT_T0_E_clISt17integral_constantIbLb0EES1A_EEDaS15_S16_EUlS15_E_NS1_11comp_targetILNS1_3genE5ELNS1_11target_archE942ELNS1_3gpuE9ELNS1_3repE0EEENS1_30default_config_static_selectorELNS0_4arch9wavefront6targetE0EEEvT1_.uses_vcc, 0
	.set _ZN7rocprim17ROCPRIM_400000_NS6detail17trampoline_kernelINS0_14default_configENS1_25partition_config_selectorILNS1_17partition_subalgoE9EllbEEZZNS1_14partition_implILS5_9ELb0ES3_jPlS8_PNS0_10empty_typeENS0_5tupleIJS8_S9_EEENSB_IJS8_SA_EEENS0_18inequality_wrapperIZN2at6native12_GLOBAL__N_124unique_dim_cuda_templateIjEESt5tupleIJNSF_6TensorESK_SK_EERKSK_lbbbEUlllE0_EEPmJS9_EEE10hipError_tPvRmT3_T4_T5_T6_T7_T9_mT8_P12ihipStream_tbDpT10_ENKUlT_T0_E_clISt17integral_constantIbLb0EES1A_EEDaS15_S16_EUlS15_E_NS1_11comp_targetILNS1_3genE5ELNS1_11target_archE942ELNS1_3gpuE9ELNS1_3repE0EEENS1_30default_config_static_selectorELNS0_4arch9wavefront6targetE0EEEvT1_.uses_flat_scratch, 0
	.set _ZN7rocprim17ROCPRIM_400000_NS6detail17trampoline_kernelINS0_14default_configENS1_25partition_config_selectorILNS1_17partition_subalgoE9EllbEEZZNS1_14partition_implILS5_9ELb0ES3_jPlS8_PNS0_10empty_typeENS0_5tupleIJS8_S9_EEENSB_IJS8_SA_EEENS0_18inequality_wrapperIZN2at6native12_GLOBAL__N_124unique_dim_cuda_templateIjEESt5tupleIJNSF_6TensorESK_SK_EERKSK_lbbbEUlllE0_EEPmJS9_EEE10hipError_tPvRmT3_T4_T5_T6_T7_T9_mT8_P12ihipStream_tbDpT10_ENKUlT_T0_E_clISt17integral_constantIbLb0EES1A_EEDaS15_S16_EUlS15_E_NS1_11comp_targetILNS1_3genE5ELNS1_11target_archE942ELNS1_3gpuE9ELNS1_3repE0EEENS1_30default_config_static_selectorELNS0_4arch9wavefront6targetE0EEEvT1_.has_dyn_sized_stack, 0
	.set _ZN7rocprim17ROCPRIM_400000_NS6detail17trampoline_kernelINS0_14default_configENS1_25partition_config_selectorILNS1_17partition_subalgoE9EllbEEZZNS1_14partition_implILS5_9ELb0ES3_jPlS8_PNS0_10empty_typeENS0_5tupleIJS8_S9_EEENSB_IJS8_SA_EEENS0_18inequality_wrapperIZN2at6native12_GLOBAL__N_124unique_dim_cuda_templateIjEESt5tupleIJNSF_6TensorESK_SK_EERKSK_lbbbEUlllE0_EEPmJS9_EEE10hipError_tPvRmT3_T4_T5_T6_T7_T9_mT8_P12ihipStream_tbDpT10_ENKUlT_T0_E_clISt17integral_constantIbLb0EES1A_EEDaS15_S16_EUlS15_E_NS1_11comp_targetILNS1_3genE5ELNS1_11target_archE942ELNS1_3gpuE9ELNS1_3repE0EEENS1_30default_config_static_selectorELNS0_4arch9wavefront6targetE0EEEvT1_.has_recursion, 0
	.set _ZN7rocprim17ROCPRIM_400000_NS6detail17trampoline_kernelINS0_14default_configENS1_25partition_config_selectorILNS1_17partition_subalgoE9EllbEEZZNS1_14partition_implILS5_9ELb0ES3_jPlS8_PNS0_10empty_typeENS0_5tupleIJS8_S9_EEENSB_IJS8_SA_EEENS0_18inequality_wrapperIZN2at6native12_GLOBAL__N_124unique_dim_cuda_templateIjEESt5tupleIJNSF_6TensorESK_SK_EERKSK_lbbbEUlllE0_EEPmJS9_EEE10hipError_tPvRmT3_T4_T5_T6_T7_T9_mT8_P12ihipStream_tbDpT10_ENKUlT_T0_E_clISt17integral_constantIbLb0EES1A_EEDaS15_S16_EUlS15_E_NS1_11comp_targetILNS1_3genE5ELNS1_11target_archE942ELNS1_3gpuE9ELNS1_3repE0EEENS1_30default_config_static_selectorELNS0_4arch9wavefront6targetE0EEEvT1_.has_indirect_call, 0
	.section	.AMDGPU.csdata,"",@progbits
; Kernel info:
; codeLenInByte = 0
; TotalNumSgprs: 0
; NumVgprs: 0
; ScratchSize: 0
; MemoryBound: 0
; FloatMode: 240
; IeeeMode: 1
; LDSByteSize: 0 bytes/workgroup (compile time only)
; SGPRBlocks: 0
; VGPRBlocks: 0
; NumSGPRsForWavesPerEU: 1
; NumVGPRsForWavesPerEU: 1
; NamedBarCnt: 0
; Occupancy: 16
; WaveLimiterHint : 0
; COMPUTE_PGM_RSRC2:SCRATCH_EN: 0
; COMPUTE_PGM_RSRC2:USER_SGPR: 2
; COMPUTE_PGM_RSRC2:TRAP_HANDLER: 0
; COMPUTE_PGM_RSRC2:TGID_X_EN: 1
; COMPUTE_PGM_RSRC2:TGID_Y_EN: 0
; COMPUTE_PGM_RSRC2:TGID_Z_EN: 0
; COMPUTE_PGM_RSRC2:TIDIG_COMP_CNT: 0
	.section	.text._ZN7rocprim17ROCPRIM_400000_NS6detail17trampoline_kernelINS0_14default_configENS1_25partition_config_selectorILNS1_17partition_subalgoE9EllbEEZZNS1_14partition_implILS5_9ELb0ES3_jPlS8_PNS0_10empty_typeENS0_5tupleIJS8_S9_EEENSB_IJS8_SA_EEENS0_18inequality_wrapperIZN2at6native12_GLOBAL__N_124unique_dim_cuda_templateIjEESt5tupleIJNSF_6TensorESK_SK_EERKSK_lbbbEUlllE0_EEPmJS9_EEE10hipError_tPvRmT3_T4_T5_T6_T7_T9_mT8_P12ihipStream_tbDpT10_ENKUlT_T0_E_clISt17integral_constantIbLb0EES1A_EEDaS15_S16_EUlS15_E_NS1_11comp_targetILNS1_3genE4ELNS1_11target_archE910ELNS1_3gpuE8ELNS1_3repE0EEENS1_30default_config_static_selectorELNS0_4arch9wavefront6targetE0EEEvT1_,"axG",@progbits,_ZN7rocprim17ROCPRIM_400000_NS6detail17trampoline_kernelINS0_14default_configENS1_25partition_config_selectorILNS1_17partition_subalgoE9EllbEEZZNS1_14partition_implILS5_9ELb0ES3_jPlS8_PNS0_10empty_typeENS0_5tupleIJS8_S9_EEENSB_IJS8_SA_EEENS0_18inequality_wrapperIZN2at6native12_GLOBAL__N_124unique_dim_cuda_templateIjEESt5tupleIJNSF_6TensorESK_SK_EERKSK_lbbbEUlllE0_EEPmJS9_EEE10hipError_tPvRmT3_T4_T5_T6_T7_T9_mT8_P12ihipStream_tbDpT10_ENKUlT_T0_E_clISt17integral_constantIbLb0EES1A_EEDaS15_S16_EUlS15_E_NS1_11comp_targetILNS1_3genE4ELNS1_11target_archE910ELNS1_3gpuE8ELNS1_3repE0EEENS1_30default_config_static_selectorELNS0_4arch9wavefront6targetE0EEEvT1_,comdat
	.globl	_ZN7rocprim17ROCPRIM_400000_NS6detail17trampoline_kernelINS0_14default_configENS1_25partition_config_selectorILNS1_17partition_subalgoE9EllbEEZZNS1_14partition_implILS5_9ELb0ES3_jPlS8_PNS0_10empty_typeENS0_5tupleIJS8_S9_EEENSB_IJS8_SA_EEENS0_18inequality_wrapperIZN2at6native12_GLOBAL__N_124unique_dim_cuda_templateIjEESt5tupleIJNSF_6TensorESK_SK_EERKSK_lbbbEUlllE0_EEPmJS9_EEE10hipError_tPvRmT3_T4_T5_T6_T7_T9_mT8_P12ihipStream_tbDpT10_ENKUlT_T0_E_clISt17integral_constantIbLb0EES1A_EEDaS15_S16_EUlS15_E_NS1_11comp_targetILNS1_3genE4ELNS1_11target_archE910ELNS1_3gpuE8ELNS1_3repE0EEENS1_30default_config_static_selectorELNS0_4arch9wavefront6targetE0EEEvT1_ ; -- Begin function _ZN7rocprim17ROCPRIM_400000_NS6detail17trampoline_kernelINS0_14default_configENS1_25partition_config_selectorILNS1_17partition_subalgoE9EllbEEZZNS1_14partition_implILS5_9ELb0ES3_jPlS8_PNS0_10empty_typeENS0_5tupleIJS8_S9_EEENSB_IJS8_SA_EEENS0_18inequality_wrapperIZN2at6native12_GLOBAL__N_124unique_dim_cuda_templateIjEESt5tupleIJNSF_6TensorESK_SK_EERKSK_lbbbEUlllE0_EEPmJS9_EEE10hipError_tPvRmT3_T4_T5_T6_T7_T9_mT8_P12ihipStream_tbDpT10_ENKUlT_T0_E_clISt17integral_constantIbLb0EES1A_EEDaS15_S16_EUlS15_E_NS1_11comp_targetILNS1_3genE4ELNS1_11target_archE910ELNS1_3gpuE8ELNS1_3repE0EEENS1_30default_config_static_selectorELNS0_4arch9wavefront6targetE0EEEvT1_
	.p2align	8
	.type	_ZN7rocprim17ROCPRIM_400000_NS6detail17trampoline_kernelINS0_14default_configENS1_25partition_config_selectorILNS1_17partition_subalgoE9EllbEEZZNS1_14partition_implILS5_9ELb0ES3_jPlS8_PNS0_10empty_typeENS0_5tupleIJS8_S9_EEENSB_IJS8_SA_EEENS0_18inequality_wrapperIZN2at6native12_GLOBAL__N_124unique_dim_cuda_templateIjEESt5tupleIJNSF_6TensorESK_SK_EERKSK_lbbbEUlllE0_EEPmJS9_EEE10hipError_tPvRmT3_T4_T5_T6_T7_T9_mT8_P12ihipStream_tbDpT10_ENKUlT_T0_E_clISt17integral_constantIbLb0EES1A_EEDaS15_S16_EUlS15_E_NS1_11comp_targetILNS1_3genE4ELNS1_11target_archE910ELNS1_3gpuE8ELNS1_3repE0EEENS1_30default_config_static_selectorELNS0_4arch9wavefront6targetE0EEEvT1_,@function
_ZN7rocprim17ROCPRIM_400000_NS6detail17trampoline_kernelINS0_14default_configENS1_25partition_config_selectorILNS1_17partition_subalgoE9EllbEEZZNS1_14partition_implILS5_9ELb0ES3_jPlS8_PNS0_10empty_typeENS0_5tupleIJS8_S9_EEENSB_IJS8_SA_EEENS0_18inequality_wrapperIZN2at6native12_GLOBAL__N_124unique_dim_cuda_templateIjEESt5tupleIJNSF_6TensorESK_SK_EERKSK_lbbbEUlllE0_EEPmJS9_EEE10hipError_tPvRmT3_T4_T5_T6_T7_T9_mT8_P12ihipStream_tbDpT10_ENKUlT_T0_E_clISt17integral_constantIbLb0EES1A_EEDaS15_S16_EUlS15_E_NS1_11comp_targetILNS1_3genE4ELNS1_11target_archE910ELNS1_3gpuE8ELNS1_3repE0EEENS1_30default_config_static_selectorELNS0_4arch9wavefront6targetE0EEEvT1_: ; @_ZN7rocprim17ROCPRIM_400000_NS6detail17trampoline_kernelINS0_14default_configENS1_25partition_config_selectorILNS1_17partition_subalgoE9EllbEEZZNS1_14partition_implILS5_9ELb0ES3_jPlS8_PNS0_10empty_typeENS0_5tupleIJS8_S9_EEENSB_IJS8_SA_EEENS0_18inequality_wrapperIZN2at6native12_GLOBAL__N_124unique_dim_cuda_templateIjEESt5tupleIJNSF_6TensorESK_SK_EERKSK_lbbbEUlllE0_EEPmJS9_EEE10hipError_tPvRmT3_T4_T5_T6_T7_T9_mT8_P12ihipStream_tbDpT10_ENKUlT_T0_E_clISt17integral_constantIbLb0EES1A_EEDaS15_S16_EUlS15_E_NS1_11comp_targetILNS1_3genE4ELNS1_11target_archE910ELNS1_3gpuE8ELNS1_3repE0EEENS1_30default_config_static_selectorELNS0_4arch9wavefront6targetE0EEEvT1_
; %bb.0:
	.section	.rodata,"a",@progbits
	.p2align	6, 0x0
	.amdhsa_kernel _ZN7rocprim17ROCPRIM_400000_NS6detail17trampoline_kernelINS0_14default_configENS1_25partition_config_selectorILNS1_17partition_subalgoE9EllbEEZZNS1_14partition_implILS5_9ELb0ES3_jPlS8_PNS0_10empty_typeENS0_5tupleIJS8_S9_EEENSB_IJS8_SA_EEENS0_18inequality_wrapperIZN2at6native12_GLOBAL__N_124unique_dim_cuda_templateIjEESt5tupleIJNSF_6TensorESK_SK_EERKSK_lbbbEUlllE0_EEPmJS9_EEE10hipError_tPvRmT3_T4_T5_T6_T7_T9_mT8_P12ihipStream_tbDpT10_ENKUlT_T0_E_clISt17integral_constantIbLb0EES1A_EEDaS15_S16_EUlS15_E_NS1_11comp_targetILNS1_3genE4ELNS1_11target_archE910ELNS1_3gpuE8ELNS1_3repE0EEENS1_30default_config_static_selectorELNS0_4arch9wavefront6targetE0EEEvT1_
		.amdhsa_group_segment_fixed_size 0
		.amdhsa_private_segment_fixed_size 0
		.amdhsa_kernarg_size 120
		.amdhsa_user_sgpr_count 2
		.amdhsa_user_sgpr_dispatch_ptr 0
		.amdhsa_user_sgpr_queue_ptr 0
		.amdhsa_user_sgpr_kernarg_segment_ptr 1
		.amdhsa_user_sgpr_dispatch_id 0
		.amdhsa_user_sgpr_kernarg_preload_length 0
		.amdhsa_user_sgpr_kernarg_preload_offset 0
		.amdhsa_user_sgpr_private_segment_size 0
		.amdhsa_wavefront_size32 1
		.amdhsa_uses_dynamic_stack 0
		.amdhsa_enable_private_segment 0
		.amdhsa_system_sgpr_workgroup_id_x 1
		.amdhsa_system_sgpr_workgroup_id_y 0
		.amdhsa_system_sgpr_workgroup_id_z 0
		.amdhsa_system_sgpr_workgroup_info 0
		.amdhsa_system_vgpr_workitem_id 0
		.amdhsa_next_free_vgpr 1
		.amdhsa_next_free_sgpr 1
		.amdhsa_named_barrier_count 0
		.amdhsa_reserve_vcc 0
		.amdhsa_float_round_mode_32 0
		.amdhsa_float_round_mode_16_64 0
		.amdhsa_float_denorm_mode_32 3
		.amdhsa_float_denorm_mode_16_64 3
		.amdhsa_fp16_overflow 0
		.amdhsa_memory_ordered 1
		.amdhsa_forward_progress 1
		.amdhsa_inst_pref_size 0
		.amdhsa_round_robin_scheduling 0
		.amdhsa_exception_fp_ieee_invalid_op 0
		.amdhsa_exception_fp_denorm_src 0
		.amdhsa_exception_fp_ieee_div_zero 0
		.amdhsa_exception_fp_ieee_overflow 0
		.amdhsa_exception_fp_ieee_underflow 0
		.amdhsa_exception_fp_ieee_inexact 0
		.amdhsa_exception_int_div_zero 0
	.end_amdhsa_kernel
	.section	.text._ZN7rocprim17ROCPRIM_400000_NS6detail17trampoline_kernelINS0_14default_configENS1_25partition_config_selectorILNS1_17partition_subalgoE9EllbEEZZNS1_14partition_implILS5_9ELb0ES3_jPlS8_PNS0_10empty_typeENS0_5tupleIJS8_S9_EEENSB_IJS8_SA_EEENS0_18inequality_wrapperIZN2at6native12_GLOBAL__N_124unique_dim_cuda_templateIjEESt5tupleIJNSF_6TensorESK_SK_EERKSK_lbbbEUlllE0_EEPmJS9_EEE10hipError_tPvRmT3_T4_T5_T6_T7_T9_mT8_P12ihipStream_tbDpT10_ENKUlT_T0_E_clISt17integral_constantIbLb0EES1A_EEDaS15_S16_EUlS15_E_NS1_11comp_targetILNS1_3genE4ELNS1_11target_archE910ELNS1_3gpuE8ELNS1_3repE0EEENS1_30default_config_static_selectorELNS0_4arch9wavefront6targetE0EEEvT1_,"axG",@progbits,_ZN7rocprim17ROCPRIM_400000_NS6detail17trampoline_kernelINS0_14default_configENS1_25partition_config_selectorILNS1_17partition_subalgoE9EllbEEZZNS1_14partition_implILS5_9ELb0ES3_jPlS8_PNS0_10empty_typeENS0_5tupleIJS8_S9_EEENSB_IJS8_SA_EEENS0_18inequality_wrapperIZN2at6native12_GLOBAL__N_124unique_dim_cuda_templateIjEESt5tupleIJNSF_6TensorESK_SK_EERKSK_lbbbEUlllE0_EEPmJS9_EEE10hipError_tPvRmT3_T4_T5_T6_T7_T9_mT8_P12ihipStream_tbDpT10_ENKUlT_T0_E_clISt17integral_constantIbLb0EES1A_EEDaS15_S16_EUlS15_E_NS1_11comp_targetILNS1_3genE4ELNS1_11target_archE910ELNS1_3gpuE8ELNS1_3repE0EEENS1_30default_config_static_selectorELNS0_4arch9wavefront6targetE0EEEvT1_,comdat
.Lfunc_end1575:
	.size	_ZN7rocprim17ROCPRIM_400000_NS6detail17trampoline_kernelINS0_14default_configENS1_25partition_config_selectorILNS1_17partition_subalgoE9EllbEEZZNS1_14partition_implILS5_9ELb0ES3_jPlS8_PNS0_10empty_typeENS0_5tupleIJS8_S9_EEENSB_IJS8_SA_EEENS0_18inequality_wrapperIZN2at6native12_GLOBAL__N_124unique_dim_cuda_templateIjEESt5tupleIJNSF_6TensorESK_SK_EERKSK_lbbbEUlllE0_EEPmJS9_EEE10hipError_tPvRmT3_T4_T5_T6_T7_T9_mT8_P12ihipStream_tbDpT10_ENKUlT_T0_E_clISt17integral_constantIbLb0EES1A_EEDaS15_S16_EUlS15_E_NS1_11comp_targetILNS1_3genE4ELNS1_11target_archE910ELNS1_3gpuE8ELNS1_3repE0EEENS1_30default_config_static_selectorELNS0_4arch9wavefront6targetE0EEEvT1_, .Lfunc_end1575-_ZN7rocprim17ROCPRIM_400000_NS6detail17trampoline_kernelINS0_14default_configENS1_25partition_config_selectorILNS1_17partition_subalgoE9EllbEEZZNS1_14partition_implILS5_9ELb0ES3_jPlS8_PNS0_10empty_typeENS0_5tupleIJS8_S9_EEENSB_IJS8_SA_EEENS0_18inequality_wrapperIZN2at6native12_GLOBAL__N_124unique_dim_cuda_templateIjEESt5tupleIJNSF_6TensorESK_SK_EERKSK_lbbbEUlllE0_EEPmJS9_EEE10hipError_tPvRmT3_T4_T5_T6_T7_T9_mT8_P12ihipStream_tbDpT10_ENKUlT_T0_E_clISt17integral_constantIbLb0EES1A_EEDaS15_S16_EUlS15_E_NS1_11comp_targetILNS1_3genE4ELNS1_11target_archE910ELNS1_3gpuE8ELNS1_3repE0EEENS1_30default_config_static_selectorELNS0_4arch9wavefront6targetE0EEEvT1_
                                        ; -- End function
	.set _ZN7rocprim17ROCPRIM_400000_NS6detail17trampoline_kernelINS0_14default_configENS1_25partition_config_selectorILNS1_17partition_subalgoE9EllbEEZZNS1_14partition_implILS5_9ELb0ES3_jPlS8_PNS0_10empty_typeENS0_5tupleIJS8_S9_EEENSB_IJS8_SA_EEENS0_18inequality_wrapperIZN2at6native12_GLOBAL__N_124unique_dim_cuda_templateIjEESt5tupleIJNSF_6TensorESK_SK_EERKSK_lbbbEUlllE0_EEPmJS9_EEE10hipError_tPvRmT3_T4_T5_T6_T7_T9_mT8_P12ihipStream_tbDpT10_ENKUlT_T0_E_clISt17integral_constantIbLb0EES1A_EEDaS15_S16_EUlS15_E_NS1_11comp_targetILNS1_3genE4ELNS1_11target_archE910ELNS1_3gpuE8ELNS1_3repE0EEENS1_30default_config_static_selectorELNS0_4arch9wavefront6targetE0EEEvT1_.num_vgpr, 0
	.set _ZN7rocprim17ROCPRIM_400000_NS6detail17trampoline_kernelINS0_14default_configENS1_25partition_config_selectorILNS1_17partition_subalgoE9EllbEEZZNS1_14partition_implILS5_9ELb0ES3_jPlS8_PNS0_10empty_typeENS0_5tupleIJS8_S9_EEENSB_IJS8_SA_EEENS0_18inequality_wrapperIZN2at6native12_GLOBAL__N_124unique_dim_cuda_templateIjEESt5tupleIJNSF_6TensorESK_SK_EERKSK_lbbbEUlllE0_EEPmJS9_EEE10hipError_tPvRmT3_T4_T5_T6_T7_T9_mT8_P12ihipStream_tbDpT10_ENKUlT_T0_E_clISt17integral_constantIbLb0EES1A_EEDaS15_S16_EUlS15_E_NS1_11comp_targetILNS1_3genE4ELNS1_11target_archE910ELNS1_3gpuE8ELNS1_3repE0EEENS1_30default_config_static_selectorELNS0_4arch9wavefront6targetE0EEEvT1_.num_agpr, 0
	.set _ZN7rocprim17ROCPRIM_400000_NS6detail17trampoline_kernelINS0_14default_configENS1_25partition_config_selectorILNS1_17partition_subalgoE9EllbEEZZNS1_14partition_implILS5_9ELb0ES3_jPlS8_PNS0_10empty_typeENS0_5tupleIJS8_S9_EEENSB_IJS8_SA_EEENS0_18inequality_wrapperIZN2at6native12_GLOBAL__N_124unique_dim_cuda_templateIjEESt5tupleIJNSF_6TensorESK_SK_EERKSK_lbbbEUlllE0_EEPmJS9_EEE10hipError_tPvRmT3_T4_T5_T6_T7_T9_mT8_P12ihipStream_tbDpT10_ENKUlT_T0_E_clISt17integral_constantIbLb0EES1A_EEDaS15_S16_EUlS15_E_NS1_11comp_targetILNS1_3genE4ELNS1_11target_archE910ELNS1_3gpuE8ELNS1_3repE0EEENS1_30default_config_static_selectorELNS0_4arch9wavefront6targetE0EEEvT1_.numbered_sgpr, 0
	.set _ZN7rocprim17ROCPRIM_400000_NS6detail17trampoline_kernelINS0_14default_configENS1_25partition_config_selectorILNS1_17partition_subalgoE9EllbEEZZNS1_14partition_implILS5_9ELb0ES3_jPlS8_PNS0_10empty_typeENS0_5tupleIJS8_S9_EEENSB_IJS8_SA_EEENS0_18inequality_wrapperIZN2at6native12_GLOBAL__N_124unique_dim_cuda_templateIjEESt5tupleIJNSF_6TensorESK_SK_EERKSK_lbbbEUlllE0_EEPmJS9_EEE10hipError_tPvRmT3_T4_T5_T6_T7_T9_mT8_P12ihipStream_tbDpT10_ENKUlT_T0_E_clISt17integral_constantIbLb0EES1A_EEDaS15_S16_EUlS15_E_NS1_11comp_targetILNS1_3genE4ELNS1_11target_archE910ELNS1_3gpuE8ELNS1_3repE0EEENS1_30default_config_static_selectorELNS0_4arch9wavefront6targetE0EEEvT1_.num_named_barrier, 0
	.set _ZN7rocprim17ROCPRIM_400000_NS6detail17trampoline_kernelINS0_14default_configENS1_25partition_config_selectorILNS1_17partition_subalgoE9EllbEEZZNS1_14partition_implILS5_9ELb0ES3_jPlS8_PNS0_10empty_typeENS0_5tupleIJS8_S9_EEENSB_IJS8_SA_EEENS0_18inequality_wrapperIZN2at6native12_GLOBAL__N_124unique_dim_cuda_templateIjEESt5tupleIJNSF_6TensorESK_SK_EERKSK_lbbbEUlllE0_EEPmJS9_EEE10hipError_tPvRmT3_T4_T5_T6_T7_T9_mT8_P12ihipStream_tbDpT10_ENKUlT_T0_E_clISt17integral_constantIbLb0EES1A_EEDaS15_S16_EUlS15_E_NS1_11comp_targetILNS1_3genE4ELNS1_11target_archE910ELNS1_3gpuE8ELNS1_3repE0EEENS1_30default_config_static_selectorELNS0_4arch9wavefront6targetE0EEEvT1_.private_seg_size, 0
	.set _ZN7rocprim17ROCPRIM_400000_NS6detail17trampoline_kernelINS0_14default_configENS1_25partition_config_selectorILNS1_17partition_subalgoE9EllbEEZZNS1_14partition_implILS5_9ELb0ES3_jPlS8_PNS0_10empty_typeENS0_5tupleIJS8_S9_EEENSB_IJS8_SA_EEENS0_18inequality_wrapperIZN2at6native12_GLOBAL__N_124unique_dim_cuda_templateIjEESt5tupleIJNSF_6TensorESK_SK_EERKSK_lbbbEUlllE0_EEPmJS9_EEE10hipError_tPvRmT3_T4_T5_T6_T7_T9_mT8_P12ihipStream_tbDpT10_ENKUlT_T0_E_clISt17integral_constantIbLb0EES1A_EEDaS15_S16_EUlS15_E_NS1_11comp_targetILNS1_3genE4ELNS1_11target_archE910ELNS1_3gpuE8ELNS1_3repE0EEENS1_30default_config_static_selectorELNS0_4arch9wavefront6targetE0EEEvT1_.uses_vcc, 0
	.set _ZN7rocprim17ROCPRIM_400000_NS6detail17trampoline_kernelINS0_14default_configENS1_25partition_config_selectorILNS1_17partition_subalgoE9EllbEEZZNS1_14partition_implILS5_9ELb0ES3_jPlS8_PNS0_10empty_typeENS0_5tupleIJS8_S9_EEENSB_IJS8_SA_EEENS0_18inequality_wrapperIZN2at6native12_GLOBAL__N_124unique_dim_cuda_templateIjEESt5tupleIJNSF_6TensorESK_SK_EERKSK_lbbbEUlllE0_EEPmJS9_EEE10hipError_tPvRmT3_T4_T5_T6_T7_T9_mT8_P12ihipStream_tbDpT10_ENKUlT_T0_E_clISt17integral_constantIbLb0EES1A_EEDaS15_S16_EUlS15_E_NS1_11comp_targetILNS1_3genE4ELNS1_11target_archE910ELNS1_3gpuE8ELNS1_3repE0EEENS1_30default_config_static_selectorELNS0_4arch9wavefront6targetE0EEEvT1_.uses_flat_scratch, 0
	.set _ZN7rocprim17ROCPRIM_400000_NS6detail17trampoline_kernelINS0_14default_configENS1_25partition_config_selectorILNS1_17partition_subalgoE9EllbEEZZNS1_14partition_implILS5_9ELb0ES3_jPlS8_PNS0_10empty_typeENS0_5tupleIJS8_S9_EEENSB_IJS8_SA_EEENS0_18inequality_wrapperIZN2at6native12_GLOBAL__N_124unique_dim_cuda_templateIjEESt5tupleIJNSF_6TensorESK_SK_EERKSK_lbbbEUlllE0_EEPmJS9_EEE10hipError_tPvRmT3_T4_T5_T6_T7_T9_mT8_P12ihipStream_tbDpT10_ENKUlT_T0_E_clISt17integral_constantIbLb0EES1A_EEDaS15_S16_EUlS15_E_NS1_11comp_targetILNS1_3genE4ELNS1_11target_archE910ELNS1_3gpuE8ELNS1_3repE0EEENS1_30default_config_static_selectorELNS0_4arch9wavefront6targetE0EEEvT1_.has_dyn_sized_stack, 0
	.set _ZN7rocprim17ROCPRIM_400000_NS6detail17trampoline_kernelINS0_14default_configENS1_25partition_config_selectorILNS1_17partition_subalgoE9EllbEEZZNS1_14partition_implILS5_9ELb0ES3_jPlS8_PNS0_10empty_typeENS0_5tupleIJS8_S9_EEENSB_IJS8_SA_EEENS0_18inequality_wrapperIZN2at6native12_GLOBAL__N_124unique_dim_cuda_templateIjEESt5tupleIJNSF_6TensorESK_SK_EERKSK_lbbbEUlllE0_EEPmJS9_EEE10hipError_tPvRmT3_T4_T5_T6_T7_T9_mT8_P12ihipStream_tbDpT10_ENKUlT_T0_E_clISt17integral_constantIbLb0EES1A_EEDaS15_S16_EUlS15_E_NS1_11comp_targetILNS1_3genE4ELNS1_11target_archE910ELNS1_3gpuE8ELNS1_3repE0EEENS1_30default_config_static_selectorELNS0_4arch9wavefront6targetE0EEEvT1_.has_recursion, 0
	.set _ZN7rocprim17ROCPRIM_400000_NS6detail17trampoline_kernelINS0_14default_configENS1_25partition_config_selectorILNS1_17partition_subalgoE9EllbEEZZNS1_14partition_implILS5_9ELb0ES3_jPlS8_PNS0_10empty_typeENS0_5tupleIJS8_S9_EEENSB_IJS8_SA_EEENS0_18inequality_wrapperIZN2at6native12_GLOBAL__N_124unique_dim_cuda_templateIjEESt5tupleIJNSF_6TensorESK_SK_EERKSK_lbbbEUlllE0_EEPmJS9_EEE10hipError_tPvRmT3_T4_T5_T6_T7_T9_mT8_P12ihipStream_tbDpT10_ENKUlT_T0_E_clISt17integral_constantIbLb0EES1A_EEDaS15_S16_EUlS15_E_NS1_11comp_targetILNS1_3genE4ELNS1_11target_archE910ELNS1_3gpuE8ELNS1_3repE0EEENS1_30default_config_static_selectorELNS0_4arch9wavefront6targetE0EEEvT1_.has_indirect_call, 0
	.section	.AMDGPU.csdata,"",@progbits
; Kernel info:
; codeLenInByte = 0
; TotalNumSgprs: 0
; NumVgprs: 0
; ScratchSize: 0
; MemoryBound: 0
; FloatMode: 240
; IeeeMode: 1
; LDSByteSize: 0 bytes/workgroup (compile time only)
; SGPRBlocks: 0
; VGPRBlocks: 0
; NumSGPRsForWavesPerEU: 1
; NumVGPRsForWavesPerEU: 1
; NamedBarCnt: 0
; Occupancy: 16
; WaveLimiterHint : 0
; COMPUTE_PGM_RSRC2:SCRATCH_EN: 0
; COMPUTE_PGM_RSRC2:USER_SGPR: 2
; COMPUTE_PGM_RSRC2:TRAP_HANDLER: 0
; COMPUTE_PGM_RSRC2:TGID_X_EN: 1
; COMPUTE_PGM_RSRC2:TGID_Y_EN: 0
; COMPUTE_PGM_RSRC2:TGID_Z_EN: 0
; COMPUTE_PGM_RSRC2:TIDIG_COMP_CNT: 0
	.section	.text._ZN7rocprim17ROCPRIM_400000_NS6detail17trampoline_kernelINS0_14default_configENS1_25partition_config_selectorILNS1_17partition_subalgoE9EllbEEZZNS1_14partition_implILS5_9ELb0ES3_jPlS8_PNS0_10empty_typeENS0_5tupleIJS8_S9_EEENSB_IJS8_SA_EEENS0_18inequality_wrapperIZN2at6native12_GLOBAL__N_124unique_dim_cuda_templateIjEESt5tupleIJNSF_6TensorESK_SK_EERKSK_lbbbEUlllE0_EEPmJS9_EEE10hipError_tPvRmT3_T4_T5_T6_T7_T9_mT8_P12ihipStream_tbDpT10_ENKUlT_T0_E_clISt17integral_constantIbLb0EES1A_EEDaS15_S16_EUlS15_E_NS1_11comp_targetILNS1_3genE3ELNS1_11target_archE908ELNS1_3gpuE7ELNS1_3repE0EEENS1_30default_config_static_selectorELNS0_4arch9wavefront6targetE0EEEvT1_,"axG",@progbits,_ZN7rocprim17ROCPRIM_400000_NS6detail17trampoline_kernelINS0_14default_configENS1_25partition_config_selectorILNS1_17partition_subalgoE9EllbEEZZNS1_14partition_implILS5_9ELb0ES3_jPlS8_PNS0_10empty_typeENS0_5tupleIJS8_S9_EEENSB_IJS8_SA_EEENS0_18inequality_wrapperIZN2at6native12_GLOBAL__N_124unique_dim_cuda_templateIjEESt5tupleIJNSF_6TensorESK_SK_EERKSK_lbbbEUlllE0_EEPmJS9_EEE10hipError_tPvRmT3_T4_T5_T6_T7_T9_mT8_P12ihipStream_tbDpT10_ENKUlT_T0_E_clISt17integral_constantIbLb0EES1A_EEDaS15_S16_EUlS15_E_NS1_11comp_targetILNS1_3genE3ELNS1_11target_archE908ELNS1_3gpuE7ELNS1_3repE0EEENS1_30default_config_static_selectorELNS0_4arch9wavefront6targetE0EEEvT1_,comdat
	.globl	_ZN7rocprim17ROCPRIM_400000_NS6detail17trampoline_kernelINS0_14default_configENS1_25partition_config_selectorILNS1_17partition_subalgoE9EllbEEZZNS1_14partition_implILS5_9ELb0ES3_jPlS8_PNS0_10empty_typeENS0_5tupleIJS8_S9_EEENSB_IJS8_SA_EEENS0_18inequality_wrapperIZN2at6native12_GLOBAL__N_124unique_dim_cuda_templateIjEESt5tupleIJNSF_6TensorESK_SK_EERKSK_lbbbEUlllE0_EEPmJS9_EEE10hipError_tPvRmT3_T4_T5_T6_T7_T9_mT8_P12ihipStream_tbDpT10_ENKUlT_T0_E_clISt17integral_constantIbLb0EES1A_EEDaS15_S16_EUlS15_E_NS1_11comp_targetILNS1_3genE3ELNS1_11target_archE908ELNS1_3gpuE7ELNS1_3repE0EEENS1_30default_config_static_selectorELNS0_4arch9wavefront6targetE0EEEvT1_ ; -- Begin function _ZN7rocprim17ROCPRIM_400000_NS6detail17trampoline_kernelINS0_14default_configENS1_25partition_config_selectorILNS1_17partition_subalgoE9EllbEEZZNS1_14partition_implILS5_9ELb0ES3_jPlS8_PNS0_10empty_typeENS0_5tupleIJS8_S9_EEENSB_IJS8_SA_EEENS0_18inequality_wrapperIZN2at6native12_GLOBAL__N_124unique_dim_cuda_templateIjEESt5tupleIJNSF_6TensorESK_SK_EERKSK_lbbbEUlllE0_EEPmJS9_EEE10hipError_tPvRmT3_T4_T5_T6_T7_T9_mT8_P12ihipStream_tbDpT10_ENKUlT_T0_E_clISt17integral_constantIbLb0EES1A_EEDaS15_S16_EUlS15_E_NS1_11comp_targetILNS1_3genE3ELNS1_11target_archE908ELNS1_3gpuE7ELNS1_3repE0EEENS1_30default_config_static_selectorELNS0_4arch9wavefront6targetE0EEEvT1_
	.p2align	8
	.type	_ZN7rocprim17ROCPRIM_400000_NS6detail17trampoline_kernelINS0_14default_configENS1_25partition_config_selectorILNS1_17partition_subalgoE9EllbEEZZNS1_14partition_implILS5_9ELb0ES3_jPlS8_PNS0_10empty_typeENS0_5tupleIJS8_S9_EEENSB_IJS8_SA_EEENS0_18inequality_wrapperIZN2at6native12_GLOBAL__N_124unique_dim_cuda_templateIjEESt5tupleIJNSF_6TensorESK_SK_EERKSK_lbbbEUlllE0_EEPmJS9_EEE10hipError_tPvRmT3_T4_T5_T6_T7_T9_mT8_P12ihipStream_tbDpT10_ENKUlT_T0_E_clISt17integral_constantIbLb0EES1A_EEDaS15_S16_EUlS15_E_NS1_11comp_targetILNS1_3genE3ELNS1_11target_archE908ELNS1_3gpuE7ELNS1_3repE0EEENS1_30default_config_static_selectorELNS0_4arch9wavefront6targetE0EEEvT1_,@function
_ZN7rocprim17ROCPRIM_400000_NS6detail17trampoline_kernelINS0_14default_configENS1_25partition_config_selectorILNS1_17partition_subalgoE9EllbEEZZNS1_14partition_implILS5_9ELb0ES3_jPlS8_PNS0_10empty_typeENS0_5tupleIJS8_S9_EEENSB_IJS8_SA_EEENS0_18inequality_wrapperIZN2at6native12_GLOBAL__N_124unique_dim_cuda_templateIjEESt5tupleIJNSF_6TensorESK_SK_EERKSK_lbbbEUlllE0_EEPmJS9_EEE10hipError_tPvRmT3_T4_T5_T6_T7_T9_mT8_P12ihipStream_tbDpT10_ENKUlT_T0_E_clISt17integral_constantIbLb0EES1A_EEDaS15_S16_EUlS15_E_NS1_11comp_targetILNS1_3genE3ELNS1_11target_archE908ELNS1_3gpuE7ELNS1_3repE0EEENS1_30default_config_static_selectorELNS0_4arch9wavefront6targetE0EEEvT1_: ; @_ZN7rocprim17ROCPRIM_400000_NS6detail17trampoline_kernelINS0_14default_configENS1_25partition_config_selectorILNS1_17partition_subalgoE9EllbEEZZNS1_14partition_implILS5_9ELb0ES3_jPlS8_PNS0_10empty_typeENS0_5tupleIJS8_S9_EEENSB_IJS8_SA_EEENS0_18inequality_wrapperIZN2at6native12_GLOBAL__N_124unique_dim_cuda_templateIjEESt5tupleIJNSF_6TensorESK_SK_EERKSK_lbbbEUlllE0_EEPmJS9_EEE10hipError_tPvRmT3_T4_T5_T6_T7_T9_mT8_P12ihipStream_tbDpT10_ENKUlT_T0_E_clISt17integral_constantIbLb0EES1A_EEDaS15_S16_EUlS15_E_NS1_11comp_targetILNS1_3genE3ELNS1_11target_archE908ELNS1_3gpuE7ELNS1_3repE0EEENS1_30default_config_static_selectorELNS0_4arch9wavefront6targetE0EEEvT1_
; %bb.0:
	.section	.rodata,"a",@progbits
	.p2align	6, 0x0
	.amdhsa_kernel _ZN7rocprim17ROCPRIM_400000_NS6detail17trampoline_kernelINS0_14default_configENS1_25partition_config_selectorILNS1_17partition_subalgoE9EllbEEZZNS1_14partition_implILS5_9ELb0ES3_jPlS8_PNS0_10empty_typeENS0_5tupleIJS8_S9_EEENSB_IJS8_SA_EEENS0_18inequality_wrapperIZN2at6native12_GLOBAL__N_124unique_dim_cuda_templateIjEESt5tupleIJNSF_6TensorESK_SK_EERKSK_lbbbEUlllE0_EEPmJS9_EEE10hipError_tPvRmT3_T4_T5_T6_T7_T9_mT8_P12ihipStream_tbDpT10_ENKUlT_T0_E_clISt17integral_constantIbLb0EES1A_EEDaS15_S16_EUlS15_E_NS1_11comp_targetILNS1_3genE3ELNS1_11target_archE908ELNS1_3gpuE7ELNS1_3repE0EEENS1_30default_config_static_selectorELNS0_4arch9wavefront6targetE0EEEvT1_
		.amdhsa_group_segment_fixed_size 0
		.amdhsa_private_segment_fixed_size 0
		.amdhsa_kernarg_size 120
		.amdhsa_user_sgpr_count 2
		.amdhsa_user_sgpr_dispatch_ptr 0
		.amdhsa_user_sgpr_queue_ptr 0
		.amdhsa_user_sgpr_kernarg_segment_ptr 1
		.amdhsa_user_sgpr_dispatch_id 0
		.amdhsa_user_sgpr_kernarg_preload_length 0
		.amdhsa_user_sgpr_kernarg_preload_offset 0
		.amdhsa_user_sgpr_private_segment_size 0
		.amdhsa_wavefront_size32 1
		.amdhsa_uses_dynamic_stack 0
		.amdhsa_enable_private_segment 0
		.amdhsa_system_sgpr_workgroup_id_x 1
		.amdhsa_system_sgpr_workgroup_id_y 0
		.amdhsa_system_sgpr_workgroup_id_z 0
		.amdhsa_system_sgpr_workgroup_info 0
		.amdhsa_system_vgpr_workitem_id 0
		.amdhsa_next_free_vgpr 1
		.amdhsa_next_free_sgpr 1
		.amdhsa_named_barrier_count 0
		.amdhsa_reserve_vcc 0
		.amdhsa_float_round_mode_32 0
		.amdhsa_float_round_mode_16_64 0
		.amdhsa_float_denorm_mode_32 3
		.amdhsa_float_denorm_mode_16_64 3
		.amdhsa_fp16_overflow 0
		.amdhsa_memory_ordered 1
		.amdhsa_forward_progress 1
		.amdhsa_inst_pref_size 0
		.amdhsa_round_robin_scheduling 0
		.amdhsa_exception_fp_ieee_invalid_op 0
		.amdhsa_exception_fp_denorm_src 0
		.amdhsa_exception_fp_ieee_div_zero 0
		.amdhsa_exception_fp_ieee_overflow 0
		.amdhsa_exception_fp_ieee_underflow 0
		.amdhsa_exception_fp_ieee_inexact 0
		.amdhsa_exception_int_div_zero 0
	.end_amdhsa_kernel
	.section	.text._ZN7rocprim17ROCPRIM_400000_NS6detail17trampoline_kernelINS0_14default_configENS1_25partition_config_selectorILNS1_17partition_subalgoE9EllbEEZZNS1_14partition_implILS5_9ELb0ES3_jPlS8_PNS0_10empty_typeENS0_5tupleIJS8_S9_EEENSB_IJS8_SA_EEENS0_18inequality_wrapperIZN2at6native12_GLOBAL__N_124unique_dim_cuda_templateIjEESt5tupleIJNSF_6TensorESK_SK_EERKSK_lbbbEUlllE0_EEPmJS9_EEE10hipError_tPvRmT3_T4_T5_T6_T7_T9_mT8_P12ihipStream_tbDpT10_ENKUlT_T0_E_clISt17integral_constantIbLb0EES1A_EEDaS15_S16_EUlS15_E_NS1_11comp_targetILNS1_3genE3ELNS1_11target_archE908ELNS1_3gpuE7ELNS1_3repE0EEENS1_30default_config_static_selectorELNS0_4arch9wavefront6targetE0EEEvT1_,"axG",@progbits,_ZN7rocprim17ROCPRIM_400000_NS6detail17trampoline_kernelINS0_14default_configENS1_25partition_config_selectorILNS1_17partition_subalgoE9EllbEEZZNS1_14partition_implILS5_9ELb0ES3_jPlS8_PNS0_10empty_typeENS0_5tupleIJS8_S9_EEENSB_IJS8_SA_EEENS0_18inequality_wrapperIZN2at6native12_GLOBAL__N_124unique_dim_cuda_templateIjEESt5tupleIJNSF_6TensorESK_SK_EERKSK_lbbbEUlllE0_EEPmJS9_EEE10hipError_tPvRmT3_T4_T5_T6_T7_T9_mT8_P12ihipStream_tbDpT10_ENKUlT_T0_E_clISt17integral_constantIbLb0EES1A_EEDaS15_S16_EUlS15_E_NS1_11comp_targetILNS1_3genE3ELNS1_11target_archE908ELNS1_3gpuE7ELNS1_3repE0EEENS1_30default_config_static_selectorELNS0_4arch9wavefront6targetE0EEEvT1_,comdat
.Lfunc_end1576:
	.size	_ZN7rocprim17ROCPRIM_400000_NS6detail17trampoline_kernelINS0_14default_configENS1_25partition_config_selectorILNS1_17partition_subalgoE9EllbEEZZNS1_14partition_implILS5_9ELb0ES3_jPlS8_PNS0_10empty_typeENS0_5tupleIJS8_S9_EEENSB_IJS8_SA_EEENS0_18inequality_wrapperIZN2at6native12_GLOBAL__N_124unique_dim_cuda_templateIjEESt5tupleIJNSF_6TensorESK_SK_EERKSK_lbbbEUlllE0_EEPmJS9_EEE10hipError_tPvRmT3_T4_T5_T6_T7_T9_mT8_P12ihipStream_tbDpT10_ENKUlT_T0_E_clISt17integral_constantIbLb0EES1A_EEDaS15_S16_EUlS15_E_NS1_11comp_targetILNS1_3genE3ELNS1_11target_archE908ELNS1_3gpuE7ELNS1_3repE0EEENS1_30default_config_static_selectorELNS0_4arch9wavefront6targetE0EEEvT1_, .Lfunc_end1576-_ZN7rocprim17ROCPRIM_400000_NS6detail17trampoline_kernelINS0_14default_configENS1_25partition_config_selectorILNS1_17partition_subalgoE9EllbEEZZNS1_14partition_implILS5_9ELb0ES3_jPlS8_PNS0_10empty_typeENS0_5tupleIJS8_S9_EEENSB_IJS8_SA_EEENS0_18inequality_wrapperIZN2at6native12_GLOBAL__N_124unique_dim_cuda_templateIjEESt5tupleIJNSF_6TensorESK_SK_EERKSK_lbbbEUlllE0_EEPmJS9_EEE10hipError_tPvRmT3_T4_T5_T6_T7_T9_mT8_P12ihipStream_tbDpT10_ENKUlT_T0_E_clISt17integral_constantIbLb0EES1A_EEDaS15_S16_EUlS15_E_NS1_11comp_targetILNS1_3genE3ELNS1_11target_archE908ELNS1_3gpuE7ELNS1_3repE0EEENS1_30default_config_static_selectorELNS0_4arch9wavefront6targetE0EEEvT1_
                                        ; -- End function
	.set _ZN7rocprim17ROCPRIM_400000_NS6detail17trampoline_kernelINS0_14default_configENS1_25partition_config_selectorILNS1_17partition_subalgoE9EllbEEZZNS1_14partition_implILS5_9ELb0ES3_jPlS8_PNS0_10empty_typeENS0_5tupleIJS8_S9_EEENSB_IJS8_SA_EEENS0_18inequality_wrapperIZN2at6native12_GLOBAL__N_124unique_dim_cuda_templateIjEESt5tupleIJNSF_6TensorESK_SK_EERKSK_lbbbEUlllE0_EEPmJS9_EEE10hipError_tPvRmT3_T4_T5_T6_T7_T9_mT8_P12ihipStream_tbDpT10_ENKUlT_T0_E_clISt17integral_constantIbLb0EES1A_EEDaS15_S16_EUlS15_E_NS1_11comp_targetILNS1_3genE3ELNS1_11target_archE908ELNS1_3gpuE7ELNS1_3repE0EEENS1_30default_config_static_selectorELNS0_4arch9wavefront6targetE0EEEvT1_.num_vgpr, 0
	.set _ZN7rocprim17ROCPRIM_400000_NS6detail17trampoline_kernelINS0_14default_configENS1_25partition_config_selectorILNS1_17partition_subalgoE9EllbEEZZNS1_14partition_implILS5_9ELb0ES3_jPlS8_PNS0_10empty_typeENS0_5tupleIJS8_S9_EEENSB_IJS8_SA_EEENS0_18inequality_wrapperIZN2at6native12_GLOBAL__N_124unique_dim_cuda_templateIjEESt5tupleIJNSF_6TensorESK_SK_EERKSK_lbbbEUlllE0_EEPmJS9_EEE10hipError_tPvRmT3_T4_T5_T6_T7_T9_mT8_P12ihipStream_tbDpT10_ENKUlT_T0_E_clISt17integral_constantIbLb0EES1A_EEDaS15_S16_EUlS15_E_NS1_11comp_targetILNS1_3genE3ELNS1_11target_archE908ELNS1_3gpuE7ELNS1_3repE0EEENS1_30default_config_static_selectorELNS0_4arch9wavefront6targetE0EEEvT1_.num_agpr, 0
	.set _ZN7rocprim17ROCPRIM_400000_NS6detail17trampoline_kernelINS0_14default_configENS1_25partition_config_selectorILNS1_17partition_subalgoE9EllbEEZZNS1_14partition_implILS5_9ELb0ES3_jPlS8_PNS0_10empty_typeENS0_5tupleIJS8_S9_EEENSB_IJS8_SA_EEENS0_18inequality_wrapperIZN2at6native12_GLOBAL__N_124unique_dim_cuda_templateIjEESt5tupleIJNSF_6TensorESK_SK_EERKSK_lbbbEUlllE0_EEPmJS9_EEE10hipError_tPvRmT3_T4_T5_T6_T7_T9_mT8_P12ihipStream_tbDpT10_ENKUlT_T0_E_clISt17integral_constantIbLb0EES1A_EEDaS15_S16_EUlS15_E_NS1_11comp_targetILNS1_3genE3ELNS1_11target_archE908ELNS1_3gpuE7ELNS1_3repE0EEENS1_30default_config_static_selectorELNS0_4arch9wavefront6targetE0EEEvT1_.numbered_sgpr, 0
	.set _ZN7rocprim17ROCPRIM_400000_NS6detail17trampoline_kernelINS0_14default_configENS1_25partition_config_selectorILNS1_17partition_subalgoE9EllbEEZZNS1_14partition_implILS5_9ELb0ES3_jPlS8_PNS0_10empty_typeENS0_5tupleIJS8_S9_EEENSB_IJS8_SA_EEENS0_18inequality_wrapperIZN2at6native12_GLOBAL__N_124unique_dim_cuda_templateIjEESt5tupleIJNSF_6TensorESK_SK_EERKSK_lbbbEUlllE0_EEPmJS9_EEE10hipError_tPvRmT3_T4_T5_T6_T7_T9_mT8_P12ihipStream_tbDpT10_ENKUlT_T0_E_clISt17integral_constantIbLb0EES1A_EEDaS15_S16_EUlS15_E_NS1_11comp_targetILNS1_3genE3ELNS1_11target_archE908ELNS1_3gpuE7ELNS1_3repE0EEENS1_30default_config_static_selectorELNS0_4arch9wavefront6targetE0EEEvT1_.num_named_barrier, 0
	.set _ZN7rocprim17ROCPRIM_400000_NS6detail17trampoline_kernelINS0_14default_configENS1_25partition_config_selectorILNS1_17partition_subalgoE9EllbEEZZNS1_14partition_implILS5_9ELb0ES3_jPlS8_PNS0_10empty_typeENS0_5tupleIJS8_S9_EEENSB_IJS8_SA_EEENS0_18inequality_wrapperIZN2at6native12_GLOBAL__N_124unique_dim_cuda_templateIjEESt5tupleIJNSF_6TensorESK_SK_EERKSK_lbbbEUlllE0_EEPmJS9_EEE10hipError_tPvRmT3_T4_T5_T6_T7_T9_mT8_P12ihipStream_tbDpT10_ENKUlT_T0_E_clISt17integral_constantIbLb0EES1A_EEDaS15_S16_EUlS15_E_NS1_11comp_targetILNS1_3genE3ELNS1_11target_archE908ELNS1_3gpuE7ELNS1_3repE0EEENS1_30default_config_static_selectorELNS0_4arch9wavefront6targetE0EEEvT1_.private_seg_size, 0
	.set _ZN7rocprim17ROCPRIM_400000_NS6detail17trampoline_kernelINS0_14default_configENS1_25partition_config_selectorILNS1_17partition_subalgoE9EllbEEZZNS1_14partition_implILS5_9ELb0ES3_jPlS8_PNS0_10empty_typeENS0_5tupleIJS8_S9_EEENSB_IJS8_SA_EEENS0_18inequality_wrapperIZN2at6native12_GLOBAL__N_124unique_dim_cuda_templateIjEESt5tupleIJNSF_6TensorESK_SK_EERKSK_lbbbEUlllE0_EEPmJS9_EEE10hipError_tPvRmT3_T4_T5_T6_T7_T9_mT8_P12ihipStream_tbDpT10_ENKUlT_T0_E_clISt17integral_constantIbLb0EES1A_EEDaS15_S16_EUlS15_E_NS1_11comp_targetILNS1_3genE3ELNS1_11target_archE908ELNS1_3gpuE7ELNS1_3repE0EEENS1_30default_config_static_selectorELNS0_4arch9wavefront6targetE0EEEvT1_.uses_vcc, 0
	.set _ZN7rocprim17ROCPRIM_400000_NS6detail17trampoline_kernelINS0_14default_configENS1_25partition_config_selectorILNS1_17partition_subalgoE9EllbEEZZNS1_14partition_implILS5_9ELb0ES3_jPlS8_PNS0_10empty_typeENS0_5tupleIJS8_S9_EEENSB_IJS8_SA_EEENS0_18inequality_wrapperIZN2at6native12_GLOBAL__N_124unique_dim_cuda_templateIjEESt5tupleIJNSF_6TensorESK_SK_EERKSK_lbbbEUlllE0_EEPmJS9_EEE10hipError_tPvRmT3_T4_T5_T6_T7_T9_mT8_P12ihipStream_tbDpT10_ENKUlT_T0_E_clISt17integral_constantIbLb0EES1A_EEDaS15_S16_EUlS15_E_NS1_11comp_targetILNS1_3genE3ELNS1_11target_archE908ELNS1_3gpuE7ELNS1_3repE0EEENS1_30default_config_static_selectorELNS0_4arch9wavefront6targetE0EEEvT1_.uses_flat_scratch, 0
	.set _ZN7rocprim17ROCPRIM_400000_NS6detail17trampoline_kernelINS0_14default_configENS1_25partition_config_selectorILNS1_17partition_subalgoE9EllbEEZZNS1_14partition_implILS5_9ELb0ES3_jPlS8_PNS0_10empty_typeENS0_5tupleIJS8_S9_EEENSB_IJS8_SA_EEENS0_18inequality_wrapperIZN2at6native12_GLOBAL__N_124unique_dim_cuda_templateIjEESt5tupleIJNSF_6TensorESK_SK_EERKSK_lbbbEUlllE0_EEPmJS9_EEE10hipError_tPvRmT3_T4_T5_T6_T7_T9_mT8_P12ihipStream_tbDpT10_ENKUlT_T0_E_clISt17integral_constantIbLb0EES1A_EEDaS15_S16_EUlS15_E_NS1_11comp_targetILNS1_3genE3ELNS1_11target_archE908ELNS1_3gpuE7ELNS1_3repE0EEENS1_30default_config_static_selectorELNS0_4arch9wavefront6targetE0EEEvT1_.has_dyn_sized_stack, 0
	.set _ZN7rocprim17ROCPRIM_400000_NS6detail17trampoline_kernelINS0_14default_configENS1_25partition_config_selectorILNS1_17partition_subalgoE9EllbEEZZNS1_14partition_implILS5_9ELb0ES3_jPlS8_PNS0_10empty_typeENS0_5tupleIJS8_S9_EEENSB_IJS8_SA_EEENS0_18inequality_wrapperIZN2at6native12_GLOBAL__N_124unique_dim_cuda_templateIjEESt5tupleIJNSF_6TensorESK_SK_EERKSK_lbbbEUlllE0_EEPmJS9_EEE10hipError_tPvRmT3_T4_T5_T6_T7_T9_mT8_P12ihipStream_tbDpT10_ENKUlT_T0_E_clISt17integral_constantIbLb0EES1A_EEDaS15_S16_EUlS15_E_NS1_11comp_targetILNS1_3genE3ELNS1_11target_archE908ELNS1_3gpuE7ELNS1_3repE0EEENS1_30default_config_static_selectorELNS0_4arch9wavefront6targetE0EEEvT1_.has_recursion, 0
	.set _ZN7rocprim17ROCPRIM_400000_NS6detail17trampoline_kernelINS0_14default_configENS1_25partition_config_selectorILNS1_17partition_subalgoE9EllbEEZZNS1_14partition_implILS5_9ELb0ES3_jPlS8_PNS0_10empty_typeENS0_5tupleIJS8_S9_EEENSB_IJS8_SA_EEENS0_18inequality_wrapperIZN2at6native12_GLOBAL__N_124unique_dim_cuda_templateIjEESt5tupleIJNSF_6TensorESK_SK_EERKSK_lbbbEUlllE0_EEPmJS9_EEE10hipError_tPvRmT3_T4_T5_T6_T7_T9_mT8_P12ihipStream_tbDpT10_ENKUlT_T0_E_clISt17integral_constantIbLb0EES1A_EEDaS15_S16_EUlS15_E_NS1_11comp_targetILNS1_3genE3ELNS1_11target_archE908ELNS1_3gpuE7ELNS1_3repE0EEENS1_30default_config_static_selectorELNS0_4arch9wavefront6targetE0EEEvT1_.has_indirect_call, 0
	.section	.AMDGPU.csdata,"",@progbits
; Kernel info:
; codeLenInByte = 0
; TotalNumSgprs: 0
; NumVgprs: 0
; ScratchSize: 0
; MemoryBound: 0
; FloatMode: 240
; IeeeMode: 1
; LDSByteSize: 0 bytes/workgroup (compile time only)
; SGPRBlocks: 0
; VGPRBlocks: 0
; NumSGPRsForWavesPerEU: 1
; NumVGPRsForWavesPerEU: 1
; NamedBarCnt: 0
; Occupancy: 16
; WaveLimiterHint : 0
; COMPUTE_PGM_RSRC2:SCRATCH_EN: 0
; COMPUTE_PGM_RSRC2:USER_SGPR: 2
; COMPUTE_PGM_RSRC2:TRAP_HANDLER: 0
; COMPUTE_PGM_RSRC2:TGID_X_EN: 1
; COMPUTE_PGM_RSRC2:TGID_Y_EN: 0
; COMPUTE_PGM_RSRC2:TGID_Z_EN: 0
; COMPUTE_PGM_RSRC2:TIDIG_COMP_CNT: 0
	.section	.text._ZN7rocprim17ROCPRIM_400000_NS6detail17trampoline_kernelINS0_14default_configENS1_25partition_config_selectorILNS1_17partition_subalgoE9EllbEEZZNS1_14partition_implILS5_9ELb0ES3_jPlS8_PNS0_10empty_typeENS0_5tupleIJS8_S9_EEENSB_IJS8_SA_EEENS0_18inequality_wrapperIZN2at6native12_GLOBAL__N_124unique_dim_cuda_templateIjEESt5tupleIJNSF_6TensorESK_SK_EERKSK_lbbbEUlllE0_EEPmJS9_EEE10hipError_tPvRmT3_T4_T5_T6_T7_T9_mT8_P12ihipStream_tbDpT10_ENKUlT_T0_E_clISt17integral_constantIbLb0EES1A_EEDaS15_S16_EUlS15_E_NS1_11comp_targetILNS1_3genE2ELNS1_11target_archE906ELNS1_3gpuE6ELNS1_3repE0EEENS1_30default_config_static_selectorELNS0_4arch9wavefront6targetE0EEEvT1_,"axG",@progbits,_ZN7rocprim17ROCPRIM_400000_NS6detail17trampoline_kernelINS0_14default_configENS1_25partition_config_selectorILNS1_17partition_subalgoE9EllbEEZZNS1_14partition_implILS5_9ELb0ES3_jPlS8_PNS0_10empty_typeENS0_5tupleIJS8_S9_EEENSB_IJS8_SA_EEENS0_18inequality_wrapperIZN2at6native12_GLOBAL__N_124unique_dim_cuda_templateIjEESt5tupleIJNSF_6TensorESK_SK_EERKSK_lbbbEUlllE0_EEPmJS9_EEE10hipError_tPvRmT3_T4_T5_T6_T7_T9_mT8_P12ihipStream_tbDpT10_ENKUlT_T0_E_clISt17integral_constantIbLb0EES1A_EEDaS15_S16_EUlS15_E_NS1_11comp_targetILNS1_3genE2ELNS1_11target_archE906ELNS1_3gpuE6ELNS1_3repE0EEENS1_30default_config_static_selectorELNS0_4arch9wavefront6targetE0EEEvT1_,comdat
	.globl	_ZN7rocprim17ROCPRIM_400000_NS6detail17trampoline_kernelINS0_14default_configENS1_25partition_config_selectorILNS1_17partition_subalgoE9EllbEEZZNS1_14partition_implILS5_9ELb0ES3_jPlS8_PNS0_10empty_typeENS0_5tupleIJS8_S9_EEENSB_IJS8_SA_EEENS0_18inequality_wrapperIZN2at6native12_GLOBAL__N_124unique_dim_cuda_templateIjEESt5tupleIJNSF_6TensorESK_SK_EERKSK_lbbbEUlllE0_EEPmJS9_EEE10hipError_tPvRmT3_T4_T5_T6_T7_T9_mT8_P12ihipStream_tbDpT10_ENKUlT_T0_E_clISt17integral_constantIbLb0EES1A_EEDaS15_S16_EUlS15_E_NS1_11comp_targetILNS1_3genE2ELNS1_11target_archE906ELNS1_3gpuE6ELNS1_3repE0EEENS1_30default_config_static_selectorELNS0_4arch9wavefront6targetE0EEEvT1_ ; -- Begin function _ZN7rocprim17ROCPRIM_400000_NS6detail17trampoline_kernelINS0_14default_configENS1_25partition_config_selectorILNS1_17partition_subalgoE9EllbEEZZNS1_14partition_implILS5_9ELb0ES3_jPlS8_PNS0_10empty_typeENS0_5tupleIJS8_S9_EEENSB_IJS8_SA_EEENS0_18inequality_wrapperIZN2at6native12_GLOBAL__N_124unique_dim_cuda_templateIjEESt5tupleIJNSF_6TensorESK_SK_EERKSK_lbbbEUlllE0_EEPmJS9_EEE10hipError_tPvRmT3_T4_T5_T6_T7_T9_mT8_P12ihipStream_tbDpT10_ENKUlT_T0_E_clISt17integral_constantIbLb0EES1A_EEDaS15_S16_EUlS15_E_NS1_11comp_targetILNS1_3genE2ELNS1_11target_archE906ELNS1_3gpuE6ELNS1_3repE0EEENS1_30default_config_static_selectorELNS0_4arch9wavefront6targetE0EEEvT1_
	.p2align	8
	.type	_ZN7rocprim17ROCPRIM_400000_NS6detail17trampoline_kernelINS0_14default_configENS1_25partition_config_selectorILNS1_17partition_subalgoE9EllbEEZZNS1_14partition_implILS5_9ELb0ES3_jPlS8_PNS0_10empty_typeENS0_5tupleIJS8_S9_EEENSB_IJS8_SA_EEENS0_18inequality_wrapperIZN2at6native12_GLOBAL__N_124unique_dim_cuda_templateIjEESt5tupleIJNSF_6TensorESK_SK_EERKSK_lbbbEUlllE0_EEPmJS9_EEE10hipError_tPvRmT3_T4_T5_T6_T7_T9_mT8_P12ihipStream_tbDpT10_ENKUlT_T0_E_clISt17integral_constantIbLb0EES1A_EEDaS15_S16_EUlS15_E_NS1_11comp_targetILNS1_3genE2ELNS1_11target_archE906ELNS1_3gpuE6ELNS1_3repE0EEENS1_30default_config_static_selectorELNS0_4arch9wavefront6targetE0EEEvT1_,@function
_ZN7rocprim17ROCPRIM_400000_NS6detail17trampoline_kernelINS0_14default_configENS1_25partition_config_selectorILNS1_17partition_subalgoE9EllbEEZZNS1_14partition_implILS5_9ELb0ES3_jPlS8_PNS0_10empty_typeENS0_5tupleIJS8_S9_EEENSB_IJS8_SA_EEENS0_18inequality_wrapperIZN2at6native12_GLOBAL__N_124unique_dim_cuda_templateIjEESt5tupleIJNSF_6TensorESK_SK_EERKSK_lbbbEUlllE0_EEPmJS9_EEE10hipError_tPvRmT3_T4_T5_T6_T7_T9_mT8_P12ihipStream_tbDpT10_ENKUlT_T0_E_clISt17integral_constantIbLb0EES1A_EEDaS15_S16_EUlS15_E_NS1_11comp_targetILNS1_3genE2ELNS1_11target_archE906ELNS1_3gpuE6ELNS1_3repE0EEENS1_30default_config_static_selectorELNS0_4arch9wavefront6targetE0EEEvT1_: ; @_ZN7rocprim17ROCPRIM_400000_NS6detail17trampoline_kernelINS0_14default_configENS1_25partition_config_selectorILNS1_17partition_subalgoE9EllbEEZZNS1_14partition_implILS5_9ELb0ES3_jPlS8_PNS0_10empty_typeENS0_5tupleIJS8_S9_EEENSB_IJS8_SA_EEENS0_18inequality_wrapperIZN2at6native12_GLOBAL__N_124unique_dim_cuda_templateIjEESt5tupleIJNSF_6TensorESK_SK_EERKSK_lbbbEUlllE0_EEPmJS9_EEE10hipError_tPvRmT3_T4_T5_T6_T7_T9_mT8_P12ihipStream_tbDpT10_ENKUlT_T0_E_clISt17integral_constantIbLb0EES1A_EEDaS15_S16_EUlS15_E_NS1_11comp_targetILNS1_3genE2ELNS1_11target_archE906ELNS1_3gpuE6ELNS1_3repE0EEENS1_30default_config_static_selectorELNS0_4arch9wavefront6targetE0EEEvT1_
; %bb.0:
	.section	.rodata,"a",@progbits
	.p2align	6, 0x0
	.amdhsa_kernel _ZN7rocprim17ROCPRIM_400000_NS6detail17trampoline_kernelINS0_14default_configENS1_25partition_config_selectorILNS1_17partition_subalgoE9EllbEEZZNS1_14partition_implILS5_9ELb0ES3_jPlS8_PNS0_10empty_typeENS0_5tupleIJS8_S9_EEENSB_IJS8_SA_EEENS0_18inequality_wrapperIZN2at6native12_GLOBAL__N_124unique_dim_cuda_templateIjEESt5tupleIJNSF_6TensorESK_SK_EERKSK_lbbbEUlllE0_EEPmJS9_EEE10hipError_tPvRmT3_T4_T5_T6_T7_T9_mT8_P12ihipStream_tbDpT10_ENKUlT_T0_E_clISt17integral_constantIbLb0EES1A_EEDaS15_S16_EUlS15_E_NS1_11comp_targetILNS1_3genE2ELNS1_11target_archE906ELNS1_3gpuE6ELNS1_3repE0EEENS1_30default_config_static_selectorELNS0_4arch9wavefront6targetE0EEEvT1_
		.amdhsa_group_segment_fixed_size 0
		.amdhsa_private_segment_fixed_size 0
		.amdhsa_kernarg_size 120
		.amdhsa_user_sgpr_count 2
		.amdhsa_user_sgpr_dispatch_ptr 0
		.amdhsa_user_sgpr_queue_ptr 0
		.amdhsa_user_sgpr_kernarg_segment_ptr 1
		.amdhsa_user_sgpr_dispatch_id 0
		.amdhsa_user_sgpr_kernarg_preload_length 0
		.amdhsa_user_sgpr_kernarg_preload_offset 0
		.amdhsa_user_sgpr_private_segment_size 0
		.amdhsa_wavefront_size32 1
		.amdhsa_uses_dynamic_stack 0
		.amdhsa_enable_private_segment 0
		.amdhsa_system_sgpr_workgroup_id_x 1
		.amdhsa_system_sgpr_workgroup_id_y 0
		.amdhsa_system_sgpr_workgroup_id_z 0
		.amdhsa_system_sgpr_workgroup_info 0
		.amdhsa_system_vgpr_workitem_id 0
		.amdhsa_next_free_vgpr 1
		.amdhsa_next_free_sgpr 1
		.amdhsa_named_barrier_count 0
		.amdhsa_reserve_vcc 0
		.amdhsa_float_round_mode_32 0
		.amdhsa_float_round_mode_16_64 0
		.amdhsa_float_denorm_mode_32 3
		.amdhsa_float_denorm_mode_16_64 3
		.amdhsa_fp16_overflow 0
		.amdhsa_memory_ordered 1
		.amdhsa_forward_progress 1
		.amdhsa_inst_pref_size 0
		.amdhsa_round_robin_scheduling 0
		.amdhsa_exception_fp_ieee_invalid_op 0
		.amdhsa_exception_fp_denorm_src 0
		.amdhsa_exception_fp_ieee_div_zero 0
		.amdhsa_exception_fp_ieee_overflow 0
		.amdhsa_exception_fp_ieee_underflow 0
		.amdhsa_exception_fp_ieee_inexact 0
		.amdhsa_exception_int_div_zero 0
	.end_amdhsa_kernel
	.section	.text._ZN7rocprim17ROCPRIM_400000_NS6detail17trampoline_kernelINS0_14default_configENS1_25partition_config_selectorILNS1_17partition_subalgoE9EllbEEZZNS1_14partition_implILS5_9ELb0ES3_jPlS8_PNS0_10empty_typeENS0_5tupleIJS8_S9_EEENSB_IJS8_SA_EEENS0_18inequality_wrapperIZN2at6native12_GLOBAL__N_124unique_dim_cuda_templateIjEESt5tupleIJNSF_6TensorESK_SK_EERKSK_lbbbEUlllE0_EEPmJS9_EEE10hipError_tPvRmT3_T4_T5_T6_T7_T9_mT8_P12ihipStream_tbDpT10_ENKUlT_T0_E_clISt17integral_constantIbLb0EES1A_EEDaS15_S16_EUlS15_E_NS1_11comp_targetILNS1_3genE2ELNS1_11target_archE906ELNS1_3gpuE6ELNS1_3repE0EEENS1_30default_config_static_selectorELNS0_4arch9wavefront6targetE0EEEvT1_,"axG",@progbits,_ZN7rocprim17ROCPRIM_400000_NS6detail17trampoline_kernelINS0_14default_configENS1_25partition_config_selectorILNS1_17partition_subalgoE9EllbEEZZNS1_14partition_implILS5_9ELb0ES3_jPlS8_PNS0_10empty_typeENS0_5tupleIJS8_S9_EEENSB_IJS8_SA_EEENS0_18inequality_wrapperIZN2at6native12_GLOBAL__N_124unique_dim_cuda_templateIjEESt5tupleIJNSF_6TensorESK_SK_EERKSK_lbbbEUlllE0_EEPmJS9_EEE10hipError_tPvRmT3_T4_T5_T6_T7_T9_mT8_P12ihipStream_tbDpT10_ENKUlT_T0_E_clISt17integral_constantIbLb0EES1A_EEDaS15_S16_EUlS15_E_NS1_11comp_targetILNS1_3genE2ELNS1_11target_archE906ELNS1_3gpuE6ELNS1_3repE0EEENS1_30default_config_static_selectorELNS0_4arch9wavefront6targetE0EEEvT1_,comdat
.Lfunc_end1577:
	.size	_ZN7rocprim17ROCPRIM_400000_NS6detail17trampoline_kernelINS0_14default_configENS1_25partition_config_selectorILNS1_17partition_subalgoE9EllbEEZZNS1_14partition_implILS5_9ELb0ES3_jPlS8_PNS0_10empty_typeENS0_5tupleIJS8_S9_EEENSB_IJS8_SA_EEENS0_18inequality_wrapperIZN2at6native12_GLOBAL__N_124unique_dim_cuda_templateIjEESt5tupleIJNSF_6TensorESK_SK_EERKSK_lbbbEUlllE0_EEPmJS9_EEE10hipError_tPvRmT3_T4_T5_T6_T7_T9_mT8_P12ihipStream_tbDpT10_ENKUlT_T0_E_clISt17integral_constantIbLb0EES1A_EEDaS15_S16_EUlS15_E_NS1_11comp_targetILNS1_3genE2ELNS1_11target_archE906ELNS1_3gpuE6ELNS1_3repE0EEENS1_30default_config_static_selectorELNS0_4arch9wavefront6targetE0EEEvT1_, .Lfunc_end1577-_ZN7rocprim17ROCPRIM_400000_NS6detail17trampoline_kernelINS0_14default_configENS1_25partition_config_selectorILNS1_17partition_subalgoE9EllbEEZZNS1_14partition_implILS5_9ELb0ES3_jPlS8_PNS0_10empty_typeENS0_5tupleIJS8_S9_EEENSB_IJS8_SA_EEENS0_18inequality_wrapperIZN2at6native12_GLOBAL__N_124unique_dim_cuda_templateIjEESt5tupleIJNSF_6TensorESK_SK_EERKSK_lbbbEUlllE0_EEPmJS9_EEE10hipError_tPvRmT3_T4_T5_T6_T7_T9_mT8_P12ihipStream_tbDpT10_ENKUlT_T0_E_clISt17integral_constantIbLb0EES1A_EEDaS15_S16_EUlS15_E_NS1_11comp_targetILNS1_3genE2ELNS1_11target_archE906ELNS1_3gpuE6ELNS1_3repE0EEENS1_30default_config_static_selectorELNS0_4arch9wavefront6targetE0EEEvT1_
                                        ; -- End function
	.set _ZN7rocprim17ROCPRIM_400000_NS6detail17trampoline_kernelINS0_14default_configENS1_25partition_config_selectorILNS1_17partition_subalgoE9EllbEEZZNS1_14partition_implILS5_9ELb0ES3_jPlS8_PNS0_10empty_typeENS0_5tupleIJS8_S9_EEENSB_IJS8_SA_EEENS0_18inequality_wrapperIZN2at6native12_GLOBAL__N_124unique_dim_cuda_templateIjEESt5tupleIJNSF_6TensorESK_SK_EERKSK_lbbbEUlllE0_EEPmJS9_EEE10hipError_tPvRmT3_T4_T5_T6_T7_T9_mT8_P12ihipStream_tbDpT10_ENKUlT_T0_E_clISt17integral_constantIbLb0EES1A_EEDaS15_S16_EUlS15_E_NS1_11comp_targetILNS1_3genE2ELNS1_11target_archE906ELNS1_3gpuE6ELNS1_3repE0EEENS1_30default_config_static_selectorELNS0_4arch9wavefront6targetE0EEEvT1_.num_vgpr, 0
	.set _ZN7rocprim17ROCPRIM_400000_NS6detail17trampoline_kernelINS0_14default_configENS1_25partition_config_selectorILNS1_17partition_subalgoE9EllbEEZZNS1_14partition_implILS5_9ELb0ES3_jPlS8_PNS0_10empty_typeENS0_5tupleIJS8_S9_EEENSB_IJS8_SA_EEENS0_18inequality_wrapperIZN2at6native12_GLOBAL__N_124unique_dim_cuda_templateIjEESt5tupleIJNSF_6TensorESK_SK_EERKSK_lbbbEUlllE0_EEPmJS9_EEE10hipError_tPvRmT3_T4_T5_T6_T7_T9_mT8_P12ihipStream_tbDpT10_ENKUlT_T0_E_clISt17integral_constantIbLb0EES1A_EEDaS15_S16_EUlS15_E_NS1_11comp_targetILNS1_3genE2ELNS1_11target_archE906ELNS1_3gpuE6ELNS1_3repE0EEENS1_30default_config_static_selectorELNS0_4arch9wavefront6targetE0EEEvT1_.num_agpr, 0
	.set _ZN7rocprim17ROCPRIM_400000_NS6detail17trampoline_kernelINS0_14default_configENS1_25partition_config_selectorILNS1_17partition_subalgoE9EllbEEZZNS1_14partition_implILS5_9ELb0ES3_jPlS8_PNS0_10empty_typeENS0_5tupleIJS8_S9_EEENSB_IJS8_SA_EEENS0_18inequality_wrapperIZN2at6native12_GLOBAL__N_124unique_dim_cuda_templateIjEESt5tupleIJNSF_6TensorESK_SK_EERKSK_lbbbEUlllE0_EEPmJS9_EEE10hipError_tPvRmT3_T4_T5_T6_T7_T9_mT8_P12ihipStream_tbDpT10_ENKUlT_T0_E_clISt17integral_constantIbLb0EES1A_EEDaS15_S16_EUlS15_E_NS1_11comp_targetILNS1_3genE2ELNS1_11target_archE906ELNS1_3gpuE6ELNS1_3repE0EEENS1_30default_config_static_selectorELNS0_4arch9wavefront6targetE0EEEvT1_.numbered_sgpr, 0
	.set _ZN7rocprim17ROCPRIM_400000_NS6detail17trampoline_kernelINS0_14default_configENS1_25partition_config_selectorILNS1_17partition_subalgoE9EllbEEZZNS1_14partition_implILS5_9ELb0ES3_jPlS8_PNS0_10empty_typeENS0_5tupleIJS8_S9_EEENSB_IJS8_SA_EEENS0_18inequality_wrapperIZN2at6native12_GLOBAL__N_124unique_dim_cuda_templateIjEESt5tupleIJNSF_6TensorESK_SK_EERKSK_lbbbEUlllE0_EEPmJS9_EEE10hipError_tPvRmT3_T4_T5_T6_T7_T9_mT8_P12ihipStream_tbDpT10_ENKUlT_T0_E_clISt17integral_constantIbLb0EES1A_EEDaS15_S16_EUlS15_E_NS1_11comp_targetILNS1_3genE2ELNS1_11target_archE906ELNS1_3gpuE6ELNS1_3repE0EEENS1_30default_config_static_selectorELNS0_4arch9wavefront6targetE0EEEvT1_.num_named_barrier, 0
	.set _ZN7rocprim17ROCPRIM_400000_NS6detail17trampoline_kernelINS0_14default_configENS1_25partition_config_selectorILNS1_17partition_subalgoE9EllbEEZZNS1_14partition_implILS5_9ELb0ES3_jPlS8_PNS0_10empty_typeENS0_5tupleIJS8_S9_EEENSB_IJS8_SA_EEENS0_18inequality_wrapperIZN2at6native12_GLOBAL__N_124unique_dim_cuda_templateIjEESt5tupleIJNSF_6TensorESK_SK_EERKSK_lbbbEUlllE0_EEPmJS9_EEE10hipError_tPvRmT3_T4_T5_T6_T7_T9_mT8_P12ihipStream_tbDpT10_ENKUlT_T0_E_clISt17integral_constantIbLb0EES1A_EEDaS15_S16_EUlS15_E_NS1_11comp_targetILNS1_3genE2ELNS1_11target_archE906ELNS1_3gpuE6ELNS1_3repE0EEENS1_30default_config_static_selectorELNS0_4arch9wavefront6targetE0EEEvT1_.private_seg_size, 0
	.set _ZN7rocprim17ROCPRIM_400000_NS6detail17trampoline_kernelINS0_14default_configENS1_25partition_config_selectorILNS1_17partition_subalgoE9EllbEEZZNS1_14partition_implILS5_9ELb0ES3_jPlS8_PNS0_10empty_typeENS0_5tupleIJS8_S9_EEENSB_IJS8_SA_EEENS0_18inequality_wrapperIZN2at6native12_GLOBAL__N_124unique_dim_cuda_templateIjEESt5tupleIJNSF_6TensorESK_SK_EERKSK_lbbbEUlllE0_EEPmJS9_EEE10hipError_tPvRmT3_T4_T5_T6_T7_T9_mT8_P12ihipStream_tbDpT10_ENKUlT_T0_E_clISt17integral_constantIbLb0EES1A_EEDaS15_S16_EUlS15_E_NS1_11comp_targetILNS1_3genE2ELNS1_11target_archE906ELNS1_3gpuE6ELNS1_3repE0EEENS1_30default_config_static_selectorELNS0_4arch9wavefront6targetE0EEEvT1_.uses_vcc, 0
	.set _ZN7rocprim17ROCPRIM_400000_NS6detail17trampoline_kernelINS0_14default_configENS1_25partition_config_selectorILNS1_17partition_subalgoE9EllbEEZZNS1_14partition_implILS5_9ELb0ES3_jPlS8_PNS0_10empty_typeENS0_5tupleIJS8_S9_EEENSB_IJS8_SA_EEENS0_18inequality_wrapperIZN2at6native12_GLOBAL__N_124unique_dim_cuda_templateIjEESt5tupleIJNSF_6TensorESK_SK_EERKSK_lbbbEUlllE0_EEPmJS9_EEE10hipError_tPvRmT3_T4_T5_T6_T7_T9_mT8_P12ihipStream_tbDpT10_ENKUlT_T0_E_clISt17integral_constantIbLb0EES1A_EEDaS15_S16_EUlS15_E_NS1_11comp_targetILNS1_3genE2ELNS1_11target_archE906ELNS1_3gpuE6ELNS1_3repE0EEENS1_30default_config_static_selectorELNS0_4arch9wavefront6targetE0EEEvT1_.uses_flat_scratch, 0
	.set _ZN7rocprim17ROCPRIM_400000_NS6detail17trampoline_kernelINS0_14default_configENS1_25partition_config_selectorILNS1_17partition_subalgoE9EllbEEZZNS1_14partition_implILS5_9ELb0ES3_jPlS8_PNS0_10empty_typeENS0_5tupleIJS8_S9_EEENSB_IJS8_SA_EEENS0_18inequality_wrapperIZN2at6native12_GLOBAL__N_124unique_dim_cuda_templateIjEESt5tupleIJNSF_6TensorESK_SK_EERKSK_lbbbEUlllE0_EEPmJS9_EEE10hipError_tPvRmT3_T4_T5_T6_T7_T9_mT8_P12ihipStream_tbDpT10_ENKUlT_T0_E_clISt17integral_constantIbLb0EES1A_EEDaS15_S16_EUlS15_E_NS1_11comp_targetILNS1_3genE2ELNS1_11target_archE906ELNS1_3gpuE6ELNS1_3repE0EEENS1_30default_config_static_selectorELNS0_4arch9wavefront6targetE0EEEvT1_.has_dyn_sized_stack, 0
	.set _ZN7rocprim17ROCPRIM_400000_NS6detail17trampoline_kernelINS0_14default_configENS1_25partition_config_selectorILNS1_17partition_subalgoE9EllbEEZZNS1_14partition_implILS5_9ELb0ES3_jPlS8_PNS0_10empty_typeENS0_5tupleIJS8_S9_EEENSB_IJS8_SA_EEENS0_18inequality_wrapperIZN2at6native12_GLOBAL__N_124unique_dim_cuda_templateIjEESt5tupleIJNSF_6TensorESK_SK_EERKSK_lbbbEUlllE0_EEPmJS9_EEE10hipError_tPvRmT3_T4_T5_T6_T7_T9_mT8_P12ihipStream_tbDpT10_ENKUlT_T0_E_clISt17integral_constantIbLb0EES1A_EEDaS15_S16_EUlS15_E_NS1_11comp_targetILNS1_3genE2ELNS1_11target_archE906ELNS1_3gpuE6ELNS1_3repE0EEENS1_30default_config_static_selectorELNS0_4arch9wavefront6targetE0EEEvT1_.has_recursion, 0
	.set _ZN7rocprim17ROCPRIM_400000_NS6detail17trampoline_kernelINS0_14default_configENS1_25partition_config_selectorILNS1_17partition_subalgoE9EllbEEZZNS1_14partition_implILS5_9ELb0ES3_jPlS8_PNS0_10empty_typeENS0_5tupleIJS8_S9_EEENSB_IJS8_SA_EEENS0_18inequality_wrapperIZN2at6native12_GLOBAL__N_124unique_dim_cuda_templateIjEESt5tupleIJNSF_6TensorESK_SK_EERKSK_lbbbEUlllE0_EEPmJS9_EEE10hipError_tPvRmT3_T4_T5_T6_T7_T9_mT8_P12ihipStream_tbDpT10_ENKUlT_T0_E_clISt17integral_constantIbLb0EES1A_EEDaS15_S16_EUlS15_E_NS1_11comp_targetILNS1_3genE2ELNS1_11target_archE906ELNS1_3gpuE6ELNS1_3repE0EEENS1_30default_config_static_selectorELNS0_4arch9wavefront6targetE0EEEvT1_.has_indirect_call, 0
	.section	.AMDGPU.csdata,"",@progbits
; Kernel info:
; codeLenInByte = 0
; TotalNumSgprs: 0
; NumVgprs: 0
; ScratchSize: 0
; MemoryBound: 0
; FloatMode: 240
; IeeeMode: 1
; LDSByteSize: 0 bytes/workgroup (compile time only)
; SGPRBlocks: 0
; VGPRBlocks: 0
; NumSGPRsForWavesPerEU: 1
; NumVGPRsForWavesPerEU: 1
; NamedBarCnt: 0
; Occupancy: 16
; WaveLimiterHint : 0
; COMPUTE_PGM_RSRC2:SCRATCH_EN: 0
; COMPUTE_PGM_RSRC2:USER_SGPR: 2
; COMPUTE_PGM_RSRC2:TRAP_HANDLER: 0
; COMPUTE_PGM_RSRC2:TGID_X_EN: 1
; COMPUTE_PGM_RSRC2:TGID_Y_EN: 0
; COMPUTE_PGM_RSRC2:TGID_Z_EN: 0
; COMPUTE_PGM_RSRC2:TIDIG_COMP_CNT: 0
	.section	.text._ZN7rocprim17ROCPRIM_400000_NS6detail17trampoline_kernelINS0_14default_configENS1_25partition_config_selectorILNS1_17partition_subalgoE9EllbEEZZNS1_14partition_implILS5_9ELb0ES3_jPlS8_PNS0_10empty_typeENS0_5tupleIJS8_S9_EEENSB_IJS8_SA_EEENS0_18inequality_wrapperIZN2at6native12_GLOBAL__N_124unique_dim_cuda_templateIjEESt5tupleIJNSF_6TensorESK_SK_EERKSK_lbbbEUlllE0_EEPmJS9_EEE10hipError_tPvRmT3_T4_T5_T6_T7_T9_mT8_P12ihipStream_tbDpT10_ENKUlT_T0_E_clISt17integral_constantIbLb0EES1A_EEDaS15_S16_EUlS15_E_NS1_11comp_targetILNS1_3genE10ELNS1_11target_archE1200ELNS1_3gpuE4ELNS1_3repE0EEENS1_30default_config_static_selectorELNS0_4arch9wavefront6targetE0EEEvT1_,"axG",@progbits,_ZN7rocprim17ROCPRIM_400000_NS6detail17trampoline_kernelINS0_14default_configENS1_25partition_config_selectorILNS1_17partition_subalgoE9EllbEEZZNS1_14partition_implILS5_9ELb0ES3_jPlS8_PNS0_10empty_typeENS0_5tupleIJS8_S9_EEENSB_IJS8_SA_EEENS0_18inequality_wrapperIZN2at6native12_GLOBAL__N_124unique_dim_cuda_templateIjEESt5tupleIJNSF_6TensorESK_SK_EERKSK_lbbbEUlllE0_EEPmJS9_EEE10hipError_tPvRmT3_T4_T5_T6_T7_T9_mT8_P12ihipStream_tbDpT10_ENKUlT_T0_E_clISt17integral_constantIbLb0EES1A_EEDaS15_S16_EUlS15_E_NS1_11comp_targetILNS1_3genE10ELNS1_11target_archE1200ELNS1_3gpuE4ELNS1_3repE0EEENS1_30default_config_static_selectorELNS0_4arch9wavefront6targetE0EEEvT1_,comdat
	.globl	_ZN7rocprim17ROCPRIM_400000_NS6detail17trampoline_kernelINS0_14default_configENS1_25partition_config_selectorILNS1_17partition_subalgoE9EllbEEZZNS1_14partition_implILS5_9ELb0ES3_jPlS8_PNS0_10empty_typeENS0_5tupleIJS8_S9_EEENSB_IJS8_SA_EEENS0_18inequality_wrapperIZN2at6native12_GLOBAL__N_124unique_dim_cuda_templateIjEESt5tupleIJNSF_6TensorESK_SK_EERKSK_lbbbEUlllE0_EEPmJS9_EEE10hipError_tPvRmT3_T4_T5_T6_T7_T9_mT8_P12ihipStream_tbDpT10_ENKUlT_T0_E_clISt17integral_constantIbLb0EES1A_EEDaS15_S16_EUlS15_E_NS1_11comp_targetILNS1_3genE10ELNS1_11target_archE1200ELNS1_3gpuE4ELNS1_3repE0EEENS1_30default_config_static_selectorELNS0_4arch9wavefront6targetE0EEEvT1_ ; -- Begin function _ZN7rocprim17ROCPRIM_400000_NS6detail17trampoline_kernelINS0_14default_configENS1_25partition_config_selectorILNS1_17partition_subalgoE9EllbEEZZNS1_14partition_implILS5_9ELb0ES3_jPlS8_PNS0_10empty_typeENS0_5tupleIJS8_S9_EEENSB_IJS8_SA_EEENS0_18inequality_wrapperIZN2at6native12_GLOBAL__N_124unique_dim_cuda_templateIjEESt5tupleIJNSF_6TensorESK_SK_EERKSK_lbbbEUlllE0_EEPmJS9_EEE10hipError_tPvRmT3_T4_T5_T6_T7_T9_mT8_P12ihipStream_tbDpT10_ENKUlT_T0_E_clISt17integral_constantIbLb0EES1A_EEDaS15_S16_EUlS15_E_NS1_11comp_targetILNS1_3genE10ELNS1_11target_archE1200ELNS1_3gpuE4ELNS1_3repE0EEENS1_30default_config_static_selectorELNS0_4arch9wavefront6targetE0EEEvT1_
	.p2align	8
	.type	_ZN7rocprim17ROCPRIM_400000_NS6detail17trampoline_kernelINS0_14default_configENS1_25partition_config_selectorILNS1_17partition_subalgoE9EllbEEZZNS1_14partition_implILS5_9ELb0ES3_jPlS8_PNS0_10empty_typeENS0_5tupleIJS8_S9_EEENSB_IJS8_SA_EEENS0_18inequality_wrapperIZN2at6native12_GLOBAL__N_124unique_dim_cuda_templateIjEESt5tupleIJNSF_6TensorESK_SK_EERKSK_lbbbEUlllE0_EEPmJS9_EEE10hipError_tPvRmT3_T4_T5_T6_T7_T9_mT8_P12ihipStream_tbDpT10_ENKUlT_T0_E_clISt17integral_constantIbLb0EES1A_EEDaS15_S16_EUlS15_E_NS1_11comp_targetILNS1_3genE10ELNS1_11target_archE1200ELNS1_3gpuE4ELNS1_3repE0EEENS1_30default_config_static_selectorELNS0_4arch9wavefront6targetE0EEEvT1_,@function
_ZN7rocprim17ROCPRIM_400000_NS6detail17trampoline_kernelINS0_14default_configENS1_25partition_config_selectorILNS1_17partition_subalgoE9EllbEEZZNS1_14partition_implILS5_9ELb0ES3_jPlS8_PNS0_10empty_typeENS0_5tupleIJS8_S9_EEENSB_IJS8_SA_EEENS0_18inequality_wrapperIZN2at6native12_GLOBAL__N_124unique_dim_cuda_templateIjEESt5tupleIJNSF_6TensorESK_SK_EERKSK_lbbbEUlllE0_EEPmJS9_EEE10hipError_tPvRmT3_T4_T5_T6_T7_T9_mT8_P12ihipStream_tbDpT10_ENKUlT_T0_E_clISt17integral_constantIbLb0EES1A_EEDaS15_S16_EUlS15_E_NS1_11comp_targetILNS1_3genE10ELNS1_11target_archE1200ELNS1_3gpuE4ELNS1_3repE0EEENS1_30default_config_static_selectorELNS0_4arch9wavefront6targetE0EEEvT1_: ; @_ZN7rocprim17ROCPRIM_400000_NS6detail17trampoline_kernelINS0_14default_configENS1_25partition_config_selectorILNS1_17partition_subalgoE9EllbEEZZNS1_14partition_implILS5_9ELb0ES3_jPlS8_PNS0_10empty_typeENS0_5tupleIJS8_S9_EEENSB_IJS8_SA_EEENS0_18inequality_wrapperIZN2at6native12_GLOBAL__N_124unique_dim_cuda_templateIjEESt5tupleIJNSF_6TensorESK_SK_EERKSK_lbbbEUlllE0_EEPmJS9_EEE10hipError_tPvRmT3_T4_T5_T6_T7_T9_mT8_P12ihipStream_tbDpT10_ENKUlT_T0_E_clISt17integral_constantIbLb0EES1A_EEDaS15_S16_EUlS15_E_NS1_11comp_targetILNS1_3genE10ELNS1_11target_archE1200ELNS1_3gpuE4ELNS1_3repE0EEENS1_30default_config_static_selectorELNS0_4arch9wavefront6targetE0EEEvT1_
; %bb.0:
	.section	.rodata,"a",@progbits
	.p2align	6, 0x0
	.amdhsa_kernel _ZN7rocprim17ROCPRIM_400000_NS6detail17trampoline_kernelINS0_14default_configENS1_25partition_config_selectorILNS1_17partition_subalgoE9EllbEEZZNS1_14partition_implILS5_9ELb0ES3_jPlS8_PNS0_10empty_typeENS0_5tupleIJS8_S9_EEENSB_IJS8_SA_EEENS0_18inequality_wrapperIZN2at6native12_GLOBAL__N_124unique_dim_cuda_templateIjEESt5tupleIJNSF_6TensorESK_SK_EERKSK_lbbbEUlllE0_EEPmJS9_EEE10hipError_tPvRmT3_T4_T5_T6_T7_T9_mT8_P12ihipStream_tbDpT10_ENKUlT_T0_E_clISt17integral_constantIbLb0EES1A_EEDaS15_S16_EUlS15_E_NS1_11comp_targetILNS1_3genE10ELNS1_11target_archE1200ELNS1_3gpuE4ELNS1_3repE0EEENS1_30default_config_static_selectorELNS0_4arch9wavefront6targetE0EEEvT1_
		.amdhsa_group_segment_fixed_size 0
		.amdhsa_private_segment_fixed_size 0
		.amdhsa_kernarg_size 120
		.amdhsa_user_sgpr_count 2
		.amdhsa_user_sgpr_dispatch_ptr 0
		.amdhsa_user_sgpr_queue_ptr 0
		.amdhsa_user_sgpr_kernarg_segment_ptr 1
		.amdhsa_user_sgpr_dispatch_id 0
		.amdhsa_user_sgpr_kernarg_preload_length 0
		.amdhsa_user_sgpr_kernarg_preload_offset 0
		.amdhsa_user_sgpr_private_segment_size 0
		.amdhsa_wavefront_size32 1
		.amdhsa_uses_dynamic_stack 0
		.amdhsa_enable_private_segment 0
		.amdhsa_system_sgpr_workgroup_id_x 1
		.amdhsa_system_sgpr_workgroup_id_y 0
		.amdhsa_system_sgpr_workgroup_id_z 0
		.amdhsa_system_sgpr_workgroup_info 0
		.amdhsa_system_vgpr_workitem_id 0
		.amdhsa_next_free_vgpr 1
		.amdhsa_next_free_sgpr 1
		.amdhsa_named_barrier_count 0
		.amdhsa_reserve_vcc 0
		.amdhsa_float_round_mode_32 0
		.amdhsa_float_round_mode_16_64 0
		.amdhsa_float_denorm_mode_32 3
		.amdhsa_float_denorm_mode_16_64 3
		.amdhsa_fp16_overflow 0
		.amdhsa_memory_ordered 1
		.amdhsa_forward_progress 1
		.amdhsa_inst_pref_size 0
		.amdhsa_round_robin_scheduling 0
		.amdhsa_exception_fp_ieee_invalid_op 0
		.amdhsa_exception_fp_denorm_src 0
		.amdhsa_exception_fp_ieee_div_zero 0
		.amdhsa_exception_fp_ieee_overflow 0
		.amdhsa_exception_fp_ieee_underflow 0
		.amdhsa_exception_fp_ieee_inexact 0
		.amdhsa_exception_int_div_zero 0
	.end_amdhsa_kernel
	.section	.text._ZN7rocprim17ROCPRIM_400000_NS6detail17trampoline_kernelINS0_14default_configENS1_25partition_config_selectorILNS1_17partition_subalgoE9EllbEEZZNS1_14partition_implILS5_9ELb0ES3_jPlS8_PNS0_10empty_typeENS0_5tupleIJS8_S9_EEENSB_IJS8_SA_EEENS0_18inequality_wrapperIZN2at6native12_GLOBAL__N_124unique_dim_cuda_templateIjEESt5tupleIJNSF_6TensorESK_SK_EERKSK_lbbbEUlllE0_EEPmJS9_EEE10hipError_tPvRmT3_T4_T5_T6_T7_T9_mT8_P12ihipStream_tbDpT10_ENKUlT_T0_E_clISt17integral_constantIbLb0EES1A_EEDaS15_S16_EUlS15_E_NS1_11comp_targetILNS1_3genE10ELNS1_11target_archE1200ELNS1_3gpuE4ELNS1_3repE0EEENS1_30default_config_static_selectorELNS0_4arch9wavefront6targetE0EEEvT1_,"axG",@progbits,_ZN7rocprim17ROCPRIM_400000_NS6detail17trampoline_kernelINS0_14default_configENS1_25partition_config_selectorILNS1_17partition_subalgoE9EllbEEZZNS1_14partition_implILS5_9ELb0ES3_jPlS8_PNS0_10empty_typeENS0_5tupleIJS8_S9_EEENSB_IJS8_SA_EEENS0_18inequality_wrapperIZN2at6native12_GLOBAL__N_124unique_dim_cuda_templateIjEESt5tupleIJNSF_6TensorESK_SK_EERKSK_lbbbEUlllE0_EEPmJS9_EEE10hipError_tPvRmT3_T4_T5_T6_T7_T9_mT8_P12ihipStream_tbDpT10_ENKUlT_T0_E_clISt17integral_constantIbLb0EES1A_EEDaS15_S16_EUlS15_E_NS1_11comp_targetILNS1_3genE10ELNS1_11target_archE1200ELNS1_3gpuE4ELNS1_3repE0EEENS1_30default_config_static_selectorELNS0_4arch9wavefront6targetE0EEEvT1_,comdat
.Lfunc_end1578:
	.size	_ZN7rocprim17ROCPRIM_400000_NS6detail17trampoline_kernelINS0_14default_configENS1_25partition_config_selectorILNS1_17partition_subalgoE9EllbEEZZNS1_14partition_implILS5_9ELb0ES3_jPlS8_PNS0_10empty_typeENS0_5tupleIJS8_S9_EEENSB_IJS8_SA_EEENS0_18inequality_wrapperIZN2at6native12_GLOBAL__N_124unique_dim_cuda_templateIjEESt5tupleIJNSF_6TensorESK_SK_EERKSK_lbbbEUlllE0_EEPmJS9_EEE10hipError_tPvRmT3_T4_T5_T6_T7_T9_mT8_P12ihipStream_tbDpT10_ENKUlT_T0_E_clISt17integral_constantIbLb0EES1A_EEDaS15_S16_EUlS15_E_NS1_11comp_targetILNS1_3genE10ELNS1_11target_archE1200ELNS1_3gpuE4ELNS1_3repE0EEENS1_30default_config_static_selectorELNS0_4arch9wavefront6targetE0EEEvT1_, .Lfunc_end1578-_ZN7rocprim17ROCPRIM_400000_NS6detail17trampoline_kernelINS0_14default_configENS1_25partition_config_selectorILNS1_17partition_subalgoE9EllbEEZZNS1_14partition_implILS5_9ELb0ES3_jPlS8_PNS0_10empty_typeENS0_5tupleIJS8_S9_EEENSB_IJS8_SA_EEENS0_18inequality_wrapperIZN2at6native12_GLOBAL__N_124unique_dim_cuda_templateIjEESt5tupleIJNSF_6TensorESK_SK_EERKSK_lbbbEUlllE0_EEPmJS9_EEE10hipError_tPvRmT3_T4_T5_T6_T7_T9_mT8_P12ihipStream_tbDpT10_ENKUlT_T0_E_clISt17integral_constantIbLb0EES1A_EEDaS15_S16_EUlS15_E_NS1_11comp_targetILNS1_3genE10ELNS1_11target_archE1200ELNS1_3gpuE4ELNS1_3repE0EEENS1_30default_config_static_selectorELNS0_4arch9wavefront6targetE0EEEvT1_
                                        ; -- End function
	.set _ZN7rocprim17ROCPRIM_400000_NS6detail17trampoline_kernelINS0_14default_configENS1_25partition_config_selectorILNS1_17partition_subalgoE9EllbEEZZNS1_14partition_implILS5_9ELb0ES3_jPlS8_PNS0_10empty_typeENS0_5tupleIJS8_S9_EEENSB_IJS8_SA_EEENS0_18inequality_wrapperIZN2at6native12_GLOBAL__N_124unique_dim_cuda_templateIjEESt5tupleIJNSF_6TensorESK_SK_EERKSK_lbbbEUlllE0_EEPmJS9_EEE10hipError_tPvRmT3_T4_T5_T6_T7_T9_mT8_P12ihipStream_tbDpT10_ENKUlT_T0_E_clISt17integral_constantIbLb0EES1A_EEDaS15_S16_EUlS15_E_NS1_11comp_targetILNS1_3genE10ELNS1_11target_archE1200ELNS1_3gpuE4ELNS1_3repE0EEENS1_30default_config_static_selectorELNS0_4arch9wavefront6targetE0EEEvT1_.num_vgpr, 0
	.set _ZN7rocprim17ROCPRIM_400000_NS6detail17trampoline_kernelINS0_14default_configENS1_25partition_config_selectorILNS1_17partition_subalgoE9EllbEEZZNS1_14partition_implILS5_9ELb0ES3_jPlS8_PNS0_10empty_typeENS0_5tupleIJS8_S9_EEENSB_IJS8_SA_EEENS0_18inequality_wrapperIZN2at6native12_GLOBAL__N_124unique_dim_cuda_templateIjEESt5tupleIJNSF_6TensorESK_SK_EERKSK_lbbbEUlllE0_EEPmJS9_EEE10hipError_tPvRmT3_T4_T5_T6_T7_T9_mT8_P12ihipStream_tbDpT10_ENKUlT_T0_E_clISt17integral_constantIbLb0EES1A_EEDaS15_S16_EUlS15_E_NS1_11comp_targetILNS1_3genE10ELNS1_11target_archE1200ELNS1_3gpuE4ELNS1_3repE0EEENS1_30default_config_static_selectorELNS0_4arch9wavefront6targetE0EEEvT1_.num_agpr, 0
	.set _ZN7rocprim17ROCPRIM_400000_NS6detail17trampoline_kernelINS0_14default_configENS1_25partition_config_selectorILNS1_17partition_subalgoE9EllbEEZZNS1_14partition_implILS5_9ELb0ES3_jPlS8_PNS0_10empty_typeENS0_5tupleIJS8_S9_EEENSB_IJS8_SA_EEENS0_18inequality_wrapperIZN2at6native12_GLOBAL__N_124unique_dim_cuda_templateIjEESt5tupleIJNSF_6TensorESK_SK_EERKSK_lbbbEUlllE0_EEPmJS9_EEE10hipError_tPvRmT3_T4_T5_T6_T7_T9_mT8_P12ihipStream_tbDpT10_ENKUlT_T0_E_clISt17integral_constantIbLb0EES1A_EEDaS15_S16_EUlS15_E_NS1_11comp_targetILNS1_3genE10ELNS1_11target_archE1200ELNS1_3gpuE4ELNS1_3repE0EEENS1_30default_config_static_selectorELNS0_4arch9wavefront6targetE0EEEvT1_.numbered_sgpr, 0
	.set _ZN7rocprim17ROCPRIM_400000_NS6detail17trampoline_kernelINS0_14default_configENS1_25partition_config_selectorILNS1_17partition_subalgoE9EllbEEZZNS1_14partition_implILS5_9ELb0ES3_jPlS8_PNS0_10empty_typeENS0_5tupleIJS8_S9_EEENSB_IJS8_SA_EEENS0_18inequality_wrapperIZN2at6native12_GLOBAL__N_124unique_dim_cuda_templateIjEESt5tupleIJNSF_6TensorESK_SK_EERKSK_lbbbEUlllE0_EEPmJS9_EEE10hipError_tPvRmT3_T4_T5_T6_T7_T9_mT8_P12ihipStream_tbDpT10_ENKUlT_T0_E_clISt17integral_constantIbLb0EES1A_EEDaS15_S16_EUlS15_E_NS1_11comp_targetILNS1_3genE10ELNS1_11target_archE1200ELNS1_3gpuE4ELNS1_3repE0EEENS1_30default_config_static_selectorELNS0_4arch9wavefront6targetE0EEEvT1_.num_named_barrier, 0
	.set _ZN7rocprim17ROCPRIM_400000_NS6detail17trampoline_kernelINS0_14default_configENS1_25partition_config_selectorILNS1_17partition_subalgoE9EllbEEZZNS1_14partition_implILS5_9ELb0ES3_jPlS8_PNS0_10empty_typeENS0_5tupleIJS8_S9_EEENSB_IJS8_SA_EEENS0_18inequality_wrapperIZN2at6native12_GLOBAL__N_124unique_dim_cuda_templateIjEESt5tupleIJNSF_6TensorESK_SK_EERKSK_lbbbEUlllE0_EEPmJS9_EEE10hipError_tPvRmT3_T4_T5_T6_T7_T9_mT8_P12ihipStream_tbDpT10_ENKUlT_T0_E_clISt17integral_constantIbLb0EES1A_EEDaS15_S16_EUlS15_E_NS1_11comp_targetILNS1_3genE10ELNS1_11target_archE1200ELNS1_3gpuE4ELNS1_3repE0EEENS1_30default_config_static_selectorELNS0_4arch9wavefront6targetE0EEEvT1_.private_seg_size, 0
	.set _ZN7rocprim17ROCPRIM_400000_NS6detail17trampoline_kernelINS0_14default_configENS1_25partition_config_selectorILNS1_17partition_subalgoE9EllbEEZZNS1_14partition_implILS5_9ELb0ES3_jPlS8_PNS0_10empty_typeENS0_5tupleIJS8_S9_EEENSB_IJS8_SA_EEENS0_18inequality_wrapperIZN2at6native12_GLOBAL__N_124unique_dim_cuda_templateIjEESt5tupleIJNSF_6TensorESK_SK_EERKSK_lbbbEUlllE0_EEPmJS9_EEE10hipError_tPvRmT3_T4_T5_T6_T7_T9_mT8_P12ihipStream_tbDpT10_ENKUlT_T0_E_clISt17integral_constantIbLb0EES1A_EEDaS15_S16_EUlS15_E_NS1_11comp_targetILNS1_3genE10ELNS1_11target_archE1200ELNS1_3gpuE4ELNS1_3repE0EEENS1_30default_config_static_selectorELNS0_4arch9wavefront6targetE0EEEvT1_.uses_vcc, 0
	.set _ZN7rocprim17ROCPRIM_400000_NS6detail17trampoline_kernelINS0_14default_configENS1_25partition_config_selectorILNS1_17partition_subalgoE9EllbEEZZNS1_14partition_implILS5_9ELb0ES3_jPlS8_PNS0_10empty_typeENS0_5tupleIJS8_S9_EEENSB_IJS8_SA_EEENS0_18inequality_wrapperIZN2at6native12_GLOBAL__N_124unique_dim_cuda_templateIjEESt5tupleIJNSF_6TensorESK_SK_EERKSK_lbbbEUlllE0_EEPmJS9_EEE10hipError_tPvRmT3_T4_T5_T6_T7_T9_mT8_P12ihipStream_tbDpT10_ENKUlT_T0_E_clISt17integral_constantIbLb0EES1A_EEDaS15_S16_EUlS15_E_NS1_11comp_targetILNS1_3genE10ELNS1_11target_archE1200ELNS1_3gpuE4ELNS1_3repE0EEENS1_30default_config_static_selectorELNS0_4arch9wavefront6targetE0EEEvT1_.uses_flat_scratch, 0
	.set _ZN7rocprim17ROCPRIM_400000_NS6detail17trampoline_kernelINS0_14default_configENS1_25partition_config_selectorILNS1_17partition_subalgoE9EllbEEZZNS1_14partition_implILS5_9ELb0ES3_jPlS8_PNS0_10empty_typeENS0_5tupleIJS8_S9_EEENSB_IJS8_SA_EEENS0_18inequality_wrapperIZN2at6native12_GLOBAL__N_124unique_dim_cuda_templateIjEESt5tupleIJNSF_6TensorESK_SK_EERKSK_lbbbEUlllE0_EEPmJS9_EEE10hipError_tPvRmT3_T4_T5_T6_T7_T9_mT8_P12ihipStream_tbDpT10_ENKUlT_T0_E_clISt17integral_constantIbLb0EES1A_EEDaS15_S16_EUlS15_E_NS1_11comp_targetILNS1_3genE10ELNS1_11target_archE1200ELNS1_3gpuE4ELNS1_3repE0EEENS1_30default_config_static_selectorELNS0_4arch9wavefront6targetE0EEEvT1_.has_dyn_sized_stack, 0
	.set _ZN7rocprim17ROCPRIM_400000_NS6detail17trampoline_kernelINS0_14default_configENS1_25partition_config_selectorILNS1_17partition_subalgoE9EllbEEZZNS1_14partition_implILS5_9ELb0ES3_jPlS8_PNS0_10empty_typeENS0_5tupleIJS8_S9_EEENSB_IJS8_SA_EEENS0_18inequality_wrapperIZN2at6native12_GLOBAL__N_124unique_dim_cuda_templateIjEESt5tupleIJNSF_6TensorESK_SK_EERKSK_lbbbEUlllE0_EEPmJS9_EEE10hipError_tPvRmT3_T4_T5_T6_T7_T9_mT8_P12ihipStream_tbDpT10_ENKUlT_T0_E_clISt17integral_constantIbLb0EES1A_EEDaS15_S16_EUlS15_E_NS1_11comp_targetILNS1_3genE10ELNS1_11target_archE1200ELNS1_3gpuE4ELNS1_3repE0EEENS1_30default_config_static_selectorELNS0_4arch9wavefront6targetE0EEEvT1_.has_recursion, 0
	.set _ZN7rocprim17ROCPRIM_400000_NS6detail17trampoline_kernelINS0_14default_configENS1_25partition_config_selectorILNS1_17partition_subalgoE9EllbEEZZNS1_14partition_implILS5_9ELb0ES3_jPlS8_PNS0_10empty_typeENS0_5tupleIJS8_S9_EEENSB_IJS8_SA_EEENS0_18inequality_wrapperIZN2at6native12_GLOBAL__N_124unique_dim_cuda_templateIjEESt5tupleIJNSF_6TensorESK_SK_EERKSK_lbbbEUlllE0_EEPmJS9_EEE10hipError_tPvRmT3_T4_T5_T6_T7_T9_mT8_P12ihipStream_tbDpT10_ENKUlT_T0_E_clISt17integral_constantIbLb0EES1A_EEDaS15_S16_EUlS15_E_NS1_11comp_targetILNS1_3genE10ELNS1_11target_archE1200ELNS1_3gpuE4ELNS1_3repE0EEENS1_30default_config_static_selectorELNS0_4arch9wavefront6targetE0EEEvT1_.has_indirect_call, 0
	.section	.AMDGPU.csdata,"",@progbits
; Kernel info:
; codeLenInByte = 0
; TotalNumSgprs: 0
; NumVgprs: 0
; ScratchSize: 0
; MemoryBound: 0
; FloatMode: 240
; IeeeMode: 1
; LDSByteSize: 0 bytes/workgroup (compile time only)
; SGPRBlocks: 0
; VGPRBlocks: 0
; NumSGPRsForWavesPerEU: 1
; NumVGPRsForWavesPerEU: 1
; NamedBarCnt: 0
; Occupancy: 16
; WaveLimiterHint : 0
; COMPUTE_PGM_RSRC2:SCRATCH_EN: 0
; COMPUTE_PGM_RSRC2:USER_SGPR: 2
; COMPUTE_PGM_RSRC2:TRAP_HANDLER: 0
; COMPUTE_PGM_RSRC2:TGID_X_EN: 1
; COMPUTE_PGM_RSRC2:TGID_Y_EN: 0
; COMPUTE_PGM_RSRC2:TGID_Z_EN: 0
; COMPUTE_PGM_RSRC2:TIDIG_COMP_CNT: 0
	.section	.text._ZN7rocprim17ROCPRIM_400000_NS6detail17trampoline_kernelINS0_14default_configENS1_25partition_config_selectorILNS1_17partition_subalgoE9EllbEEZZNS1_14partition_implILS5_9ELb0ES3_jPlS8_PNS0_10empty_typeENS0_5tupleIJS8_S9_EEENSB_IJS8_SA_EEENS0_18inequality_wrapperIZN2at6native12_GLOBAL__N_124unique_dim_cuda_templateIjEESt5tupleIJNSF_6TensorESK_SK_EERKSK_lbbbEUlllE0_EEPmJS9_EEE10hipError_tPvRmT3_T4_T5_T6_T7_T9_mT8_P12ihipStream_tbDpT10_ENKUlT_T0_E_clISt17integral_constantIbLb0EES1A_EEDaS15_S16_EUlS15_E_NS1_11comp_targetILNS1_3genE9ELNS1_11target_archE1100ELNS1_3gpuE3ELNS1_3repE0EEENS1_30default_config_static_selectorELNS0_4arch9wavefront6targetE0EEEvT1_,"axG",@progbits,_ZN7rocprim17ROCPRIM_400000_NS6detail17trampoline_kernelINS0_14default_configENS1_25partition_config_selectorILNS1_17partition_subalgoE9EllbEEZZNS1_14partition_implILS5_9ELb0ES3_jPlS8_PNS0_10empty_typeENS0_5tupleIJS8_S9_EEENSB_IJS8_SA_EEENS0_18inequality_wrapperIZN2at6native12_GLOBAL__N_124unique_dim_cuda_templateIjEESt5tupleIJNSF_6TensorESK_SK_EERKSK_lbbbEUlllE0_EEPmJS9_EEE10hipError_tPvRmT3_T4_T5_T6_T7_T9_mT8_P12ihipStream_tbDpT10_ENKUlT_T0_E_clISt17integral_constantIbLb0EES1A_EEDaS15_S16_EUlS15_E_NS1_11comp_targetILNS1_3genE9ELNS1_11target_archE1100ELNS1_3gpuE3ELNS1_3repE0EEENS1_30default_config_static_selectorELNS0_4arch9wavefront6targetE0EEEvT1_,comdat
	.globl	_ZN7rocprim17ROCPRIM_400000_NS6detail17trampoline_kernelINS0_14default_configENS1_25partition_config_selectorILNS1_17partition_subalgoE9EllbEEZZNS1_14partition_implILS5_9ELb0ES3_jPlS8_PNS0_10empty_typeENS0_5tupleIJS8_S9_EEENSB_IJS8_SA_EEENS0_18inequality_wrapperIZN2at6native12_GLOBAL__N_124unique_dim_cuda_templateIjEESt5tupleIJNSF_6TensorESK_SK_EERKSK_lbbbEUlllE0_EEPmJS9_EEE10hipError_tPvRmT3_T4_T5_T6_T7_T9_mT8_P12ihipStream_tbDpT10_ENKUlT_T0_E_clISt17integral_constantIbLb0EES1A_EEDaS15_S16_EUlS15_E_NS1_11comp_targetILNS1_3genE9ELNS1_11target_archE1100ELNS1_3gpuE3ELNS1_3repE0EEENS1_30default_config_static_selectorELNS0_4arch9wavefront6targetE0EEEvT1_ ; -- Begin function _ZN7rocprim17ROCPRIM_400000_NS6detail17trampoline_kernelINS0_14default_configENS1_25partition_config_selectorILNS1_17partition_subalgoE9EllbEEZZNS1_14partition_implILS5_9ELb0ES3_jPlS8_PNS0_10empty_typeENS0_5tupleIJS8_S9_EEENSB_IJS8_SA_EEENS0_18inequality_wrapperIZN2at6native12_GLOBAL__N_124unique_dim_cuda_templateIjEESt5tupleIJNSF_6TensorESK_SK_EERKSK_lbbbEUlllE0_EEPmJS9_EEE10hipError_tPvRmT3_T4_T5_T6_T7_T9_mT8_P12ihipStream_tbDpT10_ENKUlT_T0_E_clISt17integral_constantIbLb0EES1A_EEDaS15_S16_EUlS15_E_NS1_11comp_targetILNS1_3genE9ELNS1_11target_archE1100ELNS1_3gpuE3ELNS1_3repE0EEENS1_30default_config_static_selectorELNS0_4arch9wavefront6targetE0EEEvT1_
	.p2align	8
	.type	_ZN7rocprim17ROCPRIM_400000_NS6detail17trampoline_kernelINS0_14default_configENS1_25partition_config_selectorILNS1_17partition_subalgoE9EllbEEZZNS1_14partition_implILS5_9ELb0ES3_jPlS8_PNS0_10empty_typeENS0_5tupleIJS8_S9_EEENSB_IJS8_SA_EEENS0_18inequality_wrapperIZN2at6native12_GLOBAL__N_124unique_dim_cuda_templateIjEESt5tupleIJNSF_6TensorESK_SK_EERKSK_lbbbEUlllE0_EEPmJS9_EEE10hipError_tPvRmT3_T4_T5_T6_T7_T9_mT8_P12ihipStream_tbDpT10_ENKUlT_T0_E_clISt17integral_constantIbLb0EES1A_EEDaS15_S16_EUlS15_E_NS1_11comp_targetILNS1_3genE9ELNS1_11target_archE1100ELNS1_3gpuE3ELNS1_3repE0EEENS1_30default_config_static_selectorELNS0_4arch9wavefront6targetE0EEEvT1_,@function
_ZN7rocprim17ROCPRIM_400000_NS6detail17trampoline_kernelINS0_14default_configENS1_25partition_config_selectorILNS1_17partition_subalgoE9EllbEEZZNS1_14partition_implILS5_9ELb0ES3_jPlS8_PNS0_10empty_typeENS0_5tupleIJS8_S9_EEENSB_IJS8_SA_EEENS0_18inequality_wrapperIZN2at6native12_GLOBAL__N_124unique_dim_cuda_templateIjEESt5tupleIJNSF_6TensorESK_SK_EERKSK_lbbbEUlllE0_EEPmJS9_EEE10hipError_tPvRmT3_T4_T5_T6_T7_T9_mT8_P12ihipStream_tbDpT10_ENKUlT_T0_E_clISt17integral_constantIbLb0EES1A_EEDaS15_S16_EUlS15_E_NS1_11comp_targetILNS1_3genE9ELNS1_11target_archE1100ELNS1_3gpuE3ELNS1_3repE0EEENS1_30default_config_static_selectorELNS0_4arch9wavefront6targetE0EEEvT1_: ; @_ZN7rocprim17ROCPRIM_400000_NS6detail17trampoline_kernelINS0_14default_configENS1_25partition_config_selectorILNS1_17partition_subalgoE9EllbEEZZNS1_14partition_implILS5_9ELb0ES3_jPlS8_PNS0_10empty_typeENS0_5tupleIJS8_S9_EEENSB_IJS8_SA_EEENS0_18inequality_wrapperIZN2at6native12_GLOBAL__N_124unique_dim_cuda_templateIjEESt5tupleIJNSF_6TensorESK_SK_EERKSK_lbbbEUlllE0_EEPmJS9_EEE10hipError_tPvRmT3_T4_T5_T6_T7_T9_mT8_P12ihipStream_tbDpT10_ENKUlT_T0_E_clISt17integral_constantIbLb0EES1A_EEDaS15_S16_EUlS15_E_NS1_11comp_targetILNS1_3genE9ELNS1_11target_archE1100ELNS1_3gpuE3ELNS1_3repE0EEENS1_30default_config_static_selectorELNS0_4arch9wavefront6targetE0EEEvT1_
; %bb.0:
	.section	.rodata,"a",@progbits
	.p2align	6, 0x0
	.amdhsa_kernel _ZN7rocprim17ROCPRIM_400000_NS6detail17trampoline_kernelINS0_14default_configENS1_25partition_config_selectorILNS1_17partition_subalgoE9EllbEEZZNS1_14partition_implILS5_9ELb0ES3_jPlS8_PNS0_10empty_typeENS0_5tupleIJS8_S9_EEENSB_IJS8_SA_EEENS0_18inequality_wrapperIZN2at6native12_GLOBAL__N_124unique_dim_cuda_templateIjEESt5tupleIJNSF_6TensorESK_SK_EERKSK_lbbbEUlllE0_EEPmJS9_EEE10hipError_tPvRmT3_T4_T5_T6_T7_T9_mT8_P12ihipStream_tbDpT10_ENKUlT_T0_E_clISt17integral_constantIbLb0EES1A_EEDaS15_S16_EUlS15_E_NS1_11comp_targetILNS1_3genE9ELNS1_11target_archE1100ELNS1_3gpuE3ELNS1_3repE0EEENS1_30default_config_static_selectorELNS0_4arch9wavefront6targetE0EEEvT1_
		.amdhsa_group_segment_fixed_size 0
		.amdhsa_private_segment_fixed_size 0
		.amdhsa_kernarg_size 120
		.amdhsa_user_sgpr_count 2
		.amdhsa_user_sgpr_dispatch_ptr 0
		.amdhsa_user_sgpr_queue_ptr 0
		.amdhsa_user_sgpr_kernarg_segment_ptr 1
		.amdhsa_user_sgpr_dispatch_id 0
		.amdhsa_user_sgpr_kernarg_preload_length 0
		.amdhsa_user_sgpr_kernarg_preload_offset 0
		.amdhsa_user_sgpr_private_segment_size 0
		.amdhsa_wavefront_size32 1
		.amdhsa_uses_dynamic_stack 0
		.amdhsa_enable_private_segment 0
		.amdhsa_system_sgpr_workgroup_id_x 1
		.amdhsa_system_sgpr_workgroup_id_y 0
		.amdhsa_system_sgpr_workgroup_id_z 0
		.amdhsa_system_sgpr_workgroup_info 0
		.amdhsa_system_vgpr_workitem_id 0
		.amdhsa_next_free_vgpr 1
		.amdhsa_next_free_sgpr 1
		.amdhsa_named_barrier_count 0
		.amdhsa_reserve_vcc 0
		.amdhsa_float_round_mode_32 0
		.amdhsa_float_round_mode_16_64 0
		.amdhsa_float_denorm_mode_32 3
		.amdhsa_float_denorm_mode_16_64 3
		.amdhsa_fp16_overflow 0
		.amdhsa_memory_ordered 1
		.amdhsa_forward_progress 1
		.amdhsa_inst_pref_size 0
		.amdhsa_round_robin_scheduling 0
		.amdhsa_exception_fp_ieee_invalid_op 0
		.amdhsa_exception_fp_denorm_src 0
		.amdhsa_exception_fp_ieee_div_zero 0
		.amdhsa_exception_fp_ieee_overflow 0
		.amdhsa_exception_fp_ieee_underflow 0
		.amdhsa_exception_fp_ieee_inexact 0
		.amdhsa_exception_int_div_zero 0
	.end_amdhsa_kernel
	.section	.text._ZN7rocprim17ROCPRIM_400000_NS6detail17trampoline_kernelINS0_14default_configENS1_25partition_config_selectorILNS1_17partition_subalgoE9EllbEEZZNS1_14partition_implILS5_9ELb0ES3_jPlS8_PNS0_10empty_typeENS0_5tupleIJS8_S9_EEENSB_IJS8_SA_EEENS0_18inequality_wrapperIZN2at6native12_GLOBAL__N_124unique_dim_cuda_templateIjEESt5tupleIJNSF_6TensorESK_SK_EERKSK_lbbbEUlllE0_EEPmJS9_EEE10hipError_tPvRmT3_T4_T5_T6_T7_T9_mT8_P12ihipStream_tbDpT10_ENKUlT_T0_E_clISt17integral_constantIbLb0EES1A_EEDaS15_S16_EUlS15_E_NS1_11comp_targetILNS1_3genE9ELNS1_11target_archE1100ELNS1_3gpuE3ELNS1_3repE0EEENS1_30default_config_static_selectorELNS0_4arch9wavefront6targetE0EEEvT1_,"axG",@progbits,_ZN7rocprim17ROCPRIM_400000_NS6detail17trampoline_kernelINS0_14default_configENS1_25partition_config_selectorILNS1_17partition_subalgoE9EllbEEZZNS1_14partition_implILS5_9ELb0ES3_jPlS8_PNS0_10empty_typeENS0_5tupleIJS8_S9_EEENSB_IJS8_SA_EEENS0_18inequality_wrapperIZN2at6native12_GLOBAL__N_124unique_dim_cuda_templateIjEESt5tupleIJNSF_6TensorESK_SK_EERKSK_lbbbEUlllE0_EEPmJS9_EEE10hipError_tPvRmT3_T4_T5_T6_T7_T9_mT8_P12ihipStream_tbDpT10_ENKUlT_T0_E_clISt17integral_constantIbLb0EES1A_EEDaS15_S16_EUlS15_E_NS1_11comp_targetILNS1_3genE9ELNS1_11target_archE1100ELNS1_3gpuE3ELNS1_3repE0EEENS1_30default_config_static_selectorELNS0_4arch9wavefront6targetE0EEEvT1_,comdat
.Lfunc_end1579:
	.size	_ZN7rocprim17ROCPRIM_400000_NS6detail17trampoline_kernelINS0_14default_configENS1_25partition_config_selectorILNS1_17partition_subalgoE9EllbEEZZNS1_14partition_implILS5_9ELb0ES3_jPlS8_PNS0_10empty_typeENS0_5tupleIJS8_S9_EEENSB_IJS8_SA_EEENS0_18inequality_wrapperIZN2at6native12_GLOBAL__N_124unique_dim_cuda_templateIjEESt5tupleIJNSF_6TensorESK_SK_EERKSK_lbbbEUlllE0_EEPmJS9_EEE10hipError_tPvRmT3_T4_T5_T6_T7_T9_mT8_P12ihipStream_tbDpT10_ENKUlT_T0_E_clISt17integral_constantIbLb0EES1A_EEDaS15_S16_EUlS15_E_NS1_11comp_targetILNS1_3genE9ELNS1_11target_archE1100ELNS1_3gpuE3ELNS1_3repE0EEENS1_30default_config_static_selectorELNS0_4arch9wavefront6targetE0EEEvT1_, .Lfunc_end1579-_ZN7rocprim17ROCPRIM_400000_NS6detail17trampoline_kernelINS0_14default_configENS1_25partition_config_selectorILNS1_17partition_subalgoE9EllbEEZZNS1_14partition_implILS5_9ELb0ES3_jPlS8_PNS0_10empty_typeENS0_5tupleIJS8_S9_EEENSB_IJS8_SA_EEENS0_18inequality_wrapperIZN2at6native12_GLOBAL__N_124unique_dim_cuda_templateIjEESt5tupleIJNSF_6TensorESK_SK_EERKSK_lbbbEUlllE0_EEPmJS9_EEE10hipError_tPvRmT3_T4_T5_T6_T7_T9_mT8_P12ihipStream_tbDpT10_ENKUlT_T0_E_clISt17integral_constantIbLb0EES1A_EEDaS15_S16_EUlS15_E_NS1_11comp_targetILNS1_3genE9ELNS1_11target_archE1100ELNS1_3gpuE3ELNS1_3repE0EEENS1_30default_config_static_selectorELNS0_4arch9wavefront6targetE0EEEvT1_
                                        ; -- End function
	.set _ZN7rocprim17ROCPRIM_400000_NS6detail17trampoline_kernelINS0_14default_configENS1_25partition_config_selectorILNS1_17partition_subalgoE9EllbEEZZNS1_14partition_implILS5_9ELb0ES3_jPlS8_PNS0_10empty_typeENS0_5tupleIJS8_S9_EEENSB_IJS8_SA_EEENS0_18inequality_wrapperIZN2at6native12_GLOBAL__N_124unique_dim_cuda_templateIjEESt5tupleIJNSF_6TensorESK_SK_EERKSK_lbbbEUlllE0_EEPmJS9_EEE10hipError_tPvRmT3_T4_T5_T6_T7_T9_mT8_P12ihipStream_tbDpT10_ENKUlT_T0_E_clISt17integral_constantIbLb0EES1A_EEDaS15_S16_EUlS15_E_NS1_11comp_targetILNS1_3genE9ELNS1_11target_archE1100ELNS1_3gpuE3ELNS1_3repE0EEENS1_30default_config_static_selectorELNS0_4arch9wavefront6targetE0EEEvT1_.num_vgpr, 0
	.set _ZN7rocprim17ROCPRIM_400000_NS6detail17trampoline_kernelINS0_14default_configENS1_25partition_config_selectorILNS1_17partition_subalgoE9EllbEEZZNS1_14partition_implILS5_9ELb0ES3_jPlS8_PNS0_10empty_typeENS0_5tupleIJS8_S9_EEENSB_IJS8_SA_EEENS0_18inequality_wrapperIZN2at6native12_GLOBAL__N_124unique_dim_cuda_templateIjEESt5tupleIJNSF_6TensorESK_SK_EERKSK_lbbbEUlllE0_EEPmJS9_EEE10hipError_tPvRmT3_T4_T5_T6_T7_T9_mT8_P12ihipStream_tbDpT10_ENKUlT_T0_E_clISt17integral_constantIbLb0EES1A_EEDaS15_S16_EUlS15_E_NS1_11comp_targetILNS1_3genE9ELNS1_11target_archE1100ELNS1_3gpuE3ELNS1_3repE0EEENS1_30default_config_static_selectorELNS0_4arch9wavefront6targetE0EEEvT1_.num_agpr, 0
	.set _ZN7rocprim17ROCPRIM_400000_NS6detail17trampoline_kernelINS0_14default_configENS1_25partition_config_selectorILNS1_17partition_subalgoE9EllbEEZZNS1_14partition_implILS5_9ELb0ES3_jPlS8_PNS0_10empty_typeENS0_5tupleIJS8_S9_EEENSB_IJS8_SA_EEENS0_18inequality_wrapperIZN2at6native12_GLOBAL__N_124unique_dim_cuda_templateIjEESt5tupleIJNSF_6TensorESK_SK_EERKSK_lbbbEUlllE0_EEPmJS9_EEE10hipError_tPvRmT3_T4_T5_T6_T7_T9_mT8_P12ihipStream_tbDpT10_ENKUlT_T0_E_clISt17integral_constantIbLb0EES1A_EEDaS15_S16_EUlS15_E_NS1_11comp_targetILNS1_3genE9ELNS1_11target_archE1100ELNS1_3gpuE3ELNS1_3repE0EEENS1_30default_config_static_selectorELNS0_4arch9wavefront6targetE0EEEvT1_.numbered_sgpr, 0
	.set _ZN7rocprim17ROCPRIM_400000_NS6detail17trampoline_kernelINS0_14default_configENS1_25partition_config_selectorILNS1_17partition_subalgoE9EllbEEZZNS1_14partition_implILS5_9ELb0ES3_jPlS8_PNS0_10empty_typeENS0_5tupleIJS8_S9_EEENSB_IJS8_SA_EEENS0_18inequality_wrapperIZN2at6native12_GLOBAL__N_124unique_dim_cuda_templateIjEESt5tupleIJNSF_6TensorESK_SK_EERKSK_lbbbEUlllE0_EEPmJS9_EEE10hipError_tPvRmT3_T4_T5_T6_T7_T9_mT8_P12ihipStream_tbDpT10_ENKUlT_T0_E_clISt17integral_constantIbLb0EES1A_EEDaS15_S16_EUlS15_E_NS1_11comp_targetILNS1_3genE9ELNS1_11target_archE1100ELNS1_3gpuE3ELNS1_3repE0EEENS1_30default_config_static_selectorELNS0_4arch9wavefront6targetE0EEEvT1_.num_named_barrier, 0
	.set _ZN7rocprim17ROCPRIM_400000_NS6detail17trampoline_kernelINS0_14default_configENS1_25partition_config_selectorILNS1_17partition_subalgoE9EllbEEZZNS1_14partition_implILS5_9ELb0ES3_jPlS8_PNS0_10empty_typeENS0_5tupleIJS8_S9_EEENSB_IJS8_SA_EEENS0_18inequality_wrapperIZN2at6native12_GLOBAL__N_124unique_dim_cuda_templateIjEESt5tupleIJNSF_6TensorESK_SK_EERKSK_lbbbEUlllE0_EEPmJS9_EEE10hipError_tPvRmT3_T4_T5_T6_T7_T9_mT8_P12ihipStream_tbDpT10_ENKUlT_T0_E_clISt17integral_constantIbLb0EES1A_EEDaS15_S16_EUlS15_E_NS1_11comp_targetILNS1_3genE9ELNS1_11target_archE1100ELNS1_3gpuE3ELNS1_3repE0EEENS1_30default_config_static_selectorELNS0_4arch9wavefront6targetE0EEEvT1_.private_seg_size, 0
	.set _ZN7rocprim17ROCPRIM_400000_NS6detail17trampoline_kernelINS0_14default_configENS1_25partition_config_selectorILNS1_17partition_subalgoE9EllbEEZZNS1_14partition_implILS5_9ELb0ES3_jPlS8_PNS0_10empty_typeENS0_5tupleIJS8_S9_EEENSB_IJS8_SA_EEENS0_18inequality_wrapperIZN2at6native12_GLOBAL__N_124unique_dim_cuda_templateIjEESt5tupleIJNSF_6TensorESK_SK_EERKSK_lbbbEUlllE0_EEPmJS9_EEE10hipError_tPvRmT3_T4_T5_T6_T7_T9_mT8_P12ihipStream_tbDpT10_ENKUlT_T0_E_clISt17integral_constantIbLb0EES1A_EEDaS15_S16_EUlS15_E_NS1_11comp_targetILNS1_3genE9ELNS1_11target_archE1100ELNS1_3gpuE3ELNS1_3repE0EEENS1_30default_config_static_selectorELNS0_4arch9wavefront6targetE0EEEvT1_.uses_vcc, 0
	.set _ZN7rocprim17ROCPRIM_400000_NS6detail17trampoline_kernelINS0_14default_configENS1_25partition_config_selectorILNS1_17partition_subalgoE9EllbEEZZNS1_14partition_implILS5_9ELb0ES3_jPlS8_PNS0_10empty_typeENS0_5tupleIJS8_S9_EEENSB_IJS8_SA_EEENS0_18inequality_wrapperIZN2at6native12_GLOBAL__N_124unique_dim_cuda_templateIjEESt5tupleIJNSF_6TensorESK_SK_EERKSK_lbbbEUlllE0_EEPmJS9_EEE10hipError_tPvRmT3_T4_T5_T6_T7_T9_mT8_P12ihipStream_tbDpT10_ENKUlT_T0_E_clISt17integral_constantIbLb0EES1A_EEDaS15_S16_EUlS15_E_NS1_11comp_targetILNS1_3genE9ELNS1_11target_archE1100ELNS1_3gpuE3ELNS1_3repE0EEENS1_30default_config_static_selectorELNS0_4arch9wavefront6targetE0EEEvT1_.uses_flat_scratch, 0
	.set _ZN7rocprim17ROCPRIM_400000_NS6detail17trampoline_kernelINS0_14default_configENS1_25partition_config_selectorILNS1_17partition_subalgoE9EllbEEZZNS1_14partition_implILS5_9ELb0ES3_jPlS8_PNS0_10empty_typeENS0_5tupleIJS8_S9_EEENSB_IJS8_SA_EEENS0_18inequality_wrapperIZN2at6native12_GLOBAL__N_124unique_dim_cuda_templateIjEESt5tupleIJNSF_6TensorESK_SK_EERKSK_lbbbEUlllE0_EEPmJS9_EEE10hipError_tPvRmT3_T4_T5_T6_T7_T9_mT8_P12ihipStream_tbDpT10_ENKUlT_T0_E_clISt17integral_constantIbLb0EES1A_EEDaS15_S16_EUlS15_E_NS1_11comp_targetILNS1_3genE9ELNS1_11target_archE1100ELNS1_3gpuE3ELNS1_3repE0EEENS1_30default_config_static_selectorELNS0_4arch9wavefront6targetE0EEEvT1_.has_dyn_sized_stack, 0
	.set _ZN7rocprim17ROCPRIM_400000_NS6detail17trampoline_kernelINS0_14default_configENS1_25partition_config_selectorILNS1_17partition_subalgoE9EllbEEZZNS1_14partition_implILS5_9ELb0ES3_jPlS8_PNS0_10empty_typeENS0_5tupleIJS8_S9_EEENSB_IJS8_SA_EEENS0_18inequality_wrapperIZN2at6native12_GLOBAL__N_124unique_dim_cuda_templateIjEESt5tupleIJNSF_6TensorESK_SK_EERKSK_lbbbEUlllE0_EEPmJS9_EEE10hipError_tPvRmT3_T4_T5_T6_T7_T9_mT8_P12ihipStream_tbDpT10_ENKUlT_T0_E_clISt17integral_constantIbLb0EES1A_EEDaS15_S16_EUlS15_E_NS1_11comp_targetILNS1_3genE9ELNS1_11target_archE1100ELNS1_3gpuE3ELNS1_3repE0EEENS1_30default_config_static_selectorELNS0_4arch9wavefront6targetE0EEEvT1_.has_recursion, 0
	.set _ZN7rocprim17ROCPRIM_400000_NS6detail17trampoline_kernelINS0_14default_configENS1_25partition_config_selectorILNS1_17partition_subalgoE9EllbEEZZNS1_14partition_implILS5_9ELb0ES3_jPlS8_PNS0_10empty_typeENS0_5tupleIJS8_S9_EEENSB_IJS8_SA_EEENS0_18inequality_wrapperIZN2at6native12_GLOBAL__N_124unique_dim_cuda_templateIjEESt5tupleIJNSF_6TensorESK_SK_EERKSK_lbbbEUlllE0_EEPmJS9_EEE10hipError_tPvRmT3_T4_T5_T6_T7_T9_mT8_P12ihipStream_tbDpT10_ENKUlT_T0_E_clISt17integral_constantIbLb0EES1A_EEDaS15_S16_EUlS15_E_NS1_11comp_targetILNS1_3genE9ELNS1_11target_archE1100ELNS1_3gpuE3ELNS1_3repE0EEENS1_30default_config_static_selectorELNS0_4arch9wavefront6targetE0EEEvT1_.has_indirect_call, 0
	.section	.AMDGPU.csdata,"",@progbits
; Kernel info:
; codeLenInByte = 0
; TotalNumSgprs: 0
; NumVgprs: 0
; ScratchSize: 0
; MemoryBound: 0
; FloatMode: 240
; IeeeMode: 1
; LDSByteSize: 0 bytes/workgroup (compile time only)
; SGPRBlocks: 0
; VGPRBlocks: 0
; NumSGPRsForWavesPerEU: 1
; NumVGPRsForWavesPerEU: 1
; NamedBarCnt: 0
; Occupancy: 16
; WaveLimiterHint : 0
; COMPUTE_PGM_RSRC2:SCRATCH_EN: 0
; COMPUTE_PGM_RSRC2:USER_SGPR: 2
; COMPUTE_PGM_RSRC2:TRAP_HANDLER: 0
; COMPUTE_PGM_RSRC2:TGID_X_EN: 1
; COMPUTE_PGM_RSRC2:TGID_Y_EN: 0
; COMPUTE_PGM_RSRC2:TGID_Z_EN: 0
; COMPUTE_PGM_RSRC2:TIDIG_COMP_CNT: 0
	.section	.text._ZN7rocprim17ROCPRIM_400000_NS6detail17trampoline_kernelINS0_14default_configENS1_25partition_config_selectorILNS1_17partition_subalgoE9EllbEEZZNS1_14partition_implILS5_9ELb0ES3_jPlS8_PNS0_10empty_typeENS0_5tupleIJS8_S9_EEENSB_IJS8_SA_EEENS0_18inequality_wrapperIZN2at6native12_GLOBAL__N_124unique_dim_cuda_templateIjEESt5tupleIJNSF_6TensorESK_SK_EERKSK_lbbbEUlllE0_EEPmJS9_EEE10hipError_tPvRmT3_T4_T5_T6_T7_T9_mT8_P12ihipStream_tbDpT10_ENKUlT_T0_E_clISt17integral_constantIbLb0EES1A_EEDaS15_S16_EUlS15_E_NS1_11comp_targetILNS1_3genE8ELNS1_11target_archE1030ELNS1_3gpuE2ELNS1_3repE0EEENS1_30default_config_static_selectorELNS0_4arch9wavefront6targetE0EEEvT1_,"axG",@progbits,_ZN7rocprim17ROCPRIM_400000_NS6detail17trampoline_kernelINS0_14default_configENS1_25partition_config_selectorILNS1_17partition_subalgoE9EllbEEZZNS1_14partition_implILS5_9ELb0ES3_jPlS8_PNS0_10empty_typeENS0_5tupleIJS8_S9_EEENSB_IJS8_SA_EEENS0_18inequality_wrapperIZN2at6native12_GLOBAL__N_124unique_dim_cuda_templateIjEESt5tupleIJNSF_6TensorESK_SK_EERKSK_lbbbEUlllE0_EEPmJS9_EEE10hipError_tPvRmT3_T4_T5_T6_T7_T9_mT8_P12ihipStream_tbDpT10_ENKUlT_T0_E_clISt17integral_constantIbLb0EES1A_EEDaS15_S16_EUlS15_E_NS1_11comp_targetILNS1_3genE8ELNS1_11target_archE1030ELNS1_3gpuE2ELNS1_3repE0EEENS1_30default_config_static_selectorELNS0_4arch9wavefront6targetE0EEEvT1_,comdat
	.globl	_ZN7rocprim17ROCPRIM_400000_NS6detail17trampoline_kernelINS0_14default_configENS1_25partition_config_selectorILNS1_17partition_subalgoE9EllbEEZZNS1_14partition_implILS5_9ELb0ES3_jPlS8_PNS0_10empty_typeENS0_5tupleIJS8_S9_EEENSB_IJS8_SA_EEENS0_18inequality_wrapperIZN2at6native12_GLOBAL__N_124unique_dim_cuda_templateIjEESt5tupleIJNSF_6TensorESK_SK_EERKSK_lbbbEUlllE0_EEPmJS9_EEE10hipError_tPvRmT3_T4_T5_T6_T7_T9_mT8_P12ihipStream_tbDpT10_ENKUlT_T0_E_clISt17integral_constantIbLb0EES1A_EEDaS15_S16_EUlS15_E_NS1_11comp_targetILNS1_3genE8ELNS1_11target_archE1030ELNS1_3gpuE2ELNS1_3repE0EEENS1_30default_config_static_selectorELNS0_4arch9wavefront6targetE0EEEvT1_ ; -- Begin function _ZN7rocprim17ROCPRIM_400000_NS6detail17trampoline_kernelINS0_14default_configENS1_25partition_config_selectorILNS1_17partition_subalgoE9EllbEEZZNS1_14partition_implILS5_9ELb0ES3_jPlS8_PNS0_10empty_typeENS0_5tupleIJS8_S9_EEENSB_IJS8_SA_EEENS0_18inequality_wrapperIZN2at6native12_GLOBAL__N_124unique_dim_cuda_templateIjEESt5tupleIJNSF_6TensorESK_SK_EERKSK_lbbbEUlllE0_EEPmJS9_EEE10hipError_tPvRmT3_T4_T5_T6_T7_T9_mT8_P12ihipStream_tbDpT10_ENKUlT_T0_E_clISt17integral_constantIbLb0EES1A_EEDaS15_S16_EUlS15_E_NS1_11comp_targetILNS1_3genE8ELNS1_11target_archE1030ELNS1_3gpuE2ELNS1_3repE0EEENS1_30default_config_static_selectorELNS0_4arch9wavefront6targetE0EEEvT1_
	.p2align	8
	.type	_ZN7rocprim17ROCPRIM_400000_NS6detail17trampoline_kernelINS0_14default_configENS1_25partition_config_selectorILNS1_17partition_subalgoE9EllbEEZZNS1_14partition_implILS5_9ELb0ES3_jPlS8_PNS0_10empty_typeENS0_5tupleIJS8_S9_EEENSB_IJS8_SA_EEENS0_18inequality_wrapperIZN2at6native12_GLOBAL__N_124unique_dim_cuda_templateIjEESt5tupleIJNSF_6TensorESK_SK_EERKSK_lbbbEUlllE0_EEPmJS9_EEE10hipError_tPvRmT3_T4_T5_T6_T7_T9_mT8_P12ihipStream_tbDpT10_ENKUlT_T0_E_clISt17integral_constantIbLb0EES1A_EEDaS15_S16_EUlS15_E_NS1_11comp_targetILNS1_3genE8ELNS1_11target_archE1030ELNS1_3gpuE2ELNS1_3repE0EEENS1_30default_config_static_selectorELNS0_4arch9wavefront6targetE0EEEvT1_,@function
_ZN7rocprim17ROCPRIM_400000_NS6detail17trampoline_kernelINS0_14default_configENS1_25partition_config_selectorILNS1_17partition_subalgoE9EllbEEZZNS1_14partition_implILS5_9ELb0ES3_jPlS8_PNS0_10empty_typeENS0_5tupleIJS8_S9_EEENSB_IJS8_SA_EEENS0_18inequality_wrapperIZN2at6native12_GLOBAL__N_124unique_dim_cuda_templateIjEESt5tupleIJNSF_6TensorESK_SK_EERKSK_lbbbEUlllE0_EEPmJS9_EEE10hipError_tPvRmT3_T4_T5_T6_T7_T9_mT8_P12ihipStream_tbDpT10_ENKUlT_T0_E_clISt17integral_constantIbLb0EES1A_EEDaS15_S16_EUlS15_E_NS1_11comp_targetILNS1_3genE8ELNS1_11target_archE1030ELNS1_3gpuE2ELNS1_3repE0EEENS1_30default_config_static_selectorELNS0_4arch9wavefront6targetE0EEEvT1_: ; @_ZN7rocprim17ROCPRIM_400000_NS6detail17trampoline_kernelINS0_14default_configENS1_25partition_config_selectorILNS1_17partition_subalgoE9EllbEEZZNS1_14partition_implILS5_9ELb0ES3_jPlS8_PNS0_10empty_typeENS0_5tupleIJS8_S9_EEENSB_IJS8_SA_EEENS0_18inequality_wrapperIZN2at6native12_GLOBAL__N_124unique_dim_cuda_templateIjEESt5tupleIJNSF_6TensorESK_SK_EERKSK_lbbbEUlllE0_EEPmJS9_EEE10hipError_tPvRmT3_T4_T5_T6_T7_T9_mT8_P12ihipStream_tbDpT10_ENKUlT_T0_E_clISt17integral_constantIbLb0EES1A_EEDaS15_S16_EUlS15_E_NS1_11comp_targetILNS1_3genE8ELNS1_11target_archE1030ELNS1_3gpuE2ELNS1_3repE0EEENS1_30default_config_static_selectorELNS0_4arch9wavefront6targetE0EEEvT1_
; %bb.0:
	.section	.rodata,"a",@progbits
	.p2align	6, 0x0
	.amdhsa_kernel _ZN7rocprim17ROCPRIM_400000_NS6detail17trampoline_kernelINS0_14default_configENS1_25partition_config_selectorILNS1_17partition_subalgoE9EllbEEZZNS1_14partition_implILS5_9ELb0ES3_jPlS8_PNS0_10empty_typeENS0_5tupleIJS8_S9_EEENSB_IJS8_SA_EEENS0_18inequality_wrapperIZN2at6native12_GLOBAL__N_124unique_dim_cuda_templateIjEESt5tupleIJNSF_6TensorESK_SK_EERKSK_lbbbEUlllE0_EEPmJS9_EEE10hipError_tPvRmT3_T4_T5_T6_T7_T9_mT8_P12ihipStream_tbDpT10_ENKUlT_T0_E_clISt17integral_constantIbLb0EES1A_EEDaS15_S16_EUlS15_E_NS1_11comp_targetILNS1_3genE8ELNS1_11target_archE1030ELNS1_3gpuE2ELNS1_3repE0EEENS1_30default_config_static_selectorELNS0_4arch9wavefront6targetE0EEEvT1_
		.amdhsa_group_segment_fixed_size 0
		.amdhsa_private_segment_fixed_size 0
		.amdhsa_kernarg_size 120
		.amdhsa_user_sgpr_count 2
		.amdhsa_user_sgpr_dispatch_ptr 0
		.amdhsa_user_sgpr_queue_ptr 0
		.amdhsa_user_sgpr_kernarg_segment_ptr 1
		.amdhsa_user_sgpr_dispatch_id 0
		.amdhsa_user_sgpr_kernarg_preload_length 0
		.amdhsa_user_sgpr_kernarg_preload_offset 0
		.amdhsa_user_sgpr_private_segment_size 0
		.amdhsa_wavefront_size32 1
		.amdhsa_uses_dynamic_stack 0
		.amdhsa_enable_private_segment 0
		.amdhsa_system_sgpr_workgroup_id_x 1
		.amdhsa_system_sgpr_workgroup_id_y 0
		.amdhsa_system_sgpr_workgroup_id_z 0
		.amdhsa_system_sgpr_workgroup_info 0
		.amdhsa_system_vgpr_workitem_id 0
		.amdhsa_next_free_vgpr 1
		.amdhsa_next_free_sgpr 1
		.amdhsa_named_barrier_count 0
		.amdhsa_reserve_vcc 0
		.amdhsa_float_round_mode_32 0
		.amdhsa_float_round_mode_16_64 0
		.amdhsa_float_denorm_mode_32 3
		.amdhsa_float_denorm_mode_16_64 3
		.amdhsa_fp16_overflow 0
		.amdhsa_memory_ordered 1
		.amdhsa_forward_progress 1
		.amdhsa_inst_pref_size 0
		.amdhsa_round_robin_scheduling 0
		.amdhsa_exception_fp_ieee_invalid_op 0
		.amdhsa_exception_fp_denorm_src 0
		.amdhsa_exception_fp_ieee_div_zero 0
		.amdhsa_exception_fp_ieee_overflow 0
		.amdhsa_exception_fp_ieee_underflow 0
		.amdhsa_exception_fp_ieee_inexact 0
		.amdhsa_exception_int_div_zero 0
	.end_amdhsa_kernel
	.section	.text._ZN7rocprim17ROCPRIM_400000_NS6detail17trampoline_kernelINS0_14default_configENS1_25partition_config_selectorILNS1_17partition_subalgoE9EllbEEZZNS1_14partition_implILS5_9ELb0ES3_jPlS8_PNS0_10empty_typeENS0_5tupleIJS8_S9_EEENSB_IJS8_SA_EEENS0_18inequality_wrapperIZN2at6native12_GLOBAL__N_124unique_dim_cuda_templateIjEESt5tupleIJNSF_6TensorESK_SK_EERKSK_lbbbEUlllE0_EEPmJS9_EEE10hipError_tPvRmT3_T4_T5_T6_T7_T9_mT8_P12ihipStream_tbDpT10_ENKUlT_T0_E_clISt17integral_constantIbLb0EES1A_EEDaS15_S16_EUlS15_E_NS1_11comp_targetILNS1_3genE8ELNS1_11target_archE1030ELNS1_3gpuE2ELNS1_3repE0EEENS1_30default_config_static_selectorELNS0_4arch9wavefront6targetE0EEEvT1_,"axG",@progbits,_ZN7rocprim17ROCPRIM_400000_NS6detail17trampoline_kernelINS0_14default_configENS1_25partition_config_selectorILNS1_17partition_subalgoE9EllbEEZZNS1_14partition_implILS5_9ELb0ES3_jPlS8_PNS0_10empty_typeENS0_5tupleIJS8_S9_EEENSB_IJS8_SA_EEENS0_18inequality_wrapperIZN2at6native12_GLOBAL__N_124unique_dim_cuda_templateIjEESt5tupleIJNSF_6TensorESK_SK_EERKSK_lbbbEUlllE0_EEPmJS9_EEE10hipError_tPvRmT3_T4_T5_T6_T7_T9_mT8_P12ihipStream_tbDpT10_ENKUlT_T0_E_clISt17integral_constantIbLb0EES1A_EEDaS15_S16_EUlS15_E_NS1_11comp_targetILNS1_3genE8ELNS1_11target_archE1030ELNS1_3gpuE2ELNS1_3repE0EEENS1_30default_config_static_selectorELNS0_4arch9wavefront6targetE0EEEvT1_,comdat
.Lfunc_end1580:
	.size	_ZN7rocprim17ROCPRIM_400000_NS6detail17trampoline_kernelINS0_14default_configENS1_25partition_config_selectorILNS1_17partition_subalgoE9EllbEEZZNS1_14partition_implILS5_9ELb0ES3_jPlS8_PNS0_10empty_typeENS0_5tupleIJS8_S9_EEENSB_IJS8_SA_EEENS0_18inequality_wrapperIZN2at6native12_GLOBAL__N_124unique_dim_cuda_templateIjEESt5tupleIJNSF_6TensorESK_SK_EERKSK_lbbbEUlllE0_EEPmJS9_EEE10hipError_tPvRmT3_T4_T5_T6_T7_T9_mT8_P12ihipStream_tbDpT10_ENKUlT_T0_E_clISt17integral_constantIbLb0EES1A_EEDaS15_S16_EUlS15_E_NS1_11comp_targetILNS1_3genE8ELNS1_11target_archE1030ELNS1_3gpuE2ELNS1_3repE0EEENS1_30default_config_static_selectorELNS0_4arch9wavefront6targetE0EEEvT1_, .Lfunc_end1580-_ZN7rocprim17ROCPRIM_400000_NS6detail17trampoline_kernelINS0_14default_configENS1_25partition_config_selectorILNS1_17partition_subalgoE9EllbEEZZNS1_14partition_implILS5_9ELb0ES3_jPlS8_PNS0_10empty_typeENS0_5tupleIJS8_S9_EEENSB_IJS8_SA_EEENS0_18inequality_wrapperIZN2at6native12_GLOBAL__N_124unique_dim_cuda_templateIjEESt5tupleIJNSF_6TensorESK_SK_EERKSK_lbbbEUlllE0_EEPmJS9_EEE10hipError_tPvRmT3_T4_T5_T6_T7_T9_mT8_P12ihipStream_tbDpT10_ENKUlT_T0_E_clISt17integral_constantIbLb0EES1A_EEDaS15_S16_EUlS15_E_NS1_11comp_targetILNS1_3genE8ELNS1_11target_archE1030ELNS1_3gpuE2ELNS1_3repE0EEENS1_30default_config_static_selectorELNS0_4arch9wavefront6targetE0EEEvT1_
                                        ; -- End function
	.set _ZN7rocprim17ROCPRIM_400000_NS6detail17trampoline_kernelINS0_14default_configENS1_25partition_config_selectorILNS1_17partition_subalgoE9EllbEEZZNS1_14partition_implILS5_9ELb0ES3_jPlS8_PNS0_10empty_typeENS0_5tupleIJS8_S9_EEENSB_IJS8_SA_EEENS0_18inequality_wrapperIZN2at6native12_GLOBAL__N_124unique_dim_cuda_templateIjEESt5tupleIJNSF_6TensorESK_SK_EERKSK_lbbbEUlllE0_EEPmJS9_EEE10hipError_tPvRmT3_T4_T5_T6_T7_T9_mT8_P12ihipStream_tbDpT10_ENKUlT_T0_E_clISt17integral_constantIbLb0EES1A_EEDaS15_S16_EUlS15_E_NS1_11comp_targetILNS1_3genE8ELNS1_11target_archE1030ELNS1_3gpuE2ELNS1_3repE0EEENS1_30default_config_static_selectorELNS0_4arch9wavefront6targetE0EEEvT1_.num_vgpr, 0
	.set _ZN7rocprim17ROCPRIM_400000_NS6detail17trampoline_kernelINS0_14default_configENS1_25partition_config_selectorILNS1_17partition_subalgoE9EllbEEZZNS1_14partition_implILS5_9ELb0ES3_jPlS8_PNS0_10empty_typeENS0_5tupleIJS8_S9_EEENSB_IJS8_SA_EEENS0_18inequality_wrapperIZN2at6native12_GLOBAL__N_124unique_dim_cuda_templateIjEESt5tupleIJNSF_6TensorESK_SK_EERKSK_lbbbEUlllE0_EEPmJS9_EEE10hipError_tPvRmT3_T4_T5_T6_T7_T9_mT8_P12ihipStream_tbDpT10_ENKUlT_T0_E_clISt17integral_constantIbLb0EES1A_EEDaS15_S16_EUlS15_E_NS1_11comp_targetILNS1_3genE8ELNS1_11target_archE1030ELNS1_3gpuE2ELNS1_3repE0EEENS1_30default_config_static_selectorELNS0_4arch9wavefront6targetE0EEEvT1_.num_agpr, 0
	.set _ZN7rocprim17ROCPRIM_400000_NS6detail17trampoline_kernelINS0_14default_configENS1_25partition_config_selectorILNS1_17partition_subalgoE9EllbEEZZNS1_14partition_implILS5_9ELb0ES3_jPlS8_PNS0_10empty_typeENS0_5tupleIJS8_S9_EEENSB_IJS8_SA_EEENS0_18inequality_wrapperIZN2at6native12_GLOBAL__N_124unique_dim_cuda_templateIjEESt5tupleIJNSF_6TensorESK_SK_EERKSK_lbbbEUlllE0_EEPmJS9_EEE10hipError_tPvRmT3_T4_T5_T6_T7_T9_mT8_P12ihipStream_tbDpT10_ENKUlT_T0_E_clISt17integral_constantIbLb0EES1A_EEDaS15_S16_EUlS15_E_NS1_11comp_targetILNS1_3genE8ELNS1_11target_archE1030ELNS1_3gpuE2ELNS1_3repE0EEENS1_30default_config_static_selectorELNS0_4arch9wavefront6targetE0EEEvT1_.numbered_sgpr, 0
	.set _ZN7rocprim17ROCPRIM_400000_NS6detail17trampoline_kernelINS0_14default_configENS1_25partition_config_selectorILNS1_17partition_subalgoE9EllbEEZZNS1_14partition_implILS5_9ELb0ES3_jPlS8_PNS0_10empty_typeENS0_5tupleIJS8_S9_EEENSB_IJS8_SA_EEENS0_18inequality_wrapperIZN2at6native12_GLOBAL__N_124unique_dim_cuda_templateIjEESt5tupleIJNSF_6TensorESK_SK_EERKSK_lbbbEUlllE0_EEPmJS9_EEE10hipError_tPvRmT3_T4_T5_T6_T7_T9_mT8_P12ihipStream_tbDpT10_ENKUlT_T0_E_clISt17integral_constantIbLb0EES1A_EEDaS15_S16_EUlS15_E_NS1_11comp_targetILNS1_3genE8ELNS1_11target_archE1030ELNS1_3gpuE2ELNS1_3repE0EEENS1_30default_config_static_selectorELNS0_4arch9wavefront6targetE0EEEvT1_.num_named_barrier, 0
	.set _ZN7rocprim17ROCPRIM_400000_NS6detail17trampoline_kernelINS0_14default_configENS1_25partition_config_selectorILNS1_17partition_subalgoE9EllbEEZZNS1_14partition_implILS5_9ELb0ES3_jPlS8_PNS0_10empty_typeENS0_5tupleIJS8_S9_EEENSB_IJS8_SA_EEENS0_18inequality_wrapperIZN2at6native12_GLOBAL__N_124unique_dim_cuda_templateIjEESt5tupleIJNSF_6TensorESK_SK_EERKSK_lbbbEUlllE0_EEPmJS9_EEE10hipError_tPvRmT3_T4_T5_T6_T7_T9_mT8_P12ihipStream_tbDpT10_ENKUlT_T0_E_clISt17integral_constantIbLb0EES1A_EEDaS15_S16_EUlS15_E_NS1_11comp_targetILNS1_3genE8ELNS1_11target_archE1030ELNS1_3gpuE2ELNS1_3repE0EEENS1_30default_config_static_selectorELNS0_4arch9wavefront6targetE0EEEvT1_.private_seg_size, 0
	.set _ZN7rocprim17ROCPRIM_400000_NS6detail17trampoline_kernelINS0_14default_configENS1_25partition_config_selectorILNS1_17partition_subalgoE9EllbEEZZNS1_14partition_implILS5_9ELb0ES3_jPlS8_PNS0_10empty_typeENS0_5tupleIJS8_S9_EEENSB_IJS8_SA_EEENS0_18inequality_wrapperIZN2at6native12_GLOBAL__N_124unique_dim_cuda_templateIjEESt5tupleIJNSF_6TensorESK_SK_EERKSK_lbbbEUlllE0_EEPmJS9_EEE10hipError_tPvRmT3_T4_T5_T6_T7_T9_mT8_P12ihipStream_tbDpT10_ENKUlT_T0_E_clISt17integral_constantIbLb0EES1A_EEDaS15_S16_EUlS15_E_NS1_11comp_targetILNS1_3genE8ELNS1_11target_archE1030ELNS1_3gpuE2ELNS1_3repE0EEENS1_30default_config_static_selectorELNS0_4arch9wavefront6targetE0EEEvT1_.uses_vcc, 0
	.set _ZN7rocprim17ROCPRIM_400000_NS6detail17trampoline_kernelINS0_14default_configENS1_25partition_config_selectorILNS1_17partition_subalgoE9EllbEEZZNS1_14partition_implILS5_9ELb0ES3_jPlS8_PNS0_10empty_typeENS0_5tupleIJS8_S9_EEENSB_IJS8_SA_EEENS0_18inequality_wrapperIZN2at6native12_GLOBAL__N_124unique_dim_cuda_templateIjEESt5tupleIJNSF_6TensorESK_SK_EERKSK_lbbbEUlllE0_EEPmJS9_EEE10hipError_tPvRmT3_T4_T5_T6_T7_T9_mT8_P12ihipStream_tbDpT10_ENKUlT_T0_E_clISt17integral_constantIbLb0EES1A_EEDaS15_S16_EUlS15_E_NS1_11comp_targetILNS1_3genE8ELNS1_11target_archE1030ELNS1_3gpuE2ELNS1_3repE0EEENS1_30default_config_static_selectorELNS0_4arch9wavefront6targetE0EEEvT1_.uses_flat_scratch, 0
	.set _ZN7rocprim17ROCPRIM_400000_NS6detail17trampoline_kernelINS0_14default_configENS1_25partition_config_selectorILNS1_17partition_subalgoE9EllbEEZZNS1_14partition_implILS5_9ELb0ES3_jPlS8_PNS0_10empty_typeENS0_5tupleIJS8_S9_EEENSB_IJS8_SA_EEENS0_18inequality_wrapperIZN2at6native12_GLOBAL__N_124unique_dim_cuda_templateIjEESt5tupleIJNSF_6TensorESK_SK_EERKSK_lbbbEUlllE0_EEPmJS9_EEE10hipError_tPvRmT3_T4_T5_T6_T7_T9_mT8_P12ihipStream_tbDpT10_ENKUlT_T0_E_clISt17integral_constantIbLb0EES1A_EEDaS15_S16_EUlS15_E_NS1_11comp_targetILNS1_3genE8ELNS1_11target_archE1030ELNS1_3gpuE2ELNS1_3repE0EEENS1_30default_config_static_selectorELNS0_4arch9wavefront6targetE0EEEvT1_.has_dyn_sized_stack, 0
	.set _ZN7rocprim17ROCPRIM_400000_NS6detail17trampoline_kernelINS0_14default_configENS1_25partition_config_selectorILNS1_17partition_subalgoE9EllbEEZZNS1_14partition_implILS5_9ELb0ES3_jPlS8_PNS0_10empty_typeENS0_5tupleIJS8_S9_EEENSB_IJS8_SA_EEENS0_18inequality_wrapperIZN2at6native12_GLOBAL__N_124unique_dim_cuda_templateIjEESt5tupleIJNSF_6TensorESK_SK_EERKSK_lbbbEUlllE0_EEPmJS9_EEE10hipError_tPvRmT3_T4_T5_T6_T7_T9_mT8_P12ihipStream_tbDpT10_ENKUlT_T0_E_clISt17integral_constantIbLb0EES1A_EEDaS15_S16_EUlS15_E_NS1_11comp_targetILNS1_3genE8ELNS1_11target_archE1030ELNS1_3gpuE2ELNS1_3repE0EEENS1_30default_config_static_selectorELNS0_4arch9wavefront6targetE0EEEvT1_.has_recursion, 0
	.set _ZN7rocprim17ROCPRIM_400000_NS6detail17trampoline_kernelINS0_14default_configENS1_25partition_config_selectorILNS1_17partition_subalgoE9EllbEEZZNS1_14partition_implILS5_9ELb0ES3_jPlS8_PNS0_10empty_typeENS0_5tupleIJS8_S9_EEENSB_IJS8_SA_EEENS0_18inequality_wrapperIZN2at6native12_GLOBAL__N_124unique_dim_cuda_templateIjEESt5tupleIJNSF_6TensorESK_SK_EERKSK_lbbbEUlllE0_EEPmJS9_EEE10hipError_tPvRmT3_T4_T5_T6_T7_T9_mT8_P12ihipStream_tbDpT10_ENKUlT_T0_E_clISt17integral_constantIbLb0EES1A_EEDaS15_S16_EUlS15_E_NS1_11comp_targetILNS1_3genE8ELNS1_11target_archE1030ELNS1_3gpuE2ELNS1_3repE0EEENS1_30default_config_static_selectorELNS0_4arch9wavefront6targetE0EEEvT1_.has_indirect_call, 0
	.section	.AMDGPU.csdata,"",@progbits
; Kernel info:
; codeLenInByte = 0
; TotalNumSgprs: 0
; NumVgprs: 0
; ScratchSize: 0
; MemoryBound: 0
; FloatMode: 240
; IeeeMode: 1
; LDSByteSize: 0 bytes/workgroup (compile time only)
; SGPRBlocks: 0
; VGPRBlocks: 0
; NumSGPRsForWavesPerEU: 1
; NumVGPRsForWavesPerEU: 1
; NamedBarCnt: 0
; Occupancy: 16
; WaveLimiterHint : 0
; COMPUTE_PGM_RSRC2:SCRATCH_EN: 0
; COMPUTE_PGM_RSRC2:USER_SGPR: 2
; COMPUTE_PGM_RSRC2:TRAP_HANDLER: 0
; COMPUTE_PGM_RSRC2:TGID_X_EN: 1
; COMPUTE_PGM_RSRC2:TGID_Y_EN: 0
; COMPUTE_PGM_RSRC2:TGID_Z_EN: 0
; COMPUTE_PGM_RSRC2:TIDIG_COMP_CNT: 0
	.section	.text._ZN7rocprim17ROCPRIM_400000_NS6detail17trampoline_kernelINS0_14default_configENS1_25partition_config_selectorILNS1_17partition_subalgoE9EllbEEZZNS1_14partition_implILS5_9ELb0ES3_jPlS8_PNS0_10empty_typeENS0_5tupleIJS8_S9_EEENSB_IJS8_SA_EEENS0_18inequality_wrapperIZN2at6native12_GLOBAL__N_124unique_dim_cuda_templateIjEESt5tupleIJNSF_6TensorESK_SK_EERKSK_lbbbEUlllE0_EEPmJS9_EEE10hipError_tPvRmT3_T4_T5_T6_T7_T9_mT8_P12ihipStream_tbDpT10_ENKUlT_T0_E_clISt17integral_constantIbLb1EES1A_EEDaS15_S16_EUlS15_E_NS1_11comp_targetILNS1_3genE0ELNS1_11target_archE4294967295ELNS1_3gpuE0ELNS1_3repE0EEENS1_30default_config_static_selectorELNS0_4arch9wavefront6targetE0EEEvT1_,"axG",@progbits,_ZN7rocprim17ROCPRIM_400000_NS6detail17trampoline_kernelINS0_14default_configENS1_25partition_config_selectorILNS1_17partition_subalgoE9EllbEEZZNS1_14partition_implILS5_9ELb0ES3_jPlS8_PNS0_10empty_typeENS0_5tupleIJS8_S9_EEENSB_IJS8_SA_EEENS0_18inequality_wrapperIZN2at6native12_GLOBAL__N_124unique_dim_cuda_templateIjEESt5tupleIJNSF_6TensorESK_SK_EERKSK_lbbbEUlllE0_EEPmJS9_EEE10hipError_tPvRmT3_T4_T5_T6_T7_T9_mT8_P12ihipStream_tbDpT10_ENKUlT_T0_E_clISt17integral_constantIbLb1EES1A_EEDaS15_S16_EUlS15_E_NS1_11comp_targetILNS1_3genE0ELNS1_11target_archE4294967295ELNS1_3gpuE0ELNS1_3repE0EEENS1_30default_config_static_selectorELNS0_4arch9wavefront6targetE0EEEvT1_,comdat
	.globl	_ZN7rocprim17ROCPRIM_400000_NS6detail17trampoline_kernelINS0_14default_configENS1_25partition_config_selectorILNS1_17partition_subalgoE9EllbEEZZNS1_14partition_implILS5_9ELb0ES3_jPlS8_PNS0_10empty_typeENS0_5tupleIJS8_S9_EEENSB_IJS8_SA_EEENS0_18inequality_wrapperIZN2at6native12_GLOBAL__N_124unique_dim_cuda_templateIjEESt5tupleIJNSF_6TensorESK_SK_EERKSK_lbbbEUlllE0_EEPmJS9_EEE10hipError_tPvRmT3_T4_T5_T6_T7_T9_mT8_P12ihipStream_tbDpT10_ENKUlT_T0_E_clISt17integral_constantIbLb1EES1A_EEDaS15_S16_EUlS15_E_NS1_11comp_targetILNS1_3genE0ELNS1_11target_archE4294967295ELNS1_3gpuE0ELNS1_3repE0EEENS1_30default_config_static_selectorELNS0_4arch9wavefront6targetE0EEEvT1_ ; -- Begin function _ZN7rocprim17ROCPRIM_400000_NS6detail17trampoline_kernelINS0_14default_configENS1_25partition_config_selectorILNS1_17partition_subalgoE9EllbEEZZNS1_14partition_implILS5_9ELb0ES3_jPlS8_PNS0_10empty_typeENS0_5tupleIJS8_S9_EEENSB_IJS8_SA_EEENS0_18inequality_wrapperIZN2at6native12_GLOBAL__N_124unique_dim_cuda_templateIjEESt5tupleIJNSF_6TensorESK_SK_EERKSK_lbbbEUlllE0_EEPmJS9_EEE10hipError_tPvRmT3_T4_T5_T6_T7_T9_mT8_P12ihipStream_tbDpT10_ENKUlT_T0_E_clISt17integral_constantIbLb1EES1A_EEDaS15_S16_EUlS15_E_NS1_11comp_targetILNS1_3genE0ELNS1_11target_archE4294967295ELNS1_3gpuE0ELNS1_3repE0EEENS1_30default_config_static_selectorELNS0_4arch9wavefront6targetE0EEEvT1_
	.p2align	8
	.type	_ZN7rocprim17ROCPRIM_400000_NS6detail17trampoline_kernelINS0_14default_configENS1_25partition_config_selectorILNS1_17partition_subalgoE9EllbEEZZNS1_14partition_implILS5_9ELb0ES3_jPlS8_PNS0_10empty_typeENS0_5tupleIJS8_S9_EEENSB_IJS8_SA_EEENS0_18inequality_wrapperIZN2at6native12_GLOBAL__N_124unique_dim_cuda_templateIjEESt5tupleIJNSF_6TensorESK_SK_EERKSK_lbbbEUlllE0_EEPmJS9_EEE10hipError_tPvRmT3_T4_T5_T6_T7_T9_mT8_P12ihipStream_tbDpT10_ENKUlT_T0_E_clISt17integral_constantIbLb1EES1A_EEDaS15_S16_EUlS15_E_NS1_11comp_targetILNS1_3genE0ELNS1_11target_archE4294967295ELNS1_3gpuE0ELNS1_3repE0EEENS1_30default_config_static_selectorELNS0_4arch9wavefront6targetE0EEEvT1_,@function
_ZN7rocprim17ROCPRIM_400000_NS6detail17trampoline_kernelINS0_14default_configENS1_25partition_config_selectorILNS1_17partition_subalgoE9EllbEEZZNS1_14partition_implILS5_9ELb0ES3_jPlS8_PNS0_10empty_typeENS0_5tupleIJS8_S9_EEENSB_IJS8_SA_EEENS0_18inequality_wrapperIZN2at6native12_GLOBAL__N_124unique_dim_cuda_templateIjEESt5tupleIJNSF_6TensorESK_SK_EERKSK_lbbbEUlllE0_EEPmJS9_EEE10hipError_tPvRmT3_T4_T5_T6_T7_T9_mT8_P12ihipStream_tbDpT10_ENKUlT_T0_E_clISt17integral_constantIbLb1EES1A_EEDaS15_S16_EUlS15_E_NS1_11comp_targetILNS1_3genE0ELNS1_11target_archE4294967295ELNS1_3gpuE0ELNS1_3repE0EEENS1_30default_config_static_selectorELNS0_4arch9wavefront6targetE0EEEvT1_: ; @_ZN7rocprim17ROCPRIM_400000_NS6detail17trampoline_kernelINS0_14default_configENS1_25partition_config_selectorILNS1_17partition_subalgoE9EllbEEZZNS1_14partition_implILS5_9ELb0ES3_jPlS8_PNS0_10empty_typeENS0_5tupleIJS8_S9_EEENSB_IJS8_SA_EEENS0_18inequality_wrapperIZN2at6native12_GLOBAL__N_124unique_dim_cuda_templateIjEESt5tupleIJNSF_6TensorESK_SK_EERKSK_lbbbEUlllE0_EEPmJS9_EEE10hipError_tPvRmT3_T4_T5_T6_T7_T9_mT8_P12ihipStream_tbDpT10_ENKUlT_T0_E_clISt17integral_constantIbLb1EES1A_EEDaS15_S16_EUlS15_E_NS1_11comp_targetILNS1_3genE0ELNS1_11target_archE4294967295ELNS1_3gpuE0ELNS1_3repE0EEENS1_30default_config_static_selectorELNS0_4arch9wavefront6targetE0EEEvT1_
; %bb.0:
	s_endpgm
	.section	.rodata,"a",@progbits
	.p2align	6, 0x0
	.amdhsa_kernel _ZN7rocprim17ROCPRIM_400000_NS6detail17trampoline_kernelINS0_14default_configENS1_25partition_config_selectorILNS1_17partition_subalgoE9EllbEEZZNS1_14partition_implILS5_9ELb0ES3_jPlS8_PNS0_10empty_typeENS0_5tupleIJS8_S9_EEENSB_IJS8_SA_EEENS0_18inequality_wrapperIZN2at6native12_GLOBAL__N_124unique_dim_cuda_templateIjEESt5tupleIJNSF_6TensorESK_SK_EERKSK_lbbbEUlllE0_EEPmJS9_EEE10hipError_tPvRmT3_T4_T5_T6_T7_T9_mT8_P12ihipStream_tbDpT10_ENKUlT_T0_E_clISt17integral_constantIbLb1EES1A_EEDaS15_S16_EUlS15_E_NS1_11comp_targetILNS1_3genE0ELNS1_11target_archE4294967295ELNS1_3gpuE0ELNS1_3repE0EEENS1_30default_config_static_selectorELNS0_4arch9wavefront6targetE0EEEvT1_
		.amdhsa_group_segment_fixed_size 0
		.amdhsa_private_segment_fixed_size 0
		.amdhsa_kernarg_size 136
		.amdhsa_user_sgpr_count 2
		.amdhsa_user_sgpr_dispatch_ptr 0
		.amdhsa_user_sgpr_queue_ptr 0
		.amdhsa_user_sgpr_kernarg_segment_ptr 1
		.amdhsa_user_sgpr_dispatch_id 0
		.amdhsa_user_sgpr_kernarg_preload_length 0
		.amdhsa_user_sgpr_kernarg_preload_offset 0
		.amdhsa_user_sgpr_private_segment_size 0
		.amdhsa_wavefront_size32 1
		.amdhsa_uses_dynamic_stack 0
		.amdhsa_enable_private_segment 0
		.amdhsa_system_sgpr_workgroup_id_x 1
		.amdhsa_system_sgpr_workgroup_id_y 0
		.amdhsa_system_sgpr_workgroup_id_z 0
		.amdhsa_system_sgpr_workgroup_info 0
		.amdhsa_system_vgpr_workitem_id 0
		.amdhsa_next_free_vgpr 1
		.amdhsa_next_free_sgpr 1
		.amdhsa_named_barrier_count 0
		.amdhsa_reserve_vcc 0
		.amdhsa_float_round_mode_32 0
		.amdhsa_float_round_mode_16_64 0
		.amdhsa_float_denorm_mode_32 3
		.amdhsa_float_denorm_mode_16_64 3
		.amdhsa_fp16_overflow 0
		.amdhsa_memory_ordered 1
		.amdhsa_forward_progress 1
		.amdhsa_inst_pref_size 1
		.amdhsa_round_robin_scheduling 0
		.amdhsa_exception_fp_ieee_invalid_op 0
		.amdhsa_exception_fp_denorm_src 0
		.amdhsa_exception_fp_ieee_div_zero 0
		.amdhsa_exception_fp_ieee_overflow 0
		.amdhsa_exception_fp_ieee_underflow 0
		.amdhsa_exception_fp_ieee_inexact 0
		.amdhsa_exception_int_div_zero 0
	.end_amdhsa_kernel
	.section	.text._ZN7rocprim17ROCPRIM_400000_NS6detail17trampoline_kernelINS0_14default_configENS1_25partition_config_selectorILNS1_17partition_subalgoE9EllbEEZZNS1_14partition_implILS5_9ELb0ES3_jPlS8_PNS0_10empty_typeENS0_5tupleIJS8_S9_EEENSB_IJS8_SA_EEENS0_18inequality_wrapperIZN2at6native12_GLOBAL__N_124unique_dim_cuda_templateIjEESt5tupleIJNSF_6TensorESK_SK_EERKSK_lbbbEUlllE0_EEPmJS9_EEE10hipError_tPvRmT3_T4_T5_T6_T7_T9_mT8_P12ihipStream_tbDpT10_ENKUlT_T0_E_clISt17integral_constantIbLb1EES1A_EEDaS15_S16_EUlS15_E_NS1_11comp_targetILNS1_3genE0ELNS1_11target_archE4294967295ELNS1_3gpuE0ELNS1_3repE0EEENS1_30default_config_static_selectorELNS0_4arch9wavefront6targetE0EEEvT1_,"axG",@progbits,_ZN7rocprim17ROCPRIM_400000_NS6detail17trampoline_kernelINS0_14default_configENS1_25partition_config_selectorILNS1_17partition_subalgoE9EllbEEZZNS1_14partition_implILS5_9ELb0ES3_jPlS8_PNS0_10empty_typeENS0_5tupleIJS8_S9_EEENSB_IJS8_SA_EEENS0_18inequality_wrapperIZN2at6native12_GLOBAL__N_124unique_dim_cuda_templateIjEESt5tupleIJNSF_6TensorESK_SK_EERKSK_lbbbEUlllE0_EEPmJS9_EEE10hipError_tPvRmT3_T4_T5_T6_T7_T9_mT8_P12ihipStream_tbDpT10_ENKUlT_T0_E_clISt17integral_constantIbLb1EES1A_EEDaS15_S16_EUlS15_E_NS1_11comp_targetILNS1_3genE0ELNS1_11target_archE4294967295ELNS1_3gpuE0ELNS1_3repE0EEENS1_30default_config_static_selectorELNS0_4arch9wavefront6targetE0EEEvT1_,comdat
.Lfunc_end1581:
	.size	_ZN7rocprim17ROCPRIM_400000_NS6detail17trampoline_kernelINS0_14default_configENS1_25partition_config_selectorILNS1_17partition_subalgoE9EllbEEZZNS1_14partition_implILS5_9ELb0ES3_jPlS8_PNS0_10empty_typeENS0_5tupleIJS8_S9_EEENSB_IJS8_SA_EEENS0_18inequality_wrapperIZN2at6native12_GLOBAL__N_124unique_dim_cuda_templateIjEESt5tupleIJNSF_6TensorESK_SK_EERKSK_lbbbEUlllE0_EEPmJS9_EEE10hipError_tPvRmT3_T4_T5_T6_T7_T9_mT8_P12ihipStream_tbDpT10_ENKUlT_T0_E_clISt17integral_constantIbLb1EES1A_EEDaS15_S16_EUlS15_E_NS1_11comp_targetILNS1_3genE0ELNS1_11target_archE4294967295ELNS1_3gpuE0ELNS1_3repE0EEENS1_30default_config_static_selectorELNS0_4arch9wavefront6targetE0EEEvT1_, .Lfunc_end1581-_ZN7rocprim17ROCPRIM_400000_NS6detail17trampoline_kernelINS0_14default_configENS1_25partition_config_selectorILNS1_17partition_subalgoE9EllbEEZZNS1_14partition_implILS5_9ELb0ES3_jPlS8_PNS0_10empty_typeENS0_5tupleIJS8_S9_EEENSB_IJS8_SA_EEENS0_18inequality_wrapperIZN2at6native12_GLOBAL__N_124unique_dim_cuda_templateIjEESt5tupleIJNSF_6TensorESK_SK_EERKSK_lbbbEUlllE0_EEPmJS9_EEE10hipError_tPvRmT3_T4_T5_T6_T7_T9_mT8_P12ihipStream_tbDpT10_ENKUlT_T0_E_clISt17integral_constantIbLb1EES1A_EEDaS15_S16_EUlS15_E_NS1_11comp_targetILNS1_3genE0ELNS1_11target_archE4294967295ELNS1_3gpuE0ELNS1_3repE0EEENS1_30default_config_static_selectorELNS0_4arch9wavefront6targetE0EEEvT1_
                                        ; -- End function
	.set _ZN7rocprim17ROCPRIM_400000_NS6detail17trampoline_kernelINS0_14default_configENS1_25partition_config_selectorILNS1_17partition_subalgoE9EllbEEZZNS1_14partition_implILS5_9ELb0ES3_jPlS8_PNS0_10empty_typeENS0_5tupleIJS8_S9_EEENSB_IJS8_SA_EEENS0_18inequality_wrapperIZN2at6native12_GLOBAL__N_124unique_dim_cuda_templateIjEESt5tupleIJNSF_6TensorESK_SK_EERKSK_lbbbEUlllE0_EEPmJS9_EEE10hipError_tPvRmT3_T4_T5_T6_T7_T9_mT8_P12ihipStream_tbDpT10_ENKUlT_T0_E_clISt17integral_constantIbLb1EES1A_EEDaS15_S16_EUlS15_E_NS1_11comp_targetILNS1_3genE0ELNS1_11target_archE4294967295ELNS1_3gpuE0ELNS1_3repE0EEENS1_30default_config_static_selectorELNS0_4arch9wavefront6targetE0EEEvT1_.num_vgpr, 0
	.set _ZN7rocprim17ROCPRIM_400000_NS6detail17trampoline_kernelINS0_14default_configENS1_25partition_config_selectorILNS1_17partition_subalgoE9EllbEEZZNS1_14partition_implILS5_9ELb0ES3_jPlS8_PNS0_10empty_typeENS0_5tupleIJS8_S9_EEENSB_IJS8_SA_EEENS0_18inequality_wrapperIZN2at6native12_GLOBAL__N_124unique_dim_cuda_templateIjEESt5tupleIJNSF_6TensorESK_SK_EERKSK_lbbbEUlllE0_EEPmJS9_EEE10hipError_tPvRmT3_T4_T5_T6_T7_T9_mT8_P12ihipStream_tbDpT10_ENKUlT_T0_E_clISt17integral_constantIbLb1EES1A_EEDaS15_S16_EUlS15_E_NS1_11comp_targetILNS1_3genE0ELNS1_11target_archE4294967295ELNS1_3gpuE0ELNS1_3repE0EEENS1_30default_config_static_selectorELNS0_4arch9wavefront6targetE0EEEvT1_.num_agpr, 0
	.set _ZN7rocprim17ROCPRIM_400000_NS6detail17trampoline_kernelINS0_14default_configENS1_25partition_config_selectorILNS1_17partition_subalgoE9EllbEEZZNS1_14partition_implILS5_9ELb0ES3_jPlS8_PNS0_10empty_typeENS0_5tupleIJS8_S9_EEENSB_IJS8_SA_EEENS0_18inequality_wrapperIZN2at6native12_GLOBAL__N_124unique_dim_cuda_templateIjEESt5tupleIJNSF_6TensorESK_SK_EERKSK_lbbbEUlllE0_EEPmJS9_EEE10hipError_tPvRmT3_T4_T5_T6_T7_T9_mT8_P12ihipStream_tbDpT10_ENKUlT_T0_E_clISt17integral_constantIbLb1EES1A_EEDaS15_S16_EUlS15_E_NS1_11comp_targetILNS1_3genE0ELNS1_11target_archE4294967295ELNS1_3gpuE0ELNS1_3repE0EEENS1_30default_config_static_selectorELNS0_4arch9wavefront6targetE0EEEvT1_.numbered_sgpr, 0
	.set _ZN7rocprim17ROCPRIM_400000_NS6detail17trampoline_kernelINS0_14default_configENS1_25partition_config_selectorILNS1_17partition_subalgoE9EllbEEZZNS1_14partition_implILS5_9ELb0ES3_jPlS8_PNS0_10empty_typeENS0_5tupleIJS8_S9_EEENSB_IJS8_SA_EEENS0_18inequality_wrapperIZN2at6native12_GLOBAL__N_124unique_dim_cuda_templateIjEESt5tupleIJNSF_6TensorESK_SK_EERKSK_lbbbEUlllE0_EEPmJS9_EEE10hipError_tPvRmT3_T4_T5_T6_T7_T9_mT8_P12ihipStream_tbDpT10_ENKUlT_T0_E_clISt17integral_constantIbLb1EES1A_EEDaS15_S16_EUlS15_E_NS1_11comp_targetILNS1_3genE0ELNS1_11target_archE4294967295ELNS1_3gpuE0ELNS1_3repE0EEENS1_30default_config_static_selectorELNS0_4arch9wavefront6targetE0EEEvT1_.num_named_barrier, 0
	.set _ZN7rocprim17ROCPRIM_400000_NS6detail17trampoline_kernelINS0_14default_configENS1_25partition_config_selectorILNS1_17partition_subalgoE9EllbEEZZNS1_14partition_implILS5_9ELb0ES3_jPlS8_PNS0_10empty_typeENS0_5tupleIJS8_S9_EEENSB_IJS8_SA_EEENS0_18inequality_wrapperIZN2at6native12_GLOBAL__N_124unique_dim_cuda_templateIjEESt5tupleIJNSF_6TensorESK_SK_EERKSK_lbbbEUlllE0_EEPmJS9_EEE10hipError_tPvRmT3_T4_T5_T6_T7_T9_mT8_P12ihipStream_tbDpT10_ENKUlT_T0_E_clISt17integral_constantIbLb1EES1A_EEDaS15_S16_EUlS15_E_NS1_11comp_targetILNS1_3genE0ELNS1_11target_archE4294967295ELNS1_3gpuE0ELNS1_3repE0EEENS1_30default_config_static_selectorELNS0_4arch9wavefront6targetE0EEEvT1_.private_seg_size, 0
	.set _ZN7rocprim17ROCPRIM_400000_NS6detail17trampoline_kernelINS0_14default_configENS1_25partition_config_selectorILNS1_17partition_subalgoE9EllbEEZZNS1_14partition_implILS5_9ELb0ES3_jPlS8_PNS0_10empty_typeENS0_5tupleIJS8_S9_EEENSB_IJS8_SA_EEENS0_18inequality_wrapperIZN2at6native12_GLOBAL__N_124unique_dim_cuda_templateIjEESt5tupleIJNSF_6TensorESK_SK_EERKSK_lbbbEUlllE0_EEPmJS9_EEE10hipError_tPvRmT3_T4_T5_T6_T7_T9_mT8_P12ihipStream_tbDpT10_ENKUlT_T0_E_clISt17integral_constantIbLb1EES1A_EEDaS15_S16_EUlS15_E_NS1_11comp_targetILNS1_3genE0ELNS1_11target_archE4294967295ELNS1_3gpuE0ELNS1_3repE0EEENS1_30default_config_static_selectorELNS0_4arch9wavefront6targetE0EEEvT1_.uses_vcc, 0
	.set _ZN7rocprim17ROCPRIM_400000_NS6detail17trampoline_kernelINS0_14default_configENS1_25partition_config_selectorILNS1_17partition_subalgoE9EllbEEZZNS1_14partition_implILS5_9ELb0ES3_jPlS8_PNS0_10empty_typeENS0_5tupleIJS8_S9_EEENSB_IJS8_SA_EEENS0_18inequality_wrapperIZN2at6native12_GLOBAL__N_124unique_dim_cuda_templateIjEESt5tupleIJNSF_6TensorESK_SK_EERKSK_lbbbEUlllE0_EEPmJS9_EEE10hipError_tPvRmT3_T4_T5_T6_T7_T9_mT8_P12ihipStream_tbDpT10_ENKUlT_T0_E_clISt17integral_constantIbLb1EES1A_EEDaS15_S16_EUlS15_E_NS1_11comp_targetILNS1_3genE0ELNS1_11target_archE4294967295ELNS1_3gpuE0ELNS1_3repE0EEENS1_30default_config_static_selectorELNS0_4arch9wavefront6targetE0EEEvT1_.uses_flat_scratch, 0
	.set _ZN7rocprim17ROCPRIM_400000_NS6detail17trampoline_kernelINS0_14default_configENS1_25partition_config_selectorILNS1_17partition_subalgoE9EllbEEZZNS1_14partition_implILS5_9ELb0ES3_jPlS8_PNS0_10empty_typeENS0_5tupleIJS8_S9_EEENSB_IJS8_SA_EEENS0_18inequality_wrapperIZN2at6native12_GLOBAL__N_124unique_dim_cuda_templateIjEESt5tupleIJNSF_6TensorESK_SK_EERKSK_lbbbEUlllE0_EEPmJS9_EEE10hipError_tPvRmT3_T4_T5_T6_T7_T9_mT8_P12ihipStream_tbDpT10_ENKUlT_T0_E_clISt17integral_constantIbLb1EES1A_EEDaS15_S16_EUlS15_E_NS1_11comp_targetILNS1_3genE0ELNS1_11target_archE4294967295ELNS1_3gpuE0ELNS1_3repE0EEENS1_30default_config_static_selectorELNS0_4arch9wavefront6targetE0EEEvT1_.has_dyn_sized_stack, 0
	.set _ZN7rocprim17ROCPRIM_400000_NS6detail17trampoline_kernelINS0_14default_configENS1_25partition_config_selectorILNS1_17partition_subalgoE9EllbEEZZNS1_14partition_implILS5_9ELb0ES3_jPlS8_PNS0_10empty_typeENS0_5tupleIJS8_S9_EEENSB_IJS8_SA_EEENS0_18inequality_wrapperIZN2at6native12_GLOBAL__N_124unique_dim_cuda_templateIjEESt5tupleIJNSF_6TensorESK_SK_EERKSK_lbbbEUlllE0_EEPmJS9_EEE10hipError_tPvRmT3_T4_T5_T6_T7_T9_mT8_P12ihipStream_tbDpT10_ENKUlT_T0_E_clISt17integral_constantIbLb1EES1A_EEDaS15_S16_EUlS15_E_NS1_11comp_targetILNS1_3genE0ELNS1_11target_archE4294967295ELNS1_3gpuE0ELNS1_3repE0EEENS1_30default_config_static_selectorELNS0_4arch9wavefront6targetE0EEEvT1_.has_recursion, 0
	.set _ZN7rocprim17ROCPRIM_400000_NS6detail17trampoline_kernelINS0_14default_configENS1_25partition_config_selectorILNS1_17partition_subalgoE9EllbEEZZNS1_14partition_implILS5_9ELb0ES3_jPlS8_PNS0_10empty_typeENS0_5tupleIJS8_S9_EEENSB_IJS8_SA_EEENS0_18inequality_wrapperIZN2at6native12_GLOBAL__N_124unique_dim_cuda_templateIjEESt5tupleIJNSF_6TensorESK_SK_EERKSK_lbbbEUlllE0_EEPmJS9_EEE10hipError_tPvRmT3_T4_T5_T6_T7_T9_mT8_P12ihipStream_tbDpT10_ENKUlT_T0_E_clISt17integral_constantIbLb1EES1A_EEDaS15_S16_EUlS15_E_NS1_11comp_targetILNS1_3genE0ELNS1_11target_archE4294967295ELNS1_3gpuE0ELNS1_3repE0EEENS1_30default_config_static_selectorELNS0_4arch9wavefront6targetE0EEEvT1_.has_indirect_call, 0
	.section	.AMDGPU.csdata,"",@progbits
; Kernel info:
; codeLenInByte = 4
; TotalNumSgprs: 0
; NumVgprs: 0
; ScratchSize: 0
; MemoryBound: 0
; FloatMode: 240
; IeeeMode: 1
; LDSByteSize: 0 bytes/workgroup (compile time only)
; SGPRBlocks: 0
; VGPRBlocks: 0
; NumSGPRsForWavesPerEU: 1
; NumVGPRsForWavesPerEU: 1
; NamedBarCnt: 0
; Occupancy: 16
; WaveLimiterHint : 0
; COMPUTE_PGM_RSRC2:SCRATCH_EN: 0
; COMPUTE_PGM_RSRC2:USER_SGPR: 2
; COMPUTE_PGM_RSRC2:TRAP_HANDLER: 0
; COMPUTE_PGM_RSRC2:TGID_X_EN: 1
; COMPUTE_PGM_RSRC2:TGID_Y_EN: 0
; COMPUTE_PGM_RSRC2:TGID_Z_EN: 0
; COMPUTE_PGM_RSRC2:TIDIG_COMP_CNT: 0
	.section	.text._ZN7rocprim17ROCPRIM_400000_NS6detail17trampoline_kernelINS0_14default_configENS1_25partition_config_selectorILNS1_17partition_subalgoE9EllbEEZZNS1_14partition_implILS5_9ELb0ES3_jPlS8_PNS0_10empty_typeENS0_5tupleIJS8_S9_EEENSB_IJS8_SA_EEENS0_18inequality_wrapperIZN2at6native12_GLOBAL__N_124unique_dim_cuda_templateIjEESt5tupleIJNSF_6TensorESK_SK_EERKSK_lbbbEUlllE0_EEPmJS9_EEE10hipError_tPvRmT3_T4_T5_T6_T7_T9_mT8_P12ihipStream_tbDpT10_ENKUlT_T0_E_clISt17integral_constantIbLb1EES1A_EEDaS15_S16_EUlS15_E_NS1_11comp_targetILNS1_3genE5ELNS1_11target_archE942ELNS1_3gpuE9ELNS1_3repE0EEENS1_30default_config_static_selectorELNS0_4arch9wavefront6targetE0EEEvT1_,"axG",@progbits,_ZN7rocprim17ROCPRIM_400000_NS6detail17trampoline_kernelINS0_14default_configENS1_25partition_config_selectorILNS1_17partition_subalgoE9EllbEEZZNS1_14partition_implILS5_9ELb0ES3_jPlS8_PNS0_10empty_typeENS0_5tupleIJS8_S9_EEENSB_IJS8_SA_EEENS0_18inequality_wrapperIZN2at6native12_GLOBAL__N_124unique_dim_cuda_templateIjEESt5tupleIJNSF_6TensorESK_SK_EERKSK_lbbbEUlllE0_EEPmJS9_EEE10hipError_tPvRmT3_T4_T5_T6_T7_T9_mT8_P12ihipStream_tbDpT10_ENKUlT_T0_E_clISt17integral_constantIbLb1EES1A_EEDaS15_S16_EUlS15_E_NS1_11comp_targetILNS1_3genE5ELNS1_11target_archE942ELNS1_3gpuE9ELNS1_3repE0EEENS1_30default_config_static_selectorELNS0_4arch9wavefront6targetE0EEEvT1_,comdat
	.globl	_ZN7rocprim17ROCPRIM_400000_NS6detail17trampoline_kernelINS0_14default_configENS1_25partition_config_selectorILNS1_17partition_subalgoE9EllbEEZZNS1_14partition_implILS5_9ELb0ES3_jPlS8_PNS0_10empty_typeENS0_5tupleIJS8_S9_EEENSB_IJS8_SA_EEENS0_18inequality_wrapperIZN2at6native12_GLOBAL__N_124unique_dim_cuda_templateIjEESt5tupleIJNSF_6TensorESK_SK_EERKSK_lbbbEUlllE0_EEPmJS9_EEE10hipError_tPvRmT3_T4_T5_T6_T7_T9_mT8_P12ihipStream_tbDpT10_ENKUlT_T0_E_clISt17integral_constantIbLb1EES1A_EEDaS15_S16_EUlS15_E_NS1_11comp_targetILNS1_3genE5ELNS1_11target_archE942ELNS1_3gpuE9ELNS1_3repE0EEENS1_30default_config_static_selectorELNS0_4arch9wavefront6targetE0EEEvT1_ ; -- Begin function _ZN7rocprim17ROCPRIM_400000_NS6detail17trampoline_kernelINS0_14default_configENS1_25partition_config_selectorILNS1_17partition_subalgoE9EllbEEZZNS1_14partition_implILS5_9ELb0ES3_jPlS8_PNS0_10empty_typeENS0_5tupleIJS8_S9_EEENSB_IJS8_SA_EEENS0_18inequality_wrapperIZN2at6native12_GLOBAL__N_124unique_dim_cuda_templateIjEESt5tupleIJNSF_6TensorESK_SK_EERKSK_lbbbEUlllE0_EEPmJS9_EEE10hipError_tPvRmT3_T4_T5_T6_T7_T9_mT8_P12ihipStream_tbDpT10_ENKUlT_T0_E_clISt17integral_constantIbLb1EES1A_EEDaS15_S16_EUlS15_E_NS1_11comp_targetILNS1_3genE5ELNS1_11target_archE942ELNS1_3gpuE9ELNS1_3repE0EEENS1_30default_config_static_selectorELNS0_4arch9wavefront6targetE0EEEvT1_
	.p2align	8
	.type	_ZN7rocprim17ROCPRIM_400000_NS6detail17trampoline_kernelINS0_14default_configENS1_25partition_config_selectorILNS1_17partition_subalgoE9EllbEEZZNS1_14partition_implILS5_9ELb0ES3_jPlS8_PNS0_10empty_typeENS0_5tupleIJS8_S9_EEENSB_IJS8_SA_EEENS0_18inequality_wrapperIZN2at6native12_GLOBAL__N_124unique_dim_cuda_templateIjEESt5tupleIJNSF_6TensorESK_SK_EERKSK_lbbbEUlllE0_EEPmJS9_EEE10hipError_tPvRmT3_T4_T5_T6_T7_T9_mT8_P12ihipStream_tbDpT10_ENKUlT_T0_E_clISt17integral_constantIbLb1EES1A_EEDaS15_S16_EUlS15_E_NS1_11comp_targetILNS1_3genE5ELNS1_11target_archE942ELNS1_3gpuE9ELNS1_3repE0EEENS1_30default_config_static_selectorELNS0_4arch9wavefront6targetE0EEEvT1_,@function
_ZN7rocprim17ROCPRIM_400000_NS6detail17trampoline_kernelINS0_14default_configENS1_25partition_config_selectorILNS1_17partition_subalgoE9EllbEEZZNS1_14partition_implILS5_9ELb0ES3_jPlS8_PNS0_10empty_typeENS0_5tupleIJS8_S9_EEENSB_IJS8_SA_EEENS0_18inequality_wrapperIZN2at6native12_GLOBAL__N_124unique_dim_cuda_templateIjEESt5tupleIJNSF_6TensorESK_SK_EERKSK_lbbbEUlllE0_EEPmJS9_EEE10hipError_tPvRmT3_T4_T5_T6_T7_T9_mT8_P12ihipStream_tbDpT10_ENKUlT_T0_E_clISt17integral_constantIbLb1EES1A_EEDaS15_S16_EUlS15_E_NS1_11comp_targetILNS1_3genE5ELNS1_11target_archE942ELNS1_3gpuE9ELNS1_3repE0EEENS1_30default_config_static_selectorELNS0_4arch9wavefront6targetE0EEEvT1_: ; @_ZN7rocprim17ROCPRIM_400000_NS6detail17trampoline_kernelINS0_14default_configENS1_25partition_config_selectorILNS1_17partition_subalgoE9EllbEEZZNS1_14partition_implILS5_9ELb0ES3_jPlS8_PNS0_10empty_typeENS0_5tupleIJS8_S9_EEENSB_IJS8_SA_EEENS0_18inequality_wrapperIZN2at6native12_GLOBAL__N_124unique_dim_cuda_templateIjEESt5tupleIJNSF_6TensorESK_SK_EERKSK_lbbbEUlllE0_EEPmJS9_EEE10hipError_tPvRmT3_T4_T5_T6_T7_T9_mT8_P12ihipStream_tbDpT10_ENKUlT_T0_E_clISt17integral_constantIbLb1EES1A_EEDaS15_S16_EUlS15_E_NS1_11comp_targetILNS1_3genE5ELNS1_11target_archE942ELNS1_3gpuE9ELNS1_3repE0EEENS1_30default_config_static_selectorELNS0_4arch9wavefront6targetE0EEEvT1_
; %bb.0:
	.section	.rodata,"a",@progbits
	.p2align	6, 0x0
	.amdhsa_kernel _ZN7rocprim17ROCPRIM_400000_NS6detail17trampoline_kernelINS0_14default_configENS1_25partition_config_selectorILNS1_17partition_subalgoE9EllbEEZZNS1_14partition_implILS5_9ELb0ES3_jPlS8_PNS0_10empty_typeENS0_5tupleIJS8_S9_EEENSB_IJS8_SA_EEENS0_18inequality_wrapperIZN2at6native12_GLOBAL__N_124unique_dim_cuda_templateIjEESt5tupleIJNSF_6TensorESK_SK_EERKSK_lbbbEUlllE0_EEPmJS9_EEE10hipError_tPvRmT3_T4_T5_T6_T7_T9_mT8_P12ihipStream_tbDpT10_ENKUlT_T0_E_clISt17integral_constantIbLb1EES1A_EEDaS15_S16_EUlS15_E_NS1_11comp_targetILNS1_3genE5ELNS1_11target_archE942ELNS1_3gpuE9ELNS1_3repE0EEENS1_30default_config_static_selectorELNS0_4arch9wavefront6targetE0EEEvT1_
		.amdhsa_group_segment_fixed_size 0
		.amdhsa_private_segment_fixed_size 0
		.amdhsa_kernarg_size 136
		.amdhsa_user_sgpr_count 2
		.amdhsa_user_sgpr_dispatch_ptr 0
		.amdhsa_user_sgpr_queue_ptr 0
		.amdhsa_user_sgpr_kernarg_segment_ptr 1
		.amdhsa_user_sgpr_dispatch_id 0
		.amdhsa_user_sgpr_kernarg_preload_length 0
		.amdhsa_user_sgpr_kernarg_preload_offset 0
		.amdhsa_user_sgpr_private_segment_size 0
		.amdhsa_wavefront_size32 1
		.amdhsa_uses_dynamic_stack 0
		.amdhsa_enable_private_segment 0
		.amdhsa_system_sgpr_workgroup_id_x 1
		.amdhsa_system_sgpr_workgroup_id_y 0
		.amdhsa_system_sgpr_workgroup_id_z 0
		.amdhsa_system_sgpr_workgroup_info 0
		.amdhsa_system_vgpr_workitem_id 0
		.amdhsa_next_free_vgpr 1
		.amdhsa_next_free_sgpr 1
		.amdhsa_named_barrier_count 0
		.amdhsa_reserve_vcc 0
		.amdhsa_float_round_mode_32 0
		.amdhsa_float_round_mode_16_64 0
		.amdhsa_float_denorm_mode_32 3
		.amdhsa_float_denorm_mode_16_64 3
		.amdhsa_fp16_overflow 0
		.amdhsa_memory_ordered 1
		.amdhsa_forward_progress 1
		.amdhsa_inst_pref_size 0
		.amdhsa_round_robin_scheduling 0
		.amdhsa_exception_fp_ieee_invalid_op 0
		.amdhsa_exception_fp_denorm_src 0
		.amdhsa_exception_fp_ieee_div_zero 0
		.amdhsa_exception_fp_ieee_overflow 0
		.amdhsa_exception_fp_ieee_underflow 0
		.amdhsa_exception_fp_ieee_inexact 0
		.amdhsa_exception_int_div_zero 0
	.end_amdhsa_kernel
	.section	.text._ZN7rocprim17ROCPRIM_400000_NS6detail17trampoline_kernelINS0_14default_configENS1_25partition_config_selectorILNS1_17partition_subalgoE9EllbEEZZNS1_14partition_implILS5_9ELb0ES3_jPlS8_PNS0_10empty_typeENS0_5tupleIJS8_S9_EEENSB_IJS8_SA_EEENS0_18inequality_wrapperIZN2at6native12_GLOBAL__N_124unique_dim_cuda_templateIjEESt5tupleIJNSF_6TensorESK_SK_EERKSK_lbbbEUlllE0_EEPmJS9_EEE10hipError_tPvRmT3_T4_T5_T6_T7_T9_mT8_P12ihipStream_tbDpT10_ENKUlT_T0_E_clISt17integral_constantIbLb1EES1A_EEDaS15_S16_EUlS15_E_NS1_11comp_targetILNS1_3genE5ELNS1_11target_archE942ELNS1_3gpuE9ELNS1_3repE0EEENS1_30default_config_static_selectorELNS0_4arch9wavefront6targetE0EEEvT1_,"axG",@progbits,_ZN7rocprim17ROCPRIM_400000_NS6detail17trampoline_kernelINS0_14default_configENS1_25partition_config_selectorILNS1_17partition_subalgoE9EllbEEZZNS1_14partition_implILS5_9ELb0ES3_jPlS8_PNS0_10empty_typeENS0_5tupleIJS8_S9_EEENSB_IJS8_SA_EEENS0_18inequality_wrapperIZN2at6native12_GLOBAL__N_124unique_dim_cuda_templateIjEESt5tupleIJNSF_6TensorESK_SK_EERKSK_lbbbEUlllE0_EEPmJS9_EEE10hipError_tPvRmT3_T4_T5_T6_T7_T9_mT8_P12ihipStream_tbDpT10_ENKUlT_T0_E_clISt17integral_constantIbLb1EES1A_EEDaS15_S16_EUlS15_E_NS1_11comp_targetILNS1_3genE5ELNS1_11target_archE942ELNS1_3gpuE9ELNS1_3repE0EEENS1_30default_config_static_selectorELNS0_4arch9wavefront6targetE0EEEvT1_,comdat
.Lfunc_end1582:
	.size	_ZN7rocprim17ROCPRIM_400000_NS6detail17trampoline_kernelINS0_14default_configENS1_25partition_config_selectorILNS1_17partition_subalgoE9EllbEEZZNS1_14partition_implILS5_9ELb0ES3_jPlS8_PNS0_10empty_typeENS0_5tupleIJS8_S9_EEENSB_IJS8_SA_EEENS0_18inequality_wrapperIZN2at6native12_GLOBAL__N_124unique_dim_cuda_templateIjEESt5tupleIJNSF_6TensorESK_SK_EERKSK_lbbbEUlllE0_EEPmJS9_EEE10hipError_tPvRmT3_T4_T5_T6_T7_T9_mT8_P12ihipStream_tbDpT10_ENKUlT_T0_E_clISt17integral_constantIbLb1EES1A_EEDaS15_S16_EUlS15_E_NS1_11comp_targetILNS1_3genE5ELNS1_11target_archE942ELNS1_3gpuE9ELNS1_3repE0EEENS1_30default_config_static_selectorELNS0_4arch9wavefront6targetE0EEEvT1_, .Lfunc_end1582-_ZN7rocprim17ROCPRIM_400000_NS6detail17trampoline_kernelINS0_14default_configENS1_25partition_config_selectorILNS1_17partition_subalgoE9EllbEEZZNS1_14partition_implILS5_9ELb0ES3_jPlS8_PNS0_10empty_typeENS0_5tupleIJS8_S9_EEENSB_IJS8_SA_EEENS0_18inequality_wrapperIZN2at6native12_GLOBAL__N_124unique_dim_cuda_templateIjEESt5tupleIJNSF_6TensorESK_SK_EERKSK_lbbbEUlllE0_EEPmJS9_EEE10hipError_tPvRmT3_T4_T5_T6_T7_T9_mT8_P12ihipStream_tbDpT10_ENKUlT_T0_E_clISt17integral_constantIbLb1EES1A_EEDaS15_S16_EUlS15_E_NS1_11comp_targetILNS1_3genE5ELNS1_11target_archE942ELNS1_3gpuE9ELNS1_3repE0EEENS1_30default_config_static_selectorELNS0_4arch9wavefront6targetE0EEEvT1_
                                        ; -- End function
	.set _ZN7rocprim17ROCPRIM_400000_NS6detail17trampoline_kernelINS0_14default_configENS1_25partition_config_selectorILNS1_17partition_subalgoE9EllbEEZZNS1_14partition_implILS5_9ELb0ES3_jPlS8_PNS0_10empty_typeENS0_5tupleIJS8_S9_EEENSB_IJS8_SA_EEENS0_18inequality_wrapperIZN2at6native12_GLOBAL__N_124unique_dim_cuda_templateIjEESt5tupleIJNSF_6TensorESK_SK_EERKSK_lbbbEUlllE0_EEPmJS9_EEE10hipError_tPvRmT3_T4_T5_T6_T7_T9_mT8_P12ihipStream_tbDpT10_ENKUlT_T0_E_clISt17integral_constantIbLb1EES1A_EEDaS15_S16_EUlS15_E_NS1_11comp_targetILNS1_3genE5ELNS1_11target_archE942ELNS1_3gpuE9ELNS1_3repE0EEENS1_30default_config_static_selectorELNS0_4arch9wavefront6targetE0EEEvT1_.num_vgpr, 0
	.set _ZN7rocprim17ROCPRIM_400000_NS6detail17trampoline_kernelINS0_14default_configENS1_25partition_config_selectorILNS1_17partition_subalgoE9EllbEEZZNS1_14partition_implILS5_9ELb0ES3_jPlS8_PNS0_10empty_typeENS0_5tupleIJS8_S9_EEENSB_IJS8_SA_EEENS0_18inequality_wrapperIZN2at6native12_GLOBAL__N_124unique_dim_cuda_templateIjEESt5tupleIJNSF_6TensorESK_SK_EERKSK_lbbbEUlllE0_EEPmJS9_EEE10hipError_tPvRmT3_T4_T5_T6_T7_T9_mT8_P12ihipStream_tbDpT10_ENKUlT_T0_E_clISt17integral_constantIbLb1EES1A_EEDaS15_S16_EUlS15_E_NS1_11comp_targetILNS1_3genE5ELNS1_11target_archE942ELNS1_3gpuE9ELNS1_3repE0EEENS1_30default_config_static_selectorELNS0_4arch9wavefront6targetE0EEEvT1_.num_agpr, 0
	.set _ZN7rocprim17ROCPRIM_400000_NS6detail17trampoline_kernelINS0_14default_configENS1_25partition_config_selectorILNS1_17partition_subalgoE9EllbEEZZNS1_14partition_implILS5_9ELb0ES3_jPlS8_PNS0_10empty_typeENS0_5tupleIJS8_S9_EEENSB_IJS8_SA_EEENS0_18inequality_wrapperIZN2at6native12_GLOBAL__N_124unique_dim_cuda_templateIjEESt5tupleIJNSF_6TensorESK_SK_EERKSK_lbbbEUlllE0_EEPmJS9_EEE10hipError_tPvRmT3_T4_T5_T6_T7_T9_mT8_P12ihipStream_tbDpT10_ENKUlT_T0_E_clISt17integral_constantIbLb1EES1A_EEDaS15_S16_EUlS15_E_NS1_11comp_targetILNS1_3genE5ELNS1_11target_archE942ELNS1_3gpuE9ELNS1_3repE0EEENS1_30default_config_static_selectorELNS0_4arch9wavefront6targetE0EEEvT1_.numbered_sgpr, 0
	.set _ZN7rocprim17ROCPRIM_400000_NS6detail17trampoline_kernelINS0_14default_configENS1_25partition_config_selectorILNS1_17partition_subalgoE9EllbEEZZNS1_14partition_implILS5_9ELb0ES3_jPlS8_PNS0_10empty_typeENS0_5tupleIJS8_S9_EEENSB_IJS8_SA_EEENS0_18inequality_wrapperIZN2at6native12_GLOBAL__N_124unique_dim_cuda_templateIjEESt5tupleIJNSF_6TensorESK_SK_EERKSK_lbbbEUlllE0_EEPmJS9_EEE10hipError_tPvRmT3_T4_T5_T6_T7_T9_mT8_P12ihipStream_tbDpT10_ENKUlT_T0_E_clISt17integral_constantIbLb1EES1A_EEDaS15_S16_EUlS15_E_NS1_11comp_targetILNS1_3genE5ELNS1_11target_archE942ELNS1_3gpuE9ELNS1_3repE0EEENS1_30default_config_static_selectorELNS0_4arch9wavefront6targetE0EEEvT1_.num_named_barrier, 0
	.set _ZN7rocprim17ROCPRIM_400000_NS6detail17trampoline_kernelINS0_14default_configENS1_25partition_config_selectorILNS1_17partition_subalgoE9EllbEEZZNS1_14partition_implILS5_9ELb0ES3_jPlS8_PNS0_10empty_typeENS0_5tupleIJS8_S9_EEENSB_IJS8_SA_EEENS0_18inequality_wrapperIZN2at6native12_GLOBAL__N_124unique_dim_cuda_templateIjEESt5tupleIJNSF_6TensorESK_SK_EERKSK_lbbbEUlllE0_EEPmJS9_EEE10hipError_tPvRmT3_T4_T5_T6_T7_T9_mT8_P12ihipStream_tbDpT10_ENKUlT_T0_E_clISt17integral_constantIbLb1EES1A_EEDaS15_S16_EUlS15_E_NS1_11comp_targetILNS1_3genE5ELNS1_11target_archE942ELNS1_3gpuE9ELNS1_3repE0EEENS1_30default_config_static_selectorELNS0_4arch9wavefront6targetE0EEEvT1_.private_seg_size, 0
	.set _ZN7rocprim17ROCPRIM_400000_NS6detail17trampoline_kernelINS0_14default_configENS1_25partition_config_selectorILNS1_17partition_subalgoE9EllbEEZZNS1_14partition_implILS5_9ELb0ES3_jPlS8_PNS0_10empty_typeENS0_5tupleIJS8_S9_EEENSB_IJS8_SA_EEENS0_18inequality_wrapperIZN2at6native12_GLOBAL__N_124unique_dim_cuda_templateIjEESt5tupleIJNSF_6TensorESK_SK_EERKSK_lbbbEUlllE0_EEPmJS9_EEE10hipError_tPvRmT3_T4_T5_T6_T7_T9_mT8_P12ihipStream_tbDpT10_ENKUlT_T0_E_clISt17integral_constantIbLb1EES1A_EEDaS15_S16_EUlS15_E_NS1_11comp_targetILNS1_3genE5ELNS1_11target_archE942ELNS1_3gpuE9ELNS1_3repE0EEENS1_30default_config_static_selectorELNS0_4arch9wavefront6targetE0EEEvT1_.uses_vcc, 0
	.set _ZN7rocprim17ROCPRIM_400000_NS6detail17trampoline_kernelINS0_14default_configENS1_25partition_config_selectorILNS1_17partition_subalgoE9EllbEEZZNS1_14partition_implILS5_9ELb0ES3_jPlS8_PNS0_10empty_typeENS0_5tupleIJS8_S9_EEENSB_IJS8_SA_EEENS0_18inequality_wrapperIZN2at6native12_GLOBAL__N_124unique_dim_cuda_templateIjEESt5tupleIJNSF_6TensorESK_SK_EERKSK_lbbbEUlllE0_EEPmJS9_EEE10hipError_tPvRmT3_T4_T5_T6_T7_T9_mT8_P12ihipStream_tbDpT10_ENKUlT_T0_E_clISt17integral_constantIbLb1EES1A_EEDaS15_S16_EUlS15_E_NS1_11comp_targetILNS1_3genE5ELNS1_11target_archE942ELNS1_3gpuE9ELNS1_3repE0EEENS1_30default_config_static_selectorELNS0_4arch9wavefront6targetE0EEEvT1_.uses_flat_scratch, 0
	.set _ZN7rocprim17ROCPRIM_400000_NS6detail17trampoline_kernelINS0_14default_configENS1_25partition_config_selectorILNS1_17partition_subalgoE9EllbEEZZNS1_14partition_implILS5_9ELb0ES3_jPlS8_PNS0_10empty_typeENS0_5tupleIJS8_S9_EEENSB_IJS8_SA_EEENS0_18inequality_wrapperIZN2at6native12_GLOBAL__N_124unique_dim_cuda_templateIjEESt5tupleIJNSF_6TensorESK_SK_EERKSK_lbbbEUlllE0_EEPmJS9_EEE10hipError_tPvRmT3_T4_T5_T6_T7_T9_mT8_P12ihipStream_tbDpT10_ENKUlT_T0_E_clISt17integral_constantIbLb1EES1A_EEDaS15_S16_EUlS15_E_NS1_11comp_targetILNS1_3genE5ELNS1_11target_archE942ELNS1_3gpuE9ELNS1_3repE0EEENS1_30default_config_static_selectorELNS0_4arch9wavefront6targetE0EEEvT1_.has_dyn_sized_stack, 0
	.set _ZN7rocprim17ROCPRIM_400000_NS6detail17trampoline_kernelINS0_14default_configENS1_25partition_config_selectorILNS1_17partition_subalgoE9EllbEEZZNS1_14partition_implILS5_9ELb0ES3_jPlS8_PNS0_10empty_typeENS0_5tupleIJS8_S9_EEENSB_IJS8_SA_EEENS0_18inequality_wrapperIZN2at6native12_GLOBAL__N_124unique_dim_cuda_templateIjEESt5tupleIJNSF_6TensorESK_SK_EERKSK_lbbbEUlllE0_EEPmJS9_EEE10hipError_tPvRmT3_T4_T5_T6_T7_T9_mT8_P12ihipStream_tbDpT10_ENKUlT_T0_E_clISt17integral_constantIbLb1EES1A_EEDaS15_S16_EUlS15_E_NS1_11comp_targetILNS1_3genE5ELNS1_11target_archE942ELNS1_3gpuE9ELNS1_3repE0EEENS1_30default_config_static_selectorELNS0_4arch9wavefront6targetE0EEEvT1_.has_recursion, 0
	.set _ZN7rocprim17ROCPRIM_400000_NS6detail17trampoline_kernelINS0_14default_configENS1_25partition_config_selectorILNS1_17partition_subalgoE9EllbEEZZNS1_14partition_implILS5_9ELb0ES3_jPlS8_PNS0_10empty_typeENS0_5tupleIJS8_S9_EEENSB_IJS8_SA_EEENS0_18inequality_wrapperIZN2at6native12_GLOBAL__N_124unique_dim_cuda_templateIjEESt5tupleIJNSF_6TensorESK_SK_EERKSK_lbbbEUlllE0_EEPmJS9_EEE10hipError_tPvRmT3_T4_T5_T6_T7_T9_mT8_P12ihipStream_tbDpT10_ENKUlT_T0_E_clISt17integral_constantIbLb1EES1A_EEDaS15_S16_EUlS15_E_NS1_11comp_targetILNS1_3genE5ELNS1_11target_archE942ELNS1_3gpuE9ELNS1_3repE0EEENS1_30default_config_static_selectorELNS0_4arch9wavefront6targetE0EEEvT1_.has_indirect_call, 0
	.section	.AMDGPU.csdata,"",@progbits
; Kernel info:
; codeLenInByte = 0
; TotalNumSgprs: 0
; NumVgprs: 0
; ScratchSize: 0
; MemoryBound: 0
; FloatMode: 240
; IeeeMode: 1
; LDSByteSize: 0 bytes/workgroup (compile time only)
; SGPRBlocks: 0
; VGPRBlocks: 0
; NumSGPRsForWavesPerEU: 1
; NumVGPRsForWavesPerEU: 1
; NamedBarCnt: 0
; Occupancy: 16
; WaveLimiterHint : 0
; COMPUTE_PGM_RSRC2:SCRATCH_EN: 0
; COMPUTE_PGM_RSRC2:USER_SGPR: 2
; COMPUTE_PGM_RSRC2:TRAP_HANDLER: 0
; COMPUTE_PGM_RSRC2:TGID_X_EN: 1
; COMPUTE_PGM_RSRC2:TGID_Y_EN: 0
; COMPUTE_PGM_RSRC2:TGID_Z_EN: 0
; COMPUTE_PGM_RSRC2:TIDIG_COMP_CNT: 0
	.section	.text._ZN7rocprim17ROCPRIM_400000_NS6detail17trampoline_kernelINS0_14default_configENS1_25partition_config_selectorILNS1_17partition_subalgoE9EllbEEZZNS1_14partition_implILS5_9ELb0ES3_jPlS8_PNS0_10empty_typeENS0_5tupleIJS8_S9_EEENSB_IJS8_SA_EEENS0_18inequality_wrapperIZN2at6native12_GLOBAL__N_124unique_dim_cuda_templateIjEESt5tupleIJNSF_6TensorESK_SK_EERKSK_lbbbEUlllE0_EEPmJS9_EEE10hipError_tPvRmT3_T4_T5_T6_T7_T9_mT8_P12ihipStream_tbDpT10_ENKUlT_T0_E_clISt17integral_constantIbLb1EES1A_EEDaS15_S16_EUlS15_E_NS1_11comp_targetILNS1_3genE4ELNS1_11target_archE910ELNS1_3gpuE8ELNS1_3repE0EEENS1_30default_config_static_selectorELNS0_4arch9wavefront6targetE0EEEvT1_,"axG",@progbits,_ZN7rocprim17ROCPRIM_400000_NS6detail17trampoline_kernelINS0_14default_configENS1_25partition_config_selectorILNS1_17partition_subalgoE9EllbEEZZNS1_14partition_implILS5_9ELb0ES3_jPlS8_PNS0_10empty_typeENS0_5tupleIJS8_S9_EEENSB_IJS8_SA_EEENS0_18inequality_wrapperIZN2at6native12_GLOBAL__N_124unique_dim_cuda_templateIjEESt5tupleIJNSF_6TensorESK_SK_EERKSK_lbbbEUlllE0_EEPmJS9_EEE10hipError_tPvRmT3_T4_T5_T6_T7_T9_mT8_P12ihipStream_tbDpT10_ENKUlT_T0_E_clISt17integral_constantIbLb1EES1A_EEDaS15_S16_EUlS15_E_NS1_11comp_targetILNS1_3genE4ELNS1_11target_archE910ELNS1_3gpuE8ELNS1_3repE0EEENS1_30default_config_static_selectorELNS0_4arch9wavefront6targetE0EEEvT1_,comdat
	.globl	_ZN7rocprim17ROCPRIM_400000_NS6detail17trampoline_kernelINS0_14default_configENS1_25partition_config_selectorILNS1_17partition_subalgoE9EllbEEZZNS1_14partition_implILS5_9ELb0ES3_jPlS8_PNS0_10empty_typeENS0_5tupleIJS8_S9_EEENSB_IJS8_SA_EEENS0_18inequality_wrapperIZN2at6native12_GLOBAL__N_124unique_dim_cuda_templateIjEESt5tupleIJNSF_6TensorESK_SK_EERKSK_lbbbEUlllE0_EEPmJS9_EEE10hipError_tPvRmT3_T4_T5_T6_T7_T9_mT8_P12ihipStream_tbDpT10_ENKUlT_T0_E_clISt17integral_constantIbLb1EES1A_EEDaS15_S16_EUlS15_E_NS1_11comp_targetILNS1_3genE4ELNS1_11target_archE910ELNS1_3gpuE8ELNS1_3repE0EEENS1_30default_config_static_selectorELNS0_4arch9wavefront6targetE0EEEvT1_ ; -- Begin function _ZN7rocprim17ROCPRIM_400000_NS6detail17trampoline_kernelINS0_14default_configENS1_25partition_config_selectorILNS1_17partition_subalgoE9EllbEEZZNS1_14partition_implILS5_9ELb0ES3_jPlS8_PNS0_10empty_typeENS0_5tupleIJS8_S9_EEENSB_IJS8_SA_EEENS0_18inequality_wrapperIZN2at6native12_GLOBAL__N_124unique_dim_cuda_templateIjEESt5tupleIJNSF_6TensorESK_SK_EERKSK_lbbbEUlllE0_EEPmJS9_EEE10hipError_tPvRmT3_T4_T5_T6_T7_T9_mT8_P12ihipStream_tbDpT10_ENKUlT_T0_E_clISt17integral_constantIbLb1EES1A_EEDaS15_S16_EUlS15_E_NS1_11comp_targetILNS1_3genE4ELNS1_11target_archE910ELNS1_3gpuE8ELNS1_3repE0EEENS1_30default_config_static_selectorELNS0_4arch9wavefront6targetE0EEEvT1_
	.p2align	8
	.type	_ZN7rocprim17ROCPRIM_400000_NS6detail17trampoline_kernelINS0_14default_configENS1_25partition_config_selectorILNS1_17partition_subalgoE9EllbEEZZNS1_14partition_implILS5_9ELb0ES3_jPlS8_PNS0_10empty_typeENS0_5tupleIJS8_S9_EEENSB_IJS8_SA_EEENS0_18inequality_wrapperIZN2at6native12_GLOBAL__N_124unique_dim_cuda_templateIjEESt5tupleIJNSF_6TensorESK_SK_EERKSK_lbbbEUlllE0_EEPmJS9_EEE10hipError_tPvRmT3_T4_T5_T6_T7_T9_mT8_P12ihipStream_tbDpT10_ENKUlT_T0_E_clISt17integral_constantIbLb1EES1A_EEDaS15_S16_EUlS15_E_NS1_11comp_targetILNS1_3genE4ELNS1_11target_archE910ELNS1_3gpuE8ELNS1_3repE0EEENS1_30default_config_static_selectorELNS0_4arch9wavefront6targetE0EEEvT1_,@function
_ZN7rocprim17ROCPRIM_400000_NS6detail17trampoline_kernelINS0_14default_configENS1_25partition_config_selectorILNS1_17partition_subalgoE9EllbEEZZNS1_14partition_implILS5_9ELb0ES3_jPlS8_PNS0_10empty_typeENS0_5tupleIJS8_S9_EEENSB_IJS8_SA_EEENS0_18inequality_wrapperIZN2at6native12_GLOBAL__N_124unique_dim_cuda_templateIjEESt5tupleIJNSF_6TensorESK_SK_EERKSK_lbbbEUlllE0_EEPmJS9_EEE10hipError_tPvRmT3_T4_T5_T6_T7_T9_mT8_P12ihipStream_tbDpT10_ENKUlT_T0_E_clISt17integral_constantIbLb1EES1A_EEDaS15_S16_EUlS15_E_NS1_11comp_targetILNS1_3genE4ELNS1_11target_archE910ELNS1_3gpuE8ELNS1_3repE0EEENS1_30default_config_static_selectorELNS0_4arch9wavefront6targetE0EEEvT1_: ; @_ZN7rocprim17ROCPRIM_400000_NS6detail17trampoline_kernelINS0_14default_configENS1_25partition_config_selectorILNS1_17partition_subalgoE9EllbEEZZNS1_14partition_implILS5_9ELb0ES3_jPlS8_PNS0_10empty_typeENS0_5tupleIJS8_S9_EEENSB_IJS8_SA_EEENS0_18inequality_wrapperIZN2at6native12_GLOBAL__N_124unique_dim_cuda_templateIjEESt5tupleIJNSF_6TensorESK_SK_EERKSK_lbbbEUlllE0_EEPmJS9_EEE10hipError_tPvRmT3_T4_T5_T6_T7_T9_mT8_P12ihipStream_tbDpT10_ENKUlT_T0_E_clISt17integral_constantIbLb1EES1A_EEDaS15_S16_EUlS15_E_NS1_11comp_targetILNS1_3genE4ELNS1_11target_archE910ELNS1_3gpuE8ELNS1_3repE0EEENS1_30default_config_static_selectorELNS0_4arch9wavefront6targetE0EEEvT1_
; %bb.0:
	.section	.rodata,"a",@progbits
	.p2align	6, 0x0
	.amdhsa_kernel _ZN7rocprim17ROCPRIM_400000_NS6detail17trampoline_kernelINS0_14default_configENS1_25partition_config_selectorILNS1_17partition_subalgoE9EllbEEZZNS1_14partition_implILS5_9ELb0ES3_jPlS8_PNS0_10empty_typeENS0_5tupleIJS8_S9_EEENSB_IJS8_SA_EEENS0_18inequality_wrapperIZN2at6native12_GLOBAL__N_124unique_dim_cuda_templateIjEESt5tupleIJNSF_6TensorESK_SK_EERKSK_lbbbEUlllE0_EEPmJS9_EEE10hipError_tPvRmT3_T4_T5_T6_T7_T9_mT8_P12ihipStream_tbDpT10_ENKUlT_T0_E_clISt17integral_constantIbLb1EES1A_EEDaS15_S16_EUlS15_E_NS1_11comp_targetILNS1_3genE4ELNS1_11target_archE910ELNS1_3gpuE8ELNS1_3repE0EEENS1_30default_config_static_selectorELNS0_4arch9wavefront6targetE0EEEvT1_
		.amdhsa_group_segment_fixed_size 0
		.amdhsa_private_segment_fixed_size 0
		.amdhsa_kernarg_size 136
		.amdhsa_user_sgpr_count 2
		.amdhsa_user_sgpr_dispatch_ptr 0
		.amdhsa_user_sgpr_queue_ptr 0
		.amdhsa_user_sgpr_kernarg_segment_ptr 1
		.amdhsa_user_sgpr_dispatch_id 0
		.amdhsa_user_sgpr_kernarg_preload_length 0
		.amdhsa_user_sgpr_kernarg_preload_offset 0
		.amdhsa_user_sgpr_private_segment_size 0
		.amdhsa_wavefront_size32 1
		.amdhsa_uses_dynamic_stack 0
		.amdhsa_enable_private_segment 0
		.amdhsa_system_sgpr_workgroup_id_x 1
		.amdhsa_system_sgpr_workgroup_id_y 0
		.amdhsa_system_sgpr_workgroup_id_z 0
		.amdhsa_system_sgpr_workgroup_info 0
		.amdhsa_system_vgpr_workitem_id 0
		.amdhsa_next_free_vgpr 1
		.amdhsa_next_free_sgpr 1
		.amdhsa_named_barrier_count 0
		.amdhsa_reserve_vcc 0
		.amdhsa_float_round_mode_32 0
		.amdhsa_float_round_mode_16_64 0
		.amdhsa_float_denorm_mode_32 3
		.amdhsa_float_denorm_mode_16_64 3
		.amdhsa_fp16_overflow 0
		.amdhsa_memory_ordered 1
		.amdhsa_forward_progress 1
		.amdhsa_inst_pref_size 0
		.amdhsa_round_robin_scheduling 0
		.amdhsa_exception_fp_ieee_invalid_op 0
		.amdhsa_exception_fp_denorm_src 0
		.amdhsa_exception_fp_ieee_div_zero 0
		.amdhsa_exception_fp_ieee_overflow 0
		.amdhsa_exception_fp_ieee_underflow 0
		.amdhsa_exception_fp_ieee_inexact 0
		.amdhsa_exception_int_div_zero 0
	.end_amdhsa_kernel
	.section	.text._ZN7rocprim17ROCPRIM_400000_NS6detail17trampoline_kernelINS0_14default_configENS1_25partition_config_selectorILNS1_17partition_subalgoE9EllbEEZZNS1_14partition_implILS5_9ELb0ES3_jPlS8_PNS0_10empty_typeENS0_5tupleIJS8_S9_EEENSB_IJS8_SA_EEENS0_18inequality_wrapperIZN2at6native12_GLOBAL__N_124unique_dim_cuda_templateIjEESt5tupleIJNSF_6TensorESK_SK_EERKSK_lbbbEUlllE0_EEPmJS9_EEE10hipError_tPvRmT3_T4_T5_T6_T7_T9_mT8_P12ihipStream_tbDpT10_ENKUlT_T0_E_clISt17integral_constantIbLb1EES1A_EEDaS15_S16_EUlS15_E_NS1_11comp_targetILNS1_3genE4ELNS1_11target_archE910ELNS1_3gpuE8ELNS1_3repE0EEENS1_30default_config_static_selectorELNS0_4arch9wavefront6targetE0EEEvT1_,"axG",@progbits,_ZN7rocprim17ROCPRIM_400000_NS6detail17trampoline_kernelINS0_14default_configENS1_25partition_config_selectorILNS1_17partition_subalgoE9EllbEEZZNS1_14partition_implILS5_9ELb0ES3_jPlS8_PNS0_10empty_typeENS0_5tupleIJS8_S9_EEENSB_IJS8_SA_EEENS0_18inequality_wrapperIZN2at6native12_GLOBAL__N_124unique_dim_cuda_templateIjEESt5tupleIJNSF_6TensorESK_SK_EERKSK_lbbbEUlllE0_EEPmJS9_EEE10hipError_tPvRmT3_T4_T5_T6_T7_T9_mT8_P12ihipStream_tbDpT10_ENKUlT_T0_E_clISt17integral_constantIbLb1EES1A_EEDaS15_S16_EUlS15_E_NS1_11comp_targetILNS1_3genE4ELNS1_11target_archE910ELNS1_3gpuE8ELNS1_3repE0EEENS1_30default_config_static_selectorELNS0_4arch9wavefront6targetE0EEEvT1_,comdat
.Lfunc_end1583:
	.size	_ZN7rocprim17ROCPRIM_400000_NS6detail17trampoline_kernelINS0_14default_configENS1_25partition_config_selectorILNS1_17partition_subalgoE9EllbEEZZNS1_14partition_implILS5_9ELb0ES3_jPlS8_PNS0_10empty_typeENS0_5tupleIJS8_S9_EEENSB_IJS8_SA_EEENS0_18inequality_wrapperIZN2at6native12_GLOBAL__N_124unique_dim_cuda_templateIjEESt5tupleIJNSF_6TensorESK_SK_EERKSK_lbbbEUlllE0_EEPmJS9_EEE10hipError_tPvRmT3_T4_T5_T6_T7_T9_mT8_P12ihipStream_tbDpT10_ENKUlT_T0_E_clISt17integral_constantIbLb1EES1A_EEDaS15_S16_EUlS15_E_NS1_11comp_targetILNS1_3genE4ELNS1_11target_archE910ELNS1_3gpuE8ELNS1_3repE0EEENS1_30default_config_static_selectorELNS0_4arch9wavefront6targetE0EEEvT1_, .Lfunc_end1583-_ZN7rocprim17ROCPRIM_400000_NS6detail17trampoline_kernelINS0_14default_configENS1_25partition_config_selectorILNS1_17partition_subalgoE9EllbEEZZNS1_14partition_implILS5_9ELb0ES3_jPlS8_PNS0_10empty_typeENS0_5tupleIJS8_S9_EEENSB_IJS8_SA_EEENS0_18inequality_wrapperIZN2at6native12_GLOBAL__N_124unique_dim_cuda_templateIjEESt5tupleIJNSF_6TensorESK_SK_EERKSK_lbbbEUlllE0_EEPmJS9_EEE10hipError_tPvRmT3_T4_T5_T6_T7_T9_mT8_P12ihipStream_tbDpT10_ENKUlT_T0_E_clISt17integral_constantIbLb1EES1A_EEDaS15_S16_EUlS15_E_NS1_11comp_targetILNS1_3genE4ELNS1_11target_archE910ELNS1_3gpuE8ELNS1_3repE0EEENS1_30default_config_static_selectorELNS0_4arch9wavefront6targetE0EEEvT1_
                                        ; -- End function
	.set _ZN7rocprim17ROCPRIM_400000_NS6detail17trampoline_kernelINS0_14default_configENS1_25partition_config_selectorILNS1_17partition_subalgoE9EllbEEZZNS1_14partition_implILS5_9ELb0ES3_jPlS8_PNS0_10empty_typeENS0_5tupleIJS8_S9_EEENSB_IJS8_SA_EEENS0_18inequality_wrapperIZN2at6native12_GLOBAL__N_124unique_dim_cuda_templateIjEESt5tupleIJNSF_6TensorESK_SK_EERKSK_lbbbEUlllE0_EEPmJS9_EEE10hipError_tPvRmT3_T4_T5_T6_T7_T9_mT8_P12ihipStream_tbDpT10_ENKUlT_T0_E_clISt17integral_constantIbLb1EES1A_EEDaS15_S16_EUlS15_E_NS1_11comp_targetILNS1_3genE4ELNS1_11target_archE910ELNS1_3gpuE8ELNS1_3repE0EEENS1_30default_config_static_selectorELNS0_4arch9wavefront6targetE0EEEvT1_.num_vgpr, 0
	.set _ZN7rocprim17ROCPRIM_400000_NS6detail17trampoline_kernelINS0_14default_configENS1_25partition_config_selectorILNS1_17partition_subalgoE9EllbEEZZNS1_14partition_implILS5_9ELb0ES3_jPlS8_PNS0_10empty_typeENS0_5tupleIJS8_S9_EEENSB_IJS8_SA_EEENS0_18inequality_wrapperIZN2at6native12_GLOBAL__N_124unique_dim_cuda_templateIjEESt5tupleIJNSF_6TensorESK_SK_EERKSK_lbbbEUlllE0_EEPmJS9_EEE10hipError_tPvRmT3_T4_T5_T6_T7_T9_mT8_P12ihipStream_tbDpT10_ENKUlT_T0_E_clISt17integral_constantIbLb1EES1A_EEDaS15_S16_EUlS15_E_NS1_11comp_targetILNS1_3genE4ELNS1_11target_archE910ELNS1_3gpuE8ELNS1_3repE0EEENS1_30default_config_static_selectorELNS0_4arch9wavefront6targetE0EEEvT1_.num_agpr, 0
	.set _ZN7rocprim17ROCPRIM_400000_NS6detail17trampoline_kernelINS0_14default_configENS1_25partition_config_selectorILNS1_17partition_subalgoE9EllbEEZZNS1_14partition_implILS5_9ELb0ES3_jPlS8_PNS0_10empty_typeENS0_5tupleIJS8_S9_EEENSB_IJS8_SA_EEENS0_18inequality_wrapperIZN2at6native12_GLOBAL__N_124unique_dim_cuda_templateIjEESt5tupleIJNSF_6TensorESK_SK_EERKSK_lbbbEUlllE0_EEPmJS9_EEE10hipError_tPvRmT3_T4_T5_T6_T7_T9_mT8_P12ihipStream_tbDpT10_ENKUlT_T0_E_clISt17integral_constantIbLb1EES1A_EEDaS15_S16_EUlS15_E_NS1_11comp_targetILNS1_3genE4ELNS1_11target_archE910ELNS1_3gpuE8ELNS1_3repE0EEENS1_30default_config_static_selectorELNS0_4arch9wavefront6targetE0EEEvT1_.numbered_sgpr, 0
	.set _ZN7rocprim17ROCPRIM_400000_NS6detail17trampoline_kernelINS0_14default_configENS1_25partition_config_selectorILNS1_17partition_subalgoE9EllbEEZZNS1_14partition_implILS5_9ELb0ES3_jPlS8_PNS0_10empty_typeENS0_5tupleIJS8_S9_EEENSB_IJS8_SA_EEENS0_18inequality_wrapperIZN2at6native12_GLOBAL__N_124unique_dim_cuda_templateIjEESt5tupleIJNSF_6TensorESK_SK_EERKSK_lbbbEUlllE0_EEPmJS9_EEE10hipError_tPvRmT3_T4_T5_T6_T7_T9_mT8_P12ihipStream_tbDpT10_ENKUlT_T0_E_clISt17integral_constantIbLb1EES1A_EEDaS15_S16_EUlS15_E_NS1_11comp_targetILNS1_3genE4ELNS1_11target_archE910ELNS1_3gpuE8ELNS1_3repE0EEENS1_30default_config_static_selectorELNS0_4arch9wavefront6targetE0EEEvT1_.num_named_barrier, 0
	.set _ZN7rocprim17ROCPRIM_400000_NS6detail17trampoline_kernelINS0_14default_configENS1_25partition_config_selectorILNS1_17partition_subalgoE9EllbEEZZNS1_14partition_implILS5_9ELb0ES3_jPlS8_PNS0_10empty_typeENS0_5tupleIJS8_S9_EEENSB_IJS8_SA_EEENS0_18inequality_wrapperIZN2at6native12_GLOBAL__N_124unique_dim_cuda_templateIjEESt5tupleIJNSF_6TensorESK_SK_EERKSK_lbbbEUlllE0_EEPmJS9_EEE10hipError_tPvRmT3_T4_T5_T6_T7_T9_mT8_P12ihipStream_tbDpT10_ENKUlT_T0_E_clISt17integral_constantIbLb1EES1A_EEDaS15_S16_EUlS15_E_NS1_11comp_targetILNS1_3genE4ELNS1_11target_archE910ELNS1_3gpuE8ELNS1_3repE0EEENS1_30default_config_static_selectorELNS0_4arch9wavefront6targetE0EEEvT1_.private_seg_size, 0
	.set _ZN7rocprim17ROCPRIM_400000_NS6detail17trampoline_kernelINS0_14default_configENS1_25partition_config_selectorILNS1_17partition_subalgoE9EllbEEZZNS1_14partition_implILS5_9ELb0ES3_jPlS8_PNS0_10empty_typeENS0_5tupleIJS8_S9_EEENSB_IJS8_SA_EEENS0_18inequality_wrapperIZN2at6native12_GLOBAL__N_124unique_dim_cuda_templateIjEESt5tupleIJNSF_6TensorESK_SK_EERKSK_lbbbEUlllE0_EEPmJS9_EEE10hipError_tPvRmT3_T4_T5_T6_T7_T9_mT8_P12ihipStream_tbDpT10_ENKUlT_T0_E_clISt17integral_constantIbLb1EES1A_EEDaS15_S16_EUlS15_E_NS1_11comp_targetILNS1_3genE4ELNS1_11target_archE910ELNS1_3gpuE8ELNS1_3repE0EEENS1_30default_config_static_selectorELNS0_4arch9wavefront6targetE0EEEvT1_.uses_vcc, 0
	.set _ZN7rocprim17ROCPRIM_400000_NS6detail17trampoline_kernelINS0_14default_configENS1_25partition_config_selectorILNS1_17partition_subalgoE9EllbEEZZNS1_14partition_implILS5_9ELb0ES3_jPlS8_PNS0_10empty_typeENS0_5tupleIJS8_S9_EEENSB_IJS8_SA_EEENS0_18inequality_wrapperIZN2at6native12_GLOBAL__N_124unique_dim_cuda_templateIjEESt5tupleIJNSF_6TensorESK_SK_EERKSK_lbbbEUlllE0_EEPmJS9_EEE10hipError_tPvRmT3_T4_T5_T6_T7_T9_mT8_P12ihipStream_tbDpT10_ENKUlT_T0_E_clISt17integral_constantIbLb1EES1A_EEDaS15_S16_EUlS15_E_NS1_11comp_targetILNS1_3genE4ELNS1_11target_archE910ELNS1_3gpuE8ELNS1_3repE0EEENS1_30default_config_static_selectorELNS0_4arch9wavefront6targetE0EEEvT1_.uses_flat_scratch, 0
	.set _ZN7rocprim17ROCPRIM_400000_NS6detail17trampoline_kernelINS0_14default_configENS1_25partition_config_selectorILNS1_17partition_subalgoE9EllbEEZZNS1_14partition_implILS5_9ELb0ES3_jPlS8_PNS0_10empty_typeENS0_5tupleIJS8_S9_EEENSB_IJS8_SA_EEENS0_18inequality_wrapperIZN2at6native12_GLOBAL__N_124unique_dim_cuda_templateIjEESt5tupleIJNSF_6TensorESK_SK_EERKSK_lbbbEUlllE0_EEPmJS9_EEE10hipError_tPvRmT3_T4_T5_T6_T7_T9_mT8_P12ihipStream_tbDpT10_ENKUlT_T0_E_clISt17integral_constantIbLb1EES1A_EEDaS15_S16_EUlS15_E_NS1_11comp_targetILNS1_3genE4ELNS1_11target_archE910ELNS1_3gpuE8ELNS1_3repE0EEENS1_30default_config_static_selectorELNS0_4arch9wavefront6targetE0EEEvT1_.has_dyn_sized_stack, 0
	.set _ZN7rocprim17ROCPRIM_400000_NS6detail17trampoline_kernelINS0_14default_configENS1_25partition_config_selectorILNS1_17partition_subalgoE9EllbEEZZNS1_14partition_implILS5_9ELb0ES3_jPlS8_PNS0_10empty_typeENS0_5tupleIJS8_S9_EEENSB_IJS8_SA_EEENS0_18inequality_wrapperIZN2at6native12_GLOBAL__N_124unique_dim_cuda_templateIjEESt5tupleIJNSF_6TensorESK_SK_EERKSK_lbbbEUlllE0_EEPmJS9_EEE10hipError_tPvRmT3_T4_T5_T6_T7_T9_mT8_P12ihipStream_tbDpT10_ENKUlT_T0_E_clISt17integral_constantIbLb1EES1A_EEDaS15_S16_EUlS15_E_NS1_11comp_targetILNS1_3genE4ELNS1_11target_archE910ELNS1_3gpuE8ELNS1_3repE0EEENS1_30default_config_static_selectorELNS0_4arch9wavefront6targetE0EEEvT1_.has_recursion, 0
	.set _ZN7rocprim17ROCPRIM_400000_NS6detail17trampoline_kernelINS0_14default_configENS1_25partition_config_selectorILNS1_17partition_subalgoE9EllbEEZZNS1_14partition_implILS5_9ELb0ES3_jPlS8_PNS0_10empty_typeENS0_5tupleIJS8_S9_EEENSB_IJS8_SA_EEENS0_18inequality_wrapperIZN2at6native12_GLOBAL__N_124unique_dim_cuda_templateIjEESt5tupleIJNSF_6TensorESK_SK_EERKSK_lbbbEUlllE0_EEPmJS9_EEE10hipError_tPvRmT3_T4_T5_T6_T7_T9_mT8_P12ihipStream_tbDpT10_ENKUlT_T0_E_clISt17integral_constantIbLb1EES1A_EEDaS15_S16_EUlS15_E_NS1_11comp_targetILNS1_3genE4ELNS1_11target_archE910ELNS1_3gpuE8ELNS1_3repE0EEENS1_30default_config_static_selectorELNS0_4arch9wavefront6targetE0EEEvT1_.has_indirect_call, 0
	.section	.AMDGPU.csdata,"",@progbits
; Kernel info:
; codeLenInByte = 0
; TotalNumSgprs: 0
; NumVgprs: 0
; ScratchSize: 0
; MemoryBound: 0
; FloatMode: 240
; IeeeMode: 1
; LDSByteSize: 0 bytes/workgroup (compile time only)
; SGPRBlocks: 0
; VGPRBlocks: 0
; NumSGPRsForWavesPerEU: 1
; NumVGPRsForWavesPerEU: 1
; NamedBarCnt: 0
; Occupancy: 16
; WaveLimiterHint : 0
; COMPUTE_PGM_RSRC2:SCRATCH_EN: 0
; COMPUTE_PGM_RSRC2:USER_SGPR: 2
; COMPUTE_PGM_RSRC2:TRAP_HANDLER: 0
; COMPUTE_PGM_RSRC2:TGID_X_EN: 1
; COMPUTE_PGM_RSRC2:TGID_Y_EN: 0
; COMPUTE_PGM_RSRC2:TGID_Z_EN: 0
; COMPUTE_PGM_RSRC2:TIDIG_COMP_CNT: 0
	.section	.text._ZN7rocprim17ROCPRIM_400000_NS6detail17trampoline_kernelINS0_14default_configENS1_25partition_config_selectorILNS1_17partition_subalgoE9EllbEEZZNS1_14partition_implILS5_9ELb0ES3_jPlS8_PNS0_10empty_typeENS0_5tupleIJS8_S9_EEENSB_IJS8_SA_EEENS0_18inequality_wrapperIZN2at6native12_GLOBAL__N_124unique_dim_cuda_templateIjEESt5tupleIJNSF_6TensorESK_SK_EERKSK_lbbbEUlllE0_EEPmJS9_EEE10hipError_tPvRmT3_T4_T5_T6_T7_T9_mT8_P12ihipStream_tbDpT10_ENKUlT_T0_E_clISt17integral_constantIbLb1EES1A_EEDaS15_S16_EUlS15_E_NS1_11comp_targetILNS1_3genE3ELNS1_11target_archE908ELNS1_3gpuE7ELNS1_3repE0EEENS1_30default_config_static_selectorELNS0_4arch9wavefront6targetE0EEEvT1_,"axG",@progbits,_ZN7rocprim17ROCPRIM_400000_NS6detail17trampoline_kernelINS0_14default_configENS1_25partition_config_selectorILNS1_17partition_subalgoE9EllbEEZZNS1_14partition_implILS5_9ELb0ES3_jPlS8_PNS0_10empty_typeENS0_5tupleIJS8_S9_EEENSB_IJS8_SA_EEENS0_18inequality_wrapperIZN2at6native12_GLOBAL__N_124unique_dim_cuda_templateIjEESt5tupleIJNSF_6TensorESK_SK_EERKSK_lbbbEUlllE0_EEPmJS9_EEE10hipError_tPvRmT3_T4_T5_T6_T7_T9_mT8_P12ihipStream_tbDpT10_ENKUlT_T0_E_clISt17integral_constantIbLb1EES1A_EEDaS15_S16_EUlS15_E_NS1_11comp_targetILNS1_3genE3ELNS1_11target_archE908ELNS1_3gpuE7ELNS1_3repE0EEENS1_30default_config_static_selectorELNS0_4arch9wavefront6targetE0EEEvT1_,comdat
	.globl	_ZN7rocprim17ROCPRIM_400000_NS6detail17trampoline_kernelINS0_14default_configENS1_25partition_config_selectorILNS1_17partition_subalgoE9EllbEEZZNS1_14partition_implILS5_9ELb0ES3_jPlS8_PNS0_10empty_typeENS0_5tupleIJS8_S9_EEENSB_IJS8_SA_EEENS0_18inequality_wrapperIZN2at6native12_GLOBAL__N_124unique_dim_cuda_templateIjEESt5tupleIJNSF_6TensorESK_SK_EERKSK_lbbbEUlllE0_EEPmJS9_EEE10hipError_tPvRmT3_T4_T5_T6_T7_T9_mT8_P12ihipStream_tbDpT10_ENKUlT_T0_E_clISt17integral_constantIbLb1EES1A_EEDaS15_S16_EUlS15_E_NS1_11comp_targetILNS1_3genE3ELNS1_11target_archE908ELNS1_3gpuE7ELNS1_3repE0EEENS1_30default_config_static_selectorELNS0_4arch9wavefront6targetE0EEEvT1_ ; -- Begin function _ZN7rocprim17ROCPRIM_400000_NS6detail17trampoline_kernelINS0_14default_configENS1_25partition_config_selectorILNS1_17partition_subalgoE9EllbEEZZNS1_14partition_implILS5_9ELb0ES3_jPlS8_PNS0_10empty_typeENS0_5tupleIJS8_S9_EEENSB_IJS8_SA_EEENS0_18inequality_wrapperIZN2at6native12_GLOBAL__N_124unique_dim_cuda_templateIjEESt5tupleIJNSF_6TensorESK_SK_EERKSK_lbbbEUlllE0_EEPmJS9_EEE10hipError_tPvRmT3_T4_T5_T6_T7_T9_mT8_P12ihipStream_tbDpT10_ENKUlT_T0_E_clISt17integral_constantIbLb1EES1A_EEDaS15_S16_EUlS15_E_NS1_11comp_targetILNS1_3genE3ELNS1_11target_archE908ELNS1_3gpuE7ELNS1_3repE0EEENS1_30default_config_static_selectorELNS0_4arch9wavefront6targetE0EEEvT1_
	.p2align	8
	.type	_ZN7rocprim17ROCPRIM_400000_NS6detail17trampoline_kernelINS0_14default_configENS1_25partition_config_selectorILNS1_17partition_subalgoE9EllbEEZZNS1_14partition_implILS5_9ELb0ES3_jPlS8_PNS0_10empty_typeENS0_5tupleIJS8_S9_EEENSB_IJS8_SA_EEENS0_18inequality_wrapperIZN2at6native12_GLOBAL__N_124unique_dim_cuda_templateIjEESt5tupleIJNSF_6TensorESK_SK_EERKSK_lbbbEUlllE0_EEPmJS9_EEE10hipError_tPvRmT3_T4_T5_T6_T7_T9_mT8_P12ihipStream_tbDpT10_ENKUlT_T0_E_clISt17integral_constantIbLb1EES1A_EEDaS15_S16_EUlS15_E_NS1_11comp_targetILNS1_3genE3ELNS1_11target_archE908ELNS1_3gpuE7ELNS1_3repE0EEENS1_30default_config_static_selectorELNS0_4arch9wavefront6targetE0EEEvT1_,@function
_ZN7rocprim17ROCPRIM_400000_NS6detail17trampoline_kernelINS0_14default_configENS1_25partition_config_selectorILNS1_17partition_subalgoE9EllbEEZZNS1_14partition_implILS5_9ELb0ES3_jPlS8_PNS0_10empty_typeENS0_5tupleIJS8_S9_EEENSB_IJS8_SA_EEENS0_18inequality_wrapperIZN2at6native12_GLOBAL__N_124unique_dim_cuda_templateIjEESt5tupleIJNSF_6TensorESK_SK_EERKSK_lbbbEUlllE0_EEPmJS9_EEE10hipError_tPvRmT3_T4_T5_T6_T7_T9_mT8_P12ihipStream_tbDpT10_ENKUlT_T0_E_clISt17integral_constantIbLb1EES1A_EEDaS15_S16_EUlS15_E_NS1_11comp_targetILNS1_3genE3ELNS1_11target_archE908ELNS1_3gpuE7ELNS1_3repE0EEENS1_30default_config_static_selectorELNS0_4arch9wavefront6targetE0EEEvT1_: ; @_ZN7rocprim17ROCPRIM_400000_NS6detail17trampoline_kernelINS0_14default_configENS1_25partition_config_selectorILNS1_17partition_subalgoE9EllbEEZZNS1_14partition_implILS5_9ELb0ES3_jPlS8_PNS0_10empty_typeENS0_5tupleIJS8_S9_EEENSB_IJS8_SA_EEENS0_18inequality_wrapperIZN2at6native12_GLOBAL__N_124unique_dim_cuda_templateIjEESt5tupleIJNSF_6TensorESK_SK_EERKSK_lbbbEUlllE0_EEPmJS9_EEE10hipError_tPvRmT3_T4_T5_T6_T7_T9_mT8_P12ihipStream_tbDpT10_ENKUlT_T0_E_clISt17integral_constantIbLb1EES1A_EEDaS15_S16_EUlS15_E_NS1_11comp_targetILNS1_3genE3ELNS1_11target_archE908ELNS1_3gpuE7ELNS1_3repE0EEENS1_30default_config_static_selectorELNS0_4arch9wavefront6targetE0EEEvT1_
; %bb.0:
	.section	.rodata,"a",@progbits
	.p2align	6, 0x0
	.amdhsa_kernel _ZN7rocprim17ROCPRIM_400000_NS6detail17trampoline_kernelINS0_14default_configENS1_25partition_config_selectorILNS1_17partition_subalgoE9EllbEEZZNS1_14partition_implILS5_9ELb0ES3_jPlS8_PNS0_10empty_typeENS0_5tupleIJS8_S9_EEENSB_IJS8_SA_EEENS0_18inequality_wrapperIZN2at6native12_GLOBAL__N_124unique_dim_cuda_templateIjEESt5tupleIJNSF_6TensorESK_SK_EERKSK_lbbbEUlllE0_EEPmJS9_EEE10hipError_tPvRmT3_T4_T5_T6_T7_T9_mT8_P12ihipStream_tbDpT10_ENKUlT_T0_E_clISt17integral_constantIbLb1EES1A_EEDaS15_S16_EUlS15_E_NS1_11comp_targetILNS1_3genE3ELNS1_11target_archE908ELNS1_3gpuE7ELNS1_3repE0EEENS1_30default_config_static_selectorELNS0_4arch9wavefront6targetE0EEEvT1_
		.amdhsa_group_segment_fixed_size 0
		.amdhsa_private_segment_fixed_size 0
		.amdhsa_kernarg_size 136
		.amdhsa_user_sgpr_count 2
		.amdhsa_user_sgpr_dispatch_ptr 0
		.amdhsa_user_sgpr_queue_ptr 0
		.amdhsa_user_sgpr_kernarg_segment_ptr 1
		.amdhsa_user_sgpr_dispatch_id 0
		.amdhsa_user_sgpr_kernarg_preload_length 0
		.amdhsa_user_sgpr_kernarg_preload_offset 0
		.amdhsa_user_sgpr_private_segment_size 0
		.amdhsa_wavefront_size32 1
		.amdhsa_uses_dynamic_stack 0
		.amdhsa_enable_private_segment 0
		.amdhsa_system_sgpr_workgroup_id_x 1
		.amdhsa_system_sgpr_workgroup_id_y 0
		.amdhsa_system_sgpr_workgroup_id_z 0
		.amdhsa_system_sgpr_workgroup_info 0
		.amdhsa_system_vgpr_workitem_id 0
		.amdhsa_next_free_vgpr 1
		.amdhsa_next_free_sgpr 1
		.amdhsa_named_barrier_count 0
		.amdhsa_reserve_vcc 0
		.amdhsa_float_round_mode_32 0
		.amdhsa_float_round_mode_16_64 0
		.amdhsa_float_denorm_mode_32 3
		.amdhsa_float_denorm_mode_16_64 3
		.amdhsa_fp16_overflow 0
		.amdhsa_memory_ordered 1
		.amdhsa_forward_progress 1
		.amdhsa_inst_pref_size 0
		.amdhsa_round_robin_scheduling 0
		.amdhsa_exception_fp_ieee_invalid_op 0
		.amdhsa_exception_fp_denorm_src 0
		.amdhsa_exception_fp_ieee_div_zero 0
		.amdhsa_exception_fp_ieee_overflow 0
		.amdhsa_exception_fp_ieee_underflow 0
		.amdhsa_exception_fp_ieee_inexact 0
		.amdhsa_exception_int_div_zero 0
	.end_amdhsa_kernel
	.section	.text._ZN7rocprim17ROCPRIM_400000_NS6detail17trampoline_kernelINS0_14default_configENS1_25partition_config_selectorILNS1_17partition_subalgoE9EllbEEZZNS1_14partition_implILS5_9ELb0ES3_jPlS8_PNS0_10empty_typeENS0_5tupleIJS8_S9_EEENSB_IJS8_SA_EEENS0_18inequality_wrapperIZN2at6native12_GLOBAL__N_124unique_dim_cuda_templateIjEESt5tupleIJNSF_6TensorESK_SK_EERKSK_lbbbEUlllE0_EEPmJS9_EEE10hipError_tPvRmT3_T4_T5_T6_T7_T9_mT8_P12ihipStream_tbDpT10_ENKUlT_T0_E_clISt17integral_constantIbLb1EES1A_EEDaS15_S16_EUlS15_E_NS1_11comp_targetILNS1_3genE3ELNS1_11target_archE908ELNS1_3gpuE7ELNS1_3repE0EEENS1_30default_config_static_selectorELNS0_4arch9wavefront6targetE0EEEvT1_,"axG",@progbits,_ZN7rocprim17ROCPRIM_400000_NS6detail17trampoline_kernelINS0_14default_configENS1_25partition_config_selectorILNS1_17partition_subalgoE9EllbEEZZNS1_14partition_implILS5_9ELb0ES3_jPlS8_PNS0_10empty_typeENS0_5tupleIJS8_S9_EEENSB_IJS8_SA_EEENS0_18inequality_wrapperIZN2at6native12_GLOBAL__N_124unique_dim_cuda_templateIjEESt5tupleIJNSF_6TensorESK_SK_EERKSK_lbbbEUlllE0_EEPmJS9_EEE10hipError_tPvRmT3_T4_T5_T6_T7_T9_mT8_P12ihipStream_tbDpT10_ENKUlT_T0_E_clISt17integral_constantIbLb1EES1A_EEDaS15_S16_EUlS15_E_NS1_11comp_targetILNS1_3genE3ELNS1_11target_archE908ELNS1_3gpuE7ELNS1_3repE0EEENS1_30default_config_static_selectorELNS0_4arch9wavefront6targetE0EEEvT1_,comdat
.Lfunc_end1584:
	.size	_ZN7rocprim17ROCPRIM_400000_NS6detail17trampoline_kernelINS0_14default_configENS1_25partition_config_selectorILNS1_17partition_subalgoE9EllbEEZZNS1_14partition_implILS5_9ELb0ES3_jPlS8_PNS0_10empty_typeENS0_5tupleIJS8_S9_EEENSB_IJS8_SA_EEENS0_18inequality_wrapperIZN2at6native12_GLOBAL__N_124unique_dim_cuda_templateIjEESt5tupleIJNSF_6TensorESK_SK_EERKSK_lbbbEUlllE0_EEPmJS9_EEE10hipError_tPvRmT3_T4_T5_T6_T7_T9_mT8_P12ihipStream_tbDpT10_ENKUlT_T0_E_clISt17integral_constantIbLb1EES1A_EEDaS15_S16_EUlS15_E_NS1_11comp_targetILNS1_3genE3ELNS1_11target_archE908ELNS1_3gpuE7ELNS1_3repE0EEENS1_30default_config_static_selectorELNS0_4arch9wavefront6targetE0EEEvT1_, .Lfunc_end1584-_ZN7rocprim17ROCPRIM_400000_NS6detail17trampoline_kernelINS0_14default_configENS1_25partition_config_selectorILNS1_17partition_subalgoE9EllbEEZZNS1_14partition_implILS5_9ELb0ES3_jPlS8_PNS0_10empty_typeENS0_5tupleIJS8_S9_EEENSB_IJS8_SA_EEENS0_18inequality_wrapperIZN2at6native12_GLOBAL__N_124unique_dim_cuda_templateIjEESt5tupleIJNSF_6TensorESK_SK_EERKSK_lbbbEUlllE0_EEPmJS9_EEE10hipError_tPvRmT3_T4_T5_T6_T7_T9_mT8_P12ihipStream_tbDpT10_ENKUlT_T0_E_clISt17integral_constantIbLb1EES1A_EEDaS15_S16_EUlS15_E_NS1_11comp_targetILNS1_3genE3ELNS1_11target_archE908ELNS1_3gpuE7ELNS1_3repE0EEENS1_30default_config_static_selectorELNS0_4arch9wavefront6targetE0EEEvT1_
                                        ; -- End function
	.set _ZN7rocprim17ROCPRIM_400000_NS6detail17trampoline_kernelINS0_14default_configENS1_25partition_config_selectorILNS1_17partition_subalgoE9EllbEEZZNS1_14partition_implILS5_9ELb0ES3_jPlS8_PNS0_10empty_typeENS0_5tupleIJS8_S9_EEENSB_IJS8_SA_EEENS0_18inequality_wrapperIZN2at6native12_GLOBAL__N_124unique_dim_cuda_templateIjEESt5tupleIJNSF_6TensorESK_SK_EERKSK_lbbbEUlllE0_EEPmJS9_EEE10hipError_tPvRmT3_T4_T5_T6_T7_T9_mT8_P12ihipStream_tbDpT10_ENKUlT_T0_E_clISt17integral_constantIbLb1EES1A_EEDaS15_S16_EUlS15_E_NS1_11comp_targetILNS1_3genE3ELNS1_11target_archE908ELNS1_3gpuE7ELNS1_3repE0EEENS1_30default_config_static_selectorELNS0_4arch9wavefront6targetE0EEEvT1_.num_vgpr, 0
	.set _ZN7rocprim17ROCPRIM_400000_NS6detail17trampoline_kernelINS0_14default_configENS1_25partition_config_selectorILNS1_17partition_subalgoE9EllbEEZZNS1_14partition_implILS5_9ELb0ES3_jPlS8_PNS0_10empty_typeENS0_5tupleIJS8_S9_EEENSB_IJS8_SA_EEENS0_18inequality_wrapperIZN2at6native12_GLOBAL__N_124unique_dim_cuda_templateIjEESt5tupleIJNSF_6TensorESK_SK_EERKSK_lbbbEUlllE0_EEPmJS9_EEE10hipError_tPvRmT3_T4_T5_T6_T7_T9_mT8_P12ihipStream_tbDpT10_ENKUlT_T0_E_clISt17integral_constantIbLb1EES1A_EEDaS15_S16_EUlS15_E_NS1_11comp_targetILNS1_3genE3ELNS1_11target_archE908ELNS1_3gpuE7ELNS1_3repE0EEENS1_30default_config_static_selectorELNS0_4arch9wavefront6targetE0EEEvT1_.num_agpr, 0
	.set _ZN7rocprim17ROCPRIM_400000_NS6detail17trampoline_kernelINS0_14default_configENS1_25partition_config_selectorILNS1_17partition_subalgoE9EllbEEZZNS1_14partition_implILS5_9ELb0ES3_jPlS8_PNS0_10empty_typeENS0_5tupleIJS8_S9_EEENSB_IJS8_SA_EEENS0_18inequality_wrapperIZN2at6native12_GLOBAL__N_124unique_dim_cuda_templateIjEESt5tupleIJNSF_6TensorESK_SK_EERKSK_lbbbEUlllE0_EEPmJS9_EEE10hipError_tPvRmT3_T4_T5_T6_T7_T9_mT8_P12ihipStream_tbDpT10_ENKUlT_T0_E_clISt17integral_constantIbLb1EES1A_EEDaS15_S16_EUlS15_E_NS1_11comp_targetILNS1_3genE3ELNS1_11target_archE908ELNS1_3gpuE7ELNS1_3repE0EEENS1_30default_config_static_selectorELNS0_4arch9wavefront6targetE0EEEvT1_.numbered_sgpr, 0
	.set _ZN7rocprim17ROCPRIM_400000_NS6detail17trampoline_kernelINS0_14default_configENS1_25partition_config_selectorILNS1_17partition_subalgoE9EllbEEZZNS1_14partition_implILS5_9ELb0ES3_jPlS8_PNS0_10empty_typeENS0_5tupleIJS8_S9_EEENSB_IJS8_SA_EEENS0_18inequality_wrapperIZN2at6native12_GLOBAL__N_124unique_dim_cuda_templateIjEESt5tupleIJNSF_6TensorESK_SK_EERKSK_lbbbEUlllE0_EEPmJS9_EEE10hipError_tPvRmT3_T4_T5_T6_T7_T9_mT8_P12ihipStream_tbDpT10_ENKUlT_T0_E_clISt17integral_constantIbLb1EES1A_EEDaS15_S16_EUlS15_E_NS1_11comp_targetILNS1_3genE3ELNS1_11target_archE908ELNS1_3gpuE7ELNS1_3repE0EEENS1_30default_config_static_selectorELNS0_4arch9wavefront6targetE0EEEvT1_.num_named_barrier, 0
	.set _ZN7rocprim17ROCPRIM_400000_NS6detail17trampoline_kernelINS0_14default_configENS1_25partition_config_selectorILNS1_17partition_subalgoE9EllbEEZZNS1_14partition_implILS5_9ELb0ES3_jPlS8_PNS0_10empty_typeENS0_5tupleIJS8_S9_EEENSB_IJS8_SA_EEENS0_18inequality_wrapperIZN2at6native12_GLOBAL__N_124unique_dim_cuda_templateIjEESt5tupleIJNSF_6TensorESK_SK_EERKSK_lbbbEUlllE0_EEPmJS9_EEE10hipError_tPvRmT3_T4_T5_T6_T7_T9_mT8_P12ihipStream_tbDpT10_ENKUlT_T0_E_clISt17integral_constantIbLb1EES1A_EEDaS15_S16_EUlS15_E_NS1_11comp_targetILNS1_3genE3ELNS1_11target_archE908ELNS1_3gpuE7ELNS1_3repE0EEENS1_30default_config_static_selectorELNS0_4arch9wavefront6targetE0EEEvT1_.private_seg_size, 0
	.set _ZN7rocprim17ROCPRIM_400000_NS6detail17trampoline_kernelINS0_14default_configENS1_25partition_config_selectorILNS1_17partition_subalgoE9EllbEEZZNS1_14partition_implILS5_9ELb0ES3_jPlS8_PNS0_10empty_typeENS0_5tupleIJS8_S9_EEENSB_IJS8_SA_EEENS0_18inequality_wrapperIZN2at6native12_GLOBAL__N_124unique_dim_cuda_templateIjEESt5tupleIJNSF_6TensorESK_SK_EERKSK_lbbbEUlllE0_EEPmJS9_EEE10hipError_tPvRmT3_T4_T5_T6_T7_T9_mT8_P12ihipStream_tbDpT10_ENKUlT_T0_E_clISt17integral_constantIbLb1EES1A_EEDaS15_S16_EUlS15_E_NS1_11comp_targetILNS1_3genE3ELNS1_11target_archE908ELNS1_3gpuE7ELNS1_3repE0EEENS1_30default_config_static_selectorELNS0_4arch9wavefront6targetE0EEEvT1_.uses_vcc, 0
	.set _ZN7rocprim17ROCPRIM_400000_NS6detail17trampoline_kernelINS0_14default_configENS1_25partition_config_selectorILNS1_17partition_subalgoE9EllbEEZZNS1_14partition_implILS5_9ELb0ES3_jPlS8_PNS0_10empty_typeENS0_5tupleIJS8_S9_EEENSB_IJS8_SA_EEENS0_18inequality_wrapperIZN2at6native12_GLOBAL__N_124unique_dim_cuda_templateIjEESt5tupleIJNSF_6TensorESK_SK_EERKSK_lbbbEUlllE0_EEPmJS9_EEE10hipError_tPvRmT3_T4_T5_T6_T7_T9_mT8_P12ihipStream_tbDpT10_ENKUlT_T0_E_clISt17integral_constantIbLb1EES1A_EEDaS15_S16_EUlS15_E_NS1_11comp_targetILNS1_3genE3ELNS1_11target_archE908ELNS1_3gpuE7ELNS1_3repE0EEENS1_30default_config_static_selectorELNS0_4arch9wavefront6targetE0EEEvT1_.uses_flat_scratch, 0
	.set _ZN7rocprim17ROCPRIM_400000_NS6detail17trampoline_kernelINS0_14default_configENS1_25partition_config_selectorILNS1_17partition_subalgoE9EllbEEZZNS1_14partition_implILS5_9ELb0ES3_jPlS8_PNS0_10empty_typeENS0_5tupleIJS8_S9_EEENSB_IJS8_SA_EEENS0_18inequality_wrapperIZN2at6native12_GLOBAL__N_124unique_dim_cuda_templateIjEESt5tupleIJNSF_6TensorESK_SK_EERKSK_lbbbEUlllE0_EEPmJS9_EEE10hipError_tPvRmT3_T4_T5_T6_T7_T9_mT8_P12ihipStream_tbDpT10_ENKUlT_T0_E_clISt17integral_constantIbLb1EES1A_EEDaS15_S16_EUlS15_E_NS1_11comp_targetILNS1_3genE3ELNS1_11target_archE908ELNS1_3gpuE7ELNS1_3repE0EEENS1_30default_config_static_selectorELNS0_4arch9wavefront6targetE0EEEvT1_.has_dyn_sized_stack, 0
	.set _ZN7rocprim17ROCPRIM_400000_NS6detail17trampoline_kernelINS0_14default_configENS1_25partition_config_selectorILNS1_17partition_subalgoE9EllbEEZZNS1_14partition_implILS5_9ELb0ES3_jPlS8_PNS0_10empty_typeENS0_5tupleIJS8_S9_EEENSB_IJS8_SA_EEENS0_18inequality_wrapperIZN2at6native12_GLOBAL__N_124unique_dim_cuda_templateIjEESt5tupleIJNSF_6TensorESK_SK_EERKSK_lbbbEUlllE0_EEPmJS9_EEE10hipError_tPvRmT3_T4_T5_T6_T7_T9_mT8_P12ihipStream_tbDpT10_ENKUlT_T0_E_clISt17integral_constantIbLb1EES1A_EEDaS15_S16_EUlS15_E_NS1_11comp_targetILNS1_3genE3ELNS1_11target_archE908ELNS1_3gpuE7ELNS1_3repE0EEENS1_30default_config_static_selectorELNS0_4arch9wavefront6targetE0EEEvT1_.has_recursion, 0
	.set _ZN7rocprim17ROCPRIM_400000_NS6detail17trampoline_kernelINS0_14default_configENS1_25partition_config_selectorILNS1_17partition_subalgoE9EllbEEZZNS1_14partition_implILS5_9ELb0ES3_jPlS8_PNS0_10empty_typeENS0_5tupleIJS8_S9_EEENSB_IJS8_SA_EEENS0_18inequality_wrapperIZN2at6native12_GLOBAL__N_124unique_dim_cuda_templateIjEESt5tupleIJNSF_6TensorESK_SK_EERKSK_lbbbEUlllE0_EEPmJS9_EEE10hipError_tPvRmT3_T4_T5_T6_T7_T9_mT8_P12ihipStream_tbDpT10_ENKUlT_T0_E_clISt17integral_constantIbLb1EES1A_EEDaS15_S16_EUlS15_E_NS1_11comp_targetILNS1_3genE3ELNS1_11target_archE908ELNS1_3gpuE7ELNS1_3repE0EEENS1_30default_config_static_selectorELNS0_4arch9wavefront6targetE0EEEvT1_.has_indirect_call, 0
	.section	.AMDGPU.csdata,"",@progbits
; Kernel info:
; codeLenInByte = 0
; TotalNumSgprs: 0
; NumVgprs: 0
; ScratchSize: 0
; MemoryBound: 0
; FloatMode: 240
; IeeeMode: 1
; LDSByteSize: 0 bytes/workgroup (compile time only)
; SGPRBlocks: 0
; VGPRBlocks: 0
; NumSGPRsForWavesPerEU: 1
; NumVGPRsForWavesPerEU: 1
; NamedBarCnt: 0
; Occupancy: 16
; WaveLimiterHint : 0
; COMPUTE_PGM_RSRC2:SCRATCH_EN: 0
; COMPUTE_PGM_RSRC2:USER_SGPR: 2
; COMPUTE_PGM_RSRC2:TRAP_HANDLER: 0
; COMPUTE_PGM_RSRC2:TGID_X_EN: 1
; COMPUTE_PGM_RSRC2:TGID_Y_EN: 0
; COMPUTE_PGM_RSRC2:TGID_Z_EN: 0
; COMPUTE_PGM_RSRC2:TIDIG_COMP_CNT: 0
	.section	.text._ZN7rocprim17ROCPRIM_400000_NS6detail17trampoline_kernelINS0_14default_configENS1_25partition_config_selectorILNS1_17partition_subalgoE9EllbEEZZNS1_14partition_implILS5_9ELb0ES3_jPlS8_PNS0_10empty_typeENS0_5tupleIJS8_S9_EEENSB_IJS8_SA_EEENS0_18inequality_wrapperIZN2at6native12_GLOBAL__N_124unique_dim_cuda_templateIjEESt5tupleIJNSF_6TensorESK_SK_EERKSK_lbbbEUlllE0_EEPmJS9_EEE10hipError_tPvRmT3_T4_T5_T6_T7_T9_mT8_P12ihipStream_tbDpT10_ENKUlT_T0_E_clISt17integral_constantIbLb1EES1A_EEDaS15_S16_EUlS15_E_NS1_11comp_targetILNS1_3genE2ELNS1_11target_archE906ELNS1_3gpuE6ELNS1_3repE0EEENS1_30default_config_static_selectorELNS0_4arch9wavefront6targetE0EEEvT1_,"axG",@progbits,_ZN7rocprim17ROCPRIM_400000_NS6detail17trampoline_kernelINS0_14default_configENS1_25partition_config_selectorILNS1_17partition_subalgoE9EllbEEZZNS1_14partition_implILS5_9ELb0ES3_jPlS8_PNS0_10empty_typeENS0_5tupleIJS8_S9_EEENSB_IJS8_SA_EEENS0_18inequality_wrapperIZN2at6native12_GLOBAL__N_124unique_dim_cuda_templateIjEESt5tupleIJNSF_6TensorESK_SK_EERKSK_lbbbEUlllE0_EEPmJS9_EEE10hipError_tPvRmT3_T4_T5_T6_T7_T9_mT8_P12ihipStream_tbDpT10_ENKUlT_T0_E_clISt17integral_constantIbLb1EES1A_EEDaS15_S16_EUlS15_E_NS1_11comp_targetILNS1_3genE2ELNS1_11target_archE906ELNS1_3gpuE6ELNS1_3repE0EEENS1_30default_config_static_selectorELNS0_4arch9wavefront6targetE0EEEvT1_,comdat
	.globl	_ZN7rocprim17ROCPRIM_400000_NS6detail17trampoline_kernelINS0_14default_configENS1_25partition_config_selectorILNS1_17partition_subalgoE9EllbEEZZNS1_14partition_implILS5_9ELb0ES3_jPlS8_PNS0_10empty_typeENS0_5tupleIJS8_S9_EEENSB_IJS8_SA_EEENS0_18inequality_wrapperIZN2at6native12_GLOBAL__N_124unique_dim_cuda_templateIjEESt5tupleIJNSF_6TensorESK_SK_EERKSK_lbbbEUlllE0_EEPmJS9_EEE10hipError_tPvRmT3_T4_T5_T6_T7_T9_mT8_P12ihipStream_tbDpT10_ENKUlT_T0_E_clISt17integral_constantIbLb1EES1A_EEDaS15_S16_EUlS15_E_NS1_11comp_targetILNS1_3genE2ELNS1_11target_archE906ELNS1_3gpuE6ELNS1_3repE0EEENS1_30default_config_static_selectorELNS0_4arch9wavefront6targetE0EEEvT1_ ; -- Begin function _ZN7rocprim17ROCPRIM_400000_NS6detail17trampoline_kernelINS0_14default_configENS1_25partition_config_selectorILNS1_17partition_subalgoE9EllbEEZZNS1_14partition_implILS5_9ELb0ES3_jPlS8_PNS0_10empty_typeENS0_5tupleIJS8_S9_EEENSB_IJS8_SA_EEENS0_18inequality_wrapperIZN2at6native12_GLOBAL__N_124unique_dim_cuda_templateIjEESt5tupleIJNSF_6TensorESK_SK_EERKSK_lbbbEUlllE0_EEPmJS9_EEE10hipError_tPvRmT3_T4_T5_T6_T7_T9_mT8_P12ihipStream_tbDpT10_ENKUlT_T0_E_clISt17integral_constantIbLb1EES1A_EEDaS15_S16_EUlS15_E_NS1_11comp_targetILNS1_3genE2ELNS1_11target_archE906ELNS1_3gpuE6ELNS1_3repE0EEENS1_30default_config_static_selectorELNS0_4arch9wavefront6targetE0EEEvT1_
	.p2align	8
	.type	_ZN7rocprim17ROCPRIM_400000_NS6detail17trampoline_kernelINS0_14default_configENS1_25partition_config_selectorILNS1_17partition_subalgoE9EllbEEZZNS1_14partition_implILS5_9ELb0ES3_jPlS8_PNS0_10empty_typeENS0_5tupleIJS8_S9_EEENSB_IJS8_SA_EEENS0_18inequality_wrapperIZN2at6native12_GLOBAL__N_124unique_dim_cuda_templateIjEESt5tupleIJNSF_6TensorESK_SK_EERKSK_lbbbEUlllE0_EEPmJS9_EEE10hipError_tPvRmT3_T4_T5_T6_T7_T9_mT8_P12ihipStream_tbDpT10_ENKUlT_T0_E_clISt17integral_constantIbLb1EES1A_EEDaS15_S16_EUlS15_E_NS1_11comp_targetILNS1_3genE2ELNS1_11target_archE906ELNS1_3gpuE6ELNS1_3repE0EEENS1_30default_config_static_selectorELNS0_4arch9wavefront6targetE0EEEvT1_,@function
_ZN7rocprim17ROCPRIM_400000_NS6detail17trampoline_kernelINS0_14default_configENS1_25partition_config_selectorILNS1_17partition_subalgoE9EllbEEZZNS1_14partition_implILS5_9ELb0ES3_jPlS8_PNS0_10empty_typeENS0_5tupleIJS8_S9_EEENSB_IJS8_SA_EEENS0_18inequality_wrapperIZN2at6native12_GLOBAL__N_124unique_dim_cuda_templateIjEESt5tupleIJNSF_6TensorESK_SK_EERKSK_lbbbEUlllE0_EEPmJS9_EEE10hipError_tPvRmT3_T4_T5_T6_T7_T9_mT8_P12ihipStream_tbDpT10_ENKUlT_T0_E_clISt17integral_constantIbLb1EES1A_EEDaS15_S16_EUlS15_E_NS1_11comp_targetILNS1_3genE2ELNS1_11target_archE906ELNS1_3gpuE6ELNS1_3repE0EEENS1_30default_config_static_selectorELNS0_4arch9wavefront6targetE0EEEvT1_: ; @_ZN7rocprim17ROCPRIM_400000_NS6detail17trampoline_kernelINS0_14default_configENS1_25partition_config_selectorILNS1_17partition_subalgoE9EllbEEZZNS1_14partition_implILS5_9ELb0ES3_jPlS8_PNS0_10empty_typeENS0_5tupleIJS8_S9_EEENSB_IJS8_SA_EEENS0_18inequality_wrapperIZN2at6native12_GLOBAL__N_124unique_dim_cuda_templateIjEESt5tupleIJNSF_6TensorESK_SK_EERKSK_lbbbEUlllE0_EEPmJS9_EEE10hipError_tPvRmT3_T4_T5_T6_T7_T9_mT8_P12ihipStream_tbDpT10_ENKUlT_T0_E_clISt17integral_constantIbLb1EES1A_EEDaS15_S16_EUlS15_E_NS1_11comp_targetILNS1_3genE2ELNS1_11target_archE906ELNS1_3gpuE6ELNS1_3repE0EEENS1_30default_config_static_selectorELNS0_4arch9wavefront6targetE0EEEvT1_
; %bb.0:
	.section	.rodata,"a",@progbits
	.p2align	6, 0x0
	.amdhsa_kernel _ZN7rocprim17ROCPRIM_400000_NS6detail17trampoline_kernelINS0_14default_configENS1_25partition_config_selectorILNS1_17partition_subalgoE9EllbEEZZNS1_14partition_implILS5_9ELb0ES3_jPlS8_PNS0_10empty_typeENS0_5tupleIJS8_S9_EEENSB_IJS8_SA_EEENS0_18inequality_wrapperIZN2at6native12_GLOBAL__N_124unique_dim_cuda_templateIjEESt5tupleIJNSF_6TensorESK_SK_EERKSK_lbbbEUlllE0_EEPmJS9_EEE10hipError_tPvRmT3_T4_T5_T6_T7_T9_mT8_P12ihipStream_tbDpT10_ENKUlT_T0_E_clISt17integral_constantIbLb1EES1A_EEDaS15_S16_EUlS15_E_NS1_11comp_targetILNS1_3genE2ELNS1_11target_archE906ELNS1_3gpuE6ELNS1_3repE0EEENS1_30default_config_static_selectorELNS0_4arch9wavefront6targetE0EEEvT1_
		.amdhsa_group_segment_fixed_size 0
		.amdhsa_private_segment_fixed_size 0
		.amdhsa_kernarg_size 136
		.amdhsa_user_sgpr_count 2
		.amdhsa_user_sgpr_dispatch_ptr 0
		.amdhsa_user_sgpr_queue_ptr 0
		.amdhsa_user_sgpr_kernarg_segment_ptr 1
		.amdhsa_user_sgpr_dispatch_id 0
		.amdhsa_user_sgpr_kernarg_preload_length 0
		.amdhsa_user_sgpr_kernarg_preload_offset 0
		.amdhsa_user_sgpr_private_segment_size 0
		.amdhsa_wavefront_size32 1
		.amdhsa_uses_dynamic_stack 0
		.amdhsa_enable_private_segment 0
		.amdhsa_system_sgpr_workgroup_id_x 1
		.amdhsa_system_sgpr_workgroup_id_y 0
		.amdhsa_system_sgpr_workgroup_id_z 0
		.amdhsa_system_sgpr_workgroup_info 0
		.amdhsa_system_vgpr_workitem_id 0
		.amdhsa_next_free_vgpr 1
		.amdhsa_next_free_sgpr 1
		.amdhsa_named_barrier_count 0
		.amdhsa_reserve_vcc 0
		.amdhsa_float_round_mode_32 0
		.amdhsa_float_round_mode_16_64 0
		.amdhsa_float_denorm_mode_32 3
		.amdhsa_float_denorm_mode_16_64 3
		.amdhsa_fp16_overflow 0
		.amdhsa_memory_ordered 1
		.amdhsa_forward_progress 1
		.amdhsa_inst_pref_size 0
		.amdhsa_round_robin_scheduling 0
		.amdhsa_exception_fp_ieee_invalid_op 0
		.amdhsa_exception_fp_denorm_src 0
		.amdhsa_exception_fp_ieee_div_zero 0
		.amdhsa_exception_fp_ieee_overflow 0
		.amdhsa_exception_fp_ieee_underflow 0
		.amdhsa_exception_fp_ieee_inexact 0
		.amdhsa_exception_int_div_zero 0
	.end_amdhsa_kernel
	.section	.text._ZN7rocprim17ROCPRIM_400000_NS6detail17trampoline_kernelINS0_14default_configENS1_25partition_config_selectorILNS1_17partition_subalgoE9EllbEEZZNS1_14partition_implILS5_9ELb0ES3_jPlS8_PNS0_10empty_typeENS0_5tupleIJS8_S9_EEENSB_IJS8_SA_EEENS0_18inequality_wrapperIZN2at6native12_GLOBAL__N_124unique_dim_cuda_templateIjEESt5tupleIJNSF_6TensorESK_SK_EERKSK_lbbbEUlllE0_EEPmJS9_EEE10hipError_tPvRmT3_T4_T5_T6_T7_T9_mT8_P12ihipStream_tbDpT10_ENKUlT_T0_E_clISt17integral_constantIbLb1EES1A_EEDaS15_S16_EUlS15_E_NS1_11comp_targetILNS1_3genE2ELNS1_11target_archE906ELNS1_3gpuE6ELNS1_3repE0EEENS1_30default_config_static_selectorELNS0_4arch9wavefront6targetE0EEEvT1_,"axG",@progbits,_ZN7rocprim17ROCPRIM_400000_NS6detail17trampoline_kernelINS0_14default_configENS1_25partition_config_selectorILNS1_17partition_subalgoE9EllbEEZZNS1_14partition_implILS5_9ELb0ES3_jPlS8_PNS0_10empty_typeENS0_5tupleIJS8_S9_EEENSB_IJS8_SA_EEENS0_18inequality_wrapperIZN2at6native12_GLOBAL__N_124unique_dim_cuda_templateIjEESt5tupleIJNSF_6TensorESK_SK_EERKSK_lbbbEUlllE0_EEPmJS9_EEE10hipError_tPvRmT3_T4_T5_T6_T7_T9_mT8_P12ihipStream_tbDpT10_ENKUlT_T0_E_clISt17integral_constantIbLb1EES1A_EEDaS15_S16_EUlS15_E_NS1_11comp_targetILNS1_3genE2ELNS1_11target_archE906ELNS1_3gpuE6ELNS1_3repE0EEENS1_30default_config_static_selectorELNS0_4arch9wavefront6targetE0EEEvT1_,comdat
.Lfunc_end1585:
	.size	_ZN7rocprim17ROCPRIM_400000_NS6detail17trampoline_kernelINS0_14default_configENS1_25partition_config_selectorILNS1_17partition_subalgoE9EllbEEZZNS1_14partition_implILS5_9ELb0ES3_jPlS8_PNS0_10empty_typeENS0_5tupleIJS8_S9_EEENSB_IJS8_SA_EEENS0_18inequality_wrapperIZN2at6native12_GLOBAL__N_124unique_dim_cuda_templateIjEESt5tupleIJNSF_6TensorESK_SK_EERKSK_lbbbEUlllE0_EEPmJS9_EEE10hipError_tPvRmT3_T4_T5_T6_T7_T9_mT8_P12ihipStream_tbDpT10_ENKUlT_T0_E_clISt17integral_constantIbLb1EES1A_EEDaS15_S16_EUlS15_E_NS1_11comp_targetILNS1_3genE2ELNS1_11target_archE906ELNS1_3gpuE6ELNS1_3repE0EEENS1_30default_config_static_selectorELNS0_4arch9wavefront6targetE0EEEvT1_, .Lfunc_end1585-_ZN7rocprim17ROCPRIM_400000_NS6detail17trampoline_kernelINS0_14default_configENS1_25partition_config_selectorILNS1_17partition_subalgoE9EllbEEZZNS1_14partition_implILS5_9ELb0ES3_jPlS8_PNS0_10empty_typeENS0_5tupleIJS8_S9_EEENSB_IJS8_SA_EEENS0_18inequality_wrapperIZN2at6native12_GLOBAL__N_124unique_dim_cuda_templateIjEESt5tupleIJNSF_6TensorESK_SK_EERKSK_lbbbEUlllE0_EEPmJS9_EEE10hipError_tPvRmT3_T4_T5_T6_T7_T9_mT8_P12ihipStream_tbDpT10_ENKUlT_T0_E_clISt17integral_constantIbLb1EES1A_EEDaS15_S16_EUlS15_E_NS1_11comp_targetILNS1_3genE2ELNS1_11target_archE906ELNS1_3gpuE6ELNS1_3repE0EEENS1_30default_config_static_selectorELNS0_4arch9wavefront6targetE0EEEvT1_
                                        ; -- End function
	.set _ZN7rocprim17ROCPRIM_400000_NS6detail17trampoline_kernelINS0_14default_configENS1_25partition_config_selectorILNS1_17partition_subalgoE9EllbEEZZNS1_14partition_implILS5_9ELb0ES3_jPlS8_PNS0_10empty_typeENS0_5tupleIJS8_S9_EEENSB_IJS8_SA_EEENS0_18inequality_wrapperIZN2at6native12_GLOBAL__N_124unique_dim_cuda_templateIjEESt5tupleIJNSF_6TensorESK_SK_EERKSK_lbbbEUlllE0_EEPmJS9_EEE10hipError_tPvRmT3_T4_T5_T6_T7_T9_mT8_P12ihipStream_tbDpT10_ENKUlT_T0_E_clISt17integral_constantIbLb1EES1A_EEDaS15_S16_EUlS15_E_NS1_11comp_targetILNS1_3genE2ELNS1_11target_archE906ELNS1_3gpuE6ELNS1_3repE0EEENS1_30default_config_static_selectorELNS0_4arch9wavefront6targetE0EEEvT1_.num_vgpr, 0
	.set _ZN7rocprim17ROCPRIM_400000_NS6detail17trampoline_kernelINS0_14default_configENS1_25partition_config_selectorILNS1_17partition_subalgoE9EllbEEZZNS1_14partition_implILS5_9ELb0ES3_jPlS8_PNS0_10empty_typeENS0_5tupleIJS8_S9_EEENSB_IJS8_SA_EEENS0_18inequality_wrapperIZN2at6native12_GLOBAL__N_124unique_dim_cuda_templateIjEESt5tupleIJNSF_6TensorESK_SK_EERKSK_lbbbEUlllE0_EEPmJS9_EEE10hipError_tPvRmT3_T4_T5_T6_T7_T9_mT8_P12ihipStream_tbDpT10_ENKUlT_T0_E_clISt17integral_constantIbLb1EES1A_EEDaS15_S16_EUlS15_E_NS1_11comp_targetILNS1_3genE2ELNS1_11target_archE906ELNS1_3gpuE6ELNS1_3repE0EEENS1_30default_config_static_selectorELNS0_4arch9wavefront6targetE0EEEvT1_.num_agpr, 0
	.set _ZN7rocprim17ROCPRIM_400000_NS6detail17trampoline_kernelINS0_14default_configENS1_25partition_config_selectorILNS1_17partition_subalgoE9EllbEEZZNS1_14partition_implILS5_9ELb0ES3_jPlS8_PNS0_10empty_typeENS0_5tupleIJS8_S9_EEENSB_IJS8_SA_EEENS0_18inequality_wrapperIZN2at6native12_GLOBAL__N_124unique_dim_cuda_templateIjEESt5tupleIJNSF_6TensorESK_SK_EERKSK_lbbbEUlllE0_EEPmJS9_EEE10hipError_tPvRmT3_T4_T5_T6_T7_T9_mT8_P12ihipStream_tbDpT10_ENKUlT_T0_E_clISt17integral_constantIbLb1EES1A_EEDaS15_S16_EUlS15_E_NS1_11comp_targetILNS1_3genE2ELNS1_11target_archE906ELNS1_3gpuE6ELNS1_3repE0EEENS1_30default_config_static_selectorELNS0_4arch9wavefront6targetE0EEEvT1_.numbered_sgpr, 0
	.set _ZN7rocprim17ROCPRIM_400000_NS6detail17trampoline_kernelINS0_14default_configENS1_25partition_config_selectorILNS1_17partition_subalgoE9EllbEEZZNS1_14partition_implILS5_9ELb0ES3_jPlS8_PNS0_10empty_typeENS0_5tupleIJS8_S9_EEENSB_IJS8_SA_EEENS0_18inequality_wrapperIZN2at6native12_GLOBAL__N_124unique_dim_cuda_templateIjEESt5tupleIJNSF_6TensorESK_SK_EERKSK_lbbbEUlllE0_EEPmJS9_EEE10hipError_tPvRmT3_T4_T5_T6_T7_T9_mT8_P12ihipStream_tbDpT10_ENKUlT_T0_E_clISt17integral_constantIbLb1EES1A_EEDaS15_S16_EUlS15_E_NS1_11comp_targetILNS1_3genE2ELNS1_11target_archE906ELNS1_3gpuE6ELNS1_3repE0EEENS1_30default_config_static_selectorELNS0_4arch9wavefront6targetE0EEEvT1_.num_named_barrier, 0
	.set _ZN7rocprim17ROCPRIM_400000_NS6detail17trampoline_kernelINS0_14default_configENS1_25partition_config_selectorILNS1_17partition_subalgoE9EllbEEZZNS1_14partition_implILS5_9ELb0ES3_jPlS8_PNS0_10empty_typeENS0_5tupleIJS8_S9_EEENSB_IJS8_SA_EEENS0_18inequality_wrapperIZN2at6native12_GLOBAL__N_124unique_dim_cuda_templateIjEESt5tupleIJNSF_6TensorESK_SK_EERKSK_lbbbEUlllE0_EEPmJS9_EEE10hipError_tPvRmT3_T4_T5_T6_T7_T9_mT8_P12ihipStream_tbDpT10_ENKUlT_T0_E_clISt17integral_constantIbLb1EES1A_EEDaS15_S16_EUlS15_E_NS1_11comp_targetILNS1_3genE2ELNS1_11target_archE906ELNS1_3gpuE6ELNS1_3repE0EEENS1_30default_config_static_selectorELNS0_4arch9wavefront6targetE0EEEvT1_.private_seg_size, 0
	.set _ZN7rocprim17ROCPRIM_400000_NS6detail17trampoline_kernelINS0_14default_configENS1_25partition_config_selectorILNS1_17partition_subalgoE9EllbEEZZNS1_14partition_implILS5_9ELb0ES3_jPlS8_PNS0_10empty_typeENS0_5tupleIJS8_S9_EEENSB_IJS8_SA_EEENS0_18inequality_wrapperIZN2at6native12_GLOBAL__N_124unique_dim_cuda_templateIjEESt5tupleIJNSF_6TensorESK_SK_EERKSK_lbbbEUlllE0_EEPmJS9_EEE10hipError_tPvRmT3_T4_T5_T6_T7_T9_mT8_P12ihipStream_tbDpT10_ENKUlT_T0_E_clISt17integral_constantIbLb1EES1A_EEDaS15_S16_EUlS15_E_NS1_11comp_targetILNS1_3genE2ELNS1_11target_archE906ELNS1_3gpuE6ELNS1_3repE0EEENS1_30default_config_static_selectorELNS0_4arch9wavefront6targetE0EEEvT1_.uses_vcc, 0
	.set _ZN7rocprim17ROCPRIM_400000_NS6detail17trampoline_kernelINS0_14default_configENS1_25partition_config_selectorILNS1_17partition_subalgoE9EllbEEZZNS1_14partition_implILS5_9ELb0ES3_jPlS8_PNS0_10empty_typeENS0_5tupleIJS8_S9_EEENSB_IJS8_SA_EEENS0_18inequality_wrapperIZN2at6native12_GLOBAL__N_124unique_dim_cuda_templateIjEESt5tupleIJNSF_6TensorESK_SK_EERKSK_lbbbEUlllE0_EEPmJS9_EEE10hipError_tPvRmT3_T4_T5_T6_T7_T9_mT8_P12ihipStream_tbDpT10_ENKUlT_T0_E_clISt17integral_constantIbLb1EES1A_EEDaS15_S16_EUlS15_E_NS1_11comp_targetILNS1_3genE2ELNS1_11target_archE906ELNS1_3gpuE6ELNS1_3repE0EEENS1_30default_config_static_selectorELNS0_4arch9wavefront6targetE0EEEvT1_.uses_flat_scratch, 0
	.set _ZN7rocprim17ROCPRIM_400000_NS6detail17trampoline_kernelINS0_14default_configENS1_25partition_config_selectorILNS1_17partition_subalgoE9EllbEEZZNS1_14partition_implILS5_9ELb0ES3_jPlS8_PNS0_10empty_typeENS0_5tupleIJS8_S9_EEENSB_IJS8_SA_EEENS0_18inequality_wrapperIZN2at6native12_GLOBAL__N_124unique_dim_cuda_templateIjEESt5tupleIJNSF_6TensorESK_SK_EERKSK_lbbbEUlllE0_EEPmJS9_EEE10hipError_tPvRmT3_T4_T5_T6_T7_T9_mT8_P12ihipStream_tbDpT10_ENKUlT_T0_E_clISt17integral_constantIbLb1EES1A_EEDaS15_S16_EUlS15_E_NS1_11comp_targetILNS1_3genE2ELNS1_11target_archE906ELNS1_3gpuE6ELNS1_3repE0EEENS1_30default_config_static_selectorELNS0_4arch9wavefront6targetE0EEEvT1_.has_dyn_sized_stack, 0
	.set _ZN7rocprim17ROCPRIM_400000_NS6detail17trampoline_kernelINS0_14default_configENS1_25partition_config_selectorILNS1_17partition_subalgoE9EllbEEZZNS1_14partition_implILS5_9ELb0ES3_jPlS8_PNS0_10empty_typeENS0_5tupleIJS8_S9_EEENSB_IJS8_SA_EEENS0_18inequality_wrapperIZN2at6native12_GLOBAL__N_124unique_dim_cuda_templateIjEESt5tupleIJNSF_6TensorESK_SK_EERKSK_lbbbEUlllE0_EEPmJS9_EEE10hipError_tPvRmT3_T4_T5_T6_T7_T9_mT8_P12ihipStream_tbDpT10_ENKUlT_T0_E_clISt17integral_constantIbLb1EES1A_EEDaS15_S16_EUlS15_E_NS1_11comp_targetILNS1_3genE2ELNS1_11target_archE906ELNS1_3gpuE6ELNS1_3repE0EEENS1_30default_config_static_selectorELNS0_4arch9wavefront6targetE0EEEvT1_.has_recursion, 0
	.set _ZN7rocprim17ROCPRIM_400000_NS6detail17trampoline_kernelINS0_14default_configENS1_25partition_config_selectorILNS1_17partition_subalgoE9EllbEEZZNS1_14partition_implILS5_9ELb0ES3_jPlS8_PNS0_10empty_typeENS0_5tupleIJS8_S9_EEENSB_IJS8_SA_EEENS0_18inequality_wrapperIZN2at6native12_GLOBAL__N_124unique_dim_cuda_templateIjEESt5tupleIJNSF_6TensorESK_SK_EERKSK_lbbbEUlllE0_EEPmJS9_EEE10hipError_tPvRmT3_T4_T5_T6_T7_T9_mT8_P12ihipStream_tbDpT10_ENKUlT_T0_E_clISt17integral_constantIbLb1EES1A_EEDaS15_S16_EUlS15_E_NS1_11comp_targetILNS1_3genE2ELNS1_11target_archE906ELNS1_3gpuE6ELNS1_3repE0EEENS1_30default_config_static_selectorELNS0_4arch9wavefront6targetE0EEEvT1_.has_indirect_call, 0
	.section	.AMDGPU.csdata,"",@progbits
; Kernel info:
; codeLenInByte = 0
; TotalNumSgprs: 0
; NumVgprs: 0
; ScratchSize: 0
; MemoryBound: 0
; FloatMode: 240
; IeeeMode: 1
; LDSByteSize: 0 bytes/workgroup (compile time only)
; SGPRBlocks: 0
; VGPRBlocks: 0
; NumSGPRsForWavesPerEU: 1
; NumVGPRsForWavesPerEU: 1
; NamedBarCnt: 0
; Occupancy: 16
; WaveLimiterHint : 0
; COMPUTE_PGM_RSRC2:SCRATCH_EN: 0
; COMPUTE_PGM_RSRC2:USER_SGPR: 2
; COMPUTE_PGM_RSRC2:TRAP_HANDLER: 0
; COMPUTE_PGM_RSRC2:TGID_X_EN: 1
; COMPUTE_PGM_RSRC2:TGID_Y_EN: 0
; COMPUTE_PGM_RSRC2:TGID_Z_EN: 0
; COMPUTE_PGM_RSRC2:TIDIG_COMP_CNT: 0
	.section	.text._ZN7rocprim17ROCPRIM_400000_NS6detail17trampoline_kernelINS0_14default_configENS1_25partition_config_selectorILNS1_17partition_subalgoE9EllbEEZZNS1_14partition_implILS5_9ELb0ES3_jPlS8_PNS0_10empty_typeENS0_5tupleIJS8_S9_EEENSB_IJS8_SA_EEENS0_18inequality_wrapperIZN2at6native12_GLOBAL__N_124unique_dim_cuda_templateIjEESt5tupleIJNSF_6TensorESK_SK_EERKSK_lbbbEUlllE0_EEPmJS9_EEE10hipError_tPvRmT3_T4_T5_T6_T7_T9_mT8_P12ihipStream_tbDpT10_ENKUlT_T0_E_clISt17integral_constantIbLb1EES1A_EEDaS15_S16_EUlS15_E_NS1_11comp_targetILNS1_3genE10ELNS1_11target_archE1200ELNS1_3gpuE4ELNS1_3repE0EEENS1_30default_config_static_selectorELNS0_4arch9wavefront6targetE0EEEvT1_,"axG",@progbits,_ZN7rocprim17ROCPRIM_400000_NS6detail17trampoline_kernelINS0_14default_configENS1_25partition_config_selectorILNS1_17partition_subalgoE9EllbEEZZNS1_14partition_implILS5_9ELb0ES3_jPlS8_PNS0_10empty_typeENS0_5tupleIJS8_S9_EEENSB_IJS8_SA_EEENS0_18inequality_wrapperIZN2at6native12_GLOBAL__N_124unique_dim_cuda_templateIjEESt5tupleIJNSF_6TensorESK_SK_EERKSK_lbbbEUlllE0_EEPmJS9_EEE10hipError_tPvRmT3_T4_T5_T6_T7_T9_mT8_P12ihipStream_tbDpT10_ENKUlT_T0_E_clISt17integral_constantIbLb1EES1A_EEDaS15_S16_EUlS15_E_NS1_11comp_targetILNS1_3genE10ELNS1_11target_archE1200ELNS1_3gpuE4ELNS1_3repE0EEENS1_30default_config_static_selectorELNS0_4arch9wavefront6targetE0EEEvT1_,comdat
	.globl	_ZN7rocprim17ROCPRIM_400000_NS6detail17trampoline_kernelINS0_14default_configENS1_25partition_config_selectorILNS1_17partition_subalgoE9EllbEEZZNS1_14partition_implILS5_9ELb0ES3_jPlS8_PNS0_10empty_typeENS0_5tupleIJS8_S9_EEENSB_IJS8_SA_EEENS0_18inequality_wrapperIZN2at6native12_GLOBAL__N_124unique_dim_cuda_templateIjEESt5tupleIJNSF_6TensorESK_SK_EERKSK_lbbbEUlllE0_EEPmJS9_EEE10hipError_tPvRmT3_T4_T5_T6_T7_T9_mT8_P12ihipStream_tbDpT10_ENKUlT_T0_E_clISt17integral_constantIbLb1EES1A_EEDaS15_S16_EUlS15_E_NS1_11comp_targetILNS1_3genE10ELNS1_11target_archE1200ELNS1_3gpuE4ELNS1_3repE0EEENS1_30default_config_static_selectorELNS0_4arch9wavefront6targetE0EEEvT1_ ; -- Begin function _ZN7rocprim17ROCPRIM_400000_NS6detail17trampoline_kernelINS0_14default_configENS1_25partition_config_selectorILNS1_17partition_subalgoE9EllbEEZZNS1_14partition_implILS5_9ELb0ES3_jPlS8_PNS0_10empty_typeENS0_5tupleIJS8_S9_EEENSB_IJS8_SA_EEENS0_18inequality_wrapperIZN2at6native12_GLOBAL__N_124unique_dim_cuda_templateIjEESt5tupleIJNSF_6TensorESK_SK_EERKSK_lbbbEUlllE0_EEPmJS9_EEE10hipError_tPvRmT3_T4_T5_T6_T7_T9_mT8_P12ihipStream_tbDpT10_ENKUlT_T0_E_clISt17integral_constantIbLb1EES1A_EEDaS15_S16_EUlS15_E_NS1_11comp_targetILNS1_3genE10ELNS1_11target_archE1200ELNS1_3gpuE4ELNS1_3repE0EEENS1_30default_config_static_selectorELNS0_4arch9wavefront6targetE0EEEvT1_
	.p2align	8
	.type	_ZN7rocprim17ROCPRIM_400000_NS6detail17trampoline_kernelINS0_14default_configENS1_25partition_config_selectorILNS1_17partition_subalgoE9EllbEEZZNS1_14partition_implILS5_9ELb0ES3_jPlS8_PNS0_10empty_typeENS0_5tupleIJS8_S9_EEENSB_IJS8_SA_EEENS0_18inequality_wrapperIZN2at6native12_GLOBAL__N_124unique_dim_cuda_templateIjEESt5tupleIJNSF_6TensorESK_SK_EERKSK_lbbbEUlllE0_EEPmJS9_EEE10hipError_tPvRmT3_T4_T5_T6_T7_T9_mT8_P12ihipStream_tbDpT10_ENKUlT_T0_E_clISt17integral_constantIbLb1EES1A_EEDaS15_S16_EUlS15_E_NS1_11comp_targetILNS1_3genE10ELNS1_11target_archE1200ELNS1_3gpuE4ELNS1_3repE0EEENS1_30default_config_static_selectorELNS0_4arch9wavefront6targetE0EEEvT1_,@function
_ZN7rocprim17ROCPRIM_400000_NS6detail17trampoline_kernelINS0_14default_configENS1_25partition_config_selectorILNS1_17partition_subalgoE9EllbEEZZNS1_14partition_implILS5_9ELb0ES3_jPlS8_PNS0_10empty_typeENS0_5tupleIJS8_S9_EEENSB_IJS8_SA_EEENS0_18inequality_wrapperIZN2at6native12_GLOBAL__N_124unique_dim_cuda_templateIjEESt5tupleIJNSF_6TensorESK_SK_EERKSK_lbbbEUlllE0_EEPmJS9_EEE10hipError_tPvRmT3_T4_T5_T6_T7_T9_mT8_P12ihipStream_tbDpT10_ENKUlT_T0_E_clISt17integral_constantIbLb1EES1A_EEDaS15_S16_EUlS15_E_NS1_11comp_targetILNS1_3genE10ELNS1_11target_archE1200ELNS1_3gpuE4ELNS1_3repE0EEENS1_30default_config_static_selectorELNS0_4arch9wavefront6targetE0EEEvT1_: ; @_ZN7rocprim17ROCPRIM_400000_NS6detail17trampoline_kernelINS0_14default_configENS1_25partition_config_selectorILNS1_17partition_subalgoE9EllbEEZZNS1_14partition_implILS5_9ELb0ES3_jPlS8_PNS0_10empty_typeENS0_5tupleIJS8_S9_EEENSB_IJS8_SA_EEENS0_18inequality_wrapperIZN2at6native12_GLOBAL__N_124unique_dim_cuda_templateIjEESt5tupleIJNSF_6TensorESK_SK_EERKSK_lbbbEUlllE0_EEPmJS9_EEE10hipError_tPvRmT3_T4_T5_T6_T7_T9_mT8_P12ihipStream_tbDpT10_ENKUlT_T0_E_clISt17integral_constantIbLb1EES1A_EEDaS15_S16_EUlS15_E_NS1_11comp_targetILNS1_3genE10ELNS1_11target_archE1200ELNS1_3gpuE4ELNS1_3repE0EEENS1_30default_config_static_selectorELNS0_4arch9wavefront6targetE0EEEvT1_
; %bb.0:
	.section	.rodata,"a",@progbits
	.p2align	6, 0x0
	.amdhsa_kernel _ZN7rocprim17ROCPRIM_400000_NS6detail17trampoline_kernelINS0_14default_configENS1_25partition_config_selectorILNS1_17partition_subalgoE9EllbEEZZNS1_14partition_implILS5_9ELb0ES3_jPlS8_PNS0_10empty_typeENS0_5tupleIJS8_S9_EEENSB_IJS8_SA_EEENS0_18inequality_wrapperIZN2at6native12_GLOBAL__N_124unique_dim_cuda_templateIjEESt5tupleIJNSF_6TensorESK_SK_EERKSK_lbbbEUlllE0_EEPmJS9_EEE10hipError_tPvRmT3_T4_T5_T6_T7_T9_mT8_P12ihipStream_tbDpT10_ENKUlT_T0_E_clISt17integral_constantIbLb1EES1A_EEDaS15_S16_EUlS15_E_NS1_11comp_targetILNS1_3genE10ELNS1_11target_archE1200ELNS1_3gpuE4ELNS1_3repE0EEENS1_30default_config_static_selectorELNS0_4arch9wavefront6targetE0EEEvT1_
		.amdhsa_group_segment_fixed_size 0
		.amdhsa_private_segment_fixed_size 0
		.amdhsa_kernarg_size 136
		.amdhsa_user_sgpr_count 2
		.amdhsa_user_sgpr_dispatch_ptr 0
		.amdhsa_user_sgpr_queue_ptr 0
		.amdhsa_user_sgpr_kernarg_segment_ptr 1
		.amdhsa_user_sgpr_dispatch_id 0
		.amdhsa_user_sgpr_kernarg_preload_length 0
		.amdhsa_user_sgpr_kernarg_preload_offset 0
		.amdhsa_user_sgpr_private_segment_size 0
		.amdhsa_wavefront_size32 1
		.amdhsa_uses_dynamic_stack 0
		.amdhsa_enable_private_segment 0
		.amdhsa_system_sgpr_workgroup_id_x 1
		.amdhsa_system_sgpr_workgroup_id_y 0
		.amdhsa_system_sgpr_workgroup_id_z 0
		.amdhsa_system_sgpr_workgroup_info 0
		.amdhsa_system_vgpr_workitem_id 0
		.amdhsa_next_free_vgpr 1
		.amdhsa_next_free_sgpr 1
		.amdhsa_named_barrier_count 0
		.amdhsa_reserve_vcc 0
		.amdhsa_float_round_mode_32 0
		.amdhsa_float_round_mode_16_64 0
		.amdhsa_float_denorm_mode_32 3
		.amdhsa_float_denorm_mode_16_64 3
		.amdhsa_fp16_overflow 0
		.amdhsa_memory_ordered 1
		.amdhsa_forward_progress 1
		.amdhsa_inst_pref_size 0
		.amdhsa_round_robin_scheduling 0
		.amdhsa_exception_fp_ieee_invalid_op 0
		.amdhsa_exception_fp_denorm_src 0
		.amdhsa_exception_fp_ieee_div_zero 0
		.amdhsa_exception_fp_ieee_overflow 0
		.amdhsa_exception_fp_ieee_underflow 0
		.amdhsa_exception_fp_ieee_inexact 0
		.amdhsa_exception_int_div_zero 0
	.end_amdhsa_kernel
	.section	.text._ZN7rocprim17ROCPRIM_400000_NS6detail17trampoline_kernelINS0_14default_configENS1_25partition_config_selectorILNS1_17partition_subalgoE9EllbEEZZNS1_14partition_implILS5_9ELb0ES3_jPlS8_PNS0_10empty_typeENS0_5tupleIJS8_S9_EEENSB_IJS8_SA_EEENS0_18inequality_wrapperIZN2at6native12_GLOBAL__N_124unique_dim_cuda_templateIjEESt5tupleIJNSF_6TensorESK_SK_EERKSK_lbbbEUlllE0_EEPmJS9_EEE10hipError_tPvRmT3_T4_T5_T6_T7_T9_mT8_P12ihipStream_tbDpT10_ENKUlT_T0_E_clISt17integral_constantIbLb1EES1A_EEDaS15_S16_EUlS15_E_NS1_11comp_targetILNS1_3genE10ELNS1_11target_archE1200ELNS1_3gpuE4ELNS1_3repE0EEENS1_30default_config_static_selectorELNS0_4arch9wavefront6targetE0EEEvT1_,"axG",@progbits,_ZN7rocprim17ROCPRIM_400000_NS6detail17trampoline_kernelINS0_14default_configENS1_25partition_config_selectorILNS1_17partition_subalgoE9EllbEEZZNS1_14partition_implILS5_9ELb0ES3_jPlS8_PNS0_10empty_typeENS0_5tupleIJS8_S9_EEENSB_IJS8_SA_EEENS0_18inequality_wrapperIZN2at6native12_GLOBAL__N_124unique_dim_cuda_templateIjEESt5tupleIJNSF_6TensorESK_SK_EERKSK_lbbbEUlllE0_EEPmJS9_EEE10hipError_tPvRmT3_T4_T5_T6_T7_T9_mT8_P12ihipStream_tbDpT10_ENKUlT_T0_E_clISt17integral_constantIbLb1EES1A_EEDaS15_S16_EUlS15_E_NS1_11comp_targetILNS1_3genE10ELNS1_11target_archE1200ELNS1_3gpuE4ELNS1_3repE0EEENS1_30default_config_static_selectorELNS0_4arch9wavefront6targetE0EEEvT1_,comdat
.Lfunc_end1586:
	.size	_ZN7rocprim17ROCPRIM_400000_NS6detail17trampoline_kernelINS0_14default_configENS1_25partition_config_selectorILNS1_17partition_subalgoE9EllbEEZZNS1_14partition_implILS5_9ELb0ES3_jPlS8_PNS0_10empty_typeENS0_5tupleIJS8_S9_EEENSB_IJS8_SA_EEENS0_18inequality_wrapperIZN2at6native12_GLOBAL__N_124unique_dim_cuda_templateIjEESt5tupleIJNSF_6TensorESK_SK_EERKSK_lbbbEUlllE0_EEPmJS9_EEE10hipError_tPvRmT3_T4_T5_T6_T7_T9_mT8_P12ihipStream_tbDpT10_ENKUlT_T0_E_clISt17integral_constantIbLb1EES1A_EEDaS15_S16_EUlS15_E_NS1_11comp_targetILNS1_3genE10ELNS1_11target_archE1200ELNS1_3gpuE4ELNS1_3repE0EEENS1_30default_config_static_selectorELNS0_4arch9wavefront6targetE0EEEvT1_, .Lfunc_end1586-_ZN7rocprim17ROCPRIM_400000_NS6detail17trampoline_kernelINS0_14default_configENS1_25partition_config_selectorILNS1_17partition_subalgoE9EllbEEZZNS1_14partition_implILS5_9ELb0ES3_jPlS8_PNS0_10empty_typeENS0_5tupleIJS8_S9_EEENSB_IJS8_SA_EEENS0_18inequality_wrapperIZN2at6native12_GLOBAL__N_124unique_dim_cuda_templateIjEESt5tupleIJNSF_6TensorESK_SK_EERKSK_lbbbEUlllE0_EEPmJS9_EEE10hipError_tPvRmT3_T4_T5_T6_T7_T9_mT8_P12ihipStream_tbDpT10_ENKUlT_T0_E_clISt17integral_constantIbLb1EES1A_EEDaS15_S16_EUlS15_E_NS1_11comp_targetILNS1_3genE10ELNS1_11target_archE1200ELNS1_3gpuE4ELNS1_3repE0EEENS1_30default_config_static_selectorELNS0_4arch9wavefront6targetE0EEEvT1_
                                        ; -- End function
	.set _ZN7rocprim17ROCPRIM_400000_NS6detail17trampoline_kernelINS0_14default_configENS1_25partition_config_selectorILNS1_17partition_subalgoE9EllbEEZZNS1_14partition_implILS5_9ELb0ES3_jPlS8_PNS0_10empty_typeENS0_5tupleIJS8_S9_EEENSB_IJS8_SA_EEENS0_18inequality_wrapperIZN2at6native12_GLOBAL__N_124unique_dim_cuda_templateIjEESt5tupleIJNSF_6TensorESK_SK_EERKSK_lbbbEUlllE0_EEPmJS9_EEE10hipError_tPvRmT3_T4_T5_T6_T7_T9_mT8_P12ihipStream_tbDpT10_ENKUlT_T0_E_clISt17integral_constantIbLb1EES1A_EEDaS15_S16_EUlS15_E_NS1_11comp_targetILNS1_3genE10ELNS1_11target_archE1200ELNS1_3gpuE4ELNS1_3repE0EEENS1_30default_config_static_selectorELNS0_4arch9wavefront6targetE0EEEvT1_.num_vgpr, 0
	.set _ZN7rocprim17ROCPRIM_400000_NS6detail17trampoline_kernelINS0_14default_configENS1_25partition_config_selectorILNS1_17partition_subalgoE9EllbEEZZNS1_14partition_implILS5_9ELb0ES3_jPlS8_PNS0_10empty_typeENS0_5tupleIJS8_S9_EEENSB_IJS8_SA_EEENS0_18inequality_wrapperIZN2at6native12_GLOBAL__N_124unique_dim_cuda_templateIjEESt5tupleIJNSF_6TensorESK_SK_EERKSK_lbbbEUlllE0_EEPmJS9_EEE10hipError_tPvRmT3_T4_T5_T6_T7_T9_mT8_P12ihipStream_tbDpT10_ENKUlT_T0_E_clISt17integral_constantIbLb1EES1A_EEDaS15_S16_EUlS15_E_NS1_11comp_targetILNS1_3genE10ELNS1_11target_archE1200ELNS1_3gpuE4ELNS1_3repE0EEENS1_30default_config_static_selectorELNS0_4arch9wavefront6targetE0EEEvT1_.num_agpr, 0
	.set _ZN7rocprim17ROCPRIM_400000_NS6detail17trampoline_kernelINS0_14default_configENS1_25partition_config_selectorILNS1_17partition_subalgoE9EllbEEZZNS1_14partition_implILS5_9ELb0ES3_jPlS8_PNS0_10empty_typeENS0_5tupleIJS8_S9_EEENSB_IJS8_SA_EEENS0_18inequality_wrapperIZN2at6native12_GLOBAL__N_124unique_dim_cuda_templateIjEESt5tupleIJNSF_6TensorESK_SK_EERKSK_lbbbEUlllE0_EEPmJS9_EEE10hipError_tPvRmT3_T4_T5_T6_T7_T9_mT8_P12ihipStream_tbDpT10_ENKUlT_T0_E_clISt17integral_constantIbLb1EES1A_EEDaS15_S16_EUlS15_E_NS1_11comp_targetILNS1_3genE10ELNS1_11target_archE1200ELNS1_3gpuE4ELNS1_3repE0EEENS1_30default_config_static_selectorELNS0_4arch9wavefront6targetE0EEEvT1_.numbered_sgpr, 0
	.set _ZN7rocprim17ROCPRIM_400000_NS6detail17trampoline_kernelINS0_14default_configENS1_25partition_config_selectorILNS1_17partition_subalgoE9EllbEEZZNS1_14partition_implILS5_9ELb0ES3_jPlS8_PNS0_10empty_typeENS0_5tupleIJS8_S9_EEENSB_IJS8_SA_EEENS0_18inequality_wrapperIZN2at6native12_GLOBAL__N_124unique_dim_cuda_templateIjEESt5tupleIJNSF_6TensorESK_SK_EERKSK_lbbbEUlllE0_EEPmJS9_EEE10hipError_tPvRmT3_T4_T5_T6_T7_T9_mT8_P12ihipStream_tbDpT10_ENKUlT_T0_E_clISt17integral_constantIbLb1EES1A_EEDaS15_S16_EUlS15_E_NS1_11comp_targetILNS1_3genE10ELNS1_11target_archE1200ELNS1_3gpuE4ELNS1_3repE0EEENS1_30default_config_static_selectorELNS0_4arch9wavefront6targetE0EEEvT1_.num_named_barrier, 0
	.set _ZN7rocprim17ROCPRIM_400000_NS6detail17trampoline_kernelINS0_14default_configENS1_25partition_config_selectorILNS1_17partition_subalgoE9EllbEEZZNS1_14partition_implILS5_9ELb0ES3_jPlS8_PNS0_10empty_typeENS0_5tupleIJS8_S9_EEENSB_IJS8_SA_EEENS0_18inequality_wrapperIZN2at6native12_GLOBAL__N_124unique_dim_cuda_templateIjEESt5tupleIJNSF_6TensorESK_SK_EERKSK_lbbbEUlllE0_EEPmJS9_EEE10hipError_tPvRmT3_T4_T5_T6_T7_T9_mT8_P12ihipStream_tbDpT10_ENKUlT_T0_E_clISt17integral_constantIbLb1EES1A_EEDaS15_S16_EUlS15_E_NS1_11comp_targetILNS1_3genE10ELNS1_11target_archE1200ELNS1_3gpuE4ELNS1_3repE0EEENS1_30default_config_static_selectorELNS0_4arch9wavefront6targetE0EEEvT1_.private_seg_size, 0
	.set _ZN7rocprim17ROCPRIM_400000_NS6detail17trampoline_kernelINS0_14default_configENS1_25partition_config_selectorILNS1_17partition_subalgoE9EllbEEZZNS1_14partition_implILS5_9ELb0ES3_jPlS8_PNS0_10empty_typeENS0_5tupleIJS8_S9_EEENSB_IJS8_SA_EEENS0_18inequality_wrapperIZN2at6native12_GLOBAL__N_124unique_dim_cuda_templateIjEESt5tupleIJNSF_6TensorESK_SK_EERKSK_lbbbEUlllE0_EEPmJS9_EEE10hipError_tPvRmT3_T4_T5_T6_T7_T9_mT8_P12ihipStream_tbDpT10_ENKUlT_T0_E_clISt17integral_constantIbLb1EES1A_EEDaS15_S16_EUlS15_E_NS1_11comp_targetILNS1_3genE10ELNS1_11target_archE1200ELNS1_3gpuE4ELNS1_3repE0EEENS1_30default_config_static_selectorELNS0_4arch9wavefront6targetE0EEEvT1_.uses_vcc, 0
	.set _ZN7rocprim17ROCPRIM_400000_NS6detail17trampoline_kernelINS0_14default_configENS1_25partition_config_selectorILNS1_17partition_subalgoE9EllbEEZZNS1_14partition_implILS5_9ELb0ES3_jPlS8_PNS0_10empty_typeENS0_5tupleIJS8_S9_EEENSB_IJS8_SA_EEENS0_18inequality_wrapperIZN2at6native12_GLOBAL__N_124unique_dim_cuda_templateIjEESt5tupleIJNSF_6TensorESK_SK_EERKSK_lbbbEUlllE0_EEPmJS9_EEE10hipError_tPvRmT3_T4_T5_T6_T7_T9_mT8_P12ihipStream_tbDpT10_ENKUlT_T0_E_clISt17integral_constantIbLb1EES1A_EEDaS15_S16_EUlS15_E_NS1_11comp_targetILNS1_3genE10ELNS1_11target_archE1200ELNS1_3gpuE4ELNS1_3repE0EEENS1_30default_config_static_selectorELNS0_4arch9wavefront6targetE0EEEvT1_.uses_flat_scratch, 0
	.set _ZN7rocprim17ROCPRIM_400000_NS6detail17trampoline_kernelINS0_14default_configENS1_25partition_config_selectorILNS1_17partition_subalgoE9EllbEEZZNS1_14partition_implILS5_9ELb0ES3_jPlS8_PNS0_10empty_typeENS0_5tupleIJS8_S9_EEENSB_IJS8_SA_EEENS0_18inequality_wrapperIZN2at6native12_GLOBAL__N_124unique_dim_cuda_templateIjEESt5tupleIJNSF_6TensorESK_SK_EERKSK_lbbbEUlllE0_EEPmJS9_EEE10hipError_tPvRmT3_T4_T5_T6_T7_T9_mT8_P12ihipStream_tbDpT10_ENKUlT_T0_E_clISt17integral_constantIbLb1EES1A_EEDaS15_S16_EUlS15_E_NS1_11comp_targetILNS1_3genE10ELNS1_11target_archE1200ELNS1_3gpuE4ELNS1_3repE0EEENS1_30default_config_static_selectorELNS0_4arch9wavefront6targetE0EEEvT1_.has_dyn_sized_stack, 0
	.set _ZN7rocprim17ROCPRIM_400000_NS6detail17trampoline_kernelINS0_14default_configENS1_25partition_config_selectorILNS1_17partition_subalgoE9EllbEEZZNS1_14partition_implILS5_9ELb0ES3_jPlS8_PNS0_10empty_typeENS0_5tupleIJS8_S9_EEENSB_IJS8_SA_EEENS0_18inequality_wrapperIZN2at6native12_GLOBAL__N_124unique_dim_cuda_templateIjEESt5tupleIJNSF_6TensorESK_SK_EERKSK_lbbbEUlllE0_EEPmJS9_EEE10hipError_tPvRmT3_T4_T5_T6_T7_T9_mT8_P12ihipStream_tbDpT10_ENKUlT_T0_E_clISt17integral_constantIbLb1EES1A_EEDaS15_S16_EUlS15_E_NS1_11comp_targetILNS1_3genE10ELNS1_11target_archE1200ELNS1_3gpuE4ELNS1_3repE0EEENS1_30default_config_static_selectorELNS0_4arch9wavefront6targetE0EEEvT1_.has_recursion, 0
	.set _ZN7rocprim17ROCPRIM_400000_NS6detail17trampoline_kernelINS0_14default_configENS1_25partition_config_selectorILNS1_17partition_subalgoE9EllbEEZZNS1_14partition_implILS5_9ELb0ES3_jPlS8_PNS0_10empty_typeENS0_5tupleIJS8_S9_EEENSB_IJS8_SA_EEENS0_18inequality_wrapperIZN2at6native12_GLOBAL__N_124unique_dim_cuda_templateIjEESt5tupleIJNSF_6TensorESK_SK_EERKSK_lbbbEUlllE0_EEPmJS9_EEE10hipError_tPvRmT3_T4_T5_T6_T7_T9_mT8_P12ihipStream_tbDpT10_ENKUlT_T0_E_clISt17integral_constantIbLb1EES1A_EEDaS15_S16_EUlS15_E_NS1_11comp_targetILNS1_3genE10ELNS1_11target_archE1200ELNS1_3gpuE4ELNS1_3repE0EEENS1_30default_config_static_selectorELNS0_4arch9wavefront6targetE0EEEvT1_.has_indirect_call, 0
	.section	.AMDGPU.csdata,"",@progbits
; Kernel info:
; codeLenInByte = 0
; TotalNumSgprs: 0
; NumVgprs: 0
; ScratchSize: 0
; MemoryBound: 0
; FloatMode: 240
; IeeeMode: 1
; LDSByteSize: 0 bytes/workgroup (compile time only)
; SGPRBlocks: 0
; VGPRBlocks: 0
; NumSGPRsForWavesPerEU: 1
; NumVGPRsForWavesPerEU: 1
; NamedBarCnt: 0
; Occupancy: 16
; WaveLimiterHint : 0
; COMPUTE_PGM_RSRC2:SCRATCH_EN: 0
; COMPUTE_PGM_RSRC2:USER_SGPR: 2
; COMPUTE_PGM_RSRC2:TRAP_HANDLER: 0
; COMPUTE_PGM_RSRC2:TGID_X_EN: 1
; COMPUTE_PGM_RSRC2:TGID_Y_EN: 0
; COMPUTE_PGM_RSRC2:TGID_Z_EN: 0
; COMPUTE_PGM_RSRC2:TIDIG_COMP_CNT: 0
	.section	.text._ZN7rocprim17ROCPRIM_400000_NS6detail17trampoline_kernelINS0_14default_configENS1_25partition_config_selectorILNS1_17partition_subalgoE9EllbEEZZNS1_14partition_implILS5_9ELb0ES3_jPlS8_PNS0_10empty_typeENS0_5tupleIJS8_S9_EEENSB_IJS8_SA_EEENS0_18inequality_wrapperIZN2at6native12_GLOBAL__N_124unique_dim_cuda_templateIjEESt5tupleIJNSF_6TensorESK_SK_EERKSK_lbbbEUlllE0_EEPmJS9_EEE10hipError_tPvRmT3_T4_T5_T6_T7_T9_mT8_P12ihipStream_tbDpT10_ENKUlT_T0_E_clISt17integral_constantIbLb1EES1A_EEDaS15_S16_EUlS15_E_NS1_11comp_targetILNS1_3genE9ELNS1_11target_archE1100ELNS1_3gpuE3ELNS1_3repE0EEENS1_30default_config_static_selectorELNS0_4arch9wavefront6targetE0EEEvT1_,"axG",@progbits,_ZN7rocprim17ROCPRIM_400000_NS6detail17trampoline_kernelINS0_14default_configENS1_25partition_config_selectorILNS1_17partition_subalgoE9EllbEEZZNS1_14partition_implILS5_9ELb0ES3_jPlS8_PNS0_10empty_typeENS0_5tupleIJS8_S9_EEENSB_IJS8_SA_EEENS0_18inequality_wrapperIZN2at6native12_GLOBAL__N_124unique_dim_cuda_templateIjEESt5tupleIJNSF_6TensorESK_SK_EERKSK_lbbbEUlllE0_EEPmJS9_EEE10hipError_tPvRmT3_T4_T5_T6_T7_T9_mT8_P12ihipStream_tbDpT10_ENKUlT_T0_E_clISt17integral_constantIbLb1EES1A_EEDaS15_S16_EUlS15_E_NS1_11comp_targetILNS1_3genE9ELNS1_11target_archE1100ELNS1_3gpuE3ELNS1_3repE0EEENS1_30default_config_static_selectorELNS0_4arch9wavefront6targetE0EEEvT1_,comdat
	.globl	_ZN7rocprim17ROCPRIM_400000_NS6detail17trampoline_kernelINS0_14default_configENS1_25partition_config_selectorILNS1_17partition_subalgoE9EllbEEZZNS1_14partition_implILS5_9ELb0ES3_jPlS8_PNS0_10empty_typeENS0_5tupleIJS8_S9_EEENSB_IJS8_SA_EEENS0_18inequality_wrapperIZN2at6native12_GLOBAL__N_124unique_dim_cuda_templateIjEESt5tupleIJNSF_6TensorESK_SK_EERKSK_lbbbEUlllE0_EEPmJS9_EEE10hipError_tPvRmT3_T4_T5_T6_T7_T9_mT8_P12ihipStream_tbDpT10_ENKUlT_T0_E_clISt17integral_constantIbLb1EES1A_EEDaS15_S16_EUlS15_E_NS1_11comp_targetILNS1_3genE9ELNS1_11target_archE1100ELNS1_3gpuE3ELNS1_3repE0EEENS1_30default_config_static_selectorELNS0_4arch9wavefront6targetE0EEEvT1_ ; -- Begin function _ZN7rocprim17ROCPRIM_400000_NS6detail17trampoline_kernelINS0_14default_configENS1_25partition_config_selectorILNS1_17partition_subalgoE9EllbEEZZNS1_14partition_implILS5_9ELb0ES3_jPlS8_PNS0_10empty_typeENS0_5tupleIJS8_S9_EEENSB_IJS8_SA_EEENS0_18inequality_wrapperIZN2at6native12_GLOBAL__N_124unique_dim_cuda_templateIjEESt5tupleIJNSF_6TensorESK_SK_EERKSK_lbbbEUlllE0_EEPmJS9_EEE10hipError_tPvRmT3_T4_T5_T6_T7_T9_mT8_P12ihipStream_tbDpT10_ENKUlT_T0_E_clISt17integral_constantIbLb1EES1A_EEDaS15_S16_EUlS15_E_NS1_11comp_targetILNS1_3genE9ELNS1_11target_archE1100ELNS1_3gpuE3ELNS1_3repE0EEENS1_30default_config_static_selectorELNS0_4arch9wavefront6targetE0EEEvT1_
	.p2align	8
	.type	_ZN7rocprim17ROCPRIM_400000_NS6detail17trampoline_kernelINS0_14default_configENS1_25partition_config_selectorILNS1_17partition_subalgoE9EllbEEZZNS1_14partition_implILS5_9ELb0ES3_jPlS8_PNS0_10empty_typeENS0_5tupleIJS8_S9_EEENSB_IJS8_SA_EEENS0_18inequality_wrapperIZN2at6native12_GLOBAL__N_124unique_dim_cuda_templateIjEESt5tupleIJNSF_6TensorESK_SK_EERKSK_lbbbEUlllE0_EEPmJS9_EEE10hipError_tPvRmT3_T4_T5_T6_T7_T9_mT8_P12ihipStream_tbDpT10_ENKUlT_T0_E_clISt17integral_constantIbLb1EES1A_EEDaS15_S16_EUlS15_E_NS1_11comp_targetILNS1_3genE9ELNS1_11target_archE1100ELNS1_3gpuE3ELNS1_3repE0EEENS1_30default_config_static_selectorELNS0_4arch9wavefront6targetE0EEEvT1_,@function
_ZN7rocprim17ROCPRIM_400000_NS6detail17trampoline_kernelINS0_14default_configENS1_25partition_config_selectorILNS1_17partition_subalgoE9EllbEEZZNS1_14partition_implILS5_9ELb0ES3_jPlS8_PNS0_10empty_typeENS0_5tupleIJS8_S9_EEENSB_IJS8_SA_EEENS0_18inequality_wrapperIZN2at6native12_GLOBAL__N_124unique_dim_cuda_templateIjEESt5tupleIJNSF_6TensorESK_SK_EERKSK_lbbbEUlllE0_EEPmJS9_EEE10hipError_tPvRmT3_T4_T5_T6_T7_T9_mT8_P12ihipStream_tbDpT10_ENKUlT_T0_E_clISt17integral_constantIbLb1EES1A_EEDaS15_S16_EUlS15_E_NS1_11comp_targetILNS1_3genE9ELNS1_11target_archE1100ELNS1_3gpuE3ELNS1_3repE0EEENS1_30default_config_static_selectorELNS0_4arch9wavefront6targetE0EEEvT1_: ; @_ZN7rocprim17ROCPRIM_400000_NS6detail17trampoline_kernelINS0_14default_configENS1_25partition_config_selectorILNS1_17partition_subalgoE9EllbEEZZNS1_14partition_implILS5_9ELb0ES3_jPlS8_PNS0_10empty_typeENS0_5tupleIJS8_S9_EEENSB_IJS8_SA_EEENS0_18inequality_wrapperIZN2at6native12_GLOBAL__N_124unique_dim_cuda_templateIjEESt5tupleIJNSF_6TensorESK_SK_EERKSK_lbbbEUlllE0_EEPmJS9_EEE10hipError_tPvRmT3_T4_T5_T6_T7_T9_mT8_P12ihipStream_tbDpT10_ENKUlT_T0_E_clISt17integral_constantIbLb1EES1A_EEDaS15_S16_EUlS15_E_NS1_11comp_targetILNS1_3genE9ELNS1_11target_archE1100ELNS1_3gpuE3ELNS1_3repE0EEENS1_30default_config_static_selectorELNS0_4arch9wavefront6targetE0EEEvT1_
; %bb.0:
	.section	.rodata,"a",@progbits
	.p2align	6, 0x0
	.amdhsa_kernel _ZN7rocprim17ROCPRIM_400000_NS6detail17trampoline_kernelINS0_14default_configENS1_25partition_config_selectorILNS1_17partition_subalgoE9EllbEEZZNS1_14partition_implILS5_9ELb0ES3_jPlS8_PNS0_10empty_typeENS0_5tupleIJS8_S9_EEENSB_IJS8_SA_EEENS0_18inequality_wrapperIZN2at6native12_GLOBAL__N_124unique_dim_cuda_templateIjEESt5tupleIJNSF_6TensorESK_SK_EERKSK_lbbbEUlllE0_EEPmJS9_EEE10hipError_tPvRmT3_T4_T5_T6_T7_T9_mT8_P12ihipStream_tbDpT10_ENKUlT_T0_E_clISt17integral_constantIbLb1EES1A_EEDaS15_S16_EUlS15_E_NS1_11comp_targetILNS1_3genE9ELNS1_11target_archE1100ELNS1_3gpuE3ELNS1_3repE0EEENS1_30default_config_static_selectorELNS0_4arch9wavefront6targetE0EEEvT1_
		.amdhsa_group_segment_fixed_size 0
		.amdhsa_private_segment_fixed_size 0
		.amdhsa_kernarg_size 136
		.amdhsa_user_sgpr_count 2
		.amdhsa_user_sgpr_dispatch_ptr 0
		.amdhsa_user_sgpr_queue_ptr 0
		.amdhsa_user_sgpr_kernarg_segment_ptr 1
		.amdhsa_user_sgpr_dispatch_id 0
		.amdhsa_user_sgpr_kernarg_preload_length 0
		.amdhsa_user_sgpr_kernarg_preload_offset 0
		.amdhsa_user_sgpr_private_segment_size 0
		.amdhsa_wavefront_size32 1
		.amdhsa_uses_dynamic_stack 0
		.amdhsa_enable_private_segment 0
		.amdhsa_system_sgpr_workgroup_id_x 1
		.amdhsa_system_sgpr_workgroup_id_y 0
		.amdhsa_system_sgpr_workgroup_id_z 0
		.amdhsa_system_sgpr_workgroup_info 0
		.amdhsa_system_vgpr_workitem_id 0
		.amdhsa_next_free_vgpr 1
		.amdhsa_next_free_sgpr 1
		.amdhsa_named_barrier_count 0
		.amdhsa_reserve_vcc 0
		.amdhsa_float_round_mode_32 0
		.amdhsa_float_round_mode_16_64 0
		.amdhsa_float_denorm_mode_32 3
		.amdhsa_float_denorm_mode_16_64 3
		.amdhsa_fp16_overflow 0
		.amdhsa_memory_ordered 1
		.amdhsa_forward_progress 1
		.amdhsa_inst_pref_size 0
		.amdhsa_round_robin_scheduling 0
		.amdhsa_exception_fp_ieee_invalid_op 0
		.amdhsa_exception_fp_denorm_src 0
		.amdhsa_exception_fp_ieee_div_zero 0
		.amdhsa_exception_fp_ieee_overflow 0
		.amdhsa_exception_fp_ieee_underflow 0
		.amdhsa_exception_fp_ieee_inexact 0
		.amdhsa_exception_int_div_zero 0
	.end_amdhsa_kernel
	.section	.text._ZN7rocprim17ROCPRIM_400000_NS6detail17trampoline_kernelINS0_14default_configENS1_25partition_config_selectorILNS1_17partition_subalgoE9EllbEEZZNS1_14partition_implILS5_9ELb0ES3_jPlS8_PNS0_10empty_typeENS0_5tupleIJS8_S9_EEENSB_IJS8_SA_EEENS0_18inequality_wrapperIZN2at6native12_GLOBAL__N_124unique_dim_cuda_templateIjEESt5tupleIJNSF_6TensorESK_SK_EERKSK_lbbbEUlllE0_EEPmJS9_EEE10hipError_tPvRmT3_T4_T5_T6_T7_T9_mT8_P12ihipStream_tbDpT10_ENKUlT_T0_E_clISt17integral_constantIbLb1EES1A_EEDaS15_S16_EUlS15_E_NS1_11comp_targetILNS1_3genE9ELNS1_11target_archE1100ELNS1_3gpuE3ELNS1_3repE0EEENS1_30default_config_static_selectorELNS0_4arch9wavefront6targetE0EEEvT1_,"axG",@progbits,_ZN7rocprim17ROCPRIM_400000_NS6detail17trampoline_kernelINS0_14default_configENS1_25partition_config_selectorILNS1_17partition_subalgoE9EllbEEZZNS1_14partition_implILS5_9ELb0ES3_jPlS8_PNS0_10empty_typeENS0_5tupleIJS8_S9_EEENSB_IJS8_SA_EEENS0_18inequality_wrapperIZN2at6native12_GLOBAL__N_124unique_dim_cuda_templateIjEESt5tupleIJNSF_6TensorESK_SK_EERKSK_lbbbEUlllE0_EEPmJS9_EEE10hipError_tPvRmT3_T4_T5_T6_T7_T9_mT8_P12ihipStream_tbDpT10_ENKUlT_T0_E_clISt17integral_constantIbLb1EES1A_EEDaS15_S16_EUlS15_E_NS1_11comp_targetILNS1_3genE9ELNS1_11target_archE1100ELNS1_3gpuE3ELNS1_3repE0EEENS1_30default_config_static_selectorELNS0_4arch9wavefront6targetE0EEEvT1_,comdat
.Lfunc_end1587:
	.size	_ZN7rocprim17ROCPRIM_400000_NS6detail17trampoline_kernelINS0_14default_configENS1_25partition_config_selectorILNS1_17partition_subalgoE9EllbEEZZNS1_14partition_implILS5_9ELb0ES3_jPlS8_PNS0_10empty_typeENS0_5tupleIJS8_S9_EEENSB_IJS8_SA_EEENS0_18inequality_wrapperIZN2at6native12_GLOBAL__N_124unique_dim_cuda_templateIjEESt5tupleIJNSF_6TensorESK_SK_EERKSK_lbbbEUlllE0_EEPmJS9_EEE10hipError_tPvRmT3_T4_T5_T6_T7_T9_mT8_P12ihipStream_tbDpT10_ENKUlT_T0_E_clISt17integral_constantIbLb1EES1A_EEDaS15_S16_EUlS15_E_NS1_11comp_targetILNS1_3genE9ELNS1_11target_archE1100ELNS1_3gpuE3ELNS1_3repE0EEENS1_30default_config_static_selectorELNS0_4arch9wavefront6targetE0EEEvT1_, .Lfunc_end1587-_ZN7rocprim17ROCPRIM_400000_NS6detail17trampoline_kernelINS0_14default_configENS1_25partition_config_selectorILNS1_17partition_subalgoE9EllbEEZZNS1_14partition_implILS5_9ELb0ES3_jPlS8_PNS0_10empty_typeENS0_5tupleIJS8_S9_EEENSB_IJS8_SA_EEENS0_18inequality_wrapperIZN2at6native12_GLOBAL__N_124unique_dim_cuda_templateIjEESt5tupleIJNSF_6TensorESK_SK_EERKSK_lbbbEUlllE0_EEPmJS9_EEE10hipError_tPvRmT3_T4_T5_T6_T7_T9_mT8_P12ihipStream_tbDpT10_ENKUlT_T0_E_clISt17integral_constantIbLb1EES1A_EEDaS15_S16_EUlS15_E_NS1_11comp_targetILNS1_3genE9ELNS1_11target_archE1100ELNS1_3gpuE3ELNS1_3repE0EEENS1_30default_config_static_selectorELNS0_4arch9wavefront6targetE0EEEvT1_
                                        ; -- End function
	.set _ZN7rocprim17ROCPRIM_400000_NS6detail17trampoline_kernelINS0_14default_configENS1_25partition_config_selectorILNS1_17partition_subalgoE9EllbEEZZNS1_14partition_implILS5_9ELb0ES3_jPlS8_PNS0_10empty_typeENS0_5tupleIJS8_S9_EEENSB_IJS8_SA_EEENS0_18inequality_wrapperIZN2at6native12_GLOBAL__N_124unique_dim_cuda_templateIjEESt5tupleIJNSF_6TensorESK_SK_EERKSK_lbbbEUlllE0_EEPmJS9_EEE10hipError_tPvRmT3_T4_T5_T6_T7_T9_mT8_P12ihipStream_tbDpT10_ENKUlT_T0_E_clISt17integral_constantIbLb1EES1A_EEDaS15_S16_EUlS15_E_NS1_11comp_targetILNS1_3genE9ELNS1_11target_archE1100ELNS1_3gpuE3ELNS1_3repE0EEENS1_30default_config_static_selectorELNS0_4arch9wavefront6targetE0EEEvT1_.num_vgpr, 0
	.set _ZN7rocprim17ROCPRIM_400000_NS6detail17trampoline_kernelINS0_14default_configENS1_25partition_config_selectorILNS1_17partition_subalgoE9EllbEEZZNS1_14partition_implILS5_9ELb0ES3_jPlS8_PNS0_10empty_typeENS0_5tupleIJS8_S9_EEENSB_IJS8_SA_EEENS0_18inequality_wrapperIZN2at6native12_GLOBAL__N_124unique_dim_cuda_templateIjEESt5tupleIJNSF_6TensorESK_SK_EERKSK_lbbbEUlllE0_EEPmJS9_EEE10hipError_tPvRmT3_T4_T5_T6_T7_T9_mT8_P12ihipStream_tbDpT10_ENKUlT_T0_E_clISt17integral_constantIbLb1EES1A_EEDaS15_S16_EUlS15_E_NS1_11comp_targetILNS1_3genE9ELNS1_11target_archE1100ELNS1_3gpuE3ELNS1_3repE0EEENS1_30default_config_static_selectorELNS0_4arch9wavefront6targetE0EEEvT1_.num_agpr, 0
	.set _ZN7rocprim17ROCPRIM_400000_NS6detail17trampoline_kernelINS0_14default_configENS1_25partition_config_selectorILNS1_17partition_subalgoE9EllbEEZZNS1_14partition_implILS5_9ELb0ES3_jPlS8_PNS0_10empty_typeENS0_5tupleIJS8_S9_EEENSB_IJS8_SA_EEENS0_18inequality_wrapperIZN2at6native12_GLOBAL__N_124unique_dim_cuda_templateIjEESt5tupleIJNSF_6TensorESK_SK_EERKSK_lbbbEUlllE0_EEPmJS9_EEE10hipError_tPvRmT3_T4_T5_T6_T7_T9_mT8_P12ihipStream_tbDpT10_ENKUlT_T0_E_clISt17integral_constantIbLb1EES1A_EEDaS15_S16_EUlS15_E_NS1_11comp_targetILNS1_3genE9ELNS1_11target_archE1100ELNS1_3gpuE3ELNS1_3repE0EEENS1_30default_config_static_selectorELNS0_4arch9wavefront6targetE0EEEvT1_.numbered_sgpr, 0
	.set _ZN7rocprim17ROCPRIM_400000_NS6detail17trampoline_kernelINS0_14default_configENS1_25partition_config_selectorILNS1_17partition_subalgoE9EllbEEZZNS1_14partition_implILS5_9ELb0ES3_jPlS8_PNS0_10empty_typeENS0_5tupleIJS8_S9_EEENSB_IJS8_SA_EEENS0_18inequality_wrapperIZN2at6native12_GLOBAL__N_124unique_dim_cuda_templateIjEESt5tupleIJNSF_6TensorESK_SK_EERKSK_lbbbEUlllE0_EEPmJS9_EEE10hipError_tPvRmT3_T4_T5_T6_T7_T9_mT8_P12ihipStream_tbDpT10_ENKUlT_T0_E_clISt17integral_constantIbLb1EES1A_EEDaS15_S16_EUlS15_E_NS1_11comp_targetILNS1_3genE9ELNS1_11target_archE1100ELNS1_3gpuE3ELNS1_3repE0EEENS1_30default_config_static_selectorELNS0_4arch9wavefront6targetE0EEEvT1_.num_named_barrier, 0
	.set _ZN7rocprim17ROCPRIM_400000_NS6detail17trampoline_kernelINS0_14default_configENS1_25partition_config_selectorILNS1_17partition_subalgoE9EllbEEZZNS1_14partition_implILS5_9ELb0ES3_jPlS8_PNS0_10empty_typeENS0_5tupleIJS8_S9_EEENSB_IJS8_SA_EEENS0_18inequality_wrapperIZN2at6native12_GLOBAL__N_124unique_dim_cuda_templateIjEESt5tupleIJNSF_6TensorESK_SK_EERKSK_lbbbEUlllE0_EEPmJS9_EEE10hipError_tPvRmT3_T4_T5_T6_T7_T9_mT8_P12ihipStream_tbDpT10_ENKUlT_T0_E_clISt17integral_constantIbLb1EES1A_EEDaS15_S16_EUlS15_E_NS1_11comp_targetILNS1_3genE9ELNS1_11target_archE1100ELNS1_3gpuE3ELNS1_3repE0EEENS1_30default_config_static_selectorELNS0_4arch9wavefront6targetE0EEEvT1_.private_seg_size, 0
	.set _ZN7rocprim17ROCPRIM_400000_NS6detail17trampoline_kernelINS0_14default_configENS1_25partition_config_selectorILNS1_17partition_subalgoE9EllbEEZZNS1_14partition_implILS5_9ELb0ES3_jPlS8_PNS0_10empty_typeENS0_5tupleIJS8_S9_EEENSB_IJS8_SA_EEENS0_18inequality_wrapperIZN2at6native12_GLOBAL__N_124unique_dim_cuda_templateIjEESt5tupleIJNSF_6TensorESK_SK_EERKSK_lbbbEUlllE0_EEPmJS9_EEE10hipError_tPvRmT3_T4_T5_T6_T7_T9_mT8_P12ihipStream_tbDpT10_ENKUlT_T0_E_clISt17integral_constantIbLb1EES1A_EEDaS15_S16_EUlS15_E_NS1_11comp_targetILNS1_3genE9ELNS1_11target_archE1100ELNS1_3gpuE3ELNS1_3repE0EEENS1_30default_config_static_selectorELNS0_4arch9wavefront6targetE0EEEvT1_.uses_vcc, 0
	.set _ZN7rocprim17ROCPRIM_400000_NS6detail17trampoline_kernelINS0_14default_configENS1_25partition_config_selectorILNS1_17partition_subalgoE9EllbEEZZNS1_14partition_implILS5_9ELb0ES3_jPlS8_PNS0_10empty_typeENS0_5tupleIJS8_S9_EEENSB_IJS8_SA_EEENS0_18inequality_wrapperIZN2at6native12_GLOBAL__N_124unique_dim_cuda_templateIjEESt5tupleIJNSF_6TensorESK_SK_EERKSK_lbbbEUlllE0_EEPmJS9_EEE10hipError_tPvRmT3_T4_T5_T6_T7_T9_mT8_P12ihipStream_tbDpT10_ENKUlT_T0_E_clISt17integral_constantIbLb1EES1A_EEDaS15_S16_EUlS15_E_NS1_11comp_targetILNS1_3genE9ELNS1_11target_archE1100ELNS1_3gpuE3ELNS1_3repE0EEENS1_30default_config_static_selectorELNS0_4arch9wavefront6targetE0EEEvT1_.uses_flat_scratch, 0
	.set _ZN7rocprim17ROCPRIM_400000_NS6detail17trampoline_kernelINS0_14default_configENS1_25partition_config_selectorILNS1_17partition_subalgoE9EllbEEZZNS1_14partition_implILS5_9ELb0ES3_jPlS8_PNS0_10empty_typeENS0_5tupleIJS8_S9_EEENSB_IJS8_SA_EEENS0_18inequality_wrapperIZN2at6native12_GLOBAL__N_124unique_dim_cuda_templateIjEESt5tupleIJNSF_6TensorESK_SK_EERKSK_lbbbEUlllE0_EEPmJS9_EEE10hipError_tPvRmT3_T4_T5_T6_T7_T9_mT8_P12ihipStream_tbDpT10_ENKUlT_T0_E_clISt17integral_constantIbLb1EES1A_EEDaS15_S16_EUlS15_E_NS1_11comp_targetILNS1_3genE9ELNS1_11target_archE1100ELNS1_3gpuE3ELNS1_3repE0EEENS1_30default_config_static_selectorELNS0_4arch9wavefront6targetE0EEEvT1_.has_dyn_sized_stack, 0
	.set _ZN7rocprim17ROCPRIM_400000_NS6detail17trampoline_kernelINS0_14default_configENS1_25partition_config_selectorILNS1_17partition_subalgoE9EllbEEZZNS1_14partition_implILS5_9ELb0ES3_jPlS8_PNS0_10empty_typeENS0_5tupleIJS8_S9_EEENSB_IJS8_SA_EEENS0_18inequality_wrapperIZN2at6native12_GLOBAL__N_124unique_dim_cuda_templateIjEESt5tupleIJNSF_6TensorESK_SK_EERKSK_lbbbEUlllE0_EEPmJS9_EEE10hipError_tPvRmT3_T4_T5_T6_T7_T9_mT8_P12ihipStream_tbDpT10_ENKUlT_T0_E_clISt17integral_constantIbLb1EES1A_EEDaS15_S16_EUlS15_E_NS1_11comp_targetILNS1_3genE9ELNS1_11target_archE1100ELNS1_3gpuE3ELNS1_3repE0EEENS1_30default_config_static_selectorELNS0_4arch9wavefront6targetE0EEEvT1_.has_recursion, 0
	.set _ZN7rocprim17ROCPRIM_400000_NS6detail17trampoline_kernelINS0_14default_configENS1_25partition_config_selectorILNS1_17partition_subalgoE9EllbEEZZNS1_14partition_implILS5_9ELb0ES3_jPlS8_PNS0_10empty_typeENS0_5tupleIJS8_S9_EEENSB_IJS8_SA_EEENS0_18inequality_wrapperIZN2at6native12_GLOBAL__N_124unique_dim_cuda_templateIjEESt5tupleIJNSF_6TensorESK_SK_EERKSK_lbbbEUlllE0_EEPmJS9_EEE10hipError_tPvRmT3_T4_T5_T6_T7_T9_mT8_P12ihipStream_tbDpT10_ENKUlT_T0_E_clISt17integral_constantIbLb1EES1A_EEDaS15_S16_EUlS15_E_NS1_11comp_targetILNS1_3genE9ELNS1_11target_archE1100ELNS1_3gpuE3ELNS1_3repE0EEENS1_30default_config_static_selectorELNS0_4arch9wavefront6targetE0EEEvT1_.has_indirect_call, 0
	.section	.AMDGPU.csdata,"",@progbits
; Kernel info:
; codeLenInByte = 0
; TotalNumSgprs: 0
; NumVgprs: 0
; ScratchSize: 0
; MemoryBound: 0
; FloatMode: 240
; IeeeMode: 1
; LDSByteSize: 0 bytes/workgroup (compile time only)
; SGPRBlocks: 0
; VGPRBlocks: 0
; NumSGPRsForWavesPerEU: 1
; NumVGPRsForWavesPerEU: 1
; NamedBarCnt: 0
; Occupancy: 16
; WaveLimiterHint : 0
; COMPUTE_PGM_RSRC2:SCRATCH_EN: 0
; COMPUTE_PGM_RSRC2:USER_SGPR: 2
; COMPUTE_PGM_RSRC2:TRAP_HANDLER: 0
; COMPUTE_PGM_RSRC2:TGID_X_EN: 1
; COMPUTE_PGM_RSRC2:TGID_Y_EN: 0
; COMPUTE_PGM_RSRC2:TGID_Z_EN: 0
; COMPUTE_PGM_RSRC2:TIDIG_COMP_CNT: 0
	.section	.text._ZN7rocprim17ROCPRIM_400000_NS6detail17trampoline_kernelINS0_14default_configENS1_25partition_config_selectorILNS1_17partition_subalgoE9EllbEEZZNS1_14partition_implILS5_9ELb0ES3_jPlS8_PNS0_10empty_typeENS0_5tupleIJS8_S9_EEENSB_IJS8_SA_EEENS0_18inequality_wrapperIZN2at6native12_GLOBAL__N_124unique_dim_cuda_templateIjEESt5tupleIJNSF_6TensorESK_SK_EERKSK_lbbbEUlllE0_EEPmJS9_EEE10hipError_tPvRmT3_T4_T5_T6_T7_T9_mT8_P12ihipStream_tbDpT10_ENKUlT_T0_E_clISt17integral_constantIbLb1EES1A_EEDaS15_S16_EUlS15_E_NS1_11comp_targetILNS1_3genE8ELNS1_11target_archE1030ELNS1_3gpuE2ELNS1_3repE0EEENS1_30default_config_static_selectorELNS0_4arch9wavefront6targetE0EEEvT1_,"axG",@progbits,_ZN7rocprim17ROCPRIM_400000_NS6detail17trampoline_kernelINS0_14default_configENS1_25partition_config_selectorILNS1_17partition_subalgoE9EllbEEZZNS1_14partition_implILS5_9ELb0ES3_jPlS8_PNS0_10empty_typeENS0_5tupleIJS8_S9_EEENSB_IJS8_SA_EEENS0_18inequality_wrapperIZN2at6native12_GLOBAL__N_124unique_dim_cuda_templateIjEESt5tupleIJNSF_6TensorESK_SK_EERKSK_lbbbEUlllE0_EEPmJS9_EEE10hipError_tPvRmT3_T4_T5_T6_T7_T9_mT8_P12ihipStream_tbDpT10_ENKUlT_T0_E_clISt17integral_constantIbLb1EES1A_EEDaS15_S16_EUlS15_E_NS1_11comp_targetILNS1_3genE8ELNS1_11target_archE1030ELNS1_3gpuE2ELNS1_3repE0EEENS1_30default_config_static_selectorELNS0_4arch9wavefront6targetE0EEEvT1_,comdat
	.globl	_ZN7rocprim17ROCPRIM_400000_NS6detail17trampoline_kernelINS0_14default_configENS1_25partition_config_selectorILNS1_17partition_subalgoE9EllbEEZZNS1_14partition_implILS5_9ELb0ES3_jPlS8_PNS0_10empty_typeENS0_5tupleIJS8_S9_EEENSB_IJS8_SA_EEENS0_18inequality_wrapperIZN2at6native12_GLOBAL__N_124unique_dim_cuda_templateIjEESt5tupleIJNSF_6TensorESK_SK_EERKSK_lbbbEUlllE0_EEPmJS9_EEE10hipError_tPvRmT3_T4_T5_T6_T7_T9_mT8_P12ihipStream_tbDpT10_ENKUlT_T0_E_clISt17integral_constantIbLb1EES1A_EEDaS15_S16_EUlS15_E_NS1_11comp_targetILNS1_3genE8ELNS1_11target_archE1030ELNS1_3gpuE2ELNS1_3repE0EEENS1_30default_config_static_selectorELNS0_4arch9wavefront6targetE0EEEvT1_ ; -- Begin function _ZN7rocprim17ROCPRIM_400000_NS6detail17trampoline_kernelINS0_14default_configENS1_25partition_config_selectorILNS1_17partition_subalgoE9EllbEEZZNS1_14partition_implILS5_9ELb0ES3_jPlS8_PNS0_10empty_typeENS0_5tupleIJS8_S9_EEENSB_IJS8_SA_EEENS0_18inequality_wrapperIZN2at6native12_GLOBAL__N_124unique_dim_cuda_templateIjEESt5tupleIJNSF_6TensorESK_SK_EERKSK_lbbbEUlllE0_EEPmJS9_EEE10hipError_tPvRmT3_T4_T5_T6_T7_T9_mT8_P12ihipStream_tbDpT10_ENKUlT_T0_E_clISt17integral_constantIbLb1EES1A_EEDaS15_S16_EUlS15_E_NS1_11comp_targetILNS1_3genE8ELNS1_11target_archE1030ELNS1_3gpuE2ELNS1_3repE0EEENS1_30default_config_static_selectorELNS0_4arch9wavefront6targetE0EEEvT1_
	.p2align	8
	.type	_ZN7rocprim17ROCPRIM_400000_NS6detail17trampoline_kernelINS0_14default_configENS1_25partition_config_selectorILNS1_17partition_subalgoE9EllbEEZZNS1_14partition_implILS5_9ELb0ES3_jPlS8_PNS0_10empty_typeENS0_5tupleIJS8_S9_EEENSB_IJS8_SA_EEENS0_18inequality_wrapperIZN2at6native12_GLOBAL__N_124unique_dim_cuda_templateIjEESt5tupleIJNSF_6TensorESK_SK_EERKSK_lbbbEUlllE0_EEPmJS9_EEE10hipError_tPvRmT3_T4_T5_T6_T7_T9_mT8_P12ihipStream_tbDpT10_ENKUlT_T0_E_clISt17integral_constantIbLb1EES1A_EEDaS15_S16_EUlS15_E_NS1_11comp_targetILNS1_3genE8ELNS1_11target_archE1030ELNS1_3gpuE2ELNS1_3repE0EEENS1_30default_config_static_selectorELNS0_4arch9wavefront6targetE0EEEvT1_,@function
_ZN7rocprim17ROCPRIM_400000_NS6detail17trampoline_kernelINS0_14default_configENS1_25partition_config_selectorILNS1_17partition_subalgoE9EllbEEZZNS1_14partition_implILS5_9ELb0ES3_jPlS8_PNS0_10empty_typeENS0_5tupleIJS8_S9_EEENSB_IJS8_SA_EEENS0_18inequality_wrapperIZN2at6native12_GLOBAL__N_124unique_dim_cuda_templateIjEESt5tupleIJNSF_6TensorESK_SK_EERKSK_lbbbEUlllE0_EEPmJS9_EEE10hipError_tPvRmT3_T4_T5_T6_T7_T9_mT8_P12ihipStream_tbDpT10_ENKUlT_T0_E_clISt17integral_constantIbLb1EES1A_EEDaS15_S16_EUlS15_E_NS1_11comp_targetILNS1_3genE8ELNS1_11target_archE1030ELNS1_3gpuE2ELNS1_3repE0EEENS1_30default_config_static_selectorELNS0_4arch9wavefront6targetE0EEEvT1_: ; @_ZN7rocprim17ROCPRIM_400000_NS6detail17trampoline_kernelINS0_14default_configENS1_25partition_config_selectorILNS1_17partition_subalgoE9EllbEEZZNS1_14partition_implILS5_9ELb0ES3_jPlS8_PNS0_10empty_typeENS0_5tupleIJS8_S9_EEENSB_IJS8_SA_EEENS0_18inequality_wrapperIZN2at6native12_GLOBAL__N_124unique_dim_cuda_templateIjEESt5tupleIJNSF_6TensorESK_SK_EERKSK_lbbbEUlllE0_EEPmJS9_EEE10hipError_tPvRmT3_T4_T5_T6_T7_T9_mT8_P12ihipStream_tbDpT10_ENKUlT_T0_E_clISt17integral_constantIbLb1EES1A_EEDaS15_S16_EUlS15_E_NS1_11comp_targetILNS1_3genE8ELNS1_11target_archE1030ELNS1_3gpuE2ELNS1_3repE0EEENS1_30default_config_static_selectorELNS0_4arch9wavefront6targetE0EEEvT1_
; %bb.0:
	.section	.rodata,"a",@progbits
	.p2align	6, 0x0
	.amdhsa_kernel _ZN7rocprim17ROCPRIM_400000_NS6detail17trampoline_kernelINS0_14default_configENS1_25partition_config_selectorILNS1_17partition_subalgoE9EllbEEZZNS1_14partition_implILS5_9ELb0ES3_jPlS8_PNS0_10empty_typeENS0_5tupleIJS8_S9_EEENSB_IJS8_SA_EEENS0_18inequality_wrapperIZN2at6native12_GLOBAL__N_124unique_dim_cuda_templateIjEESt5tupleIJNSF_6TensorESK_SK_EERKSK_lbbbEUlllE0_EEPmJS9_EEE10hipError_tPvRmT3_T4_T5_T6_T7_T9_mT8_P12ihipStream_tbDpT10_ENKUlT_T0_E_clISt17integral_constantIbLb1EES1A_EEDaS15_S16_EUlS15_E_NS1_11comp_targetILNS1_3genE8ELNS1_11target_archE1030ELNS1_3gpuE2ELNS1_3repE0EEENS1_30default_config_static_selectorELNS0_4arch9wavefront6targetE0EEEvT1_
		.amdhsa_group_segment_fixed_size 0
		.amdhsa_private_segment_fixed_size 0
		.amdhsa_kernarg_size 136
		.amdhsa_user_sgpr_count 2
		.amdhsa_user_sgpr_dispatch_ptr 0
		.amdhsa_user_sgpr_queue_ptr 0
		.amdhsa_user_sgpr_kernarg_segment_ptr 1
		.amdhsa_user_sgpr_dispatch_id 0
		.amdhsa_user_sgpr_kernarg_preload_length 0
		.amdhsa_user_sgpr_kernarg_preload_offset 0
		.amdhsa_user_sgpr_private_segment_size 0
		.amdhsa_wavefront_size32 1
		.amdhsa_uses_dynamic_stack 0
		.amdhsa_enable_private_segment 0
		.amdhsa_system_sgpr_workgroup_id_x 1
		.amdhsa_system_sgpr_workgroup_id_y 0
		.amdhsa_system_sgpr_workgroup_id_z 0
		.amdhsa_system_sgpr_workgroup_info 0
		.amdhsa_system_vgpr_workitem_id 0
		.amdhsa_next_free_vgpr 1
		.amdhsa_next_free_sgpr 1
		.amdhsa_named_barrier_count 0
		.amdhsa_reserve_vcc 0
		.amdhsa_float_round_mode_32 0
		.amdhsa_float_round_mode_16_64 0
		.amdhsa_float_denorm_mode_32 3
		.amdhsa_float_denorm_mode_16_64 3
		.amdhsa_fp16_overflow 0
		.amdhsa_memory_ordered 1
		.amdhsa_forward_progress 1
		.amdhsa_inst_pref_size 0
		.amdhsa_round_robin_scheduling 0
		.amdhsa_exception_fp_ieee_invalid_op 0
		.amdhsa_exception_fp_denorm_src 0
		.amdhsa_exception_fp_ieee_div_zero 0
		.amdhsa_exception_fp_ieee_overflow 0
		.amdhsa_exception_fp_ieee_underflow 0
		.amdhsa_exception_fp_ieee_inexact 0
		.amdhsa_exception_int_div_zero 0
	.end_amdhsa_kernel
	.section	.text._ZN7rocprim17ROCPRIM_400000_NS6detail17trampoline_kernelINS0_14default_configENS1_25partition_config_selectorILNS1_17partition_subalgoE9EllbEEZZNS1_14partition_implILS5_9ELb0ES3_jPlS8_PNS0_10empty_typeENS0_5tupleIJS8_S9_EEENSB_IJS8_SA_EEENS0_18inequality_wrapperIZN2at6native12_GLOBAL__N_124unique_dim_cuda_templateIjEESt5tupleIJNSF_6TensorESK_SK_EERKSK_lbbbEUlllE0_EEPmJS9_EEE10hipError_tPvRmT3_T4_T5_T6_T7_T9_mT8_P12ihipStream_tbDpT10_ENKUlT_T0_E_clISt17integral_constantIbLb1EES1A_EEDaS15_S16_EUlS15_E_NS1_11comp_targetILNS1_3genE8ELNS1_11target_archE1030ELNS1_3gpuE2ELNS1_3repE0EEENS1_30default_config_static_selectorELNS0_4arch9wavefront6targetE0EEEvT1_,"axG",@progbits,_ZN7rocprim17ROCPRIM_400000_NS6detail17trampoline_kernelINS0_14default_configENS1_25partition_config_selectorILNS1_17partition_subalgoE9EllbEEZZNS1_14partition_implILS5_9ELb0ES3_jPlS8_PNS0_10empty_typeENS0_5tupleIJS8_S9_EEENSB_IJS8_SA_EEENS0_18inequality_wrapperIZN2at6native12_GLOBAL__N_124unique_dim_cuda_templateIjEESt5tupleIJNSF_6TensorESK_SK_EERKSK_lbbbEUlllE0_EEPmJS9_EEE10hipError_tPvRmT3_T4_T5_T6_T7_T9_mT8_P12ihipStream_tbDpT10_ENKUlT_T0_E_clISt17integral_constantIbLb1EES1A_EEDaS15_S16_EUlS15_E_NS1_11comp_targetILNS1_3genE8ELNS1_11target_archE1030ELNS1_3gpuE2ELNS1_3repE0EEENS1_30default_config_static_selectorELNS0_4arch9wavefront6targetE0EEEvT1_,comdat
.Lfunc_end1588:
	.size	_ZN7rocprim17ROCPRIM_400000_NS6detail17trampoline_kernelINS0_14default_configENS1_25partition_config_selectorILNS1_17partition_subalgoE9EllbEEZZNS1_14partition_implILS5_9ELb0ES3_jPlS8_PNS0_10empty_typeENS0_5tupleIJS8_S9_EEENSB_IJS8_SA_EEENS0_18inequality_wrapperIZN2at6native12_GLOBAL__N_124unique_dim_cuda_templateIjEESt5tupleIJNSF_6TensorESK_SK_EERKSK_lbbbEUlllE0_EEPmJS9_EEE10hipError_tPvRmT3_T4_T5_T6_T7_T9_mT8_P12ihipStream_tbDpT10_ENKUlT_T0_E_clISt17integral_constantIbLb1EES1A_EEDaS15_S16_EUlS15_E_NS1_11comp_targetILNS1_3genE8ELNS1_11target_archE1030ELNS1_3gpuE2ELNS1_3repE0EEENS1_30default_config_static_selectorELNS0_4arch9wavefront6targetE0EEEvT1_, .Lfunc_end1588-_ZN7rocprim17ROCPRIM_400000_NS6detail17trampoline_kernelINS0_14default_configENS1_25partition_config_selectorILNS1_17partition_subalgoE9EllbEEZZNS1_14partition_implILS5_9ELb0ES3_jPlS8_PNS0_10empty_typeENS0_5tupleIJS8_S9_EEENSB_IJS8_SA_EEENS0_18inequality_wrapperIZN2at6native12_GLOBAL__N_124unique_dim_cuda_templateIjEESt5tupleIJNSF_6TensorESK_SK_EERKSK_lbbbEUlllE0_EEPmJS9_EEE10hipError_tPvRmT3_T4_T5_T6_T7_T9_mT8_P12ihipStream_tbDpT10_ENKUlT_T0_E_clISt17integral_constantIbLb1EES1A_EEDaS15_S16_EUlS15_E_NS1_11comp_targetILNS1_3genE8ELNS1_11target_archE1030ELNS1_3gpuE2ELNS1_3repE0EEENS1_30default_config_static_selectorELNS0_4arch9wavefront6targetE0EEEvT1_
                                        ; -- End function
	.set _ZN7rocprim17ROCPRIM_400000_NS6detail17trampoline_kernelINS0_14default_configENS1_25partition_config_selectorILNS1_17partition_subalgoE9EllbEEZZNS1_14partition_implILS5_9ELb0ES3_jPlS8_PNS0_10empty_typeENS0_5tupleIJS8_S9_EEENSB_IJS8_SA_EEENS0_18inequality_wrapperIZN2at6native12_GLOBAL__N_124unique_dim_cuda_templateIjEESt5tupleIJNSF_6TensorESK_SK_EERKSK_lbbbEUlllE0_EEPmJS9_EEE10hipError_tPvRmT3_T4_T5_T6_T7_T9_mT8_P12ihipStream_tbDpT10_ENKUlT_T0_E_clISt17integral_constantIbLb1EES1A_EEDaS15_S16_EUlS15_E_NS1_11comp_targetILNS1_3genE8ELNS1_11target_archE1030ELNS1_3gpuE2ELNS1_3repE0EEENS1_30default_config_static_selectorELNS0_4arch9wavefront6targetE0EEEvT1_.num_vgpr, 0
	.set _ZN7rocprim17ROCPRIM_400000_NS6detail17trampoline_kernelINS0_14default_configENS1_25partition_config_selectorILNS1_17partition_subalgoE9EllbEEZZNS1_14partition_implILS5_9ELb0ES3_jPlS8_PNS0_10empty_typeENS0_5tupleIJS8_S9_EEENSB_IJS8_SA_EEENS0_18inequality_wrapperIZN2at6native12_GLOBAL__N_124unique_dim_cuda_templateIjEESt5tupleIJNSF_6TensorESK_SK_EERKSK_lbbbEUlllE0_EEPmJS9_EEE10hipError_tPvRmT3_T4_T5_T6_T7_T9_mT8_P12ihipStream_tbDpT10_ENKUlT_T0_E_clISt17integral_constantIbLb1EES1A_EEDaS15_S16_EUlS15_E_NS1_11comp_targetILNS1_3genE8ELNS1_11target_archE1030ELNS1_3gpuE2ELNS1_3repE0EEENS1_30default_config_static_selectorELNS0_4arch9wavefront6targetE0EEEvT1_.num_agpr, 0
	.set _ZN7rocprim17ROCPRIM_400000_NS6detail17trampoline_kernelINS0_14default_configENS1_25partition_config_selectorILNS1_17partition_subalgoE9EllbEEZZNS1_14partition_implILS5_9ELb0ES3_jPlS8_PNS0_10empty_typeENS0_5tupleIJS8_S9_EEENSB_IJS8_SA_EEENS0_18inequality_wrapperIZN2at6native12_GLOBAL__N_124unique_dim_cuda_templateIjEESt5tupleIJNSF_6TensorESK_SK_EERKSK_lbbbEUlllE0_EEPmJS9_EEE10hipError_tPvRmT3_T4_T5_T6_T7_T9_mT8_P12ihipStream_tbDpT10_ENKUlT_T0_E_clISt17integral_constantIbLb1EES1A_EEDaS15_S16_EUlS15_E_NS1_11comp_targetILNS1_3genE8ELNS1_11target_archE1030ELNS1_3gpuE2ELNS1_3repE0EEENS1_30default_config_static_selectorELNS0_4arch9wavefront6targetE0EEEvT1_.numbered_sgpr, 0
	.set _ZN7rocprim17ROCPRIM_400000_NS6detail17trampoline_kernelINS0_14default_configENS1_25partition_config_selectorILNS1_17partition_subalgoE9EllbEEZZNS1_14partition_implILS5_9ELb0ES3_jPlS8_PNS0_10empty_typeENS0_5tupleIJS8_S9_EEENSB_IJS8_SA_EEENS0_18inequality_wrapperIZN2at6native12_GLOBAL__N_124unique_dim_cuda_templateIjEESt5tupleIJNSF_6TensorESK_SK_EERKSK_lbbbEUlllE0_EEPmJS9_EEE10hipError_tPvRmT3_T4_T5_T6_T7_T9_mT8_P12ihipStream_tbDpT10_ENKUlT_T0_E_clISt17integral_constantIbLb1EES1A_EEDaS15_S16_EUlS15_E_NS1_11comp_targetILNS1_3genE8ELNS1_11target_archE1030ELNS1_3gpuE2ELNS1_3repE0EEENS1_30default_config_static_selectorELNS0_4arch9wavefront6targetE0EEEvT1_.num_named_barrier, 0
	.set _ZN7rocprim17ROCPRIM_400000_NS6detail17trampoline_kernelINS0_14default_configENS1_25partition_config_selectorILNS1_17partition_subalgoE9EllbEEZZNS1_14partition_implILS5_9ELb0ES3_jPlS8_PNS0_10empty_typeENS0_5tupleIJS8_S9_EEENSB_IJS8_SA_EEENS0_18inequality_wrapperIZN2at6native12_GLOBAL__N_124unique_dim_cuda_templateIjEESt5tupleIJNSF_6TensorESK_SK_EERKSK_lbbbEUlllE0_EEPmJS9_EEE10hipError_tPvRmT3_T4_T5_T6_T7_T9_mT8_P12ihipStream_tbDpT10_ENKUlT_T0_E_clISt17integral_constantIbLb1EES1A_EEDaS15_S16_EUlS15_E_NS1_11comp_targetILNS1_3genE8ELNS1_11target_archE1030ELNS1_3gpuE2ELNS1_3repE0EEENS1_30default_config_static_selectorELNS0_4arch9wavefront6targetE0EEEvT1_.private_seg_size, 0
	.set _ZN7rocprim17ROCPRIM_400000_NS6detail17trampoline_kernelINS0_14default_configENS1_25partition_config_selectorILNS1_17partition_subalgoE9EllbEEZZNS1_14partition_implILS5_9ELb0ES3_jPlS8_PNS0_10empty_typeENS0_5tupleIJS8_S9_EEENSB_IJS8_SA_EEENS0_18inequality_wrapperIZN2at6native12_GLOBAL__N_124unique_dim_cuda_templateIjEESt5tupleIJNSF_6TensorESK_SK_EERKSK_lbbbEUlllE0_EEPmJS9_EEE10hipError_tPvRmT3_T4_T5_T6_T7_T9_mT8_P12ihipStream_tbDpT10_ENKUlT_T0_E_clISt17integral_constantIbLb1EES1A_EEDaS15_S16_EUlS15_E_NS1_11comp_targetILNS1_3genE8ELNS1_11target_archE1030ELNS1_3gpuE2ELNS1_3repE0EEENS1_30default_config_static_selectorELNS0_4arch9wavefront6targetE0EEEvT1_.uses_vcc, 0
	.set _ZN7rocprim17ROCPRIM_400000_NS6detail17trampoline_kernelINS0_14default_configENS1_25partition_config_selectorILNS1_17partition_subalgoE9EllbEEZZNS1_14partition_implILS5_9ELb0ES3_jPlS8_PNS0_10empty_typeENS0_5tupleIJS8_S9_EEENSB_IJS8_SA_EEENS0_18inequality_wrapperIZN2at6native12_GLOBAL__N_124unique_dim_cuda_templateIjEESt5tupleIJNSF_6TensorESK_SK_EERKSK_lbbbEUlllE0_EEPmJS9_EEE10hipError_tPvRmT3_T4_T5_T6_T7_T9_mT8_P12ihipStream_tbDpT10_ENKUlT_T0_E_clISt17integral_constantIbLb1EES1A_EEDaS15_S16_EUlS15_E_NS1_11comp_targetILNS1_3genE8ELNS1_11target_archE1030ELNS1_3gpuE2ELNS1_3repE0EEENS1_30default_config_static_selectorELNS0_4arch9wavefront6targetE0EEEvT1_.uses_flat_scratch, 0
	.set _ZN7rocprim17ROCPRIM_400000_NS6detail17trampoline_kernelINS0_14default_configENS1_25partition_config_selectorILNS1_17partition_subalgoE9EllbEEZZNS1_14partition_implILS5_9ELb0ES3_jPlS8_PNS0_10empty_typeENS0_5tupleIJS8_S9_EEENSB_IJS8_SA_EEENS0_18inequality_wrapperIZN2at6native12_GLOBAL__N_124unique_dim_cuda_templateIjEESt5tupleIJNSF_6TensorESK_SK_EERKSK_lbbbEUlllE0_EEPmJS9_EEE10hipError_tPvRmT3_T4_T5_T6_T7_T9_mT8_P12ihipStream_tbDpT10_ENKUlT_T0_E_clISt17integral_constantIbLb1EES1A_EEDaS15_S16_EUlS15_E_NS1_11comp_targetILNS1_3genE8ELNS1_11target_archE1030ELNS1_3gpuE2ELNS1_3repE0EEENS1_30default_config_static_selectorELNS0_4arch9wavefront6targetE0EEEvT1_.has_dyn_sized_stack, 0
	.set _ZN7rocprim17ROCPRIM_400000_NS6detail17trampoline_kernelINS0_14default_configENS1_25partition_config_selectorILNS1_17partition_subalgoE9EllbEEZZNS1_14partition_implILS5_9ELb0ES3_jPlS8_PNS0_10empty_typeENS0_5tupleIJS8_S9_EEENSB_IJS8_SA_EEENS0_18inequality_wrapperIZN2at6native12_GLOBAL__N_124unique_dim_cuda_templateIjEESt5tupleIJNSF_6TensorESK_SK_EERKSK_lbbbEUlllE0_EEPmJS9_EEE10hipError_tPvRmT3_T4_T5_T6_T7_T9_mT8_P12ihipStream_tbDpT10_ENKUlT_T0_E_clISt17integral_constantIbLb1EES1A_EEDaS15_S16_EUlS15_E_NS1_11comp_targetILNS1_3genE8ELNS1_11target_archE1030ELNS1_3gpuE2ELNS1_3repE0EEENS1_30default_config_static_selectorELNS0_4arch9wavefront6targetE0EEEvT1_.has_recursion, 0
	.set _ZN7rocprim17ROCPRIM_400000_NS6detail17trampoline_kernelINS0_14default_configENS1_25partition_config_selectorILNS1_17partition_subalgoE9EllbEEZZNS1_14partition_implILS5_9ELb0ES3_jPlS8_PNS0_10empty_typeENS0_5tupleIJS8_S9_EEENSB_IJS8_SA_EEENS0_18inequality_wrapperIZN2at6native12_GLOBAL__N_124unique_dim_cuda_templateIjEESt5tupleIJNSF_6TensorESK_SK_EERKSK_lbbbEUlllE0_EEPmJS9_EEE10hipError_tPvRmT3_T4_T5_T6_T7_T9_mT8_P12ihipStream_tbDpT10_ENKUlT_T0_E_clISt17integral_constantIbLb1EES1A_EEDaS15_S16_EUlS15_E_NS1_11comp_targetILNS1_3genE8ELNS1_11target_archE1030ELNS1_3gpuE2ELNS1_3repE0EEENS1_30default_config_static_selectorELNS0_4arch9wavefront6targetE0EEEvT1_.has_indirect_call, 0
	.section	.AMDGPU.csdata,"",@progbits
; Kernel info:
; codeLenInByte = 0
; TotalNumSgprs: 0
; NumVgprs: 0
; ScratchSize: 0
; MemoryBound: 0
; FloatMode: 240
; IeeeMode: 1
; LDSByteSize: 0 bytes/workgroup (compile time only)
; SGPRBlocks: 0
; VGPRBlocks: 0
; NumSGPRsForWavesPerEU: 1
; NumVGPRsForWavesPerEU: 1
; NamedBarCnt: 0
; Occupancy: 16
; WaveLimiterHint : 0
; COMPUTE_PGM_RSRC2:SCRATCH_EN: 0
; COMPUTE_PGM_RSRC2:USER_SGPR: 2
; COMPUTE_PGM_RSRC2:TRAP_HANDLER: 0
; COMPUTE_PGM_RSRC2:TGID_X_EN: 1
; COMPUTE_PGM_RSRC2:TGID_Y_EN: 0
; COMPUTE_PGM_RSRC2:TGID_Z_EN: 0
; COMPUTE_PGM_RSRC2:TIDIG_COMP_CNT: 0
	.section	.text._ZN7rocprim17ROCPRIM_400000_NS6detail17trampoline_kernelINS0_14default_configENS1_25partition_config_selectorILNS1_17partition_subalgoE9EllbEEZZNS1_14partition_implILS5_9ELb0ES3_jPlS8_PNS0_10empty_typeENS0_5tupleIJS8_S9_EEENSB_IJS8_SA_EEENS0_18inequality_wrapperIZN2at6native12_GLOBAL__N_124unique_dim_cuda_templateIjEESt5tupleIJNSF_6TensorESK_SK_EERKSK_lbbbEUlllE0_EEPmJS9_EEE10hipError_tPvRmT3_T4_T5_T6_T7_T9_mT8_P12ihipStream_tbDpT10_ENKUlT_T0_E_clISt17integral_constantIbLb1EES19_IbLb0EEEEDaS15_S16_EUlS15_E_NS1_11comp_targetILNS1_3genE0ELNS1_11target_archE4294967295ELNS1_3gpuE0ELNS1_3repE0EEENS1_30default_config_static_selectorELNS0_4arch9wavefront6targetE0EEEvT1_,"axG",@progbits,_ZN7rocprim17ROCPRIM_400000_NS6detail17trampoline_kernelINS0_14default_configENS1_25partition_config_selectorILNS1_17partition_subalgoE9EllbEEZZNS1_14partition_implILS5_9ELb0ES3_jPlS8_PNS0_10empty_typeENS0_5tupleIJS8_S9_EEENSB_IJS8_SA_EEENS0_18inequality_wrapperIZN2at6native12_GLOBAL__N_124unique_dim_cuda_templateIjEESt5tupleIJNSF_6TensorESK_SK_EERKSK_lbbbEUlllE0_EEPmJS9_EEE10hipError_tPvRmT3_T4_T5_T6_T7_T9_mT8_P12ihipStream_tbDpT10_ENKUlT_T0_E_clISt17integral_constantIbLb1EES19_IbLb0EEEEDaS15_S16_EUlS15_E_NS1_11comp_targetILNS1_3genE0ELNS1_11target_archE4294967295ELNS1_3gpuE0ELNS1_3repE0EEENS1_30default_config_static_selectorELNS0_4arch9wavefront6targetE0EEEvT1_,comdat
	.globl	_ZN7rocprim17ROCPRIM_400000_NS6detail17trampoline_kernelINS0_14default_configENS1_25partition_config_selectorILNS1_17partition_subalgoE9EllbEEZZNS1_14partition_implILS5_9ELb0ES3_jPlS8_PNS0_10empty_typeENS0_5tupleIJS8_S9_EEENSB_IJS8_SA_EEENS0_18inequality_wrapperIZN2at6native12_GLOBAL__N_124unique_dim_cuda_templateIjEESt5tupleIJNSF_6TensorESK_SK_EERKSK_lbbbEUlllE0_EEPmJS9_EEE10hipError_tPvRmT3_T4_T5_T6_T7_T9_mT8_P12ihipStream_tbDpT10_ENKUlT_T0_E_clISt17integral_constantIbLb1EES19_IbLb0EEEEDaS15_S16_EUlS15_E_NS1_11comp_targetILNS1_3genE0ELNS1_11target_archE4294967295ELNS1_3gpuE0ELNS1_3repE0EEENS1_30default_config_static_selectorELNS0_4arch9wavefront6targetE0EEEvT1_ ; -- Begin function _ZN7rocprim17ROCPRIM_400000_NS6detail17trampoline_kernelINS0_14default_configENS1_25partition_config_selectorILNS1_17partition_subalgoE9EllbEEZZNS1_14partition_implILS5_9ELb0ES3_jPlS8_PNS0_10empty_typeENS0_5tupleIJS8_S9_EEENSB_IJS8_SA_EEENS0_18inequality_wrapperIZN2at6native12_GLOBAL__N_124unique_dim_cuda_templateIjEESt5tupleIJNSF_6TensorESK_SK_EERKSK_lbbbEUlllE0_EEPmJS9_EEE10hipError_tPvRmT3_T4_T5_T6_T7_T9_mT8_P12ihipStream_tbDpT10_ENKUlT_T0_E_clISt17integral_constantIbLb1EES19_IbLb0EEEEDaS15_S16_EUlS15_E_NS1_11comp_targetILNS1_3genE0ELNS1_11target_archE4294967295ELNS1_3gpuE0ELNS1_3repE0EEENS1_30default_config_static_selectorELNS0_4arch9wavefront6targetE0EEEvT1_
	.p2align	8
	.type	_ZN7rocprim17ROCPRIM_400000_NS6detail17trampoline_kernelINS0_14default_configENS1_25partition_config_selectorILNS1_17partition_subalgoE9EllbEEZZNS1_14partition_implILS5_9ELb0ES3_jPlS8_PNS0_10empty_typeENS0_5tupleIJS8_S9_EEENSB_IJS8_SA_EEENS0_18inequality_wrapperIZN2at6native12_GLOBAL__N_124unique_dim_cuda_templateIjEESt5tupleIJNSF_6TensorESK_SK_EERKSK_lbbbEUlllE0_EEPmJS9_EEE10hipError_tPvRmT3_T4_T5_T6_T7_T9_mT8_P12ihipStream_tbDpT10_ENKUlT_T0_E_clISt17integral_constantIbLb1EES19_IbLb0EEEEDaS15_S16_EUlS15_E_NS1_11comp_targetILNS1_3genE0ELNS1_11target_archE4294967295ELNS1_3gpuE0ELNS1_3repE0EEENS1_30default_config_static_selectorELNS0_4arch9wavefront6targetE0EEEvT1_,@function
_ZN7rocprim17ROCPRIM_400000_NS6detail17trampoline_kernelINS0_14default_configENS1_25partition_config_selectorILNS1_17partition_subalgoE9EllbEEZZNS1_14partition_implILS5_9ELb0ES3_jPlS8_PNS0_10empty_typeENS0_5tupleIJS8_S9_EEENSB_IJS8_SA_EEENS0_18inequality_wrapperIZN2at6native12_GLOBAL__N_124unique_dim_cuda_templateIjEESt5tupleIJNSF_6TensorESK_SK_EERKSK_lbbbEUlllE0_EEPmJS9_EEE10hipError_tPvRmT3_T4_T5_T6_T7_T9_mT8_P12ihipStream_tbDpT10_ENKUlT_T0_E_clISt17integral_constantIbLb1EES19_IbLb0EEEEDaS15_S16_EUlS15_E_NS1_11comp_targetILNS1_3genE0ELNS1_11target_archE4294967295ELNS1_3gpuE0ELNS1_3repE0EEENS1_30default_config_static_selectorELNS0_4arch9wavefront6targetE0EEEvT1_: ; @_ZN7rocprim17ROCPRIM_400000_NS6detail17trampoline_kernelINS0_14default_configENS1_25partition_config_selectorILNS1_17partition_subalgoE9EllbEEZZNS1_14partition_implILS5_9ELb0ES3_jPlS8_PNS0_10empty_typeENS0_5tupleIJS8_S9_EEENSB_IJS8_SA_EEENS0_18inequality_wrapperIZN2at6native12_GLOBAL__N_124unique_dim_cuda_templateIjEESt5tupleIJNSF_6TensorESK_SK_EERKSK_lbbbEUlllE0_EEPmJS9_EEE10hipError_tPvRmT3_T4_T5_T6_T7_T9_mT8_P12ihipStream_tbDpT10_ENKUlT_T0_E_clISt17integral_constantIbLb1EES19_IbLb0EEEEDaS15_S16_EUlS15_E_NS1_11comp_targetILNS1_3genE0ELNS1_11target_archE4294967295ELNS1_3gpuE0ELNS1_3repE0EEENS1_30default_config_static_selectorELNS0_4arch9wavefront6targetE0EEEvT1_
; %bb.0:
	s_endpgm
	.section	.rodata,"a",@progbits
	.p2align	6, 0x0
	.amdhsa_kernel _ZN7rocprim17ROCPRIM_400000_NS6detail17trampoline_kernelINS0_14default_configENS1_25partition_config_selectorILNS1_17partition_subalgoE9EllbEEZZNS1_14partition_implILS5_9ELb0ES3_jPlS8_PNS0_10empty_typeENS0_5tupleIJS8_S9_EEENSB_IJS8_SA_EEENS0_18inequality_wrapperIZN2at6native12_GLOBAL__N_124unique_dim_cuda_templateIjEESt5tupleIJNSF_6TensorESK_SK_EERKSK_lbbbEUlllE0_EEPmJS9_EEE10hipError_tPvRmT3_T4_T5_T6_T7_T9_mT8_P12ihipStream_tbDpT10_ENKUlT_T0_E_clISt17integral_constantIbLb1EES19_IbLb0EEEEDaS15_S16_EUlS15_E_NS1_11comp_targetILNS1_3genE0ELNS1_11target_archE4294967295ELNS1_3gpuE0ELNS1_3repE0EEENS1_30default_config_static_selectorELNS0_4arch9wavefront6targetE0EEEvT1_
		.amdhsa_group_segment_fixed_size 0
		.amdhsa_private_segment_fixed_size 0
		.amdhsa_kernarg_size 120
		.amdhsa_user_sgpr_count 2
		.amdhsa_user_sgpr_dispatch_ptr 0
		.amdhsa_user_sgpr_queue_ptr 0
		.amdhsa_user_sgpr_kernarg_segment_ptr 1
		.amdhsa_user_sgpr_dispatch_id 0
		.amdhsa_user_sgpr_kernarg_preload_length 0
		.amdhsa_user_sgpr_kernarg_preload_offset 0
		.amdhsa_user_sgpr_private_segment_size 0
		.amdhsa_wavefront_size32 1
		.amdhsa_uses_dynamic_stack 0
		.amdhsa_enable_private_segment 0
		.amdhsa_system_sgpr_workgroup_id_x 1
		.amdhsa_system_sgpr_workgroup_id_y 0
		.amdhsa_system_sgpr_workgroup_id_z 0
		.amdhsa_system_sgpr_workgroup_info 0
		.amdhsa_system_vgpr_workitem_id 0
		.amdhsa_next_free_vgpr 1
		.amdhsa_next_free_sgpr 1
		.amdhsa_named_barrier_count 0
		.amdhsa_reserve_vcc 0
		.amdhsa_float_round_mode_32 0
		.amdhsa_float_round_mode_16_64 0
		.amdhsa_float_denorm_mode_32 3
		.amdhsa_float_denorm_mode_16_64 3
		.amdhsa_fp16_overflow 0
		.amdhsa_memory_ordered 1
		.amdhsa_forward_progress 1
		.amdhsa_inst_pref_size 1
		.amdhsa_round_robin_scheduling 0
		.amdhsa_exception_fp_ieee_invalid_op 0
		.amdhsa_exception_fp_denorm_src 0
		.amdhsa_exception_fp_ieee_div_zero 0
		.amdhsa_exception_fp_ieee_overflow 0
		.amdhsa_exception_fp_ieee_underflow 0
		.amdhsa_exception_fp_ieee_inexact 0
		.amdhsa_exception_int_div_zero 0
	.end_amdhsa_kernel
	.section	.text._ZN7rocprim17ROCPRIM_400000_NS6detail17trampoline_kernelINS0_14default_configENS1_25partition_config_selectorILNS1_17partition_subalgoE9EllbEEZZNS1_14partition_implILS5_9ELb0ES3_jPlS8_PNS0_10empty_typeENS0_5tupleIJS8_S9_EEENSB_IJS8_SA_EEENS0_18inequality_wrapperIZN2at6native12_GLOBAL__N_124unique_dim_cuda_templateIjEESt5tupleIJNSF_6TensorESK_SK_EERKSK_lbbbEUlllE0_EEPmJS9_EEE10hipError_tPvRmT3_T4_T5_T6_T7_T9_mT8_P12ihipStream_tbDpT10_ENKUlT_T0_E_clISt17integral_constantIbLb1EES19_IbLb0EEEEDaS15_S16_EUlS15_E_NS1_11comp_targetILNS1_3genE0ELNS1_11target_archE4294967295ELNS1_3gpuE0ELNS1_3repE0EEENS1_30default_config_static_selectorELNS0_4arch9wavefront6targetE0EEEvT1_,"axG",@progbits,_ZN7rocprim17ROCPRIM_400000_NS6detail17trampoline_kernelINS0_14default_configENS1_25partition_config_selectorILNS1_17partition_subalgoE9EllbEEZZNS1_14partition_implILS5_9ELb0ES3_jPlS8_PNS0_10empty_typeENS0_5tupleIJS8_S9_EEENSB_IJS8_SA_EEENS0_18inequality_wrapperIZN2at6native12_GLOBAL__N_124unique_dim_cuda_templateIjEESt5tupleIJNSF_6TensorESK_SK_EERKSK_lbbbEUlllE0_EEPmJS9_EEE10hipError_tPvRmT3_T4_T5_T6_T7_T9_mT8_P12ihipStream_tbDpT10_ENKUlT_T0_E_clISt17integral_constantIbLb1EES19_IbLb0EEEEDaS15_S16_EUlS15_E_NS1_11comp_targetILNS1_3genE0ELNS1_11target_archE4294967295ELNS1_3gpuE0ELNS1_3repE0EEENS1_30default_config_static_selectorELNS0_4arch9wavefront6targetE0EEEvT1_,comdat
.Lfunc_end1589:
	.size	_ZN7rocprim17ROCPRIM_400000_NS6detail17trampoline_kernelINS0_14default_configENS1_25partition_config_selectorILNS1_17partition_subalgoE9EllbEEZZNS1_14partition_implILS5_9ELb0ES3_jPlS8_PNS0_10empty_typeENS0_5tupleIJS8_S9_EEENSB_IJS8_SA_EEENS0_18inequality_wrapperIZN2at6native12_GLOBAL__N_124unique_dim_cuda_templateIjEESt5tupleIJNSF_6TensorESK_SK_EERKSK_lbbbEUlllE0_EEPmJS9_EEE10hipError_tPvRmT3_T4_T5_T6_T7_T9_mT8_P12ihipStream_tbDpT10_ENKUlT_T0_E_clISt17integral_constantIbLb1EES19_IbLb0EEEEDaS15_S16_EUlS15_E_NS1_11comp_targetILNS1_3genE0ELNS1_11target_archE4294967295ELNS1_3gpuE0ELNS1_3repE0EEENS1_30default_config_static_selectorELNS0_4arch9wavefront6targetE0EEEvT1_, .Lfunc_end1589-_ZN7rocprim17ROCPRIM_400000_NS6detail17trampoline_kernelINS0_14default_configENS1_25partition_config_selectorILNS1_17partition_subalgoE9EllbEEZZNS1_14partition_implILS5_9ELb0ES3_jPlS8_PNS0_10empty_typeENS0_5tupleIJS8_S9_EEENSB_IJS8_SA_EEENS0_18inequality_wrapperIZN2at6native12_GLOBAL__N_124unique_dim_cuda_templateIjEESt5tupleIJNSF_6TensorESK_SK_EERKSK_lbbbEUlllE0_EEPmJS9_EEE10hipError_tPvRmT3_T4_T5_T6_T7_T9_mT8_P12ihipStream_tbDpT10_ENKUlT_T0_E_clISt17integral_constantIbLb1EES19_IbLb0EEEEDaS15_S16_EUlS15_E_NS1_11comp_targetILNS1_3genE0ELNS1_11target_archE4294967295ELNS1_3gpuE0ELNS1_3repE0EEENS1_30default_config_static_selectorELNS0_4arch9wavefront6targetE0EEEvT1_
                                        ; -- End function
	.set _ZN7rocprim17ROCPRIM_400000_NS6detail17trampoline_kernelINS0_14default_configENS1_25partition_config_selectorILNS1_17partition_subalgoE9EllbEEZZNS1_14partition_implILS5_9ELb0ES3_jPlS8_PNS0_10empty_typeENS0_5tupleIJS8_S9_EEENSB_IJS8_SA_EEENS0_18inequality_wrapperIZN2at6native12_GLOBAL__N_124unique_dim_cuda_templateIjEESt5tupleIJNSF_6TensorESK_SK_EERKSK_lbbbEUlllE0_EEPmJS9_EEE10hipError_tPvRmT3_T4_T5_T6_T7_T9_mT8_P12ihipStream_tbDpT10_ENKUlT_T0_E_clISt17integral_constantIbLb1EES19_IbLb0EEEEDaS15_S16_EUlS15_E_NS1_11comp_targetILNS1_3genE0ELNS1_11target_archE4294967295ELNS1_3gpuE0ELNS1_3repE0EEENS1_30default_config_static_selectorELNS0_4arch9wavefront6targetE0EEEvT1_.num_vgpr, 0
	.set _ZN7rocprim17ROCPRIM_400000_NS6detail17trampoline_kernelINS0_14default_configENS1_25partition_config_selectorILNS1_17partition_subalgoE9EllbEEZZNS1_14partition_implILS5_9ELb0ES3_jPlS8_PNS0_10empty_typeENS0_5tupleIJS8_S9_EEENSB_IJS8_SA_EEENS0_18inequality_wrapperIZN2at6native12_GLOBAL__N_124unique_dim_cuda_templateIjEESt5tupleIJNSF_6TensorESK_SK_EERKSK_lbbbEUlllE0_EEPmJS9_EEE10hipError_tPvRmT3_T4_T5_T6_T7_T9_mT8_P12ihipStream_tbDpT10_ENKUlT_T0_E_clISt17integral_constantIbLb1EES19_IbLb0EEEEDaS15_S16_EUlS15_E_NS1_11comp_targetILNS1_3genE0ELNS1_11target_archE4294967295ELNS1_3gpuE0ELNS1_3repE0EEENS1_30default_config_static_selectorELNS0_4arch9wavefront6targetE0EEEvT1_.num_agpr, 0
	.set _ZN7rocprim17ROCPRIM_400000_NS6detail17trampoline_kernelINS0_14default_configENS1_25partition_config_selectorILNS1_17partition_subalgoE9EllbEEZZNS1_14partition_implILS5_9ELb0ES3_jPlS8_PNS0_10empty_typeENS0_5tupleIJS8_S9_EEENSB_IJS8_SA_EEENS0_18inequality_wrapperIZN2at6native12_GLOBAL__N_124unique_dim_cuda_templateIjEESt5tupleIJNSF_6TensorESK_SK_EERKSK_lbbbEUlllE0_EEPmJS9_EEE10hipError_tPvRmT3_T4_T5_T6_T7_T9_mT8_P12ihipStream_tbDpT10_ENKUlT_T0_E_clISt17integral_constantIbLb1EES19_IbLb0EEEEDaS15_S16_EUlS15_E_NS1_11comp_targetILNS1_3genE0ELNS1_11target_archE4294967295ELNS1_3gpuE0ELNS1_3repE0EEENS1_30default_config_static_selectorELNS0_4arch9wavefront6targetE0EEEvT1_.numbered_sgpr, 0
	.set _ZN7rocprim17ROCPRIM_400000_NS6detail17trampoline_kernelINS0_14default_configENS1_25partition_config_selectorILNS1_17partition_subalgoE9EllbEEZZNS1_14partition_implILS5_9ELb0ES3_jPlS8_PNS0_10empty_typeENS0_5tupleIJS8_S9_EEENSB_IJS8_SA_EEENS0_18inequality_wrapperIZN2at6native12_GLOBAL__N_124unique_dim_cuda_templateIjEESt5tupleIJNSF_6TensorESK_SK_EERKSK_lbbbEUlllE0_EEPmJS9_EEE10hipError_tPvRmT3_T4_T5_T6_T7_T9_mT8_P12ihipStream_tbDpT10_ENKUlT_T0_E_clISt17integral_constantIbLb1EES19_IbLb0EEEEDaS15_S16_EUlS15_E_NS1_11comp_targetILNS1_3genE0ELNS1_11target_archE4294967295ELNS1_3gpuE0ELNS1_3repE0EEENS1_30default_config_static_selectorELNS0_4arch9wavefront6targetE0EEEvT1_.num_named_barrier, 0
	.set _ZN7rocprim17ROCPRIM_400000_NS6detail17trampoline_kernelINS0_14default_configENS1_25partition_config_selectorILNS1_17partition_subalgoE9EllbEEZZNS1_14partition_implILS5_9ELb0ES3_jPlS8_PNS0_10empty_typeENS0_5tupleIJS8_S9_EEENSB_IJS8_SA_EEENS0_18inequality_wrapperIZN2at6native12_GLOBAL__N_124unique_dim_cuda_templateIjEESt5tupleIJNSF_6TensorESK_SK_EERKSK_lbbbEUlllE0_EEPmJS9_EEE10hipError_tPvRmT3_T4_T5_T6_T7_T9_mT8_P12ihipStream_tbDpT10_ENKUlT_T0_E_clISt17integral_constantIbLb1EES19_IbLb0EEEEDaS15_S16_EUlS15_E_NS1_11comp_targetILNS1_3genE0ELNS1_11target_archE4294967295ELNS1_3gpuE0ELNS1_3repE0EEENS1_30default_config_static_selectorELNS0_4arch9wavefront6targetE0EEEvT1_.private_seg_size, 0
	.set _ZN7rocprim17ROCPRIM_400000_NS6detail17trampoline_kernelINS0_14default_configENS1_25partition_config_selectorILNS1_17partition_subalgoE9EllbEEZZNS1_14partition_implILS5_9ELb0ES3_jPlS8_PNS0_10empty_typeENS0_5tupleIJS8_S9_EEENSB_IJS8_SA_EEENS0_18inequality_wrapperIZN2at6native12_GLOBAL__N_124unique_dim_cuda_templateIjEESt5tupleIJNSF_6TensorESK_SK_EERKSK_lbbbEUlllE0_EEPmJS9_EEE10hipError_tPvRmT3_T4_T5_T6_T7_T9_mT8_P12ihipStream_tbDpT10_ENKUlT_T0_E_clISt17integral_constantIbLb1EES19_IbLb0EEEEDaS15_S16_EUlS15_E_NS1_11comp_targetILNS1_3genE0ELNS1_11target_archE4294967295ELNS1_3gpuE0ELNS1_3repE0EEENS1_30default_config_static_selectorELNS0_4arch9wavefront6targetE0EEEvT1_.uses_vcc, 0
	.set _ZN7rocprim17ROCPRIM_400000_NS6detail17trampoline_kernelINS0_14default_configENS1_25partition_config_selectorILNS1_17partition_subalgoE9EllbEEZZNS1_14partition_implILS5_9ELb0ES3_jPlS8_PNS0_10empty_typeENS0_5tupleIJS8_S9_EEENSB_IJS8_SA_EEENS0_18inequality_wrapperIZN2at6native12_GLOBAL__N_124unique_dim_cuda_templateIjEESt5tupleIJNSF_6TensorESK_SK_EERKSK_lbbbEUlllE0_EEPmJS9_EEE10hipError_tPvRmT3_T4_T5_T6_T7_T9_mT8_P12ihipStream_tbDpT10_ENKUlT_T0_E_clISt17integral_constantIbLb1EES19_IbLb0EEEEDaS15_S16_EUlS15_E_NS1_11comp_targetILNS1_3genE0ELNS1_11target_archE4294967295ELNS1_3gpuE0ELNS1_3repE0EEENS1_30default_config_static_selectorELNS0_4arch9wavefront6targetE0EEEvT1_.uses_flat_scratch, 0
	.set _ZN7rocprim17ROCPRIM_400000_NS6detail17trampoline_kernelINS0_14default_configENS1_25partition_config_selectorILNS1_17partition_subalgoE9EllbEEZZNS1_14partition_implILS5_9ELb0ES3_jPlS8_PNS0_10empty_typeENS0_5tupleIJS8_S9_EEENSB_IJS8_SA_EEENS0_18inequality_wrapperIZN2at6native12_GLOBAL__N_124unique_dim_cuda_templateIjEESt5tupleIJNSF_6TensorESK_SK_EERKSK_lbbbEUlllE0_EEPmJS9_EEE10hipError_tPvRmT3_T4_T5_T6_T7_T9_mT8_P12ihipStream_tbDpT10_ENKUlT_T0_E_clISt17integral_constantIbLb1EES19_IbLb0EEEEDaS15_S16_EUlS15_E_NS1_11comp_targetILNS1_3genE0ELNS1_11target_archE4294967295ELNS1_3gpuE0ELNS1_3repE0EEENS1_30default_config_static_selectorELNS0_4arch9wavefront6targetE0EEEvT1_.has_dyn_sized_stack, 0
	.set _ZN7rocprim17ROCPRIM_400000_NS6detail17trampoline_kernelINS0_14default_configENS1_25partition_config_selectorILNS1_17partition_subalgoE9EllbEEZZNS1_14partition_implILS5_9ELb0ES3_jPlS8_PNS0_10empty_typeENS0_5tupleIJS8_S9_EEENSB_IJS8_SA_EEENS0_18inequality_wrapperIZN2at6native12_GLOBAL__N_124unique_dim_cuda_templateIjEESt5tupleIJNSF_6TensorESK_SK_EERKSK_lbbbEUlllE0_EEPmJS9_EEE10hipError_tPvRmT3_T4_T5_T6_T7_T9_mT8_P12ihipStream_tbDpT10_ENKUlT_T0_E_clISt17integral_constantIbLb1EES19_IbLb0EEEEDaS15_S16_EUlS15_E_NS1_11comp_targetILNS1_3genE0ELNS1_11target_archE4294967295ELNS1_3gpuE0ELNS1_3repE0EEENS1_30default_config_static_selectorELNS0_4arch9wavefront6targetE0EEEvT1_.has_recursion, 0
	.set _ZN7rocprim17ROCPRIM_400000_NS6detail17trampoline_kernelINS0_14default_configENS1_25partition_config_selectorILNS1_17partition_subalgoE9EllbEEZZNS1_14partition_implILS5_9ELb0ES3_jPlS8_PNS0_10empty_typeENS0_5tupleIJS8_S9_EEENSB_IJS8_SA_EEENS0_18inequality_wrapperIZN2at6native12_GLOBAL__N_124unique_dim_cuda_templateIjEESt5tupleIJNSF_6TensorESK_SK_EERKSK_lbbbEUlllE0_EEPmJS9_EEE10hipError_tPvRmT3_T4_T5_T6_T7_T9_mT8_P12ihipStream_tbDpT10_ENKUlT_T0_E_clISt17integral_constantIbLb1EES19_IbLb0EEEEDaS15_S16_EUlS15_E_NS1_11comp_targetILNS1_3genE0ELNS1_11target_archE4294967295ELNS1_3gpuE0ELNS1_3repE0EEENS1_30default_config_static_selectorELNS0_4arch9wavefront6targetE0EEEvT1_.has_indirect_call, 0
	.section	.AMDGPU.csdata,"",@progbits
; Kernel info:
; codeLenInByte = 4
; TotalNumSgprs: 0
; NumVgprs: 0
; ScratchSize: 0
; MemoryBound: 0
; FloatMode: 240
; IeeeMode: 1
; LDSByteSize: 0 bytes/workgroup (compile time only)
; SGPRBlocks: 0
; VGPRBlocks: 0
; NumSGPRsForWavesPerEU: 1
; NumVGPRsForWavesPerEU: 1
; NamedBarCnt: 0
; Occupancy: 16
; WaveLimiterHint : 0
; COMPUTE_PGM_RSRC2:SCRATCH_EN: 0
; COMPUTE_PGM_RSRC2:USER_SGPR: 2
; COMPUTE_PGM_RSRC2:TRAP_HANDLER: 0
; COMPUTE_PGM_RSRC2:TGID_X_EN: 1
; COMPUTE_PGM_RSRC2:TGID_Y_EN: 0
; COMPUTE_PGM_RSRC2:TGID_Z_EN: 0
; COMPUTE_PGM_RSRC2:TIDIG_COMP_CNT: 0
	.section	.text._ZN7rocprim17ROCPRIM_400000_NS6detail17trampoline_kernelINS0_14default_configENS1_25partition_config_selectorILNS1_17partition_subalgoE9EllbEEZZNS1_14partition_implILS5_9ELb0ES3_jPlS8_PNS0_10empty_typeENS0_5tupleIJS8_S9_EEENSB_IJS8_SA_EEENS0_18inequality_wrapperIZN2at6native12_GLOBAL__N_124unique_dim_cuda_templateIjEESt5tupleIJNSF_6TensorESK_SK_EERKSK_lbbbEUlllE0_EEPmJS9_EEE10hipError_tPvRmT3_T4_T5_T6_T7_T9_mT8_P12ihipStream_tbDpT10_ENKUlT_T0_E_clISt17integral_constantIbLb1EES19_IbLb0EEEEDaS15_S16_EUlS15_E_NS1_11comp_targetILNS1_3genE5ELNS1_11target_archE942ELNS1_3gpuE9ELNS1_3repE0EEENS1_30default_config_static_selectorELNS0_4arch9wavefront6targetE0EEEvT1_,"axG",@progbits,_ZN7rocprim17ROCPRIM_400000_NS6detail17trampoline_kernelINS0_14default_configENS1_25partition_config_selectorILNS1_17partition_subalgoE9EllbEEZZNS1_14partition_implILS5_9ELb0ES3_jPlS8_PNS0_10empty_typeENS0_5tupleIJS8_S9_EEENSB_IJS8_SA_EEENS0_18inequality_wrapperIZN2at6native12_GLOBAL__N_124unique_dim_cuda_templateIjEESt5tupleIJNSF_6TensorESK_SK_EERKSK_lbbbEUlllE0_EEPmJS9_EEE10hipError_tPvRmT3_T4_T5_T6_T7_T9_mT8_P12ihipStream_tbDpT10_ENKUlT_T0_E_clISt17integral_constantIbLb1EES19_IbLb0EEEEDaS15_S16_EUlS15_E_NS1_11comp_targetILNS1_3genE5ELNS1_11target_archE942ELNS1_3gpuE9ELNS1_3repE0EEENS1_30default_config_static_selectorELNS0_4arch9wavefront6targetE0EEEvT1_,comdat
	.globl	_ZN7rocprim17ROCPRIM_400000_NS6detail17trampoline_kernelINS0_14default_configENS1_25partition_config_selectorILNS1_17partition_subalgoE9EllbEEZZNS1_14partition_implILS5_9ELb0ES3_jPlS8_PNS0_10empty_typeENS0_5tupleIJS8_S9_EEENSB_IJS8_SA_EEENS0_18inequality_wrapperIZN2at6native12_GLOBAL__N_124unique_dim_cuda_templateIjEESt5tupleIJNSF_6TensorESK_SK_EERKSK_lbbbEUlllE0_EEPmJS9_EEE10hipError_tPvRmT3_T4_T5_T6_T7_T9_mT8_P12ihipStream_tbDpT10_ENKUlT_T0_E_clISt17integral_constantIbLb1EES19_IbLb0EEEEDaS15_S16_EUlS15_E_NS1_11comp_targetILNS1_3genE5ELNS1_11target_archE942ELNS1_3gpuE9ELNS1_3repE0EEENS1_30default_config_static_selectorELNS0_4arch9wavefront6targetE0EEEvT1_ ; -- Begin function _ZN7rocprim17ROCPRIM_400000_NS6detail17trampoline_kernelINS0_14default_configENS1_25partition_config_selectorILNS1_17partition_subalgoE9EllbEEZZNS1_14partition_implILS5_9ELb0ES3_jPlS8_PNS0_10empty_typeENS0_5tupleIJS8_S9_EEENSB_IJS8_SA_EEENS0_18inequality_wrapperIZN2at6native12_GLOBAL__N_124unique_dim_cuda_templateIjEESt5tupleIJNSF_6TensorESK_SK_EERKSK_lbbbEUlllE0_EEPmJS9_EEE10hipError_tPvRmT3_T4_T5_T6_T7_T9_mT8_P12ihipStream_tbDpT10_ENKUlT_T0_E_clISt17integral_constantIbLb1EES19_IbLb0EEEEDaS15_S16_EUlS15_E_NS1_11comp_targetILNS1_3genE5ELNS1_11target_archE942ELNS1_3gpuE9ELNS1_3repE0EEENS1_30default_config_static_selectorELNS0_4arch9wavefront6targetE0EEEvT1_
	.p2align	8
	.type	_ZN7rocprim17ROCPRIM_400000_NS6detail17trampoline_kernelINS0_14default_configENS1_25partition_config_selectorILNS1_17partition_subalgoE9EllbEEZZNS1_14partition_implILS5_9ELb0ES3_jPlS8_PNS0_10empty_typeENS0_5tupleIJS8_S9_EEENSB_IJS8_SA_EEENS0_18inequality_wrapperIZN2at6native12_GLOBAL__N_124unique_dim_cuda_templateIjEESt5tupleIJNSF_6TensorESK_SK_EERKSK_lbbbEUlllE0_EEPmJS9_EEE10hipError_tPvRmT3_T4_T5_T6_T7_T9_mT8_P12ihipStream_tbDpT10_ENKUlT_T0_E_clISt17integral_constantIbLb1EES19_IbLb0EEEEDaS15_S16_EUlS15_E_NS1_11comp_targetILNS1_3genE5ELNS1_11target_archE942ELNS1_3gpuE9ELNS1_3repE0EEENS1_30default_config_static_selectorELNS0_4arch9wavefront6targetE0EEEvT1_,@function
_ZN7rocprim17ROCPRIM_400000_NS6detail17trampoline_kernelINS0_14default_configENS1_25partition_config_selectorILNS1_17partition_subalgoE9EllbEEZZNS1_14partition_implILS5_9ELb0ES3_jPlS8_PNS0_10empty_typeENS0_5tupleIJS8_S9_EEENSB_IJS8_SA_EEENS0_18inequality_wrapperIZN2at6native12_GLOBAL__N_124unique_dim_cuda_templateIjEESt5tupleIJNSF_6TensorESK_SK_EERKSK_lbbbEUlllE0_EEPmJS9_EEE10hipError_tPvRmT3_T4_T5_T6_T7_T9_mT8_P12ihipStream_tbDpT10_ENKUlT_T0_E_clISt17integral_constantIbLb1EES19_IbLb0EEEEDaS15_S16_EUlS15_E_NS1_11comp_targetILNS1_3genE5ELNS1_11target_archE942ELNS1_3gpuE9ELNS1_3repE0EEENS1_30default_config_static_selectorELNS0_4arch9wavefront6targetE0EEEvT1_: ; @_ZN7rocprim17ROCPRIM_400000_NS6detail17trampoline_kernelINS0_14default_configENS1_25partition_config_selectorILNS1_17partition_subalgoE9EllbEEZZNS1_14partition_implILS5_9ELb0ES3_jPlS8_PNS0_10empty_typeENS0_5tupleIJS8_S9_EEENSB_IJS8_SA_EEENS0_18inequality_wrapperIZN2at6native12_GLOBAL__N_124unique_dim_cuda_templateIjEESt5tupleIJNSF_6TensorESK_SK_EERKSK_lbbbEUlllE0_EEPmJS9_EEE10hipError_tPvRmT3_T4_T5_T6_T7_T9_mT8_P12ihipStream_tbDpT10_ENKUlT_T0_E_clISt17integral_constantIbLb1EES19_IbLb0EEEEDaS15_S16_EUlS15_E_NS1_11comp_targetILNS1_3genE5ELNS1_11target_archE942ELNS1_3gpuE9ELNS1_3repE0EEENS1_30default_config_static_selectorELNS0_4arch9wavefront6targetE0EEEvT1_
; %bb.0:
	.section	.rodata,"a",@progbits
	.p2align	6, 0x0
	.amdhsa_kernel _ZN7rocprim17ROCPRIM_400000_NS6detail17trampoline_kernelINS0_14default_configENS1_25partition_config_selectorILNS1_17partition_subalgoE9EllbEEZZNS1_14partition_implILS5_9ELb0ES3_jPlS8_PNS0_10empty_typeENS0_5tupleIJS8_S9_EEENSB_IJS8_SA_EEENS0_18inequality_wrapperIZN2at6native12_GLOBAL__N_124unique_dim_cuda_templateIjEESt5tupleIJNSF_6TensorESK_SK_EERKSK_lbbbEUlllE0_EEPmJS9_EEE10hipError_tPvRmT3_T4_T5_T6_T7_T9_mT8_P12ihipStream_tbDpT10_ENKUlT_T0_E_clISt17integral_constantIbLb1EES19_IbLb0EEEEDaS15_S16_EUlS15_E_NS1_11comp_targetILNS1_3genE5ELNS1_11target_archE942ELNS1_3gpuE9ELNS1_3repE0EEENS1_30default_config_static_selectorELNS0_4arch9wavefront6targetE0EEEvT1_
		.amdhsa_group_segment_fixed_size 0
		.amdhsa_private_segment_fixed_size 0
		.amdhsa_kernarg_size 120
		.amdhsa_user_sgpr_count 2
		.amdhsa_user_sgpr_dispatch_ptr 0
		.amdhsa_user_sgpr_queue_ptr 0
		.amdhsa_user_sgpr_kernarg_segment_ptr 1
		.amdhsa_user_sgpr_dispatch_id 0
		.amdhsa_user_sgpr_kernarg_preload_length 0
		.amdhsa_user_sgpr_kernarg_preload_offset 0
		.amdhsa_user_sgpr_private_segment_size 0
		.amdhsa_wavefront_size32 1
		.amdhsa_uses_dynamic_stack 0
		.amdhsa_enable_private_segment 0
		.amdhsa_system_sgpr_workgroup_id_x 1
		.amdhsa_system_sgpr_workgroup_id_y 0
		.amdhsa_system_sgpr_workgroup_id_z 0
		.amdhsa_system_sgpr_workgroup_info 0
		.amdhsa_system_vgpr_workitem_id 0
		.amdhsa_next_free_vgpr 1
		.amdhsa_next_free_sgpr 1
		.amdhsa_named_barrier_count 0
		.amdhsa_reserve_vcc 0
		.amdhsa_float_round_mode_32 0
		.amdhsa_float_round_mode_16_64 0
		.amdhsa_float_denorm_mode_32 3
		.amdhsa_float_denorm_mode_16_64 3
		.amdhsa_fp16_overflow 0
		.amdhsa_memory_ordered 1
		.amdhsa_forward_progress 1
		.amdhsa_inst_pref_size 0
		.amdhsa_round_robin_scheduling 0
		.amdhsa_exception_fp_ieee_invalid_op 0
		.amdhsa_exception_fp_denorm_src 0
		.amdhsa_exception_fp_ieee_div_zero 0
		.amdhsa_exception_fp_ieee_overflow 0
		.amdhsa_exception_fp_ieee_underflow 0
		.amdhsa_exception_fp_ieee_inexact 0
		.amdhsa_exception_int_div_zero 0
	.end_amdhsa_kernel
	.section	.text._ZN7rocprim17ROCPRIM_400000_NS6detail17trampoline_kernelINS0_14default_configENS1_25partition_config_selectorILNS1_17partition_subalgoE9EllbEEZZNS1_14partition_implILS5_9ELb0ES3_jPlS8_PNS0_10empty_typeENS0_5tupleIJS8_S9_EEENSB_IJS8_SA_EEENS0_18inequality_wrapperIZN2at6native12_GLOBAL__N_124unique_dim_cuda_templateIjEESt5tupleIJNSF_6TensorESK_SK_EERKSK_lbbbEUlllE0_EEPmJS9_EEE10hipError_tPvRmT3_T4_T5_T6_T7_T9_mT8_P12ihipStream_tbDpT10_ENKUlT_T0_E_clISt17integral_constantIbLb1EES19_IbLb0EEEEDaS15_S16_EUlS15_E_NS1_11comp_targetILNS1_3genE5ELNS1_11target_archE942ELNS1_3gpuE9ELNS1_3repE0EEENS1_30default_config_static_selectorELNS0_4arch9wavefront6targetE0EEEvT1_,"axG",@progbits,_ZN7rocprim17ROCPRIM_400000_NS6detail17trampoline_kernelINS0_14default_configENS1_25partition_config_selectorILNS1_17partition_subalgoE9EllbEEZZNS1_14partition_implILS5_9ELb0ES3_jPlS8_PNS0_10empty_typeENS0_5tupleIJS8_S9_EEENSB_IJS8_SA_EEENS0_18inequality_wrapperIZN2at6native12_GLOBAL__N_124unique_dim_cuda_templateIjEESt5tupleIJNSF_6TensorESK_SK_EERKSK_lbbbEUlllE0_EEPmJS9_EEE10hipError_tPvRmT3_T4_T5_T6_T7_T9_mT8_P12ihipStream_tbDpT10_ENKUlT_T0_E_clISt17integral_constantIbLb1EES19_IbLb0EEEEDaS15_S16_EUlS15_E_NS1_11comp_targetILNS1_3genE5ELNS1_11target_archE942ELNS1_3gpuE9ELNS1_3repE0EEENS1_30default_config_static_selectorELNS0_4arch9wavefront6targetE0EEEvT1_,comdat
.Lfunc_end1590:
	.size	_ZN7rocprim17ROCPRIM_400000_NS6detail17trampoline_kernelINS0_14default_configENS1_25partition_config_selectorILNS1_17partition_subalgoE9EllbEEZZNS1_14partition_implILS5_9ELb0ES3_jPlS8_PNS0_10empty_typeENS0_5tupleIJS8_S9_EEENSB_IJS8_SA_EEENS0_18inequality_wrapperIZN2at6native12_GLOBAL__N_124unique_dim_cuda_templateIjEESt5tupleIJNSF_6TensorESK_SK_EERKSK_lbbbEUlllE0_EEPmJS9_EEE10hipError_tPvRmT3_T4_T5_T6_T7_T9_mT8_P12ihipStream_tbDpT10_ENKUlT_T0_E_clISt17integral_constantIbLb1EES19_IbLb0EEEEDaS15_S16_EUlS15_E_NS1_11comp_targetILNS1_3genE5ELNS1_11target_archE942ELNS1_3gpuE9ELNS1_3repE0EEENS1_30default_config_static_selectorELNS0_4arch9wavefront6targetE0EEEvT1_, .Lfunc_end1590-_ZN7rocprim17ROCPRIM_400000_NS6detail17trampoline_kernelINS0_14default_configENS1_25partition_config_selectorILNS1_17partition_subalgoE9EllbEEZZNS1_14partition_implILS5_9ELb0ES3_jPlS8_PNS0_10empty_typeENS0_5tupleIJS8_S9_EEENSB_IJS8_SA_EEENS0_18inequality_wrapperIZN2at6native12_GLOBAL__N_124unique_dim_cuda_templateIjEESt5tupleIJNSF_6TensorESK_SK_EERKSK_lbbbEUlllE0_EEPmJS9_EEE10hipError_tPvRmT3_T4_T5_T6_T7_T9_mT8_P12ihipStream_tbDpT10_ENKUlT_T0_E_clISt17integral_constantIbLb1EES19_IbLb0EEEEDaS15_S16_EUlS15_E_NS1_11comp_targetILNS1_3genE5ELNS1_11target_archE942ELNS1_3gpuE9ELNS1_3repE0EEENS1_30default_config_static_selectorELNS0_4arch9wavefront6targetE0EEEvT1_
                                        ; -- End function
	.set _ZN7rocprim17ROCPRIM_400000_NS6detail17trampoline_kernelINS0_14default_configENS1_25partition_config_selectorILNS1_17partition_subalgoE9EllbEEZZNS1_14partition_implILS5_9ELb0ES3_jPlS8_PNS0_10empty_typeENS0_5tupleIJS8_S9_EEENSB_IJS8_SA_EEENS0_18inequality_wrapperIZN2at6native12_GLOBAL__N_124unique_dim_cuda_templateIjEESt5tupleIJNSF_6TensorESK_SK_EERKSK_lbbbEUlllE0_EEPmJS9_EEE10hipError_tPvRmT3_T4_T5_T6_T7_T9_mT8_P12ihipStream_tbDpT10_ENKUlT_T0_E_clISt17integral_constantIbLb1EES19_IbLb0EEEEDaS15_S16_EUlS15_E_NS1_11comp_targetILNS1_3genE5ELNS1_11target_archE942ELNS1_3gpuE9ELNS1_3repE0EEENS1_30default_config_static_selectorELNS0_4arch9wavefront6targetE0EEEvT1_.num_vgpr, 0
	.set _ZN7rocprim17ROCPRIM_400000_NS6detail17trampoline_kernelINS0_14default_configENS1_25partition_config_selectorILNS1_17partition_subalgoE9EllbEEZZNS1_14partition_implILS5_9ELb0ES3_jPlS8_PNS0_10empty_typeENS0_5tupleIJS8_S9_EEENSB_IJS8_SA_EEENS0_18inequality_wrapperIZN2at6native12_GLOBAL__N_124unique_dim_cuda_templateIjEESt5tupleIJNSF_6TensorESK_SK_EERKSK_lbbbEUlllE0_EEPmJS9_EEE10hipError_tPvRmT3_T4_T5_T6_T7_T9_mT8_P12ihipStream_tbDpT10_ENKUlT_T0_E_clISt17integral_constantIbLb1EES19_IbLb0EEEEDaS15_S16_EUlS15_E_NS1_11comp_targetILNS1_3genE5ELNS1_11target_archE942ELNS1_3gpuE9ELNS1_3repE0EEENS1_30default_config_static_selectorELNS0_4arch9wavefront6targetE0EEEvT1_.num_agpr, 0
	.set _ZN7rocprim17ROCPRIM_400000_NS6detail17trampoline_kernelINS0_14default_configENS1_25partition_config_selectorILNS1_17partition_subalgoE9EllbEEZZNS1_14partition_implILS5_9ELb0ES3_jPlS8_PNS0_10empty_typeENS0_5tupleIJS8_S9_EEENSB_IJS8_SA_EEENS0_18inequality_wrapperIZN2at6native12_GLOBAL__N_124unique_dim_cuda_templateIjEESt5tupleIJNSF_6TensorESK_SK_EERKSK_lbbbEUlllE0_EEPmJS9_EEE10hipError_tPvRmT3_T4_T5_T6_T7_T9_mT8_P12ihipStream_tbDpT10_ENKUlT_T0_E_clISt17integral_constantIbLb1EES19_IbLb0EEEEDaS15_S16_EUlS15_E_NS1_11comp_targetILNS1_3genE5ELNS1_11target_archE942ELNS1_3gpuE9ELNS1_3repE0EEENS1_30default_config_static_selectorELNS0_4arch9wavefront6targetE0EEEvT1_.numbered_sgpr, 0
	.set _ZN7rocprim17ROCPRIM_400000_NS6detail17trampoline_kernelINS0_14default_configENS1_25partition_config_selectorILNS1_17partition_subalgoE9EllbEEZZNS1_14partition_implILS5_9ELb0ES3_jPlS8_PNS0_10empty_typeENS0_5tupleIJS8_S9_EEENSB_IJS8_SA_EEENS0_18inequality_wrapperIZN2at6native12_GLOBAL__N_124unique_dim_cuda_templateIjEESt5tupleIJNSF_6TensorESK_SK_EERKSK_lbbbEUlllE0_EEPmJS9_EEE10hipError_tPvRmT3_T4_T5_T6_T7_T9_mT8_P12ihipStream_tbDpT10_ENKUlT_T0_E_clISt17integral_constantIbLb1EES19_IbLb0EEEEDaS15_S16_EUlS15_E_NS1_11comp_targetILNS1_3genE5ELNS1_11target_archE942ELNS1_3gpuE9ELNS1_3repE0EEENS1_30default_config_static_selectorELNS0_4arch9wavefront6targetE0EEEvT1_.num_named_barrier, 0
	.set _ZN7rocprim17ROCPRIM_400000_NS6detail17trampoline_kernelINS0_14default_configENS1_25partition_config_selectorILNS1_17partition_subalgoE9EllbEEZZNS1_14partition_implILS5_9ELb0ES3_jPlS8_PNS0_10empty_typeENS0_5tupleIJS8_S9_EEENSB_IJS8_SA_EEENS0_18inequality_wrapperIZN2at6native12_GLOBAL__N_124unique_dim_cuda_templateIjEESt5tupleIJNSF_6TensorESK_SK_EERKSK_lbbbEUlllE0_EEPmJS9_EEE10hipError_tPvRmT3_T4_T5_T6_T7_T9_mT8_P12ihipStream_tbDpT10_ENKUlT_T0_E_clISt17integral_constantIbLb1EES19_IbLb0EEEEDaS15_S16_EUlS15_E_NS1_11comp_targetILNS1_3genE5ELNS1_11target_archE942ELNS1_3gpuE9ELNS1_3repE0EEENS1_30default_config_static_selectorELNS0_4arch9wavefront6targetE0EEEvT1_.private_seg_size, 0
	.set _ZN7rocprim17ROCPRIM_400000_NS6detail17trampoline_kernelINS0_14default_configENS1_25partition_config_selectorILNS1_17partition_subalgoE9EllbEEZZNS1_14partition_implILS5_9ELb0ES3_jPlS8_PNS0_10empty_typeENS0_5tupleIJS8_S9_EEENSB_IJS8_SA_EEENS0_18inequality_wrapperIZN2at6native12_GLOBAL__N_124unique_dim_cuda_templateIjEESt5tupleIJNSF_6TensorESK_SK_EERKSK_lbbbEUlllE0_EEPmJS9_EEE10hipError_tPvRmT3_T4_T5_T6_T7_T9_mT8_P12ihipStream_tbDpT10_ENKUlT_T0_E_clISt17integral_constantIbLb1EES19_IbLb0EEEEDaS15_S16_EUlS15_E_NS1_11comp_targetILNS1_3genE5ELNS1_11target_archE942ELNS1_3gpuE9ELNS1_3repE0EEENS1_30default_config_static_selectorELNS0_4arch9wavefront6targetE0EEEvT1_.uses_vcc, 0
	.set _ZN7rocprim17ROCPRIM_400000_NS6detail17trampoline_kernelINS0_14default_configENS1_25partition_config_selectorILNS1_17partition_subalgoE9EllbEEZZNS1_14partition_implILS5_9ELb0ES3_jPlS8_PNS0_10empty_typeENS0_5tupleIJS8_S9_EEENSB_IJS8_SA_EEENS0_18inequality_wrapperIZN2at6native12_GLOBAL__N_124unique_dim_cuda_templateIjEESt5tupleIJNSF_6TensorESK_SK_EERKSK_lbbbEUlllE0_EEPmJS9_EEE10hipError_tPvRmT3_T4_T5_T6_T7_T9_mT8_P12ihipStream_tbDpT10_ENKUlT_T0_E_clISt17integral_constantIbLb1EES19_IbLb0EEEEDaS15_S16_EUlS15_E_NS1_11comp_targetILNS1_3genE5ELNS1_11target_archE942ELNS1_3gpuE9ELNS1_3repE0EEENS1_30default_config_static_selectorELNS0_4arch9wavefront6targetE0EEEvT1_.uses_flat_scratch, 0
	.set _ZN7rocprim17ROCPRIM_400000_NS6detail17trampoline_kernelINS0_14default_configENS1_25partition_config_selectorILNS1_17partition_subalgoE9EllbEEZZNS1_14partition_implILS5_9ELb0ES3_jPlS8_PNS0_10empty_typeENS0_5tupleIJS8_S9_EEENSB_IJS8_SA_EEENS0_18inequality_wrapperIZN2at6native12_GLOBAL__N_124unique_dim_cuda_templateIjEESt5tupleIJNSF_6TensorESK_SK_EERKSK_lbbbEUlllE0_EEPmJS9_EEE10hipError_tPvRmT3_T4_T5_T6_T7_T9_mT8_P12ihipStream_tbDpT10_ENKUlT_T0_E_clISt17integral_constantIbLb1EES19_IbLb0EEEEDaS15_S16_EUlS15_E_NS1_11comp_targetILNS1_3genE5ELNS1_11target_archE942ELNS1_3gpuE9ELNS1_3repE0EEENS1_30default_config_static_selectorELNS0_4arch9wavefront6targetE0EEEvT1_.has_dyn_sized_stack, 0
	.set _ZN7rocprim17ROCPRIM_400000_NS6detail17trampoline_kernelINS0_14default_configENS1_25partition_config_selectorILNS1_17partition_subalgoE9EllbEEZZNS1_14partition_implILS5_9ELb0ES3_jPlS8_PNS0_10empty_typeENS0_5tupleIJS8_S9_EEENSB_IJS8_SA_EEENS0_18inequality_wrapperIZN2at6native12_GLOBAL__N_124unique_dim_cuda_templateIjEESt5tupleIJNSF_6TensorESK_SK_EERKSK_lbbbEUlllE0_EEPmJS9_EEE10hipError_tPvRmT3_T4_T5_T6_T7_T9_mT8_P12ihipStream_tbDpT10_ENKUlT_T0_E_clISt17integral_constantIbLb1EES19_IbLb0EEEEDaS15_S16_EUlS15_E_NS1_11comp_targetILNS1_3genE5ELNS1_11target_archE942ELNS1_3gpuE9ELNS1_3repE0EEENS1_30default_config_static_selectorELNS0_4arch9wavefront6targetE0EEEvT1_.has_recursion, 0
	.set _ZN7rocprim17ROCPRIM_400000_NS6detail17trampoline_kernelINS0_14default_configENS1_25partition_config_selectorILNS1_17partition_subalgoE9EllbEEZZNS1_14partition_implILS5_9ELb0ES3_jPlS8_PNS0_10empty_typeENS0_5tupleIJS8_S9_EEENSB_IJS8_SA_EEENS0_18inequality_wrapperIZN2at6native12_GLOBAL__N_124unique_dim_cuda_templateIjEESt5tupleIJNSF_6TensorESK_SK_EERKSK_lbbbEUlllE0_EEPmJS9_EEE10hipError_tPvRmT3_T4_T5_T6_T7_T9_mT8_P12ihipStream_tbDpT10_ENKUlT_T0_E_clISt17integral_constantIbLb1EES19_IbLb0EEEEDaS15_S16_EUlS15_E_NS1_11comp_targetILNS1_3genE5ELNS1_11target_archE942ELNS1_3gpuE9ELNS1_3repE0EEENS1_30default_config_static_selectorELNS0_4arch9wavefront6targetE0EEEvT1_.has_indirect_call, 0
	.section	.AMDGPU.csdata,"",@progbits
; Kernel info:
; codeLenInByte = 0
; TotalNumSgprs: 0
; NumVgprs: 0
; ScratchSize: 0
; MemoryBound: 0
; FloatMode: 240
; IeeeMode: 1
; LDSByteSize: 0 bytes/workgroup (compile time only)
; SGPRBlocks: 0
; VGPRBlocks: 0
; NumSGPRsForWavesPerEU: 1
; NumVGPRsForWavesPerEU: 1
; NamedBarCnt: 0
; Occupancy: 16
; WaveLimiterHint : 0
; COMPUTE_PGM_RSRC2:SCRATCH_EN: 0
; COMPUTE_PGM_RSRC2:USER_SGPR: 2
; COMPUTE_PGM_RSRC2:TRAP_HANDLER: 0
; COMPUTE_PGM_RSRC2:TGID_X_EN: 1
; COMPUTE_PGM_RSRC2:TGID_Y_EN: 0
; COMPUTE_PGM_RSRC2:TGID_Z_EN: 0
; COMPUTE_PGM_RSRC2:TIDIG_COMP_CNT: 0
	.section	.text._ZN7rocprim17ROCPRIM_400000_NS6detail17trampoline_kernelINS0_14default_configENS1_25partition_config_selectorILNS1_17partition_subalgoE9EllbEEZZNS1_14partition_implILS5_9ELb0ES3_jPlS8_PNS0_10empty_typeENS0_5tupleIJS8_S9_EEENSB_IJS8_SA_EEENS0_18inequality_wrapperIZN2at6native12_GLOBAL__N_124unique_dim_cuda_templateIjEESt5tupleIJNSF_6TensorESK_SK_EERKSK_lbbbEUlllE0_EEPmJS9_EEE10hipError_tPvRmT3_T4_T5_T6_T7_T9_mT8_P12ihipStream_tbDpT10_ENKUlT_T0_E_clISt17integral_constantIbLb1EES19_IbLb0EEEEDaS15_S16_EUlS15_E_NS1_11comp_targetILNS1_3genE4ELNS1_11target_archE910ELNS1_3gpuE8ELNS1_3repE0EEENS1_30default_config_static_selectorELNS0_4arch9wavefront6targetE0EEEvT1_,"axG",@progbits,_ZN7rocprim17ROCPRIM_400000_NS6detail17trampoline_kernelINS0_14default_configENS1_25partition_config_selectorILNS1_17partition_subalgoE9EllbEEZZNS1_14partition_implILS5_9ELb0ES3_jPlS8_PNS0_10empty_typeENS0_5tupleIJS8_S9_EEENSB_IJS8_SA_EEENS0_18inequality_wrapperIZN2at6native12_GLOBAL__N_124unique_dim_cuda_templateIjEESt5tupleIJNSF_6TensorESK_SK_EERKSK_lbbbEUlllE0_EEPmJS9_EEE10hipError_tPvRmT3_T4_T5_T6_T7_T9_mT8_P12ihipStream_tbDpT10_ENKUlT_T0_E_clISt17integral_constantIbLb1EES19_IbLb0EEEEDaS15_S16_EUlS15_E_NS1_11comp_targetILNS1_3genE4ELNS1_11target_archE910ELNS1_3gpuE8ELNS1_3repE0EEENS1_30default_config_static_selectorELNS0_4arch9wavefront6targetE0EEEvT1_,comdat
	.globl	_ZN7rocprim17ROCPRIM_400000_NS6detail17trampoline_kernelINS0_14default_configENS1_25partition_config_selectorILNS1_17partition_subalgoE9EllbEEZZNS1_14partition_implILS5_9ELb0ES3_jPlS8_PNS0_10empty_typeENS0_5tupleIJS8_S9_EEENSB_IJS8_SA_EEENS0_18inequality_wrapperIZN2at6native12_GLOBAL__N_124unique_dim_cuda_templateIjEESt5tupleIJNSF_6TensorESK_SK_EERKSK_lbbbEUlllE0_EEPmJS9_EEE10hipError_tPvRmT3_T4_T5_T6_T7_T9_mT8_P12ihipStream_tbDpT10_ENKUlT_T0_E_clISt17integral_constantIbLb1EES19_IbLb0EEEEDaS15_S16_EUlS15_E_NS1_11comp_targetILNS1_3genE4ELNS1_11target_archE910ELNS1_3gpuE8ELNS1_3repE0EEENS1_30default_config_static_selectorELNS0_4arch9wavefront6targetE0EEEvT1_ ; -- Begin function _ZN7rocprim17ROCPRIM_400000_NS6detail17trampoline_kernelINS0_14default_configENS1_25partition_config_selectorILNS1_17partition_subalgoE9EllbEEZZNS1_14partition_implILS5_9ELb0ES3_jPlS8_PNS0_10empty_typeENS0_5tupleIJS8_S9_EEENSB_IJS8_SA_EEENS0_18inequality_wrapperIZN2at6native12_GLOBAL__N_124unique_dim_cuda_templateIjEESt5tupleIJNSF_6TensorESK_SK_EERKSK_lbbbEUlllE0_EEPmJS9_EEE10hipError_tPvRmT3_T4_T5_T6_T7_T9_mT8_P12ihipStream_tbDpT10_ENKUlT_T0_E_clISt17integral_constantIbLb1EES19_IbLb0EEEEDaS15_S16_EUlS15_E_NS1_11comp_targetILNS1_3genE4ELNS1_11target_archE910ELNS1_3gpuE8ELNS1_3repE0EEENS1_30default_config_static_selectorELNS0_4arch9wavefront6targetE0EEEvT1_
	.p2align	8
	.type	_ZN7rocprim17ROCPRIM_400000_NS6detail17trampoline_kernelINS0_14default_configENS1_25partition_config_selectorILNS1_17partition_subalgoE9EllbEEZZNS1_14partition_implILS5_9ELb0ES3_jPlS8_PNS0_10empty_typeENS0_5tupleIJS8_S9_EEENSB_IJS8_SA_EEENS0_18inequality_wrapperIZN2at6native12_GLOBAL__N_124unique_dim_cuda_templateIjEESt5tupleIJNSF_6TensorESK_SK_EERKSK_lbbbEUlllE0_EEPmJS9_EEE10hipError_tPvRmT3_T4_T5_T6_T7_T9_mT8_P12ihipStream_tbDpT10_ENKUlT_T0_E_clISt17integral_constantIbLb1EES19_IbLb0EEEEDaS15_S16_EUlS15_E_NS1_11comp_targetILNS1_3genE4ELNS1_11target_archE910ELNS1_3gpuE8ELNS1_3repE0EEENS1_30default_config_static_selectorELNS0_4arch9wavefront6targetE0EEEvT1_,@function
_ZN7rocprim17ROCPRIM_400000_NS6detail17trampoline_kernelINS0_14default_configENS1_25partition_config_selectorILNS1_17partition_subalgoE9EllbEEZZNS1_14partition_implILS5_9ELb0ES3_jPlS8_PNS0_10empty_typeENS0_5tupleIJS8_S9_EEENSB_IJS8_SA_EEENS0_18inequality_wrapperIZN2at6native12_GLOBAL__N_124unique_dim_cuda_templateIjEESt5tupleIJNSF_6TensorESK_SK_EERKSK_lbbbEUlllE0_EEPmJS9_EEE10hipError_tPvRmT3_T4_T5_T6_T7_T9_mT8_P12ihipStream_tbDpT10_ENKUlT_T0_E_clISt17integral_constantIbLb1EES19_IbLb0EEEEDaS15_S16_EUlS15_E_NS1_11comp_targetILNS1_3genE4ELNS1_11target_archE910ELNS1_3gpuE8ELNS1_3repE0EEENS1_30default_config_static_selectorELNS0_4arch9wavefront6targetE0EEEvT1_: ; @_ZN7rocprim17ROCPRIM_400000_NS6detail17trampoline_kernelINS0_14default_configENS1_25partition_config_selectorILNS1_17partition_subalgoE9EllbEEZZNS1_14partition_implILS5_9ELb0ES3_jPlS8_PNS0_10empty_typeENS0_5tupleIJS8_S9_EEENSB_IJS8_SA_EEENS0_18inequality_wrapperIZN2at6native12_GLOBAL__N_124unique_dim_cuda_templateIjEESt5tupleIJNSF_6TensorESK_SK_EERKSK_lbbbEUlllE0_EEPmJS9_EEE10hipError_tPvRmT3_T4_T5_T6_T7_T9_mT8_P12ihipStream_tbDpT10_ENKUlT_T0_E_clISt17integral_constantIbLb1EES19_IbLb0EEEEDaS15_S16_EUlS15_E_NS1_11comp_targetILNS1_3genE4ELNS1_11target_archE910ELNS1_3gpuE8ELNS1_3repE0EEENS1_30default_config_static_selectorELNS0_4arch9wavefront6targetE0EEEvT1_
; %bb.0:
	.section	.rodata,"a",@progbits
	.p2align	6, 0x0
	.amdhsa_kernel _ZN7rocprim17ROCPRIM_400000_NS6detail17trampoline_kernelINS0_14default_configENS1_25partition_config_selectorILNS1_17partition_subalgoE9EllbEEZZNS1_14partition_implILS5_9ELb0ES3_jPlS8_PNS0_10empty_typeENS0_5tupleIJS8_S9_EEENSB_IJS8_SA_EEENS0_18inequality_wrapperIZN2at6native12_GLOBAL__N_124unique_dim_cuda_templateIjEESt5tupleIJNSF_6TensorESK_SK_EERKSK_lbbbEUlllE0_EEPmJS9_EEE10hipError_tPvRmT3_T4_T5_T6_T7_T9_mT8_P12ihipStream_tbDpT10_ENKUlT_T0_E_clISt17integral_constantIbLb1EES19_IbLb0EEEEDaS15_S16_EUlS15_E_NS1_11comp_targetILNS1_3genE4ELNS1_11target_archE910ELNS1_3gpuE8ELNS1_3repE0EEENS1_30default_config_static_selectorELNS0_4arch9wavefront6targetE0EEEvT1_
		.amdhsa_group_segment_fixed_size 0
		.amdhsa_private_segment_fixed_size 0
		.amdhsa_kernarg_size 120
		.amdhsa_user_sgpr_count 2
		.amdhsa_user_sgpr_dispatch_ptr 0
		.amdhsa_user_sgpr_queue_ptr 0
		.amdhsa_user_sgpr_kernarg_segment_ptr 1
		.amdhsa_user_sgpr_dispatch_id 0
		.amdhsa_user_sgpr_kernarg_preload_length 0
		.amdhsa_user_sgpr_kernarg_preload_offset 0
		.amdhsa_user_sgpr_private_segment_size 0
		.amdhsa_wavefront_size32 1
		.amdhsa_uses_dynamic_stack 0
		.amdhsa_enable_private_segment 0
		.amdhsa_system_sgpr_workgroup_id_x 1
		.amdhsa_system_sgpr_workgroup_id_y 0
		.amdhsa_system_sgpr_workgroup_id_z 0
		.amdhsa_system_sgpr_workgroup_info 0
		.amdhsa_system_vgpr_workitem_id 0
		.amdhsa_next_free_vgpr 1
		.amdhsa_next_free_sgpr 1
		.amdhsa_named_barrier_count 0
		.amdhsa_reserve_vcc 0
		.amdhsa_float_round_mode_32 0
		.amdhsa_float_round_mode_16_64 0
		.amdhsa_float_denorm_mode_32 3
		.amdhsa_float_denorm_mode_16_64 3
		.amdhsa_fp16_overflow 0
		.amdhsa_memory_ordered 1
		.amdhsa_forward_progress 1
		.amdhsa_inst_pref_size 0
		.amdhsa_round_robin_scheduling 0
		.amdhsa_exception_fp_ieee_invalid_op 0
		.amdhsa_exception_fp_denorm_src 0
		.amdhsa_exception_fp_ieee_div_zero 0
		.amdhsa_exception_fp_ieee_overflow 0
		.amdhsa_exception_fp_ieee_underflow 0
		.amdhsa_exception_fp_ieee_inexact 0
		.amdhsa_exception_int_div_zero 0
	.end_amdhsa_kernel
	.section	.text._ZN7rocprim17ROCPRIM_400000_NS6detail17trampoline_kernelINS0_14default_configENS1_25partition_config_selectorILNS1_17partition_subalgoE9EllbEEZZNS1_14partition_implILS5_9ELb0ES3_jPlS8_PNS0_10empty_typeENS0_5tupleIJS8_S9_EEENSB_IJS8_SA_EEENS0_18inequality_wrapperIZN2at6native12_GLOBAL__N_124unique_dim_cuda_templateIjEESt5tupleIJNSF_6TensorESK_SK_EERKSK_lbbbEUlllE0_EEPmJS9_EEE10hipError_tPvRmT3_T4_T5_T6_T7_T9_mT8_P12ihipStream_tbDpT10_ENKUlT_T0_E_clISt17integral_constantIbLb1EES19_IbLb0EEEEDaS15_S16_EUlS15_E_NS1_11comp_targetILNS1_3genE4ELNS1_11target_archE910ELNS1_3gpuE8ELNS1_3repE0EEENS1_30default_config_static_selectorELNS0_4arch9wavefront6targetE0EEEvT1_,"axG",@progbits,_ZN7rocprim17ROCPRIM_400000_NS6detail17trampoline_kernelINS0_14default_configENS1_25partition_config_selectorILNS1_17partition_subalgoE9EllbEEZZNS1_14partition_implILS5_9ELb0ES3_jPlS8_PNS0_10empty_typeENS0_5tupleIJS8_S9_EEENSB_IJS8_SA_EEENS0_18inequality_wrapperIZN2at6native12_GLOBAL__N_124unique_dim_cuda_templateIjEESt5tupleIJNSF_6TensorESK_SK_EERKSK_lbbbEUlllE0_EEPmJS9_EEE10hipError_tPvRmT3_T4_T5_T6_T7_T9_mT8_P12ihipStream_tbDpT10_ENKUlT_T0_E_clISt17integral_constantIbLb1EES19_IbLb0EEEEDaS15_S16_EUlS15_E_NS1_11comp_targetILNS1_3genE4ELNS1_11target_archE910ELNS1_3gpuE8ELNS1_3repE0EEENS1_30default_config_static_selectorELNS0_4arch9wavefront6targetE0EEEvT1_,comdat
.Lfunc_end1591:
	.size	_ZN7rocprim17ROCPRIM_400000_NS6detail17trampoline_kernelINS0_14default_configENS1_25partition_config_selectorILNS1_17partition_subalgoE9EllbEEZZNS1_14partition_implILS5_9ELb0ES3_jPlS8_PNS0_10empty_typeENS0_5tupleIJS8_S9_EEENSB_IJS8_SA_EEENS0_18inequality_wrapperIZN2at6native12_GLOBAL__N_124unique_dim_cuda_templateIjEESt5tupleIJNSF_6TensorESK_SK_EERKSK_lbbbEUlllE0_EEPmJS9_EEE10hipError_tPvRmT3_T4_T5_T6_T7_T9_mT8_P12ihipStream_tbDpT10_ENKUlT_T0_E_clISt17integral_constantIbLb1EES19_IbLb0EEEEDaS15_S16_EUlS15_E_NS1_11comp_targetILNS1_3genE4ELNS1_11target_archE910ELNS1_3gpuE8ELNS1_3repE0EEENS1_30default_config_static_selectorELNS0_4arch9wavefront6targetE0EEEvT1_, .Lfunc_end1591-_ZN7rocprim17ROCPRIM_400000_NS6detail17trampoline_kernelINS0_14default_configENS1_25partition_config_selectorILNS1_17partition_subalgoE9EllbEEZZNS1_14partition_implILS5_9ELb0ES3_jPlS8_PNS0_10empty_typeENS0_5tupleIJS8_S9_EEENSB_IJS8_SA_EEENS0_18inequality_wrapperIZN2at6native12_GLOBAL__N_124unique_dim_cuda_templateIjEESt5tupleIJNSF_6TensorESK_SK_EERKSK_lbbbEUlllE0_EEPmJS9_EEE10hipError_tPvRmT3_T4_T5_T6_T7_T9_mT8_P12ihipStream_tbDpT10_ENKUlT_T0_E_clISt17integral_constantIbLb1EES19_IbLb0EEEEDaS15_S16_EUlS15_E_NS1_11comp_targetILNS1_3genE4ELNS1_11target_archE910ELNS1_3gpuE8ELNS1_3repE0EEENS1_30default_config_static_selectorELNS0_4arch9wavefront6targetE0EEEvT1_
                                        ; -- End function
	.set _ZN7rocprim17ROCPRIM_400000_NS6detail17trampoline_kernelINS0_14default_configENS1_25partition_config_selectorILNS1_17partition_subalgoE9EllbEEZZNS1_14partition_implILS5_9ELb0ES3_jPlS8_PNS0_10empty_typeENS0_5tupleIJS8_S9_EEENSB_IJS8_SA_EEENS0_18inequality_wrapperIZN2at6native12_GLOBAL__N_124unique_dim_cuda_templateIjEESt5tupleIJNSF_6TensorESK_SK_EERKSK_lbbbEUlllE0_EEPmJS9_EEE10hipError_tPvRmT3_T4_T5_T6_T7_T9_mT8_P12ihipStream_tbDpT10_ENKUlT_T0_E_clISt17integral_constantIbLb1EES19_IbLb0EEEEDaS15_S16_EUlS15_E_NS1_11comp_targetILNS1_3genE4ELNS1_11target_archE910ELNS1_3gpuE8ELNS1_3repE0EEENS1_30default_config_static_selectorELNS0_4arch9wavefront6targetE0EEEvT1_.num_vgpr, 0
	.set _ZN7rocprim17ROCPRIM_400000_NS6detail17trampoline_kernelINS0_14default_configENS1_25partition_config_selectorILNS1_17partition_subalgoE9EllbEEZZNS1_14partition_implILS5_9ELb0ES3_jPlS8_PNS0_10empty_typeENS0_5tupleIJS8_S9_EEENSB_IJS8_SA_EEENS0_18inequality_wrapperIZN2at6native12_GLOBAL__N_124unique_dim_cuda_templateIjEESt5tupleIJNSF_6TensorESK_SK_EERKSK_lbbbEUlllE0_EEPmJS9_EEE10hipError_tPvRmT3_T4_T5_T6_T7_T9_mT8_P12ihipStream_tbDpT10_ENKUlT_T0_E_clISt17integral_constantIbLb1EES19_IbLb0EEEEDaS15_S16_EUlS15_E_NS1_11comp_targetILNS1_3genE4ELNS1_11target_archE910ELNS1_3gpuE8ELNS1_3repE0EEENS1_30default_config_static_selectorELNS0_4arch9wavefront6targetE0EEEvT1_.num_agpr, 0
	.set _ZN7rocprim17ROCPRIM_400000_NS6detail17trampoline_kernelINS0_14default_configENS1_25partition_config_selectorILNS1_17partition_subalgoE9EllbEEZZNS1_14partition_implILS5_9ELb0ES3_jPlS8_PNS0_10empty_typeENS0_5tupleIJS8_S9_EEENSB_IJS8_SA_EEENS0_18inequality_wrapperIZN2at6native12_GLOBAL__N_124unique_dim_cuda_templateIjEESt5tupleIJNSF_6TensorESK_SK_EERKSK_lbbbEUlllE0_EEPmJS9_EEE10hipError_tPvRmT3_T4_T5_T6_T7_T9_mT8_P12ihipStream_tbDpT10_ENKUlT_T0_E_clISt17integral_constantIbLb1EES19_IbLb0EEEEDaS15_S16_EUlS15_E_NS1_11comp_targetILNS1_3genE4ELNS1_11target_archE910ELNS1_3gpuE8ELNS1_3repE0EEENS1_30default_config_static_selectorELNS0_4arch9wavefront6targetE0EEEvT1_.numbered_sgpr, 0
	.set _ZN7rocprim17ROCPRIM_400000_NS6detail17trampoline_kernelINS0_14default_configENS1_25partition_config_selectorILNS1_17partition_subalgoE9EllbEEZZNS1_14partition_implILS5_9ELb0ES3_jPlS8_PNS0_10empty_typeENS0_5tupleIJS8_S9_EEENSB_IJS8_SA_EEENS0_18inequality_wrapperIZN2at6native12_GLOBAL__N_124unique_dim_cuda_templateIjEESt5tupleIJNSF_6TensorESK_SK_EERKSK_lbbbEUlllE0_EEPmJS9_EEE10hipError_tPvRmT3_T4_T5_T6_T7_T9_mT8_P12ihipStream_tbDpT10_ENKUlT_T0_E_clISt17integral_constantIbLb1EES19_IbLb0EEEEDaS15_S16_EUlS15_E_NS1_11comp_targetILNS1_3genE4ELNS1_11target_archE910ELNS1_3gpuE8ELNS1_3repE0EEENS1_30default_config_static_selectorELNS0_4arch9wavefront6targetE0EEEvT1_.num_named_barrier, 0
	.set _ZN7rocprim17ROCPRIM_400000_NS6detail17trampoline_kernelINS0_14default_configENS1_25partition_config_selectorILNS1_17partition_subalgoE9EllbEEZZNS1_14partition_implILS5_9ELb0ES3_jPlS8_PNS0_10empty_typeENS0_5tupleIJS8_S9_EEENSB_IJS8_SA_EEENS0_18inequality_wrapperIZN2at6native12_GLOBAL__N_124unique_dim_cuda_templateIjEESt5tupleIJNSF_6TensorESK_SK_EERKSK_lbbbEUlllE0_EEPmJS9_EEE10hipError_tPvRmT3_T4_T5_T6_T7_T9_mT8_P12ihipStream_tbDpT10_ENKUlT_T0_E_clISt17integral_constantIbLb1EES19_IbLb0EEEEDaS15_S16_EUlS15_E_NS1_11comp_targetILNS1_3genE4ELNS1_11target_archE910ELNS1_3gpuE8ELNS1_3repE0EEENS1_30default_config_static_selectorELNS0_4arch9wavefront6targetE0EEEvT1_.private_seg_size, 0
	.set _ZN7rocprim17ROCPRIM_400000_NS6detail17trampoline_kernelINS0_14default_configENS1_25partition_config_selectorILNS1_17partition_subalgoE9EllbEEZZNS1_14partition_implILS5_9ELb0ES3_jPlS8_PNS0_10empty_typeENS0_5tupleIJS8_S9_EEENSB_IJS8_SA_EEENS0_18inequality_wrapperIZN2at6native12_GLOBAL__N_124unique_dim_cuda_templateIjEESt5tupleIJNSF_6TensorESK_SK_EERKSK_lbbbEUlllE0_EEPmJS9_EEE10hipError_tPvRmT3_T4_T5_T6_T7_T9_mT8_P12ihipStream_tbDpT10_ENKUlT_T0_E_clISt17integral_constantIbLb1EES19_IbLb0EEEEDaS15_S16_EUlS15_E_NS1_11comp_targetILNS1_3genE4ELNS1_11target_archE910ELNS1_3gpuE8ELNS1_3repE0EEENS1_30default_config_static_selectorELNS0_4arch9wavefront6targetE0EEEvT1_.uses_vcc, 0
	.set _ZN7rocprim17ROCPRIM_400000_NS6detail17trampoline_kernelINS0_14default_configENS1_25partition_config_selectorILNS1_17partition_subalgoE9EllbEEZZNS1_14partition_implILS5_9ELb0ES3_jPlS8_PNS0_10empty_typeENS0_5tupleIJS8_S9_EEENSB_IJS8_SA_EEENS0_18inequality_wrapperIZN2at6native12_GLOBAL__N_124unique_dim_cuda_templateIjEESt5tupleIJNSF_6TensorESK_SK_EERKSK_lbbbEUlllE0_EEPmJS9_EEE10hipError_tPvRmT3_T4_T5_T6_T7_T9_mT8_P12ihipStream_tbDpT10_ENKUlT_T0_E_clISt17integral_constantIbLb1EES19_IbLb0EEEEDaS15_S16_EUlS15_E_NS1_11comp_targetILNS1_3genE4ELNS1_11target_archE910ELNS1_3gpuE8ELNS1_3repE0EEENS1_30default_config_static_selectorELNS0_4arch9wavefront6targetE0EEEvT1_.uses_flat_scratch, 0
	.set _ZN7rocprim17ROCPRIM_400000_NS6detail17trampoline_kernelINS0_14default_configENS1_25partition_config_selectorILNS1_17partition_subalgoE9EllbEEZZNS1_14partition_implILS5_9ELb0ES3_jPlS8_PNS0_10empty_typeENS0_5tupleIJS8_S9_EEENSB_IJS8_SA_EEENS0_18inequality_wrapperIZN2at6native12_GLOBAL__N_124unique_dim_cuda_templateIjEESt5tupleIJNSF_6TensorESK_SK_EERKSK_lbbbEUlllE0_EEPmJS9_EEE10hipError_tPvRmT3_T4_T5_T6_T7_T9_mT8_P12ihipStream_tbDpT10_ENKUlT_T0_E_clISt17integral_constantIbLb1EES19_IbLb0EEEEDaS15_S16_EUlS15_E_NS1_11comp_targetILNS1_3genE4ELNS1_11target_archE910ELNS1_3gpuE8ELNS1_3repE0EEENS1_30default_config_static_selectorELNS0_4arch9wavefront6targetE0EEEvT1_.has_dyn_sized_stack, 0
	.set _ZN7rocprim17ROCPRIM_400000_NS6detail17trampoline_kernelINS0_14default_configENS1_25partition_config_selectorILNS1_17partition_subalgoE9EllbEEZZNS1_14partition_implILS5_9ELb0ES3_jPlS8_PNS0_10empty_typeENS0_5tupleIJS8_S9_EEENSB_IJS8_SA_EEENS0_18inequality_wrapperIZN2at6native12_GLOBAL__N_124unique_dim_cuda_templateIjEESt5tupleIJNSF_6TensorESK_SK_EERKSK_lbbbEUlllE0_EEPmJS9_EEE10hipError_tPvRmT3_T4_T5_T6_T7_T9_mT8_P12ihipStream_tbDpT10_ENKUlT_T0_E_clISt17integral_constantIbLb1EES19_IbLb0EEEEDaS15_S16_EUlS15_E_NS1_11comp_targetILNS1_3genE4ELNS1_11target_archE910ELNS1_3gpuE8ELNS1_3repE0EEENS1_30default_config_static_selectorELNS0_4arch9wavefront6targetE0EEEvT1_.has_recursion, 0
	.set _ZN7rocprim17ROCPRIM_400000_NS6detail17trampoline_kernelINS0_14default_configENS1_25partition_config_selectorILNS1_17partition_subalgoE9EllbEEZZNS1_14partition_implILS5_9ELb0ES3_jPlS8_PNS0_10empty_typeENS0_5tupleIJS8_S9_EEENSB_IJS8_SA_EEENS0_18inequality_wrapperIZN2at6native12_GLOBAL__N_124unique_dim_cuda_templateIjEESt5tupleIJNSF_6TensorESK_SK_EERKSK_lbbbEUlllE0_EEPmJS9_EEE10hipError_tPvRmT3_T4_T5_T6_T7_T9_mT8_P12ihipStream_tbDpT10_ENKUlT_T0_E_clISt17integral_constantIbLb1EES19_IbLb0EEEEDaS15_S16_EUlS15_E_NS1_11comp_targetILNS1_3genE4ELNS1_11target_archE910ELNS1_3gpuE8ELNS1_3repE0EEENS1_30default_config_static_selectorELNS0_4arch9wavefront6targetE0EEEvT1_.has_indirect_call, 0
	.section	.AMDGPU.csdata,"",@progbits
; Kernel info:
; codeLenInByte = 0
; TotalNumSgprs: 0
; NumVgprs: 0
; ScratchSize: 0
; MemoryBound: 0
; FloatMode: 240
; IeeeMode: 1
; LDSByteSize: 0 bytes/workgroup (compile time only)
; SGPRBlocks: 0
; VGPRBlocks: 0
; NumSGPRsForWavesPerEU: 1
; NumVGPRsForWavesPerEU: 1
; NamedBarCnt: 0
; Occupancy: 16
; WaveLimiterHint : 0
; COMPUTE_PGM_RSRC2:SCRATCH_EN: 0
; COMPUTE_PGM_RSRC2:USER_SGPR: 2
; COMPUTE_PGM_RSRC2:TRAP_HANDLER: 0
; COMPUTE_PGM_RSRC2:TGID_X_EN: 1
; COMPUTE_PGM_RSRC2:TGID_Y_EN: 0
; COMPUTE_PGM_RSRC2:TGID_Z_EN: 0
; COMPUTE_PGM_RSRC2:TIDIG_COMP_CNT: 0
	.section	.text._ZN7rocprim17ROCPRIM_400000_NS6detail17trampoline_kernelINS0_14default_configENS1_25partition_config_selectorILNS1_17partition_subalgoE9EllbEEZZNS1_14partition_implILS5_9ELb0ES3_jPlS8_PNS0_10empty_typeENS0_5tupleIJS8_S9_EEENSB_IJS8_SA_EEENS0_18inequality_wrapperIZN2at6native12_GLOBAL__N_124unique_dim_cuda_templateIjEESt5tupleIJNSF_6TensorESK_SK_EERKSK_lbbbEUlllE0_EEPmJS9_EEE10hipError_tPvRmT3_T4_T5_T6_T7_T9_mT8_P12ihipStream_tbDpT10_ENKUlT_T0_E_clISt17integral_constantIbLb1EES19_IbLb0EEEEDaS15_S16_EUlS15_E_NS1_11comp_targetILNS1_3genE3ELNS1_11target_archE908ELNS1_3gpuE7ELNS1_3repE0EEENS1_30default_config_static_selectorELNS0_4arch9wavefront6targetE0EEEvT1_,"axG",@progbits,_ZN7rocprim17ROCPRIM_400000_NS6detail17trampoline_kernelINS0_14default_configENS1_25partition_config_selectorILNS1_17partition_subalgoE9EllbEEZZNS1_14partition_implILS5_9ELb0ES3_jPlS8_PNS0_10empty_typeENS0_5tupleIJS8_S9_EEENSB_IJS8_SA_EEENS0_18inequality_wrapperIZN2at6native12_GLOBAL__N_124unique_dim_cuda_templateIjEESt5tupleIJNSF_6TensorESK_SK_EERKSK_lbbbEUlllE0_EEPmJS9_EEE10hipError_tPvRmT3_T4_T5_T6_T7_T9_mT8_P12ihipStream_tbDpT10_ENKUlT_T0_E_clISt17integral_constantIbLb1EES19_IbLb0EEEEDaS15_S16_EUlS15_E_NS1_11comp_targetILNS1_3genE3ELNS1_11target_archE908ELNS1_3gpuE7ELNS1_3repE0EEENS1_30default_config_static_selectorELNS0_4arch9wavefront6targetE0EEEvT1_,comdat
	.globl	_ZN7rocprim17ROCPRIM_400000_NS6detail17trampoline_kernelINS0_14default_configENS1_25partition_config_selectorILNS1_17partition_subalgoE9EllbEEZZNS1_14partition_implILS5_9ELb0ES3_jPlS8_PNS0_10empty_typeENS0_5tupleIJS8_S9_EEENSB_IJS8_SA_EEENS0_18inequality_wrapperIZN2at6native12_GLOBAL__N_124unique_dim_cuda_templateIjEESt5tupleIJNSF_6TensorESK_SK_EERKSK_lbbbEUlllE0_EEPmJS9_EEE10hipError_tPvRmT3_T4_T5_T6_T7_T9_mT8_P12ihipStream_tbDpT10_ENKUlT_T0_E_clISt17integral_constantIbLb1EES19_IbLb0EEEEDaS15_S16_EUlS15_E_NS1_11comp_targetILNS1_3genE3ELNS1_11target_archE908ELNS1_3gpuE7ELNS1_3repE0EEENS1_30default_config_static_selectorELNS0_4arch9wavefront6targetE0EEEvT1_ ; -- Begin function _ZN7rocprim17ROCPRIM_400000_NS6detail17trampoline_kernelINS0_14default_configENS1_25partition_config_selectorILNS1_17partition_subalgoE9EllbEEZZNS1_14partition_implILS5_9ELb0ES3_jPlS8_PNS0_10empty_typeENS0_5tupleIJS8_S9_EEENSB_IJS8_SA_EEENS0_18inequality_wrapperIZN2at6native12_GLOBAL__N_124unique_dim_cuda_templateIjEESt5tupleIJNSF_6TensorESK_SK_EERKSK_lbbbEUlllE0_EEPmJS9_EEE10hipError_tPvRmT3_T4_T5_T6_T7_T9_mT8_P12ihipStream_tbDpT10_ENKUlT_T0_E_clISt17integral_constantIbLb1EES19_IbLb0EEEEDaS15_S16_EUlS15_E_NS1_11comp_targetILNS1_3genE3ELNS1_11target_archE908ELNS1_3gpuE7ELNS1_3repE0EEENS1_30default_config_static_selectorELNS0_4arch9wavefront6targetE0EEEvT1_
	.p2align	8
	.type	_ZN7rocprim17ROCPRIM_400000_NS6detail17trampoline_kernelINS0_14default_configENS1_25partition_config_selectorILNS1_17partition_subalgoE9EllbEEZZNS1_14partition_implILS5_9ELb0ES3_jPlS8_PNS0_10empty_typeENS0_5tupleIJS8_S9_EEENSB_IJS8_SA_EEENS0_18inequality_wrapperIZN2at6native12_GLOBAL__N_124unique_dim_cuda_templateIjEESt5tupleIJNSF_6TensorESK_SK_EERKSK_lbbbEUlllE0_EEPmJS9_EEE10hipError_tPvRmT3_T4_T5_T6_T7_T9_mT8_P12ihipStream_tbDpT10_ENKUlT_T0_E_clISt17integral_constantIbLb1EES19_IbLb0EEEEDaS15_S16_EUlS15_E_NS1_11comp_targetILNS1_3genE3ELNS1_11target_archE908ELNS1_3gpuE7ELNS1_3repE0EEENS1_30default_config_static_selectorELNS0_4arch9wavefront6targetE0EEEvT1_,@function
_ZN7rocprim17ROCPRIM_400000_NS6detail17trampoline_kernelINS0_14default_configENS1_25partition_config_selectorILNS1_17partition_subalgoE9EllbEEZZNS1_14partition_implILS5_9ELb0ES3_jPlS8_PNS0_10empty_typeENS0_5tupleIJS8_S9_EEENSB_IJS8_SA_EEENS0_18inequality_wrapperIZN2at6native12_GLOBAL__N_124unique_dim_cuda_templateIjEESt5tupleIJNSF_6TensorESK_SK_EERKSK_lbbbEUlllE0_EEPmJS9_EEE10hipError_tPvRmT3_T4_T5_T6_T7_T9_mT8_P12ihipStream_tbDpT10_ENKUlT_T0_E_clISt17integral_constantIbLb1EES19_IbLb0EEEEDaS15_S16_EUlS15_E_NS1_11comp_targetILNS1_3genE3ELNS1_11target_archE908ELNS1_3gpuE7ELNS1_3repE0EEENS1_30default_config_static_selectorELNS0_4arch9wavefront6targetE0EEEvT1_: ; @_ZN7rocprim17ROCPRIM_400000_NS6detail17trampoline_kernelINS0_14default_configENS1_25partition_config_selectorILNS1_17partition_subalgoE9EllbEEZZNS1_14partition_implILS5_9ELb0ES3_jPlS8_PNS0_10empty_typeENS0_5tupleIJS8_S9_EEENSB_IJS8_SA_EEENS0_18inequality_wrapperIZN2at6native12_GLOBAL__N_124unique_dim_cuda_templateIjEESt5tupleIJNSF_6TensorESK_SK_EERKSK_lbbbEUlllE0_EEPmJS9_EEE10hipError_tPvRmT3_T4_T5_T6_T7_T9_mT8_P12ihipStream_tbDpT10_ENKUlT_T0_E_clISt17integral_constantIbLb1EES19_IbLb0EEEEDaS15_S16_EUlS15_E_NS1_11comp_targetILNS1_3genE3ELNS1_11target_archE908ELNS1_3gpuE7ELNS1_3repE0EEENS1_30default_config_static_selectorELNS0_4arch9wavefront6targetE0EEEvT1_
; %bb.0:
	.section	.rodata,"a",@progbits
	.p2align	6, 0x0
	.amdhsa_kernel _ZN7rocprim17ROCPRIM_400000_NS6detail17trampoline_kernelINS0_14default_configENS1_25partition_config_selectorILNS1_17partition_subalgoE9EllbEEZZNS1_14partition_implILS5_9ELb0ES3_jPlS8_PNS0_10empty_typeENS0_5tupleIJS8_S9_EEENSB_IJS8_SA_EEENS0_18inequality_wrapperIZN2at6native12_GLOBAL__N_124unique_dim_cuda_templateIjEESt5tupleIJNSF_6TensorESK_SK_EERKSK_lbbbEUlllE0_EEPmJS9_EEE10hipError_tPvRmT3_T4_T5_T6_T7_T9_mT8_P12ihipStream_tbDpT10_ENKUlT_T0_E_clISt17integral_constantIbLb1EES19_IbLb0EEEEDaS15_S16_EUlS15_E_NS1_11comp_targetILNS1_3genE3ELNS1_11target_archE908ELNS1_3gpuE7ELNS1_3repE0EEENS1_30default_config_static_selectorELNS0_4arch9wavefront6targetE0EEEvT1_
		.amdhsa_group_segment_fixed_size 0
		.amdhsa_private_segment_fixed_size 0
		.amdhsa_kernarg_size 120
		.amdhsa_user_sgpr_count 2
		.amdhsa_user_sgpr_dispatch_ptr 0
		.amdhsa_user_sgpr_queue_ptr 0
		.amdhsa_user_sgpr_kernarg_segment_ptr 1
		.amdhsa_user_sgpr_dispatch_id 0
		.amdhsa_user_sgpr_kernarg_preload_length 0
		.amdhsa_user_sgpr_kernarg_preload_offset 0
		.amdhsa_user_sgpr_private_segment_size 0
		.amdhsa_wavefront_size32 1
		.amdhsa_uses_dynamic_stack 0
		.amdhsa_enable_private_segment 0
		.amdhsa_system_sgpr_workgroup_id_x 1
		.amdhsa_system_sgpr_workgroup_id_y 0
		.amdhsa_system_sgpr_workgroup_id_z 0
		.amdhsa_system_sgpr_workgroup_info 0
		.amdhsa_system_vgpr_workitem_id 0
		.amdhsa_next_free_vgpr 1
		.amdhsa_next_free_sgpr 1
		.amdhsa_named_barrier_count 0
		.amdhsa_reserve_vcc 0
		.amdhsa_float_round_mode_32 0
		.amdhsa_float_round_mode_16_64 0
		.amdhsa_float_denorm_mode_32 3
		.amdhsa_float_denorm_mode_16_64 3
		.amdhsa_fp16_overflow 0
		.amdhsa_memory_ordered 1
		.amdhsa_forward_progress 1
		.amdhsa_inst_pref_size 0
		.amdhsa_round_robin_scheduling 0
		.amdhsa_exception_fp_ieee_invalid_op 0
		.amdhsa_exception_fp_denorm_src 0
		.amdhsa_exception_fp_ieee_div_zero 0
		.amdhsa_exception_fp_ieee_overflow 0
		.amdhsa_exception_fp_ieee_underflow 0
		.amdhsa_exception_fp_ieee_inexact 0
		.amdhsa_exception_int_div_zero 0
	.end_amdhsa_kernel
	.section	.text._ZN7rocprim17ROCPRIM_400000_NS6detail17trampoline_kernelINS0_14default_configENS1_25partition_config_selectorILNS1_17partition_subalgoE9EllbEEZZNS1_14partition_implILS5_9ELb0ES3_jPlS8_PNS0_10empty_typeENS0_5tupleIJS8_S9_EEENSB_IJS8_SA_EEENS0_18inequality_wrapperIZN2at6native12_GLOBAL__N_124unique_dim_cuda_templateIjEESt5tupleIJNSF_6TensorESK_SK_EERKSK_lbbbEUlllE0_EEPmJS9_EEE10hipError_tPvRmT3_T4_T5_T6_T7_T9_mT8_P12ihipStream_tbDpT10_ENKUlT_T0_E_clISt17integral_constantIbLb1EES19_IbLb0EEEEDaS15_S16_EUlS15_E_NS1_11comp_targetILNS1_3genE3ELNS1_11target_archE908ELNS1_3gpuE7ELNS1_3repE0EEENS1_30default_config_static_selectorELNS0_4arch9wavefront6targetE0EEEvT1_,"axG",@progbits,_ZN7rocprim17ROCPRIM_400000_NS6detail17trampoline_kernelINS0_14default_configENS1_25partition_config_selectorILNS1_17partition_subalgoE9EllbEEZZNS1_14partition_implILS5_9ELb0ES3_jPlS8_PNS0_10empty_typeENS0_5tupleIJS8_S9_EEENSB_IJS8_SA_EEENS0_18inequality_wrapperIZN2at6native12_GLOBAL__N_124unique_dim_cuda_templateIjEESt5tupleIJNSF_6TensorESK_SK_EERKSK_lbbbEUlllE0_EEPmJS9_EEE10hipError_tPvRmT3_T4_T5_T6_T7_T9_mT8_P12ihipStream_tbDpT10_ENKUlT_T0_E_clISt17integral_constantIbLb1EES19_IbLb0EEEEDaS15_S16_EUlS15_E_NS1_11comp_targetILNS1_3genE3ELNS1_11target_archE908ELNS1_3gpuE7ELNS1_3repE0EEENS1_30default_config_static_selectorELNS0_4arch9wavefront6targetE0EEEvT1_,comdat
.Lfunc_end1592:
	.size	_ZN7rocprim17ROCPRIM_400000_NS6detail17trampoline_kernelINS0_14default_configENS1_25partition_config_selectorILNS1_17partition_subalgoE9EllbEEZZNS1_14partition_implILS5_9ELb0ES3_jPlS8_PNS0_10empty_typeENS0_5tupleIJS8_S9_EEENSB_IJS8_SA_EEENS0_18inequality_wrapperIZN2at6native12_GLOBAL__N_124unique_dim_cuda_templateIjEESt5tupleIJNSF_6TensorESK_SK_EERKSK_lbbbEUlllE0_EEPmJS9_EEE10hipError_tPvRmT3_T4_T5_T6_T7_T9_mT8_P12ihipStream_tbDpT10_ENKUlT_T0_E_clISt17integral_constantIbLb1EES19_IbLb0EEEEDaS15_S16_EUlS15_E_NS1_11comp_targetILNS1_3genE3ELNS1_11target_archE908ELNS1_3gpuE7ELNS1_3repE0EEENS1_30default_config_static_selectorELNS0_4arch9wavefront6targetE0EEEvT1_, .Lfunc_end1592-_ZN7rocprim17ROCPRIM_400000_NS6detail17trampoline_kernelINS0_14default_configENS1_25partition_config_selectorILNS1_17partition_subalgoE9EllbEEZZNS1_14partition_implILS5_9ELb0ES3_jPlS8_PNS0_10empty_typeENS0_5tupleIJS8_S9_EEENSB_IJS8_SA_EEENS0_18inequality_wrapperIZN2at6native12_GLOBAL__N_124unique_dim_cuda_templateIjEESt5tupleIJNSF_6TensorESK_SK_EERKSK_lbbbEUlllE0_EEPmJS9_EEE10hipError_tPvRmT3_T4_T5_T6_T7_T9_mT8_P12ihipStream_tbDpT10_ENKUlT_T0_E_clISt17integral_constantIbLb1EES19_IbLb0EEEEDaS15_S16_EUlS15_E_NS1_11comp_targetILNS1_3genE3ELNS1_11target_archE908ELNS1_3gpuE7ELNS1_3repE0EEENS1_30default_config_static_selectorELNS0_4arch9wavefront6targetE0EEEvT1_
                                        ; -- End function
	.set _ZN7rocprim17ROCPRIM_400000_NS6detail17trampoline_kernelINS0_14default_configENS1_25partition_config_selectorILNS1_17partition_subalgoE9EllbEEZZNS1_14partition_implILS5_9ELb0ES3_jPlS8_PNS0_10empty_typeENS0_5tupleIJS8_S9_EEENSB_IJS8_SA_EEENS0_18inequality_wrapperIZN2at6native12_GLOBAL__N_124unique_dim_cuda_templateIjEESt5tupleIJNSF_6TensorESK_SK_EERKSK_lbbbEUlllE0_EEPmJS9_EEE10hipError_tPvRmT3_T4_T5_T6_T7_T9_mT8_P12ihipStream_tbDpT10_ENKUlT_T0_E_clISt17integral_constantIbLb1EES19_IbLb0EEEEDaS15_S16_EUlS15_E_NS1_11comp_targetILNS1_3genE3ELNS1_11target_archE908ELNS1_3gpuE7ELNS1_3repE0EEENS1_30default_config_static_selectorELNS0_4arch9wavefront6targetE0EEEvT1_.num_vgpr, 0
	.set _ZN7rocprim17ROCPRIM_400000_NS6detail17trampoline_kernelINS0_14default_configENS1_25partition_config_selectorILNS1_17partition_subalgoE9EllbEEZZNS1_14partition_implILS5_9ELb0ES3_jPlS8_PNS0_10empty_typeENS0_5tupleIJS8_S9_EEENSB_IJS8_SA_EEENS0_18inequality_wrapperIZN2at6native12_GLOBAL__N_124unique_dim_cuda_templateIjEESt5tupleIJNSF_6TensorESK_SK_EERKSK_lbbbEUlllE0_EEPmJS9_EEE10hipError_tPvRmT3_T4_T5_T6_T7_T9_mT8_P12ihipStream_tbDpT10_ENKUlT_T0_E_clISt17integral_constantIbLb1EES19_IbLb0EEEEDaS15_S16_EUlS15_E_NS1_11comp_targetILNS1_3genE3ELNS1_11target_archE908ELNS1_3gpuE7ELNS1_3repE0EEENS1_30default_config_static_selectorELNS0_4arch9wavefront6targetE0EEEvT1_.num_agpr, 0
	.set _ZN7rocprim17ROCPRIM_400000_NS6detail17trampoline_kernelINS0_14default_configENS1_25partition_config_selectorILNS1_17partition_subalgoE9EllbEEZZNS1_14partition_implILS5_9ELb0ES3_jPlS8_PNS0_10empty_typeENS0_5tupleIJS8_S9_EEENSB_IJS8_SA_EEENS0_18inequality_wrapperIZN2at6native12_GLOBAL__N_124unique_dim_cuda_templateIjEESt5tupleIJNSF_6TensorESK_SK_EERKSK_lbbbEUlllE0_EEPmJS9_EEE10hipError_tPvRmT3_T4_T5_T6_T7_T9_mT8_P12ihipStream_tbDpT10_ENKUlT_T0_E_clISt17integral_constantIbLb1EES19_IbLb0EEEEDaS15_S16_EUlS15_E_NS1_11comp_targetILNS1_3genE3ELNS1_11target_archE908ELNS1_3gpuE7ELNS1_3repE0EEENS1_30default_config_static_selectorELNS0_4arch9wavefront6targetE0EEEvT1_.numbered_sgpr, 0
	.set _ZN7rocprim17ROCPRIM_400000_NS6detail17trampoline_kernelINS0_14default_configENS1_25partition_config_selectorILNS1_17partition_subalgoE9EllbEEZZNS1_14partition_implILS5_9ELb0ES3_jPlS8_PNS0_10empty_typeENS0_5tupleIJS8_S9_EEENSB_IJS8_SA_EEENS0_18inequality_wrapperIZN2at6native12_GLOBAL__N_124unique_dim_cuda_templateIjEESt5tupleIJNSF_6TensorESK_SK_EERKSK_lbbbEUlllE0_EEPmJS9_EEE10hipError_tPvRmT3_T4_T5_T6_T7_T9_mT8_P12ihipStream_tbDpT10_ENKUlT_T0_E_clISt17integral_constantIbLb1EES19_IbLb0EEEEDaS15_S16_EUlS15_E_NS1_11comp_targetILNS1_3genE3ELNS1_11target_archE908ELNS1_3gpuE7ELNS1_3repE0EEENS1_30default_config_static_selectorELNS0_4arch9wavefront6targetE0EEEvT1_.num_named_barrier, 0
	.set _ZN7rocprim17ROCPRIM_400000_NS6detail17trampoline_kernelINS0_14default_configENS1_25partition_config_selectorILNS1_17partition_subalgoE9EllbEEZZNS1_14partition_implILS5_9ELb0ES3_jPlS8_PNS0_10empty_typeENS0_5tupleIJS8_S9_EEENSB_IJS8_SA_EEENS0_18inequality_wrapperIZN2at6native12_GLOBAL__N_124unique_dim_cuda_templateIjEESt5tupleIJNSF_6TensorESK_SK_EERKSK_lbbbEUlllE0_EEPmJS9_EEE10hipError_tPvRmT3_T4_T5_T6_T7_T9_mT8_P12ihipStream_tbDpT10_ENKUlT_T0_E_clISt17integral_constantIbLb1EES19_IbLb0EEEEDaS15_S16_EUlS15_E_NS1_11comp_targetILNS1_3genE3ELNS1_11target_archE908ELNS1_3gpuE7ELNS1_3repE0EEENS1_30default_config_static_selectorELNS0_4arch9wavefront6targetE0EEEvT1_.private_seg_size, 0
	.set _ZN7rocprim17ROCPRIM_400000_NS6detail17trampoline_kernelINS0_14default_configENS1_25partition_config_selectorILNS1_17partition_subalgoE9EllbEEZZNS1_14partition_implILS5_9ELb0ES3_jPlS8_PNS0_10empty_typeENS0_5tupleIJS8_S9_EEENSB_IJS8_SA_EEENS0_18inequality_wrapperIZN2at6native12_GLOBAL__N_124unique_dim_cuda_templateIjEESt5tupleIJNSF_6TensorESK_SK_EERKSK_lbbbEUlllE0_EEPmJS9_EEE10hipError_tPvRmT3_T4_T5_T6_T7_T9_mT8_P12ihipStream_tbDpT10_ENKUlT_T0_E_clISt17integral_constantIbLb1EES19_IbLb0EEEEDaS15_S16_EUlS15_E_NS1_11comp_targetILNS1_3genE3ELNS1_11target_archE908ELNS1_3gpuE7ELNS1_3repE0EEENS1_30default_config_static_selectorELNS0_4arch9wavefront6targetE0EEEvT1_.uses_vcc, 0
	.set _ZN7rocprim17ROCPRIM_400000_NS6detail17trampoline_kernelINS0_14default_configENS1_25partition_config_selectorILNS1_17partition_subalgoE9EllbEEZZNS1_14partition_implILS5_9ELb0ES3_jPlS8_PNS0_10empty_typeENS0_5tupleIJS8_S9_EEENSB_IJS8_SA_EEENS0_18inequality_wrapperIZN2at6native12_GLOBAL__N_124unique_dim_cuda_templateIjEESt5tupleIJNSF_6TensorESK_SK_EERKSK_lbbbEUlllE0_EEPmJS9_EEE10hipError_tPvRmT3_T4_T5_T6_T7_T9_mT8_P12ihipStream_tbDpT10_ENKUlT_T0_E_clISt17integral_constantIbLb1EES19_IbLb0EEEEDaS15_S16_EUlS15_E_NS1_11comp_targetILNS1_3genE3ELNS1_11target_archE908ELNS1_3gpuE7ELNS1_3repE0EEENS1_30default_config_static_selectorELNS0_4arch9wavefront6targetE0EEEvT1_.uses_flat_scratch, 0
	.set _ZN7rocprim17ROCPRIM_400000_NS6detail17trampoline_kernelINS0_14default_configENS1_25partition_config_selectorILNS1_17partition_subalgoE9EllbEEZZNS1_14partition_implILS5_9ELb0ES3_jPlS8_PNS0_10empty_typeENS0_5tupleIJS8_S9_EEENSB_IJS8_SA_EEENS0_18inequality_wrapperIZN2at6native12_GLOBAL__N_124unique_dim_cuda_templateIjEESt5tupleIJNSF_6TensorESK_SK_EERKSK_lbbbEUlllE0_EEPmJS9_EEE10hipError_tPvRmT3_T4_T5_T6_T7_T9_mT8_P12ihipStream_tbDpT10_ENKUlT_T0_E_clISt17integral_constantIbLb1EES19_IbLb0EEEEDaS15_S16_EUlS15_E_NS1_11comp_targetILNS1_3genE3ELNS1_11target_archE908ELNS1_3gpuE7ELNS1_3repE0EEENS1_30default_config_static_selectorELNS0_4arch9wavefront6targetE0EEEvT1_.has_dyn_sized_stack, 0
	.set _ZN7rocprim17ROCPRIM_400000_NS6detail17trampoline_kernelINS0_14default_configENS1_25partition_config_selectorILNS1_17partition_subalgoE9EllbEEZZNS1_14partition_implILS5_9ELb0ES3_jPlS8_PNS0_10empty_typeENS0_5tupleIJS8_S9_EEENSB_IJS8_SA_EEENS0_18inequality_wrapperIZN2at6native12_GLOBAL__N_124unique_dim_cuda_templateIjEESt5tupleIJNSF_6TensorESK_SK_EERKSK_lbbbEUlllE0_EEPmJS9_EEE10hipError_tPvRmT3_T4_T5_T6_T7_T9_mT8_P12ihipStream_tbDpT10_ENKUlT_T0_E_clISt17integral_constantIbLb1EES19_IbLb0EEEEDaS15_S16_EUlS15_E_NS1_11comp_targetILNS1_3genE3ELNS1_11target_archE908ELNS1_3gpuE7ELNS1_3repE0EEENS1_30default_config_static_selectorELNS0_4arch9wavefront6targetE0EEEvT1_.has_recursion, 0
	.set _ZN7rocprim17ROCPRIM_400000_NS6detail17trampoline_kernelINS0_14default_configENS1_25partition_config_selectorILNS1_17partition_subalgoE9EllbEEZZNS1_14partition_implILS5_9ELb0ES3_jPlS8_PNS0_10empty_typeENS0_5tupleIJS8_S9_EEENSB_IJS8_SA_EEENS0_18inequality_wrapperIZN2at6native12_GLOBAL__N_124unique_dim_cuda_templateIjEESt5tupleIJNSF_6TensorESK_SK_EERKSK_lbbbEUlllE0_EEPmJS9_EEE10hipError_tPvRmT3_T4_T5_T6_T7_T9_mT8_P12ihipStream_tbDpT10_ENKUlT_T0_E_clISt17integral_constantIbLb1EES19_IbLb0EEEEDaS15_S16_EUlS15_E_NS1_11comp_targetILNS1_3genE3ELNS1_11target_archE908ELNS1_3gpuE7ELNS1_3repE0EEENS1_30default_config_static_selectorELNS0_4arch9wavefront6targetE0EEEvT1_.has_indirect_call, 0
	.section	.AMDGPU.csdata,"",@progbits
; Kernel info:
; codeLenInByte = 0
; TotalNumSgprs: 0
; NumVgprs: 0
; ScratchSize: 0
; MemoryBound: 0
; FloatMode: 240
; IeeeMode: 1
; LDSByteSize: 0 bytes/workgroup (compile time only)
; SGPRBlocks: 0
; VGPRBlocks: 0
; NumSGPRsForWavesPerEU: 1
; NumVGPRsForWavesPerEU: 1
; NamedBarCnt: 0
; Occupancy: 16
; WaveLimiterHint : 0
; COMPUTE_PGM_RSRC2:SCRATCH_EN: 0
; COMPUTE_PGM_RSRC2:USER_SGPR: 2
; COMPUTE_PGM_RSRC2:TRAP_HANDLER: 0
; COMPUTE_PGM_RSRC2:TGID_X_EN: 1
; COMPUTE_PGM_RSRC2:TGID_Y_EN: 0
; COMPUTE_PGM_RSRC2:TGID_Z_EN: 0
; COMPUTE_PGM_RSRC2:TIDIG_COMP_CNT: 0
	.section	.text._ZN7rocprim17ROCPRIM_400000_NS6detail17trampoline_kernelINS0_14default_configENS1_25partition_config_selectorILNS1_17partition_subalgoE9EllbEEZZNS1_14partition_implILS5_9ELb0ES3_jPlS8_PNS0_10empty_typeENS0_5tupleIJS8_S9_EEENSB_IJS8_SA_EEENS0_18inequality_wrapperIZN2at6native12_GLOBAL__N_124unique_dim_cuda_templateIjEESt5tupleIJNSF_6TensorESK_SK_EERKSK_lbbbEUlllE0_EEPmJS9_EEE10hipError_tPvRmT3_T4_T5_T6_T7_T9_mT8_P12ihipStream_tbDpT10_ENKUlT_T0_E_clISt17integral_constantIbLb1EES19_IbLb0EEEEDaS15_S16_EUlS15_E_NS1_11comp_targetILNS1_3genE2ELNS1_11target_archE906ELNS1_3gpuE6ELNS1_3repE0EEENS1_30default_config_static_selectorELNS0_4arch9wavefront6targetE0EEEvT1_,"axG",@progbits,_ZN7rocprim17ROCPRIM_400000_NS6detail17trampoline_kernelINS0_14default_configENS1_25partition_config_selectorILNS1_17partition_subalgoE9EllbEEZZNS1_14partition_implILS5_9ELb0ES3_jPlS8_PNS0_10empty_typeENS0_5tupleIJS8_S9_EEENSB_IJS8_SA_EEENS0_18inequality_wrapperIZN2at6native12_GLOBAL__N_124unique_dim_cuda_templateIjEESt5tupleIJNSF_6TensorESK_SK_EERKSK_lbbbEUlllE0_EEPmJS9_EEE10hipError_tPvRmT3_T4_T5_T6_T7_T9_mT8_P12ihipStream_tbDpT10_ENKUlT_T0_E_clISt17integral_constantIbLb1EES19_IbLb0EEEEDaS15_S16_EUlS15_E_NS1_11comp_targetILNS1_3genE2ELNS1_11target_archE906ELNS1_3gpuE6ELNS1_3repE0EEENS1_30default_config_static_selectorELNS0_4arch9wavefront6targetE0EEEvT1_,comdat
	.globl	_ZN7rocprim17ROCPRIM_400000_NS6detail17trampoline_kernelINS0_14default_configENS1_25partition_config_selectorILNS1_17partition_subalgoE9EllbEEZZNS1_14partition_implILS5_9ELb0ES3_jPlS8_PNS0_10empty_typeENS0_5tupleIJS8_S9_EEENSB_IJS8_SA_EEENS0_18inequality_wrapperIZN2at6native12_GLOBAL__N_124unique_dim_cuda_templateIjEESt5tupleIJNSF_6TensorESK_SK_EERKSK_lbbbEUlllE0_EEPmJS9_EEE10hipError_tPvRmT3_T4_T5_T6_T7_T9_mT8_P12ihipStream_tbDpT10_ENKUlT_T0_E_clISt17integral_constantIbLb1EES19_IbLb0EEEEDaS15_S16_EUlS15_E_NS1_11comp_targetILNS1_3genE2ELNS1_11target_archE906ELNS1_3gpuE6ELNS1_3repE0EEENS1_30default_config_static_selectorELNS0_4arch9wavefront6targetE0EEEvT1_ ; -- Begin function _ZN7rocprim17ROCPRIM_400000_NS6detail17trampoline_kernelINS0_14default_configENS1_25partition_config_selectorILNS1_17partition_subalgoE9EllbEEZZNS1_14partition_implILS5_9ELb0ES3_jPlS8_PNS0_10empty_typeENS0_5tupleIJS8_S9_EEENSB_IJS8_SA_EEENS0_18inequality_wrapperIZN2at6native12_GLOBAL__N_124unique_dim_cuda_templateIjEESt5tupleIJNSF_6TensorESK_SK_EERKSK_lbbbEUlllE0_EEPmJS9_EEE10hipError_tPvRmT3_T4_T5_T6_T7_T9_mT8_P12ihipStream_tbDpT10_ENKUlT_T0_E_clISt17integral_constantIbLb1EES19_IbLb0EEEEDaS15_S16_EUlS15_E_NS1_11comp_targetILNS1_3genE2ELNS1_11target_archE906ELNS1_3gpuE6ELNS1_3repE0EEENS1_30default_config_static_selectorELNS0_4arch9wavefront6targetE0EEEvT1_
	.p2align	8
	.type	_ZN7rocprim17ROCPRIM_400000_NS6detail17trampoline_kernelINS0_14default_configENS1_25partition_config_selectorILNS1_17partition_subalgoE9EllbEEZZNS1_14partition_implILS5_9ELb0ES3_jPlS8_PNS0_10empty_typeENS0_5tupleIJS8_S9_EEENSB_IJS8_SA_EEENS0_18inequality_wrapperIZN2at6native12_GLOBAL__N_124unique_dim_cuda_templateIjEESt5tupleIJNSF_6TensorESK_SK_EERKSK_lbbbEUlllE0_EEPmJS9_EEE10hipError_tPvRmT3_T4_T5_T6_T7_T9_mT8_P12ihipStream_tbDpT10_ENKUlT_T0_E_clISt17integral_constantIbLb1EES19_IbLb0EEEEDaS15_S16_EUlS15_E_NS1_11comp_targetILNS1_3genE2ELNS1_11target_archE906ELNS1_3gpuE6ELNS1_3repE0EEENS1_30default_config_static_selectorELNS0_4arch9wavefront6targetE0EEEvT1_,@function
_ZN7rocprim17ROCPRIM_400000_NS6detail17trampoline_kernelINS0_14default_configENS1_25partition_config_selectorILNS1_17partition_subalgoE9EllbEEZZNS1_14partition_implILS5_9ELb0ES3_jPlS8_PNS0_10empty_typeENS0_5tupleIJS8_S9_EEENSB_IJS8_SA_EEENS0_18inequality_wrapperIZN2at6native12_GLOBAL__N_124unique_dim_cuda_templateIjEESt5tupleIJNSF_6TensorESK_SK_EERKSK_lbbbEUlllE0_EEPmJS9_EEE10hipError_tPvRmT3_T4_T5_T6_T7_T9_mT8_P12ihipStream_tbDpT10_ENKUlT_T0_E_clISt17integral_constantIbLb1EES19_IbLb0EEEEDaS15_S16_EUlS15_E_NS1_11comp_targetILNS1_3genE2ELNS1_11target_archE906ELNS1_3gpuE6ELNS1_3repE0EEENS1_30default_config_static_selectorELNS0_4arch9wavefront6targetE0EEEvT1_: ; @_ZN7rocprim17ROCPRIM_400000_NS6detail17trampoline_kernelINS0_14default_configENS1_25partition_config_selectorILNS1_17partition_subalgoE9EllbEEZZNS1_14partition_implILS5_9ELb0ES3_jPlS8_PNS0_10empty_typeENS0_5tupleIJS8_S9_EEENSB_IJS8_SA_EEENS0_18inequality_wrapperIZN2at6native12_GLOBAL__N_124unique_dim_cuda_templateIjEESt5tupleIJNSF_6TensorESK_SK_EERKSK_lbbbEUlllE0_EEPmJS9_EEE10hipError_tPvRmT3_T4_T5_T6_T7_T9_mT8_P12ihipStream_tbDpT10_ENKUlT_T0_E_clISt17integral_constantIbLb1EES19_IbLb0EEEEDaS15_S16_EUlS15_E_NS1_11comp_targetILNS1_3genE2ELNS1_11target_archE906ELNS1_3gpuE6ELNS1_3repE0EEENS1_30default_config_static_selectorELNS0_4arch9wavefront6targetE0EEEvT1_
; %bb.0:
	.section	.rodata,"a",@progbits
	.p2align	6, 0x0
	.amdhsa_kernel _ZN7rocprim17ROCPRIM_400000_NS6detail17trampoline_kernelINS0_14default_configENS1_25partition_config_selectorILNS1_17partition_subalgoE9EllbEEZZNS1_14partition_implILS5_9ELb0ES3_jPlS8_PNS0_10empty_typeENS0_5tupleIJS8_S9_EEENSB_IJS8_SA_EEENS0_18inequality_wrapperIZN2at6native12_GLOBAL__N_124unique_dim_cuda_templateIjEESt5tupleIJNSF_6TensorESK_SK_EERKSK_lbbbEUlllE0_EEPmJS9_EEE10hipError_tPvRmT3_T4_T5_T6_T7_T9_mT8_P12ihipStream_tbDpT10_ENKUlT_T0_E_clISt17integral_constantIbLb1EES19_IbLb0EEEEDaS15_S16_EUlS15_E_NS1_11comp_targetILNS1_3genE2ELNS1_11target_archE906ELNS1_3gpuE6ELNS1_3repE0EEENS1_30default_config_static_selectorELNS0_4arch9wavefront6targetE0EEEvT1_
		.amdhsa_group_segment_fixed_size 0
		.amdhsa_private_segment_fixed_size 0
		.amdhsa_kernarg_size 120
		.amdhsa_user_sgpr_count 2
		.amdhsa_user_sgpr_dispatch_ptr 0
		.amdhsa_user_sgpr_queue_ptr 0
		.amdhsa_user_sgpr_kernarg_segment_ptr 1
		.amdhsa_user_sgpr_dispatch_id 0
		.amdhsa_user_sgpr_kernarg_preload_length 0
		.amdhsa_user_sgpr_kernarg_preload_offset 0
		.amdhsa_user_sgpr_private_segment_size 0
		.amdhsa_wavefront_size32 1
		.amdhsa_uses_dynamic_stack 0
		.amdhsa_enable_private_segment 0
		.amdhsa_system_sgpr_workgroup_id_x 1
		.amdhsa_system_sgpr_workgroup_id_y 0
		.amdhsa_system_sgpr_workgroup_id_z 0
		.amdhsa_system_sgpr_workgroup_info 0
		.amdhsa_system_vgpr_workitem_id 0
		.amdhsa_next_free_vgpr 1
		.amdhsa_next_free_sgpr 1
		.amdhsa_named_barrier_count 0
		.amdhsa_reserve_vcc 0
		.amdhsa_float_round_mode_32 0
		.amdhsa_float_round_mode_16_64 0
		.amdhsa_float_denorm_mode_32 3
		.amdhsa_float_denorm_mode_16_64 3
		.amdhsa_fp16_overflow 0
		.amdhsa_memory_ordered 1
		.amdhsa_forward_progress 1
		.amdhsa_inst_pref_size 0
		.amdhsa_round_robin_scheduling 0
		.amdhsa_exception_fp_ieee_invalid_op 0
		.amdhsa_exception_fp_denorm_src 0
		.amdhsa_exception_fp_ieee_div_zero 0
		.amdhsa_exception_fp_ieee_overflow 0
		.amdhsa_exception_fp_ieee_underflow 0
		.amdhsa_exception_fp_ieee_inexact 0
		.amdhsa_exception_int_div_zero 0
	.end_amdhsa_kernel
	.section	.text._ZN7rocprim17ROCPRIM_400000_NS6detail17trampoline_kernelINS0_14default_configENS1_25partition_config_selectorILNS1_17partition_subalgoE9EllbEEZZNS1_14partition_implILS5_9ELb0ES3_jPlS8_PNS0_10empty_typeENS0_5tupleIJS8_S9_EEENSB_IJS8_SA_EEENS0_18inequality_wrapperIZN2at6native12_GLOBAL__N_124unique_dim_cuda_templateIjEESt5tupleIJNSF_6TensorESK_SK_EERKSK_lbbbEUlllE0_EEPmJS9_EEE10hipError_tPvRmT3_T4_T5_T6_T7_T9_mT8_P12ihipStream_tbDpT10_ENKUlT_T0_E_clISt17integral_constantIbLb1EES19_IbLb0EEEEDaS15_S16_EUlS15_E_NS1_11comp_targetILNS1_3genE2ELNS1_11target_archE906ELNS1_3gpuE6ELNS1_3repE0EEENS1_30default_config_static_selectorELNS0_4arch9wavefront6targetE0EEEvT1_,"axG",@progbits,_ZN7rocprim17ROCPRIM_400000_NS6detail17trampoline_kernelINS0_14default_configENS1_25partition_config_selectorILNS1_17partition_subalgoE9EllbEEZZNS1_14partition_implILS5_9ELb0ES3_jPlS8_PNS0_10empty_typeENS0_5tupleIJS8_S9_EEENSB_IJS8_SA_EEENS0_18inequality_wrapperIZN2at6native12_GLOBAL__N_124unique_dim_cuda_templateIjEESt5tupleIJNSF_6TensorESK_SK_EERKSK_lbbbEUlllE0_EEPmJS9_EEE10hipError_tPvRmT3_T4_T5_T6_T7_T9_mT8_P12ihipStream_tbDpT10_ENKUlT_T0_E_clISt17integral_constantIbLb1EES19_IbLb0EEEEDaS15_S16_EUlS15_E_NS1_11comp_targetILNS1_3genE2ELNS1_11target_archE906ELNS1_3gpuE6ELNS1_3repE0EEENS1_30default_config_static_selectorELNS0_4arch9wavefront6targetE0EEEvT1_,comdat
.Lfunc_end1593:
	.size	_ZN7rocprim17ROCPRIM_400000_NS6detail17trampoline_kernelINS0_14default_configENS1_25partition_config_selectorILNS1_17partition_subalgoE9EllbEEZZNS1_14partition_implILS5_9ELb0ES3_jPlS8_PNS0_10empty_typeENS0_5tupleIJS8_S9_EEENSB_IJS8_SA_EEENS0_18inequality_wrapperIZN2at6native12_GLOBAL__N_124unique_dim_cuda_templateIjEESt5tupleIJNSF_6TensorESK_SK_EERKSK_lbbbEUlllE0_EEPmJS9_EEE10hipError_tPvRmT3_T4_T5_T6_T7_T9_mT8_P12ihipStream_tbDpT10_ENKUlT_T0_E_clISt17integral_constantIbLb1EES19_IbLb0EEEEDaS15_S16_EUlS15_E_NS1_11comp_targetILNS1_3genE2ELNS1_11target_archE906ELNS1_3gpuE6ELNS1_3repE0EEENS1_30default_config_static_selectorELNS0_4arch9wavefront6targetE0EEEvT1_, .Lfunc_end1593-_ZN7rocprim17ROCPRIM_400000_NS6detail17trampoline_kernelINS0_14default_configENS1_25partition_config_selectorILNS1_17partition_subalgoE9EllbEEZZNS1_14partition_implILS5_9ELb0ES3_jPlS8_PNS0_10empty_typeENS0_5tupleIJS8_S9_EEENSB_IJS8_SA_EEENS0_18inequality_wrapperIZN2at6native12_GLOBAL__N_124unique_dim_cuda_templateIjEESt5tupleIJNSF_6TensorESK_SK_EERKSK_lbbbEUlllE0_EEPmJS9_EEE10hipError_tPvRmT3_T4_T5_T6_T7_T9_mT8_P12ihipStream_tbDpT10_ENKUlT_T0_E_clISt17integral_constantIbLb1EES19_IbLb0EEEEDaS15_S16_EUlS15_E_NS1_11comp_targetILNS1_3genE2ELNS1_11target_archE906ELNS1_3gpuE6ELNS1_3repE0EEENS1_30default_config_static_selectorELNS0_4arch9wavefront6targetE0EEEvT1_
                                        ; -- End function
	.set _ZN7rocprim17ROCPRIM_400000_NS6detail17trampoline_kernelINS0_14default_configENS1_25partition_config_selectorILNS1_17partition_subalgoE9EllbEEZZNS1_14partition_implILS5_9ELb0ES3_jPlS8_PNS0_10empty_typeENS0_5tupleIJS8_S9_EEENSB_IJS8_SA_EEENS0_18inequality_wrapperIZN2at6native12_GLOBAL__N_124unique_dim_cuda_templateIjEESt5tupleIJNSF_6TensorESK_SK_EERKSK_lbbbEUlllE0_EEPmJS9_EEE10hipError_tPvRmT3_T4_T5_T6_T7_T9_mT8_P12ihipStream_tbDpT10_ENKUlT_T0_E_clISt17integral_constantIbLb1EES19_IbLb0EEEEDaS15_S16_EUlS15_E_NS1_11comp_targetILNS1_3genE2ELNS1_11target_archE906ELNS1_3gpuE6ELNS1_3repE0EEENS1_30default_config_static_selectorELNS0_4arch9wavefront6targetE0EEEvT1_.num_vgpr, 0
	.set _ZN7rocprim17ROCPRIM_400000_NS6detail17trampoline_kernelINS0_14default_configENS1_25partition_config_selectorILNS1_17partition_subalgoE9EllbEEZZNS1_14partition_implILS5_9ELb0ES3_jPlS8_PNS0_10empty_typeENS0_5tupleIJS8_S9_EEENSB_IJS8_SA_EEENS0_18inequality_wrapperIZN2at6native12_GLOBAL__N_124unique_dim_cuda_templateIjEESt5tupleIJNSF_6TensorESK_SK_EERKSK_lbbbEUlllE0_EEPmJS9_EEE10hipError_tPvRmT3_T4_T5_T6_T7_T9_mT8_P12ihipStream_tbDpT10_ENKUlT_T0_E_clISt17integral_constantIbLb1EES19_IbLb0EEEEDaS15_S16_EUlS15_E_NS1_11comp_targetILNS1_3genE2ELNS1_11target_archE906ELNS1_3gpuE6ELNS1_3repE0EEENS1_30default_config_static_selectorELNS0_4arch9wavefront6targetE0EEEvT1_.num_agpr, 0
	.set _ZN7rocprim17ROCPRIM_400000_NS6detail17trampoline_kernelINS0_14default_configENS1_25partition_config_selectorILNS1_17partition_subalgoE9EllbEEZZNS1_14partition_implILS5_9ELb0ES3_jPlS8_PNS0_10empty_typeENS0_5tupleIJS8_S9_EEENSB_IJS8_SA_EEENS0_18inequality_wrapperIZN2at6native12_GLOBAL__N_124unique_dim_cuda_templateIjEESt5tupleIJNSF_6TensorESK_SK_EERKSK_lbbbEUlllE0_EEPmJS9_EEE10hipError_tPvRmT3_T4_T5_T6_T7_T9_mT8_P12ihipStream_tbDpT10_ENKUlT_T0_E_clISt17integral_constantIbLb1EES19_IbLb0EEEEDaS15_S16_EUlS15_E_NS1_11comp_targetILNS1_3genE2ELNS1_11target_archE906ELNS1_3gpuE6ELNS1_3repE0EEENS1_30default_config_static_selectorELNS0_4arch9wavefront6targetE0EEEvT1_.numbered_sgpr, 0
	.set _ZN7rocprim17ROCPRIM_400000_NS6detail17trampoline_kernelINS0_14default_configENS1_25partition_config_selectorILNS1_17partition_subalgoE9EllbEEZZNS1_14partition_implILS5_9ELb0ES3_jPlS8_PNS0_10empty_typeENS0_5tupleIJS8_S9_EEENSB_IJS8_SA_EEENS0_18inequality_wrapperIZN2at6native12_GLOBAL__N_124unique_dim_cuda_templateIjEESt5tupleIJNSF_6TensorESK_SK_EERKSK_lbbbEUlllE0_EEPmJS9_EEE10hipError_tPvRmT3_T4_T5_T6_T7_T9_mT8_P12ihipStream_tbDpT10_ENKUlT_T0_E_clISt17integral_constantIbLb1EES19_IbLb0EEEEDaS15_S16_EUlS15_E_NS1_11comp_targetILNS1_3genE2ELNS1_11target_archE906ELNS1_3gpuE6ELNS1_3repE0EEENS1_30default_config_static_selectorELNS0_4arch9wavefront6targetE0EEEvT1_.num_named_barrier, 0
	.set _ZN7rocprim17ROCPRIM_400000_NS6detail17trampoline_kernelINS0_14default_configENS1_25partition_config_selectorILNS1_17partition_subalgoE9EllbEEZZNS1_14partition_implILS5_9ELb0ES3_jPlS8_PNS0_10empty_typeENS0_5tupleIJS8_S9_EEENSB_IJS8_SA_EEENS0_18inequality_wrapperIZN2at6native12_GLOBAL__N_124unique_dim_cuda_templateIjEESt5tupleIJNSF_6TensorESK_SK_EERKSK_lbbbEUlllE0_EEPmJS9_EEE10hipError_tPvRmT3_T4_T5_T6_T7_T9_mT8_P12ihipStream_tbDpT10_ENKUlT_T0_E_clISt17integral_constantIbLb1EES19_IbLb0EEEEDaS15_S16_EUlS15_E_NS1_11comp_targetILNS1_3genE2ELNS1_11target_archE906ELNS1_3gpuE6ELNS1_3repE0EEENS1_30default_config_static_selectorELNS0_4arch9wavefront6targetE0EEEvT1_.private_seg_size, 0
	.set _ZN7rocprim17ROCPRIM_400000_NS6detail17trampoline_kernelINS0_14default_configENS1_25partition_config_selectorILNS1_17partition_subalgoE9EllbEEZZNS1_14partition_implILS5_9ELb0ES3_jPlS8_PNS0_10empty_typeENS0_5tupleIJS8_S9_EEENSB_IJS8_SA_EEENS0_18inequality_wrapperIZN2at6native12_GLOBAL__N_124unique_dim_cuda_templateIjEESt5tupleIJNSF_6TensorESK_SK_EERKSK_lbbbEUlllE0_EEPmJS9_EEE10hipError_tPvRmT3_T4_T5_T6_T7_T9_mT8_P12ihipStream_tbDpT10_ENKUlT_T0_E_clISt17integral_constantIbLb1EES19_IbLb0EEEEDaS15_S16_EUlS15_E_NS1_11comp_targetILNS1_3genE2ELNS1_11target_archE906ELNS1_3gpuE6ELNS1_3repE0EEENS1_30default_config_static_selectorELNS0_4arch9wavefront6targetE0EEEvT1_.uses_vcc, 0
	.set _ZN7rocprim17ROCPRIM_400000_NS6detail17trampoline_kernelINS0_14default_configENS1_25partition_config_selectorILNS1_17partition_subalgoE9EllbEEZZNS1_14partition_implILS5_9ELb0ES3_jPlS8_PNS0_10empty_typeENS0_5tupleIJS8_S9_EEENSB_IJS8_SA_EEENS0_18inequality_wrapperIZN2at6native12_GLOBAL__N_124unique_dim_cuda_templateIjEESt5tupleIJNSF_6TensorESK_SK_EERKSK_lbbbEUlllE0_EEPmJS9_EEE10hipError_tPvRmT3_T4_T5_T6_T7_T9_mT8_P12ihipStream_tbDpT10_ENKUlT_T0_E_clISt17integral_constantIbLb1EES19_IbLb0EEEEDaS15_S16_EUlS15_E_NS1_11comp_targetILNS1_3genE2ELNS1_11target_archE906ELNS1_3gpuE6ELNS1_3repE0EEENS1_30default_config_static_selectorELNS0_4arch9wavefront6targetE0EEEvT1_.uses_flat_scratch, 0
	.set _ZN7rocprim17ROCPRIM_400000_NS6detail17trampoline_kernelINS0_14default_configENS1_25partition_config_selectorILNS1_17partition_subalgoE9EllbEEZZNS1_14partition_implILS5_9ELb0ES3_jPlS8_PNS0_10empty_typeENS0_5tupleIJS8_S9_EEENSB_IJS8_SA_EEENS0_18inequality_wrapperIZN2at6native12_GLOBAL__N_124unique_dim_cuda_templateIjEESt5tupleIJNSF_6TensorESK_SK_EERKSK_lbbbEUlllE0_EEPmJS9_EEE10hipError_tPvRmT3_T4_T5_T6_T7_T9_mT8_P12ihipStream_tbDpT10_ENKUlT_T0_E_clISt17integral_constantIbLb1EES19_IbLb0EEEEDaS15_S16_EUlS15_E_NS1_11comp_targetILNS1_3genE2ELNS1_11target_archE906ELNS1_3gpuE6ELNS1_3repE0EEENS1_30default_config_static_selectorELNS0_4arch9wavefront6targetE0EEEvT1_.has_dyn_sized_stack, 0
	.set _ZN7rocprim17ROCPRIM_400000_NS6detail17trampoline_kernelINS0_14default_configENS1_25partition_config_selectorILNS1_17partition_subalgoE9EllbEEZZNS1_14partition_implILS5_9ELb0ES3_jPlS8_PNS0_10empty_typeENS0_5tupleIJS8_S9_EEENSB_IJS8_SA_EEENS0_18inequality_wrapperIZN2at6native12_GLOBAL__N_124unique_dim_cuda_templateIjEESt5tupleIJNSF_6TensorESK_SK_EERKSK_lbbbEUlllE0_EEPmJS9_EEE10hipError_tPvRmT3_T4_T5_T6_T7_T9_mT8_P12ihipStream_tbDpT10_ENKUlT_T0_E_clISt17integral_constantIbLb1EES19_IbLb0EEEEDaS15_S16_EUlS15_E_NS1_11comp_targetILNS1_3genE2ELNS1_11target_archE906ELNS1_3gpuE6ELNS1_3repE0EEENS1_30default_config_static_selectorELNS0_4arch9wavefront6targetE0EEEvT1_.has_recursion, 0
	.set _ZN7rocprim17ROCPRIM_400000_NS6detail17trampoline_kernelINS0_14default_configENS1_25partition_config_selectorILNS1_17partition_subalgoE9EllbEEZZNS1_14partition_implILS5_9ELb0ES3_jPlS8_PNS0_10empty_typeENS0_5tupleIJS8_S9_EEENSB_IJS8_SA_EEENS0_18inequality_wrapperIZN2at6native12_GLOBAL__N_124unique_dim_cuda_templateIjEESt5tupleIJNSF_6TensorESK_SK_EERKSK_lbbbEUlllE0_EEPmJS9_EEE10hipError_tPvRmT3_T4_T5_T6_T7_T9_mT8_P12ihipStream_tbDpT10_ENKUlT_T0_E_clISt17integral_constantIbLb1EES19_IbLb0EEEEDaS15_S16_EUlS15_E_NS1_11comp_targetILNS1_3genE2ELNS1_11target_archE906ELNS1_3gpuE6ELNS1_3repE0EEENS1_30default_config_static_selectorELNS0_4arch9wavefront6targetE0EEEvT1_.has_indirect_call, 0
	.section	.AMDGPU.csdata,"",@progbits
; Kernel info:
; codeLenInByte = 0
; TotalNumSgprs: 0
; NumVgprs: 0
; ScratchSize: 0
; MemoryBound: 0
; FloatMode: 240
; IeeeMode: 1
; LDSByteSize: 0 bytes/workgroup (compile time only)
; SGPRBlocks: 0
; VGPRBlocks: 0
; NumSGPRsForWavesPerEU: 1
; NumVGPRsForWavesPerEU: 1
; NamedBarCnt: 0
; Occupancy: 16
; WaveLimiterHint : 0
; COMPUTE_PGM_RSRC2:SCRATCH_EN: 0
; COMPUTE_PGM_RSRC2:USER_SGPR: 2
; COMPUTE_PGM_RSRC2:TRAP_HANDLER: 0
; COMPUTE_PGM_RSRC2:TGID_X_EN: 1
; COMPUTE_PGM_RSRC2:TGID_Y_EN: 0
; COMPUTE_PGM_RSRC2:TGID_Z_EN: 0
; COMPUTE_PGM_RSRC2:TIDIG_COMP_CNT: 0
	.section	.text._ZN7rocprim17ROCPRIM_400000_NS6detail17trampoline_kernelINS0_14default_configENS1_25partition_config_selectorILNS1_17partition_subalgoE9EllbEEZZNS1_14partition_implILS5_9ELb0ES3_jPlS8_PNS0_10empty_typeENS0_5tupleIJS8_S9_EEENSB_IJS8_SA_EEENS0_18inequality_wrapperIZN2at6native12_GLOBAL__N_124unique_dim_cuda_templateIjEESt5tupleIJNSF_6TensorESK_SK_EERKSK_lbbbEUlllE0_EEPmJS9_EEE10hipError_tPvRmT3_T4_T5_T6_T7_T9_mT8_P12ihipStream_tbDpT10_ENKUlT_T0_E_clISt17integral_constantIbLb1EES19_IbLb0EEEEDaS15_S16_EUlS15_E_NS1_11comp_targetILNS1_3genE10ELNS1_11target_archE1200ELNS1_3gpuE4ELNS1_3repE0EEENS1_30default_config_static_selectorELNS0_4arch9wavefront6targetE0EEEvT1_,"axG",@progbits,_ZN7rocprim17ROCPRIM_400000_NS6detail17trampoline_kernelINS0_14default_configENS1_25partition_config_selectorILNS1_17partition_subalgoE9EllbEEZZNS1_14partition_implILS5_9ELb0ES3_jPlS8_PNS0_10empty_typeENS0_5tupleIJS8_S9_EEENSB_IJS8_SA_EEENS0_18inequality_wrapperIZN2at6native12_GLOBAL__N_124unique_dim_cuda_templateIjEESt5tupleIJNSF_6TensorESK_SK_EERKSK_lbbbEUlllE0_EEPmJS9_EEE10hipError_tPvRmT3_T4_T5_T6_T7_T9_mT8_P12ihipStream_tbDpT10_ENKUlT_T0_E_clISt17integral_constantIbLb1EES19_IbLb0EEEEDaS15_S16_EUlS15_E_NS1_11comp_targetILNS1_3genE10ELNS1_11target_archE1200ELNS1_3gpuE4ELNS1_3repE0EEENS1_30default_config_static_selectorELNS0_4arch9wavefront6targetE0EEEvT1_,comdat
	.globl	_ZN7rocprim17ROCPRIM_400000_NS6detail17trampoline_kernelINS0_14default_configENS1_25partition_config_selectorILNS1_17partition_subalgoE9EllbEEZZNS1_14partition_implILS5_9ELb0ES3_jPlS8_PNS0_10empty_typeENS0_5tupleIJS8_S9_EEENSB_IJS8_SA_EEENS0_18inequality_wrapperIZN2at6native12_GLOBAL__N_124unique_dim_cuda_templateIjEESt5tupleIJNSF_6TensorESK_SK_EERKSK_lbbbEUlllE0_EEPmJS9_EEE10hipError_tPvRmT3_T4_T5_T6_T7_T9_mT8_P12ihipStream_tbDpT10_ENKUlT_T0_E_clISt17integral_constantIbLb1EES19_IbLb0EEEEDaS15_S16_EUlS15_E_NS1_11comp_targetILNS1_3genE10ELNS1_11target_archE1200ELNS1_3gpuE4ELNS1_3repE0EEENS1_30default_config_static_selectorELNS0_4arch9wavefront6targetE0EEEvT1_ ; -- Begin function _ZN7rocprim17ROCPRIM_400000_NS6detail17trampoline_kernelINS0_14default_configENS1_25partition_config_selectorILNS1_17partition_subalgoE9EllbEEZZNS1_14partition_implILS5_9ELb0ES3_jPlS8_PNS0_10empty_typeENS0_5tupleIJS8_S9_EEENSB_IJS8_SA_EEENS0_18inequality_wrapperIZN2at6native12_GLOBAL__N_124unique_dim_cuda_templateIjEESt5tupleIJNSF_6TensorESK_SK_EERKSK_lbbbEUlllE0_EEPmJS9_EEE10hipError_tPvRmT3_T4_T5_T6_T7_T9_mT8_P12ihipStream_tbDpT10_ENKUlT_T0_E_clISt17integral_constantIbLb1EES19_IbLb0EEEEDaS15_S16_EUlS15_E_NS1_11comp_targetILNS1_3genE10ELNS1_11target_archE1200ELNS1_3gpuE4ELNS1_3repE0EEENS1_30default_config_static_selectorELNS0_4arch9wavefront6targetE0EEEvT1_
	.p2align	8
	.type	_ZN7rocprim17ROCPRIM_400000_NS6detail17trampoline_kernelINS0_14default_configENS1_25partition_config_selectorILNS1_17partition_subalgoE9EllbEEZZNS1_14partition_implILS5_9ELb0ES3_jPlS8_PNS0_10empty_typeENS0_5tupleIJS8_S9_EEENSB_IJS8_SA_EEENS0_18inequality_wrapperIZN2at6native12_GLOBAL__N_124unique_dim_cuda_templateIjEESt5tupleIJNSF_6TensorESK_SK_EERKSK_lbbbEUlllE0_EEPmJS9_EEE10hipError_tPvRmT3_T4_T5_T6_T7_T9_mT8_P12ihipStream_tbDpT10_ENKUlT_T0_E_clISt17integral_constantIbLb1EES19_IbLb0EEEEDaS15_S16_EUlS15_E_NS1_11comp_targetILNS1_3genE10ELNS1_11target_archE1200ELNS1_3gpuE4ELNS1_3repE0EEENS1_30default_config_static_selectorELNS0_4arch9wavefront6targetE0EEEvT1_,@function
_ZN7rocprim17ROCPRIM_400000_NS6detail17trampoline_kernelINS0_14default_configENS1_25partition_config_selectorILNS1_17partition_subalgoE9EllbEEZZNS1_14partition_implILS5_9ELb0ES3_jPlS8_PNS0_10empty_typeENS0_5tupleIJS8_S9_EEENSB_IJS8_SA_EEENS0_18inequality_wrapperIZN2at6native12_GLOBAL__N_124unique_dim_cuda_templateIjEESt5tupleIJNSF_6TensorESK_SK_EERKSK_lbbbEUlllE0_EEPmJS9_EEE10hipError_tPvRmT3_T4_T5_T6_T7_T9_mT8_P12ihipStream_tbDpT10_ENKUlT_T0_E_clISt17integral_constantIbLb1EES19_IbLb0EEEEDaS15_S16_EUlS15_E_NS1_11comp_targetILNS1_3genE10ELNS1_11target_archE1200ELNS1_3gpuE4ELNS1_3repE0EEENS1_30default_config_static_selectorELNS0_4arch9wavefront6targetE0EEEvT1_: ; @_ZN7rocprim17ROCPRIM_400000_NS6detail17trampoline_kernelINS0_14default_configENS1_25partition_config_selectorILNS1_17partition_subalgoE9EllbEEZZNS1_14partition_implILS5_9ELb0ES3_jPlS8_PNS0_10empty_typeENS0_5tupleIJS8_S9_EEENSB_IJS8_SA_EEENS0_18inequality_wrapperIZN2at6native12_GLOBAL__N_124unique_dim_cuda_templateIjEESt5tupleIJNSF_6TensorESK_SK_EERKSK_lbbbEUlllE0_EEPmJS9_EEE10hipError_tPvRmT3_T4_T5_T6_T7_T9_mT8_P12ihipStream_tbDpT10_ENKUlT_T0_E_clISt17integral_constantIbLb1EES19_IbLb0EEEEDaS15_S16_EUlS15_E_NS1_11comp_targetILNS1_3genE10ELNS1_11target_archE1200ELNS1_3gpuE4ELNS1_3repE0EEENS1_30default_config_static_selectorELNS0_4arch9wavefront6targetE0EEEvT1_
; %bb.0:
	.section	.rodata,"a",@progbits
	.p2align	6, 0x0
	.amdhsa_kernel _ZN7rocprim17ROCPRIM_400000_NS6detail17trampoline_kernelINS0_14default_configENS1_25partition_config_selectorILNS1_17partition_subalgoE9EllbEEZZNS1_14partition_implILS5_9ELb0ES3_jPlS8_PNS0_10empty_typeENS0_5tupleIJS8_S9_EEENSB_IJS8_SA_EEENS0_18inequality_wrapperIZN2at6native12_GLOBAL__N_124unique_dim_cuda_templateIjEESt5tupleIJNSF_6TensorESK_SK_EERKSK_lbbbEUlllE0_EEPmJS9_EEE10hipError_tPvRmT3_T4_T5_T6_T7_T9_mT8_P12ihipStream_tbDpT10_ENKUlT_T0_E_clISt17integral_constantIbLb1EES19_IbLb0EEEEDaS15_S16_EUlS15_E_NS1_11comp_targetILNS1_3genE10ELNS1_11target_archE1200ELNS1_3gpuE4ELNS1_3repE0EEENS1_30default_config_static_selectorELNS0_4arch9wavefront6targetE0EEEvT1_
		.amdhsa_group_segment_fixed_size 0
		.amdhsa_private_segment_fixed_size 0
		.amdhsa_kernarg_size 120
		.amdhsa_user_sgpr_count 2
		.amdhsa_user_sgpr_dispatch_ptr 0
		.amdhsa_user_sgpr_queue_ptr 0
		.amdhsa_user_sgpr_kernarg_segment_ptr 1
		.amdhsa_user_sgpr_dispatch_id 0
		.amdhsa_user_sgpr_kernarg_preload_length 0
		.amdhsa_user_sgpr_kernarg_preload_offset 0
		.amdhsa_user_sgpr_private_segment_size 0
		.amdhsa_wavefront_size32 1
		.amdhsa_uses_dynamic_stack 0
		.amdhsa_enable_private_segment 0
		.amdhsa_system_sgpr_workgroup_id_x 1
		.amdhsa_system_sgpr_workgroup_id_y 0
		.amdhsa_system_sgpr_workgroup_id_z 0
		.amdhsa_system_sgpr_workgroup_info 0
		.amdhsa_system_vgpr_workitem_id 0
		.amdhsa_next_free_vgpr 1
		.amdhsa_next_free_sgpr 1
		.amdhsa_named_barrier_count 0
		.amdhsa_reserve_vcc 0
		.amdhsa_float_round_mode_32 0
		.amdhsa_float_round_mode_16_64 0
		.amdhsa_float_denorm_mode_32 3
		.amdhsa_float_denorm_mode_16_64 3
		.amdhsa_fp16_overflow 0
		.amdhsa_memory_ordered 1
		.amdhsa_forward_progress 1
		.amdhsa_inst_pref_size 0
		.amdhsa_round_robin_scheduling 0
		.amdhsa_exception_fp_ieee_invalid_op 0
		.amdhsa_exception_fp_denorm_src 0
		.amdhsa_exception_fp_ieee_div_zero 0
		.amdhsa_exception_fp_ieee_overflow 0
		.amdhsa_exception_fp_ieee_underflow 0
		.amdhsa_exception_fp_ieee_inexact 0
		.amdhsa_exception_int_div_zero 0
	.end_amdhsa_kernel
	.section	.text._ZN7rocprim17ROCPRIM_400000_NS6detail17trampoline_kernelINS0_14default_configENS1_25partition_config_selectorILNS1_17partition_subalgoE9EllbEEZZNS1_14partition_implILS5_9ELb0ES3_jPlS8_PNS0_10empty_typeENS0_5tupleIJS8_S9_EEENSB_IJS8_SA_EEENS0_18inequality_wrapperIZN2at6native12_GLOBAL__N_124unique_dim_cuda_templateIjEESt5tupleIJNSF_6TensorESK_SK_EERKSK_lbbbEUlllE0_EEPmJS9_EEE10hipError_tPvRmT3_T4_T5_T6_T7_T9_mT8_P12ihipStream_tbDpT10_ENKUlT_T0_E_clISt17integral_constantIbLb1EES19_IbLb0EEEEDaS15_S16_EUlS15_E_NS1_11comp_targetILNS1_3genE10ELNS1_11target_archE1200ELNS1_3gpuE4ELNS1_3repE0EEENS1_30default_config_static_selectorELNS0_4arch9wavefront6targetE0EEEvT1_,"axG",@progbits,_ZN7rocprim17ROCPRIM_400000_NS6detail17trampoline_kernelINS0_14default_configENS1_25partition_config_selectorILNS1_17partition_subalgoE9EllbEEZZNS1_14partition_implILS5_9ELb0ES3_jPlS8_PNS0_10empty_typeENS0_5tupleIJS8_S9_EEENSB_IJS8_SA_EEENS0_18inequality_wrapperIZN2at6native12_GLOBAL__N_124unique_dim_cuda_templateIjEESt5tupleIJNSF_6TensorESK_SK_EERKSK_lbbbEUlllE0_EEPmJS9_EEE10hipError_tPvRmT3_T4_T5_T6_T7_T9_mT8_P12ihipStream_tbDpT10_ENKUlT_T0_E_clISt17integral_constantIbLb1EES19_IbLb0EEEEDaS15_S16_EUlS15_E_NS1_11comp_targetILNS1_3genE10ELNS1_11target_archE1200ELNS1_3gpuE4ELNS1_3repE0EEENS1_30default_config_static_selectorELNS0_4arch9wavefront6targetE0EEEvT1_,comdat
.Lfunc_end1594:
	.size	_ZN7rocprim17ROCPRIM_400000_NS6detail17trampoline_kernelINS0_14default_configENS1_25partition_config_selectorILNS1_17partition_subalgoE9EllbEEZZNS1_14partition_implILS5_9ELb0ES3_jPlS8_PNS0_10empty_typeENS0_5tupleIJS8_S9_EEENSB_IJS8_SA_EEENS0_18inequality_wrapperIZN2at6native12_GLOBAL__N_124unique_dim_cuda_templateIjEESt5tupleIJNSF_6TensorESK_SK_EERKSK_lbbbEUlllE0_EEPmJS9_EEE10hipError_tPvRmT3_T4_T5_T6_T7_T9_mT8_P12ihipStream_tbDpT10_ENKUlT_T0_E_clISt17integral_constantIbLb1EES19_IbLb0EEEEDaS15_S16_EUlS15_E_NS1_11comp_targetILNS1_3genE10ELNS1_11target_archE1200ELNS1_3gpuE4ELNS1_3repE0EEENS1_30default_config_static_selectorELNS0_4arch9wavefront6targetE0EEEvT1_, .Lfunc_end1594-_ZN7rocprim17ROCPRIM_400000_NS6detail17trampoline_kernelINS0_14default_configENS1_25partition_config_selectorILNS1_17partition_subalgoE9EllbEEZZNS1_14partition_implILS5_9ELb0ES3_jPlS8_PNS0_10empty_typeENS0_5tupleIJS8_S9_EEENSB_IJS8_SA_EEENS0_18inequality_wrapperIZN2at6native12_GLOBAL__N_124unique_dim_cuda_templateIjEESt5tupleIJNSF_6TensorESK_SK_EERKSK_lbbbEUlllE0_EEPmJS9_EEE10hipError_tPvRmT3_T4_T5_T6_T7_T9_mT8_P12ihipStream_tbDpT10_ENKUlT_T0_E_clISt17integral_constantIbLb1EES19_IbLb0EEEEDaS15_S16_EUlS15_E_NS1_11comp_targetILNS1_3genE10ELNS1_11target_archE1200ELNS1_3gpuE4ELNS1_3repE0EEENS1_30default_config_static_selectorELNS0_4arch9wavefront6targetE0EEEvT1_
                                        ; -- End function
	.set _ZN7rocprim17ROCPRIM_400000_NS6detail17trampoline_kernelINS0_14default_configENS1_25partition_config_selectorILNS1_17partition_subalgoE9EllbEEZZNS1_14partition_implILS5_9ELb0ES3_jPlS8_PNS0_10empty_typeENS0_5tupleIJS8_S9_EEENSB_IJS8_SA_EEENS0_18inequality_wrapperIZN2at6native12_GLOBAL__N_124unique_dim_cuda_templateIjEESt5tupleIJNSF_6TensorESK_SK_EERKSK_lbbbEUlllE0_EEPmJS9_EEE10hipError_tPvRmT3_T4_T5_T6_T7_T9_mT8_P12ihipStream_tbDpT10_ENKUlT_T0_E_clISt17integral_constantIbLb1EES19_IbLb0EEEEDaS15_S16_EUlS15_E_NS1_11comp_targetILNS1_3genE10ELNS1_11target_archE1200ELNS1_3gpuE4ELNS1_3repE0EEENS1_30default_config_static_selectorELNS0_4arch9wavefront6targetE0EEEvT1_.num_vgpr, 0
	.set _ZN7rocprim17ROCPRIM_400000_NS6detail17trampoline_kernelINS0_14default_configENS1_25partition_config_selectorILNS1_17partition_subalgoE9EllbEEZZNS1_14partition_implILS5_9ELb0ES3_jPlS8_PNS0_10empty_typeENS0_5tupleIJS8_S9_EEENSB_IJS8_SA_EEENS0_18inequality_wrapperIZN2at6native12_GLOBAL__N_124unique_dim_cuda_templateIjEESt5tupleIJNSF_6TensorESK_SK_EERKSK_lbbbEUlllE0_EEPmJS9_EEE10hipError_tPvRmT3_T4_T5_T6_T7_T9_mT8_P12ihipStream_tbDpT10_ENKUlT_T0_E_clISt17integral_constantIbLb1EES19_IbLb0EEEEDaS15_S16_EUlS15_E_NS1_11comp_targetILNS1_3genE10ELNS1_11target_archE1200ELNS1_3gpuE4ELNS1_3repE0EEENS1_30default_config_static_selectorELNS0_4arch9wavefront6targetE0EEEvT1_.num_agpr, 0
	.set _ZN7rocprim17ROCPRIM_400000_NS6detail17trampoline_kernelINS0_14default_configENS1_25partition_config_selectorILNS1_17partition_subalgoE9EllbEEZZNS1_14partition_implILS5_9ELb0ES3_jPlS8_PNS0_10empty_typeENS0_5tupleIJS8_S9_EEENSB_IJS8_SA_EEENS0_18inequality_wrapperIZN2at6native12_GLOBAL__N_124unique_dim_cuda_templateIjEESt5tupleIJNSF_6TensorESK_SK_EERKSK_lbbbEUlllE0_EEPmJS9_EEE10hipError_tPvRmT3_T4_T5_T6_T7_T9_mT8_P12ihipStream_tbDpT10_ENKUlT_T0_E_clISt17integral_constantIbLb1EES19_IbLb0EEEEDaS15_S16_EUlS15_E_NS1_11comp_targetILNS1_3genE10ELNS1_11target_archE1200ELNS1_3gpuE4ELNS1_3repE0EEENS1_30default_config_static_selectorELNS0_4arch9wavefront6targetE0EEEvT1_.numbered_sgpr, 0
	.set _ZN7rocprim17ROCPRIM_400000_NS6detail17trampoline_kernelINS0_14default_configENS1_25partition_config_selectorILNS1_17partition_subalgoE9EllbEEZZNS1_14partition_implILS5_9ELb0ES3_jPlS8_PNS0_10empty_typeENS0_5tupleIJS8_S9_EEENSB_IJS8_SA_EEENS0_18inequality_wrapperIZN2at6native12_GLOBAL__N_124unique_dim_cuda_templateIjEESt5tupleIJNSF_6TensorESK_SK_EERKSK_lbbbEUlllE0_EEPmJS9_EEE10hipError_tPvRmT3_T4_T5_T6_T7_T9_mT8_P12ihipStream_tbDpT10_ENKUlT_T0_E_clISt17integral_constantIbLb1EES19_IbLb0EEEEDaS15_S16_EUlS15_E_NS1_11comp_targetILNS1_3genE10ELNS1_11target_archE1200ELNS1_3gpuE4ELNS1_3repE0EEENS1_30default_config_static_selectorELNS0_4arch9wavefront6targetE0EEEvT1_.num_named_barrier, 0
	.set _ZN7rocprim17ROCPRIM_400000_NS6detail17trampoline_kernelINS0_14default_configENS1_25partition_config_selectorILNS1_17partition_subalgoE9EllbEEZZNS1_14partition_implILS5_9ELb0ES3_jPlS8_PNS0_10empty_typeENS0_5tupleIJS8_S9_EEENSB_IJS8_SA_EEENS0_18inequality_wrapperIZN2at6native12_GLOBAL__N_124unique_dim_cuda_templateIjEESt5tupleIJNSF_6TensorESK_SK_EERKSK_lbbbEUlllE0_EEPmJS9_EEE10hipError_tPvRmT3_T4_T5_T6_T7_T9_mT8_P12ihipStream_tbDpT10_ENKUlT_T0_E_clISt17integral_constantIbLb1EES19_IbLb0EEEEDaS15_S16_EUlS15_E_NS1_11comp_targetILNS1_3genE10ELNS1_11target_archE1200ELNS1_3gpuE4ELNS1_3repE0EEENS1_30default_config_static_selectorELNS0_4arch9wavefront6targetE0EEEvT1_.private_seg_size, 0
	.set _ZN7rocprim17ROCPRIM_400000_NS6detail17trampoline_kernelINS0_14default_configENS1_25partition_config_selectorILNS1_17partition_subalgoE9EllbEEZZNS1_14partition_implILS5_9ELb0ES3_jPlS8_PNS0_10empty_typeENS0_5tupleIJS8_S9_EEENSB_IJS8_SA_EEENS0_18inequality_wrapperIZN2at6native12_GLOBAL__N_124unique_dim_cuda_templateIjEESt5tupleIJNSF_6TensorESK_SK_EERKSK_lbbbEUlllE0_EEPmJS9_EEE10hipError_tPvRmT3_T4_T5_T6_T7_T9_mT8_P12ihipStream_tbDpT10_ENKUlT_T0_E_clISt17integral_constantIbLb1EES19_IbLb0EEEEDaS15_S16_EUlS15_E_NS1_11comp_targetILNS1_3genE10ELNS1_11target_archE1200ELNS1_3gpuE4ELNS1_3repE0EEENS1_30default_config_static_selectorELNS0_4arch9wavefront6targetE0EEEvT1_.uses_vcc, 0
	.set _ZN7rocprim17ROCPRIM_400000_NS6detail17trampoline_kernelINS0_14default_configENS1_25partition_config_selectorILNS1_17partition_subalgoE9EllbEEZZNS1_14partition_implILS5_9ELb0ES3_jPlS8_PNS0_10empty_typeENS0_5tupleIJS8_S9_EEENSB_IJS8_SA_EEENS0_18inequality_wrapperIZN2at6native12_GLOBAL__N_124unique_dim_cuda_templateIjEESt5tupleIJNSF_6TensorESK_SK_EERKSK_lbbbEUlllE0_EEPmJS9_EEE10hipError_tPvRmT3_T4_T5_T6_T7_T9_mT8_P12ihipStream_tbDpT10_ENKUlT_T0_E_clISt17integral_constantIbLb1EES19_IbLb0EEEEDaS15_S16_EUlS15_E_NS1_11comp_targetILNS1_3genE10ELNS1_11target_archE1200ELNS1_3gpuE4ELNS1_3repE0EEENS1_30default_config_static_selectorELNS0_4arch9wavefront6targetE0EEEvT1_.uses_flat_scratch, 0
	.set _ZN7rocprim17ROCPRIM_400000_NS6detail17trampoline_kernelINS0_14default_configENS1_25partition_config_selectorILNS1_17partition_subalgoE9EllbEEZZNS1_14partition_implILS5_9ELb0ES3_jPlS8_PNS0_10empty_typeENS0_5tupleIJS8_S9_EEENSB_IJS8_SA_EEENS0_18inequality_wrapperIZN2at6native12_GLOBAL__N_124unique_dim_cuda_templateIjEESt5tupleIJNSF_6TensorESK_SK_EERKSK_lbbbEUlllE0_EEPmJS9_EEE10hipError_tPvRmT3_T4_T5_T6_T7_T9_mT8_P12ihipStream_tbDpT10_ENKUlT_T0_E_clISt17integral_constantIbLb1EES19_IbLb0EEEEDaS15_S16_EUlS15_E_NS1_11comp_targetILNS1_3genE10ELNS1_11target_archE1200ELNS1_3gpuE4ELNS1_3repE0EEENS1_30default_config_static_selectorELNS0_4arch9wavefront6targetE0EEEvT1_.has_dyn_sized_stack, 0
	.set _ZN7rocprim17ROCPRIM_400000_NS6detail17trampoline_kernelINS0_14default_configENS1_25partition_config_selectorILNS1_17partition_subalgoE9EllbEEZZNS1_14partition_implILS5_9ELb0ES3_jPlS8_PNS0_10empty_typeENS0_5tupleIJS8_S9_EEENSB_IJS8_SA_EEENS0_18inequality_wrapperIZN2at6native12_GLOBAL__N_124unique_dim_cuda_templateIjEESt5tupleIJNSF_6TensorESK_SK_EERKSK_lbbbEUlllE0_EEPmJS9_EEE10hipError_tPvRmT3_T4_T5_T6_T7_T9_mT8_P12ihipStream_tbDpT10_ENKUlT_T0_E_clISt17integral_constantIbLb1EES19_IbLb0EEEEDaS15_S16_EUlS15_E_NS1_11comp_targetILNS1_3genE10ELNS1_11target_archE1200ELNS1_3gpuE4ELNS1_3repE0EEENS1_30default_config_static_selectorELNS0_4arch9wavefront6targetE0EEEvT1_.has_recursion, 0
	.set _ZN7rocprim17ROCPRIM_400000_NS6detail17trampoline_kernelINS0_14default_configENS1_25partition_config_selectorILNS1_17partition_subalgoE9EllbEEZZNS1_14partition_implILS5_9ELb0ES3_jPlS8_PNS0_10empty_typeENS0_5tupleIJS8_S9_EEENSB_IJS8_SA_EEENS0_18inequality_wrapperIZN2at6native12_GLOBAL__N_124unique_dim_cuda_templateIjEESt5tupleIJNSF_6TensorESK_SK_EERKSK_lbbbEUlllE0_EEPmJS9_EEE10hipError_tPvRmT3_T4_T5_T6_T7_T9_mT8_P12ihipStream_tbDpT10_ENKUlT_T0_E_clISt17integral_constantIbLb1EES19_IbLb0EEEEDaS15_S16_EUlS15_E_NS1_11comp_targetILNS1_3genE10ELNS1_11target_archE1200ELNS1_3gpuE4ELNS1_3repE0EEENS1_30default_config_static_selectorELNS0_4arch9wavefront6targetE0EEEvT1_.has_indirect_call, 0
	.section	.AMDGPU.csdata,"",@progbits
; Kernel info:
; codeLenInByte = 0
; TotalNumSgprs: 0
; NumVgprs: 0
; ScratchSize: 0
; MemoryBound: 0
; FloatMode: 240
; IeeeMode: 1
; LDSByteSize: 0 bytes/workgroup (compile time only)
; SGPRBlocks: 0
; VGPRBlocks: 0
; NumSGPRsForWavesPerEU: 1
; NumVGPRsForWavesPerEU: 1
; NamedBarCnt: 0
; Occupancy: 16
; WaveLimiterHint : 0
; COMPUTE_PGM_RSRC2:SCRATCH_EN: 0
; COMPUTE_PGM_RSRC2:USER_SGPR: 2
; COMPUTE_PGM_RSRC2:TRAP_HANDLER: 0
; COMPUTE_PGM_RSRC2:TGID_X_EN: 1
; COMPUTE_PGM_RSRC2:TGID_Y_EN: 0
; COMPUTE_PGM_RSRC2:TGID_Z_EN: 0
; COMPUTE_PGM_RSRC2:TIDIG_COMP_CNT: 0
	.section	.text._ZN7rocprim17ROCPRIM_400000_NS6detail17trampoline_kernelINS0_14default_configENS1_25partition_config_selectorILNS1_17partition_subalgoE9EllbEEZZNS1_14partition_implILS5_9ELb0ES3_jPlS8_PNS0_10empty_typeENS0_5tupleIJS8_S9_EEENSB_IJS8_SA_EEENS0_18inequality_wrapperIZN2at6native12_GLOBAL__N_124unique_dim_cuda_templateIjEESt5tupleIJNSF_6TensorESK_SK_EERKSK_lbbbEUlllE0_EEPmJS9_EEE10hipError_tPvRmT3_T4_T5_T6_T7_T9_mT8_P12ihipStream_tbDpT10_ENKUlT_T0_E_clISt17integral_constantIbLb1EES19_IbLb0EEEEDaS15_S16_EUlS15_E_NS1_11comp_targetILNS1_3genE9ELNS1_11target_archE1100ELNS1_3gpuE3ELNS1_3repE0EEENS1_30default_config_static_selectorELNS0_4arch9wavefront6targetE0EEEvT1_,"axG",@progbits,_ZN7rocprim17ROCPRIM_400000_NS6detail17trampoline_kernelINS0_14default_configENS1_25partition_config_selectorILNS1_17partition_subalgoE9EllbEEZZNS1_14partition_implILS5_9ELb0ES3_jPlS8_PNS0_10empty_typeENS0_5tupleIJS8_S9_EEENSB_IJS8_SA_EEENS0_18inequality_wrapperIZN2at6native12_GLOBAL__N_124unique_dim_cuda_templateIjEESt5tupleIJNSF_6TensorESK_SK_EERKSK_lbbbEUlllE0_EEPmJS9_EEE10hipError_tPvRmT3_T4_T5_T6_T7_T9_mT8_P12ihipStream_tbDpT10_ENKUlT_T0_E_clISt17integral_constantIbLb1EES19_IbLb0EEEEDaS15_S16_EUlS15_E_NS1_11comp_targetILNS1_3genE9ELNS1_11target_archE1100ELNS1_3gpuE3ELNS1_3repE0EEENS1_30default_config_static_selectorELNS0_4arch9wavefront6targetE0EEEvT1_,comdat
	.globl	_ZN7rocprim17ROCPRIM_400000_NS6detail17trampoline_kernelINS0_14default_configENS1_25partition_config_selectorILNS1_17partition_subalgoE9EllbEEZZNS1_14partition_implILS5_9ELb0ES3_jPlS8_PNS0_10empty_typeENS0_5tupleIJS8_S9_EEENSB_IJS8_SA_EEENS0_18inequality_wrapperIZN2at6native12_GLOBAL__N_124unique_dim_cuda_templateIjEESt5tupleIJNSF_6TensorESK_SK_EERKSK_lbbbEUlllE0_EEPmJS9_EEE10hipError_tPvRmT3_T4_T5_T6_T7_T9_mT8_P12ihipStream_tbDpT10_ENKUlT_T0_E_clISt17integral_constantIbLb1EES19_IbLb0EEEEDaS15_S16_EUlS15_E_NS1_11comp_targetILNS1_3genE9ELNS1_11target_archE1100ELNS1_3gpuE3ELNS1_3repE0EEENS1_30default_config_static_selectorELNS0_4arch9wavefront6targetE0EEEvT1_ ; -- Begin function _ZN7rocprim17ROCPRIM_400000_NS6detail17trampoline_kernelINS0_14default_configENS1_25partition_config_selectorILNS1_17partition_subalgoE9EllbEEZZNS1_14partition_implILS5_9ELb0ES3_jPlS8_PNS0_10empty_typeENS0_5tupleIJS8_S9_EEENSB_IJS8_SA_EEENS0_18inequality_wrapperIZN2at6native12_GLOBAL__N_124unique_dim_cuda_templateIjEESt5tupleIJNSF_6TensorESK_SK_EERKSK_lbbbEUlllE0_EEPmJS9_EEE10hipError_tPvRmT3_T4_T5_T6_T7_T9_mT8_P12ihipStream_tbDpT10_ENKUlT_T0_E_clISt17integral_constantIbLb1EES19_IbLb0EEEEDaS15_S16_EUlS15_E_NS1_11comp_targetILNS1_3genE9ELNS1_11target_archE1100ELNS1_3gpuE3ELNS1_3repE0EEENS1_30default_config_static_selectorELNS0_4arch9wavefront6targetE0EEEvT1_
	.p2align	8
	.type	_ZN7rocprim17ROCPRIM_400000_NS6detail17trampoline_kernelINS0_14default_configENS1_25partition_config_selectorILNS1_17partition_subalgoE9EllbEEZZNS1_14partition_implILS5_9ELb0ES3_jPlS8_PNS0_10empty_typeENS0_5tupleIJS8_S9_EEENSB_IJS8_SA_EEENS0_18inequality_wrapperIZN2at6native12_GLOBAL__N_124unique_dim_cuda_templateIjEESt5tupleIJNSF_6TensorESK_SK_EERKSK_lbbbEUlllE0_EEPmJS9_EEE10hipError_tPvRmT3_T4_T5_T6_T7_T9_mT8_P12ihipStream_tbDpT10_ENKUlT_T0_E_clISt17integral_constantIbLb1EES19_IbLb0EEEEDaS15_S16_EUlS15_E_NS1_11comp_targetILNS1_3genE9ELNS1_11target_archE1100ELNS1_3gpuE3ELNS1_3repE0EEENS1_30default_config_static_selectorELNS0_4arch9wavefront6targetE0EEEvT1_,@function
_ZN7rocprim17ROCPRIM_400000_NS6detail17trampoline_kernelINS0_14default_configENS1_25partition_config_selectorILNS1_17partition_subalgoE9EllbEEZZNS1_14partition_implILS5_9ELb0ES3_jPlS8_PNS0_10empty_typeENS0_5tupleIJS8_S9_EEENSB_IJS8_SA_EEENS0_18inequality_wrapperIZN2at6native12_GLOBAL__N_124unique_dim_cuda_templateIjEESt5tupleIJNSF_6TensorESK_SK_EERKSK_lbbbEUlllE0_EEPmJS9_EEE10hipError_tPvRmT3_T4_T5_T6_T7_T9_mT8_P12ihipStream_tbDpT10_ENKUlT_T0_E_clISt17integral_constantIbLb1EES19_IbLb0EEEEDaS15_S16_EUlS15_E_NS1_11comp_targetILNS1_3genE9ELNS1_11target_archE1100ELNS1_3gpuE3ELNS1_3repE0EEENS1_30default_config_static_selectorELNS0_4arch9wavefront6targetE0EEEvT1_: ; @_ZN7rocprim17ROCPRIM_400000_NS6detail17trampoline_kernelINS0_14default_configENS1_25partition_config_selectorILNS1_17partition_subalgoE9EllbEEZZNS1_14partition_implILS5_9ELb0ES3_jPlS8_PNS0_10empty_typeENS0_5tupleIJS8_S9_EEENSB_IJS8_SA_EEENS0_18inequality_wrapperIZN2at6native12_GLOBAL__N_124unique_dim_cuda_templateIjEESt5tupleIJNSF_6TensorESK_SK_EERKSK_lbbbEUlllE0_EEPmJS9_EEE10hipError_tPvRmT3_T4_T5_T6_T7_T9_mT8_P12ihipStream_tbDpT10_ENKUlT_T0_E_clISt17integral_constantIbLb1EES19_IbLb0EEEEDaS15_S16_EUlS15_E_NS1_11comp_targetILNS1_3genE9ELNS1_11target_archE1100ELNS1_3gpuE3ELNS1_3repE0EEENS1_30default_config_static_selectorELNS0_4arch9wavefront6targetE0EEEvT1_
; %bb.0:
	.section	.rodata,"a",@progbits
	.p2align	6, 0x0
	.amdhsa_kernel _ZN7rocprim17ROCPRIM_400000_NS6detail17trampoline_kernelINS0_14default_configENS1_25partition_config_selectorILNS1_17partition_subalgoE9EllbEEZZNS1_14partition_implILS5_9ELb0ES3_jPlS8_PNS0_10empty_typeENS0_5tupleIJS8_S9_EEENSB_IJS8_SA_EEENS0_18inequality_wrapperIZN2at6native12_GLOBAL__N_124unique_dim_cuda_templateIjEESt5tupleIJNSF_6TensorESK_SK_EERKSK_lbbbEUlllE0_EEPmJS9_EEE10hipError_tPvRmT3_T4_T5_T6_T7_T9_mT8_P12ihipStream_tbDpT10_ENKUlT_T0_E_clISt17integral_constantIbLb1EES19_IbLb0EEEEDaS15_S16_EUlS15_E_NS1_11comp_targetILNS1_3genE9ELNS1_11target_archE1100ELNS1_3gpuE3ELNS1_3repE0EEENS1_30default_config_static_selectorELNS0_4arch9wavefront6targetE0EEEvT1_
		.amdhsa_group_segment_fixed_size 0
		.amdhsa_private_segment_fixed_size 0
		.amdhsa_kernarg_size 120
		.amdhsa_user_sgpr_count 2
		.amdhsa_user_sgpr_dispatch_ptr 0
		.amdhsa_user_sgpr_queue_ptr 0
		.amdhsa_user_sgpr_kernarg_segment_ptr 1
		.amdhsa_user_sgpr_dispatch_id 0
		.amdhsa_user_sgpr_kernarg_preload_length 0
		.amdhsa_user_sgpr_kernarg_preload_offset 0
		.amdhsa_user_sgpr_private_segment_size 0
		.amdhsa_wavefront_size32 1
		.amdhsa_uses_dynamic_stack 0
		.amdhsa_enable_private_segment 0
		.amdhsa_system_sgpr_workgroup_id_x 1
		.amdhsa_system_sgpr_workgroup_id_y 0
		.amdhsa_system_sgpr_workgroup_id_z 0
		.amdhsa_system_sgpr_workgroup_info 0
		.amdhsa_system_vgpr_workitem_id 0
		.amdhsa_next_free_vgpr 1
		.amdhsa_next_free_sgpr 1
		.amdhsa_named_barrier_count 0
		.amdhsa_reserve_vcc 0
		.amdhsa_float_round_mode_32 0
		.amdhsa_float_round_mode_16_64 0
		.amdhsa_float_denorm_mode_32 3
		.amdhsa_float_denorm_mode_16_64 3
		.amdhsa_fp16_overflow 0
		.amdhsa_memory_ordered 1
		.amdhsa_forward_progress 1
		.amdhsa_inst_pref_size 0
		.amdhsa_round_robin_scheduling 0
		.amdhsa_exception_fp_ieee_invalid_op 0
		.amdhsa_exception_fp_denorm_src 0
		.amdhsa_exception_fp_ieee_div_zero 0
		.amdhsa_exception_fp_ieee_overflow 0
		.amdhsa_exception_fp_ieee_underflow 0
		.amdhsa_exception_fp_ieee_inexact 0
		.amdhsa_exception_int_div_zero 0
	.end_amdhsa_kernel
	.section	.text._ZN7rocprim17ROCPRIM_400000_NS6detail17trampoline_kernelINS0_14default_configENS1_25partition_config_selectorILNS1_17partition_subalgoE9EllbEEZZNS1_14partition_implILS5_9ELb0ES3_jPlS8_PNS0_10empty_typeENS0_5tupleIJS8_S9_EEENSB_IJS8_SA_EEENS0_18inequality_wrapperIZN2at6native12_GLOBAL__N_124unique_dim_cuda_templateIjEESt5tupleIJNSF_6TensorESK_SK_EERKSK_lbbbEUlllE0_EEPmJS9_EEE10hipError_tPvRmT3_T4_T5_T6_T7_T9_mT8_P12ihipStream_tbDpT10_ENKUlT_T0_E_clISt17integral_constantIbLb1EES19_IbLb0EEEEDaS15_S16_EUlS15_E_NS1_11comp_targetILNS1_3genE9ELNS1_11target_archE1100ELNS1_3gpuE3ELNS1_3repE0EEENS1_30default_config_static_selectorELNS0_4arch9wavefront6targetE0EEEvT1_,"axG",@progbits,_ZN7rocprim17ROCPRIM_400000_NS6detail17trampoline_kernelINS0_14default_configENS1_25partition_config_selectorILNS1_17partition_subalgoE9EllbEEZZNS1_14partition_implILS5_9ELb0ES3_jPlS8_PNS0_10empty_typeENS0_5tupleIJS8_S9_EEENSB_IJS8_SA_EEENS0_18inequality_wrapperIZN2at6native12_GLOBAL__N_124unique_dim_cuda_templateIjEESt5tupleIJNSF_6TensorESK_SK_EERKSK_lbbbEUlllE0_EEPmJS9_EEE10hipError_tPvRmT3_T4_T5_T6_T7_T9_mT8_P12ihipStream_tbDpT10_ENKUlT_T0_E_clISt17integral_constantIbLb1EES19_IbLb0EEEEDaS15_S16_EUlS15_E_NS1_11comp_targetILNS1_3genE9ELNS1_11target_archE1100ELNS1_3gpuE3ELNS1_3repE0EEENS1_30default_config_static_selectorELNS0_4arch9wavefront6targetE0EEEvT1_,comdat
.Lfunc_end1595:
	.size	_ZN7rocprim17ROCPRIM_400000_NS6detail17trampoline_kernelINS0_14default_configENS1_25partition_config_selectorILNS1_17partition_subalgoE9EllbEEZZNS1_14partition_implILS5_9ELb0ES3_jPlS8_PNS0_10empty_typeENS0_5tupleIJS8_S9_EEENSB_IJS8_SA_EEENS0_18inequality_wrapperIZN2at6native12_GLOBAL__N_124unique_dim_cuda_templateIjEESt5tupleIJNSF_6TensorESK_SK_EERKSK_lbbbEUlllE0_EEPmJS9_EEE10hipError_tPvRmT3_T4_T5_T6_T7_T9_mT8_P12ihipStream_tbDpT10_ENKUlT_T0_E_clISt17integral_constantIbLb1EES19_IbLb0EEEEDaS15_S16_EUlS15_E_NS1_11comp_targetILNS1_3genE9ELNS1_11target_archE1100ELNS1_3gpuE3ELNS1_3repE0EEENS1_30default_config_static_selectorELNS0_4arch9wavefront6targetE0EEEvT1_, .Lfunc_end1595-_ZN7rocprim17ROCPRIM_400000_NS6detail17trampoline_kernelINS0_14default_configENS1_25partition_config_selectorILNS1_17partition_subalgoE9EllbEEZZNS1_14partition_implILS5_9ELb0ES3_jPlS8_PNS0_10empty_typeENS0_5tupleIJS8_S9_EEENSB_IJS8_SA_EEENS0_18inequality_wrapperIZN2at6native12_GLOBAL__N_124unique_dim_cuda_templateIjEESt5tupleIJNSF_6TensorESK_SK_EERKSK_lbbbEUlllE0_EEPmJS9_EEE10hipError_tPvRmT3_T4_T5_T6_T7_T9_mT8_P12ihipStream_tbDpT10_ENKUlT_T0_E_clISt17integral_constantIbLb1EES19_IbLb0EEEEDaS15_S16_EUlS15_E_NS1_11comp_targetILNS1_3genE9ELNS1_11target_archE1100ELNS1_3gpuE3ELNS1_3repE0EEENS1_30default_config_static_selectorELNS0_4arch9wavefront6targetE0EEEvT1_
                                        ; -- End function
	.set _ZN7rocprim17ROCPRIM_400000_NS6detail17trampoline_kernelINS0_14default_configENS1_25partition_config_selectorILNS1_17partition_subalgoE9EllbEEZZNS1_14partition_implILS5_9ELb0ES3_jPlS8_PNS0_10empty_typeENS0_5tupleIJS8_S9_EEENSB_IJS8_SA_EEENS0_18inequality_wrapperIZN2at6native12_GLOBAL__N_124unique_dim_cuda_templateIjEESt5tupleIJNSF_6TensorESK_SK_EERKSK_lbbbEUlllE0_EEPmJS9_EEE10hipError_tPvRmT3_T4_T5_T6_T7_T9_mT8_P12ihipStream_tbDpT10_ENKUlT_T0_E_clISt17integral_constantIbLb1EES19_IbLb0EEEEDaS15_S16_EUlS15_E_NS1_11comp_targetILNS1_3genE9ELNS1_11target_archE1100ELNS1_3gpuE3ELNS1_3repE0EEENS1_30default_config_static_selectorELNS0_4arch9wavefront6targetE0EEEvT1_.num_vgpr, 0
	.set _ZN7rocprim17ROCPRIM_400000_NS6detail17trampoline_kernelINS0_14default_configENS1_25partition_config_selectorILNS1_17partition_subalgoE9EllbEEZZNS1_14partition_implILS5_9ELb0ES3_jPlS8_PNS0_10empty_typeENS0_5tupleIJS8_S9_EEENSB_IJS8_SA_EEENS0_18inequality_wrapperIZN2at6native12_GLOBAL__N_124unique_dim_cuda_templateIjEESt5tupleIJNSF_6TensorESK_SK_EERKSK_lbbbEUlllE0_EEPmJS9_EEE10hipError_tPvRmT3_T4_T5_T6_T7_T9_mT8_P12ihipStream_tbDpT10_ENKUlT_T0_E_clISt17integral_constantIbLb1EES19_IbLb0EEEEDaS15_S16_EUlS15_E_NS1_11comp_targetILNS1_3genE9ELNS1_11target_archE1100ELNS1_3gpuE3ELNS1_3repE0EEENS1_30default_config_static_selectorELNS0_4arch9wavefront6targetE0EEEvT1_.num_agpr, 0
	.set _ZN7rocprim17ROCPRIM_400000_NS6detail17trampoline_kernelINS0_14default_configENS1_25partition_config_selectorILNS1_17partition_subalgoE9EllbEEZZNS1_14partition_implILS5_9ELb0ES3_jPlS8_PNS0_10empty_typeENS0_5tupleIJS8_S9_EEENSB_IJS8_SA_EEENS0_18inequality_wrapperIZN2at6native12_GLOBAL__N_124unique_dim_cuda_templateIjEESt5tupleIJNSF_6TensorESK_SK_EERKSK_lbbbEUlllE0_EEPmJS9_EEE10hipError_tPvRmT3_T4_T5_T6_T7_T9_mT8_P12ihipStream_tbDpT10_ENKUlT_T0_E_clISt17integral_constantIbLb1EES19_IbLb0EEEEDaS15_S16_EUlS15_E_NS1_11comp_targetILNS1_3genE9ELNS1_11target_archE1100ELNS1_3gpuE3ELNS1_3repE0EEENS1_30default_config_static_selectorELNS0_4arch9wavefront6targetE0EEEvT1_.numbered_sgpr, 0
	.set _ZN7rocprim17ROCPRIM_400000_NS6detail17trampoline_kernelINS0_14default_configENS1_25partition_config_selectorILNS1_17partition_subalgoE9EllbEEZZNS1_14partition_implILS5_9ELb0ES3_jPlS8_PNS0_10empty_typeENS0_5tupleIJS8_S9_EEENSB_IJS8_SA_EEENS0_18inequality_wrapperIZN2at6native12_GLOBAL__N_124unique_dim_cuda_templateIjEESt5tupleIJNSF_6TensorESK_SK_EERKSK_lbbbEUlllE0_EEPmJS9_EEE10hipError_tPvRmT3_T4_T5_T6_T7_T9_mT8_P12ihipStream_tbDpT10_ENKUlT_T0_E_clISt17integral_constantIbLb1EES19_IbLb0EEEEDaS15_S16_EUlS15_E_NS1_11comp_targetILNS1_3genE9ELNS1_11target_archE1100ELNS1_3gpuE3ELNS1_3repE0EEENS1_30default_config_static_selectorELNS0_4arch9wavefront6targetE0EEEvT1_.num_named_barrier, 0
	.set _ZN7rocprim17ROCPRIM_400000_NS6detail17trampoline_kernelINS0_14default_configENS1_25partition_config_selectorILNS1_17partition_subalgoE9EllbEEZZNS1_14partition_implILS5_9ELb0ES3_jPlS8_PNS0_10empty_typeENS0_5tupleIJS8_S9_EEENSB_IJS8_SA_EEENS0_18inequality_wrapperIZN2at6native12_GLOBAL__N_124unique_dim_cuda_templateIjEESt5tupleIJNSF_6TensorESK_SK_EERKSK_lbbbEUlllE0_EEPmJS9_EEE10hipError_tPvRmT3_T4_T5_T6_T7_T9_mT8_P12ihipStream_tbDpT10_ENKUlT_T0_E_clISt17integral_constantIbLb1EES19_IbLb0EEEEDaS15_S16_EUlS15_E_NS1_11comp_targetILNS1_3genE9ELNS1_11target_archE1100ELNS1_3gpuE3ELNS1_3repE0EEENS1_30default_config_static_selectorELNS0_4arch9wavefront6targetE0EEEvT1_.private_seg_size, 0
	.set _ZN7rocprim17ROCPRIM_400000_NS6detail17trampoline_kernelINS0_14default_configENS1_25partition_config_selectorILNS1_17partition_subalgoE9EllbEEZZNS1_14partition_implILS5_9ELb0ES3_jPlS8_PNS0_10empty_typeENS0_5tupleIJS8_S9_EEENSB_IJS8_SA_EEENS0_18inequality_wrapperIZN2at6native12_GLOBAL__N_124unique_dim_cuda_templateIjEESt5tupleIJNSF_6TensorESK_SK_EERKSK_lbbbEUlllE0_EEPmJS9_EEE10hipError_tPvRmT3_T4_T5_T6_T7_T9_mT8_P12ihipStream_tbDpT10_ENKUlT_T0_E_clISt17integral_constantIbLb1EES19_IbLb0EEEEDaS15_S16_EUlS15_E_NS1_11comp_targetILNS1_3genE9ELNS1_11target_archE1100ELNS1_3gpuE3ELNS1_3repE0EEENS1_30default_config_static_selectorELNS0_4arch9wavefront6targetE0EEEvT1_.uses_vcc, 0
	.set _ZN7rocprim17ROCPRIM_400000_NS6detail17trampoline_kernelINS0_14default_configENS1_25partition_config_selectorILNS1_17partition_subalgoE9EllbEEZZNS1_14partition_implILS5_9ELb0ES3_jPlS8_PNS0_10empty_typeENS0_5tupleIJS8_S9_EEENSB_IJS8_SA_EEENS0_18inequality_wrapperIZN2at6native12_GLOBAL__N_124unique_dim_cuda_templateIjEESt5tupleIJNSF_6TensorESK_SK_EERKSK_lbbbEUlllE0_EEPmJS9_EEE10hipError_tPvRmT3_T4_T5_T6_T7_T9_mT8_P12ihipStream_tbDpT10_ENKUlT_T0_E_clISt17integral_constantIbLb1EES19_IbLb0EEEEDaS15_S16_EUlS15_E_NS1_11comp_targetILNS1_3genE9ELNS1_11target_archE1100ELNS1_3gpuE3ELNS1_3repE0EEENS1_30default_config_static_selectorELNS0_4arch9wavefront6targetE0EEEvT1_.uses_flat_scratch, 0
	.set _ZN7rocprim17ROCPRIM_400000_NS6detail17trampoline_kernelINS0_14default_configENS1_25partition_config_selectorILNS1_17partition_subalgoE9EllbEEZZNS1_14partition_implILS5_9ELb0ES3_jPlS8_PNS0_10empty_typeENS0_5tupleIJS8_S9_EEENSB_IJS8_SA_EEENS0_18inequality_wrapperIZN2at6native12_GLOBAL__N_124unique_dim_cuda_templateIjEESt5tupleIJNSF_6TensorESK_SK_EERKSK_lbbbEUlllE0_EEPmJS9_EEE10hipError_tPvRmT3_T4_T5_T6_T7_T9_mT8_P12ihipStream_tbDpT10_ENKUlT_T0_E_clISt17integral_constantIbLb1EES19_IbLb0EEEEDaS15_S16_EUlS15_E_NS1_11comp_targetILNS1_3genE9ELNS1_11target_archE1100ELNS1_3gpuE3ELNS1_3repE0EEENS1_30default_config_static_selectorELNS0_4arch9wavefront6targetE0EEEvT1_.has_dyn_sized_stack, 0
	.set _ZN7rocprim17ROCPRIM_400000_NS6detail17trampoline_kernelINS0_14default_configENS1_25partition_config_selectorILNS1_17partition_subalgoE9EllbEEZZNS1_14partition_implILS5_9ELb0ES3_jPlS8_PNS0_10empty_typeENS0_5tupleIJS8_S9_EEENSB_IJS8_SA_EEENS0_18inequality_wrapperIZN2at6native12_GLOBAL__N_124unique_dim_cuda_templateIjEESt5tupleIJNSF_6TensorESK_SK_EERKSK_lbbbEUlllE0_EEPmJS9_EEE10hipError_tPvRmT3_T4_T5_T6_T7_T9_mT8_P12ihipStream_tbDpT10_ENKUlT_T0_E_clISt17integral_constantIbLb1EES19_IbLb0EEEEDaS15_S16_EUlS15_E_NS1_11comp_targetILNS1_3genE9ELNS1_11target_archE1100ELNS1_3gpuE3ELNS1_3repE0EEENS1_30default_config_static_selectorELNS0_4arch9wavefront6targetE0EEEvT1_.has_recursion, 0
	.set _ZN7rocprim17ROCPRIM_400000_NS6detail17trampoline_kernelINS0_14default_configENS1_25partition_config_selectorILNS1_17partition_subalgoE9EllbEEZZNS1_14partition_implILS5_9ELb0ES3_jPlS8_PNS0_10empty_typeENS0_5tupleIJS8_S9_EEENSB_IJS8_SA_EEENS0_18inequality_wrapperIZN2at6native12_GLOBAL__N_124unique_dim_cuda_templateIjEESt5tupleIJNSF_6TensorESK_SK_EERKSK_lbbbEUlllE0_EEPmJS9_EEE10hipError_tPvRmT3_T4_T5_T6_T7_T9_mT8_P12ihipStream_tbDpT10_ENKUlT_T0_E_clISt17integral_constantIbLb1EES19_IbLb0EEEEDaS15_S16_EUlS15_E_NS1_11comp_targetILNS1_3genE9ELNS1_11target_archE1100ELNS1_3gpuE3ELNS1_3repE0EEENS1_30default_config_static_selectorELNS0_4arch9wavefront6targetE0EEEvT1_.has_indirect_call, 0
	.section	.AMDGPU.csdata,"",@progbits
; Kernel info:
; codeLenInByte = 0
; TotalNumSgprs: 0
; NumVgprs: 0
; ScratchSize: 0
; MemoryBound: 0
; FloatMode: 240
; IeeeMode: 1
; LDSByteSize: 0 bytes/workgroup (compile time only)
; SGPRBlocks: 0
; VGPRBlocks: 0
; NumSGPRsForWavesPerEU: 1
; NumVGPRsForWavesPerEU: 1
; NamedBarCnt: 0
; Occupancy: 16
; WaveLimiterHint : 0
; COMPUTE_PGM_RSRC2:SCRATCH_EN: 0
; COMPUTE_PGM_RSRC2:USER_SGPR: 2
; COMPUTE_PGM_RSRC2:TRAP_HANDLER: 0
; COMPUTE_PGM_RSRC2:TGID_X_EN: 1
; COMPUTE_PGM_RSRC2:TGID_Y_EN: 0
; COMPUTE_PGM_RSRC2:TGID_Z_EN: 0
; COMPUTE_PGM_RSRC2:TIDIG_COMP_CNT: 0
	.section	.text._ZN7rocprim17ROCPRIM_400000_NS6detail17trampoline_kernelINS0_14default_configENS1_25partition_config_selectorILNS1_17partition_subalgoE9EllbEEZZNS1_14partition_implILS5_9ELb0ES3_jPlS8_PNS0_10empty_typeENS0_5tupleIJS8_S9_EEENSB_IJS8_SA_EEENS0_18inequality_wrapperIZN2at6native12_GLOBAL__N_124unique_dim_cuda_templateIjEESt5tupleIJNSF_6TensorESK_SK_EERKSK_lbbbEUlllE0_EEPmJS9_EEE10hipError_tPvRmT3_T4_T5_T6_T7_T9_mT8_P12ihipStream_tbDpT10_ENKUlT_T0_E_clISt17integral_constantIbLb1EES19_IbLb0EEEEDaS15_S16_EUlS15_E_NS1_11comp_targetILNS1_3genE8ELNS1_11target_archE1030ELNS1_3gpuE2ELNS1_3repE0EEENS1_30default_config_static_selectorELNS0_4arch9wavefront6targetE0EEEvT1_,"axG",@progbits,_ZN7rocprim17ROCPRIM_400000_NS6detail17trampoline_kernelINS0_14default_configENS1_25partition_config_selectorILNS1_17partition_subalgoE9EllbEEZZNS1_14partition_implILS5_9ELb0ES3_jPlS8_PNS0_10empty_typeENS0_5tupleIJS8_S9_EEENSB_IJS8_SA_EEENS0_18inequality_wrapperIZN2at6native12_GLOBAL__N_124unique_dim_cuda_templateIjEESt5tupleIJNSF_6TensorESK_SK_EERKSK_lbbbEUlllE0_EEPmJS9_EEE10hipError_tPvRmT3_T4_T5_T6_T7_T9_mT8_P12ihipStream_tbDpT10_ENKUlT_T0_E_clISt17integral_constantIbLb1EES19_IbLb0EEEEDaS15_S16_EUlS15_E_NS1_11comp_targetILNS1_3genE8ELNS1_11target_archE1030ELNS1_3gpuE2ELNS1_3repE0EEENS1_30default_config_static_selectorELNS0_4arch9wavefront6targetE0EEEvT1_,comdat
	.globl	_ZN7rocprim17ROCPRIM_400000_NS6detail17trampoline_kernelINS0_14default_configENS1_25partition_config_selectorILNS1_17partition_subalgoE9EllbEEZZNS1_14partition_implILS5_9ELb0ES3_jPlS8_PNS0_10empty_typeENS0_5tupleIJS8_S9_EEENSB_IJS8_SA_EEENS0_18inequality_wrapperIZN2at6native12_GLOBAL__N_124unique_dim_cuda_templateIjEESt5tupleIJNSF_6TensorESK_SK_EERKSK_lbbbEUlllE0_EEPmJS9_EEE10hipError_tPvRmT3_T4_T5_T6_T7_T9_mT8_P12ihipStream_tbDpT10_ENKUlT_T0_E_clISt17integral_constantIbLb1EES19_IbLb0EEEEDaS15_S16_EUlS15_E_NS1_11comp_targetILNS1_3genE8ELNS1_11target_archE1030ELNS1_3gpuE2ELNS1_3repE0EEENS1_30default_config_static_selectorELNS0_4arch9wavefront6targetE0EEEvT1_ ; -- Begin function _ZN7rocprim17ROCPRIM_400000_NS6detail17trampoline_kernelINS0_14default_configENS1_25partition_config_selectorILNS1_17partition_subalgoE9EllbEEZZNS1_14partition_implILS5_9ELb0ES3_jPlS8_PNS0_10empty_typeENS0_5tupleIJS8_S9_EEENSB_IJS8_SA_EEENS0_18inequality_wrapperIZN2at6native12_GLOBAL__N_124unique_dim_cuda_templateIjEESt5tupleIJNSF_6TensorESK_SK_EERKSK_lbbbEUlllE0_EEPmJS9_EEE10hipError_tPvRmT3_T4_T5_T6_T7_T9_mT8_P12ihipStream_tbDpT10_ENKUlT_T0_E_clISt17integral_constantIbLb1EES19_IbLb0EEEEDaS15_S16_EUlS15_E_NS1_11comp_targetILNS1_3genE8ELNS1_11target_archE1030ELNS1_3gpuE2ELNS1_3repE0EEENS1_30default_config_static_selectorELNS0_4arch9wavefront6targetE0EEEvT1_
	.p2align	8
	.type	_ZN7rocprim17ROCPRIM_400000_NS6detail17trampoline_kernelINS0_14default_configENS1_25partition_config_selectorILNS1_17partition_subalgoE9EllbEEZZNS1_14partition_implILS5_9ELb0ES3_jPlS8_PNS0_10empty_typeENS0_5tupleIJS8_S9_EEENSB_IJS8_SA_EEENS0_18inequality_wrapperIZN2at6native12_GLOBAL__N_124unique_dim_cuda_templateIjEESt5tupleIJNSF_6TensorESK_SK_EERKSK_lbbbEUlllE0_EEPmJS9_EEE10hipError_tPvRmT3_T4_T5_T6_T7_T9_mT8_P12ihipStream_tbDpT10_ENKUlT_T0_E_clISt17integral_constantIbLb1EES19_IbLb0EEEEDaS15_S16_EUlS15_E_NS1_11comp_targetILNS1_3genE8ELNS1_11target_archE1030ELNS1_3gpuE2ELNS1_3repE0EEENS1_30default_config_static_selectorELNS0_4arch9wavefront6targetE0EEEvT1_,@function
_ZN7rocprim17ROCPRIM_400000_NS6detail17trampoline_kernelINS0_14default_configENS1_25partition_config_selectorILNS1_17partition_subalgoE9EllbEEZZNS1_14partition_implILS5_9ELb0ES3_jPlS8_PNS0_10empty_typeENS0_5tupleIJS8_S9_EEENSB_IJS8_SA_EEENS0_18inequality_wrapperIZN2at6native12_GLOBAL__N_124unique_dim_cuda_templateIjEESt5tupleIJNSF_6TensorESK_SK_EERKSK_lbbbEUlllE0_EEPmJS9_EEE10hipError_tPvRmT3_T4_T5_T6_T7_T9_mT8_P12ihipStream_tbDpT10_ENKUlT_T0_E_clISt17integral_constantIbLb1EES19_IbLb0EEEEDaS15_S16_EUlS15_E_NS1_11comp_targetILNS1_3genE8ELNS1_11target_archE1030ELNS1_3gpuE2ELNS1_3repE0EEENS1_30default_config_static_selectorELNS0_4arch9wavefront6targetE0EEEvT1_: ; @_ZN7rocprim17ROCPRIM_400000_NS6detail17trampoline_kernelINS0_14default_configENS1_25partition_config_selectorILNS1_17partition_subalgoE9EllbEEZZNS1_14partition_implILS5_9ELb0ES3_jPlS8_PNS0_10empty_typeENS0_5tupleIJS8_S9_EEENSB_IJS8_SA_EEENS0_18inequality_wrapperIZN2at6native12_GLOBAL__N_124unique_dim_cuda_templateIjEESt5tupleIJNSF_6TensorESK_SK_EERKSK_lbbbEUlllE0_EEPmJS9_EEE10hipError_tPvRmT3_T4_T5_T6_T7_T9_mT8_P12ihipStream_tbDpT10_ENKUlT_T0_E_clISt17integral_constantIbLb1EES19_IbLb0EEEEDaS15_S16_EUlS15_E_NS1_11comp_targetILNS1_3genE8ELNS1_11target_archE1030ELNS1_3gpuE2ELNS1_3repE0EEENS1_30default_config_static_selectorELNS0_4arch9wavefront6targetE0EEEvT1_
; %bb.0:
	.section	.rodata,"a",@progbits
	.p2align	6, 0x0
	.amdhsa_kernel _ZN7rocprim17ROCPRIM_400000_NS6detail17trampoline_kernelINS0_14default_configENS1_25partition_config_selectorILNS1_17partition_subalgoE9EllbEEZZNS1_14partition_implILS5_9ELb0ES3_jPlS8_PNS0_10empty_typeENS0_5tupleIJS8_S9_EEENSB_IJS8_SA_EEENS0_18inequality_wrapperIZN2at6native12_GLOBAL__N_124unique_dim_cuda_templateIjEESt5tupleIJNSF_6TensorESK_SK_EERKSK_lbbbEUlllE0_EEPmJS9_EEE10hipError_tPvRmT3_T4_T5_T6_T7_T9_mT8_P12ihipStream_tbDpT10_ENKUlT_T0_E_clISt17integral_constantIbLb1EES19_IbLb0EEEEDaS15_S16_EUlS15_E_NS1_11comp_targetILNS1_3genE8ELNS1_11target_archE1030ELNS1_3gpuE2ELNS1_3repE0EEENS1_30default_config_static_selectorELNS0_4arch9wavefront6targetE0EEEvT1_
		.amdhsa_group_segment_fixed_size 0
		.amdhsa_private_segment_fixed_size 0
		.amdhsa_kernarg_size 120
		.amdhsa_user_sgpr_count 2
		.amdhsa_user_sgpr_dispatch_ptr 0
		.amdhsa_user_sgpr_queue_ptr 0
		.amdhsa_user_sgpr_kernarg_segment_ptr 1
		.amdhsa_user_sgpr_dispatch_id 0
		.amdhsa_user_sgpr_kernarg_preload_length 0
		.amdhsa_user_sgpr_kernarg_preload_offset 0
		.amdhsa_user_sgpr_private_segment_size 0
		.amdhsa_wavefront_size32 1
		.amdhsa_uses_dynamic_stack 0
		.amdhsa_enable_private_segment 0
		.amdhsa_system_sgpr_workgroup_id_x 1
		.amdhsa_system_sgpr_workgroup_id_y 0
		.amdhsa_system_sgpr_workgroup_id_z 0
		.amdhsa_system_sgpr_workgroup_info 0
		.amdhsa_system_vgpr_workitem_id 0
		.amdhsa_next_free_vgpr 1
		.amdhsa_next_free_sgpr 1
		.amdhsa_named_barrier_count 0
		.amdhsa_reserve_vcc 0
		.amdhsa_float_round_mode_32 0
		.amdhsa_float_round_mode_16_64 0
		.amdhsa_float_denorm_mode_32 3
		.amdhsa_float_denorm_mode_16_64 3
		.amdhsa_fp16_overflow 0
		.amdhsa_memory_ordered 1
		.amdhsa_forward_progress 1
		.amdhsa_inst_pref_size 0
		.amdhsa_round_robin_scheduling 0
		.amdhsa_exception_fp_ieee_invalid_op 0
		.amdhsa_exception_fp_denorm_src 0
		.amdhsa_exception_fp_ieee_div_zero 0
		.amdhsa_exception_fp_ieee_overflow 0
		.amdhsa_exception_fp_ieee_underflow 0
		.amdhsa_exception_fp_ieee_inexact 0
		.amdhsa_exception_int_div_zero 0
	.end_amdhsa_kernel
	.section	.text._ZN7rocprim17ROCPRIM_400000_NS6detail17trampoline_kernelINS0_14default_configENS1_25partition_config_selectorILNS1_17partition_subalgoE9EllbEEZZNS1_14partition_implILS5_9ELb0ES3_jPlS8_PNS0_10empty_typeENS0_5tupleIJS8_S9_EEENSB_IJS8_SA_EEENS0_18inequality_wrapperIZN2at6native12_GLOBAL__N_124unique_dim_cuda_templateIjEESt5tupleIJNSF_6TensorESK_SK_EERKSK_lbbbEUlllE0_EEPmJS9_EEE10hipError_tPvRmT3_T4_T5_T6_T7_T9_mT8_P12ihipStream_tbDpT10_ENKUlT_T0_E_clISt17integral_constantIbLb1EES19_IbLb0EEEEDaS15_S16_EUlS15_E_NS1_11comp_targetILNS1_3genE8ELNS1_11target_archE1030ELNS1_3gpuE2ELNS1_3repE0EEENS1_30default_config_static_selectorELNS0_4arch9wavefront6targetE0EEEvT1_,"axG",@progbits,_ZN7rocprim17ROCPRIM_400000_NS6detail17trampoline_kernelINS0_14default_configENS1_25partition_config_selectorILNS1_17partition_subalgoE9EllbEEZZNS1_14partition_implILS5_9ELb0ES3_jPlS8_PNS0_10empty_typeENS0_5tupleIJS8_S9_EEENSB_IJS8_SA_EEENS0_18inequality_wrapperIZN2at6native12_GLOBAL__N_124unique_dim_cuda_templateIjEESt5tupleIJNSF_6TensorESK_SK_EERKSK_lbbbEUlllE0_EEPmJS9_EEE10hipError_tPvRmT3_T4_T5_T6_T7_T9_mT8_P12ihipStream_tbDpT10_ENKUlT_T0_E_clISt17integral_constantIbLb1EES19_IbLb0EEEEDaS15_S16_EUlS15_E_NS1_11comp_targetILNS1_3genE8ELNS1_11target_archE1030ELNS1_3gpuE2ELNS1_3repE0EEENS1_30default_config_static_selectorELNS0_4arch9wavefront6targetE0EEEvT1_,comdat
.Lfunc_end1596:
	.size	_ZN7rocprim17ROCPRIM_400000_NS6detail17trampoline_kernelINS0_14default_configENS1_25partition_config_selectorILNS1_17partition_subalgoE9EllbEEZZNS1_14partition_implILS5_9ELb0ES3_jPlS8_PNS0_10empty_typeENS0_5tupleIJS8_S9_EEENSB_IJS8_SA_EEENS0_18inequality_wrapperIZN2at6native12_GLOBAL__N_124unique_dim_cuda_templateIjEESt5tupleIJNSF_6TensorESK_SK_EERKSK_lbbbEUlllE0_EEPmJS9_EEE10hipError_tPvRmT3_T4_T5_T6_T7_T9_mT8_P12ihipStream_tbDpT10_ENKUlT_T0_E_clISt17integral_constantIbLb1EES19_IbLb0EEEEDaS15_S16_EUlS15_E_NS1_11comp_targetILNS1_3genE8ELNS1_11target_archE1030ELNS1_3gpuE2ELNS1_3repE0EEENS1_30default_config_static_selectorELNS0_4arch9wavefront6targetE0EEEvT1_, .Lfunc_end1596-_ZN7rocprim17ROCPRIM_400000_NS6detail17trampoline_kernelINS0_14default_configENS1_25partition_config_selectorILNS1_17partition_subalgoE9EllbEEZZNS1_14partition_implILS5_9ELb0ES3_jPlS8_PNS0_10empty_typeENS0_5tupleIJS8_S9_EEENSB_IJS8_SA_EEENS0_18inequality_wrapperIZN2at6native12_GLOBAL__N_124unique_dim_cuda_templateIjEESt5tupleIJNSF_6TensorESK_SK_EERKSK_lbbbEUlllE0_EEPmJS9_EEE10hipError_tPvRmT3_T4_T5_T6_T7_T9_mT8_P12ihipStream_tbDpT10_ENKUlT_T0_E_clISt17integral_constantIbLb1EES19_IbLb0EEEEDaS15_S16_EUlS15_E_NS1_11comp_targetILNS1_3genE8ELNS1_11target_archE1030ELNS1_3gpuE2ELNS1_3repE0EEENS1_30default_config_static_selectorELNS0_4arch9wavefront6targetE0EEEvT1_
                                        ; -- End function
	.set _ZN7rocprim17ROCPRIM_400000_NS6detail17trampoline_kernelINS0_14default_configENS1_25partition_config_selectorILNS1_17partition_subalgoE9EllbEEZZNS1_14partition_implILS5_9ELb0ES3_jPlS8_PNS0_10empty_typeENS0_5tupleIJS8_S9_EEENSB_IJS8_SA_EEENS0_18inequality_wrapperIZN2at6native12_GLOBAL__N_124unique_dim_cuda_templateIjEESt5tupleIJNSF_6TensorESK_SK_EERKSK_lbbbEUlllE0_EEPmJS9_EEE10hipError_tPvRmT3_T4_T5_T6_T7_T9_mT8_P12ihipStream_tbDpT10_ENKUlT_T0_E_clISt17integral_constantIbLb1EES19_IbLb0EEEEDaS15_S16_EUlS15_E_NS1_11comp_targetILNS1_3genE8ELNS1_11target_archE1030ELNS1_3gpuE2ELNS1_3repE0EEENS1_30default_config_static_selectorELNS0_4arch9wavefront6targetE0EEEvT1_.num_vgpr, 0
	.set _ZN7rocprim17ROCPRIM_400000_NS6detail17trampoline_kernelINS0_14default_configENS1_25partition_config_selectorILNS1_17partition_subalgoE9EllbEEZZNS1_14partition_implILS5_9ELb0ES3_jPlS8_PNS0_10empty_typeENS0_5tupleIJS8_S9_EEENSB_IJS8_SA_EEENS0_18inequality_wrapperIZN2at6native12_GLOBAL__N_124unique_dim_cuda_templateIjEESt5tupleIJNSF_6TensorESK_SK_EERKSK_lbbbEUlllE0_EEPmJS9_EEE10hipError_tPvRmT3_T4_T5_T6_T7_T9_mT8_P12ihipStream_tbDpT10_ENKUlT_T0_E_clISt17integral_constantIbLb1EES19_IbLb0EEEEDaS15_S16_EUlS15_E_NS1_11comp_targetILNS1_3genE8ELNS1_11target_archE1030ELNS1_3gpuE2ELNS1_3repE0EEENS1_30default_config_static_selectorELNS0_4arch9wavefront6targetE0EEEvT1_.num_agpr, 0
	.set _ZN7rocprim17ROCPRIM_400000_NS6detail17trampoline_kernelINS0_14default_configENS1_25partition_config_selectorILNS1_17partition_subalgoE9EllbEEZZNS1_14partition_implILS5_9ELb0ES3_jPlS8_PNS0_10empty_typeENS0_5tupleIJS8_S9_EEENSB_IJS8_SA_EEENS0_18inequality_wrapperIZN2at6native12_GLOBAL__N_124unique_dim_cuda_templateIjEESt5tupleIJNSF_6TensorESK_SK_EERKSK_lbbbEUlllE0_EEPmJS9_EEE10hipError_tPvRmT3_T4_T5_T6_T7_T9_mT8_P12ihipStream_tbDpT10_ENKUlT_T0_E_clISt17integral_constantIbLb1EES19_IbLb0EEEEDaS15_S16_EUlS15_E_NS1_11comp_targetILNS1_3genE8ELNS1_11target_archE1030ELNS1_3gpuE2ELNS1_3repE0EEENS1_30default_config_static_selectorELNS0_4arch9wavefront6targetE0EEEvT1_.numbered_sgpr, 0
	.set _ZN7rocprim17ROCPRIM_400000_NS6detail17trampoline_kernelINS0_14default_configENS1_25partition_config_selectorILNS1_17partition_subalgoE9EllbEEZZNS1_14partition_implILS5_9ELb0ES3_jPlS8_PNS0_10empty_typeENS0_5tupleIJS8_S9_EEENSB_IJS8_SA_EEENS0_18inequality_wrapperIZN2at6native12_GLOBAL__N_124unique_dim_cuda_templateIjEESt5tupleIJNSF_6TensorESK_SK_EERKSK_lbbbEUlllE0_EEPmJS9_EEE10hipError_tPvRmT3_T4_T5_T6_T7_T9_mT8_P12ihipStream_tbDpT10_ENKUlT_T0_E_clISt17integral_constantIbLb1EES19_IbLb0EEEEDaS15_S16_EUlS15_E_NS1_11comp_targetILNS1_3genE8ELNS1_11target_archE1030ELNS1_3gpuE2ELNS1_3repE0EEENS1_30default_config_static_selectorELNS0_4arch9wavefront6targetE0EEEvT1_.num_named_barrier, 0
	.set _ZN7rocprim17ROCPRIM_400000_NS6detail17trampoline_kernelINS0_14default_configENS1_25partition_config_selectorILNS1_17partition_subalgoE9EllbEEZZNS1_14partition_implILS5_9ELb0ES3_jPlS8_PNS0_10empty_typeENS0_5tupleIJS8_S9_EEENSB_IJS8_SA_EEENS0_18inequality_wrapperIZN2at6native12_GLOBAL__N_124unique_dim_cuda_templateIjEESt5tupleIJNSF_6TensorESK_SK_EERKSK_lbbbEUlllE0_EEPmJS9_EEE10hipError_tPvRmT3_T4_T5_T6_T7_T9_mT8_P12ihipStream_tbDpT10_ENKUlT_T0_E_clISt17integral_constantIbLb1EES19_IbLb0EEEEDaS15_S16_EUlS15_E_NS1_11comp_targetILNS1_3genE8ELNS1_11target_archE1030ELNS1_3gpuE2ELNS1_3repE0EEENS1_30default_config_static_selectorELNS0_4arch9wavefront6targetE0EEEvT1_.private_seg_size, 0
	.set _ZN7rocprim17ROCPRIM_400000_NS6detail17trampoline_kernelINS0_14default_configENS1_25partition_config_selectorILNS1_17partition_subalgoE9EllbEEZZNS1_14partition_implILS5_9ELb0ES3_jPlS8_PNS0_10empty_typeENS0_5tupleIJS8_S9_EEENSB_IJS8_SA_EEENS0_18inequality_wrapperIZN2at6native12_GLOBAL__N_124unique_dim_cuda_templateIjEESt5tupleIJNSF_6TensorESK_SK_EERKSK_lbbbEUlllE0_EEPmJS9_EEE10hipError_tPvRmT3_T4_T5_T6_T7_T9_mT8_P12ihipStream_tbDpT10_ENKUlT_T0_E_clISt17integral_constantIbLb1EES19_IbLb0EEEEDaS15_S16_EUlS15_E_NS1_11comp_targetILNS1_3genE8ELNS1_11target_archE1030ELNS1_3gpuE2ELNS1_3repE0EEENS1_30default_config_static_selectorELNS0_4arch9wavefront6targetE0EEEvT1_.uses_vcc, 0
	.set _ZN7rocprim17ROCPRIM_400000_NS6detail17trampoline_kernelINS0_14default_configENS1_25partition_config_selectorILNS1_17partition_subalgoE9EllbEEZZNS1_14partition_implILS5_9ELb0ES3_jPlS8_PNS0_10empty_typeENS0_5tupleIJS8_S9_EEENSB_IJS8_SA_EEENS0_18inequality_wrapperIZN2at6native12_GLOBAL__N_124unique_dim_cuda_templateIjEESt5tupleIJNSF_6TensorESK_SK_EERKSK_lbbbEUlllE0_EEPmJS9_EEE10hipError_tPvRmT3_T4_T5_T6_T7_T9_mT8_P12ihipStream_tbDpT10_ENKUlT_T0_E_clISt17integral_constantIbLb1EES19_IbLb0EEEEDaS15_S16_EUlS15_E_NS1_11comp_targetILNS1_3genE8ELNS1_11target_archE1030ELNS1_3gpuE2ELNS1_3repE0EEENS1_30default_config_static_selectorELNS0_4arch9wavefront6targetE0EEEvT1_.uses_flat_scratch, 0
	.set _ZN7rocprim17ROCPRIM_400000_NS6detail17trampoline_kernelINS0_14default_configENS1_25partition_config_selectorILNS1_17partition_subalgoE9EllbEEZZNS1_14partition_implILS5_9ELb0ES3_jPlS8_PNS0_10empty_typeENS0_5tupleIJS8_S9_EEENSB_IJS8_SA_EEENS0_18inequality_wrapperIZN2at6native12_GLOBAL__N_124unique_dim_cuda_templateIjEESt5tupleIJNSF_6TensorESK_SK_EERKSK_lbbbEUlllE0_EEPmJS9_EEE10hipError_tPvRmT3_T4_T5_T6_T7_T9_mT8_P12ihipStream_tbDpT10_ENKUlT_T0_E_clISt17integral_constantIbLb1EES19_IbLb0EEEEDaS15_S16_EUlS15_E_NS1_11comp_targetILNS1_3genE8ELNS1_11target_archE1030ELNS1_3gpuE2ELNS1_3repE0EEENS1_30default_config_static_selectorELNS0_4arch9wavefront6targetE0EEEvT1_.has_dyn_sized_stack, 0
	.set _ZN7rocprim17ROCPRIM_400000_NS6detail17trampoline_kernelINS0_14default_configENS1_25partition_config_selectorILNS1_17partition_subalgoE9EllbEEZZNS1_14partition_implILS5_9ELb0ES3_jPlS8_PNS0_10empty_typeENS0_5tupleIJS8_S9_EEENSB_IJS8_SA_EEENS0_18inequality_wrapperIZN2at6native12_GLOBAL__N_124unique_dim_cuda_templateIjEESt5tupleIJNSF_6TensorESK_SK_EERKSK_lbbbEUlllE0_EEPmJS9_EEE10hipError_tPvRmT3_T4_T5_T6_T7_T9_mT8_P12ihipStream_tbDpT10_ENKUlT_T0_E_clISt17integral_constantIbLb1EES19_IbLb0EEEEDaS15_S16_EUlS15_E_NS1_11comp_targetILNS1_3genE8ELNS1_11target_archE1030ELNS1_3gpuE2ELNS1_3repE0EEENS1_30default_config_static_selectorELNS0_4arch9wavefront6targetE0EEEvT1_.has_recursion, 0
	.set _ZN7rocprim17ROCPRIM_400000_NS6detail17trampoline_kernelINS0_14default_configENS1_25partition_config_selectorILNS1_17partition_subalgoE9EllbEEZZNS1_14partition_implILS5_9ELb0ES3_jPlS8_PNS0_10empty_typeENS0_5tupleIJS8_S9_EEENSB_IJS8_SA_EEENS0_18inequality_wrapperIZN2at6native12_GLOBAL__N_124unique_dim_cuda_templateIjEESt5tupleIJNSF_6TensorESK_SK_EERKSK_lbbbEUlllE0_EEPmJS9_EEE10hipError_tPvRmT3_T4_T5_T6_T7_T9_mT8_P12ihipStream_tbDpT10_ENKUlT_T0_E_clISt17integral_constantIbLb1EES19_IbLb0EEEEDaS15_S16_EUlS15_E_NS1_11comp_targetILNS1_3genE8ELNS1_11target_archE1030ELNS1_3gpuE2ELNS1_3repE0EEENS1_30default_config_static_selectorELNS0_4arch9wavefront6targetE0EEEvT1_.has_indirect_call, 0
	.section	.AMDGPU.csdata,"",@progbits
; Kernel info:
; codeLenInByte = 0
; TotalNumSgprs: 0
; NumVgprs: 0
; ScratchSize: 0
; MemoryBound: 0
; FloatMode: 240
; IeeeMode: 1
; LDSByteSize: 0 bytes/workgroup (compile time only)
; SGPRBlocks: 0
; VGPRBlocks: 0
; NumSGPRsForWavesPerEU: 1
; NumVGPRsForWavesPerEU: 1
; NamedBarCnt: 0
; Occupancy: 16
; WaveLimiterHint : 0
; COMPUTE_PGM_RSRC2:SCRATCH_EN: 0
; COMPUTE_PGM_RSRC2:USER_SGPR: 2
; COMPUTE_PGM_RSRC2:TRAP_HANDLER: 0
; COMPUTE_PGM_RSRC2:TGID_X_EN: 1
; COMPUTE_PGM_RSRC2:TGID_Y_EN: 0
; COMPUTE_PGM_RSRC2:TGID_Z_EN: 0
; COMPUTE_PGM_RSRC2:TIDIG_COMP_CNT: 0
	.section	.text._ZN7rocprim17ROCPRIM_400000_NS6detail17trampoline_kernelINS0_14default_configENS1_25partition_config_selectorILNS1_17partition_subalgoE9EllbEEZZNS1_14partition_implILS5_9ELb0ES3_jPlS8_PNS0_10empty_typeENS0_5tupleIJS8_S9_EEENSB_IJS8_SA_EEENS0_18inequality_wrapperIZN2at6native12_GLOBAL__N_124unique_dim_cuda_templateIjEESt5tupleIJNSF_6TensorESK_SK_EERKSK_lbbbEUlllE0_EEPmJS9_EEE10hipError_tPvRmT3_T4_T5_T6_T7_T9_mT8_P12ihipStream_tbDpT10_ENKUlT_T0_E_clISt17integral_constantIbLb0EES19_IbLb1EEEEDaS15_S16_EUlS15_E_NS1_11comp_targetILNS1_3genE0ELNS1_11target_archE4294967295ELNS1_3gpuE0ELNS1_3repE0EEENS1_30default_config_static_selectorELNS0_4arch9wavefront6targetE0EEEvT1_,"axG",@progbits,_ZN7rocprim17ROCPRIM_400000_NS6detail17trampoline_kernelINS0_14default_configENS1_25partition_config_selectorILNS1_17partition_subalgoE9EllbEEZZNS1_14partition_implILS5_9ELb0ES3_jPlS8_PNS0_10empty_typeENS0_5tupleIJS8_S9_EEENSB_IJS8_SA_EEENS0_18inequality_wrapperIZN2at6native12_GLOBAL__N_124unique_dim_cuda_templateIjEESt5tupleIJNSF_6TensorESK_SK_EERKSK_lbbbEUlllE0_EEPmJS9_EEE10hipError_tPvRmT3_T4_T5_T6_T7_T9_mT8_P12ihipStream_tbDpT10_ENKUlT_T0_E_clISt17integral_constantIbLb0EES19_IbLb1EEEEDaS15_S16_EUlS15_E_NS1_11comp_targetILNS1_3genE0ELNS1_11target_archE4294967295ELNS1_3gpuE0ELNS1_3repE0EEENS1_30default_config_static_selectorELNS0_4arch9wavefront6targetE0EEEvT1_,comdat
	.globl	_ZN7rocprim17ROCPRIM_400000_NS6detail17trampoline_kernelINS0_14default_configENS1_25partition_config_selectorILNS1_17partition_subalgoE9EllbEEZZNS1_14partition_implILS5_9ELb0ES3_jPlS8_PNS0_10empty_typeENS0_5tupleIJS8_S9_EEENSB_IJS8_SA_EEENS0_18inequality_wrapperIZN2at6native12_GLOBAL__N_124unique_dim_cuda_templateIjEESt5tupleIJNSF_6TensorESK_SK_EERKSK_lbbbEUlllE0_EEPmJS9_EEE10hipError_tPvRmT3_T4_T5_T6_T7_T9_mT8_P12ihipStream_tbDpT10_ENKUlT_T0_E_clISt17integral_constantIbLb0EES19_IbLb1EEEEDaS15_S16_EUlS15_E_NS1_11comp_targetILNS1_3genE0ELNS1_11target_archE4294967295ELNS1_3gpuE0ELNS1_3repE0EEENS1_30default_config_static_selectorELNS0_4arch9wavefront6targetE0EEEvT1_ ; -- Begin function _ZN7rocprim17ROCPRIM_400000_NS6detail17trampoline_kernelINS0_14default_configENS1_25partition_config_selectorILNS1_17partition_subalgoE9EllbEEZZNS1_14partition_implILS5_9ELb0ES3_jPlS8_PNS0_10empty_typeENS0_5tupleIJS8_S9_EEENSB_IJS8_SA_EEENS0_18inequality_wrapperIZN2at6native12_GLOBAL__N_124unique_dim_cuda_templateIjEESt5tupleIJNSF_6TensorESK_SK_EERKSK_lbbbEUlllE0_EEPmJS9_EEE10hipError_tPvRmT3_T4_T5_T6_T7_T9_mT8_P12ihipStream_tbDpT10_ENKUlT_T0_E_clISt17integral_constantIbLb0EES19_IbLb1EEEEDaS15_S16_EUlS15_E_NS1_11comp_targetILNS1_3genE0ELNS1_11target_archE4294967295ELNS1_3gpuE0ELNS1_3repE0EEENS1_30default_config_static_selectorELNS0_4arch9wavefront6targetE0EEEvT1_
	.p2align	8
	.type	_ZN7rocprim17ROCPRIM_400000_NS6detail17trampoline_kernelINS0_14default_configENS1_25partition_config_selectorILNS1_17partition_subalgoE9EllbEEZZNS1_14partition_implILS5_9ELb0ES3_jPlS8_PNS0_10empty_typeENS0_5tupleIJS8_S9_EEENSB_IJS8_SA_EEENS0_18inequality_wrapperIZN2at6native12_GLOBAL__N_124unique_dim_cuda_templateIjEESt5tupleIJNSF_6TensorESK_SK_EERKSK_lbbbEUlllE0_EEPmJS9_EEE10hipError_tPvRmT3_T4_T5_T6_T7_T9_mT8_P12ihipStream_tbDpT10_ENKUlT_T0_E_clISt17integral_constantIbLb0EES19_IbLb1EEEEDaS15_S16_EUlS15_E_NS1_11comp_targetILNS1_3genE0ELNS1_11target_archE4294967295ELNS1_3gpuE0ELNS1_3repE0EEENS1_30default_config_static_selectorELNS0_4arch9wavefront6targetE0EEEvT1_,@function
_ZN7rocprim17ROCPRIM_400000_NS6detail17trampoline_kernelINS0_14default_configENS1_25partition_config_selectorILNS1_17partition_subalgoE9EllbEEZZNS1_14partition_implILS5_9ELb0ES3_jPlS8_PNS0_10empty_typeENS0_5tupleIJS8_S9_EEENSB_IJS8_SA_EEENS0_18inequality_wrapperIZN2at6native12_GLOBAL__N_124unique_dim_cuda_templateIjEESt5tupleIJNSF_6TensorESK_SK_EERKSK_lbbbEUlllE0_EEPmJS9_EEE10hipError_tPvRmT3_T4_T5_T6_T7_T9_mT8_P12ihipStream_tbDpT10_ENKUlT_T0_E_clISt17integral_constantIbLb0EES19_IbLb1EEEEDaS15_S16_EUlS15_E_NS1_11comp_targetILNS1_3genE0ELNS1_11target_archE4294967295ELNS1_3gpuE0ELNS1_3repE0EEENS1_30default_config_static_selectorELNS0_4arch9wavefront6targetE0EEEvT1_: ; @_ZN7rocprim17ROCPRIM_400000_NS6detail17trampoline_kernelINS0_14default_configENS1_25partition_config_selectorILNS1_17partition_subalgoE9EllbEEZZNS1_14partition_implILS5_9ELb0ES3_jPlS8_PNS0_10empty_typeENS0_5tupleIJS8_S9_EEENSB_IJS8_SA_EEENS0_18inequality_wrapperIZN2at6native12_GLOBAL__N_124unique_dim_cuda_templateIjEESt5tupleIJNSF_6TensorESK_SK_EERKSK_lbbbEUlllE0_EEPmJS9_EEE10hipError_tPvRmT3_T4_T5_T6_T7_T9_mT8_P12ihipStream_tbDpT10_ENKUlT_T0_E_clISt17integral_constantIbLb0EES19_IbLb1EEEEDaS15_S16_EUlS15_E_NS1_11comp_targetILNS1_3genE0ELNS1_11target_archE4294967295ELNS1_3gpuE0ELNS1_3repE0EEENS1_30default_config_static_selectorELNS0_4arch9wavefront6targetE0EEEvT1_
; %bb.0:
	s_clause 0x3
	s_load_b128 s[4:7], s[0:1], 0x8
	s_load_b64 s[24:25], s[0:1], 0x18
	s_load_b256 s[12:19], s[0:1], 0x40
	s_load_b128 s[8:11], s[0:1], 0x60
	v_cmp_ne_u32_e64 s3, 0, v0
	v_cmp_eq_u32_e64 s2, 0, v0
	s_and_saveexec_b32 s20, s2
	s_cbranch_execz .LBB1597_4
; %bb.1:
	s_mov_b32 s22, exec_lo
	s_mov_b32 s21, exec_lo
	v_mbcnt_lo_u32_b32 v1, s22, 0
                                        ; implicit-def: $vgpr2
	s_delay_alu instid0(VALU_DEP_1)
	v_cmpx_eq_u32_e32 0, v1
	s_cbranch_execz .LBB1597_3
; %bb.2:
	s_load_b64 s[26:27], s[0:1], 0x78
	s_bcnt1_i32_b32 s22, s22
	s_delay_alu instid0(SALU_CYCLE_1)
	v_dual_mov_b32 v2, 0 :: v_dual_mov_b32 v3, s22
	s_wait_xcnt 0x0
	s_wait_kmcnt 0x0
	global_atomic_add_u32 v2, v2, v3, s[26:27] th:TH_ATOMIC_RETURN scope:SCOPE_DEV
.LBB1597_3:
	s_wait_xcnt 0x0
	s_or_b32 exec_lo, exec_lo, s21
	s_wait_loadcnt 0x0
	v_readfirstlane_b32 s21, v2
	s_delay_alu instid0(VALU_DEP_1)
	v_dual_mov_b32 v2, 0 :: v_dual_add_nc_u32 v1, s21, v1
	ds_store_b32 v2, v1
.LBB1597_4:
	s_or_b32 exec_lo, exec_lo, s20
	v_mov_b32_e32 v1, 0
	s_clause 0x1
	s_load_b128 s[20:23], s[0:1], 0x28
	s_load_b32 s28, s[0:1], 0x70
	s_wait_dscnt 0x0
	s_barrier_signal -1
	s_barrier_wait -1
	ds_load_b32 v4, v1
	s_wait_dscnt 0x0
	s_barrier_signal -1
	s_barrier_wait -1
	s_wait_kmcnt 0x0
	global_load_b64 v[2:3], v1, s[14:15]
	s_wait_xcnt 0x0
	s_mov_b32 s15, 0
	s_lshl_b64 s[26:27], s[6:7], 3
	v_lshlrev_b32_e32 v1, 3, v0
	s_add_nc_u64 s[4:5], s[4:5], s[26:27]
	s_mov_b32 s1, -1
	s_mul_i32 s14, s28, 0x280
	s_add_co_i32 s28, s28, -1
	s_add_co_i32 s0, s14, s6
	s_add_nc_u64 s[34:35], s[6:7], s[14:15]
	s_sub_co_i32 s31, s16, s0
	v_readfirstlane_b32 s30, v4
	v_cmp_le_u64_e64 s0, s[16:17], s[34:35]
	s_addk_co_i32 s31, 0x280
	s_cmp_eq_u32 s30, s28
	s_mul_i32 s14, s30, 0x280
	s_cselect_b32 s28, -1, 0
	s_lshl_b64 s[16:17], s[14:15], 3
	s_and_b32 s33, s0, s28
	s_add_nc_u64 s[4:5], s[4:5], s[16:17]
	s_xor_b32 s29, s33, -1
	s_delay_alu instid0(SALU_CYCLE_1)
	s_and_b32 vcc_lo, exec_lo, s29
	s_wait_loadcnt 0x0
	v_readfirstlane_b32 s14, v2
	v_readfirstlane_b32 s15, v3
	s_cbranch_vccz .LBB1597_6
; %bb.5:
	s_clause 0x4
	global_load_b64 v[2:3], v0, s[4:5] scale_offset
	global_load_b64 v[4:5], v0, s[4:5] offset:1024 scale_offset
	global_load_b64 v[6:7], v0, s[4:5] offset:2048 scale_offset
	;; [unrolled: 1-line block ×4, first 2 shown]
	v_lshlrev_b32_e32 v12, 3, v0
	s_mov_b32 s1, 0
	s_wait_loadcnt 0x3
	ds_store_2addr_stride64_b64 v12, v[2:3], v[4:5] offset1:2
	s_wait_loadcnt 0x1
	ds_store_2addr_stride64_b64 v12, v[6:7], v[8:9] offset0:4 offset1:6
	s_wait_loadcnt 0x0
	ds_store_b64 v12, v[10:11] offset:4096
	s_wait_dscnt 0x0
	s_barrier_signal -1
	s_barrier_wait -1
.LBB1597_6:
	v_cmp_gt_u32_e64 s0, s31, v0
	s_and_not1_b32 vcc_lo, exec_lo, s1
	s_cbranch_vccnz .LBB1597_18
; %bb.7:
	v_mov_b32_e32 v2, 0
	s_delay_alu instid0(VALU_DEP_1)
	v_dual_mov_b32 v3, v2 :: v_dual_mov_b32 v4, v2
	v_dual_mov_b32 v5, v2 :: v_dual_mov_b32 v6, v2
	;; [unrolled: 1-line block ×4, first 2 shown]
	v_mov_b32_e32 v11, v2
	s_and_saveexec_b32 s1, s0
	s_cbranch_execz .LBB1597_9
; %bb.8:
	global_load_b64 v[4:5], v0, s[4:5] scale_offset
	v_dual_mov_b32 v6, v2 :: v_dual_mov_b32 v7, v2
	v_dual_mov_b32 v8, v2 :: v_dual_mov_b32 v9, v2
	;; [unrolled: 1-line block ×4, first 2 shown]
	s_wait_loadcnt 0x0
	v_mov_b64_e32 v[2:3], v[4:5]
	v_mov_b64_e32 v[4:5], v[6:7]
	;; [unrolled: 1-line block ×8, first 2 shown]
.LBB1597_9:
	s_or_b32 exec_lo, exec_lo, s1
	v_or_b32_e32 v12, 0x80, v0
	s_mov_b32 s0, exec_lo
	s_delay_alu instid0(VALU_DEP_1)
	v_cmpx_gt_u32_e64 s31, v12
	s_cbranch_execz .LBB1597_11
; %bb.10:
	global_load_b64 v[4:5], v0, s[4:5] offset:1024 scale_offset
.LBB1597_11:
	s_wait_xcnt 0x0
	s_or_b32 exec_lo, exec_lo, s0
	v_or_b32_e32 v12, 0x100, v0
	s_mov_b32 s0, exec_lo
	s_delay_alu instid0(VALU_DEP_1)
	v_cmpx_gt_u32_e64 s31, v12
	s_cbranch_execz .LBB1597_13
; %bb.12:
	global_load_b64 v[6:7], v0, s[4:5] offset:2048 scale_offset
.LBB1597_13:
	s_wait_xcnt 0x0
	;; [unrolled: 10-line block ×4, first 2 shown]
	s_or_b32 exec_lo, exec_lo, s0
	v_lshlrev_b32_e32 v12, 3, v0
	s_wait_loadcnt 0x0
	ds_store_2addr_stride64_b64 v12, v[2:3], v[4:5] offset1:2
	ds_store_2addr_stride64_b64 v12, v[6:7], v[8:9] offset0:4 offset1:6
	ds_store_b64 v12, v[10:11] offset:4096
	s_wait_dscnt 0x0
	s_barrier_signal -1
	s_barrier_wait -1
.LBB1597_18:
	v_mul_u32_u24_e32 v30, 5, v0
	s_add_nc_u64 s[0:1], s[24:25], s[26:27]
	s_and_b32 vcc_lo, exec_lo, s29
	s_add_nc_u64 s[0:1], s[0:1], s[16:17]
	s_delay_alu instid0(VALU_DEP_1)
	v_lshlrev_b32_e32 v31, 3, v30
	s_mov_b32 s16, -1
	ds_load_2addr_b64 v[14:17], v31 offset1:1
	ds_load_2addr_b64 v[10:13], v31 offset0:2 offset1:3
	ds_load_b64 v[20:21], v31 offset:32
	s_wait_dscnt 0x0
	s_barrier_signal -1
	s_barrier_wait -1
	s_cbranch_vccz .LBB1597_20
; %bb.19:
	s_clause 0x4
	global_load_b64 v[2:3], v0, s[0:1] scale_offset
	global_load_b64 v[4:5], v0, s[0:1] offset:1024 scale_offset
	global_load_b64 v[6:7], v0, s[0:1] offset:2048 scale_offset
	;; [unrolled: 1-line block ×4, first 2 shown]
	v_lshlrev_b32_e32 v22, 3, v0
	s_mov_b32 s16, 0
	s_wait_loadcnt 0x3
	ds_store_2addr_stride64_b64 v22, v[2:3], v[4:5] offset1:2
	s_wait_loadcnt 0x1
	ds_store_2addr_stride64_b64 v22, v[6:7], v[8:9] offset0:4 offset1:6
	s_wait_loadcnt 0x0
	ds_store_b64 v22, v[18:19] offset:4096
	s_wait_dscnt 0x0
	s_barrier_signal -1
	s_barrier_wait -1
.LBB1597_20:
	s_and_not1_b32 vcc_lo, exec_lo, s16
	s_cbranch_vccnz .LBB1597_32
; %bb.21:
	s_mov_b32 s16, exec_lo
                                        ; implicit-def: $vgpr2_vgpr3
	v_cmpx_gt_u32_e64 s31, v0
	s_cbranch_execz .LBB1597_23
; %bb.22:
	global_load_b64 v[2:3], v0, s[0:1] scale_offset
.LBB1597_23:
	s_wait_xcnt 0x0
	s_or_b32 exec_lo, exec_lo, s16
	v_or_b32_e32 v4, 0x80, v0
	s_delay_alu instid0(VALU_DEP_1)
	v_cmp_gt_u32_e32 vcc_lo, s31, v4
                                        ; implicit-def: $vgpr4_vgpr5
	s_and_saveexec_b32 s16, vcc_lo
	s_cbranch_execz .LBB1597_25
; %bb.24:
	global_load_b64 v[4:5], v0, s[0:1] offset:1024 scale_offset
.LBB1597_25:
	s_wait_xcnt 0x0
	s_or_b32 exec_lo, exec_lo, s16
	v_or_b32_e32 v6, 0x100, v0
	s_delay_alu instid0(VALU_DEP_1)
	v_cmp_gt_u32_e32 vcc_lo, s31, v6
                                        ; implicit-def: $vgpr6_vgpr7
	s_and_saveexec_b32 s16, vcc_lo
	s_cbranch_execz .LBB1597_27
; %bb.26:
	global_load_b64 v[6:7], v0, s[0:1] offset:2048 scale_offset
.LBB1597_27:
	s_wait_xcnt 0x0
	s_or_b32 exec_lo, exec_lo, s16
	v_or_b32_e32 v8, 0x180, v0
	s_delay_alu instid0(VALU_DEP_1)
	v_cmp_gt_u32_e32 vcc_lo, s31, v8
                                        ; implicit-def: $vgpr8_vgpr9
	s_and_saveexec_b32 s16, vcc_lo
	s_cbranch_execz .LBB1597_29
; %bb.28:
	global_load_b64 v[8:9], v0, s[0:1] offset:3072 scale_offset
.LBB1597_29:
	s_wait_xcnt 0x0
	s_or_b32 exec_lo, exec_lo, s16
	v_or_b32_e32 v18, 0x200, v0
	s_delay_alu instid0(VALU_DEP_1)
	v_cmp_gt_u32_e32 vcc_lo, s31, v18
                                        ; implicit-def: $vgpr18_vgpr19
	s_and_saveexec_b32 s16, vcc_lo
	s_cbranch_execz .LBB1597_31
; %bb.30:
	global_load_b64 v[18:19], v0, s[0:1] offset:4096 scale_offset
.LBB1597_31:
	s_wait_xcnt 0x0
	s_or_b32 exec_lo, exec_lo, s16
	v_lshlrev_b32_e32 v22, 5, v0
	s_delay_alu instid0(VALU_DEP_1)
	v_sub_nc_u32_e32 v22, v31, v22
	s_wait_loadcnt 0x0
	ds_store_2addr_stride64_b64 v22, v[2:3], v[4:5] offset1:2
	ds_store_2addr_stride64_b64 v22, v[6:7], v[8:9] offset0:4 offset1:6
	ds_store_b64 v22, v[18:19] offset:4096
	s_wait_dscnt 0x0
	s_barrier_signal -1
	s_barrier_wait -1
.LBB1597_32:
	ds_load_b64 v[18:19], v31 offset:32
	ds_load_2addr_b64 v[2:5], v31 offset0:2 offset1:3
	ds_load_2addr_b64 v[6:9], v31 offset1:1
	s_cmp_lg_u32 s30, 0
	s_wait_dscnt 0x0
	s_cselect_b32 s16, -1, 0
	s_cmp_lg_u64 s[6:7], 0
	v_cmp_gt_i64_e64 s7, s[18:19], 0
	s_cselect_b32 s0, -1, 0
	s_mov_b32 s6, 0
	s_or_b32 s0, s0, s16
	s_barrier_signal -1
	s_and_b32 vcc_lo, exec_lo, s0
	s_barrier_wait -1
	s_cbranch_vccz .LBB1597_44
; %bb.33:
	v_dual_mov_b32 v26, 0 :: v_dual_lshlrev_b32 v33, 3, v0
	v_cndmask_b32_e64 v32, 0, 1, s7
	s_and_b32 vcc_lo, exec_lo, s29
	global_load_b64 v[22:23], v26, s[4:5] offset:-8
	ds_store_b64 v33, v[20:21]
	v_cmp_ne_u32_e64 s0, 1, v32
	s_cbranch_vccz .LBB1597_46
; %bb.34:
	s_and_b32 vcc_lo, exec_lo, s0
	s_cbranch_vccnz .LBB1597_47
; %bb.35:
	v_mul_u64_e32 v[24:25], s[18:19], v[12:13]
	s_wait_xcnt 0x0
	v_mul_u64_e32 v[26:27], s[18:19], v[20:21]
	s_add_nc_u64 s[4:5], s[18:19], -1
	s_mov_b32 s17, 0
	s_mov_b64 s[0:1], s[4:5]
                                        ; implicit-def: $sgpr6
	s_delay_alu instid0(VALU_DEP_2) | instskip(NEXT) | instid1(VALU_DEP_2)
	v_lshl_add_u64 v[24:25], v[24:25], 2, s[8:9]
	v_lshl_add_u64 v[26:27], v[26:27], 2, s[8:9]
	s_delay_alu instid0(VALU_DEP_2)
	v_mov_b64_e32 v[28:29], v[24:25]
.LBB1597_36:                            ; =>This Inner Loop Header: Depth=1
	global_load_b32 v34, v[28:29], off
	global_load_b32 v35, v[26:27], off
	s_cmp_eq_u64 s[0:1], 0
	s_add_nc_u64 s[24:25], s[0:1], -1
	s_cselect_b32 s1, -1, 0
	s_wait_xcnt 0x1
	v_add_nc_u64_e32 v[28:29], 4, v[28:29]
	s_wait_xcnt 0x0
	v_add_nc_u64_e32 v[26:27], 4, v[26:27]
	s_wait_loadcnt 0x0
	v_cmp_ne_u32_e32 vcc_lo, v34, v35
	v_cmp_eq_u32_e64 s0, v34, v35
	s_or_b32 s1, vcc_lo, s1
	s_delay_alu instid0(SALU_CYCLE_1) | instskip(NEXT) | instid1(SALU_CYCLE_1)
	s_and_b32 s1, exec_lo, s1
	s_or_b32 s17, s1, s17
	s_and_not1_b32 s6, s6, exec_lo
	s_and_b32 s26, s0, exec_lo
	s_mov_b64 s[0:1], s[24:25]
	s_or_b32 s6, s6, s26
	s_and_not1_b32 exec_lo, exec_lo, s17
	s_cbranch_execnz .LBB1597_36
; %bb.37:
	s_or_b32 exec_lo, exec_lo, s17
	v_mul_u64_e32 v[26:27], s[18:19], v[10:11]
	s_mov_b32 s24, 0
	s_mov_b64 s[0:1], s[4:5]
                                        ; implicit-def: $sgpr17
	s_delay_alu instid0(VALU_DEP_1) | instskip(NEXT) | instid1(VALU_DEP_1)
	v_lshl_add_u64 v[26:27], v[26:27], 2, s[8:9]
	v_mov_b64_e32 v[28:29], v[26:27]
.LBB1597_38:                            ; =>This Inner Loop Header: Depth=1
	global_load_b32 v34, v[28:29], off
	global_load_b32 v35, v[24:25], off
	s_cmp_eq_u64 s[0:1], 0
	s_add_nc_u64 s[26:27], s[0:1], -1
	s_cselect_b32 s1, -1, 0
	s_wait_xcnt 0x1
	v_add_nc_u64_e32 v[28:29], 4, v[28:29]
	s_wait_xcnt 0x0
	v_add_nc_u64_e32 v[24:25], 4, v[24:25]
	s_wait_loadcnt 0x0
	v_cmp_ne_u32_e32 vcc_lo, v34, v35
	v_cmp_eq_u32_e64 s0, v34, v35
	s_or_b32 s1, vcc_lo, s1
	s_delay_alu instid0(SALU_CYCLE_1) | instskip(NEXT) | instid1(SALU_CYCLE_1)
	s_and_b32 s1, exec_lo, s1
	s_or_b32 s24, s1, s24
	s_and_not1_b32 s17, s17, exec_lo
	s_and_b32 s25, s0, exec_lo
	s_mov_b64 s[0:1], s[26:27]
	s_or_b32 s17, s17, s25
	s_and_not1_b32 exec_lo, exec_lo, s24
	s_cbranch_execnz .LBB1597_38
; %bb.39:
	s_or_b32 exec_lo, exec_lo, s24
	v_mul_u64_e32 v[24:25], s[18:19], v[16:17]
	s_mov_b32 s25, 0
	s_mov_b64 s[0:1], s[4:5]
                                        ; implicit-def: $sgpr24
	s_delay_alu instid0(VALU_DEP_1) | instskip(NEXT) | instid1(VALU_DEP_1)
	v_lshl_add_u64 v[24:25], v[24:25], 2, s[8:9]
	v_mov_b64_e32 v[28:29], v[24:25]
.LBB1597_40:                            ; =>This Inner Loop Header: Depth=1
	global_load_b32 v34, v[28:29], off
	global_load_b32 v35, v[26:27], off
	s_cmp_eq_u64 s[0:1], 0
	s_add_nc_u64 s[26:27], s[0:1], -1
	s_cselect_b32 s1, -1, 0
	s_wait_xcnt 0x1
	v_add_nc_u64_e32 v[28:29], 4, v[28:29]
	s_wait_xcnt 0x0
	v_add_nc_u64_e32 v[26:27], 4, v[26:27]
	s_wait_loadcnt 0x0
	v_cmp_ne_u32_e32 vcc_lo, v34, v35
	v_cmp_eq_u32_e64 s0, v34, v35
	s_or_b32 s1, vcc_lo, s1
	s_delay_alu instid0(SALU_CYCLE_1) | instskip(NEXT) | instid1(SALU_CYCLE_1)
	s_and_b32 s1, exec_lo, s1
	s_or_b32 s25, s1, s25
	s_and_not1_b32 s24, s24, exec_lo
	s_and_b32 s34, s0, exec_lo
	s_mov_b64 s[0:1], s[26:27]
	s_or_b32 s24, s24, s34
	s_and_not1_b32 exec_lo, exec_lo, s25
	s_cbranch_execnz .LBB1597_40
; %bb.41:
	s_or_b32 exec_lo, exec_lo, s25
	v_mul_u64_e32 v[26:27], s[18:19], v[14:15]
	s_mov_b32 s25, 0
                                        ; implicit-def: $sgpr1
	s_delay_alu instid0(VALU_DEP_1)
	v_lshl_add_u64 v[26:27], v[26:27], 2, s[8:9]
.LBB1597_42:                            ; =>This Inner Loop Header: Depth=1
	global_load_b32 v28, v[26:27], off
	global_load_b32 v29, v[24:25], off
	s_cmp_eq_u64 s[4:5], 0
	s_add_nc_u64 s[26:27], s[4:5], -1
	s_cselect_b32 s4, -1, 0
	s_wait_xcnt 0x1
	v_add_nc_u64_e32 v[26:27], 4, v[26:27]
	s_wait_xcnt 0x0
	v_add_nc_u64_e32 v[24:25], 4, v[24:25]
	s_wait_loadcnt 0x0
	v_cmp_ne_u32_e32 vcc_lo, v28, v29
	v_cmp_eq_u32_e64 s0, v28, v29
	s_or_b32 s4, vcc_lo, s4
	s_delay_alu instid0(SALU_CYCLE_1) | instskip(NEXT) | instid1(SALU_CYCLE_1)
	s_and_b32 s4, exec_lo, s4
	s_or_b32 s25, s4, s25
	s_and_not1_b32 s1, s1, exec_lo
	s_and_b32 s0, s0, exec_lo
	s_mov_b64 s[4:5], s[26:27]
	s_or_b32 s1, s1, s0
	s_and_not1_b32 exec_lo, exec_lo, s25
	s_cbranch_execnz .LBB1597_42
; %bb.43:
	s_or_b32 exec_lo, exec_lo, s25
	s_xor_b32 s0, s17, -1
	s_delay_alu instid0(SALU_CYCLE_1) | instskip(SKIP_1) | instid1(SALU_CYCLE_1)
	v_cndmask_b32_e64 v24, 0, 1, s0
	s_xor_b32 s0, s24, -1
	v_cndmask_b32_e64 v25, 0, 1, s0
	s_xor_b32 s0, s6, -1
	s_delay_alu instid0(VALU_DEP_2) | instskip(SKIP_2) | instid1(VALU_DEP_2)
	v_lshlrev_b16 v24, 8, v24
	v_cndmask_b32_e64 v34, 0, 1, s0
	s_xor_b32 s0, s1, -1
	v_lshrrev_b32_e32 v24, 8, v24
	s_delay_alu instid0(VALU_DEP_1) | instskip(NEXT) | instid1(VALU_DEP_1)
	v_lshlrev_b16 v24, 8, v24
	v_or_b32_e32 v24, v25, v24
	s_delay_alu instid0(VALU_DEP_1)
	v_lshlrev_b32_e32 v26, 16, v24
	s_branch .LBB1597_48
.LBB1597_44:
                                        ; implicit-def: $sgpr0
                                        ; implicit-def: $vgpr34
                                        ; implicit-def: $vgpr25
	s_branch .LBB1597_89
.LBB1597_45:
                                        ; implicit-def: $vgpr24
                                        ; implicit-def: $vgpr23
                                        ; implicit-def: $vgpr35
                                        ; implicit-def: $vgpr22
	s_branch .LBB1597_142
.LBB1597_46:
	s_wait_xcnt 0x0
                                        ; implicit-def: $sgpr0
                                        ; implicit-def: $vgpr34
                                        ; implicit-def: $vgpr25
	s_cbranch_execnz .LBB1597_55
	s_branch .LBB1597_88
.LBB1597_47:
	v_mov_b32_e32 v34, 0
	s_mov_b32 s0, 0
.LBB1597_48:
	s_wait_loadcnt 0x0
	v_mov_b64_e32 v[24:25], v[22:23]
	s_wait_dscnt 0x0
	s_barrier_signal -1
	s_barrier_wait -1
	s_and_saveexec_b32 s1, s3
; %bb.49:
	v_add_nc_u32_e32 v24, -8, v33
	ds_load_b64 v[24:25], v24
; %bb.50:
	s_or_b32 exec_lo, exec_lo, s1
	v_cndmask_b32_e64 v27, 0, 1, s0
	v_lshrrev_b32_e32 v28, 16, v26
	s_mov_b32 s4, 0
	s_and_not1_b32 vcc_lo, exec_lo, s7
	s_mov_b32 s0, 0
	v_lshlrev_b16 v27, 8, v27
	v_perm_b32 v28, v28, v26, 0xc0c0304
	s_delay_alu instid0(VALU_DEP_2) | instskip(NEXT) | instid1(VALU_DEP_1)
	v_bitop3_b16 v27, v26, v27, 0xff bitop3:0xec
	v_and_b32_e32 v29, 0xffff, v27
	s_cbranch_vccnz .LBB1597_54
; %bb.51:
	s_wait_dscnt 0x0
	v_mul_u64_e32 v[24:25], s[18:19], v[24:25]
	v_mul_u64_e32 v[26:27], s[18:19], v[14:15]
	s_add_nc_u64 s[0:1], s[18:19], -1
	s_mov_b32 s5, 0
                                        ; implicit-def: $sgpr6
	s_delay_alu instid0(VALU_DEP_2) | instskip(NEXT) | instid1(VALU_DEP_2)
	v_lshl_add_u64 v[24:25], v[24:25], 2, s[8:9]
	v_lshl_add_u64 v[26:27], v[26:27], 2, s[8:9]
.LBB1597_52:                            ; =>This Inner Loop Header: Depth=1
	global_load_b32 v35, v[24:25], off
	global_load_b32 v36, v[26:27], off
	s_cmp_eq_u64 s[0:1], 0
	s_add_nc_u64 s[24:25], s[0:1], -1
	s_cselect_b32 s1, -1, 0
	s_wait_xcnt 0x1
	v_add_nc_u64_e32 v[24:25], 4, v[24:25]
	s_wait_xcnt 0x0
	v_add_nc_u64_e32 v[26:27], 4, v[26:27]
	s_wait_loadcnt 0x0
	v_cmp_ne_u32_e32 vcc_lo, v35, v36
	v_cmp_eq_u32_e64 s0, v35, v36
	s_or_b32 s1, vcc_lo, s1
	s_delay_alu instid0(SALU_CYCLE_1) | instskip(NEXT) | instid1(SALU_CYCLE_1)
	s_and_b32 s1, exec_lo, s1
	s_or_b32 s5, s1, s5
	s_and_not1_b32 s6, s6, exec_lo
	s_and_b32 s17, s0, exec_lo
	s_mov_b64 s[0:1], s[24:25]
	s_or_b32 s6, s6, s17
	s_and_not1_b32 exec_lo, exec_lo, s5
	s_cbranch_execnz .LBB1597_52
; %bb.53:
	s_or_b32 exec_lo, exec_lo, s5
	s_xor_b32 s0, s6, -1
.LBB1597_54:
	s_wait_dscnt 0x0
	s_delay_alu instid0(VALU_DEP_1)
	v_lshl_or_b32 v25, v28, 16, v29
	s_and_b32 vcc_lo, exec_lo, s4
	s_cbranch_vccz .LBB1597_88
.LBB1597_55:
	v_add_nc_u32_e32 v24, 4, v30
	s_mov_b32 s5, 0
	s_mov_b32 s4, 0
	s_mov_b32 s6, exec_lo
	s_delay_alu instid0(VALU_DEP_1)
	v_cmpx_gt_u32_e64 s31, v24
	s_cbranch_execz .LBB1597_61
; %bb.56:
	s_and_not1_b32 vcc_lo, exec_lo, s7
	s_mov_b32 s0, 0
	s_cbranch_vccnz .LBB1597_60
; %bb.57:
	v_mul_u64_e32 v[24:25], s[18:19], v[12:13]
	v_mul_u64_e32 v[26:27], s[18:19], v[20:21]
	s_add_nc_u64 s[0:1], s[18:19], -1
                                        ; implicit-def: $sgpr7
	s_delay_alu instid0(VALU_DEP_2) | instskip(NEXT) | instid1(VALU_DEP_2)
	v_lshl_add_u64 v[24:25], v[24:25], 2, s[8:9]
	v_lshl_add_u64 v[26:27], v[26:27], 2, s[8:9]
.LBB1597_58:                            ; =>This Inner Loop Header: Depth=1
	global_load_b32 v28, v[24:25], off
	global_load_b32 v29, v[26:27], off
	s_cmp_eq_u64 s[0:1], 0
	s_add_nc_u64 s[24:25], s[0:1], -1
	s_cselect_b32 s1, -1, 0
	s_wait_xcnt 0x1
	v_add_nc_u64_e32 v[24:25], 4, v[24:25]
	s_wait_xcnt 0x0
	v_add_nc_u64_e32 v[26:27], 4, v[26:27]
	s_wait_loadcnt 0x0
	v_cmp_ne_u32_e32 vcc_lo, v28, v29
	v_cmp_eq_u32_e64 s0, v28, v29
	s_or_b32 s1, vcc_lo, s1
	s_delay_alu instid0(SALU_CYCLE_1) | instskip(NEXT) | instid1(SALU_CYCLE_1)
	s_and_b32 s1, exec_lo, s1
	s_or_b32 s4, s1, s4
	s_and_not1_b32 s7, s7, exec_lo
	s_and_b32 s17, s0, exec_lo
	s_mov_b64 s[0:1], s[24:25]
	s_or_b32 s7, s7, s17
	s_and_not1_b32 exec_lo, exec_lo, s4
	s_cbranch_execnz .LBB1597_58
; %bb.59:
	s_or_b32 exec_lo, exec_lo, s4
	s_xor_b32 s0, s7, -1
.LBB1597_60:
	s_delay_alu instid0(SALU_CYCLE_1)
	s_and_b32 s4, s0, exec_lo
.LBB1597_61:
	s_or_b32 exec_lo, exec_lo, s6
	v_add_nc_u32_e32 v24, 3, v30
	s_mov_b32 s6, exec_lo
	s_delay_alu instid0(VALU_DEP_1)
	v_cmpx_gt_u32_e64 s31, v24
	s_cbranch_execz .LBB1597_67
; %bb.62:
	v_cmp_ne_u32_e32 vcc_lo, 1, v32
	s_mov_b32 s0, 0
	s_cbranch_vccnz .LBB1597_66
; %bb.63:
	v_mul_u64_e32 v[24:25], s[18:19], v[10:11]
	v_mul_u64_e32 v[26:27], s[18:19], v[12:13]
	s_add_nc_u64 s[0:1], s[18:19], -1
	s_mov_b32 s5, 0
                                        ; implicit-def: $sgpr7
	s_delay_alu instid0(VALU_DEP_2) | instskip(NEXT) | instid1(VALU_DEP_2)
	v_lshl_add_u64 v[24:25], v[24:25], 2, s[8:9]
	v_lshl_add_u64 v[26:27], v[26:27], 2, s[8:9]
.LBB1597_64:                            ; =>This Inner Loop Header: Depth=1
	global_load_b32 v28, v[24:25], off
	global_load_b32 v29, v[26:27], off
	s_cmp_eq_u64 s[0:1], 0
	s_add_nc_u64 s[24:25], s[0:1], -1
	s_cselect_b32 s1, -1, 0
	s_wait_xcnt 0x1
	v_add_nc_u64_e32 v[24:25], 4, v[24:25]
	s_wait_xcnt 0x0
	v_add_nc_u64_e32 v[26:27], 4, v[26:27]
	s_wait_loadcnt 0x0
	v_cmp_ne_u32_e32 vcc_lo, v28, v29
	v_cmp_eq_u32_e64 s0, v28, v29
	s_or_b32 s1, vcc_lo, s1
	s_delay_alu instid0(SALU_CYCLE_1) | instskip(NEXT) | instid1(SALU_CYCLE_1)
	s_and_b32 s1, exec_lo, s1
	s_or_b32 s5, s1, s5
	s_and_not1_b32 s7, s7, exec_lo
	s_and_b32 s17, s0, exec_lo
	s_mov_b64 s[0:1], s[24:25]
	s_or_b32 s7, s7, s17
	s_and_not1_b32 exec_lo, exec_lo, s5
	s_cbranch_execnz .LBB1597_64
; %bb.65:
	s_or_b32 exec_lo, exec_lo, s5
	s_xor_b32 s0, s7, -1
.LBB1597_66:
	s_delay_alu instid0(SALU_CYCLE_1)
	s_and_b32 s5, s0, exec_lo
.LBB1597_67:
	s_or_b32 exec_lo, exec_lo, s6
	v_add_nc_u32_e32 v24, 2, v30
	s_mov_b32 s6, 0
	s_mov_b32 s7, 0
	s_mov_b32 s17, exec_lo
	s_delay_alu instid0(VALU_DEP_1)
	v_cmpx_gt_u32_e64 s31, v24
	s_cbranch_execz .LBB1597_73
; %bb.68:
	v_cmp_ne_u32_e32 vcc_lo, 1, v32
	s_mov_b32 s0, 0
	s_cbranch_vccnz .LBB1597_72
; %bb.69:
	v_mul_u64_e32 v[24:25], s[18:19], v[16:17]
	v_mul_u64_e32 v[26:27], s[18:19], v[10:11]
	s_add_nc_u64 s[0:1], s[18:19], -1
                                        ; implicit-def: $sgpr24
	s_delay_alu instid0(VALU_DEP_2) | instskip(NEXT) | instid1(VALU_DEP_2)
	v_lshl_add_u64 v[24:25], v[24:25], 2, s[8:9]
	v_lshl_add_u64 v[26:27], v[26:27], 2, s[8:9]
.LBB1597_70:                            ; =>This Inner Loop Header: Depth=1
	global_load_b32 v28, v[24:25], off
	global_load_b32 v29, v[26:27], off
	s_cmp_eq_u64 s[0:1], 0
	s_add_nc_u64 s[26:27], s[0:1], -1
	s_cselect_b32 s1, -1, 0
	s_wait_xcnt 0x1
	v_add_nc_u64_e32 v[24:25], 4, v[24:25]
	s_wait_xcnt 0x0
	v_add_nc_u64_e32 v[26:27], 4, v[26:27]
	s_wait_loadcnt 0x0
	v_cmp_ne_u32_e32 vcc_lo, v28, v29
	v_cmp_eq_u32_e64 s0, v28, v29
	s_or_b32 s1, vcc_lo, s1
	s_delay_alu instid0(SALU_CYCLE_1) | instskip(NEXT) | instid1(SALU_CYCLE_1)
	s_and_b32 s1, exec_lo, s1
	s_or_b32 s7, s1, s7
	s_and_not1_b32 s24, s24, exec_lo
	s_and_b32 s25, s0, exec_lo
	s_mov_b64 s[0:1], s[26:27]
	s_or_b32 s24, s24, s25
	s_and_not1_b32 exec_lo, exec_lo, s7
	s_cbranch_execnz .LBB1597_70
; %bb.71:
	s_or_b32 exec_lo, exec_lo, s7
	s_xor_b32 s0, s24, -1
.LBB1597_72:
	s_delay_alu instid0(SALU_CYCLE_1)
	s_and_b32 s7, s0, exec_lo
.LBB1597_73:
	s_or_b32 exec_lo, exec_lo, s17
	v_add_nc_u32_e32 v24, 1, v30
	s_mov_b32 s17, exec_lo
	s_delay_alu instid0(VALU_DEP_1)
	v_cmpx_gt_u32_e64 s31, v24
	s_cbranch_execz .LBB1597_79
; %bb.74:
	v_cmp_ne_u32_e32 vcc_lo, 1, v32
	s_mov_b32 s0, 0
	s_cbranch_vccnz .LBB1597_78
; %bb.75:
	v_mul_u64_e32 v[24:25], s[18:19], v[14:15]
	v_mul_u64_e32 v[26:27], s[18:19], v[16:17]
	s_add_nc_u64 s[0:1], s[18:19], -1
	s_mov_b32 s6, 0
                                        ; implicit-def: $sgpr24
	s_delay_alu instid0(VALU_DEP_2) | instskip(NEXT) | instid1(VALU_DEP_2)
	v_lshl_add_u64 v[24:25], v[24:25], 2, s[8:9]
	v_lshl_add_u64 v[26:27], v[26:27], 2, s[8:9]
.LBB1597_76:                            ; =>This Inner Loop Header: Depth=1
	global_load_b32 v28, v[24:25], off
	global_load_b32 v29, v[26:27], off
	s_cmp_eq_u64 s[0:1], 0
	s_add_nc_u64 s[26:27], s[0:1], -1
	s_cselect_b32 s1, -1, 0
	s_wait_xcnt 0x1
	v_add_nc_u64_e32 v[24:25], 4, v[24:25]
	s_wait_xcnt 0x0
	v_add_nc_u64_e32 v[26:27], 4, v[26:27]
	s_wait_loadcnt 0x0
	v_cmp_ne_u32_e32 vcc_lo, v28, v29
	v_cmp_eq_u32_e64 s0, v28, v29
	s_or_b32 s1, vcc_lo, s1
	s_delay_alu instid0(SALU_CYCLE_1) | instskip(NEXT) | instid1(SALU_CYCLE_1)
	s_and_b32 s1, exec_lo, s1
	s_or_b32 s6, s1, s6
	s_and_not1_b32 s24, s24, exec_lo
	s_and_b32 s25, s0, exec_lo
	s_mov_b64 s[0:1], s[26:27]
	s_or_b32 s24, s24, s25
	s_and_not1_b32 exec_lo, exec_lo, s6
	s_cbranch_execnz .LBB1597_76
; %bb.77:
	s_or_b32 exec_lo, exec_lo, s6
	s_xor_b32 s0, s24, -1
.LBB1597_78:
	s_delay_alu instid0(SALU_CYCLE_1)
	s_and_b32 s6, s0, exec_lo
.LBB1597_79:
	s_or_b32 exec_lo, exec_lo, s17
	s_wait_loadcnt_dscnt 0x0
	s_barrier_signal -1
	s_barrier_wait -1
	s_and_saveexec_b32 s0, s3
; %bb.80:
	v_add_nc_u32_e32 v22, -8, v33
	ds_load_b64 v[22:23], v22
; %bb.81:
	s_or_b32 exec_lo, exec_lo, s0
	v_cndmask_b32_e64 v24, 0, 1, s5
	v_cndmask_b32_e64 v25, 0, 1, s7
	;; [unrolled: 1-line block ×3, first 2 shown]
	s_mov_b32 s0, 0
	s_mov_b32 s5, exec_lo
	v_lshlrev_b16 v24, 8, v24
	s_delay_alu instid0(VALU_DEP_2) | instskip(NEXT) | instid1(VALU_DEP_2)
	v_lshlrev_b16 v26, 8, v26
	v_or_b32_e32 v24, v25, v24
	s_delay_alu instid0(VALU_DEP_2) | instskip(NEXT) | instid1(VALU_DEP_2)
	v_and_b32_e32 v26, 0xffff, v26
	v_lshlrev_b32_e32 v27, 16, v24
	v_cmpx_gt_u32_e64 s31, v30
	s_cbranch_execz .LBB1597_87
; %bb.82:
	v_cmp_ne_u32_e32 vcc_lo, 1, v32
	s_cbranch_vccnz .LBB1597_86
; %bb.83:
	s_wait_dscnt 0x0
	v_mul_u64_e32 v[22:23], s[18:19], v[22:23]
	v_mul_u64_e32 v[24:25], s[18:19], v[14:15]
	s_add_nc_u64 s[0:1], s[18:19], -1
	s_mov_b32 s6, 0
                                        ; implicit-def: $sgpr7
	s_delay_alu instid0(VALU_DEP_2) | instskip(NEXT) | instid1(VALU_DEP_2)
	v_lshl_add_u64 v[22:23], v[22:23], 2, s[8:9]
	v_lshl_add_u64 v[24:25], v[24:25], 2, s[8:9]
.LBB1597_84:                            ; =>This Inner Loop Header: Depth=1
	global_load_b32 v28, v[22:23], off
	global_load_b32 v29, v[24:25], off
	s_cmp_eq_u64 s[0:1], 0
	s_add_nc_u64 s[24:25], s[0:1], -1
	s_cselect_b32 s1, -1, 0
	s_wait_xcnt 0x1
	v_add_nc_u64_e32 v[22:23], 4, v[22:23]
	s_wait_xcnt 0x0
	v_add_nc_u64_e32 v[24:25], 4, v[24:25]
	s_wait_loadcnt 0x0
	v_cmp_ne_u32_e32 vcc_lo, v28, v29
	v_cmp_eq_u32_e64 s0, v28, v29
	s_or_b32 s1, vcc_lo, s1
	s_delay_alu instid0(SALU_CYCLE_1) | instskip(NEXT) | instid1(SALU_CYCLE_1)
	s_and_b32 s1, exec_lo, s1
	s_or_b32 s6, s1, s6
	s_and_not1_b32 s7, s7, exec_lo
	s_and_b32 s17, s0, exec_lo
	s_mov_b64 s[0:1], s[24:25]
	s_or_b32 s7, s7, s17
	s_and_not1_b32 exec_lo, exec_lo, s6
	s_cbranch_execnz .LBB1597_84
; %bb.85:
	s_or_b32 exec_lo, exec_lo, s6
	s_xor_b32 s0, s7, -1
.LBB1597_86:
	s_delay_alu instid0(SALU_CYCLE_1)
	s_and_b32 s0, s0, exec_lo
.LBB1597_87:
	s_or_b32 exec_lo, exec_lo, s5
	v_cndmask_b32_e64 v34, 0, 1, s4
	v_or_b32_e32 v25, v26, v27
.LBB1597_88:
	s_mov_b32 s6, -1
	s_cbranch_execnz .LBB1597_45
.LBB1597_89:
	s_wait_loadcnt_dscnt 0x0
	v_lshlrev_b32_e32 v22, 5, v0
	v_cmp_gt_i64_e64 s7, s[18:19], 0
	s_and_b32 vcc_lo, exec_lo, s29
	v_sub_nc_u32_e32 v31, v31, v22
	ds_store_b64 v31, v[20:21]
	s_cbranch_vccz .LBB1597_100
; %bb.90:
	s_and_not1_b32 vcc_lo, exec_lo, s7
	s_cbranch_vccnz .LBB1597_101
; %bb.91:
	v_mul_u64_e32 v[22:23], s[18:19], v[12:13]
	v_mul_u64_e32 v[24:25], s[18:19], v[20:21]
	s_add_nc_u64 s[4:5], s[18:19], -1
	s_mov_b32 s24, 0
	s_mov_b64 s[0:1], s[4:5]
                                        ; implicit-def: $sgpr17
	s_delay_alu instid0(VALU_DEP_2) | instskip(NEXT) | instid1(VALU_DEP_2)
	v_lshl_add_u64 v[22:23], v[22:23], 2, s[8:9]
	v_lshl_add_u64 v[24:25], v[24:25], 2, s[8:9]
	s_delay_alu instid0(VALU_DEP_2)
	v_mov_b64_e32 v[26:27], v[22:23]
.LBB1597_92:                            ; =>This Inner Loop Header: Depth=1
	global_load_b32 v28, v[26:27], off
	global_load_b32 v29, v[24:25], off
	s_cmp_eq_u64 s[0:1], 0
	s_add_nc_u64 s[26:27], s[0:1], -1
	s_cselect_b32 s1, -1, 0
	s_wait_xcnt 0x1
	v_add_nc_u64_e32 v[26:27], 4, v[26:27]
	s_wait_xcnt 0x0
	v_add_nc_u64_e32 v[24:25], 4, v[24:25]
	s_wait_loadcnt 0x0
	v_cmp_ne_u32_e32 vcc_lo, v28, v29
	v_cmp_eq_u32_e64 s0, v28, v29
	s_or_b32 s1, vcc_lo, s1
	s_delay_alu instid0(SALU_CYCLE_1) | instskip(NEXT) | instid1(SALU_CYCLE_1)
	s_and_b32 s1, exec_lo, s1
	s_or_b32 s24, s1, s24
	s_and_not1_b32 s17, s17, exec_lo
	s_and_b32 s25, s0, exec_lo
	s_mov_b64 s[0:1], s[26:27]
	s_or_b32 s17, s17, s25
	s_and_not1_b32 exec_lo, exec_lo, s24
	s_cbranch_execnz .LBB1597_92
; %bb.93:
	s_or_b32 exec_lo, exec_lo, s24
	v_mul_u64_e32 v[24:25], s[18:19], v[10:11]
	s_mov_b32 s25, 0
	s_mov_b64 s[0:1], s[4:5]
                                        ; implicit-def: $sgpr24
	s_delay_alu instid0(VALU_DEP_1) | instskip(NEXT) | instid1(VALU_DEP_1)
	v_lshl_add_u64 v[24:25], v[24:25], 2, s[8:9]
	v_mov_b64_e32 v[26:27], v[24:25]
.LBB1597_94:                            ; =>This Inner Loop Header: Depth=1
	global_load_b32 v28, v[26:27], off
	global_load_b32 v29, v[22:23], off
	s_cmp_eq_u64 s[0:1], 0
	s_add_nc_u64 s[26:27], s[0:1], -1
	s_cselect_b32 s1, -1, 0
	s_wait_xcnt 0x1
	v_add_nc_u64_e32 v[26:27], 4, v[26:27]
	s_wait_xcnt 0x0
	v_add_nc_u64_e32 v[22:23], 4, v[22:23]
	s_wait_loadcnt 0x0
	v_cmp_ne_u32_e32 vcc_lo, v28, v29
	v_cmp_eq_u32_e64 s0, v28, v29
	s_or_b32 s1, vcc_lo, s1
	s_delay_alu instid0(SALU_CYCLE_1) | instskip(NEXT) | instid1(SALU_CYCLE_1)
	s_and_b32 s1, exec_lo, s1
	s_or_b32 s25, s1, s25
	s_and_not1_b32 s24, s24, exec_lo
	s_and_b32 s34, s0, exec_lo
	s_mov_b64 s[0:1], s[26:27]
	s_or_b32 s24, s24, s34
	s_and_not1_b32 exec_lo, exec_lo, s25
	s_cbranch_execnz .LBB1597_94
; %bb.95:
	s_or_b32 exec_lo, exec_lo, s25
	v_mul_u64_e32 v[22:23], s[18:19], v[16:17]
	s_mov_b32 s26, 0
	s_mov_b64 s[0:1], s[4:5]
                                        ; implicit-def: $sgpr25
	s_delay_alu instid0(VALU_DEP_1) | instskip(NEXT) | instid1(VALU_DEP_1)
	v_lshl_add_u64 v[22:23], v[22:23], 2, s[8:9]
	v_mov_b64_e32 v[26:27], v[22:23]
.LBB1597_96:                            ; =>This Inner Loop Header: Depth=1
	global_load_b32 v28, v[26:27], off
	global_load_b32 v29, v[24:25], off
	s_cmp_eq_u64 s[0:1], 0
	s_add_nc_u64 s[34:35], s[0:1], -1
	s_cselect_b32 s1, -1, 0
	s_wait_xcnt 0x1
	v_add_nc_u64_e32 v[26:27], 4, v[26:27]
	s_wait_xcnt 0x0
	v_add_nc_u64_e32 v[24:25], 4, v[24:25]
	s_wait_loadcnt 0x0
	v_cmp_ne_u32_e32 vcc_lo, v28, v29
	v_cmp_eq_u32_e64 s0, v28, v29
	s_or_b32 s1, vcc_lo, s1
	s_delay_alu instid0(SALU_CYCLE_1) | instskip(NEXT) | instid1(SALU_CYCLE_1)
	s_and_b32 s1, exec_lo, s1
	s_or_b32 s26, s1, s26
	s_and_not1_b32 s25, s25, exec_lo
	s_and_b32 s27, s0, exec_lo
	s_mov_b64 s[0:1], s[34:35]
	s_or_b32 s25, s25, s27
	s_and_not1_b32 exec_lo, exec_lo, s26
	s_cbranch_execnz .LBB1597_96
; %bb.97:
	s_or_b32 exec_lo, exec_lo, s26
	v_mul_u64_e32 v[24:25], s[18:19], v[14:15]
	s_mov_b32 s26, 0
                                        ; implicit-def: $sgpr1
	s_delay_alu instid0(VALU_DEP_1)
	v_lshl_add_u64 v[24:25], v[24:25], 2, s[8:9]
.LBB1597_98:                            ; =>This Inner Loop Header: Depth=1
	global_load_b32 v26, v[24:25], off
	global_load_b32 v27, v[22:23], off
	s_cmp_eq_u64 s[4:5], 0
	s_add_nc_u64 s[34:35], s[4:5], -1
	s_cselect_b32 s4, -1, 0
	s_wait_xcnt 0x1
	v_add_nc_u64_e32 v[24:25], 4, v[24:25]
	s_wait_xcnt 0x0
	v_add_nc_u64_e32 v[22:23], 4, v[22:23]
	s_wait_loadcnt 0x0
	v_cmp_ne_u32_e32 vcc_lo, v26, v27
	v_cmp_eq_u32_e64 s0, v26, v27
	s_or_b32 s4, vcc_lo, s4
	s_delay_alu instid0(SALU_CYCLE_1) | instskip(NEXT) | instid1(SALU_CYCLE_1)
	s_and_b32 s4, exec_lo, s4
	s_or_b32 s26, s4, s26
	s_and_not1_b32 s1, s1, exec_lo
	s_and_b32 s0, s0, exec_lo
	s_mov_b64 s[4:5], s[34:35]
	s_or_b32 s1, s1, s0
	s_and_not1_b32 exec_lo, exec_lo, s26
	s_cbranch_execnz .LBB1597_98
; %bb.99:
	s_or_b32 exec_lo, exec_lo, s26
	s_xor_b32 s0, s24, -1
	s_delay_alu instid0(SALU_CYCLE_1) | instskip(SKIP_1) | instid1(SALU_CYCLE_1)
	v_cndmask_b32_e64 v22, 0, 1, s0
	s_xor_b32 s0, s25, -1
	v_cndmask_b32_e64 v23, 0, 1, s0
	s_xor_b32 s0, s17, -1
	s_delay_alu instid0(VALU_DEP_2) | instskip(SKIP_2) | instid1(VALU_DEP_2)
	v_lshlrev_b16 v22, 8, v22
	v_cndmask_b32_e64 v34, 0, 1, s0
	s_xor_b32 s0, s1, -1
	v_lshrrev_b32_e32 v22, 8, v22
	s_delay_alu instid0(VALU_DEP_1) | instskip(NEXT) | instid1(VALU_DEP_1)
	v_lshlrev_b16 v22, 8, v22
	v_or_b32_e32 v22, v23, v22
	s_delay_alu instid0(VALU_DEP_1)
	v_lshlrev_b32_e32 v22, 16, v22
	s_branch .LBB1597_102
.LBB1597_100:
                                        ; implicit-def: $sgpr0
                                        ; implicit-def: $vgpr34
                                        ; implicit-def: $vgpr25
                                        ; implicit-def: $vgpr24
                                        ; implicit-def: $vgpr23
                                        ; implicit-def: $vgpr35
                                        ; implicit-def: $vgpr22
	s_cbranch_execnz .LBB1597_109
	s_branch .LBB1597_142
.LBB1597_101:
	v_dual_mov_b32 v22, 0 :: v_dual_mov_b32 v34, 0
	s_mov_b32 s0, 0
.LBB1597_102:
	s_delay_alu instid0(VALU_DEP_1)
	v_dual_lshrrev_b32 v35, 16, v22 :: v_dual_lshrrev_b32 v22, 24, v22
	v_cndmask_b32_e64 v23, 0, 1, s0
	v_mov_b32_e32 v24, 1
	s_wait_dscnt 0x0
	s_barrier_signal -1
	s_barrier_wait -1
                                        ; implicit-def: $sgpr0
                                        ; implicit-def: $vgpr25
	s_and_saveexec_b32 s1, s3
	s_delay_alu instid0(SALU_CYCLE_1)
	s_xor_b32 s4, exec_lo, s1
	s_cbranch_execz .LBB1597_108
; %bb.103:
	v_lshlrev_b16 v25, 8, v22
	v_lshlrev_b16 v26, 8, v23
	s_and_not1_b32 vcc_lo, exec_lo, s7
	s_mov_b32 s0, 0
	s_delay_alu instid0(VALU_DEP_2) | instskip(NEXT) | instid1(VALU_DEP_1)
	v_bitop3_b16 v25, v35, v25, 0xff bitop3:0xec
	v_dual_lshlrev_b32 v25, 16, v25 :: v_dual_bitop2_b32 v26, 1, v26 bitop3:0x54
	s_delay_alu instid0(VALU_DEP_1) | instskip(NEXT) | instid1(VALU_DEP_1)
	v_and_b32_e32 v26, 0xffff, v26
	v_or_b32_e32 v25, v26, v25
	s_cbranch_vccnz .LBB1597_107
; %bb.104:
	v_add_nc_u32_e32 v26, -8, v31
	v_mul_u64_e32 v[28:29], s[18:19], v[14:15]
	s_add_nc_u64 s[0:1], s[18:19], -1
	s_mov_b32 s5, 0
                                        ; implicit-def: $sgpr17
	ds_load_b64 v[26:27], v26
	s_wait_dscnt 0x0
	v_mul_u64_e32 v[26:27], s[18:19], v[26:27]
	v_lshl_add_u64 v[28:29], v[28:29], 2, s[8:9]
	s_delay_alu instid0(VALU_DEP_2)
	v_lshl_add_u64 v[26:27], v[26:27], 2, s[8:9]
.LBB1597_105:                           ; =>This Inner Loop Header: Depth=1
	global_load_b32 v32, v[26:27], off
	global_load_b32 v33, v[28:29], off
	s_cmp_eq_u64 s[0:1], 0
	s_add_nc_u64 s[24:25], s[0:1], -1
	s_cselect_b32 s1, -1, 0
	s_wait_xcnt 0x1
	v_add_nc_u64_e32 v[26:27], 4, v[26:27]
	s_wait_xcnt 0x0
	v_add_nc_u64_e32 v[28:29], 4, v[28:29]
	s_wait_loadcnt 0x0
	v_cmp_ne_u32_e32 vcc_lo, v32, v33
	v_cmp_eq_u32_e64 s0, v32, v33
	s_or_b32 s1, vcc_lo, s1
	s_delay_alu instid0(SALU_CYCLE_1) | instskip(NEXT) | instid1(SALU_CYCLE_1)
	s_and_b32 s1, exec_lo, s1
	s_or_b32 s5, s1, s5
	s_and_not1_b32 s17, s17, exec_lo
	s_and_b32 s26, s0, exec_lo
	s_mov_b64 s[0:1], s[24:25]
	s_or_b32 s17, s17, s26
	s_and_not1_b32 exec_lo, exec_lo, s5
	s_cbranch_execnz .LBB1597_105
; %bb.106:
	s_or_b32 exec_lo, exec_lo, s5
	s_xor_b32 s0, s17, -1
.LBB1597_107:
	s_delay_alu instid0(VALU_DEP_1)
	v_perm_b32 v25, v25, v25, 0x3020104
	s_or_b32 s6, s6, exec_lo
.LBB1597_108:
	s_or_b32 exec_lo, exec_lo, s4
	s_branch .LBB1597_142
.LBB1597_109:
	v_add_nc_u32_e32 v22, 4, v30
	s_mov_b32 s4, 0
	s_mov_b32 s5, 0
	s_mov_b32 s17, exec_lo
	s_delay_alu instid0(VALU_DEP_1)
	v_cmpx_gt_u32_e64 s31, v22
	s_cbranch_execz .LBB1597_115
; %bb.110:
	s_and_not1_b32 vcc_lo, exec_lo, s7
	s_mov_b32 s0, 0
	s_cbranch_vccnz .LBB1597_114
; %bb.111:
	v_mul_u64_e32 v[22:23], s[18:19], v[12:13]
	v_mul_u64_e32 v[24:25], s[18:19], v[20:21]
	s_add_nc_u64 s[0:1], s[18:19], -1
                                        ; implicit-def: $sgpr24
	s_delay_alu instid0(VALU_DEP_2) | instskip(NEXT) | instid1(VALU_DEP_2)
	v_lshl_add_u64 v[22:23], v[22:23], 2, s[8:9]
	v_lshl_add_u64 v[24:25], v[24:25], 2, s[8:9]
.LBB1597_112:                           ; =>This Inner Loop Header: Depth=1
	global_load_b32 v26, v[22:23], off
	global_load_b32 v27, v[24:25], off
	s_cmp_eq_u64 s[0:1], 0
	s_add_nc_u64 s[26:27], s[0:1], -1
	s_cselect_b32 s1, -1, 0
	s_wait_xcnt 0x1
	v_add_nc_u64_e32 v[22:23], 4, v[22:23]
	s_wait_xcnt 0x0
	v_add_nc_u64_e32 v[24:25], 4, v[24:25]
	s_wait_loadcnt 0x0
	v_cmp_ne_u32_e32 vcc_lo, v26, v27
	v_cmp_eq_u32_e64 s0, v26, v27
	s_or_b32 s1, vcc_lo, s1
	s_delay_alu instid0(SALU_CYCLE_1) | instskip(NEXT) | instid1(SALU_CYCLE_1)
	s_and_b32 s1, exec_lo, s1
	s_or_b32 s5, s1, s5
	s_and_not1_b32 s24, s24, exec_lo
	s_and_b32 s25, s0, exec_lo
	s_mov_b64 s[0:1], s[26:27]
	s_or_b32 s24, s24, s25
	s_and_not1_b32 exec_lo, exec_lo, s5
	s_cbranch_execnz .LBB1597_112
; %bb.113:
	s_or_b32 exec_lo, exec_lo, s5
	s_xor_b32 s0, s24, -1
.LBB1597_114:
	s_delay_alu instid0(SALU_CYCLE_1)
	s_and_b32 s5, s0, exec_lo
.LBB1597_115:
	s_or_b32 exec_lo, exec_lo, s17
	v_add_nc_u32_e32 v22, 3, v30
	s_mov_b32 s17, exec_lo
	s_delay_alu instid0(VALU_DEP_1)
	v_cmpx_gt_u32_e64 s31, v22
	s_cbranch_execz .LBB1597_121
; %bb.116:
	s_and_not1_b32 vcc_lo, exec_lo, s7
	s_mov_b32 s0, 0
	s_cbranch_vccnz .LBB1597_120
; %bb.117:
	v_mul_u64_e32 v[22:23], s[18:19], v[10:11]
	v_mul_u64_e32 v[24:25], s[18:19], v[12:13]
	s_add_nc_u64 s[0:1], s[18:19], -1
	s_mov_b32 s4, 0
                                        ; implicit-def: $sgpr24
	s_delay_alu instid0(VALU_DEP_2) | instskip(NEXT) | instid1(VALU_DEP_2)
	v_lshl_add_u64 v[22:23], v[22:23], 2, s[8:9]
	v_lshl_add_u64 v[24:25], v[24:25], 2, s[8:9]
.LBB1597_118:                           ; =>This Inner Loop Header: Depth=1
	global_load_b32 v26, v[22:23], off
	global_load_b32 v27, v[24:25], off
	s_cmp_eq_u64 s[0:1], 0
	s_add_nc_u64 s[26:27], s[0:1], -1
	s_cselect_b32 s1, -1, 0
	s_wait_xcnt 0x1
	v_add_nc_u64_e32 v[22:23], 4, v[22:23]
	s_wait_xcnt 0x0
	v_add_nc_u64_e32 v[24:25], 4, v[24:25]
	s_wait_loadcnt 0x0
	v_cmp_ne_u32_e32 vcc_lo, v26, v27
	v_cmp_eq_u32_e64 s0, v26, v27
	s_or_b32 s1, vcc_lo, s1
	s_delay_alu instid0(SALU_CYCLE_1) | instskip(NEXT) | instid1(SALU_CYCLE_1)
	s_and_b32 s1, exec_lo, s1
	s_or_b32 s4, s1, s4
	s_and_not1_b32 s24, s24, exec_lo
	s_and_b32 s25, s0, exec_lo
	s_mov_b64 s[0:1], s[26:27]
	s_or_b32 s24, s24, s25
	s_and_not1_b32 exec_lo, exec_lo, s4
	s_cbranch_execnz .LBB1597_118
; %bb.119:
	s_or_b32 exec_lo, exec_lo, s4
	s_xor_b32 s0, s24, -1
.LBB1597_120:
	s_delay_alu instid0(SALU_CYCLE_1)
	s_and_b32 s4, s0, exec_lo
.LBB1597_121:
	s_or_b32 exec_lo, exec_lo, s17
	v_add_nc_u32_e32 v22, 2, v30
	s_mov_b32 s17, 0
	s_mov_b32 s24, 0
	s_mov_b32 s25, exec_lo
	s_delay_alu instid0(VALU_DEP_1)
	v_cmpx_gt_u32_e64 s31, v22
	s_cbranch_execz .LBB1597_127
; %bb.122:
	s_and_not1_b32 vcc_lo, exec_lo, s7
	s_mov_b32 s0, 0
	s_cbranch_vccnz .LBB1597_126
; %bb.123:
	v_mul_u64_e32 v[22:23], s[18:19], v[16:17]
	v_mul_u64_e32 v[24:25], s[18:19], v[10:11]
	s_add_nc_u64 s[0:1], s[18:19], -1
                                        ; implicit-def: $sgpr26
	s_delay_alu instid0(VALU_DEP_2) | instskip(NEXT) | instid1(VALU_DEP_2)
	v_lshl_add_u64 v[22:23], v[22:23], 2, s[8:9]
	v_lshl_add_u64 v[24:25], v[24:25], 2, s[8:9]
.LBB1597_124:                           ; =>This Inner Loop Header: Depth=1
	global_load_b32 v26, v[22:23], off
	global_load_b32 v27, v[24:25], off
	s_cmp_eq_u64 s[0:1], 0
	s_add_nc_u64 s[34:35], s[0:1], -1
	s_cselect_b32 s1, -1, 0
	s_wait_xcnt 0x1
	v_add_nc_u64_e32 v[22:23], 4, v[22:23]
	s_wait_xcnt 0x0
	v_add_nc_u64_e32 v[24:25], 4, v[24:25]
	s_wait_loadcnt 0x0
	v_cmp_ne_u32_e32 vcc_lo, v26, v27
	v_cmp_eq_u32_e64 s0, v26, v27
	s_or_b32 s1, vcc_lo, s1
	s_delay_alu instid0(SALU_CYCLE_1) | instskip(NEXT) | instid1(SALU_CYCLE_1)
	s_and_b32 s1, exec_lo, s1
	s_or_b32 s24, s1, s24
	s_and_not1_b32 s26, s26, exec_lo
	s_and_b32 s27, s0, exec_lo
	s_mov_b64 s[0:1], s[34:35]
	s_or_b32 s26, s26, s27
	s_and_not1_b32 exec_lo, exec_lo, s24
	s_cbranch_execnz .LBB1597_124
; %bb.125:
	s_or_b32 exec_lo, exec_lo, s24
	s_xor_b32 s0, s26, -1
.LBB1597_126:
	s_delay_alu instid0(SALU_CYCLE_1)
	s_and_b32 s24, s0, exec_lo
.LBB1597_127:
	s_or_b32 exec_lo, exec_lo, s25
	v_add_nc_u32_e32 v22, 1, v30
	s_mov_b32 s25, exec_lo
	s_delay_alu instid0(VALU_DEP_1)
	v_cmpx_gt_u32_e64 s31, v22
	s_cbranch_execz .LBB1597_133
; %bb.128:
	s_and_not1_b32 vcc_lo, exec_lo, s7
	s_mov_b32 s0, 0
	s_cbranch_vccnz .LBB1597_132
; %bb.129:
	v_mul_u64_e32 v[22:23], s[18:19], v[14:15]
	v_mul_u64_e32 v[24:25], s[18:19], v[16:17]
	s_add_nc_u64 s[0:1], s[18:19], -1
	s_mov_b32 s17, 0
                                        ; implicit-def: $sgpr26
	s_delay_alu instid0(VALU_DEP_2) | instskip(NEXT) | instid1(VALU_DEP_2)
	v_lshl_add_u64 v[22:23], v[22:23], 2, s[8:9]
	v_lshl_add_u64 v[24:25], v[24:25], 2, s[8:9]
.LBB1597_130:                           ; =>This Inner Loop Header: Depth=1
	global_load_b32 v26, v[22:23], off
	global_load_b32 v27, v[24:25], off
	s_cmp_eq_u64 s[0:1], 0
	s_add_nc_u64 s[34:35], s[0:1], -1
	s_cselect_b32 s1, -1, 0
	s_wait_xcnt 0x1
	v_add_nc_u64_e32 v[22:23], 4, v[22:23]
	s_wait_xcnt 0x0
	v_add_nc_u64_e32 v[24:25], 4, v[24:25]
	s_wait_loadcnt 0x0
	v_cmp_ne_u32_e32 vcc_lo, v26, v27
	v_cmp_eq_u32_e64 s0, v26, v27
	s_or_b32 s1, vcc_lo, s1
	s_delay_alu instid0(SALU_CYCLE_1) | instskip(NEXT) | instid1(SALU_CYCLE_1)
	s_and_b32 s1, exec_lo, s1
	s_or_b32 s17, s1, s17
	s_and_not1_b32 s26, s26, exec_lo
	s_and_b32 s27, s0, exec_lo
	s_mov_b64 s[0:1], s[34:35]
	s_or_b32 s26, s26, s27
	s_and_not1_b32 exec_lo, exec_lo, s17
	s_cbranch_execnz .LBB1597_130
; %bb.131:
	s_or_b32 exec_lo, exec_lo, s17
	s_xor_b32 s0, s26, -1
.LBB1597_132:
	s_delay_alu instid0(SALU_CYCLE_1)
	s_and_b32 s17, s0, exec_lo
.LBB1597_133:
	s_or_b32 exec_lo, exec_lo, s25
	v_cndmask_b32_e64 v34, 0, 1, s5
	v_cndmask_b32_e64 v35, 0, 1, s24
	;; [unrolled: 1-line block ×4, first 2 shown]
	v_mov_b32_e32 v24, 1
	s_wait_dscnt 0x0
	s_barrier_signal -1
	s_barrier_wait -1
                                        ; implicit-def: $sgpr0
                                        ; implicit-def: $vgpr25
	s_and_saveexec_b32 s4, s3
	s_cbranch_execz .LBB1597_141
; %bb.134:
	v_lshlrev_b16 v25, 8, v23
	v_lshlrev_b16 v26, 8, v22
	s_mov_b32 s0, 0
	s_mov_b32 s3, exec_lo
	s_delay_alu instid0(VALU_DEP_1) | instskip(NEXT) | instid1(VALU_DEP_1)
	v_or_b32_e32 v26, v35, v26
	v_dual_lshlrev_b32 v26, 16, v26 :: v_dual_bitop2_b32 v25, 1, v25 bitop3:0x54
	s_delay_alu instid0(VALU_DEP_1) | instskip(NEXT) | instid1(VALU_DEP_1)
	v_and_b32_e32 v25, 0xffff, v25
	v_or_b32_e32 v25, v25, v26
	v_cmpx_gt_u32_e64 s31, v30
	s_cbranch_execz .LBB1597_140
; %bb.135:
	s_and_not1_b32 vcc_lo, exec_lo, s7
	s_cbranch_vccnz .LBB1597_139
; %bb.136:
	v_add_nc_u32_e32 v26, -8, v31
	v_mul_u64_e32 v[28:29], s[18:19], v[14:15]
	s_add_nc_u64 s[0:1], s[18:19], -1
	s_mov_b32 s5, 0
                                        ; implicit-def: $sgpr7
	ds_load_b64 v[26:27], v26
	s_wait_dscnt 0x0
	v_mul_u64_e32 v[26:27], s[18:19], v[26:27]
	v_lshl_add_u64 v[28:29], v[28:29], 2, s[8:9]
	s_delay_alu instid0(VALU_DEP_2)
	v_lshl_add_u64 v[26:27], v[26:27], 2, s[8:9]
.LBB1597_137:                           ; =>This Inner Loop Header: Depth=1
	global_load_b32 v31, v[26:27], off
	global_load_b32 v32, v[28:29], off
	s_cmp_eq_u64 s[0:1], 0
	s_add_nc_u64 s[8:9], s[0:1], -1
	s_cselect_b32 s1, -1, 0
	s_wait_xcnt 0x1
	v_add_nc_u64_e32 v[26:27], 4, v[26:27]
	s_wait_xcnt 0x0
	v_add_nc_u64_e32 v[28:29], 4, v[28:29]
	s_wait_loadcnt 0x0
	v_cmp_ne_u32_e32 vcc_lo, v31, v32
	v_cmp_eq_u32_e64 s0, v31, v32
	s_or_b32 s1, vcc_lo, s1
	s_delay_alu instid0(SALU_CYCLE_1) | instskip(NEXT) | instid1(SALU_CYCLE_1)
	s_and_b32 s1, exec_lo, s1
	s_or_b32 s5, s1, s5
	s_and_not1_b32 s7, s7, exec_lo
	s_and_b32 s17, s0, exec_lo
	s_mov_b64 s[0:1], s[8:9]
	s_or_b32 s7, s7, s17
	s_and_not1_b32 exec_lo, exec_lo, s5
	s_cbranch_execnz .LBB1597_137
; %bb.138:
	s_or_b32 exec_lo, exec_lo, s5
	s_xor_b32 s0, s7, -1
.LBB1597_139:
	s_delay_alu instid0(SALU_CYCLE_1)
	s_and_b32 s0, s0, exec_lo
.LBB1597_140:
	s_or_b32 exec_lo, exec_lo, s3
	s_delay_alu instid0(VALU_DEP_2)
	v_perm_b32 v25, v25, v25, 0x3020104
	s_or_b32 s6, s6, exec_lo
.LBB1597_141:
	s_or_b32 exec_lo, exec_lo, s4
.LBB1597_142:
	s_and_saveexec_b32 s1, s6
	s_cbranch_execz .LBB1597_144
; %bb.143:
	s_wait_loadcnt_dscnt 0x0
	v_dual_lshrrev_b32 v22, 24, v25 :: v_dual_lshrrev_b32 v35, 16, v25
	v_lshrrev_b32_e32 v23, 8, v25
	v_cndmask_b32_e64 v24, 0, 1, s0
.LBB1597_144:
	s_or_b32 exec_lo, exec_lo, s1
	s_delay_alu instid0(SALU_CYCLE_1)
	s_and_not1_b32 vcc_lo, exec_lo, s33
	s_cbranch_vccnz .LBB1597_148
; %bb.145:
	s_wait_loadcnt_dscnt 0x0
	v_perm_b32 v23, v24, v23, 0xc0c0004
	v_perm_b32 v22, v35, v22, 0xc0c0004
	v_cmp_gt_u32_e32 vcc_lo, s31, v30
	v_dual_add_nc_u32 v24, 1, v30 :: v_dual_add_nc_u32 v26, 4, v30
	v_and_b32_e32 v34, 0xff, v34
	s_delay_alu instid0(VALU_DEP_4) | instskip(SKIP_1) | instid1(VALU_DEP_2)
	v_lshl_or_b32 v22, v22, 16, v23
	s_mov_b32 s0, exec_lo
	v_and_b32_e32 v25, 0xffff, v34
	s_delay_alu instid0(VALU_DEP_2) | instskip(SKIP_2) | instid1(VALU_DEP_3)
	v_cndmask_b32_e32 v23, 0, v22, vcc_lo
	v_cmp_gt_u32_e32 vcc_lo, s31, v24
	v_add_nc_u32_e32 v24, 2, v30
	v_and_b32_e32 v23, 0xff, v23
	s_delay_alu instid0(VALU_DEP_1) | instskip(NEXT) | instid1(VALU_DEP_3)
	v_cndmask_b32_e32 v23, v23, v22, vcc_lo
	v_cmp_gt_u32_e32 vcc_lo, s31, v24
	v_add_nc_u32_e32 v24, 3, v30
	s_delay_alu instid0(VALU_DEP_3) | instskip(NEXT) | instid1(VALU_DEP_1)
	v_and_b32_e32 v23, 0xffff, v23
	v_cndmask_b32_e32 v23, v23, v22, vcc_lo
	s_delay_alu instid0(VALU_DEP_3) | instskip(NEXT) | instid1(VALU_DEP_2)
	v_cmp_gt_u32_e32 vcc_lo, s31, v24
	v_and_b32_e32 v23, 0xffffff, v23
	s_delay_alu instid0(VALU_DEP_1) | instskip(NEXT) | instid1(VALU_DEP_1)
	v_cndmask_b32_e32 v24, v23, v22, vcc_lo
	v_lshrrev_b64 v[22:23], 24, v[24:25]
	v_dual_lshrrev_b32 v35, 16, v24 :: v_dual_lshrrev_b32 v23, 8, v24
	v_cmpx_le_u32_e64 s31, v26
; %bb.146:
	v_mov_b32_e32 v34, 0
; %bb.147:
	s_or_b32 exec_lo, exec_lo, s0
.LBB1597_148:
	s_delay_alu instid0(VALU_DEP_1)
	v_and_b32_e32 v25, 0xff, v24
	s_wait_loadcnt_dscnt 0x0
	v_and_b32_e32 v36, 0xff, v23
	v_and_b32_e32 v37, 0xff, v35
	v_mbcnt_lo_u32_b32 v39, -1, 0
	v_and_b32_e32 v38, 0xff, v22
	v_and_b32_e32 v26, 0xff, v34
	v_lshrrev_b32_e32 v40, 5, v0
	v_add3_u32 v27, v36, v25, v37
	v_and_b32_e32 v28, 15, v39
	s_and_b32 vcc_lo, exec_lo, s16
	s_mov_b32 s7, -1
	s_delay_alu instid0(VALU_DEP_2)
	v_add3_u32 v41, v27, v38, v26
	v_and_b32_e32 v26, 16, v39
	v_or_b32_e32 v27, 31, v0
	v_cmp_eq_u32_e64 s3, 0, v28
	v_cmp_lt_u32_e64 s5, 1, v28
	v_cmp_lt_u32_e64 s6, 3, v28
	;; [unrolled: 1-line block ×3, first 2 shown]
	v_cmp_eq_u32_e64 s1, 0, v26
	v_cmp_eq_u32_e64 s0, v0, v27
	s_barrier_signal -1
	s_barrier_wait -1
                                        ; implicit-def: $vgpr30
                                        ; implicit-def: $vgpr31
                                        ; implicit-def: $vgpr32
                                        ; implicit-def: $vgpr33
                                        ; implicit-def: $vgpr42
                                        ; implicit-def: $vgpr28
                                        ; implicit-def: $vgpr26
	s_cbranch_vccz .LBB1597_175
; %bb.149:
	v_mov_b32_dpp v26, v41 row_shr:1 row_mask:0xf bank_mask:0xf
	s_delay_alu instid0(VALU_DEP_1) | instskip(NEXT) | instid1(VALU_DEP_1)
	v_cndmask_b32_e64 v26, v26, 0, s3
	v_add_nc_u32_e32 v26, v26, v41
	s_delay_alu instid0(VALU_DEP_1) | instskip(NEXT) | instid1(VALU_DEP_1)
	v_mov_b32_dpp v27, v26 row_shr:2 row_mask:0xf bank_mask:0xf
	v_cndmask_b32_e64 v27, 0, v27, s5
	s_delay_alu instid0(VALU_DEP_1) | instskip(NEXT) | instid1(VALU_DEP_1)
	v_add_nc_u32_e32 v26, v26, v27
	v_mov_b32_dpp v27, v26 row_shr:4 row_mask:0xf bank_mask:0xf
	s_delay_alu instid0(VALU_DEP_1) | instskip(NEXT) | instid1(VALU_DEP_1)
	v_cndmask_b32_e64 v27, 0, v27, s6
	v_add_nc_u32_e32 v26, v26, v27
	s_delay_alu instid0(VALU_DEP_1) | instskip(NEXT) | instid1(VALU_DEP_1)
	v_mov_b32_dpp v27, v26 row_shr:8 row_mask:0xf bank_mask:0xf
	v_cndmask_b32_e64 v27, 0, v27, s4
	s_delay_alu instid0(VALU_DEP_1) | instskip(SKIP_3) | instid1(VALU_DEP_1)
	v_add_nc_u32_e32 v26, v26, v27
	ds_swizzle_b32 v27, v26 offset:swizzle(BROADCAST,32,15)
	s_wait_dscnt 0x0
	v_cndmask_b32_e64 v27, v27, 0, s1
	v_add_nc_u32_e32 v26, v26, v27
	s_and_saveexec_b32 s7, s0
; %bb.150:
	v_lshlrev_b32_e32 v27, 2, v40
	ds_store_b32 v27, v26
; %bb.151:
	s_or_b32 exec_lo, exec_lo, s7
	s_delay_alu instid0(SALU_CYCLE_1)
	s_mov_b32 s7, exec_lo
	s_wait_dscnt 0x0
	s_barrier_signal -1
	s_barrier_wait -1
	v_cmpx_gt_u32_e32 4, v0
	s_cbranch_execz .LBB1597_153
; %bb.152:
	v_dual_lshlrev_b32 v27, 2, v0 :: v_dual_bitop2_b32 v29, 3, v39 bitop3:0x40
	ds_load_b32 v28, v27
	v_cmp_ne_u32_e32 vcc_lo, 0, v29
	s_wait_dscnt 0x0
	v_mov_b32_dpp v30, v28 row_shr:1 row_mask:0xf bank_mask:0xf
	s_delay_alu instid0(VALU_DEP_1) | instskip(SKIP_1) | instid1(VALU_DEP_2)
	v_cndmask_b32_e32 v30, 0, v30, vcc_lo
	v_cmp_lt_u32_e32 vcc_lo, 1, v29
	v_add_nc_u32_e32 v28, v30, v28
	s_delay_alu instid0(VALU_DEP_1) | instskip(NEXT) | instid1(VALU_DEP_1)
	v_mov_b32_dpp v30, v28 row_shr:2 row_mask:0xf bank_mask:0xf
	v_cndmask_b32_e32 v29, 0, v30, vcc_lo
	s_delay_alu instid0(VALU_DEP_1)
	v_add_nc_u32_e32 v28, v28, v29
	ds_store_b32 v27, v28
.LBB1597_153:
	s_or_b32 exec_lo, exec_lo, s7
	s_delay_alu instid0(SALU_CYCLE_1)
	s_mov_b32 s8, exec_lo
	v_cmp_gt_u32_e32 vcc_lo, 32, v0
	s_wait_dscnt 0x0
	s_barrier_signal -1
	s_barrier_wait -1
                                        ; implicit-def: $vgpr42
	v_cmpx_lt_u32_e32 31, v0
	s_cbranch_execz .LBB1597_155
; %bb.154:
	v_lshl_add_u32 v27, v40, 2, -4
	ds_load_b32 v42, v27
	s_wait_dscnt 0x0
	v_add_nc_u32_e32 v26, v42, v26
.LBB1597_155:
	s_or_b32 exec_lo, exec_lo, s8
	v_sub_co_u32 v27, s7, v39, 1
	s_delay_alu instid0(VALU_DEP_1) | instskip(NEXT) | instid1(VALU_DEP_1)
	v_cmp_gt_i32_e64 s8, 0, v27
	v_cndmask_b32_e64 v27, v27, v39, s8
	s_delay_alu instid0(VALU_DEP_1)
	v_lshlrev_b32_e32 v27, 2, v27
	ds_bpermute_b32 v43, v27, v26
	s_and_saveexec_b32 s8, vcc_lo
	s_cbranch_execz .LBB1597_174
; %bb.156:
	v_mov_b32_e32 v33, 0
	ds_load_b32 v26, v33 offset:12
	s_and_saveexec_b32 s9, s7
	s_cbranch_execz .LBB1597_158
; %bb.157:
	s_add_co_i32 s16, s30, 32
	s_delay_alu instid0(SALU_CYCLE_1)
	v_dual_mov_b32 v27, 1 :: v_dual_mov_b32 v28, s16
	s_wait_dscnt 0x0
	global_store_b64 v28, v[26:27], s[10:11] scale_offset scope:SCOPE_DEV
.LBB1597_158:
	s_wait_xcnt 0x0
	s_or_b32 exec_lo, exec_lo, s9
	v_xad_u32 v28, v39, -1, s30
	s_mov_b32 s16, 0
	s_mov_b32 s9, exec_lo
	s_delay_alu instid0(VALU_DEP_1) | instskip(SKIP_4) | instid1(VALU_DEP_1)
	v_add_nc_u32_e32 v32, 32, v28
	global_load_b64 v[30:31], v32, s[10:11] scale_offset scope:SCOPE_DEV
	s_wait_loadcnt 0x0
	v_and_b32_e32 v27, 0xff, v31
	s_wait_xcnt 0x0
	v_cmpx_eq_u16_e32 0, v27
	s_cbranch_execz .LBB1597_162
; %bb.159:
	v_lshl_add_u64 v[32:33], v[32:33], 3, s[10:11]
.LBB1597_160:                           ; =>This Inner Loop Header: Depth=1
	global_load_b64 v[30:31], v[32:33], off scope:SCOPE_DEV
	s_wait_loadcnt 0x0
	v_and_b32_e32 v27, 0xff, v31
	s_delay_alu instid0(VALU_DEP_1)
	v_cmp_ne_u16_e32 vcc_lo, 0, v27
	s_or_b32 s16, vcc_lo, s16
	s_wait_xcnt 0x0
	s_and_not1_b32 exec_lo, exec_lo, s16
	s_cbranch_execnz .LBB1597_160
; %bb.161:
	s_or_b32 exec_lo, exec_lo, s16
.LBB1597_162:
	s_delay_alu instid0(SALU_CYCLE_1)
	s_or_b32 exec_lo, exec_lo, s9
	v_cmp_ne_u32_e32 vcc_lo, 31, v39
	v_lshlrev_b32_e64 v45, v39, -1
	v_lshl_or_b32 v52, v39, 2, 64
	v_dual_add_nc_u32 v47, 2, v39 :: v_dual_add_nc_u32 v49, 4, v39
	v_add_co_ci_u32_e64 v27, null, 0, v39, vcc_lo
	v_dual_add_nc_u32 v51, 8, v39 :: v_dual_add_nc_u32 v53, 16, v39
	s_delay_alu instid0(VALU_DEP_2)
	v_lshlrev_b32_e32 v44, 2, v27
	v_and_b32_e32 v27, 0xff, v31
	ds_bpermute_b32 v29, v44, v30
	v_cmp_eq_u16_e32 vcc_lo, 2, v27
	v_and_or_b32 v27, vcc_lo, v45, 0x80000000
	v_cmp_gt_u32_e32 vcc_lo, 30, v39
	s_delay_alu instid0(VALU_DEP_2) | instskip(SKIP_1) | instid1(VALU_DEP_2)
	v_ctz_i32_b32_e32 v27, v27
	v_cndmask_b32_e64 v32, 0, 2, vcc_lo
	v_cmp_lt_u32_e32 vcc_lo, v39, v27
	s_delay_alu instid0(VALU_DEP_2) | instskip(SKIP_3) | instid1(VALU_DEP_2)
	v_add_lshl_u32 v46, v32, v39, 2
	s_wait_dscnt 0x0
	v_cndmask_b32_e32 v29, 0, v29, vcc_lo
	v_cmp_gt_u32_e32 vcc_lo, 28, v39
	v_add_nc_u32_e32 v29, v29, v30
	v_cndmask_b32_e64 v32, 0, 4, vcc_lo
	v_cmp_le_u32_e32 vcc_lo, v47, v27
	ds_bpermute_b32 v30, v46, v29
	v_add_lshl_u32 v48, v32, v39, 2
	s_wait_dscnt 0x0
	v_cndmask_b32_e32 v30, 0, v30, vcc_lo
	v_cmp_gt_u32_e32 vcc_lo, 24, v39
	v_cndmask_b32_e64 v32, 0, 8, vcc_lo
	v_cmp_le_u32_e32 vcc_lo, v49, v27
	s_delay_alu instid0(VALU_DEP_4) | instskip(NEXT) | instid1(VALU_DEP_3)
	v_add_nc_u32_e32 v29, v29, v30
	v_add_lshl_u32 v50, v32, v39, 2
	ds_bpermute_b32 v30, v48, v29
	s_wait_dscnt 0x0
	v_cndmask_b32_e32 v30, 0, v30, vcc_lo
	v_cmp_le_u32_e32 vcc_lo, v51, v27
	s_delay_alu instid0(VALU_DEP_2) | instskip(SKIP_4) | instid1(VALU_DEP_2)
	v_add_nc_u32_e32 v29, v29, v30
	ds_bpermute_b32 v30, v50, v29
	s_wait_dscnt 0x0
	v_cndmask_b32_e32 v30, 0, v30, vcc_lo
	v_cmp_le_u32_e32 vcc_lo, v53, v27
	v_add_nc_u32_e32 v29, v29, v30
	ds_bpermute_b32 v30, v52, v29
	s_wait_dscnt 0x0
	v_cndmask_b32_e32 v27, 0, v30, vcc_lo
	s_delay_alu instid0(VALU_DEP_1)
	v_dual_mov_b32 v29, 0 :: v_dual_add_nc_u32 v30, v29, v27
	s_branch .LBB1597_165
.LBB1597_163:                           ;   in Loop: Header=BB1597_165 Depth=1
	s_or_b32 exec_lo, exec_lo, s9
	v_and_b32_e32 v32, 0xff, v31
	ds_bpermute_b32 v33, v44, v30
	v_subrev_nc_u32_e32 v28, 32, v28
	s_mov_b32 s9, 0
	v_cmp_eq_u16_e32 vcc_lo, 2, v32
	v_and_or_b32 v32, vcc_lo, v45, 0x80000000
	s_delay_alu instid0(VALU_DEP_1) | instskip(NEXT) | instid1(VALU_DEP_1)
	v_ctz_i32_b32_e32 v32, v32
	v_cmp_lt_u32_e32 vcc_lo, v39, v32
	s_wait_dscnt 0x0
	v_cndmask_b32_e32 v33, 0, v33, vcc_lo
	v_cmp_le_u32_e32 vcc_lo, v47, v32
	s_delay_alu instid0(VALU_DEP_2) | instskip(SKIP_4) | instid1(VALU_DEP_2)
	v_add_nc_u32_e32 v30, v33, v30
	ds_bpermute_b32 v33, v46, v30
	s_wait_dscnt 0x0
	v_cndmask_b32_e32 v33, 0, v33, vcc_lo
	v_cmp_le_u32_e32 vcc_lo, v49, v32
	v_add_nc_u32_e32 v30, v30, v33
	ds_bpermute_b32 v33, v48, v30
	s_wait_dscnt 0x0
	v_cndmask_b32_e32 v33, 0, v33, vcc_lo
	v_cmp_le_u32_e32 vcc_lo, v51, v32
	s_delay_alu instid0(VALU_DEP_2) | instskip(SKIP_4) | instid1(VALU_DEP_2)
	v_add_nc_u32_e32 v30, v30, v33
	ds_bpermute_b32 v33, v50, v30
	s_wait_dscnt 0x0
	v_cndmask_b32_e32 v33, 0, v33, vcc_lo
	v_cmp_le_u32_e32 vcc_lo, v53, v32
	v_add_nc_u32_e32 v30, v30, v33
	ds_bpermute_b32 v33, v52, v30
	s_wait_dscnt 0x0
	v_cndmask_b32_e32 v32, 0, v33, vcc_lo
	s_delay_alu instid0(VALU_DEP_1)
	v_add3_u32 v30, v32, v27, v30
.LBB1597_164:                           ;   in Loop: Header=BB1597_165 Depth=1
	s_and_b32 vcc_lo, exec_lo, s9
	s_cbranch_vccnz .LBB1597_170
.LBB1597_165:                           ; =>This Loop Header: Depth=1
                                        ;     Child Loop BB1597_168 Depth 2
	v_and_b32_e32 v27, 0xff, v31
	s_mov_b32 s9, -1
                                        ; implicit-def: $vgpr31
	s_delay_alu instid0(VALU_DEP_1)
	v_cmp_ne_u16_e32 vcc_lo, 2, v27
	v_mov_b32_e32 v27, v30
                                        ; implicit-def: $vgpr30
	s_cmp_lg_u32 vcc_lo, exec_lo
	s_cbranch_scc1 .LBB1597_164
; %bb.166:                              ;   in Loop: Header=BB1597_165 Depth=1
	global_load_b64 v[30:31], v28, s[10:11] scale_offset scope:SCOPE_DEV
	s_mov_b32 s9, exec_lo
	s_wait_loadcnt 0x0
	v_and_b32_e32 v32, 0xff, v31
	s_wait_xcnt 0x0
	s_delay_alu instid0(VALU_DEP_1)
	v_cmpx_eq_u16_e32 0, v32
	s_cbranch_execz .LBB1597_163
; %bb.167:                              ;   in Loop: Header=BB1597_165 Depth=1
	v_lshl_add_u64 v[32:33], v[28:29], 3, s[10:11]
	s_mov_b32 s16, 0
.LBB1597_168:                           ;   Parent Loop BB1597_165 Depth=1
                                        ; =>  This Inner Loop Header: Depth=2
	global_load_b64 v[30:31], v[32:33], off scope:SCOPE_DEV
	s_wait_loadcnt 0x0
	v_and_b32_e32 v54, 0xff, v31
	s_delay_alu instid0(VALU_DEP_1)
	v_cmp_ne_u16_e32 vcc_lo, 0, v54
	s_or_b32 s16, vcc_lo, s16
	s_wait_xcnt 0x0
	s_and_not1_b32 exec_lo, exec_lo, s16
	s_cbranch_execnz .LBB1597_168
; %bb.169:                              ;   in Loop: Header=BB1597_165 Depth=1
	s_or_b32 exec_lo, exec_lo, s16
	s_branch .LBB1597_163
.LBB1597_170:
	s_and_saveexec_b32 s9, s7
	s_cbranch_execz .LBB1597_172
; %bb.171:
	s_add_co_i32 s16, s30, 32
	v_dual_mov_b32 v29, 2 :: v_dual_add_nc_u32 v28, v27, v26
	v_dual_mov_b32 v30, s16 :: v_dual_mov_b32 v31, 0
	global_store_b64 v30, v[28:29], s[10:11] scale_offset scope:SCOPE_DEV
	ds_store_b64 v31, v[26:27] offset:5120
.LBB1597_172:
	s_wait_xcnt 0x0
	s_or_b32 exec_lo, exec_lo, s9
	s_delay_alu instid0(SALU_CYCLE_1)
	s_and_b32 exec_lo, exec_lo, s2
; %bb.173:
	v_mov_b32_e32 v26, 0
	ds_store_b32 v26, v27 offset:12
.LBB1597_174:
	s_or_b32 exec_lo, exec_lo, s8
	s_wait_dscnt 0x0
	v_dual_mov_b32 v26, 0 :: v_dual_cndmask_b32 v28, v43, v42, s7
	s_wait_storecnt 0x0
	s_barrier_signal -1
	s_barrier_wait -1
	ds_load_b32 v27, v26 offset:12
	v_cndmask_b32_e64 v28, v28, 0, s2
	s_wait_dscnt 0x0
	s_barrier_signal -1
	s_barrier_wait -1
	s_mov_b32 s7, 0
	v_add_nc_u32_e32 v42, v27, v28
	ds_load_b64 v[26:27], v26 offset:5120
	v_add_nc_u32_e32 v33, v42, v25
	s_wait_dscnt 0x0
	s_delay_alu instid0(VALU_DEP_1) | instskip(NEXT) | instid1(VALU_DEP_1)
	v_dual_add_nc_u32 v32, v33, v36 :: v_dual_mov_b32 v28, v27
	v_add_nc_u32_e32 v31, v32, v37
	s_delay_alu instid0(VALU_DEP_1)
	v_add_nc_u32_e32 v30, v31, v38
.LBB1597_175:
	s_and_b32 vcc_lo, exec_lo, s7
	s_cbranch_vccz .LBB1597_185
; %bb.176:
	v_mov_b32_dpp v26, v41 row_shr:1 row_mask:0xf bank_mask:0xf
	s_delay_alu instid0(VALU_DEP_1) | instskip(NEXT) | instid1(VALU_DEP_1)
	v_cndmask_b32_e64 v26, v26, 0, s3
	v_add_nc_u32_e32 v26, v26, v41
	s_delay_alu instid0(VALU_DEP_1) | instskip(NEXT) | instid1(VALU_DEP_1)
	v_mov_b32_dpp v27, v26 row_shr:2 row_mask:0xf bank_mask:0xf
	v_cndmask_b32_e64 v27, 0, v27, s5
	s_delay_alu instid0(VALU_DEP_1) | instskip(NEXT) | instid1(VALU_DEP_1)
	v_add_nc_u32_e32 v26, v26, v27
	v_mov_b32_dpp v27, v26 row_shr:4 row_mask:0xf bank_mask:0xf
	s_delay_alu instid0(VALU_DEP_1) | instskip(NEXT) | instid1(VALU_DEP_1)
	v_cndmask_b32_e64 v27, 0, v27, s6
	v_add_nc_u32_e32 v26, v26, v27
	s_delay_alu instid0(VALU_DEP_1) | instskip(NEXT) | instid1(VALU_DEP_1)
	v_mov_b32_dpp v27, v26 row_shr:8 row_mask:0xf bank_mask:0xf
	v_cndmask_b32_e64 v27, 0, v27, s4
	s_delay_alu instid0(VALU_DEP_1) | instskip(SKIP_3) | instid1(VALU_DEP_1)
	v_add_nc_u32_e32 v26, v26, v27
	ds_swizzle_b32 v27, v26 offset:swizzle(BROADCAST,32,15)
	s_wait_dscnt 0x0
	v_cndmask_b32_e64 v27, v27, 0, s1
	v_add_nc_u32_e32 v26, v26, v27
	s_and_saveexec_b32 s1, s0
; %bb.177:
	v_lshlrev_b32_e32 v27, 2, v40
	ds_store_b32 v27, v26
; %bb.178:
	s_or_b32 exec_lo, exec_lo, s1
	s_delay_alu instid0(SALU_CYCLE_1)
	s_mov_b32 s0, exec_lo
	s_wait_dscnt 0x0
	s_barrier_signal -1
	s_barrier_wait -1
	v_cmpx_gt_u32_e32 4, v0
	s_cbranch_execz .LBB1597_180
; %bb.179:
	v_dual_lshlrev_b32 v27, 2, v0 :: v_dual_bitop2_b32 v29, 3, v39 bitop3:0x40
	ds_load_b32 v28, v27
	v_cmp_ne_u32_e32 vcc_lo, 0, v29
	s_wait_dscnt 0x0
	v_mov_b32_dpp v30, v28 row_shr:1 row_mask:0xf bank_mask:0xf
	s_delay_alu instid0(VALU_DEP_1) | instskip(SKIP_1) | instid1(VALU_DEP_2)
	v_cndmask_b32_e32 v30, 0, v30, vcc_lo
	v_cmp_lt_u32_e32 vcc_lo, 1, v29
	v_add_nc_u32_e32 v28, v30, v28
	s_delay_alu instid0(VALU_DEP_1) | instskip(NEXT) | instid1(VALU_DEP_1)
	v_mov_b32_dpp v30, v28 row_shr:2 row_mask:0xf bank_mask:0xf
	v_cndmask_b32_e32 v29, 0, v30, vcc_lo
	s_delay_alu instid0(VALU_DEP_1)
	v_add_nc_u32_e32 v28, v28, v29
	ds_store_b32 v27, v28
.LBB1597_180:
	s_or_b32 exec_lo, exec_lo, s0
	v_dual_mov_b32 v27, 0 :: v_dual_mov_b32 v28, 0
	s_mov_b32 s0, exec_lo
	s_wait_dscnt 0x0
	s_barrier_signal -1
	s_barrier_wait -1
	v_cmpx_lt_u32_e32 31, v0
; %bb.181:
	v_lshl_add_u32 v28, v40, 2, -4
	ds_load_b32 v28, v28
; %bb.182:
	s_or_b32 exec_lo, exec_lo, s0
	v_sub_co_u32 v29, vcc_lo, v39, 1
	s_wait_dscnt 0x0
	v_add_nc_u32_e32 v26, v28, v26
	s_delay_alu instid0(VALU_DEP_2) | instskip(NEXT) | instid1(VALU_DEP_1)
	v_cmp_gt_i32_e64 s0, 0, v29
	v_cndmask_b32_e64 v29, v29, v39, s0
	s_delay_alu instid0(VALU_DEP_1)
	v_lshlrev_b32_e32 v29, 2, v29
	ds_bpermute_b32 v29, v29, v26
	ds_load_b32 v26, v27 offset:12
	s_and_saveexec_b32 s0, s2
	s_cbranch_execz .LBB1597_184
; %bb.183:
	v_dual_mov_b32 v30, 0 :: v_dual_mov_b32 v27, 2
	s_wait_dscnt 0x0
	global_store_b64 v30, v[26:27], s[10:11] offset:256 scope:SCOPE_DEV
.LBB1597_184:
	s_wait_xcnt 0x0
	s_or_b32 exec_lo, exec_lo, s0
	s_wait_dscnt 0x1
	v_cndmask_b32_e32 v27, v29, v28, vcc_lo
	s_wait_storecnt_dscnt 0x0
	s_barrier_signal -1
	s_barrier_wait -1
	s_delay_alu instid0(VALU_DEP_1) | instskip(NEXT) | instid1(VALU_DEP_1)
	v_cndmask_b32_e64 v42, v27, 0, s2
	v_dual_mov_b32 v28, 0 :: v_dual_add_nc_u32 v33, v42, v25
	s_delay_alu instid0(VALU_DEP_1) | instskip(NEXT) | instid1(VALU_DEP_1)
	v_add_nc_u32_e32 v32, v33, v36
	v_add_nc_u32_e32 v31, v32, v37
	s_delay_alu instid0(VALU_DEP_1)
	v_add_nc_u32_e32 v30, v31, v38
.LBB1597_185:
	s_delay_alu instid0(VALU_DEP_4)
	v_dual_add_nc_u32 v25, v28, v26 :: v_dual_bitop2_b32 v24, 1, v24 bitop3:0x40
	v_cmp_gt_u32_e64 s0, 0x81, v26
	s_mov_b32 s4, -1
	v_cmp_lt_u32_e64 s1, v42, v25
	v_cmp_eq_u32_e64 s3, 1, v24
	s_and_b32 vcc_lo, exec_lo, s0
	s_cbranch_vccz .LBB1597_197
; %bb.186:
	s_or_b32 s1, s29, s1
	s_delay_alu instid0(SALU_CYCLE_1) | instskip(NEXT) | instid1(SALU_CYCLE_1)
	s_and_b32 s3, s1, s3
	s_and_saveexec_b32 s1, s3
	s_cbranch_execz .LBB1597_188
; %bb.187:
	s_lshl_b64 s[4:5], s[14:15], 3
	s_delay_alu instid0(SALU_CYCLE_1)
	s_add_nc_u64 s[4:5], s[20:21], s[4:5]
	global_store_b64 v42, v[14:15], s[4:5] scale_offset
.LBB1597_188:
	s_wait_xcnt 0x0
	s_or_b32 exec_lo, exec_lo, s1
	v_and_b32_e32 v27, 1, v23
	v_cmp_lt_u32_e32 vcc_lo, v33, v25
	s_delay_alu instid0(VALU_DEP_2) | instskip(SKIP_1) | instid1(SALU_CYCLE_1)
	v_cmp_eq_u32_e64 s1, 1, v27
	s_or_b32 s3, s29, vcc_lo
	s_and_b32 s3, s3, s1
	s_delay_alu instid0(SALU_CYCLE_1)
	s_and_saveexec_b32 s1, s3
	s_cbranch_execz .LBB1597_190
; %bb.189:
	s_lshl_b64 s[4:5], s[14:15], 3
	s_delay_alu instid0(SALU_CYCLE_1)
	s_add_nc_u64 s[4:5], s[20:21], s[4:5]
	global_store_b64 v33, v[16:17], s[4:5] scale_offset
.LBB1597_190:
	s_wait_xcnt 0x0
	s_or_b32 exec_lo, exec_lo, s1
	v_and_b32_e32 v27, 1, v35
	v_cmp_lt_u32_e32 vcc_lo, v32, v25
	s_delay_alu instid0(VALU_DEP_2) | instskip(SKIP_1) | instid1(SALU_CYCLE_1)
	v_cmp_eq_u32_e64 s1, 1, v27
	s_or_b32 s3, s29, vcc_lo
	s_and_b32 s3, s3, s1
	s_delay_alu instid0(SALU_CYCLE_1)
	;; [unrolled: 17-line block ×4, first 2 shown]
	s_and_saveexec_b32 s1, s3
	s_cbranch_execz .LBB1597_196
; %bb.195:
	s_lshl_b64 s[4:5], s[14:15], 3
	s_delay_alu instid0(SALU_CYCLE_1)
	s_add_nc_u64 s[4:5], s[20:21], s[4:5]
	global_store_b64 v30, v[20:21], s[4:5] scale_offset
.LBB1597_196:
	s_wait_xcnt 0x0
	s_or_b32 exec_lo, exec_lo, s1
	s_mov_b32 s4, 0
.LBB1597_197:
	s_delay_alu instid0(SALU_CYCLE_1)
	s_and_b32 vcc_lo, exec_lo, s4
	s_cbranch_vccz .LBB1597_211
; %bb.198:
	s_mov_b32 s1, exec_lo
	v_cmpx_eq_u32_e32 1, v24
; %bb.199:
	v_sub_nc_u32_e32 v27, v42, v28
	s_delay_alu instid0(VALU_DEP_1)
	v_lshlrev_b32_e32 v27, 3, v27
	ds_store_b64 v27, v[14:15]
; %bb.200:
	s_or_b32 exec_lo, exec_lo, s1
	v_and_b32_e32 v14, 1, v23
	s_mov_b32 s1, exec_lo
	s_delay_alu instid0(VALU_DEP_1)
	v_cmpx_eq_u32_e32 1, v14
; %bb.201:
	v_sub_nc_u32_e32 v14, v33, v28
	s_delay_alu instid0(VALU_DEP_1)
	v_lshlrev_b32_e32 v14, 3, v14
	ds_store_b64 v14, v[16:17]
; %bb.202:
	s_or_b32 exec_lo, exec_lo, s1
	v_and_b32_e32 v14, 1, v35
	s_mov_b32 s1, exec_lo
	s_delay_alu instid0(VALU_DEP_1)
	;; [unrolled: 11-line block ×4, first 2 shown]
	v_cmpx_eq_u32_e32 1, v10
; %bb.207:
	v_sub_nc_u32_e32 v10, v30, v28
	s_delay_alu instid0(VALU_DEP_1)
	v_lshlrev_b32_e32 v10, 3, v10
	ds_store_b64 v10, v[20:21]
; %bb.208:
	s_or_b32 exec_lo, exec_lo, s1
	v_dual_mov_b32 v29, 0 :: v_dual_lshlrev_b32 v12, 3, v0
	s_lshl_b64 s[4:5], s[14:15], 3
	v_mov_b32_e32 v13, v0
	s_mov_b32 s1, 0
	s_delay_alu instid0(VALU_DEP_2) | instskip(SKIP_3) | instid1(VALU_DEP_1)
	v_lshlrev_b64_e32 v[10:11], 3, v[28:29]
	s_wait_storecnt_dscnt 0x0
	s_barrier_signal -1
	s_barrier_wait -1
	v_add_nc_u64_e32 v[10:11], s[20:21], v[10:11]
	s_delay_alu instid0(VALU_DEP_1)
	v_add_nc_u64_e32 v[10:11], s[4:5], v[10:11]
.LBB1597_209:                           ; =>This Inner Loop Header: Depth=1
	ds_load_b64 v[14:15], v12
	v_readfirstlane_b32 s4, v10
	v_readfirstlane_b32 s5, v11
	v_add_nc_u32_e32 v12, 0x400, v12
	s_wait_dscnt 0x0
	global_store_b64 v13, v[14:15], s[4:5] scale_offset
	s_wait_xcnt 0x0
	v_add_nc_u32_e32 v13, 0x80, v13
	s_delay_alu instid0(VALU_DEP_1) | instskip(SKIP_1) | instid1(SALU_CYCLE_1)
	v_cmp_ge_u32_e32 vcc_lo, v13, v26
	s_or_b32 s1, vcc_lo, s1
	s_and_not1_b32 exec_lo, exec_lo, s1
	s_cbranch_execnz .LBB1597_209
; %bb.210:
	s_or_b32 exec_lo, exec_lo, s1
.LBB1597_211:
	s_delay_alu instid0(SALU_CYCLE_1)
	s_and_b32 vcc_lo, exec_lo, s0
	s_mov_b32 s0, -1
	s_wait_storecnt 0x0
	s_barrier_signal -1
	s_barrier_wait -1
	s_cbranch_vccnz .LBB1597_215
; %bb.212:
	s_and_b32 vcc_lo, exec_lo, s0
	s_cbranch_vccnz .LBB1597_226
.LBB1597_213:
	s_and_b32 s0, s2, s28
	s_delay_alu instid0(SALU_CYCLE_1)
	s_and_saveexec_b32 s1, s0
	s_cbranch_execnz .LBB1597_239
.LBB1597_214:
	s_endpgm
.LBB1597_215:
	v_cmp_lt_u32_e32 vcc_lo, v42, v25
	v_cmp_eq_u32_e64 s0, 1, v24
	s_or_b32 s1, s29, vcc_lo
	s_delay_alu instid0(SALU_CYCLE_1) | instskip(NEXT) | instid1(SALU_CYCLE_1)
	s_and_b32 s1, s1, s0
	s_and_saveexec_b32 s0, s1
	s_cbranch_execz .LBB1597_217
; %bb.216:
	s_lshl_b64 s[4:5], s[14:15], 3
	s_delay_alu instid0(SALU_CYCLE_1)
	s_add_nc_u64 s[4:5], s[22:23], s[4:5]
	global_store_b64 v42, v[6:7], s[4:5] scale_offset
.LBB1597_217:
	s_wait_xcnt 0x0
	s_or_b32 exec_lo, exec_lo, s0
	v_and_b32_e32 v10, 1, v23
	v_cmp_lt_u32_e32 vcc_lo, v33, v25
	s_delay_alu instid0(VALU_DEP_2) | instskip(SKIP_1) | instid1(SALU_CYCLE_1)
	v_cmp_eq_u32_e64 s0, 1, v10
	s_or_b32 s1, s29, vcc_lo
	s_and_b32 s1, s1, s0
	s_delay_alu instid0(SALU_CYCLE_1)
	s_and_saveexec_b32 s0, s1
	s_cbranch_execz .LBB1597_219
; %bb.218:
	s_lshl_b64 s[4:5], s[14:15], 3
	s_delay_alu instid0(SALU_CYCLE_1)
	s_add_nc_u64 s[4:5], s[22:23], s[4:5]
	global_store_b64 v33, v[8:9], s[4:5] scale_offset
.LBB1597_219:
	s_wait_xcnt 0x0
	s_or_b32 exec_lo, exec_lo, s0
	v_and_b32_e32 v10, 1, v35
	v_cmp_lt_u32_e32 vcc_lo, v32, v25
	s_delay_alu instid0(VALU_DEP_2) | instskip(SKIP_1) | instid1(SALU_CYCLE_1)
	v_cmp_eq_u32_e64 s0, 1, v10
	s_or_b32 s1, s29, vcc_lo
	s_and_b32 s1, s1, s0
	s_delay_alu instid0(SALU_CYCLE_1)
	;; [unrolled: 17-line block ×4, first 2 shown]
	s_and_saveexec_b32 s0, s1
	s_cbranch_execz .LBB1597_225
; %bb.224:
	s_lshl_b64 s[4:5], s[14:15], 3
	s_delay_alu instid0(SALU_CYCLE_1)
	s_add_nc_u64 s[4:5], s[22:23], s[4:5]
	global_store_b64 v30, v[18:19], s[4:5] scale_offset
.LBB1597_225:
	s_wait_xcnt 0x0
	s_or_b32 exec_lo, exec_lo, s0
	s_branch .LBB1597_213
.LBB1597_226:
	s_mov_b32 s0, exec_lo
	v_cmpx_eq_u32_e32 1, v24
; %bb.227:
	v_sub_nc_u32_e32 v10, v42, v28
	s_delay_alu instid0(VALU_DEP_1)
	v_lshlrev_b32_e32 v10, 3, v10
	ds_store_b64 v10, v[6:7]
; %bb.228:
	s_or_b32 exec_lo, exec_lo, s0
	v_and_b32_e32 v6, 1, v23
	s_mov_b32 s0, exec_lo
	s_delay_alu instid0(VALU_DEP_1)
	v_cmpx_eq_u32_e32 1, v6
; %bb.229:
	v_sub_nc_u32_e32 v6, v33, v28
	s_delay_alu instid0(VALU_DEP_1)
	v_lshlrev_b32_e32 v6, 3, v6
	ds_store_b64 v6, v[8:9]
; %bb.230:
	s_or_b32 exec_lo, exec_lo, s0
	v_and_b32_e32 v6, 1, v35
	s_mov_b32 s0, exec_lo
	s_delay_alu instid0(VALU_DEP_1)
	;; [unrolled: 11-line block ×4, first 2 shown]
	v_cmpx_eq_u32_e32 1, v2
; %bb.235:
	v_sub_nc_u32_e32 v2, v30, v28
	s_delay_alu instid0(VALU_DEP_1)
	v_lshlrev_b32_e32 v2, 3, v2
	ds_store_b64 v2, v[18:19]
; %bb.236:
	s_or_b32 exec_lo, exec_lo, s0
	v_mov_b32_e32 v29, 0
	s_lshl_b64 s[0:1], s[14:15], 3
	s_wait_storecnt_dscnt 0x0
	s_barrier_signal -1
	s_barrier_wait -1
	v_lshlrev_b64_e32 v[2:3], 3, v[28:29]
	s_delay_alu instid0(VALU_DEP_1) | instskip(NEXT) | instid1(VALU_DEP_1)
	v_add_nc_u64_e32 v[2:3], s[22:23], v[2:3]
	v_add_nc_u64_e32 v[2:3], s[0:1], v[2:3]
	s_mov_b32 s0, 0
.LBB1597_237:                           ; =>This Inner Loop Header: Depth=1
	ds_load_b64 v[4:5], v1
	v_readfirstlane_b32 s4, v2
	v_readfirstlane_b32 s5, v3
	v_add_nc_u32_e32 v1, 0x400, v1
	s_wait_dscnt 0x0
	global_store_b64 v0, v[4:5], s[4:5] scale_offset
	s_wait_xcnt 0x0
	v_add_nc_u32_e32 v0, 0x80, v0
	s_delay_alu instid0(VALU_DEP_1) | instskip(SKIP_1) | instid1(SALU_CYCLE_1)
	v_cmp_ge_u32_e32 vcc_lo, v0, v26
	s_or_b32 s0, vcc_lo, s0
	s_and_not1_b32 exec_lo, exec_lo, s0
	s_cbranch_execnz .LBB1597_237
; %bb.238:
	s_or_b32 exec_lo, exec_lo, s0
	s_and_b32 s0, s2, s28
	s_delay_alu instid0(SALU_CYCLE_1)
	s_and_saveexec_b32 s1, s0
	s_cbranch_execz .LBB1597_214
.LBB1597_239:
	v_mov_b32_e32 v27, 0
	s_delay_alu instid0(VALU_DEP_1) | instskip(SKIP_1) | instid1(VALU_DEP_1)
	v_add_nc_u64_e32 v[0:1], s[14:15], v[26:27]
	v_mov_b32_e32 v29, v27
	v_add_nc_u64_e32 v[0:1], v[0:1], v[28:29]
	global_store_b64 v27, v[0:1], s[12:13]
	s_endpgm
	.section	.rodata,"a",@progbits
	.p2align	6, 0x0
	.amdhsa_kernel _ZN7rocprim17ROCPRIM_400000_NS6detail17trampoline_kernelINS0_14default_configENS1_25partition_config_selectorILNS1_17partition_subalgoE9EllbEEZZNS1_14partition_implILS5_9ELb0ES3_jPlS8_PNS0_10empty_typeENS0_5tupleIJS8_S9_EEENSB_IJS8_SA_EEENS0_18inequality_wrapperIZN2at6native12_GLOBAL__N_124unique_dim_cuda_templateIjEESt5tupleIJNSF_6TensorESK_SK_EERKSK_lbbbEUlllE0_EEPmJS9_EEE10hipError_tPvRmT3_T4_T5_T6_T7_T9_mT8_P12ihipStream_tbDpT10_ENKUlT_T0_E_clISt17integral_constantIbLb0EES19_IbLb1EEEEDaS15_S16_EUlS15_E_NS1_11comp_targetILNS1_3genE0ELNS1_11target_archE4294967295ELNS1_3gpuE0ELNS1_3repE0EEENS1_30default_config_static_selectorELNS0_4arch9wavefront6targetE0EEEvT1_
		.amdhsa_group_segment_fixed_size 5128
		.amdhsa_private_segment_fixed_size 0
		.amdhsa_kernarg_size 136
		.amdhsa_user_sgpr_count 2
		.amdhsa_user_sgpr_dispatch_ptr 0
		.amdhsa_user_sgpr_queue_ptr 0
		.amdhsa_user_sgpr_kernarg_segment_ptr 1
		.amdhsa_user_sgpr_dispatch_id 0
		.amdhsa_user_sgpr_kernarg_preload_length 0
		.amdhsa_user_sgpr_kernarg_preload_offset 0
		.amdhsa_user_sgpr_private_segment_size 0
		.amdhsa_wavefront_size32 1
		.amdhsa_uses_dynamic_stack 0
		.amdhsa_enable_private_segment 0
		.amdhsa_system_sgpr_workgroup_id_x 1
		.amdhsa_system_sgpr_workgroup_id_y 0
		.amdhsa_system_sgpr_workgroup_id_z 0
		.amdhsa_system_sgpr_workgroup_info 0
		.amdhsa_system_vgpr_workitem_id 0
		.amdhsa_next_free_vgpr 55
		.amdhsa_next_free_sgpr 36
		.amdhsa_named_barrier_count 0
		.amdhsa_reserve_vcc 1
		.amdhsa_float_round_mode_32 0
		.amdhsa_float_round_mode_16_64 0
		.amdhsa_float_denorm_mode_32 3
		.amdhsa_float_denorm_mode_16_64 3
		.amdhsa_fp16_overflow 0
		.amdhsa_memory_ordered 1
		.amdhsa_forward_progress 1
		.amdhsa_inst_pref_size 75
		.amdhsa_round_robin_scheduling 0
		.amdhsa_exception_fp_ieee_invalid_op 0
		.amdhsa_exception_fp_denorm_src 0
		.amdhsa_exception_fp_ieee_div_zero 0
		.amdhsa_exception_fp_ieee_overflow 0
		.amdhsa_exception_fp_ieee_underflow 0
		.amdhsa_exception_fp_ieee_inexact 0
		.amdhsa_exception_int_div_zero 0
	.end_amdhsa_kernel
	.section	.text._ZN7rocprim17ROCPRIM_400000_NS6detail17trampoline_kernelINS0_14default_configENS1_25partition_config_selectorILNS1_17partition_subalgoE9EllbEEZZNS1_14partition_implILS5_9ELb0ES3_jPlS8_PNS0_10empty_typeENS0_5tupleIJS8_S9_EEENSB_IJS8_SA_EEENS0_18inequality_wrapperIZN2at6native12_GLOBAL__N_124unique_dim_cuda_templateIjEESt5tupleIJNSF_6TensorESK_SK_EERKSK_lbbbEUlllE0_EEPmJS9_EEE10hipError_tPvRmT3_T4_T5_T6_T7_T9_mT8_P12ihipStream_tbDpT10_ENKUlT_T0_E_clISt17integral_constantIbLb0EES19_IbLb1EEEEDaS15_S16_EUlS15_E_NS1_11comp_targetILNS1_3genE0ELNS1_11target_archE4294967295ELNS1_3gpuE0ELNS1_3repE0EEENS1_30default_config_static_selectorELNS0_4arch9wavefront6targetE0EEEvT1_,"axG",@progbits,_ZN7rocprim17ROCPRIM_400000_NS6detail17trampoline_kernelINS0_14default_configENS1_25partition_config_selectorILNS1_17partition_subalgoE9EllbEEZZNS1_14partition_implILS5_9ELb0ES3_jPlS8_PNS0_10empty_typeENS0_5tupleIJS8_S9_EEENSB_IJS8_SA_EEENS0_18inequality_wrapperIZN2at6native12_GLOBAL__N_124unique_dim_cuda_templateIjEESt5tupleIJNSF_6TensorESK_SK_EERKSK_lbbbEUlllE0_EEPmJS9_EEE10hipError_tPvRmT3_T4_T5_T6_T7_T9_mT8_P12ihipStream_tbDpT10_ENKUlT_T0_E_clISt17integral_constantIbLb0EES19_IbLb1EEEEDaS15_S16_EUlS15_E_NS1_11comp_targetILNS1_3genE0ELNS1_11target_archE4294967295ELNS1_3gpuE0ELNS1_3repE0EEENS1_30default_config_static_selectorELNS0_4arch9wavefront6targetE0EEEvT1_,comdat
.Lfunc_end1597:
	.size	_ZN7rocprim17ROCPRIM_400000_NS6detail17trampoline_kernelINS0_14default_configENS1_25partition_config_selectorILNS1_17partition_subalgoE9EllbEEZZNS1_14partition_implILS5_9ELb0ES3_jPlS8_PNS0_10empty_typeENS0_5tupleIJS8_S9_EEENSB_IJS8_SA_EEENS0_18inequality_wrapperIZN2at6native12_GLOBAL__N_124unique_dim_cuda_templateIjEESt5tupleIJNSF_6TensorESK_SK_EERKSK_lbbbEUlllE0_EEPmJS9_EEE10hipError_tPvRmT3_T4_T5_T6_T7_T9_mT8_P12ihipStream_tbDpT10_ENKUlT_T0_E_clISt17integral_constantIbLb0EES19_IbLb1EEEEDaS15_S16_EUlS15_E_NS1_11comp_targetILNS1_3genE0ELNS1_11target_archE4294967295ELNS1_3gpuE0ELNS1_3repE0EEENS1_30default_config_static_selectorELNS0_4arch9wavefront6targetE0EEEvT1_, .Lfunc_end1597-_ZN7rocprim17ROCPRIM_400000_NS6detail17trampoline_kernelINS0_14default_configENS1_25partition_config_selectorILNS1_17partition_subalgoE9EllbEEZZNS1_14partition_implILS5_9ELb0ES3_jPlS8_PNS0_10empty_typeENS0_5tupleIJS8_S9_EEENSB_IJS8_SA_EEENS0_18inequality_wrapperIZN2at6native12_GLOBAL__N_124unique_dim_cuda_templateIjEESt5tupleIJNSF_6TensorESK_SK_EERKSK_lbbbEUlllE0_EEPmJS9_EEE10hipError_tPvRmT3_T4_T5_T6_T7_T9_mT8_P12ihipStream_tbDpT10_ENKUlT_T0_E_clISt17integral_constantIbLb0EES19_IbLb1EEEEDaS15_S16_EUlS15_E_NS1_11comp_targetILNS1_3genE0ELNS1_11target_archE4294967295ELNS1_3gpuE0ELNS1_3repE0EEENS1_30default_config_static_selectorELNS0_4arch9wavefront6targetE0EEEvT1_
                                        ; -- End function
	.set _ZN7rocprim17ROCPRIM_400000_NS6detail17trampoline_kernelINS0_14default_configENS1_25partition_config_selectorILNS1_17partition_subalgoE9EllbEEZZNS1_14partition_implILS5_9ELb0ES3_jPlS8_PNS0_10empty_typeENS0_5tupleIJS8_S9_EEENSB_IJS8_SA_EEENS0_18inequality_wrapperIZN2at6native12_GLOBAL__N_124unique_dim_cuda_templateIjEESt5tupleIJNSF_6TensorESK_SK_EERKSK_lbbbEUlllE0_EEPmJS9_EEE10hipError_tPvRmT3_T4_T5_T6_T7_T9_mT8_P12ihipStream_tbDpT10_ENKUlT_T0_E_clISt17integral_constantIbLb0EES19_IbLb1EEEEDaS15_S16_EUlS15_E_NS1_11comp_targetILNS1_3genE0ELNS1_11target_archE4294967295ELNS1_3gpuE0ELNS1_3repE0EEENS1_30default_config_static_selectorELNS0_4arch9wavefront6targetE0EEEvT1_.num_vgpr, 55
	.set _ZN7rocprim17ROCPRIM_400000_NS6detail17trampoline_kernelINS0_14default_configENS1_25partition_config_selectorILNS1_17partition_subalgoE9EllbEEZZNS1_14partition_implILS5_9ELb0ES3_jPlS8_PNS0_10empty_typeENS0_5tupleIJS8_S9_EEENSB_IJS8_SA_EEENS0_18inequality_wrapperIZN2at6native12_GLOBAL__N_124unique_dim_cuda_templateIjEESt5tupleIJNSF_6TensorESK_SK_EERKSK_lbbbEUlllE0_EEPmJS9_EEE10hipError_tPvRmT3_T4_T5_T6_T7_T9_mT8_P12ihipStream_tbDpT10_ENKUlT_T0_E_clISt17integral_constantIbLb0EES19_IbLb1EEEEDaS15_S16_EUlS15_E_NS1_11comp_targetILNS1_3genE0ELNS1_11target_archE4294967295ELNS1_3gpuE0ELNS1_3repE0EEENS1_30default_config_static_selectorELNS0_4arch9wavefront6targetE0EEEvT1_.num_agpr, 0
	.set _ZN7rocprim17ROCPRIM_400000_NS6detail17trampoline_kernelINS0_14default_configENS1_25partition_config_selectorILNS1_17partition_subalgoE9EllbEEZZNS1_14partition_implILS5_9ELb0ES3_jPlS8_PNS0_10empty_typeENS0_5tupleIJS8_S9_EEENSB_IJS8_SA_EEENS0_18inequality_wrapperIZN2at6native12_GLOBAL__N_124unique_dim_cuda_templateIjEESt5tupleIJNSF_6TensorESK_SK_EERKSK_lbbbEUlllE0_EEPmJS9_EEE10hipError_tPvRmT3_T4_T5_T6_T7_T9_mT8_P12ihipStream_tbDpT10_ENKUlT_T0_E_clISt17integral_constantIbLb0EES19_IbLb1EEEEDaS15_S16_EUlS15_E_NS1_11comp_targetILNS1_3genE0ELNS1_11target_archE4294967295ELNS1_3gpuE0ELNS1_3repE0EEENS1_30default_config_static_selectorELNS0_4arch9wavefront6targetE0EEEvT1_.numbered_sgpr, 36
	.set _ZN7rocprim17ROCPRIM_400000_NS6detail17trampoline_kernelINS0_14default_configENS1_25partition_config_selectorILNS1_17partition_subalgoE9EllbEEZZNS1_14partition_implILS5_9ELb0ES3_jPlS8_PNS0_10empty_typeENS0_5tupleIJS8_S9_EEENSB_IJS8_SA_EEENS0_18inequality_wrapperIZN2at6native12_GLOBAL__N_124unique_dim_cuda_templateIjEESt5tupleIJNSF_6TensorESK_SK_EERKSK_lbbbEUlllE0_EEPmJS9_EEE10hipError_tPvRmT3_T4_T5_T6_T7_T9_mT8_P12ihipStream_tbDpT10_ENKUlT_T0_E_clISt17integral_constantIbLb0EES19_IbLb1EEEEDaS15_S16_EUlS15_E_NS1_11comp_targetILNS1_3genE0ELNS1_11target_archE4294967295ELNS1_3gpuE0ELNS1_3repE0EEENS1_30default_config_static_selectorELNS0_4arch9wavefront6targetE0EEEvT1_.num_named_barrier, 0
	.set _ZN7rocprim17ROCPRIM_400000_NS6detail17trampoline_kernelINS0_14default_configENS1_25partition_config_selectorILNS1_17partition_subalgoE9EllbEEZZNS1_14partition_implILS5_9ELb0ES3_jPlS8_PNS0_10empty_typeENS0_5tupleIJS8_S9_EEENSB_IJS8_SA_EEENS0_18inequality_wrapperIZN2at6native12_GLOBAL__N_124unique_dim_cuda_templateIjEESt5tupleIJNSF_6TensorESK_SK_EERKSK_lbbbEUlllE0_EEPmJS9_EEE10hipError_tPvRmT3_T4_T5_T6_T7_T9_mT8_P12ihipStream_tbDpT10_ENKUlT_T0_E_clISt17integral_constantIbLb0EES19_IbLb1EEEEDaS15_S16_EUlS15_E_NS1_11comp_targetILNS1_3genE0ELNS1_11target_archE4294967295ELNS1_3gpuE0ELNS1_3repE0EEENS1_30default_config_static_selectorELNS0_4arch9wavefront6targetE0EEEvT1_.private_seg_size, 0
	.set _ZN7rocprim17ROCPRIM_400000_NS6detail17trampoline_kernelINS0_14default_configENS1_25partition_config_selectorILNS1_17partition_subalgoE9EllbEEZZNS1_14partition_implILS5_9ELb0ES3_jPlS8_PNS0_10empty_typeENS0_5tupleIJS8_S9_EEENSB_IJS8_SA_EEENS0_18inequality_wrapperIZN2at6native12_GLOBAL__N_124unique_dim_cuda_templateIjEESt5tupleIJNSF_6TensorESK_SK_EERKSK_lbbbEUlllE0_EEPmJS9_EEE10hipError_tPvRmT3_T4_T5_T6_T7_T9_mT8_P12ihipStream_tbDpT10_ENKUlT_T0_E_clISt17integral_constantIbLb0EES19_IbLb1EEEEDaS15_S16_EUlS15_E_NS1_11comp_targetILNS1_3genE0ELNS1_11target_archE4294967295ELNS1_3gpuE0ELNS1_3repE0EEENS1_30default_config_static_selectorELNS0_4arch9wavefront6targetE0EEEvT1_.uses_vcc, 1
	.set _ZN7rocprim17ROCPRIM_400000_NS6detail17trampoline_kernelINS0_14default_configENS1_25partition_config_selectorILNS1_17partition_subalgoE9EllbEEZZNS1_14partition_implILS5_9ELb0ES3_jPlS8_PNS0_10empty_typeENS0_5tupleIJS8_S9_EEENSB_IJS8_SA_EEENS0_18inequality_wrapperIZN2at6native12_GLOBAL__N_124unique_dim_cuda_templateIjEESt5tupleIJNSF_6TensorESK_SK_EERKSK_lbbbEUlllE0_EEPmJS9_EEE10hipError_tPvRmT3_T4_T5_T6_T7_T9_mT8_P12ihipStream_tbDpT10_ENKUlT_T0_E_clISt17integral_constantIbLb0EES19_IbLb1EEEEDaS15_S16_EUlS15_E_NS1_11comp_targetILNS1_3genE0ELNS1_11target_archE4294967295ELNS1_3gpuE0ELNS1_3repE0EEENS1_30default_config_static_selectorELNS0_4arch9wavefront6targetE0EEEvT1_.uses_flat_scratch, 0
	.set _ZN7rocprim17ROCPRIM_400000_NS6detail17trampoline_kernelINS0_14default_configENS1_25partition_config_selectorILNS1_17partition_subalgoE9EllbEEZZNS1_14partition_implILS5_9ELb0ES3_jPlS8_PNS0_10empty_typeENS0_5tupleIJS8_S9_EEENSB_IJS8_SA_EEENS0_18inequality_wrapperIZN2at6native12_GLOBAL__N_124unique_dim_cuda_templateIjEESt5tupleIJNSF_6TensorESK_SK_EERKSK_lbbbEUlllE0_EEPmJS9_EEE10hipError_tPvRmT3_T4_T5_T6_T7_T9_mT8_P12ihipStream_tbDpT10_ENKUlT_T0_E_clISt17integral_constantIbLb0EES19_IbLb1EEEEDaS15_S16_EUlS15_E_NS1_11comp_targetILNS1_3genE0ELNS1_11target_archE4294967295ELNS1_3gpuE0ELNS1_3repE0EEENS1_30default_config_static_selectorELNS0_4arch9wavefront6targetE0EEEvT1_.has_dyn_sized_stack, 0
	.set _ZN7rocprim17ROCPRIM_400000_NS6detail17trampoline_kernelINS0_14default_configENS1_25partition_config_selectorILNS1_17partition_subalgoE9EllbEEZZNS1_14partition_implILS5_9ELb0ES3_jPlS8_PNS0_10empty_typeENS0_5tupleIJS8_S9_EEENSB_IJS8_SA_EEENS0_18inequality_wrapperIZN2at6native12_GLOBAL__N_124unique_dim_cuda_templateIjEESt5tupleIJNSF_6TensorESK_SK_EERKSK_lbbbEUlllE0_EEPmJS9_EEE10hipError_tPvRmT3_T4_T5_T6_T7_T9_mT8_P12ihipStream_tbDpT10_ENKUlT_T0_E_clISt17integral_constantIbLb0EES19_IbLb1EEEEDaS15_S16_EUlS15_E_NS1_11comp_targetILNS1_3genE0ELNS1_11target_archE4294967295ELNS1_3gpuE0ELNS1_3repE0EEENS1_30default_config_static_selectorELNS0_4arch9wavefront6targetE0EEEvT1_.has_recursion, 0
	.set _ZN7rocprim17ROCPRIM_400000_NS6detail17trampoline_kernelINS0_14default_configENS1_25partition_config_selectorILNS1_17partition_subalgoE9EllbEEZZNS1_14partition_implILS5_9ELb0ES3_jPlS8_PNS0_10empty_typeENS0_5tupleIJS8_S9_EEENSB_IJS8_SA_EEENS0_18inequality_wrapperIZN2at6native12_GLOBAL__N_124unique_dim_cuda_templateIjEESt5tupleIJNSF_6TensorESK_SK_EERKSK_lbbbEUlllE0_EEPmJS9_EEE10hipError_tPvRmT3_T4_T5_T6_T7_T9_mT8_P12ihipStream_tbDpT10_ENKUlT_T0_E_clISt17integral_constantIbLb0EES19_IbLb1EEEEDaS15_S16_EUlS15_E_NS1_11comp_targetILNS1_3genE0ELNS1_11target_archE4294967295ELNS1_3gpuE0ELNS1_3repE0EEENS1_30default_config_static_selectorELNS0_4arch9wavefront6targetE0EEEvT1_.has_indirect_call, 0
	.section	.AMDGPU.csdata,"",@progbits
; Kernel info:
; codeLenInByte = 9540
; TotalNumSgprs: 38
; NumVgprs: 55
; ScratchSize: 0
; MemoryBound: 0
; FloatMode: 240
; IeeeMode: 1
; LDSByteSize: 5128 bytes/workgroup (compile time only)
; SGPRBlocks: 0
; VGPRBlocks: 3
; NumSGPRsForWavesPerEU: 38
; NumVGPRsForWavesPerEU: 55
; NamedBarCnt: 0
; Occupancy: 16
; WaveLimiterHint : 1
; COMPUTE_PGM_RSRC2:SCRATCH_EN: 0
; COMPUTE_PGM_RSRC2:USER_SGPR: 2
; COMPUTE_PGM_RSRC2:TRAP_HANDLER: 0
; COMPUTE_PGM_RSRC2:TGID_X_EN: 1
; COMPUTE_PGM_RSRC2:TGID_Y_EN: 0
; COMPUTE_PGM_RSRC2:TGID_Z_EN: 0
; COMPUTE_PGM_RSRC2:TIDIG_COMP_CNT: 0
	.section	.text._ZN7rocprim17ROCPRIM_400000_NS6detail17trampoline_kernelINS0_14default_configENS1_25partition_config_selectorILNS1_17partition_subalgoE9EllbEEZZNS1_14partition_implILS5_9ELb0ES3_jPlS8_PNS0_10empty_typeENS0_5tupleIJS8_S9_EEENSB_IJS8_SA_EEENS0_18inequality_wrapperIZN2at6native12_GLOBAL__N_124unique_dim_cuda_templateIjEESt5tupleIJNSF_6TensorESK_SK_EERKSK_lbbbEUlllE0_EEPmJS9_EEE10hipError_tPvRmT3_T4_T5_T6_T7_T9_mT8_P12ihipStream_tbDpT10_ENKUlT_T0_E_clISt17integral_constantIbLb0EES19_IbLb1EEEEDaS15_S16_EUlS15_E_NS1_11comp_targetILNS1_3genE5ELNS1_11target_archE942ELNS1_3gpuE9ELNS1_3repE0EEENS1_30default_config_static_selectorELNS0_4arch9wavefront6targetE0EEEvT1_,"axG",@progbits,_ZN7rocprim17ROCPRIM_400000_NS6detail17trampoline_kernelINS0_14default_configENS1_25partition_config_selectorILNS1_17partition_subalgoE9EllbEEZZNS1_14partition_implILS5_9ELb0ES3_jPlS8_PNS0_10empty_typeENS0_5tupleIJS8_S9_EEENSB_IJS8_SA_EEENS0_18inequality_wrapperIZN2at6native12_GLOBAL__N_124unique_dim_cuda_templateIjEESt5tupleIJNSF_6TensorESK_SK_EERKSK_lbbbEUlllE0_EEPmJS9_EEE10hipError_tPvRmT3_T4_T5_T6_T7_T9_mT8_P12ihipStream_tbDpT10_ENKUlT_T0_E_clISt17integral_constantIbLb0EES19_IbLb1EEEEDaS15_S16_EUlS15_E_NS1_11comp_targetILNS1_3genE5ELNS1_11target_archE942ELNS1_3gpuE9ELNS1_3repE0EEENS1_30default_config_static_selectorELNS0_4arch9wavefront6targetE0EEEvT1_,comdat
	.globl	_ZN7rocprim17ROCPRIM_400000_NS6detail17trampoline_kernelINS0_14default_configENS1_25partition_config_selectorILNS1_17partition_subalgoE9EllbEEZZNS1_14partition_implILS5_9ELb0ES3_jPlS8_PNS0_10empty_typeENS0_5tupleIJS8_S9_EEENSB_IJS8_SA_EEENS0_18inequality_wrapperIZN2at6native12_GLOBAL__N_124unique_dim_cuda_templateIjEESt5tupleIJNSF_6TensorESK_SK_EERKSK_lbbbEUlllE0_EEPmJS9_EEE10hipError_tPvRmT3_T4_T5_T6_T7_T9_mT8_P12ihipStream_tbDpT10_ENKUlT_T0_E_clISt17integral_constantIbLb0EES19_IbLb1EEEEDaS15_S16_EUlS15_E_NS1_11comp_targetILNS1_3genE5ELNS1_11target_archE942ELNS1_3gpuE9ELNS1_3repE0EEENS1_30default_config_static_selectorELNS0_4arch9wavefront6targetE0EEEvT1_ ; -- Begin function _ZN7rocprim17ROCPRIM_400000_NS6detail17trampoline_kernelINS0_14default_configENS1_25partition_config_selectorILNS1_17partition_subalgoE9EllbEEZZNS1_14partition_implILS5_9ELb0ES3_jPlS8_PNS0_10empty_typeENS0_5tupleIJS8_S9_EEENSB_IJS8_SA_EEENS0_18inequality_wrapperIZN2at6native12_GLOBAL__N_124unique_dim_cuda_templateIjEESt5tupleIJNSF_6TensorESK_SK_EERKSK_lbbbEUlllE0_EEPmJS9_EEE10hipError_tPvRmT3_T4_T5_T6_T7_T9_mT8_P12ihipStream_tbDpT10_ENKUlT_T0_E_clISt17integral_constantIbLb0EES19_IbLb1EEEEDaS15_S16_EUlS15_E_NS1_11comp_targetILNS1_3genE5ELNS1_11target_archE942ELNS1_3gpuE9ELNS1_3repE0EEENS1_30default_config_static_selectorELNS0_4arch9wavefront6targetE0EEEvT1_
	.p2align	8
	.type	_ZN7rocprim17ROCPRIM_400000_NS6detail17trampoline_kernelINS0_14default_configENS1_25partition_config_selectorILNS1_17partition_subalgoE9EllbEEZZNS1_14partition_implILS5_9ELb0ES3_jPlS8_PNS0_10empty_typeENS0_5tupleIJS8_S9_EEENSB_IJS8_SA_EEENS0_18inequality_wrapperIZN2at6native12_GLOBAL__N_124unique_dim_cuda_templateIjEESt5tupleIJNSF_6TensorESK_SK_EERKSK_lbbbEUlllE0_EEPmJS9_EEE10hipError_tPvRmT3_T4_T5_T6_T7_T9_mT8_P12ihipStream_tbDpT10_ENKUlT_T0_E_clISt17integral_constantIbLb0EES19_IbLb1EEEEDaS15_S16_EUlS15_E_NS1_11comp_targetILNS1_3genE5ELNS1_11target_archE942ELNS1_3gpuE9ELNS1_3repE0EEENS1_30default_config_static_selectorELNS0_4arch9wavefront6targetE0EEEvT1_,@function
_ZN7rocprim17ROCPRIM_400000_NS6detail17trampoline_kernelINS0_14default_configENS1_25partition_config_selectorILNS1_17partition_subalgoE9EllbEEZZNS1_14partition_implILS5_9ELb0ES3_jPlS8_PNS0_10empty_typeENS0_5tupleIJS8_S9_EEENSB_IJS8_SA_EEENS0_18inequality_wrapperIZN2at6native12_GLOBAL__N_124unique_dim_cuda_templateIjEESt5tupleIJNSF_6TensorESK_SK_EERKSK_lbbbEUlllE0_EEPmJS9_EEE10hipError_tPvRmT3_T4_T5_T6_T7_T9_mT8_P12ihipStream_tbDpT10_ENKUlT_T0_E_clISt17integral_constantIbLb0EES19_IbLb1EEEEDaS15_S16_EUlS15_E_NS1_11comp_targetILNS1_3genE5ELNS1_11target_archE942ELNS1_3gpuE9ELNS1_3repE0EEENS1_30default_config_static_selectorELNS0_4arch9wavefront6targetE0EEEvT1_: ; @_ZN7rocprim17ROCPRIM_400000_NS6detail17trampoline_kernelINS0_14default_configENS1_25partition_config_selectorILNS1_17partition_subalgoE9EllbEEZZNS1_14partition_implILS5_9ELb0ES3_jPlS8_PNS0_10empty_typeENS0_5tupleIJS8_S9_EEENSB_IJS8_SA_EEENS0_18inequality_wrapperIZN2at6native12_GLOBAL__N_124unique_dim_cuda_templateIjEESt5tupleIJNSF_6TensorESK_SK_EERKSK_lbbbEUlllE0_EEPmJS9_EEE10hipError_tPvRmT3_T4_T5_T6_T7_T9_mT8_P12ihipStream_tbDpT10_ENKUlT_T0_E_clISt17integral_constantIbLb0EES19_IbLb1EEEEDaS15_S16_EUlS15_E_NS1_11comp_targetILNS1_3genE5ELNS1_11target_archE942ELNS1_3gpuE9ELNS1_3repE0EEENS1_30default_config_static_selectorELNS0_4arch9wavefront6targetE0EEEvT1_
; %bb.0:
	.section	.rodata,"a",@progbits
	.p2align	6, 0x0
	.amdhsa_kernel _ZN7rocprim17ROCPRIM_400000_NS6detail17trampoline_kernelINS0_14default_configENS1_25partition_config_selectorILNS1_17partition_subalgoE9EllbEEZZNS1_14partition_implILS5_9ELb0ES3_jPlS8_PNS0_10empty_typeENS0_5tupleIJS8_S9_EEENSB_IJS8_SA_EEENS0_18inequality_wrapperIZN2at6native12_GLOBAL__N_124unique_dim_cuda_templateIjEESt5tupleIJNSF_6TensorESK_SK_EERKSK_lbbbEUlllE0_EEPmJS9_EEE10hipError_tPvRmT3_T4_T5_T6_T7_T9_mT8_P12ihipStream_tbDpT10_ENKUlT_T0_E_clISt17integral_constantIbLb0EES19_IbLb1EEEEDaS15_S16_EUlS15_E_NS1_11comp_targetILNS1_3genE5ELNS1_11target_archE942ELNS1_3gpuE9ELNS1_3repE0EEENS1_30default_config_static_selectorELNS0_4arch9wavefront6targetE0EEEvT1_
		.amdhsa_group_segment_fixed_size 0
		.amdhsa_private_segment_fixed_size 0
		.amdhsa_kernarg_size 136
		.amdhsa_user_sgpr_count 2
		.amdhsa_user_sgpr_dispatch_ptr 0
		.amdhsa_user_sgpr_queue_ptr 0
		.amdhsa_user_sgpr_kernarg_segment_ptr 1
		.amdhsa_user_sgpr_dispatch_id 0
		.amdhsa_user_sgpr_kernarg_preload_length 0
		.amdhsa_user_sgpr_kernarg_preload_offset 0
		.amdhsa_user_sgpr_private_segment_size 0
		.amdhsa_wavefront_size32 1
		.amdhsa_uses_dynamic_stack 0
		.amdhsa_enable_private_segment 0
		.amdhsa_system_sgpr_workgroup_id_x 1
		.amdhsa_system_sgpr_workgroup_id_y 0
		.amdhsa_system_sgpr_workgroup_id_z 0
		.amdhsa_system_sgpr_workgroup_info 0
		.amdhsa_system_vgpr_workitem_id 0
		.amdhsa_next_free_vgpr 1
		.amdhsa_next_free_sgpr 1
		.amdhsa_named_barrier_count 0
		.amdhsa_reserve_vcc 0
		.amdhsa_float_round_mode_32 0
		.amdhsa_float_round_mode_16_64 0
		.amdhsa_float_denorm_mode_32 3
		.amdhsa_float_denorm_mode_16_64 3
		.amdhsa_fp16_overflow 0
		.amdhsa_memory_ordered 1
		.amdhsa_forward_progress 1
		.amdhsa_inst_pref_size 0
		.amdhsa_round_robin_scheduling 0
		.amdhsa_exception_fp_ieee_invalid_op 0
		.amdhsa_exception_fp_denorm_src 0
		.amdhsa_exception_fp_ieee_div_zero 0
		.amdhsa_exception_fp_ieee_overflow 0
		.amdhsa_exception_fp_ieee_underflow 0
		.amdhsa_exception_fp_ieee_inexact 0
		.amdhsa_exception_int_div_zero 0
	.end_amdhsa_kernel
	.section	.text._ZN7rocprim17ROCPRIM_400000_NS6detail17trampoline_kernelINS0_14default_configENS1_25partition_config_selectorILNS1_17partition_subalgoE9EllbEEZZNS1_14partition_implILS5_9ELb0ES3_jPlS8_PNS0_10empty_typeENS0_5tupleIJS8_S9_EEENSB_IJS8_SA_EEENS0_18inequality_wrapperIZN2at6native12_GLOBAL__N_124unique_dim_cuda_templateIjEESt5tupleIJNSF_6TensorESK_SK_EERKSK_lbbbEUlllE0_EEPmJS9_EEE10hipError_tPvRmT3_T4_T5_T6_T7_T9_mT8_P12ihipStream_tbDpT10_ENKUlT_T0_E_clISt17integral_constantIbLb0EES19_IbLb1EEEEDaS15_S16_EUlS15_E_NS1_11comp_targetILNS1_3genE5ELNS1_11target_archE942ELNS1_3gpuE9ELNS1_3repE0EEENS1_30default_config_static_selectorELNS0_4arch9wavefront6targetE0EEEvT1_,"axG",@progbits,_ZN7rocprim17ROCPRIM_400000_NS6detail17trampoline_kernelINS0_14default_configENS1_25partition_config_selectorILNS1_17partition_subalgoE9EllbEEZZNS1_14partition_implILS5_9ELb0ES3_jPlS8_PNS0_10empty_typeENS0_5tupleIJS8_S9_EEENSB_IJS8_SA_EEENS0_18inequality_wrapperIZN2at6native12_GLOBAL__N_124unique_dim_cuda_templateIjEESt5tupleIJNSF_6TensorESK_SK_EERKSK_lbbbEUlllE0_EEPmJS9_EEE10hipError_tPvRmT3_T4_T5_T6_T7_T9_mT8_P12ihipStream_tbDpT10_ENKUlT_T0_E_clISt17integral_constantIbLb0EES19_IbLb1EEEEDaS15_S16_EUlS15_E_NS1_11comp_targetILNS1_3genE5ELNS1_11target_archE942ELNS1_3gpuE9ELNS1_3repE0EEENS1_30default_config_static_selectorELNS0_4arch9wavefront6targetE0EEEvT1_,comdat
.Lfunc_end1598:
	.size	_ZN7rocprim17ROCPRIM_400000_NS6detail17trampoline_kernelINS0_14default_configENS1_25partition_config_selectorILNS1_17partition_subalgoE9EllbEEZZNS1_14partition_implILS5_9ELb0ES3_jPlS8_PNS0_10empty_typeENS0_5tupleIJS8_S9_EEENSB_IJS8_SA_EEENS0_18inequality_wrapperIZN2at6native12_GLOBAL__N_124unique_dim_cuda_templateIjEESt5tupleIJNSF_6TensorESK_SK_EERKSK_lbbbEUlllE0_EEPmJS9_EEE10hipError_tPvRmT3_T4_T5_T6_T7_T9_mT8_P12ihipStream_tbDpT10_ENKUlT_T0_E_clISt17integral_constantIbLb0EES19_IbLb1EEEEDaS15_S16_EUlS15_E_NS1_11comp_targetILNS1_3genE5ELNS1_11target_archE942ELNS1_3gpuE9ELNS1_3repE0EEENS1_30default_config_static_selectorELNS0_4arch9wavefront6targetE0EEEvT1_, .Lfunc_end1598-_ZN7rocprim17ROCPRIM_400000_NS6detail17trampoline_kernelINS0_14default_configENS1_25partition_config_selectorILNS1_17partition_subalgoE9EllbEEZZNS1_14partition_implILS5_9ELb0ES3_jPlS8_PNS0_10empty_typeENS0_5tupleIJS8_S9_EEENSB_IJS8_SA_EEENS0_18inequality_wrapperIZN2at6native12_GLOBAL__N_124unique_dim_cuda_templateIjEESt5tupleIJNSF_6TensorESK_SK_EERKSK_lbbbEUlllE0_EEPmJS9_EEE10hipError_tPvRmT3_T4_T5_T6_T7_T9_mT8_P12ihipStream_tbDpT10_ENKUlT_T0_E_clISt17integral_constantIbLb0EES19_IbLb1EEEEDaS15_S16_EUlS15_E_NS1_11comp_targetILNS1_3genE5ELNS1_11target_archE942ELNS1_3gpuE9ELNS1_3repE0EEENS1_30default_config_static_selectorELNS0_4arch9wavefront6targetE0EEEvT1_
                                        ; -- End function
	.set _ZN7rocprim17ROCPRIM_400000_NS6detail17trampoline_kernelINS0_14default_configENS1_25partition_config_selectorILNS1_17partition_subalgoE9EllbEEZZNS1_14partition_implILS5_9ELb0ES3_jPlS8_PNS0_10empty_typeENS0_5tupleIJS8_S9_EEENSB_IJS8_SA_EEENS0_18inequality_wrapperIZN2at6native12_GLOBAL__N_124unique_dim_cuda_templateIjEESt5tupleIJNSF_6TensorESK_SK_EERKSK_lbbbEUlllE0_EEPmJS9_EEE10hipError_tPvRmT3_T4_T5_T6_T7_T9_mT8_P12ihipStream_tbDpT10_ENKUlT_T0_E_clISt17integral_constantIbLb0EES19_IbLb1EEEEDaS15_S16_EUlS15_E_NS1_11comp_targetILNS1_3genE5ELNS1_11target_archE942ELNS1_3gpuE9ELNS1_3repE0EEENS1_30default_config_static_selectorELNS0_4arch9wavefront6targetE0EEEvT1_.num_vgpr, 0
	.set _ZN7rocprim17ROCPRIM_400000_NS6detail17trampoline_kernelINS0_14default_configENS1_25partition_config_selectorILNS1_17partition_subalgoE9EllbEEZZNS1_14partition_implILS5_9ELb0ES3_jPlS8_PNS0_10empty_typeENS0_5tupleIJS8_S9_EEENSB_IJS8_SA_EEENS0_18inequality_wrapperIZN2at6native12_GLOBAL__N_124unique_dim_cuda_templateIjEESt5tupleIJNSF_6TensorESK_SK_EERKSK_lbbbEUlllE0_EEPmJS9_EEE10hipError_tPvRmT3_T4_T5_T6_T7_T9_mT8_P12ihipStream_tbDpT10_ENKUlT_T0_E_clISt17integral_constantIbLb0EES19_IbLb1EEEEDaS15_S16_EUlS15_E_NS1_11comp_targetILNS1_3genE5ELNS1_11target_archE942ELNS1_3gpuE9ELNS1_3repE0EEENS1_30default_config_static_selectorELNS0_4arch9wavefront6targetE0EEEvT1_.num_agpr, 0
	.set _ZN7rocprim17ROCPRIM_400000_NS6detail17trampoline_kernelINS0_14default_configENS1_25partition_config_selectorILNS1_17partition_subalgoE9EllbEEZZNS1_14partition_implILS5_9ELb0ES3_jPlS8_PNS0_10empty_typeENS0_5tupleIJS8_S9_EEENSB_IJS8_SA_EEENS0_18inequality_wrapperIZN2at6native12_GLOBAL__N_124unique_dim_cuda_templateIjEESt5tupleIJNSF_6TensorESK_SK_EERKSK_lbbbEUlllE0_EEPmJS9_EEE10hipError_tPvRmT3_T4_T5_T6_T7_T9_mT8_P12ihipStream_tbDpT10_ENKUlT_T0_E_clISt17integral_constantIbLb0EES19_IbLb1EEEEDaS15_S16_EUlS15_E_NS1_11comp_targetILNS1_3genE5ELNS1_11target_archE942ELNS1_3gpuE9ELNS1_3repE0EEENS1_30default_config_static_selectorELNS0_4arch9wavefront6targetE0EEEvT1_.numbered_sgpr, 0
	.set _ZN7rocprim17ROCPRIM_400000_NS6detail17trampoline_kernelINS0_14default_configENS1_25partition_config_selectorILNS1_17partition_subalgoE9EllbEEZZNS1_14partition_implILS5_9ELb0ES3_jPlS8_PNS0_10empty_typeENS0_5tupleIJS8_S9_EEENSB_IJS8_SA_EEENS0_18inequality_wrapperIZN2at6native12_GLOBAL__N_124unique_dim_cuda_templateIjEESt5tupleIJNSF_6TensorESK_SK_EERKSK_lbbbEUlllE0_EEPmJS9_EEE10hipError_tPvRmT3_T4_T5_T6_T7_T9_mT8_P12ihipStream_tbDpT10_ENKUlT_T0_E_clISt17integral_constantIbLb0EES19_IbLb1EEEEDaS15_S16_EUlS15_E_NS1_11comp_targetILNS1_3genE5ELNS1_11target_archE942ELNS1_3gpuE9ELNS1_3repE0EEENS1_30default_config_static_selectorELNS0_4arch9wavefront6targetE0EEEvT1_.num_named_barrier, 0
	.set _ZN7rocprim17ROCPRIM_400000_NS6detail17trampoline_kernelINS0_14default_configENS1_25partition_config_selectorILNS1_17partition_subalgoE9EllbEEZZNS1_14partition_implILS5_9ELb0ES3_jPlS8_PNS0_10empty_typeENS0_5tupleIJS8_S9_EEENSB_IJS8_SA_EEENS0_18inequality_wrapperIZN2at6native12_GLOBAL__N_124unique_dim_cuda_templateIjEESt5tupleIJNSF_6TensorESK_SK_EERKSK_lbbbEUlllE0_EEPmJS9_EEE10hipError_tPvRmT3_T4_T5_T6_T7_T9_mT8_P12ihipStream_tbDpT10_ENKUlT_T0_E_clISt17integral_constantIbLb0EES19_IbLb1EEEEDaS15_S16_EUlS15_E_NS1_11comp_targetILNS1_3genE5ELNS1_11target_archE942ELNS1_3gpuE9ELNS1_3repE0EEENS1_30default_config_static_selectorELNS0_4arch9wavefront6targetE0EEEvT1_.private_seg_size, 0
	.set _ZN7rocprim17ROCPRIM_400000_NS6detail17trampoline_kernelINS0_14default_configENS1_25partition_config_selectorILNS1_17partition_subalgoE9EllbEEZZNS1_14partition_implILS5_9ELb0ES3_jPlS8_PNS0_10empty_typeENS0_5tupleIJS8_S9_EEENSB_IJS8_SA_EEENS0_18inequality_wrapperIZN2at6native12_GLOBAL__N_124unique_dim_cuda_templateIjEESt5tupleIJNSF_6TensorESK_SK_EERKSK_lbbbEUlllE0_EEPmJS9_EEE10hipError_tPvRmT3_T4_T5_T6_T7_T9_mT8_P12ihipStream_tbDpT10_ENKUlT_T0_E_clISt17integral_constantIbLb0EES19_IbLb1EEEEDaS15_S16_EUlS15_E_NS1_11comp_targetILNS1_3genE5ELNS1_11target_archE942ELNS1_3gpuE9ELNS1_3repE0EEENS1_30default_config_static_selectorELNS0_4arch9wavefront6targetE0EEEvT1_.uses_vcc, 0
	.set _ZN7rocprim17ROCPRIM_400000_NS6detail17trampoline_kernelINS0_14default_configENS1_25partition_config_selectorILNS1_17partition_subalgoE9EllbEEZZNS1_14partition_implILS5_9ELb0ES3_jPlS8_PNS0_10empty_typeENS0_5tupleIJS8_S9_EEENSB_IJS8_SA_EEENS0_18inequality_wrapperIZN2at6native12_GLOBAL__N_124unique_dim_cuda_templateIjEESt5tupleIJNSF_6TensorESK_SK_EERKSK_lbbbEUlllE0_EEPmJS9_EEE10hipError_tPvRmT3_T4_T5_T6_T7_T9_mT8_P12ihipStream_tbDpT10_ENKUlT_T0_E_clISt17integral_constantIbLb0EES19_IbLb1EEEEDaS15_S16_EUlS15_E_NS1_11comp_targetILNS1_3genE5ELNS1_11target_archE942ELNS1_3gpuE9ELNS1_3repE0EEENS1_30default_config_static_selectorELNS0_4arch9wavefront6targetE0EEEvT1_.uses_flat_scratch, 0
	.set _ZN7rocprim17ROCPRIM_400000_NS6detail17trampoline_kernelINS0_14default_configENS1_25partition_config_selectorILNS1_17partition_subalgoE9EllbEEZZNS1_14partition_implILS5_9ELb0ES3_jPlS8_PNS0_10empty_typeENS0_5tupleIJS8_S9_EEENSB_IJS8_SA_EEENS0_18inequality_wrapperIZN2at6native12_GLOBAL__N_124unique_dim_cuda_templateIjEESt5tupleIJNSF_6TensorESK_SK_EERKSK_lbbbEUlllE0_EEPmJS9_EEE10hipError_tPvRmT3_T4_T5_T6_T7_T9_mT8_P12ihipStream_tbDpT10_ENKUlT_T0_E_clISt17integral_constantIbLb0EES19_IbLb1EEEEDaS15_S16_EUlS15_E_NS1_11comp_targetILNS1_3genE5ELNS1_11target_archE942ELNS1_3gpuE9ELNS1_3repE0EEENS1_30default_config_static_selectorELNS0_4arch9wavefront6targetE0EEEvT1_.has_dyn_sized_stack, 0
	.set _ZN7rocprim17ROCPRIM_400000_NS6detail17trampoline_kernelINS0_14default_configENS1_25partition_config_selectorILNS1_17partition_subalgoE9EllbEEZZNS1_14partition_implILS5_9ELb0ES3_jPlS8_PNS0_10empty_typeENS0_5tupleIJS8_S9_EEENSB_IJS8_SA_EEENS0_18inequality_wrapperIZN2at6native12_GLOBAL__N_124unique_dim_cuda_templateIjEESt5tupleIJNSF_6TensorESK_SK_EERKSK_lbbbEUlllE0_EEPmJS9_EEE10hipError_tPvRmT3_T4_T5_T6_T7_T9_mT8_P12ihipStream_tbDpT10_ENKUlT_T0_E_clISt17integral_constantIbLb0EES19_IbLb1EEEEDaS15_S16_EUlS15_E_NS1_11comp_targetILNS1_3genE5ELNS1_11target_archE942ELNS1_3gpuE9ELNS1_3repE0EEENS1_30default_config_static_selectorELNS0_4arch9wavefront6targetE0EEEvT1_.has_recursion, 0
	.set _ZN7rocprim17ROCPRIM_400000_NS6detail17trampoline_kernelINS0_14default_configENS1_25partition_config_selectorILNS1_17partition_subalgoE9EllbEEZZNS1_14partition_implILS5_9ELb0ES3_jPlS8_PNS0_10empty_typeENS0_5tupleIJS8_S9_EEENSB_IJS8_SA_EEENS0_18inequality_wrapperIZN2at6native12_GLOBAL__N_124unique_dim_cuda_templateIjEESt5tupleIJNSF_6TensorESK_SK_EERKSK_lbbbEUlllE0_EEPmJS9_EEE10hipError_tPvRmT3_T4_T5_T6_T7_T9_mT8_P12ihipStream_tbDpT10_ENKUlT_T0_E_clISt17integral_constantIbLb0EES19_IbLb1EEEEDaS15_S16_EUlS15_E_NS1_11comp_targetILNS1_3genE5ELNS1_11target_archE942ELNS1_3gpuE9ELNS1_3repE0EEENS1_30default_config_static_selectorELNS0_4arch9wavefront6targetE0EEEvT1_.has_indirect_call, 0
	.section	.AMDGPU.csdata,"",@progbits
; Kernel info:
; codeLenInByte = 0
; TotalNumSgprs: 0
; NumVgprs: 0
; ScratchSize: 0
; MemoryBound: 0
; FloatMode: 240
; IeeeMode: 1
; LDSByteSize: 0 bytes/workgroup (compile time only)
; SGPRBlocks: 0
; VGPRBlocks: 0
; NumSGPRsForWavesPerEU: 1
; NumVGPRsForWavesPerEU: 1
; NamedBarCnt: 0
; Occupancy: 16
; WaveLimiterHint : 0
; COMPUTE_PGM_RSRC2:SCRATCH_EN: 0
; COMPUTE_PGM_RSRC2:USER_SGPR: 2
; COMPUTE_PGM_RSRC2:TRAP_HANDLER: 0
; COMPUTE_PGM_RSRC2:TGID_X_EN: 1
; COMPUTE_PGM_RSRC2:TGID_Y_EN: 0
; COMPUTE_PGM_RSRC2:TGID_Z_EN: 0
; COMPUTE_PGM_RSRC2:TIDIG_COMP_CNT: 0
	.section	.text._ZN7rocprim17ROCPRIM_400000_NS6detail17trampoline_kernelINS0_14default_configENS1_25partition_config_selectorILNS1_17partition_subalgoE9EllbEEZZNS1_14partition_implILS5_9ELb0ES3_jPlS8_PNS0_10empty_typeENS0_5tupleIJS8_S9_EEENSB_IJS8_SA_EEENS0_18inequality_wrapperIZN2at6native12_GLOBAL__N_124unique_dim_cuda_templateIjEESt5tupleIJNSF_6TensorESK_SK_EERKSK_lbbbEUlllE0_EEPmJS9_EEE10hipError_tPvRmT3_T4_T5_T6_T7_T9_mT8_P12ihipStream_tbDpT10_ENKUlT_T0_E_clISt17integral_constantIbLb0EES19_IbLb1EEEEDaS15_S16_EUlS15_E_NS1_11comp_targetILNS1_3genE4ELNS1_11target_archE910ELNS1_3gpuE8ELNS1_3repE0EEENS1_30default_config_static_selectorELNS0_4arch9wavefront6targetE0EEEvT1_,"axG",@progbits,_ZN7rocprim17ROCPRIM_400000_NS6detail17trampoline_kernelINS0_14default_configENS1_25partition_config_selectorILNS1_17partition_subalgoE9EllbEEZZNS1_14partition_implILS5_9ELb0ES3_jPlS8_PNS0_10empty_typeENS0_5tupleIJS8_S9_EEENSB_IJS8_SA_EEENS0_18inequality_wrapperIZN2at6native12_GLOBAL__N_124unique_dim_cuda_templateIjEESt5tupleIJNSF_6TensorESK_SK_EERKSK_lbbbEUlllE0_EEPmJS9_EEE10hipError_tPvRmT3_T4_T5_T6_T7_T9_mT8_P12ihipStream_tbDpT10_ENKUlT_T0_E_clISt17integral_constantIbLb0EES19_IbLb1EEEEDaS15_S16_EUlS15_E_NS1_11comp_targetILNS1_3genE4ELNS1_11target_archE910ELNS1_3gpuE8ELNS1_3repE0EEENS1_30default_config_static_selectorELNS0_4arch9wavefront6targetE0EEEvT1_,comdat
	.globl	_ZN7rocprim17ROCPRIM_400000_NS6detail17trampoline_kernelINS0_14default_configENS1_25partition_config_selectorILNS1_17partition_subalgoE9EllbEEZZNS1_14partition_implILS5_9ELb0ES3_jPlS8_PNS0_10empty_typeENS0_5tupleIJS8_S9_EEENSB_IJS8_SA_EEENS0_18inequality_wrapperIZN2at6native12_GLOBAL__N_124unique_dim_cuda_templateIjEESt5tupleIJNSF_6TensorESK_SK_EERKSK_lbbbEUlllE0_EEPmJS9_EEE10hipError_tPvRmT3_T4_T5_T6_T7_T9_mT8_P12ihipStream_tbDpT10_ENKUlT_T0_E_clISt17integral_constantIbLb0EES19_IbLb1EEEEDaS15_S16_EUlS15_E_NS1_11comp_targetILNS1_3genE4ELNS1_11target_archE910ELNS1_3gpuE8ELNS1_3repE0EEENS1_30default_config_static_selectorELNS0_4arch9wavefront6targetE0EEEvT1_ ; -- Begin function _ZN7rocprim17ROCPRIM_400000_NS6detail17trampoline_kernelINS0_14default_configENS1_25partition_config_selectorILNS1_17partition_subalgoE9EllbEEZZNS1_14partition_implILS5_9ELb0ES3_jPlS8_PNS0_10empty_typeENS0_5tupleIJS8_S9_EEENSB_IJS8_SA_EEENS0_18inequality_wrapperIZN2at6native12_GLOBAL__N_124unique_dim_cuda_templateIjEESt5tupleIJNSF_6TensorESK_SK_EERKSK_lbbbEUlllE0_EEPmJS9_EEE10hipError_tPvRmT3_T4_T5_T6_T7_T9_mT8_P12ihipStream_tbDpT10_ENKUlT_T0_E_clISt17integral_constantIbLb0EES19_IbLb1EEEEDaS15_S16_EUlS15_E_NS1_11comp_targetILNS1_3genE4ELNS1_11target_archE910ELNS1_3gpuE8ELNS1_3repE0EEENS1_30default_config_static_selectorELNS0_4arch9wavefront6targetE0EEEvT1_
	.p2align	8
	.type	_ZN7rocprim17ROCPRIM_400000_NS6detail17trampoline_kernelINS0_14default_configENS1_25partition_config_selectorILNS1_17partition_subalgoE9EllbEEZZNS1_14partition_implILS5_9ELb0ES3_jPlS8_PNS0_10empty_typeENS0_5tupleIJS8_S9_EEENSB_IJS8_SA_EEENS0_18inequality_wrapperIZN2at6native12_GLOBAL__N_124unique_dim_cuda_templateIjEESt5tupleIJNSF_6TensorESK_SK_EERKSK_lbbbEUlllE0_EEPmJS9_EEE10hipError_tPvRmT3_T4_T5_T6_T7_T9_mT8_P12ihipStream_tbDpT10_ENKUlT_T0_E_clISt17integral_constantIbLb0EES19_IbLb1EEEEDaS15_S16_EUlS15_E_NS1_11comp_targetILNS1_3genE4ELNS1_11target_archE910ELNS1_3gpuE8ELNS1_3repE0EEENS1_30default_config_static_selectorELNS0_4arch9wavefront6targetE0EEEvT1_,@function
_ZN7rocprim17ROCPRIM_400000_NS6detail17trampoline_kernelINS0_14default_configENS1_25partition_config_selectorILNS1_17partition_subalgoE9EllbEEZZNS1_14partition_implILS5_9ELb0ES3_jPlS8_PNS0_10empty_typeENS0_5tupleIJS8_S9_EEENSB_IJS8_SA_EEENS0_18inequality_wrapperIZN2at6native12_GLOBAL__N_124unique_dim_cuda_templateIjEESt5tupleIJNSF_6TensorESK_SK_EERKSK_lbbbEUlllE0_EEPmJS9_EEE10hipError_tPvRmT3_T4_T5_T6_T7_T9_mT8_P12ihipStream_tbDpT10_ENKUlT_T0_E_clISt17integral_constantIbLb0EES19_IbLb1EEEEDaS15_S16_EUlS15_E_NS1_11comp_targetILNS1_3genE4ELNS1_11target_archE910ELNS1_3gpuE8ELNS1_3repE0EEENS1_30default_config_static_selectorELNS0_4arch9wavefront6targetE0EEEvT1_: ; @_ZN7rocprim17ROCPRIM_400000_NS6detail17trampoline_kernelINS0_14default_configENS1_25partition_config_selectorILNS1_17partition_subalgoE9EllbEEZZNS1_14partition_implILS5_9ELb0ES3_jPlS8_PNS0_10empty_typeENS0_5tupleIJS8_S9_EEENSB_IJS8_SA_EEENS0_18inequality_wrapperIZN2at6native12_GLOBAL__N_124unique_dim_cuda_templateIjEESt5tupleIJNSF_6TensorESK_SK_EERKSK_lbbbEUlllE0_EEPmJS9_EEE10hipError_tPvRmT3_T4_T5_T6_T7_T9_mT8_P12ihipStream_tbDpT10_ENKUlT_T0_E_clISt17integral_constantIbLb0EES19_IbLb1EEEEDaS15_S16_EUlS15_E_NS1_11comp_targetILNS1_3genE4ELNS1_11target_archE910ELNS1_3gpuE8ELNS1_3repE0EEENS1_30default_config_static_selectorELNS0_4arch9wavefront6targetE0EEEvT1_
; %bb.0:
	.section	.rodata,"a",@progbits
	.p2align	6, 0x0
	.amdhsa_kernel _ZN7rocprim17ROCPRIM_400000_NS6detail17trampoline_kernelINS0_14default_configENS1_25partition_config_selectorILNS1_17partition_subalgoE9EllbEEZZNS1_14partition_implILS5_9ELb0ES3_jPlS8_PNS0_10empty_typeENS0_5tupleIJS8_S9_EEENSB_IJS8_SA_EEENS0_18inequality_wrapperIZN2at6native12_GLOBAL__N_124unique_dim_cuda_templateIjEESt5tupleIJNSF_6TensorESK_SK_EERKSK_lbbbEUlllE0_EEPmJS9_EEE10hipError_tPvRmT3_T4_T5_T6_T7_T9_mT8_P12ihipStream_tbDpT10_ENKUlT_T0_E_clISt17integral_constantIbLb0EES19_IbLb1EEEEDaS15_S16_EUlS15_E_NS1_11comp_targetILNS1_3genE4ELNS1_11target_archE910ELNS1_3gpuE8ELNS1_3repE0EEENS1_30default_config_static_selectorELNS0_4arch9wavefront6targetE0EEEvT1_
		.amdhsa_group_segment_fixed_size 0
		.amdhsa_private_segment_fixed_size 0
		.amdhsa_kernarg_size 136
		.amdhsa_user_sgpr_count 2
		.amdhsa_user_sgpr_dispatch_ptr 0
		.amdhsa_user_sgpr_queue_ptr 0
		.amdhsa_user_sgpr_kernarg_segment_ptr 1
		.amdhsa_user_sgpr_dispatch_id 0
		.amdhsa_user_sgpr_kernarg_preload_length 0
		.amdhsa_user_sgpr_kernarg_preload_offset 0
		.amdhsa_user_sgpr_private_segment_size 0
		.amdhsa_wavefront_size32 1
		.amdhsa_uses_dynamic_stack 0
		.amdhsa_enable_private_segment 0
		.amdhsa_system_sgpr_workgroup_id_x 1
		.amdhsa_system_sgpr_workgroup_id_y 0
		.amdhsa_system_sgpr_workgroup_id_z 0
		.amdhsa_system_sgpr_workgroup_info 0
		.amdhsa_system_vgpr_workitem_id 0
		.amdhsa_next_free_vgpr 1
		.amdhsa_next_free_sgpr 1
		.amdhsa_named_barrier_count 0
		.amdhsa_reserve_vcc 0
		.amdhsa_float_round_mode_32 0
		.amdhsa_float_round_mode_16_64 0
		.amdhsa_float_denorm_mode_32 3
		.amdhsa_float_denorm_mode_16_64 3
		.amdhsa_fp16_overflow 0
		.amdhsa_memory_ordered 1
		.amdhsa_forward_progress 1
		.amdhsa_inst_pref_size 0
		.amdhsa_round_robin_scheduling 0
		.amdhsa_exception_fp_ieee_invalid_op 0
		.amdhsa_exception_fp_denorm_src 0
		.amdhsa_exception_fp_ieee_div_zero 0
		.amdhsa_exception_fp_ieee_overflow 0
		.amdhsa_exception_fp_ieee_underflow 0
		.amdhsa_exception_fp_ieee_inexact 0
		.amdhsa_exception_int_div_zero 0
	.end_amdhsa_kernel
	.section	.text._ZN7rocprim17ROCPRIM_400000_NS6detail17trampoline_kernelINS0_14default_configENS1_25partition_config_selectorILNS1_17partition_subalgoE9EllbEEZZNS1_14partition_implILS5_9ELb0ES3_jPlS8_PNS0_10empty_typeENS0_5tupleIJS8_S9_EEENSB_IJS8_SA_EEENS0_18inequality_wrapperIZN2at6native12_GLOBAL__N_124unique_dim_cuda_templateIjEESt5tupleIJNSF_6TensorESK_SK_EERKSK_lbbbEUlllE0_EEPmJS9_EEE10hipError_tPvRmT3_T4_T5_T6_T7_T9_mT8_P12ihipStream_tbDpT10_ENKUlT_T0_E_clISt17integral_constantIbLb0EES19_IbLb1EEEEDaS15_S16_EUlS15_E_NS1_11comp_targetILNS1_3genE4ELNS1_11target_archE910ELNS1_3gpuE8ELNS1_3repE0EEENS1_30default_config_static_selectorELNS0_4arch9wavefront6targetE0EEEvT1_,"axG",@progbits,_ZN7rocprim17ROCPRIM_400000_NS6detail17trampoline_kernelINS0_14default_configENS1_25partition_config_selectorILNS1_17partition_subalgoE9EllbEEZZNS1_14partition_implILS5_9ELb0ES3_jPlS8_PNS0_10empty_typeENS0_5tupleIJS8_S9_EEENSB_IJS8_SA_EEENS0_18inequality_wrapperIZN2at6native12_GLOBAL__N_124unique_dim_cuda_templateIjEESt5tupleIJNSF_6TensorESK_SK_EERKSK_lbbbEUlllE0_EEPmJS9_EEE10hipError_tPvRmT3_T4_T5_T6_T7_T9_mT8_P12ihipStream_tbDpT10_ENKUlT_T0_E_clISt17integral_constantIbLb0EES19_IbLb1EEEEDaS15_S16_EUlS15_E_NS1_11comp_targetILNS1_3genE4ELNS1_11target_archE910ELNS1_3gpuE8ELNS1_3repE0EEENS1_30default_config_static_selectorELNS0_4arch9wavefront6targetE0EEEvT1_,comdat
.Lfunc_end1599:
	.size	_ZN7rocprim17ROCPRIM_400000_NS6detail17trampoline_kernelINS0_14default_configENS1_25partition_config_selectorILNS1_17partition_subalgoE9EllbEEZZNS1_14partition_implILS5_9ELb0ES3_jPlS8_PNS0_10empty_typeENS0_5tupleIJS8_S9_EEENSB_IJS8_SA_EEENS0_18inequality_wrapperIZN2at6native12_GLOBAL__N_124unique_dim_cuda_templateIjEESt5tupleIJNSF_6TensorESK_SK_EERKSK_lbbbEUlllE0_EEPmJS9_EEE10hipError_tPvRmT3_T4_T5_T6_T7_T9_mT8_P12ihipStream_tbDpT10_ENKUlT_T0_E_clISt17integral_constantIbLb0EES19_IbLb1EEEEDaS15_S16_EUlS15_E_NS1_11comp_targetILNS1_3genE4ELNS1_11target_archE910ELNS1_3gpuE8ELNS1_3repE0EEENS1_30default_config_static_selectorELNS0_4arch9wavefront6targetE0EEEvT1_, .Lfunc_end1599-_ZN7rocprim17ROCPRIM_400000_NS6detail17trampoline_kernelINS0_14default_configENS1_25partition_config_selectorILNS1_17partition_subalgoE9EllbEEZZNS1_14partition_implILS5_9ELb0ES3_jPlS8_PNS0_10empty_typeENS0_5tupleIJS8_S9_EEENSB_IJS8_SA_EEENS0_18inequality_wrapperIZN2at6native12_GLOBAL__N_124unique_dim_cuda_templateIjEESt5tupleIJNSF_6TensorESK_SK_EERKSK_lbbbEUlllE0_EEPmJS9_EEE10hipError_tPvRmT3_T4_T5_T6_T7_T9_mT8_P12ihipStream_tbDpT10_ENKUlT_T0_E_clISt17integral_constantIbLb0EES19_IbLb1EEEEDaS15_S16_EUlS15_E_NS1_11comp_targetILNS1_3genE4ELNS1_11target_archE910ELNS1_3gpuE8ELNS1_3repE0EEENS1_30default_config_static_selectorELNS0_4arch9wavefront6targetE0EEEvT1_
                                        ; -- End function
	.set _ZN7rocprim17ROCPRIM_400000_NS6detail17trampoline_kernelINS0_14default_configENS1_25partition_config_selectorILNS1_17partition_subalgoE9EllbEEZZNS1_14partition_implILS5_9ELb0ES3_jPlS8_PNS0_10empty_typeENS0_5tupleIJS8_S9_EEENSB_IJS8_SA_EEENS0_18inequality_wrapperIZN2at6native12_GLOBAL__N_124unique_dim_cuda_templateIjEESt5tupleIJNSF_6TensorESK_SK_EERKSK_lbbbEUlllE0_EEPmJS9_EEE10hipError_tPvRmT3_T4_T5_T6_T7_T9_mT8_P12ihipStream_tbDpT10_ENKUlT_T0_E_clISt17integral_constantIbLb0EES19_IbLb1EEEEDaS15_S16_EUlS15_E_NS1_11comp_targetILNS1_3genE4ELNS1_11target_archE910ELNS1_3gpuE8ELNS1_3repE0EEENS1_30default_config_static_selectorELNS0_4arch9wavefront6targetE0EEEvT1_.num_vgpr, 0
	.set _ZN7rocprim17ROCPRIM_400000_NS6detail17trampoline_kernelINS0_14default_configENS1_25partition_config_selectorILNS1_17partition_subalgoE9EllbEEZZNS1_14partition_implILS5_9ELb0ES3_jPlS8_PNS0_10empty_typeENS0_5tupleIJS8_S9_EEENSB_IJS8_SA_EEENS0_18inequality_wrapperIZN2at6native12_GLOBAL__N_124unique_dim_cuda_templateIjEESt5tupleIJNSF_6TensorESK_SK_EERKSK_lbbbEUlllE0_EEPmJS9_EEE10hipError_tPvRmT3_T4_T5_T6_T7_T9_mT8_P12ihipStream_tbDpT10_ENKUlT_T0_E_clISt17integral_constantIbLb0EES19_IbLb1EEEEDaS15_S16_EUlS15_E_NS1_11comp_targetILNS1_3genE4ELNS1_11target_archE910ELNS1_3gpuE8ELNS1_3repE0EEENS1_30default_config_static_selectorELNS0_4arch9wavefront6targetE0EEEvT1_.num_agpr, 0
	.set _ZN7rocprim17ROCPRIM_400000_NS6detail17trampoline_kernelINS0_14default_configENS1_25partition_config_selectorILNS1_17partition_subalgoE9EllbEEZZNS1_14partition_implILS5_9ELb0ES3_jPlS8_PNS0_10empty_typeENS0_5tupleIJS8_S9_EEENSB_IJS8_SA_EEENS0_18inequality_wrapperIZN2at6native12_GLOBAL__N_124unique_dim_cuda_templateIjEESt5tupleIJNSF_6TensorESK_SK_EERKSK_lbbbEUlllE0_EEPmJS9_EEE10hipError_tPvRmT3_T4_T5_T6_T7_T9_mT8_P12ihipStream_tbDpT10_ENKUlT_T0_E_clISt17integral_constantIbLb0EES19_IbLb1EEEEDaS15_S16_EUlS15_E_NS1_11comp_targetILNS1_3genE4ELNS1_11target_archE910ELNS1_3gpuE8ELNS1_3repE0EEENS1_30default_config_static_selectorELNS0_4arch9wavefront6targetE0EEEvT1_.numbered_sgpr, 0
	.set _ZN7rocprim17ROCPRIM_400000_NS6detail17trampoline_kernelINS0_14default_configENS1_25partition_config_selectorILNS1_17partition_subalgoE9EllbEEZZNS1_14partition_implILS5_9ELb0ES3_jPlS8_PNS0_10empty_typeENS0_5tupleIJS8_S9_EEENSB_IJS8_SA_EEENS0_18inequality_wrapperIZN2at6native12_GLOBAL__N_124unique_dim_cuda_templateIjEESt5tupleIJNSF_6TensorESK_SK_EERKSK_lbbbEUlllE0_EEPmJS9_EEE10hipError_tPvRmT3_T4_T5_T6_T7_T9_mT8_P12ihipStream_tbDpT10_ENKUlT_T0_E_clISt17integral_constantIbLb0EES19_IbLb1EEEEDaS15_S16_EUlS15_E_NS1_11comp_targetILNS1_3genE4ELNS1_11target_archE910ELNS1_3gpuE8ELNS1_3repE0EEENS1_30default_config_static_selectorELNS0_4arch9wavefront6targetE0EEEvT1_.num_named_barrier, 0
	.set _ZN7rocprim17ROCPRIM_400000_NS6detail17trampoline_kernelINS0_14default_configENS1_25partition_config_selectorILNS1_17partition_subalgoE9EllbEEZZNS1_14partition_implILS5_9ELb0ES3_jPlS8_PNS0_10empty_typeENS0_5tupleIJS8_S9_EEENSB_IJS8_SA_EEENS0_18inequality_wrapperIZN2at6native12_GLOBAL__N_124unique_dim_cuda_templateIjEESt5tupleIJNSF_6TensorESK_SK_EERKSK_lbbbEUlllE0_EEPmJS9_EEE10hipError_tPvRmT3_T4_T5_T6_T7_T9_mT8_P12ihipStream_tbDpT10_ENKUlT_T0_E_clISt17integral_constantIbLb0EES19_IbLb1EEEEDaS15_S16_EUlS15_E_NS1_11comp_targetILNS1_3genE4ELNS1_11target_archE910ELNS1_3gpuE8ELNS1_3repE0EEENS1_30default_config_static_selectorELNS0_4arch9wavefront6targetE0EEEvT1_.private_seg_size, 0
	.set _ZN7rocprim17ROCPRIM_400000_NS6detail17trampoline_kernelINS0_14default_configENS1_25partition_config_selectorILNS1_17partition_subalgoE9EllbEEZZNS1_14partition_implILS5_9ELb0ES3_jPlS8_PNS0_10empty_typeENS0_5tupleIJS8_S9_EEENSB_IJS8_SA_EEENS0_18inequality_wrapperIZN2at6native12_GLOBAL__N_124unique_dim_cuda_templateIjEESt5tupleIJNSF_6TensorESK_SK_EERKSK_lbbbEUlllE0_EEPmJS9_EEE10hipError_tPvRmT3_T4_T5_T6_T7_T9_mT8_P12ihipStream_tbDpT10_ENKUlT_T0_E_clISt17integral_constantIbLb0EES19_IbLb1EEEEDaS15_S16_EUlS15_E_NS1_11comp_targetILNS1_3genE4ELNS1_11target_archE910ELNS1_3gpuE8ELNS1_3repE0EEENS1_30default_config_static_selectorELNS0_4arch9wavefront6targetE0EEEvT1_.uses_vcc, 0
	.set _ZN7rocprim17ROCPRIM_400000_NS6detail17trampoline_kernelINS0_14default_configENS1_25partition_config_selectorILNS1_17partition_subalgoE9EllbEEZZNS1_14partition_implILS5_9ELb0ES3_jPlS8_PNS0_10empty_typeENS0_5tupleIJS8_S9_EEENSB_IJS8_SA_EEENS0_18inequality_wrapperIZN2at6native12_GLOBAL__N_124unique_dim_cuda_templateIjEESt5tupleIJNSF_6TensorESK_SK_EERKSK_lbbbEUlllE0_EEPmJS9_EEE10hipError_tPvRmT3_T4_T5_T6_T7_T9_mT8_P12ihipStream_tbDpT10_ENKUlT_T0_E_clISt17integral_constantIbLb0EES19_IbLb1EEEEDaS15_S16_EUlS15_E_NS1_11comp_targetILNS1_3genE4ELNS1_11target_archE910ELNS1_3gpuE8ELNS1_3repE0EEENS1_30default_config_static_selectorELNS0_4arch9wavefront6targetE0EEEvT1_.uses_flat_scratch, 0
	.set _ZN7rocprim17ROCPRIM_400000_NS6detail17trampoline_kernelINS0_14default_configENS1_25partition_config_selectorILNS1_17partition_subalgoE9EllbEEZZNS1_14partition_implILS5_9ELb0ES3_jPlS8_PNS0_10empty_typeENS0_5tupleIJS8_S9_EEENSB_IJS8_SA_EEENS0_18inequality_wrapperIZN2at6native12_GLOBAL__N_124unique_dim_cuda_templateIjEESt5tupleIJNSF_6TensorESK_SK_EERKSK_lbbbEUlllE0_EEPmJS9_EEE10hipError_tPvRmT3_T4_T5_T6_T7_T9_mT8_P12ihipStream_tbDpT10_ENKUlT_T0_E_clISt17integral_constantIbLb0EES19_IbLb1EEEEDaS15_S16_EUlS15_E_NS1_11comp_targetILNS1_3genE4ELNS1_11target_archE910ELNS1_3gpuE8ELNS1_3repE0EEENS1_30default_config_static_selectorELNS0_4arch9wavefront6targetE0EEEvT1_.has_dyn_sized_stack, 0
	.set _ZN7rocprim17ROCPRIM_400000_NS6detail17trampoline_kernelINS0_14default_configENS1_25partition_config_selectorILNS1_17partition_subalgoE9EllbEEZZNS1_14partition_implILS5_9ELb0ES3_jPlS8_PNS0_10empty_typeENS0_5tupleIJS8_S9_EEENSB_IJS8_SA_EEENS0_18inequality_wrapperIZN2at6native12_GLOBAL__N_124unique_dim_cuda_templateIjEESt5tupleIJNSF_6TensorESK_SK_EERKSK_lbbbEUlllE0_EEPmJS9_EEE10hipError_tPvRmT3_T4_T5_T6_T7_T9_mT8_P12ihipStream_tbDpT10_ENKUlT_T0_E_clISt17integral_constantIbLb0EES19_IbLb1EEEEDaS15_S16_EUlS15_E_NS1_11comp_targetILNS1_3genE4ELNS1_11target_archE910ELNS1_3gpuE8ELNS1_3repE0EEENS1_30default_config_static_selectorELNS0_4arch9wavefront6targetE0EEEvT1_.has_recursion, 0
	.set _ZN7rocprim17ROCPRIM_400000_NS6detail17trampoline_kernelINS0_14default_configENS1_25partition_config_selectorILNS1_17partition_subalgoE9EllbEEZZNS1_14partition_implILS5_9ELb0ES3_jPlS8_PNS0_10empty_typeENS0_5tupleIJS8_S9_EEENSB_IJS8_SA_EEENS0_18inequality_wrapperIZN2at6native12_GLOBAL__N_124unique_dim_cuda_templateIjEESt5tupleIJNSF_6TensorESK_SK_EERKSK_lbbbEUlllE0_EEPmJS9_EEE10hipError_tPvRmT3_T4_T5_T6_T7_T9_mT8_P12ihipStream_tbDpT10_ENKUlT_T0_E_clISt17integral_constantIbLb0EES19_IbLb1EEEEDaS15_S16_EUlS15_E_NS1_11comp_targetILNS1_3genE4ELNS1_11target_archE910ELNS1_3gpuE8ELNS1_3repE0EEENS1_30default_config_static_selectorELNS0_4arch9wavefront6targetE0EEEvT1_.has_indirect_call, 0
	.section	.AMDGPU.csdata,"",@progbits
; Kernel info:
; codeLenInByte = 0
; TotalNumSgprs: 0
; NumVgprs: 0
; ScratchSize: 0
; MemoryBound: 0
; FloatMode: 240
; IeeeMode: 1
; LDSByteSize: 0 bytes/workgroup (compile time only)
; SGPRBlocks: 0
; VGPRBlocks: 0
; NumSGPRsForWavesPerEU: 1
; NumVGPRsForWavesPerEU: 1
; NamedBarCnt: 0
; Occupancy: 16
; WaveLimiterHint : 0
; COMPUTE_PGM_RSRC2:SCRATCH_EN: 0
; COMPUTE_PGM_RSRC2:USER_SGPR: 2
; COMPUTE_PGM_RSRC2:TRAP_HANDLER: 0
; COMPUTE_PGM_RSRC2:TGID_X_EN: 1
; COMPUTE_PGM_RSRC2:TGID_Y_EN: 0
; COMPUTE_PGM_RSRC2:TGID_Z_EN: 0
; COMPUTE_PGM_RSRC2:TIDIG_COMP_CNT: 0
	.section	.text._ZN7rocprim17ROCPRIM_400000_NS6detail17trampoline_kernelINS0_14default_configENS1_25partition_config_selectorILNS1_17partition_subalgoE9EllbEEZZNS1_14partition_implILS5_9ELb0ES3_jPlS8_PNS0_10empty_typeENS0_5tupleIJS8_S9_EEENSB_IJS8_SA_EEENS0_18inequality_wrapperIZN2at6native12_GLOBAL__N_124unique_dim_cuda_templateIjEESt5tupleIJNSF_6TensorESK_SK_EERKSK_lbbbEUlllE0_EEPmJS9_EEE10hipError_tPvRmT3_T4_T5_T6_T7_T9_mT8_P12ihipStream_tbDpT10_ENKUlT_T0_E_clISt17integral_constantIbLb0EES19_IbLb1EEEEDaS15_S16_EUlS15_E_NS1_11comp_targetILNS1_3genE3ELNS1_11target_archE908ELNS1_3gpuE7ELNS1_3repE0EEENS1_30default_config_static_selectorELNS0_4arch9wavefront6targetE0EEEvT1_,"axG",@progbits,_ZN7rocprim17ROCPRIM_400000_NS6detail17trampoline_kernelINS0_14default_configENS1_25partition_config_selectorILNS1_17partition_subalgoE9EllbEEZZNS1_14partition_implILS5_9ELb0ES3_jPlS8_PNS0_10empty_typeENS0_5tupleIJS8_S9_EEENSB_IJS8_SA_EEENS0_18inequality_wrapperIZN2at6native12_GLOBAL__N_124unique_dim_cuda_templateIjEESt5tupleIJNSF_6TensorESK_SK_EERKSK_lbbbEUlllE0_EEPmJS9_EEE10hipError_tPvRmT3_T4_T5_T6_T7_T9_mT8_P12ihipStream_tbDpT10_ENKUlT_T0_E_clISt17integral_constantIbLb0EES19_IbLb1EEEEDaS15_S16_EUlS15_E_NS1_11comp_targetILNS1_3genE3ELNS1_11target_archE908ELNS1_3gpuE7ELNS1_3repE0EEENS1_30default_config_static_selectorELNS0_4arch9wavefront6targetE0EEEvT1_,comdat
	.globl	_ZN7rocprim17ROCPRIM_400000_NS6detail17trampoline_kernelINS0_14default_configENS1_25partition_config_selectorILNS1_17partition_subalgoE9EllbEEZZNS1_14partition_implILS5_9ELb0ES3_jPlS8_PNS0_10empty_typeENS0_5tupleIJS8_S9_EEENSB_IJS8_SA_EEENS0_18inequality_wrapperIZN2at6native12_GLOBAL__N_124unique_dim_cuda_templateIjEESt5tupleIJNSF_6TensorESK_SK_EERKSK_lbbbEUlllE0_EEPmJS9_EEE10hipError_tPvRmT3_T4_T5_T6_T7_T9_mT8_P12ihipStream_tbDpT10_ENKUlT_T0_E_clISt17integral_constantIbLb0EES19_IbLb1EEEEDaS15_S16_EUlS15_E_NS1_11comp_targetILNS1_3genE3ELNS1_11target_archE908ELNS1_3gpuE7ELNS1_3repE0EEENS1_30default_config_static_selectorELNS0_4arch9wavefront6targetE0EEEvT1_ ; -- Begin function _ZN7rocprim17ROCPRIM_400000_NS6detail17trampoline_kernelINS0_14default_configENS1_25partition_config_selectorILNS1_17partition_subalgoE9EllbEEZZNS1_14partition_implILS5_9ELb0ES3_jPlS8_PNS0_10empty_typeENS0_5tupleIJS8_S9_EEENSB_IJS8_SA_EEENS0_18inequality_wrapperIZN2at6native12_GLOBAL__N_124unique_dim_cuda_templateIjEESt5tupleIJNSF_6TensorESK_SK_EERKSK_lbbbEUlllE0_EEPmJS9_EEE10hipError_tPvRmT3_T4_T5_T6_T7_T9_mT8_P12ihipStream_tbDpT10_ENKUlT_T0_E_clISt17integral_constantIbLb0EES19_IbLb1EEEEDaS15_S16_EUlS15_E_NS1_11comp_targetILNS1_3genE3ELNS1_11target_archE908ELNS1_3gpuE7ELNS1_3repE0EEENS1_30default_config_static_selectorELNS0_4arch9wavefront6targetE0EEEvT1_
	.p2align	8
	.type	_ZN7rocprim17ROCPRIM_400000_NS6detail17trampoline_kernelINS0_14default_configENS1_25partition_config_selectorILNS1_17partition_subalgoE9EllbEEZZNS1_14partition_implILS5_9ELb0ES3_jPlS8_PNS0_10empty_typeENS0_5tupleIJS8_S9_EEENSB_IJS8_SA_EEENS0_18inequality_wrapperIZN2at6native12_GLOBAL__N_124unique_dim_cuda_templateIjEESt5tupleIJNSF_6TensorESK_SK_EERKSK_lbbbEUlllE0_EEPmJS9_EEE10hipError_tPvRmT3_T4_T5_T6_T7_T9_mT8_P12ihipStream_tbDpT10_ENKUlT_T0_E_clISt17integral_constantIbLb0EES19_IbLb1EEEEDaS15_S16_EUlS15_E_NS1_11comp_targetILNS1_3genE3ELNS1_11target_archE908ELNS1_3gpuE7ELNS1_3repE0EEENS1_30default_config_static_selectorELNS0_4arch9wavefront6targetE0EEEvT1_,@function
_ZN7rocprim17ROCPRIM_400000_NS6detail17trampoline_kernelINS0_14default_configENS1_25partition_config_selectorILNS1_17partition_subalgoE9EllbEEZZNS1_14partition_implILS5_9ELb0ES3_jPlS8_PNS0_10empty_typeENS0_5tupleIJS8_S9_EEENSB_IJS8_SA_EEENS0_18inequality_wrapperIZN2at6native12_GLOBAL__N_124unique_dim_cuda_templateIjEESt5tupleIJNSF_6TensorESK_SK_EERKSK_lbbbEUlllE0_EEPmJS9_EEE10hipError_tPvRmT3_T4_T5_T6_T7_T9_mT8_P12ihipStream_tbDpT10_ENKUlT_T0_E_clISt17integral_constantIbLb0EES19_IbLb1EEEEDaS15_S16_EUlS15_E_NS1_11comp_targetILNS1_3genE3ELNS1_11target_archE908ELNS1_3gpuE7ELNS1_3repE0EEENS1_30default_config_static_selectorELNS0_4arch9wavefront6targetE0EEEvT1_: ; @_ZN7rocprim17ROCPRIM_400000_NS6detail17trampoline_kernelINS0_14default_configENS1_25partition_config_selectorILNS1_17partition_subalgoE9EllbEEZZNS1_14partition_implILS5_9ELb0ES3_jPlS8_PNS0_10empty_typeENS0_5tupleIJS8_S9_EEENSB_IJS8_SA_EEENS0_18inequality_wrapperIZN2at6native12_GLOBAL__N_124unique_dim_cuda_templateIjEESt5tupleIJNSF_6TensorESK_SK_EERKSK_lbbbEUlllE0_EEPmJS9_EEE10hipError_tPvRmT3_T4_T5_T6_T7_T9_mT8_P12ihipStream_tbDpT10_ENKUlT_T0_E_clISt17integral_constantIbLb0EES19_IbLb1EEEEDaS15_S16_EUlS15_E_NS1_11comp_targetILNS1_3genE3ELNS1_11target_archE908ELNS1_3gpuE7ELNS1_3repE0EEENS1_30default_config_static_selectorELNS0_4arch9wavefront6targetE0EEEvT1_
; %bb.0:
	.section	.rodata,"a",@progbits
	.p2align	6, 0x0
	.amdhsa_kernel _ZN7rocprim17ROCPRIM_400000_NS6detail17trampoline_kernelINS0_14default_configENS1_25partition_config_selectorILNS1_17partition_subalgoE9EllbEEZZNS1_14partition_implILS5_9ELb0ES3_jPlS8_PNS0_10empty_typeENS0_5tupleIJS8_S9_EEENSB_IJS8_SA_EEENS0_18inequality_wrapperIZN2at6native12_GLOBAL__N_124unique_dim_cuda_templateIjEESt5tupleIJNSF_6TensorESK_SK_EERKSK_lbbbEUlllE0_EEPmJS9_EEE10hipError_tPvRmT3_T4_T5_T6_T7_T9_mT8_P12ihipStream_tbDpT10_ENKUlT_T0_E_clISt17integral_constantIbLb0EES19_IbLb1EEEEDaS15_S16_EUlS15_E_NS1_11comp_targetILNS1_3genE3ELNS1_11target_archE908ELNS1_3gpuE7ELNS1_3repE0EEENS1_30default_config_static_selectorELNS0_4arch9wavefront6targetE0EEEvT1_
		.amdhsa_group_segment_fixed_size 0
		.amdhsa_private_segment_fixed_size 0
		.amdhsa_kernarg_size 136
		.amdhsa_user_sgpr_count 2
		.amdhsa_user_sgpr_dispatch_ptr 0
		.amdhsa_user_sgpr_queue_ptr 0
		.amdhsa_user_sgpr_kernarg_segment_ptr 1
		.amdhsa_user_sgpr_dispatch_id 0
		.amdhsa_user_sgpr_kernarg_preload_length 0
		.amdhsa_user_sgpr_kernarg_preload_offset 0
		.amdhsa_user_sgpr_private_segment_size 0
		.amdhsa_wavefront_size32 1
		.amdhsa_uses_dynamic_stack 0
		.amdhsa_enable_private_segment 0
		.amdhsa_system_sgpr_workgroup_id_x 1
		.amdhsa_system_sgpr_workgroup_id_y 0
		.amdhsa_system_sgpr_workgroup_id_z 0
		.amdhsa_system_sgpr_workgroup_info 0
		.amdhsa_system_vgpr_workitem_id 0
		.amdhsa_next_free_vgpr 1
		.amdhsa_next_free_sgpr 1
		.amdhsa_named_barrier_count 0
		.amdhsa_reserve_vcc 0
		.amdhsa_float_round_mode_32 0
		.amdhsa_float_round_mode_16_64 0
		.amdhsa_float_denorm_mode_32 3
		.amdhsa_float_denorm_mode_16_64 3
		.amdhsa_fp16_overflow 0
		.amdhsa_memory_ordered 1
		.amdhsa_forward_progress 1
		.amdhsa_inst_pref_size 0
		.amdhsa_round_robin_scheduling 0
		.amdhsa_exception_fp_ieee_invalid_op 0
		.amdhsa_exception_fp_denorm_src 0
		.amdhsa_exception_fp_ieee_div_zero 0
		.amdhsa_exception_fp_ieee_overflow 0
		.amdhsa_exception_fp_ieee_underflow 0
		.amdhsa_exception_fp_ieee_inexact 0
		.amdhsa_exception_int_div_zero 0
	.end_amdhsa_kernel
	.section	.text._ZN7rocprim17ROCPRIM_400000_NS6detail17trampoline_kernelINS0_14default_configENS1_25partition_config_selectorILNS1_17partition_subalgoE9EllbEEZZNS1_14partition_implILS5_9ELb0ES3_jPlS8_PNS0_10empty_typeENS0_5tupleIJS8_S9_EEENSB_IJS8_SA_EEENS0_18inequality_wrapperIZN2at6native12_GLOBAL__N_124unique_dim_cuda_templateIjEESt5tupleIJNSF_6TensorESK_SK_EERKSK_lbbbEUlllE0_EEPmJS9_EEE10hipError_tPvRmT3_T4_T5_T6_T7_T9_mT8_P12ihipStream_tbDpT10_ENKUlT_T0_E_clISt17integral_constantIbLb0EES19_IbLb1EEEEDaS15_S16_EUlS15_E_NS1_11comp_targetILNS1_3genE3ELNS1_11target_archE908ELNS1_3gpuE7ELNS1_3repE0EEENS1_30default_config_static_selectorELNS0_4arch9wavefront6targetE0EEEvT1_,"axG",@progbits,_ZN7rocprim17ROCPRIM_400000_NS6detail17trampoline_kernelINS0_14default_configENS1_25partition_config_selectorILNS1_17partition_subalgoE9EllbEEZZNS1_14partition_implILS5_9ELb0ES3_jPlS8_PNS0_10empty_typeENS0_5tupleIJS8_S9_EEENSB_IJS8_SA_EEENS0_18inequality_wrapperIZN2at6native12_GLOBAL__N_124unique_dim_cuda_templateIjEESt5tupleIJNSF_6TensorESK_SK_EERKSK_lbbbEUlllE0_EEPmJS9_EEE10hipError_tPvRmT3_T4_T5_T6_T7_T9_mT8_P12ihipStream_tbDpT10_ENKUlT_T0_E_clISt17integral_constantIbLb0EES19_IbLb1EEEEDaS15_S16_EUlS15_E_NS1_11comp_targetILNS1_3genE3ELNS1_11target_archE908ELNS1_3gpuE7ELNS1_3repE0EEENS1_30default_config_static_selectorELNS0_4arch9wavefront6targetE0EEEvT1_,comdat
.Lfunc_end1600:
	.size	_ZN7rocprim17ROCPRIM_400000_NS6detail17trampoline_kernelINS0_14default_configENS1_25partition_config_selectorILNS1_17partition_subalgoE9EllbEEZZNS1_14partition_implILS5_9ELb0ES3_jPlS8_PNS0_10empty_typeENS0_5tupleIJS8_S9_EEENSB_IJS8_SA_EEENS0_18inequality_wrapperIZN2at6native12_GLOBAL__N_124unique_dim_cuda_templateIjEESt5tupleIJNSF_6TensorESK_SK_EERKSK_lbbbEUlllE0_EEPmJS9_EEE10hipError_tPvRmT3_T4_T5_T6_T7_T9_mT8_P12ihipStream_tbDpT10_ENKUlT_T0_E_clISt17integral_constantIbLb0EES19_IbLb1EEEEDaS15_S16_EUlS15_E_NS1_11comp_targetILNS1_3genE3ELNS1_11target_archE908ELNS1_3gpuE7ELNS1_3repE0EEENS1_30default_config_static_selectorELNS0_4arch9wavefront6targetE0EEEvT1_, .Lfunc_end1600-_ZN7rocprim17ROCPRIM_400000_NS6detail17trampoline_kernelINS0_14default_configENS1_25partition_config_selectorILNS1_17partition_subalgoE9EllbEEZZNS1_14partition_implILS5_9ELb0ES3_jPlS8_PNS0_10empty_typeENS0_5tupleIJS8_S9_EEENSB_IJS8_SA_EEENS0_18inequality_wrapperIZN2at6native12_GLOBAL__N_124unique_dim_cuda_templateIjEESt5tupleIJNSF_6TensorESK_SK_EERKSK_lbbbEUlllE0_EEPmJS9_EEE10hipError_tPvRmT3_T4_T5_T6_T7_T9_mT8_P12ihipStream_tbDpT10_ENKUlT_T0_E_clISt17integral_constantIbLb0EES19_IbLb1EEEEDaS15_S16_EUlS15_E_NS1_11comp_targetILNS1_3genE3ELNS1_11target_archE908ELNS1_3gpuE7ELNS1_3repE0EEENS1_30default_config_static_selectorELNS0_4arch9wavefront6targetE0EEEvT1_
                                        ; -- End function
	.set _ZN7rocprim17ROCPRIM_400000_NS6detail17trampoline_kernelINS0_14default_configENS1_25partition_config_selectorILNS1_17partition_subalgoE9EllbEEZZNS1_14partition_implILS5_9ELb0ES3_jPlS8_PNS0_10empty_typeENS0_5tupleIJS8_S9_EEENSB_IJS8_SA_EEENS0_18inequality_wrapperIZN2at6native12_GLOBAL__N_124unique_dim_cuda_templateIjEESt5tupleIJNSF_6TensorESK_SK_EERKSK_lbbbEUlllE0_EEPmJS9_EEE10hipError_tPvRmT3_T4_T5_T6_T7_T9_mT8_P12ihipStream_tbDpT10_ENKUlT_T0_E_clISt17integral_constantIbLb0EES19_IbLb1EEEEDaS15_S16_EUlS15_E_NS1_11comp_targetILNS1_3genE3ELNS1_11target_archE908ELNS1_3gpuE7ELNS1_3repE0EEENS1_30default_config_static_selectorELNS0_4arch9wavefront6targetE0EEEvT1_.num_vgpr, 0
	.set _ZN7rocprim17ROCPRIM_400000_NS6detail17trampoline_kernelINS0_14default_configENS1_25partition_config_selectorILNS1_17partition_subalgoE9EllbEEZZNS1_14partition_implILS5_9ELb0ES3_jPlS8_PNS0_10empty_typeENS0_5tupleIJS8_S9_EEENSB_IJS8_SA_EEENS0_18inequality_wrapperIZN2at6native12_GLOBAL__N_124unique_dim_cuda_templateIjEESt5tupleIJNSF_6TensorESK_SK_EERKSK_lbbbEUlllE0_EEPmJS9_EEE10hipError_tPvRmT3_T4_T5_T6_T7_T9_mT8_P12ihipStream_tbDpT10_ENKUlT_T0_E_clISt17integral_constantIbLb0EES19_IbLb1EEEEDaS15_S16_EUlS15_E_NS1_11comp_targetILNS1_3genE3ELNS1_11target_archE908ELNS1_3gpuE7ELNS1_3repE0EEENS1_30default_config_static_selectorELNS0_4arch9wavefront6targetE0EEEvT1_.num_agpr, 0
	.set _ZN7rocprim17ROCPRIM_400000_NS6detail17trampoline_kernelINS0_14default_configENS1_25partition_config_selectorILNS1_17partition_subalgoE9EllbEEZZNS1_14partition_implILS5_9ELb0ES3_jPlS8_PNS0_10empty_typeENS0_5tupleIJS8_S9_EEENSB_IJS8_SA_EEENS0_18inequality_wrapperIZN2at6native12_GLOBAL__N_124unique_dim_cuda_templateIjEESt5tupleIJNSF_6TensorESK_SK_EERKSK_lbbbEUlllE0_EEPmJS9_EEE10hipError_tPvRmT3_T4_T5_T6_T7_T9_mT8_P12ihipStream_tbDpT10_ENKUlT_T0_E_clISt17integral_constantIbLb0EES19_IbLb1EEEEDaS15_S16_EUlS15_E_NS1_11comp_targetILNS1_3genE3ELNS1_11target_archE908ELNS1_3gpuE7ELNS1_3repE0EEENS1_30default_config_static_selectorELNS0_4arch9wavefront6targetE0EEEvT1_.numbered_sgpr, 0
	.set _ZN7rocprim17ROCPRIM_400000_NS6detail17trampoline_kernelINS0_14default_configENS1_25partition_config_selectorILNS1_17partition_subalgoE9EllbEEZZNS1_14partition_implILS5_9ELb0ES3_jPlS8_PNS0_10empty_typeENS0_5tupleIJS8_S9_EEENSB_IJS8_SA_EEENS0_18inequality_wrapperIZN2at6native12_GLOBAL__N_124unique_dim_cuda_templateIjEESt5tupleIJNSF_6TensorESK_SK_EERKSK_lbbbEUlllE0_EEPmJS9_EEE10hipError_tPvRmT3_T4_T5_T6_T7_T9_mT8_P12ihipStream_tbDpT10_ENKUlT_T0_E_clISt17integral_constantIbLb0EES19_IbLb1EEEEDaS15_S16_EUlS15_E_NS1_11comp_targetILNS1_3genE3ELNS1_11target_archE908ELNS1_3gpuE7ELNS1_3repE0EEENS1_30default_config_static_selectorELNS0_4arch9wavefront6targetE0EEEvT1_.num_named_barrier, 0
	.set _ZN7rocprim17ROCPRIM_400000_NS6detail17trampoline_kernelINS0_14default_configENS1_25partition_config_selectorILNS1_17partition_subalgoE9EllbEEZZNS1_14partition_implILS5_9ELb0ES3_jPlS8_PNS0_10empty_typeENS0_5tupleIJS8_S9_EEENSB_IJS8_SA_EEENS0_18inequality_wrapperIZN2at6native12_GLOBAL__N_124unique_dim_cuda_templateIjEESt5tupleIJNSF_6TensorESK_SK_EERKSK_lbbbEUlllE0_EEPmJS9_EEE10hipError_tPvRmT3_T4_T5_T6_T7_T9_mT8_P12ihipStream_tbDpT10_ENKUlT_T0_E_clISt17integral_constantIbLb0EES19_IbLb1EEEEDaS15_S16_EUlS15_E_NS1_11comp_targetILNS1_3genE3ELNS1_11target_archE908ELNS1_3gpuE7ELNS1_3repE0EEENS1_30default_config_static_selectorELNS0_4arch9wavefront6targetE0EEEvT1_.private_seg_size, 0
	.set _ZN7rocprim17ROCPRIM_400000_NS6detail17trampoline_kernelINS0_14default_configENS1_25partition_config_selectorILNS1_17partition_subalgoE9EllbEEZZNS1_14partition_implILS5_9ELb0ES3_jPlS8_PNS0_10empty_typeENS0_5tupleIJS8_S9_EEENSB_IJS8_SA_EEENS0_18inequality_wrapperIZN2at6native12_GLOBAL__N_124unique_dim_cuda_templateIjEESt5tupleIJNSF_6TensorESK_SK_EERKSK_lbbbEUlllE0_EEPmJS9_EEE10hipError_tPvRmT3_T4_T5_T6_T7_T9_mT8_P12ihipStream_tbDpT10_ENKUlT_T0_E_clISt17integral_constantIbLb0EES19_IbLb1EEEEDaS15_S16_EUlS15_E_NS1_11comp_targetILNS1_3genE3ELNS1_11target_archE908ELNS1_3gpuE7ELNS1_3repE0EEENS1_30default_config_static_selectorELNS0_4arch9wavefront6targetE0EEEvT1_.uses_vcc, 0
	.set _ZN7rocprim17ROCPRIM_400000_NS6detail17trampoline_kernelINS0_14default_configENS1_25partition_config_selectorILNS1_17partition_subalgoE9EllbEEZZNS1_14partition_implILS5_9ELb0ES3_jPlS8_PNS0_10empty_typeENS0_5tupleIJS8_S9_EEENSB_IJS8_SA_EEENS0_18inequality_wrapperIZN2at6native12_GLOBAL__N_124unique_dim_cuda_templateIjEESt5tupleIJNSF_6TensorESK_SK_EERKSK_lbbbEUlllE0_EEPmJS9_EEE10hipError_tPvRmT3_T4_T5_T6_T7_T9_mT8_P12ihipStream_tbDpT10_ENKUlT_T0_E_clISt17integral_constantIbLb0EES19_IbLb1EEEEDaS15_S16_EUlS15_E_NS1_11comp_targetILNS1_3genE3ELNS1_11target_archE908ELNS1_3gpuE7ELNS1_3repE0EEENS1_30default_config_static_selectorELNS0_4arch9wavefront6targetE0EEEvT1_.uses_flat_scratch, 0
	.set _ZN7rocprim17ROCPRIM_400000_NS6detail17trampoline_kernelINS0_14default_configENS1_25partition_config_selectorILNS1_17partition_subalgoE9EllbEEZZNS1_14partition_implILS5_9ELb0ES3_jPlS8_PNS0_10empty_typeENS0_5tupleIJS8_S9_EEENSB_IJS8_SA_EEENS0_18inequality_wrapperIZN2at6native12_GLOBAL__N_124unique_dim_cuda_templateIjEESt5tupleIJNSF_6TensorESK_SK_EERKSK_lbbbEUlllE0_EEPmJS9_EEE10hipError_tPvRmT3_T4_T5_T6_T7_T9_mT8_P12ihipStream_tbDpT10_ENKUlT_T0_E_clISt17integral_constantIbLb0EES19_IbLb1EEEEDaS15_S16_EUlS15_E_NS1_11comp_targetILNS1_3genE3ELNS1_11target_archE908ELNS1_3gpuE7ELNS1_3repE0EEENS1_30default_config_static_selectorELNS0_4arch9wavefront6targetE0EEEvT1_.has_dyn_sized_stack, 0
	.set _ZN7rocprim17ROCPRIM_400000_NS6detail17trampoline_kernelINS0_14default_configENS1_25partition_config_selectorILNS1_17partition_subalgoE9EllbEEZZNS1_14partition_implILS5_9ELb0ES3_jPlS8_PNS0_10empty_typeENS0_5tupleIJS8_S9_EEENSB_IJS8_SA_EEENS0_18inequality_wrapperIZN2at6native12_GLOBAL__N_124unique_dim_cuda_templateIjEESt5tupleIJNSF_6TensorESK_SK_EERKSK_lbbbEUlllE0_EEPmJS9_EEE10hipError_tPvRmT3_T4_T5_T6_T7_T9_mT8_P12ihipStream_tbDpT10_ENKUlT_T0_E_clISt17integral_constantIbLb0EES19_IbLb1EEEEDaS15_S16_EUlS15_E_NS1_11comp_targetILNS1_3genE3ELNS1_11target_archE908ELNS1_3gpuE7ELNS1_3repE0EEENS1_30default_config_static_selectorELNS0_4arch9wavefront6targetE0EEEvT1_.has_recursion, 0
	.set _ZN7rocprim17ROCPRIM_400000_NS6detail17trampoline_kernelINS0_14default_configENS1_25partition_config_selectorILNS1_17partition_subalgoE9EllbEEZZNS1_14partition_implILS5_9ELb0ES3_jPlS8_PNS0_10empty_typeENS0_5tupleIJS8_S9_EEENSB_IJS8_SA_EEENS0_18inequality_wrapperIZN2at6native12_GLOBAL__N_124unique_dim_cuda_templateIjEESt5tupleIJNSF_6TensorESK_SK_EERKSK_lbbbEUlllE0_EEPmJS9_EEE10hipError_tPvRmT3_T4_T5_T6_T7_T9_mT8_P12ihipStream_tbDpT10_ENKUlT_T0_E_clISt17integral_constantIbLb0EES19_IbLb1EEEEDaS15_S16_EUlS15_E_NS1_11comp_targetILNS1_3genE3ELNS1_11target_archE908ELNS1_3gpuE7ELNS1_3repE0EEENS1_30default_config_static_selectorELNS0_4arch9wavefront6targetE0EEEvT1_.has_indirect_call, 0
	.section	.AMDGPU.csdata,"",@progbits
; Kernel info:
; codeLenInByte = 0
; TotalNumSgprs: 0
; NumVgprs: 0
; ScratchSize: 0
; MemoryBound: 0
; FloatMode: 240
; IeeeMode: 1
; LDSByteSize: 0 bytes/workgroup (compile time only)
; SGPRBlocks: 0
; VGPRBlocks: 0
; NumSGPRsForWavesPerEU: 1
; NumVGPRsForWavesPerEU: 1
; NamedBarCnt: 0
; Occupancy: 16
; WaveLimiterHint : 0
; COMPUTE_PGM_RSRC2:SCRATCH_EN: 0
; COMPUTE_PGM_RSRC2:USER_SGPR: 2
; COMPUTE_PGM_RSRC2:TRAP_HANDLER: 0
; COMPUTE_PGM_RSRC2:TGID_X_EN: 1
; COMPUTE_PGM_RSRC2:TGID_Y_EN: 0
; COMPUTE_PGM_RSRC2:TGID_Z_EN: 0
; COMPUTE_PGM_RSRC2:TIDIG_COMP_CNT: 0
	.section	.text._ZN7rocprim17ROCPRIM_400000_NS6detail17trampoline_kernelINS0_14default_configENS1_25partition_config_selectorILNS1_17partition_subalgoE9EllbEEZZNS1_14partition_implILS5_9ELb0ES3_jPlS8_PNS0_10empty_typeENS0_5tupleIJS8_S9_EEENSB_IJS8_SA_EEENS0_18inequality_wrapperIZN2at6native12_GLOBAL__N_124unique_dim_cuda_templateIjEESt5tupleIJNSF_6TensorESK_SK_EERKSK_lbbbEUlllE0_EEPmJS9_EEE10hipError_tPvRmT3_T4_T5_T6_T7_T9_mT8_P12ihipStream_tbDpT10_ENKUlT_T0_E_clISt17integral_constantIbLb0EES19_IbLb1EEEEDaS15_S16_EUlS15_E_NS1_11comp_targetILNS1_3genE2ELNS1_11target_archE906ELNS1_3gpuE6ELNS1_3repE0EEENS1_30default_config_static_selectorELNS0_4arch9wavefront6targetE0EEEvT1_,"axG",@progbits,_ZN7rocprim17ROCPRIM_400000_NS6detail17trampoline_kernelINS0_14default_configENS1_25partition_config_selectorILNS1_17partition_subalgoE9EllbEEZZNS1_14partition_implILS5_9ELb0ES3_jPlS8_PNS0_10empty_typeENS0_5tupleIJS8_S9_EEENSB_IJS8_SA_EEENS0_18inequality_wrapperIZN2at6native12_GLOBAL__N_124unique_dim_cuda_templateIjEESt5tupleIJNSF_6TensorESK_SK_EERKSK_lbbbEUlllE0_EEPmJS9_EEE10hipError_tPvRmT3_T4_T5_T6_T7_T9_mT8_P12ihipStream_tbDpT10_ENKUlT_T0_E_clISt17integral_constantIbLb0EES19_IbLb1EEEEDaS15_S16_EUlS15_E_NS1_11comp_targetILNS1_3genE2ELNS1_11target_archE906ELNS1_3gpuE6ELNS1_3repE0EEENS1_30default_config_static_selectorELNS0_4arch9wavefront6targetE0EEEvT1_,comdat
	.globl	_ZN7rocprim17ROCPRIM_400000_NS6detail17trampoline_kernelINS0_14default_configENS1_25partition_config_selectorILNS1_17partition_subalgoE9EllbEEZZNS1_14partition_implILS5_9ELb0ES3_jPlS8_PNS0_10empty_typeENS0_5tupleIJS8_S9_EEENSB_IJS8_SA_EEENS0_18inequality_wrapperIZN2at6native12_GLOBAL__N_124unique_dim_cuda_templateIjEESt5tupleIJNSF_6TensorESK_SK_EERKSK_lbbbEUlllE0_EEPmJS9_EEE10hipError_tPvRmT3_T4_T5_T6_T7_T9_mT8_P12ihipStream_tbDpT10_ENKUlT_T0_E_clISt17integral_constantIbLb0EES19_IbLb1EEEEDaS15_S16_EUlS15_E_NS1_11comp_targetILNS1_3genE2ELNS1_11target_archE906ELNS1_3gpuE6ELNS1_3repE0EEENS1_30default_config_static_selectorELNS0_4arch9wavefront6targetE0EEEvT1_ ; -- Begin function _ZN7rocprim17ROCPRIM_400000_NS6detail17trampoline_kernelINS0_14default_configENS1_25partition_config_selectorILNS1_17partition_subalgoE9EllbEEZZNS1_14partition_implILS5_9ELb0ES3_jPlS8_PNS0_10empty_typeENS0_5tupleIJS8_S9_EEENSB_IJS8_SA_EEENS0_18inequality_wrapperIZN2at6native12_GLOBAL__N_124unique_dim_cuda_templateIjEESt5tupleIJNSF_6TensorESK_SK_EERKSK_lbbbEUlllE0_EEPmJS9_EEE10hipError_tPvRmT3_T4_T5_T6_T7_T9_mT8_P12ihipStream_tbDpT10_ENKUlT_T0_E_clISt17integral_constantIbLb0EES19_IbLb1EEEEDaS15_S16_EUlS15_E_NS1_11comp_targetILNS1_3genE2ELNS1_11target_archE906ELNS1_3gpuE6ELNS1_3repE0EEENS1_30default_config_static_selectorELNS0_4arch9wavefront6targetE0EEEvT1_
	.p2align	8
	.type	_ZN7rocprim17ROCPRIM_400000_NS6detail17trampoline_kernelINS0_14default_configENS1_25partition_config_selectorILNS1_17partition_subalgoE9EllbEEZZNS1_14partition_implILS5_9ELb0ES3_jPlS8_PNS0_10empty_typeENS0_5tupleIJS8_S9_EEENSB_IJS8_SA_EEENS0_18inequality_wrapperIZN2at6native12_GLOBAL__N_124unique_dim_cuda_templateIjEESt5tupleIJNSF_6TensorESK_SK_EERKSK_lbbbEUlllE0_EEPmJS9_EEE10hipError_tPvRmT3_T4_T5_T6_T7_T9_mT8_P12ihipStream_tbDpT10_ENKUlT_T0_E_clISt17integral_constantIbLb0EES19_IbLb1EEEEDaS15_S16_EUlS15_E_NS1_11comp_targetILNS1_3genE2ELNS1_11target_archE906ELNS1_3gpuE6ELNS1_3repE0EEENS1_30default_config_static_selectorELNS0_4arch9wavefront6targetE0EEEvT1_,@function
_ZN7rocprim17ROCPRIM_400000_NS6detail17trampoline_kernelINS0_14default_configENS1_25partition_config_selectorILNS1_17partition_subalgoE9EllbEEZZNS1_14partition_implILS5_9ELb0ES3_jPlS8_PNS0_10empty_typeENS0_5tupleIJS8_S9_EEENSB_IJS8_SA_EEENS0_18inequality_wrapperIZN2at6native12_GLOBAL__N_124unique_dim_cuda_templateIjEESt5tupleIJNSF_6TensorESK_SK_EERKSK_lbbbEUlllE0_EEPmJS9_EEE10hipError_tPvRmT3_T4_T5_T6_T7_T9_mT8_P12ihipStream_tbDpT10_ENKUlT_T0_E_clISt17integral_constantIbLb0EES19_IbLb1EEEEDaS15_S16_EUlS15_E_NS1_11comp_targetILNS1_3genE2ELNS1_11target_archE906ELNS1_3gpuE6ELNS1_3repE0EEENS1_30default_config_static_selectorELNS0_4arch9wavefront6targetE0EEEvT1_: ; @_ZN7rocprim17ROCPRIM_400000_NS6detail17trampoline_kernelINS0_14default_configENS1_25partition_config_selectorILNS1_17partition_subalgoE9EllbEEZZNS1_14partition_implILS5_9ELb0ES3_jPlS8_PNS0_10empty_typeENS0_5tupleIJS8_S9_EEENSB_IJS8_SA_EEENS0_18inequality_wrapperIZN2at6native12_GLOBAL__N_124unique_dim_cuda_templateIjEESt5tupleIJNSF_6TensorESK_SK_EERKSK_lbbbEUlllE0_EEPmJS9_EEE10hipError_tPvRmT3_T4_T5_T6_T7_T9_mT8_P12ihipStream_tbDpT10_ENKUlT_T0_E_clISt17integral_constantIbLb0EES19_IbLb1EEEEDaS15_S16_EUlS15_E_NS1_11comp_targetILNS1_3genE2ELNS1_11target_archE906ELNS1_3gpuE6ELNS1_3repE0EEENS1_30default_config_static_selectorELNS0_4arch9wavefront6targetE0EEEvT1_
; %bb.0:
	.section	.rodata,"a",@progbits
	.p2align	6, 0x0
	.amdhsa_kernel _ZN7rocprim17ROCPRIM_400000_NS6detail17trampoline_kernelINS0_14default_configENS1_25partition_config_selectorILNS1_17partition_subalgoE9EllbEEZZNS1_14partition_implILS5_9ELb0ES3_jPlS8_PNS0_10empty_typeENS0_5tupleIJS8_S9_EEENSB_IJS8_SA_EEENS0_18inequality_wrapperIZN2at6native12_GLOBAL__N_124unique_dim_cuda_templateIjEESt5tupleIJNSF_6TensorESK_SK_EERKSK_lbbbEUlllE0_EEPmJS9_EEE10hipError_tPvRmT3_T4_T5_T6_T7_T9_mT8_P12ihipStream_tbDpT10_ENKUlT_T0_E_clISt17integral_constantIbLb0EES19_IbLb1EEEEDaS15_S16_EUlS15_E_NS1_11comp_targetILNS1_3genE2ELNS1_11target_archE906ELNS1_3gpuE6ELNS1_3repE0EEENS1_30default_config_static_selectorELNS0_4arch9wavefront6targetE0EEEvT1_
		.amdhsa_group_segment_fixed_size 0
		.amdhsa_private_segment_fixed_size 0
		.amdhsa_kernarg_size 136
		.amdhsa_user_sgpr_count 2
		.amdhsa_user_sgpr_dispatch_ptr 0
		.amdhsa_user_sgpr_queue_ptr 0
		.amdhsa_user_sgpr_kernarg_segment_ptr 1
		.amdhsa_user_sgpr_dispatch_id 0
		.amdhsa_user_sgpr_kernarg_preload_length 0
		.amdhsa_user_sgpr_kernarg_preload_offset 0
		.amdhsa_user_sgpr_private_segment_size 0
		.amdhsa_wavefront_size32 1
		.amdhsa_uses_dynamic_stack 0
		.amdhsa_enable_private_segment 0
		.amdhsa_system_sgpr_workgroup_id_x 1
		.amdhsa_system_sgpr_workgroup_id_y 0
		.amdhsa_system_sgpr_workgroup_id_z 0
		.amdhsa_system_sgpr_workgroup_info 0
		.amdhsa_system_vgpr_workitem_id 0
		.amdhsa_next_free_vgpr 1
		.amdhsa_next_free_sgpr 1
		.amdhsa_named_barrier_count 0
		.amdhsa_reserve_vcc 0
		.amdhsa_float_round_mode_32 0
		.amdhsa_float_round_mode_16_64 0
		.amdhsa_float_denorm_mode_32 3
		.amdhsa_float_denorm_mode_16_64 3
		.amdhsa_fp16_overflow 0
		.amdhsa_memory_ordered 1
		.amdhsa_forward_progress 1
		.amdhsa_inst_pref_size 0
		.amdhsa_round_robin_scheduling 0
		.amdhsa_exception_fp_ieee_invalid_op 0
		.amdhsa_exception_fp_denorm_src 0
		.amdhsa_exception_fp_ieee_div_zero 0
		.amdhsa_exception_fp_ieee_overflow 0
		.amdhsa_exception_fp_ieee_underflow 0
		.amdhsa_exception_fp_ieee_inexact 0
		.amdhsa_exception_int_div_zero 0
	.end_amdhsa_kernel
	.section	.text._ZN7rocprim17ROCPRIM_400000_NS6detail17trampoline_kernelINS0_14default_configENS1_25partition_config_selectorILNS1_17partition_subalgoE9EllbEEZZNS1_14partition_implILS5_9ELb0ES3_jPlS8_PNS0_10empty_typeENS0_5tupleIJS8_S9_EEENSB_IJS8_SA_EEENS0_18inequality_wrapperIZN2at6native12_GLOBAL__N_124unique_dim_cuda_templateIjEESt5tupleIJNSF_6TensorESK_SK_EERKSK_lbbbEUlllE0_EEPmJS9_EEE10hipError_tPvRmT3_T4_T5_T6_T7_T9_mT8_P12ihipStream_tbDpT10_ENKUlT_T0_E_clISt17integral_constantIbLb0EES19_IbLb1EEEEDaS15_S16_EUlS15_E_NS1_11comp_targetILNS1_3genE2ELNS1_11target_archE906ELNS1_3gpuE6ELNS1_3repE0EEENS1_30default_config_static_selectorELNS0_4arch9wavefront6targetE0EEEvT1_,"axG",@progbits,_ZN7rocprim17ROCPRIM_400000_NS6detail17trampoline_kernelINS0_14default_configENS1_25partition_config_selectorILNS1_17partition_subalgoE9EllbEEZZNS1_14partition_implILS5_9ELb0ES3_jPlS8_PNS0_10empty_typeENS0_5tupleIJS8_S9_EEENSB_IJS8_SA_EEENS0_18inequality_wrapperIZN2at6native12_GLOBAL__N_124unique_dim_cuda_templateIjEESt5tupleIJNSF_6TensorESK_SK_EERKSK_lbbbEUlllE0_EEPmJS9_EEE10hipError_tPvRmT3_T4_T5_T6_T7_T9_mT8_P12ihipStream_tbDpT10_ENKUlT_T0_E_clISt17integral_constantIbLb0EES19_IbLb1EEEEDaS15_S16_EUlS15_E_NS1_11comp_targetILNS1_3genE2ELNS1_11target_archE906ELNS1_3gpuE6ELNS1_3repE0EEENS1_30default_config_static_selectorELNS0_4arch9wavefront6targetE0EEEvT1_,comdat
.Lfunc_end1601:
	.size	_ZN7rocprim17ROCPRIM_400000_NS6detail17trampoline_kernelINS0_14default_configENS1_25partition_config_selectorILNS1_17partition_subalgoE9EllbEEZZNS1_14partition_implILS5_9ELb0ES3_jPlS8_PNS0_10empty_typeENS0_5tupleIJS8_S9_EEENSB_IJS8_SA_EEENS0_18inequality_wrapperIZN2at6native12_GLOBAL__N_124unique_dim_cuda_templateIjEESt5tupleIJNSF_6TensorESK_SK_EERKSK_lbbbEUlllE0_EEPmJS9_EEE10hipError_tPvRmT3_T4_T5_T6_T7_T9_mT8_P12ihipStream_tbDpT10_ENKUlT_T0_E_clISt17integral_constantIbLb0EES19_IbLb1EEEEDaS15_S16_EUlS15_E_NS1_11comp_targetILNS1_3genE2ELNS1_11target_archE906ELNS1_3gpuE6ELNS1_3repE0EEENS1_30default_config_static_selectorELNS0_4arch9wavefront6targetE0EEEvT1_, .Lfunc_end1601-_ZN7rocprim17ROCPRIM_400000_NS6detail17trampoline_kernelINS0_14default_configENS1_25partition_config_selectorILNS1_17partition_subalgoE9EllbEEZZNS1_14partition_implILS5_9ELb0ES3_jPlS8_PNS0_10empty_typeENS0_5tupleIJS8_S9_EEENSB_IJS8_SA_EEENS0_18inequality_wrapperIZN2at6native12_GLOBAL__N_124unique_dim_cuda_templateIjEESt5tupleIJNSF_6TensorESK_SK_EERKSK_lbbbEUlllE0_EEPmJS9_EEE10hipError_tPvRmT3_T4_T5_T6_T7_T9_mT8_P12ihipStream_tbDpT10_ENKUlT_T0_E_clISt17integral_constantIbLb0EES19_IbLb1EEEEDaS15_S16_EUlS15_E_NS1_11comp_targetILNS1_3genE2ELNS1_11target_archE906ELNS1_3gpuE6ELNS1_3repE0EEENS1_30default_config_static_selectorELNS0_4arch9wavefront6targetE0EEEvT1_
                                        ; -- End function
	.set _ZN7rocprim17ROCPRIM_400000_NS6detail17trampoline_kernelINS0_14default_configENS1_25partition_config_selectorILNS1_17partition_subalgoE9EllbEEZZNS1_14partition_implILS5_9ELb0ES3_jPlS8_PNS0_10empty_typeENS0_5tupleIJS8_S9_EEENSB_IJS8_SA_EEENS0_18inequality_wrapperIZN2at6native12_GLOBAL__N_124unique_dim_cuda_templateIjEESt5tupleIJNSF_6TensorESK_SK_EERKSK_lbbbEUlllE0_EEPmJS9_EEE10hipError_tPvRmT3_T4_T5_T6_T7_T9_mT8_P12ihipStream_tbDpT10_ENKUlT_T0_E_clISt17integral_constantIbLb0EES19_IbLb1EEEEDaS15_S16_EUlS15_E_NS1_11comp_targetILNS1_3genE2ELNS1_11target_archE906ELNS1_3gpuE6ELNS1_3repE0EEENS1_30default_config_static_selectorELNS0_4arch9wavefront6targetE0EEEvT1_.num_vgpr, 0
	.set _ZN7rocprim17ROCPRIM_400000_NS6detail17trampoline_kernelINS0_14default_configENS1_25partition_config_selectorILNS1_17partition_subalgoE9EllbEEZZNS1_14partition_implILS5_9ELb0ES3_jPlS8_PNS0_10empty_typeENS0_5tupleIJS8_S9_EEENSB_IJS8_SA_EEENS0_18inequality_wrapperIZN2at6native12_GLOBAL__N_124unique_dim_cuda_templateIjEESt5tupleIJNSF_6TensorESK_SK_EERKSK_lbbbEUlllE0_EEPmJS9_EEE10hipError_tPvRmT3_T4_T5_T6_T7_T9_mT8_P12ihipStream_tbDpT10_ENKUlT_T0_E_clISt17integral_constantIbLb0EES19_IbLb1EEEEDaS15_S16_EUlS15_E_NS1_11comp_targetILNS1_3genE2ELNS1_11target_archE906ELNS1_3gpuE6ELNS1_3repE0EEENS1_30default_config_static_selectorELNS0_4arch9wavefront6targetE0EEEvT1_.num_agpr, 0
	.set _ZN7rocprim17ROCPRIM_400000_NS6detail17trampoline_kernelINS0_14default_configENS1_25partition_config_selectorILNS1_17partition_subalgoE9EllbEEZZNS1_14partition_implILS5_9ELb0ES3_jPlS8_PNS0_10empty_typeENS0_5tupleIJS8_S9_EEENSB_IJS8_SA_EEENS0_18inequality_wrapperIZN2at6native12_GLOBAL__N_124unique_dim_cuda_templateIjEESt5tupleIJNSF_6TensorESK_SK_EERKSK_lbbbEUlllE0_EEPmJS9_EEE10hipError_tPvRmT3_T4_T5_T6_T7_T9_mT8_P12ihipStream_tbDpT10_ENKUlT_T0_E_clISt17integral_constantIbLb0EES19_IbLb1EEEEDaS15_S16_EUlS15_E_NS1_11comp_targetILNS1_3genE2ELNS1_11target_archE906ELNS1_3gpuE6ELNS1_3repE0EEENS1_30default_config_static_selectorELNS0_4arch9wavefront6targetE0EEEvT1_.numbered_sgpr, 0
	.set _ZN7rocprim17ROCPRIM_400000_NS6detail17trampoline_kernelINS0_14default_configENS1_25partition_config_selectorILNS1_17partition_subalgoE9EllbEEZZNS1_14partition_implILS5_9ELb0ES3_jPlS8_PNS0_10empty_typeENS0_5tupleIJS8_S9_EEENSB_IJS8_SA_EEENS0_18inequality_wrapperIZN2at6native12_GLOBAL__N_124unique_dim_cuda_templateIjEESt5tupleIJNSF_6TensorESK_SK_EERKSK_lbbbEUlllE0_EEPmJS9_EEE10hipError_tPvRmT3_T4_T5_T6_T7_T9_mT8_P12ihipStream_tbDpT10_ENKUlT_T0_E_clISt17integral_constantIbLb0EES19_IbLb1EEEEDaS15_S16_EUlS15_E_NS1_11comp_targetILNS1_3genE2ELNS1_11target_archE906ELNS1_3gpuE6ELNS1_3repE0EEENS1_30default_config_static_selectorELNS0_4arch9wavefront6targetE0EEEvT1_.num_named_barrier, 0
	.set _ZN7rocprim17ROCPRIM_400000_NS6detail17trampoline_kernelINS0_14default_configENS1_25partition_config_selectorILNS1_17partition_subalgoE9EllbEEZZNS1_14partition_implILS5_9ELb0ES3_jPlS8_PNS0_10empty_typeENS0_5tupleIJS8_S9_EEENSB_IJS8_SA_EEENS0_18inequality_wrapperIZN2at6native12_GLOBAL__N_124unique_dim_cuda_templateIjEESt5tupleIJNSF_6TensorESK_SK_EERKSK_lbbbEUlllE0_EEPmJS9_EEE10hipError_tPvRmT3_T4_T5_T6_T7_T9_mT8_P12ihipStream_tbDpT10_ENKUlT_T0_E_clISt17integral_constantIbLb0EES19_IbLb1EEEEDaS15_S16_EUlS15_E_NS1_11comp_targetILNS1_3genE2ELNS1_11target_archE906ELNS1_3gpuE6ELNS1_3repE0EEENS1_30default_config_static_selectorELNS0_4arch9wavefront6targetE0EEEvT1_.private_seg_size, 0
	.set _ZN7rocprim17ROCPRIM_400000_NS6detail17trampoline_kernelINS0_14default_configENS1_25partition_config_selectorILNS1_17partition_subalgoE9EllbEEZZNS1_14partition_implILS5_9ELb0ES3_jPlS8_PNS0_10empty_typeENS0_5tupleIJS8_S9_EEENSB_IJS8_SA_EEENS0_18inequality_wrapperIZN2at6native12_GLOBAL__N_124unique_dim_cuda_templateIjEESt5tupleIJNSF_6TensorESK_SK_EERKSK_lbbbEUlllE0_EEPmJS9_EEE10hipError_tPvRmT3_T4_T5_T6_T7_T9_mT8_P12ihipStream_tbDpT10_ENKUlT_T0_E_clISt17integral_constantIbLb0EES19_IbLb1EEEEDaS15_S16_EUlS15_E_NS1_11comp_targetILNS1_3genE2ELNS1_11target_archE906ELNS1_3gpuE6ELNS1_3repE0EEENS1_30default_config_static_selectorELNS0_4arch9wavefront6targetE0EEEvT1_.uses_vcc, 0
	.set _ZN7rocprim17ROCPRIM_400000_NS6detail17trampoline_kernelINS0_14default_configENS1_25partition_config_selectorILNS1_17partition_subalgoE9EllbEEZZNS1_14partition_implILS5_9ELb0ES3_jPlS8_PNS0_10empty_typeENS0_5tupleIJS8_S9_EEENSB_IJS8_SA_EEENS0_18inequality_wrapperIZN2at6native12_GLOBAL__N_124unique_dim_cuda_templateIjEESt5tupleIJNSF_6TensorESK_SK_EERKSK_lbbbEUlllE0_EEPmJS9_EEE10hipError_tPvRmT3_T4_T5_T6_T7_T9_mT8_P12ihipStream_tbDpT10_ENKUlT_T0_E_clISt17integral_constantIbLb0EES19_IbLb1EEEEDaS15_S16_EUlS15_E_NS1_11comp_targetILNS1_3genE2ELNS1_11target_archE906ELNS1_3gpuE6ELNS1_3repE0EEENS1_30default_config_static_selectorELNS0_4arch9wavefront6targetE0EEEvT1_.uses_flat_scratch, 0
	.set _ZN7rocprim17ROCPRIM_400000_NS6detail17trampoline_kernelINS0_14default_configENS1_25partition_config_selectorILNS1_17partition_subalgoE9EllbEEZZNS1_14partition_implILS5_9ELb0ES3_jPlS8_PNS0_10empty_typeENS0_5tupleIJS8_S9_EEENSB_IJS8_SA_EEENS0_18inequality_wrapperIZN2at6native12_GLOBAL__N_124unique_dim_cuda_templateIjEESt5tupleIJNSF_6TensorESK_SK_EERKSK_lbbbEUlllE0_EEPmJS9_EEE10hipError_tPvRmT3_T4_T5_T6_T7_T9_mT8_P12ihipStream_tbDpT10_ENKUlT_T0_E_clISt17integral_constantIbLb0EES19_IbLb1EEEEDaS15_S16_EUlS15_E_NS1_11comp_targetILNS1_3genE2ELNS1_11target_archE906ELNS1_3gpuE6ELNS1_3repE0EEENS1_30default_config_static_selectorELNS0_4arch9wavefront6targetE0EEEvT1_.has_dyn_sized_stack, 0
	.set _ZN7rocprim17ROCPRIM_400000_NS6detail17trampoline_kernelINS0_14default_configENS1_25partition_config_selectorILNS1_17partition_subalgoE9EllbEEZZNS1_14partition_implILS5_9ELb0ES3_jPlS8_PNS0_10empty_typeENS0_5tupleIJS8_S9_EEENSB_IJS8_SA_EEENS0_18inequality_wrapperIZN2at6native12_GLOBAL__N_124unique_dim_cuda_templateIjEESt5tupleIJNSF_6TensorESK_SK_EERKSK_lbbbEUlllE0_EEPmJS9_EEE10hipError_tPvRmT3_T4_T5_T6_T7_T9_mT8_P12ihipStream_tbDpT10_ENKUlT_T0_E_clISt17integral_constantIbLb0EES19_IbLb1EEEEDaS15_S16_EUlS15_E_NS1_11comp_targetILNS1_3genE2ELNS1_11target_archE906ELNS1_3gpuE6ELNS1_3repE0EEENS1_30default_config_static_selectorELNS0_4arch9wavefront6targetE0EEEvT1_.has_recursion, 0
	.set _ZN7rocprim17ROCPRIM_400000_NS6detail17trampoline_kernelINS0_14default_configENS1_25partition_config_selectorILNS1_17partition_subalgoE9EllbEEZZNS1_14partition_implILS5_9ELb0ES3_jPlS8_PNS0_10empty_typeENS0_5tupleIJS8_S9_EEENSB_IJS8_SA_EEENS0_18inequality_wrapperIZN2at6native12_GLOBAL__N_124unique_dim_cuda_templateIjEESt5tupleIJNSF_6TensorESK_SK_EERKSK_lbbbEUlllE0_EEPmJS9_EEE10hipError_tPvRmT3_T4_T5_T6_T7_T9_mT8_P12ihipStream_tbDpT10_ENKUlT_T0_E_clISt17integral_constantIbLb0EES19_IbLb1EEEEDaS15_S16_EUlS15_E_NS1_11comp_targetILNS1_3genE2ELNS1_11target_archE906ELNS1_3gpuE6ELNS1_3repE0EEENS1_30default_config_static_selectorELNS0_4arch9wavefront6targetE0EEEvT1_.has_indirect_call, 0
	.section	.AMDGPU.csdata,"",@progbits
; Kernel info:
; codeLenInByte = 0
; TotalNumSgprs: 0
; NumVgprs: 0
; ScratchSize: 0
; MemoryBound: 0
; FloatMode: 240
; IeeeMode: 1
; LDSByteSize: 0 bytes/workgroup (compile time only)
; SGPRBlocks: 0
; VGPRBlocks: 0
; NumSGPRsForWavesPerEU: 1
; NumVGPRsForWavesPerEU: 1
; NamedBarCnt: 0
; Occupancy: 16
; WaveLimiterHint : 0
; COMPUTE_PGM_RSRC2:SCRATCH_EN: 0
; COMPUTE_PGM_RSRC2:USER_SGPR: 2
; COMPUTE_PGM_RSRC2:TRAP_HANDLER: 0
; COMPUTE_PGM_RSRC2:TGID_X_EN: 1
; COMPUTE_PGM_RSRC2:TGID_Y_EN: 0
; COMPUTE_PGM_RSRC2:TGID_Z_EN: 0
; COMPUTE_PGM_RSRC2:TIDIG_COMP_CNT: 0
	.section	.text._ZN7rocprim17ROCPRIM_400000_NS6detail17trampoline_kernelINS0_14default_configENS1_25partition_config_selectorILNS1_17partition_subalgoE9EllbEEZZNS1_14partition_implILS5_9ELb0ES3_jPlS8_PNS0_10empty_typeENS0_5tupleIJS8_S9_EEENSB_IJS8_SA_EEENS0_18inequality_wrapperIZN2at6native12_GLOBAL__N_124unique_dim_cuda_templateIjEESt5tupleIJNSF_6TensorESK_SK_EERKSK_lbbbEUlllE0_EEPmJS9_EEE10hipError_tPvRmT3_T4_T5_T6_T7_T9_mT8_P12ihipStream_tbDpT10_ENKUlT_T0_E_clISt17integral_constantIbLb0EES19_IbLb1EEEEDaS15_S16_EUlS15_E_NS1_11comp_targetILNS1_3genE10ELNS1_11target_archE1200ELNS1_3gpuE4ELNS1_3repE0EEENS1_30default_config_static_selectorELNS0_4arch9wavefront6targetE0EEEvT1_,"axG",@progbits,_ZN7rocprim17ROCPRIM_400000_NS6detail17trampoline_kernelINS0_14default_configENS1_25partition_config_selectorILNS1_17partition_subalgoE9EllbEEZZNS1_14partition_implILS5_9ELb0ES3_jPlS8_PNS0_10empty_typeENS0_5tupleIJS8_S9_EEENSB_IJS8_SA_EEENS0_18inequality_wrapperIZN2at6native12_GLOBAL__N_124unique_dim_cuda_templateIjEESt5tupleIJNSF_6TensorESK_SK_EERKSK_lbbbEUlllE0_EEPmJS9_EEE10hipError_tPvRmT3_T4_T5_T6_T7_T9_mT8_P12ihipStream_tbDpT10_ENKUlT_T0_E_clISt17integral_constantIbLb0EES19_IbLb1EEEEDaS15_S16_EUlS15_E_NS1_11comp_targetILNS1_3genE10ELNS1_11target_archE1200ELNS1_3gpuE4ELNS1_3repE0EEENS1_30default_config_static_selectorELNS0_4arch9wavefront6targetE0EEEvT1_,comdat
	.globl	_ZN7rocprim17ROCPRIM_400000_NS6detail17trampoline_kernelINS0_14default_configENS1_25partition_config_selectorILNS1_17partition_subalgoE9EllbEEZZNS1_14partition_implILS5_9ELb0ES3_jPlS8_PNS0_10empty_typeENS0_5tupleIJS8_S9_EEENSB_IJS8_SA_EEENS0_18inequality_wrapperIZN2at6native12_GLOBAL__N_124unique_dim_cuda_templateIjEESt5tupleIJNSF_6TensorESK_SK_EERKSK_lbbbEUlllE0_EEPmJS9_EEE10hipError_tPvRmT3_T4_T5_T6_T7_T9_mT8_P12ihipStream_tbDpT10_ENKUlT_T0_E_clISt17integral_constantIbLb0EES19_IbLb1EEEEDaS15_S16_EUlS15_E_NS1_11comp_targetILNS1_3genE10ELNS1_11target_archE1200ELNS1_3gpuE4ELNS1_3repE0EEENS1_30default_config_static_selectorELNS0_4arch9wavefront6targetE0EEEvT1_ ; -- Begin function _ZN7rocprim17ROCPRIM_400000_NS6detail17trampoline_kernelINS0_14default_configENS1_25partition_config_selectorILNS1_17partition_subalgoE9EllbEEZZNS1_14partition_implILS5_9ELb0ES3_jPlS8_PNS0_10empty_typeENS0_5tupleIJS8_S9_EEENSB_IJS8_SA_EEENS0_18inequality_wrapperIZN2at6native12_GLOBAL__N_124unique_dim_cuda_templateIjEESt5tupleIJNSF_6TensorESK_SK_EERKSK_lbbbEUlllE0_EEPmJS9_EEE10hipError_tPvRmT3_T4_T5_T6_T7_T9_mT8_P12ihipStream_tbDpT10_ENKUlT_T0_E_clISt17integral_constantIbLb0EES19_IbLb1EEEEDaS15_S16_EUlS15_E_NS1_11comp_targetILNS1_3genE10ELNS1_11target_archE1200ELNS1_3gpuE4ELNS1_3repE0EEENS1_30default_config_static_selectorELNS0_4arch9wavefront6targetE0EEEvT1_
	.p2align	8
	.type	_ZN7rocprim17ROCPRIM_400000_NS6detail17trampoline_kernelINS0_14default_configENS1_25partition_config_selectorILNS1_17partition_subalgoE9EllbEEZZNS1_14partition_implILS5_9ELb0ES3_jPlS8_PNS0_10empty_typeENS0_5tupleIJS8_S9_EEENSB_IJS8_SA_EEENS0_18inequality_wrapperIZN2at6native12_GLOBAL__N_124unique_dim_cuda_templateIjEESt5tupleIJNSF_6TensorESK_SK_EERKSK_lbbbEUlllE0_EEPmJS9_EEE10hipError_tPvRmT3_T4_T5_T6_T7_T9_mT8_P12ihipStream_tbDpT10_ENKUlT_T0_E_clISt17integral_constantIbLb0EES19_IbLb1EEEEDaS15_S16_EUlS15_E_NS1_11comp_targetILNS1_3genE10ELNS1_11target_archE1200ELNS1_3gpuE4ELNS1_3repE0EEENS1_30default_config_static_selectorELNS0_4arch9wavefront6targetE0EEEvT1_,@function
_ZN7rocprim17ROCPRIM_400000_NS6detail17trampoline_kernelINS0_14default_configENS1_25partition_config_selectorILNS1_17partition_subalgoE9EllbEEZZNS1_14partition_implILS5_9ELb0ES3_jPlS8_PNS0_10empty_typeENS0_5tupleIJS8_S9_EEENSB_IJS8_SA_EEENS0_18inequality_wrapperIZN2at6native12_GLOBAL__N_124unique_dim_cuda_templateIjEESt5tupleIJNSF_6TensorESK_SK_EERKSK_lbbbEUlllE0_EEPmJS9_EEE10hipError_tPvRmT3_T4_T5_T6_T7_T9_mT8_P12ihipStream_tbDpT10_ENKUlT_T0_E_clISt17integral_constantIbLb0EES19_IbLb1EEEEDaS15_S16_EUlS15_E_NS1_11comp_targetILNS1_3genE10ELNS1_11target_archE1200ELNS1_3gpuE4ELNS1_3repE0EEENS1_30default_config_static_selectorELNS0_4arch9wavefront6targetE0EEEvT1_: ; @_ZN7rocprim17ROCPRIM_400000_NS6detail17trampoline_kernelINS0_14default_configENS1_25partition_config_selectorILNS1_17partition_subalgoE9EllbEEZZNS1_14partition_implILS5_9ELb0ES3_jPlS8_PNS0_10empty_typeENS0_5tupleIJS8_S9_EEENSB_IJS8_SA_EEENS0_18inequality_wrapperIZN2at6native12_GLOBAL__N_124unique_dim_cuda_templateIjEESt5tupleIJNSF_6TensorESK_SK_EERKSK_lbbbEUlllE0_EEPmJS9_EEE10hipError_tPvRmT3_T4_T5_T6_T7_T9_mT8_P12ihipStream_tbDpT10_ENKUlT_T0_E_clISt17integral_constantIbLb0EES19_IbLb1EEEEDaS15_S16_EUlS15_E_NS1_11comp_targetILNS1_3genE10ELNS1_11target_archE1200ELNS1_3gpuE4ELNS1_3repE0EEENS1_30default_config_static_selectorELNS0_4arch9wavefront6targetE0EEEvT1_
; %bb.0:
	.section	.rodata,"a",@progbits
	.p2align	6, 0x0
	.amdhsa_kernel _ZN7rocprim17ROCPRIM_400000_NS6detail17trampoline_kernelINS0_14default_configENS1_25partition_config_selectorILNS1_17partition_subalgoE9EllbEEZZNS1_14partition_implILS5_9ELb0ES3_jPlS8_PNS0_10empty_typeENS0_5tupleIJS8_S9_EEENSB_IJS8_SA_EEENS0_18inequality_wrapperIZN2at6native12_GLOBAL__N_124unique_dim_cuda_templateIjEESt5tupleIJNSF_6TensorESK_SK_EERKSK_lbbbEUlllE0_EEPmJS9_EEE10hipError_tPvRmT3_T4_T5_T6_T7_T9_mT8_P12ihipStream_tbDpT10_ENKUlT_T0_E_clISt17integral_constantIbLb0EES19_IbLb1EEEEDaS15_S16_EUlS15_E_NS1_11comp_targetILNS1_3genE10ELNS1_11target_archE1200ELNS1_3gpuE4ELNS1_3repE0EEENS1_30default_config_static_selectorELNS0_4arch9wavefront6targetE0EEEvT1_
		.amdhsa_group_segment_fixed_size 0
		.amdhsa_private_segment_fixed_size 0
		.amdhsa_kernarg_size 136
		.amdhsa_user_sgpr_count 2
		.amdhsa_user_sgpr_dispatch_ptr 0
		.amdhsa_user_sgpr_queue_ptr 0
		.amdhsa_user_sgpr_kernarg_segment_ptr 1
		.amdhsa_user_sgpr_dispatch_id 0
		.amdhsa_user_sgpr_kernarg_preload_length 0
		.amdhsa_user_sgpr_kernarg_preload_offset 0
		.amdhsa_user_sgpr_private_segment_size 0
		.amdhsa_wavefront_size32 1
		.amdhsa_uses_dynamic_stack 0
		.amdhsa_enable_private_segment 0
		.amdhsa_system_sgpr_workgroup_id_x 1
		.amdhsa_system_sgpr_workgroup_id_y 0
		.amdhsa_system_sgpr_workgroup_id_z 0
		.amdhsa_system_sgpr_workgroup_info 0
		.amdhsa_system_vgpr_workitem_id 0
		.amdhsa_next_free_vgpr 1
		.amdhsa_next_free_sgpr 1
		.amdhsa_named_barrier_count 0
		.amdhsa_reserve_vcc 0
		.amdhsa_float_round_mode_32 0
		.amdhsa_float_round_mode_16_64 0
		.amdhsa_float_denorm_mode_32 3
		.amdhsa_float_denorm_mode_16_64 3
		.amdhsa_fp16_overflow 0
		.amdhsa_memory_ordered 1
		.amdhsa_forward_progress 1
		.amdhsa_inst_pref_size 0
		.amdhsa_round_robin_scheduling 0
		.amdhsa_exception_fp_ieee_invalid_op 0
		.amdhsa_exception_fp_denorm_src 0
		.amdhsa_exception_fp_ieee_div_zero 0
		.amdhsa_exception_fp_ieee_overflow 0
		.amdhsa_exception_fp_ieee_underflow 0
		.amdhsa_exception_fp_ieee_inexact 0
		.amdhsa_exception_int_div_zero 0
	.end_amdhsa_kernel
	.section	.text._ZN7rocprim17ROCPRIM_400000_NS6detail17trampoline_kernelINS0_14default_configENS1_25partition_config_selectorILNS1_17partition_subalgoE9EllbEEZZNS1_14partition_implILS5_9ELb0ES3_jPlS8_PNS0_10empty_typeENS0_5tupleIJS8_S9_EEENSB_IJS8_SA_EEENS0_18inequality_wrapperIZN2at6native12_GLOBAL__N_124unique_dim_cuda_templateIjEESt5tupleIJNSF_6TensorESK_SK_EERKSK_lbbbEUlllE0_EEPmJS9_EEE10hipError_tPvRmT3_T4_T5_T6_T7_T9_mT8_P12ihipStream_tbDpT10_ENKUlT_T0_E_clISt17integral_constantIbLb0EES19_IbLb1EEEEDaS15_S16_EUlS15_E_NS1_11comp_targetILNS1_3genE10ELNS1_11target_archE1200ELNS1_3gpuE4ELNS1_3repE0EEENS1_30default_config_static_selectorELNS0_4arch9wavefront6targetE0EEEvT1_,"axG",@progbits,_ZN7rocprim17ROCPRIM_400000_NS6detail17trampoline_kernelINS0_14default_configENS1_25partition_config_selectorILNS1_17partition_subalgoE9EllbEEZZNS1_14partition_implILS5_9ELb0ES3_jPlS8_PNS0_10empty_typeENS0_5tupleIJS8_S9_EEENSB_IJS8_SA_EEENS0_18inequality_wrapperIZN2at6native12_GLOBAL__N_124unique_dim_cuda_templateIjEESt5tupleIJNSF_6TensorESK_SK_EERKSK_lbbbEUlllE0_EEPmJS9_EEE10hipError_tPvRmT3_T4_T5_T6_T7_T9_mT8_P12ihipStream_tbDpT10_ENKUlT_T0_E_clISt17integral_constantIbLb0EES19_IbLb1EEEEDaS15_S16_EUlS15_E_NS1_11comp_targetILNS1_3genE10ELNS1_11target_archE1200ELNS1_3gpuE4ELNS1_3repE0EEENS1_30default_config_static_selectorELNS0_4arch9wavefront6targetE0EEEvT1_,comdat
.Lfunc_end1602:
	.size	_ZN7rocprim17ROCPRIM_400000_NS6detail17trampoline_kernelINS0_14default_configENS1_25partition_config_selectorILNS1_17partition_subalgoE9EllbEEZZNS1_14partition_implILS5_9ELb0ES3_jPlS8_PNS0_10empty_typeENS0_5tupleIJS8_S9_EEENSB_IJS8_SA_EEENS0_18inequality_wrapperIZN2at6native12_GLOBAL__N_124unique_dim_cuda_templateIjEESt5tupleIJNSF_6TensorESK_SK_EERKSK_lbbbEUlllE0_EEPmJS9_EEE10hipError_tPvRmT3_T4_T5_T6_T7_T9_mT8_P12ihipStream_tbDpT10_ENKUlT_T0_E_clISt17integral_constantIbLb0EES19_IbLb1EEEEDaS15_S16_EUlS15_E_NS1_11comp_targetILNS1_3genE10ELNS1_11target_archE1200ELNS1_3gpuE4ELNS1_3repE0EEENS1_30default_config_static_selectorELNS0_4arch9wavefront6targetE0EEEvT1_, .Lfunc_end1602-_ZN7rocprim17ROCPRIM_400000_NS6detail17trampoline_kernelINS0_14default_configENS1_25partition_config_selectorILNS1_17partition_subalgoE9EllbEEZZNS1_14partition_implILS5_9ELb0ES3_jPlS8_PNS0_10empty_typeENS0_5tupleIJS8_S9_EEENSB_IJS8_SA_EEENS0_18inequality_wrapperIZN2at6native12_GLOBAL__N_124unique_dim_cuda_templateIjEESt5tupleIJNSF_6TensorESK_SK_EERKSK_lbbbEUlllE0_EEPmJS9_EEE10hipError_tPvRmT3_T4_T5_T6_T7_T9_mT8_P12ihipStream_tbDpT10_ENKUlT_T0_E_clISt17integral_constantIbLb0EES19_IbLb1EEEEDaS15_S16_EUlS15_E_NS1_11comp_targetILNS1_3genE10ELNS1_11target_archE1200ELNS1_3gpuE4ELNS1_3repE0EEENS1_30default_config_static_selectorELNS0_4arch9wavefront6targetE0EEEvT1_
                                        ; -- End function
	.set _ZN7rocprim17ROCPRIM_400000_NS6detail17trampoline_kernelINS0_14default_configENS1_25partition_config_selectorILNS1_17partition_subalgoE9EllbEEZZNS1_14partition_implILS5_9ELb0ES3_jPlS8_PNS0_10empty_typeENS0_5tupleIJS8_S9_EEENSB_IJS8_SA_EEENS0_18inequality_wrapperIZN2at6native12_GLOBAL__N_124unique_dim_cuda_templateIjEESt5tupleIJNSF_6TensorESK_SK_EERKSK_lbbbEUlllE0_EEPmJS9_EEE10hipError_tPvRmT3_T4_T5_T6_T7_T9_mT8_P12ihipStream_tbDpT10_ENKUlT_T0_E_clISt17integral_constantIbLb0EES19_IbLb1EEEEDaS15_S16_EUlS15_E_NS1_11comp_targetILNS1_3genE10ELNS1_11target_archE1200ELNS1_3gpuE4ELNS1_3repE0EEENS1_30default_config_static_selectorELNS0_4arch9wavefront6targetE0EEEvT1_.num_vgpr, 0
	.set _ZN7rocprim17ROCPRIM_400000_NS6detail17trampoline_kernelINS0_14default_configENS1_25partition_config_selectorILNS1_17partition_subalgoE9EllbEEZZNS1_14partition_implILS5_9ELb0ES3_jPlS8_PNS0_10empty_typeENS0_5tupleIJS8_S9_EEENSB_IJS8_SA_EEENS0_18inequality_wrapperIZN2at6native12_GLOBAL__N_124unique_dim_cuda_templateIjEESt5tupleIJNSF_6TensorESK_SK_EERKSK_lbbbEUlllE0_EEPmJS9_EEE10hipError_tPvRmT3_T4_T5_T6_T7_T9_mT8_P12ihipStream_tbDpT10_ENKUlT_T0_E_clISt17integral_constantIbLb0EES19_IbLb1EEEEDaS15_S16_EUlS15_E_NS1_11comp_targetILNS1_3genE10ELNS1_11target_archE1200ELNS1_3gpuE4ELNS1_3repE0EEENS1_30default_config_static_selectorELNS0_4arch9wavefront6targetE0EEEvT1_.num_agpr, 0
	.set _ZN7rocprim17ROCPRIM_400000_NS6detail17trampoline_kernelINS0_14default_configENS1_25partition_config_selectorILNS1_17partition_subalgoE9EllbEEZZNS1_14partition_implILS5_9ELb0ES3_jPlS8_PNS0_10empty_typeENS0_5tupleIJS8_S9_EEENSB_IJS8_SA_EEENS0_18inequality_wrapperIZN2at6native12_GLOBAL__N_124unique_dim_cuda_templateIjEESt5tupleIJNSF_6TensorESK_SK_EERKSK_lbbbEUlllE0_EEPmJS9_EEE10hipError_tPvRmT3_T4_T5_T6_T7_T9_mT8_P12ihipStream_tbDpT10_ENKUlT_T0_E_clISt17integral_constantIbLb0EES19_IbLb1EEEEDaS15_S16_EUlS15_E_NS1_11comp_targetILNS1_3genE10ELNS1_11target_archE1200ELNS1_3gpuE4ELNS1_3repE0EEENS1_30default_config_static_selectorELNS0_4arch9wavefront6targetE0EEEvT1_.numbered_sgpr, 0
	.set _ZN7rocprim17ROCPRIM_400000_NS6detail17trampoline_kernelINS0_14default_configENS1_25partition_config_selectorILNS1_17partition_subalgoE9EllbEEZZNS1_14partition_implILS5_9ELb0ES3_jPlS8_PNS0_10empty_typeENS0_5tupleIJS8_S9_EEENSB_IJS8_SA_EEENS0_18inequality_wrapperIZN2at6native12_GLOBAL__N_124unique_dim_cuda_templateIjEESt5tupleIJNSF_6TensorESK_SK_EERKSK_lbbbEUlllE0_EEPmJS9_EEE10hipError_tPvRmT3_T4_T5_T6_T7_T9_mT8_P12ihipStream_tbDpT10_ENKUlT_T0_E_clISt17integral_constantIbLb0EES19_IbLb1EEEEDaS15_S16_EUlS15_E_NS1_11comp_targetILNS1_3genE10ELNS1_11target_archE1200ELNS1_3gpuE4ELNS1_3repE0EEENS1_30default_config_static_selectorELNS0_4arch9wavefront6targetE0EEEvT1_.num_named_barrier, 0
	.set _ZN7rocprim17ROCPRIM_400000_NS6detail17trampoline_kernelINS0_14default_configENS1_25partition_config_selectorILNS1_17partition_subalgoE9EllbEEZZNS1_14partition_implILS5_9ELb0ES3_jPlS8_PNS0_10empty_typeENS0_5tupleIJS8_S9_EEENSB_IJS8_SA_EEENS0_18inequality_wrapperIZN2at6native12_GLOBAL__N_124unique_dim_cuda_templateIjEESt5tupleIJNSF_6TensorESK_SK_EERKSK_lbbbEUlllE0_EEPmJS9_EEE10hipError_tPvRmT3_T4_T5_T6_T7_T9_mT8_P12ihipStream_tbDpT10_ENKUlT_T0_E_clISt17integral_constantIbLb0EES19_IbLb1EEEEDaS15_S16_EUlS15_E_NS1_11comp_targetILNS1_3genE10ELNS1_11target_archE1200ELNS1_3gpuE4ELNS1_3repE0EEENS1_30default_config_static_selectorELNS0_4arch9wavefront6targetE0EEEvT1_.private_seg_size, 0
	.set _ZN7rocprim17ROCPRIM_400000_NS6detail17trampoline_kernelINS0_14default_configENS1_25partition_config_selectorILNS1_17partition_subalgoE9EllbEEZZNS1_14partition_implILS5_9ELb0ES3_jPlS8_PNS0_10empty_typeENS0_5tupleIJS8_S9_EEENSB_IJS8_SA_EEENS0_18inequality_wrapperIZN2at6native12_GLOBAL__N_124unique_dim_cuda_templateIjEESt5tupleIJNSF_6TensorESK_SK_EERKSK_lbbbEUlllE0_EEPmJS9_EEE10hipError_tPvRmT3_T4_T5_T6_T7_T9_mT8_P12ihipStream_tbDpT10_ENKUlT_T0_E_clISt17integral_constantIbLb0EES19_IbLb1EEEEDaS15_S16_EUlS15_E_NS1_11comp_targetILNS1_3genE10ELNS1_11target_archE1200ELNS1_3gpuE4ELNS1_3repE0EEENS1_30default_config_static_selectorELNS0_4arch9wavefront6targetE0EEEvT1_.uses_vcc, 0
	.set _ZN7rocprim17ROCPRIM_400000_NS6detail17trampoline_kernelINS0_14default_configENS1_25partition_config_selectorILNS1_17partition_subalgoE9EllbEEZZNS1_14partition_implILS5_9ELb0ES3_jPlS8_PNS0_10empty_typeENS0_5tupleIJS8_S9_EEENSB_IJS8_SA_EEENS0_18inequality_wrapperIZN2at6native12_GLOBAL__N_124unique_dim_cuda_templateIjEESt5tupleIJNSF_6TensorESK_SK_EERKSK_lbbbEUlllE0_EEPmJS9_EEE10hipError_tPvRmT3_T4_T5_T6_T7_T9_mT8_P12ihipStream_tbDpT10_ENKUlT_T0_E_clISt17integral_constantIbLb0EES19_IbLb1EEEEDaS15_S16_EUlS15_E_NS1_11comp_targetILNS1_3genE10ELNS1_11target_archE1200ELNS1_3gpuE4ELNS1_3repE0EEENS1_30default_config_static_selectorELNS0_4arch9wavefront6targetE0EEEvT1_.uses_flat_scratch, 0
	.set _ZN7rocprim17ROCPRIM_400000_NS6detail17trampoline_kernelINS0_14default_configENS1_25partition_config_selectorILNS1_17partition_subalgoE9EllbEEZZNS1_14partition_implILS5_9ELb0ES3_jPlS8_PNS0_10empty_typeENS0_5tupleIJS8_S9_EEENSB_IJS8_SA_EEENS0_18inequality_wrapperIZN2at6native12_GLOBAL__N_124unique_dim_cuda_templateIjEESt5tupleIJNSF_6TensorESK_SK_EERKSK_lbbbEUlllE0_EEPmJS9_EEE10hipError_tPvRmT3_T4_T5_T6_T7_T9_mT8_P12ihipStream_tbDpT10_ENKUlT_T0_E_clISt17integral_constantIbLb0EES19_IbLb1EEEEDaS15_S16_EUlS15_E_NS1_11comp_targetILNS1_3genE10ELNS1_11target_archE1200ELNS1_3gpuE4ELNS1_3repE0EEENS1_30default_config_static_selectorELNS0_4arch9wavefront6targetE0EEEvT1_.has_dyn_sized_stack, 0
	.set _ZN7rocprim17ROCPRIM_400000_NS6detail17trampoline_kernelINS0_14default_configENS1_25partition_config_selectorILNS1_17partition_subalgoE9EllbEEZZNS1_14partition_implILS5_9ELb0ES3_jPlS8_PNS0_10empty_typeENS0_5tupleIJS8_S9_EEENSB_IJS8_SA_EEENS0_18inequality_wrapperIZN2at6native12_GLOBAL__N_124unique_dim_cuda_templateIjEESt5tupleIJNSF_6TensorESK_SK_EERKSK_lbbbEUlllE0_EEPmJS9_EEE10hipError_tPvRmT3_T4_T5_T6_T7_T9_mT8_P12ihipStream_tbDpT10_ENKUlT_T0_E_clISt17integral_constantIbLb0EES19_IbLb1EEEEDaS15_S16_EUlS15_E_NS1_11comp_targetILNS1_3genE10ELNS1_11target_archE1200ELNS1_3gpuE4ELNS1_3repE0EEENS1_30default_config_static_selectorELNS0_4arch9wavefront6targetE0EEEvT1_.has_recursion, 0
	.set _ZN7rocprim17ROCPRIM_400000_NS6detail17trampoline_kernelINS0_14default_configENS1_25partition_config_selectorILNS1_17partition_subalgoE9EllbEEZZNS1_14partition_implILS5_9ELb0ES3_jPlS8_PNS0_10empty_typeENS0_5tupleIJS8_S9_EEENSB_IJS8_SA_EEENS0_18inequality_wrapperIZN2at6native12_GLOBAL__N_124unique_dim_cuda_templateIjEESt5tupleIJNSF_6TensorESK_SK_EERKSK_lbbbEUlllE0_EEPmJS9_EEE10hipError_tPvRmT3_T4_T5_T6_T7_T9_mT8_P12ihipStream_tbDpT10_ENKUlT_T0_E_clISt17integral_constantIbLb0EES19_IbLb1EEEEDaS15_S16_EUlS15_E_NS1_11comp_targetILNS1_3genE10ELNS1_11target_archE1200ELNS1_3gpuE4ELNS1_3repE0EEENS1_30default_config_static_selectorELNS0_4arch9wavefront6targetE0EEEvT1_.has_indirect_call, 0
	.section	.AMDGPU.csdata,"",@progbits
; Kernel info:
; codeLenInByte = 0
; TotalNumSgprs: 0
; NumVgprs: 0
; ScratchSize: 0
; MemoryBound: 0
; FloatMode: 240
; IeeeMode: 1
; LDSByteSize: 0 bytes/workgroup (compile time only)
; SGPRBlocks: 0
; VGPRBlocks: 0
; NumSGPRsForWavesPerEU: 1
; NumVGPRsForWavesPerEU: 1
; NamedBarCnt: 0
; Occupancy: 16
; WaveLimiterHint : 0
; COMPUTE_PGM_RSRC2:SCRATCH_EN: 0
; COMPUTE_PGM_RSRC2:USER_SGPR: 2
; COMPUTE_PGM_RSRC2:TRAP_HANDLER: 0
; COMPUTE_PGM_RSRC2:TGID_X_EN: 1
; COMPUTE_PGM_RSRC2:TGID_Y_EN: 0
; COMPUTE_PGM_RSRC2:TGID_Z_EN: 0
; COMPUTE_PGM_RSRC2:TIDIG_COMP_CNT: 0
	.section	.text._ZN7rocprim17ROCPRIM_400000_NS6detail17trampoline_kernelINS0_14default_configENS1_25partition_config_selectorILNS1_17partition_subalgoE9EllbEEZZNS1_14partition_implILS5_9ELb0ES3_jPlS8_PNS0_10empty_typeENS0_5tupleIJS8_S9_EEENSB_IJS8_SA_EEENS0_18inequality_wrapperIZN2at6native12_GLOBAL__N_124unique_dim_cuda_templateIjEESt5tupleIJNSF_6TensorESK_SK_EERKSK_lbbbEUlllE0_EEPmJS9_EEE10hipError_tPvRmT3_T4_T5_T6_T7_T9_mT8_P12ihipStream_tbDpT10_ENKUlT_T0_E_clISt17integral_constantIbLb0EES19_IbLb1EEEEDaS15_S16_EUlS15_E_NS1_11comp_targetILNS1_3genE9ELNS1_11target_archE1100ELNS1_3gpuE3ELNS1_3repE0EEENS1_30default_config_static_selectorELNS0_4arch9wavefront6targetE0EEEvT1_,"axG",@progbits,_ZN7rocprim17ROCPRIM_400000_NS6detail17trampoline_kernelINS0_14default_configENS1_25partition_config_selectorILNS1_17partition_subalgoE9EllbEEZZNS1_14partition_implILS5_9ELb0ES3_jPlS8_PNS0_10empty_typeENS0_5tupleIJS8_S9_EEENSB_IJS8_SA_EEENS0_18inequality_wrapperIZN2at6native12_GLOBAL__N_124unique_dim_cuda_templateIjEESt5tupleIJNSF_6TensorESK_SK_EERKSK_lbbbEUlllE0_EEPmJS9_EEE10hipError_tPvRmT3_T4_T5_T6_T7_T9_mT8_P12ihipStream_tbDpT10_ENKUlT_T0_E_clISt17integral_constantIbLb0EES19_IbLb1EEEEDaS15_S16_EUlS15_E_NS1_11comp_targetILNS1_3genE9ELNS1_11target_archE1100ELNS1_3gpuE3ELNS1_3repE0EEENS1_30default_config_static_selectorELNS0_4arch9wavefront6targetE0EEEvT1_,comdat
	.globl	_ZN7rocprim17ROCPRIM_400000_NS6detail17trampoline_kernelINS0_14default_configENS1_25partition_config_selectorILNS1_17partition_subalgoE9EllbEEZZNS1_14partition_implILS5_9ELb0ES3_jPlS8_PNS0_10empty_typeENS0_5tupleIJS8_S9_EEENSB_IJS8_SA_EEENS0_18inequality_wrapperIZN2at6native12_GLOBAL__N_124unique_dim_cuda_templateIjEESt5tupleIJNSF_6TensorESK_SK_EERKSK_lbbbEUlllE0_EEPmJS9_EEE10hipError_tPvRmT3_T4_T5_T6_T7_T9_mT8_P12ihipStream_tbDpT10_ENKUlT_T0_E_clISt17integral_constantIbLb0EES19_IbLb1EEEEDaS15_S16_EUlS15_E_NS1_11comp_targetILNS1_3genE9ELNS1_11target_archE1100ELNS1_3gpuE3ELNS1_3repE0EEENS1_30default_config_static_selectorELNS0_4arch9wavefront6targetE0EEEvT1_ ; -- Begin function _ZN7rocprim17ROCPRIM_400000_NS6detail17trampoline_kernelINS0_14default_configENS1_25partition_config_selectorILNS1_17partition_subalgoE9EllbEEZZNS1_14partition_implILS5_9ELb0ES3_jPlS8_PNS0_10empty_typeENS0_5tupleIJS8_S9_EEENSB_IJS8_SA_EEENS0_18inequality_wrapperIZN2at6native12_GLOBAL__N_124unique_dim_cuda_templateIjEESt5tupleIJNSF_6TensorESK_SK_EERKSK_lbbbEUlllE0_EEPmJS9_EEE10hipError_tPvRmT3_T4_T5_T6_T7_T9_mT8_P12ihipStream_tbDpT10_ENKUlT_T0_E_clISt17integral_constantIbLb0EES19_IbLb1EEEEDaS15_S16_EUlS15_E_NS1_11comp_targetILNS1_3genE9ELNS1_11target_archE1100ELNS1_3gpuE3ELNS1_3repE0EEENS1_30default_config_static_selectorELNS0_4arch9wavefront6targetE0EEEvT1_
	.p2align	8
	.type	_ZN7rocprim17ROCPRIM_400000_NS6detail17trampoline_kernelINS0_14default_configENS1_25partition_config_selectorILNS1_17partition_subalgoE9EllbEEZZNS1_14partition_implILS5_9ELb0ES3_jPlS8_PNS0_10empty_typeENS0_5tupleIJS8_S9_EEENSB_IJS8_SA_EEENS0_18inequality_wrapperIZN2at6native12_GLOBAL__N_124unique_dim_cuda_templateIjEESt5tupleIJNSF_6TensorESK_SK_EERKSK_lbbbEUlllE0_EEPmJS9_EEE10hipError_tPvRmT3_T4_T5_T6_T7_T9_mT8_P12ihipStream_tbDpT10_ENKUlT_T0_E_clISt17integral_constantIbLb0EES19_IbLb1EEEEDaS15_S16_EUlS15_E_NS1_11comp_targetILNS1_3genE9ELNS1_11target_archE1100ELNS1_3gpuE3ELNS1_3repE0EEENS1_30default_config_static_selectorELNS0_4arch9wavefront6targetE0EEEvT1_,@function
_ZN7rocprim17ROCPRIM_400000_NS6detail17trampoline_kernelINS0_14default_configENS1_25partition_config_selectorILNS1_17partition_subalgoE9EllbEEZZNS1_14partition_implILS5_9ELb0ES3_jPlS8_PNS0_10empty_typeENS0_5tupleIJS8_S9_EEENSB_IJS8_SA_EEENS0_18inequality_wrapperIZN2at6native12_GLOBAL__N_124unique_dim_cuda_templateIjEESt5tupleIJNSF_6TensorESK_SK_EERKSK_lbbbEUlllE0_EEPmJS9_EEE10hipError_tPvRmT3_T4_T5_T6_T7_T9_mT8_P12ihipStream_tbDpT10_ENKUlT_T0_E_clISt17integral_constantIbLb0EES19_IbLb1EEEEDaS15_S16_EUlS15_E_NS1_11comp_targetILNS1_3genE9ELNS1_11target_archE1100ELNS1_3gpuE3ELNS1_3repE0EEENS1_30default_config_static_selectorELNS0_4arch9wavefront6targetE0EEEvT1_: ; @_ZN7rocprim17ROCPRIM_400000_NS6detail17trampoline_kernelINS0_14default_configENS1_25partition_config_selectorILNS1_17partition_subalgoE9EllbEEZZNS1_14partition_implILS5_9ELb0ES3_jPlS8_PNS0_10empty_typeENS0_5tupleIJS8_S9_EEENSB_IJS8_SA_EEENS0_18inequality_wrapperIZN2at6native12_GLOBAL__N_124unique_dim_cuda_templateIjEESt5tupleIJNSF_6TensorESK_SK_EERKSK_lbbbEUlllE0_EEPmJS9_EEE10hipError_tPvRmT3_T4_T5_T6_T7_T9_mT8_P12ihipStream_tbDpT10_ENKUlT_T0_E_clISt17integral_constantIbLb0EES19_IbLb1EEEEDaS15_S16_EUlS15_E_NS1_11comp_targetILNS1_3genE9ELNS1_11target_archE1100ELNS1_3gpuE3ELNS1_3repE0EEENS1_30default_config_static_selectorELNS0_4arch9wavefront6targetE0EEEvT1_
; %bb.0:
	.section	.rodata,"a",@progbits
	.p2align	6, 0x0
	.amdhsa_kernel _ZN7rocprim17ROCPRIM_400000_NS6detail17trampoline_kernelINS0_14default_configENS1_25partition_config_selectorILNS1_17partition_subalgoE9EllbEEZZNS1_14partition_implILS5_9ELb0ES3_jPlS8_PNS0_10empty_typeENS0_5tupleIJS8_S9_EEENSB_IJS8_SA_EEENS0_18inequality_wrapperIZN2at6native12_GLOBAL__N_124unique_dim_cuda_templateIjEESt5tupleIJNSF_6TensorESK_SK_EERKSK_lbbbEUlllE0_EEPmJS9_EEE10hipError_tPvRmT3_T4_T5_T6_T7_T9_mT8_P12ihipStream_tbDpT10_ENKUlT_T0_E_clISt17integral_constantIbLb0EES19_IbLb1EEEEDaS15_S16_EUlS15_E_NS1_11comp_targetILNS1_3genE9ELNS1_11target_archE1100ELNS1_3gpuE3ELNS1_3repE0EEENS1_30default_config_static_selectorELNS0_4arch9wavefront6targetE0EEEvT1_
		.amdhsa_group_segment_fixed_size 0
		.amdhsa_private_segment_fixed_size 0
		.amdhsa_kernarg_size 136
		.amdhsa_user_sgpr_count 2
		.amdhsa_user_sgpr_dispatch_ptr 0
		.amdhsa_user_sgpr_queue_ptr 0
		.amdhsa_user_sgpr_kernarg_segment_ptr 1
		.amdhsa_user_sgpr_dispatch_id 0
		.amdhsa_user_sgpr_kernarg_preload_length 0
		.amdhsa_user_sgpr_kernarg_preload_offset 0
		.amdhsa_user_sgpr_private_segment_size 0
		.amdhsa_wavefront_size32 1
		.amdhsa_uses_dynamic_stack 0
		.amdhsa_enable_private_segment 0
		.amdhsa_system_sgpr_workgroup_id_x 1
		.amdhsa_system_sgpr_workgroup_id_y 0
		.amdhsa_system_sgpr_workgroup_id_z 0
		.amdhsa_system_sgpr_workgroup_info 0
		.amdhsa_system_vgpr_workitem_id 0
		.amdhsa_next_free_vgpr 1
		.amdhsa_next_free_sgpr 1
		.amdhsa_named_barrier_count 0
		.amdhsa_reserve_vcc 0
		.amdhsa_float_round_mode_32 0
		.amdhsa_float_round_mode_16_64 0
		.amdhsa_float_denorm_mode_32 3
		.amdhsa_float_denorm_mode_16_64 3
		.amdhsa_fp16_overflow 0
		.amdhsa_memory_ordered 1
		.amdhsa_forward_progress 1
		.amdhsa_inst_pref_size 0
		.amdhsa_round_robin_scheduling 0
		.amdhsa_exception_fp_ieee_invalid_op 0
		.amdhsa_exception_fp_denorm_src 0
		.amdhsa_exception_fp_ieee_div_zero 0
		.amdhsa_exception_fp_ieee_overflow 0
		.amdhsa_exception_fp_ieee_underflow 0
		.amdhsa_exception_fp_ieee_inexact 0
		.amdhsa_exception_int_div_zero 0
	.end_amdhsa_kernel
	.section	.text._ZN7rocprim17ROCPRIM_400000_NS6detail17trampoline_kernelINS0_14default_configENS1_25partition_config_selectorILNS1_17partition_subalgoE9EllbEEZZNS1_14partition_implILS5_9ELb0ES3_jPlS8_PNS0_10empty_typeENS0_5tupleIJS8_S9_EEENSB_IJS8_SA_EEENS0_18inequality_wrapperIZN2at6native12_GLOBAL__N_124unique_dim_cuda_templateIjEESt5tupleIJNSF_6TensorESK_SK_EERKSK_lbbbEUlllE0_EEPmJS9_EEE10hipError_tPvRmT3_T4_T5_T6_T7_T9_mT8_P12ihipStream_tbDpT10_ENKUlT_T0_E_clISt17integral_constantIbLb0EES19_IbLb1EEEEDaS15_S16_EUlS15_E_NS1_11comp_targetILNS1_3genE9ELNS1_11target_archE1100ELNS1_3gpuE3ELNS1_3repE0EEENS1_30default_config_static_selectorELNS0_4arch9wavefront6targetE0EEEvT1_,"axG",@progbits,_ZN7rocprim17ROCPRIM_400000_NS6detail17trampoline_kernelINS0_14default_configENS1_25partition_config_selectorILNS1_17partition_subalgoE9EllbEEZZNS1_14partition_implILS5_9ELb0ES3_jPlS8_PNS0_10empty_typeENS0_5tupleIJS8_S9_EEENSB_IJS8_SA_EEENS0_18inequality_wrapperIZN2at6native12_GLOBAL__N_124unique_dim_cuda_templateIjEESt5tupleIJNSF_6TensorESK_SK_EERKSK_lbbbEUlllE0_EEPmJS9_EEE10hipError_tPvRmT3_T4_T5_T6_T7_T9_mT8_P12ihipStream_tbDpT10_ENKUlT_T0_E_clISt17integral_constantIbLb0EES19_IbLb1EEEEDaS15_S16_EUlS15_E_NS1_11comp_targetILNS1_3genE9ELNS1_11target_archE1100ELNS1_3gpuE3ELNS1_3repE0EEENS1_30default_config_static_selectorELNS0_4arch9wavefront6targetE0EEEvT1_,comdat
.Lfunc_end1603:
	.size	_ZN7rocprim17ROCPRIM_400000_NS6detail17trampoline_kernelINS0_14default_configENS1_25partition_config_selectorILNS1_17partition_subalgoE9EllbEEZZNS1_14partition_implILS5_9ELb0ES3_jPlS8_PNS0_10empty_typeENS0_5tupleIJS8_S9_EEENSB_IJS8_SA_EEENS0_18inequality_wrapperIZN2at6native12_GLOBAL__N_124unique_dim_cuda_templateIjEESt5tupleIJNSF_6TensorESK_SK_EERKSK_lbbbEUlllE0_EEPmJS9_EEE10hipError_tPvRmT3_T4_T5_T6_T7_T9_mT8_P12ihipStream_tbDpT10_ENKUlT_T0_E_clISt17integral_constantIbLb0EES19_IbLb1EEEEDaS15_S16_EUlS15_E_NS1_11comp_targetILNS1_3genE9ELNS1_11target_archE1100ELNS1_3gpuE3ELNS1_3repE0EEENS1_30default_config_static_selectorELNS0_4arch9wavefront6targetE0EEEvT1_, .Lfunc_end1603-_ZN7rocprim17ROCPRIM_400000_NS6detail17trampoline_kernelINS0_14default_configENS1_25partition_config_selectorILNS1_17partition_subalgoE9EllbEEZZNS1_14partition_implILS5_9ELb0ES3_jPlS8_PNS0_10empty_typeENS0_5tupleIJS8_S9_EEENSB_IJS8_SA_EEENS0_18inequality_wrapperIZN2at6native12_GLOBAL__N_124unique_dim_cuda_templateIjEESt5tupleIJNSF_6TensorESK_SK_EERKSK_lbbbEUlllE0_EEPmJS9_EEE10hipError_tPvRmT3_T4_T5_T6_T7_T9_mT8_P12ihipStream_tbDpT10_ENKUlT_T0_E_clISt17integral_constantIbLb0EES19_IbLb1EEEEDaS15_S16_EUlS15_E_NS1_11comp_targetILNS1_3genE9ELNS1_11target_archE1100ELNS1_3gpuE3ELNS1_3repE0EEENS1_30default_config_static_selectorELNS0_4arch9wavefront6targetE0EEEvT1_
                                        ; -- End function
	.set _ZN7rocprim17ROCPRIM_400000_NS6detail17trampoline_kernelINS0_14default_configENS1_25partition_config_selectorILNS1_17partition_subalgoE9EllbEEZZNS1_14partition_implILS5_9ELb0ES3_jPlS8_PNS0_10empty_typeENS0_5tupleIJS8_S9_EEENSB_IJS8_SA_EEENS0_18inequality_wrapperIZN2at6native12_GLOBAL__N_124unique_dim_cuda_templateIjEESt5tupleIJNSF_6TensorESK_SK_EERKSK_lbbbEUlllE0_EEPmJS9_EEE10hipError_tPvRmT3_T4_T5_T6_T7_T9_mT8_P12ihipStream_tbDpT10_ENKUlT_T0_E_clISt17integral_constantIbLb0EES19_IbLb1EEEEDaS15_S16_EUlS15_E_NS1_11comp_targetILNS1_3genE9ELNS1_11target_archE1100ELNS1_3gpuE3ELNS1_3repE0EEENS1_30default_config_static_selectorELNS0_4arch9wavefront6targetE0EEEvT1_.num_vgpr, 0
	.set _ZN7rocprim17ROCPRIM_400000_NS6detail17trampoline_kernelINS0_14default_configENS1_25partition_config_selectorILNS1_17partition_subalgoE9EllbEEZZNS1_14partition_implILS5_9ELb0ES3_jPlS8_PNS0_10empty_typeENS0_5tupleIJS8_S9_EEENSB_IJS8_SA_EEENS0_18inequality_wrapperIZN2at6native12_GLOBAL__N_124unique_dim_cuda_templateIjEESt5tupleIJNSF_6TensorESK_SK_EERKSK_lbbbEUlllE0_EEPmJS9_EEE10hipError_tPvRmT3_T4_T5_T6_T7_T9_mT8_P12ihipStream_tbDpT10_ENKUlT_T0_E_clISt17integral_constantIbLb0EES19_IbLb1EEEEDaS15_S16_EUlS15_E_NS1_11comp_targetILNS1_3genE9ELNS1_11target_archE1100ELNS1_3gpuE3ELNS1_3repE0EEENS1_30default_config_static_selectorELNS0_4arch9wavefront6targetE0EEEvT1_.num_agpr, 0
	.set _ZN7rocprim17ROCPRIM_400000_NS6detail17trampoline_kernelINS0_14default_configENS1_25partition_config_selectorILNS1_17partition_subalgoE9EllbEEZZNS1_14partition_implILS5_9ELb0ES3_jPlS8_PNS0_10empty_typeENS0_5tupleIJS8_S9_EEENSB_IJS8_SA_EEENS0_18inequality_wrapperIZN2at6native12_GLOBAL__N_124unique_dim_cuda_templateIjEESt5tupleIJNSF_6TensorESK_SK_EERKSK_lbbbEUlllE0_EEPmJS9_EEE10hipError_tPvRmT3_T4_T5_T6_T7_T9_mT8_P12ihipStream_tbDpT10_ENKUlT_T0_E_clISt17integral_constantIbLb0EES19_IbLb1EEEEDaS15_S16_EUlS15_E_NS1_11comp_targetILNS1_3genE9ELNS1_11target_archE1100ELNS1_3gpuE3ELNS1_3repE0EEENS1_30default_config_static_selectorELNS0_4arch9wavefront6targetE0EEEvT1_.numbered_sgpr, 0
	.set _ZN7rocprim17ROCPRIM_400000_NS6detail17trampoline_kernelINS0_14default_configENS1_25partition_config_selectorILNS1_17partition_subalgoE9EllbEEZZNS1_14partition_implILS5_9ELb0ES3_jPlS8_PNS0_10empty_typeENS0_5tupleIJS8_S9_EEENSB_IJS8_SA_EEENS0_18inequality_wrapperIZN2at6native12_GLOBAL__N_124unique_dim_cuda_templateIjEESt5tupleIJNSF_6TensorESK_SK_EERKSK_lbbbEUlllE0_EEPmJS9_EEE10hipError_tPvRmT3_T4_T5_T6_T7_T9_mT8_P12ihipStream_tbDpT10_ENKUlT_T0_E_clISt17integral_constantIbLb0EES19_IbLb1EEEEDaS15_S16_EUlS15_E_NS1_11comp_targetILNS1_3genE9ELNS1_11target_archE1100ELNS1_3gpuE3ELNS1_3repE0EEENS1_30default_config_static_selectorELNS0_4arch9wavefront6targetE0EEEvT1_.num_named_barrier, 0
	.set _ZN7rocprim17ROCPRIM_400000_NS6detail17trampoline_kernelINS0_14default_configENS1_25partition_config_selectorILNS1_17partition_subalgoE9EllbEEZZNS1_14partition_implILS5_9ELb0ES3_jPlS8_PNS0_10empty_typeENS0_5tupleIJS8_S9_EEENSB_IJS8_SA_EEENS0_18inequality_wrapperIZN2at6native12_GLOBAL__N_124unique_dim_cuda_templateIjEESt5tupleIJNSF_6TensorESK_SK_EERKSK_lbbbEUlllE0_EEPmJS9_EEE10hipError_tPvRmT3_T4_T5_T6_T7_T9_mT8_P12ihipStream_tbDpT10_ENKUlT_T0_E_clISt17integral_constantIbLb0EES19_IbLb1EEEEDaS15_S16_EUlS15_E_NS1_11comp_targetILNS1_3genE9ELNS1_11target_archE1100ELNS1_3gpuE3ELNS1_3repE0EEENS1_30default_config_static_selectorELNS0_4arch9wavefront6targetE0EEEvT1_.private_seg_size, 0
	.set _ZN7rocprim17ROCPRIM_400000_NS6detail17trampoline_kernelINS0_14default_configENS1_25partition_config_selectorILNS1_17partition_subalgoE9EllbEEZZNS1_14partition_implILS5_9ELb0ES3_jPlS8_PNS0_10empty_typeENS0_5tupleIJS8_S9_EEENSB_IJS8_SA_EEENS0_18inequality_wrapperIZN2at6native12_GLOBAL__N_124unique_dim_cuda_templateIjEESt5tupleIJNSF_6TensorESK_SK_EERKSK_lbbbEUlllE0_EEPmJS9_EEE10hipError_tPvRmT3_T4_T5_T6_T7_T9_mT8_P12ihipStream_tbDpT10_ENKUlT_T0_E_clISt17integral_constantIbLb0EES19_IbLb1EEEEDaS15_S16_EUlS15_E_NS1_11comp_targetILNS1_3genE9ELNS1_11target_archE1100ELNS1_3gpuE3ELNS1_3repE0EEENS1_30default_config_static_selectorELNS0_4arch9wavefront6targetE0EEEvT1_.uses_vcc, 0
	.set _ZN7rocprim17ROCPRIM_400000_NS6detail17trampoline_kernelINS0_14default_configENS1_25partition_config_selectorILNS1_17partition_subalgoE9EllbEEZZNS1_14partition_implILS5_9ELb0ES3_jPlS8_PNS0_10empty_typeENS0_5tupleIJS8_S9_EEENSB_IJS8_SA_EEENS0_18inequality_wrapperIZN2at6native12_GLOBAL__N_124unique_dim_cuda_templateIjEESt5tupleIJNSF_6TensorESK_SK_EERKSK_lbbbEUlllE0_EEPmJS9_EEE10hipError_tPvRmT3_T4_T5_T6_T7_T9_mT8_P12ihipStream_tbDpT10_ENKUlT_T0_E_clISt17integral_constantIbLb0EES19_IbLb1EEEEDaS15_S16_EUlS15_E_NS1_11comp_targetILNS1_3genE9ELNS1_11target_archE1100ELNS1_3gpuE3ELNS1_3repE0EEENS1_30default_config_static_selectorELNS0_4arch9wavefront6targetE0EEEvT1_.uses_flat_scratch, 0
	.set _ZN7rocprim17ROCPRIM_400000_NS6detail17trampoline_kernelINS0_14default_configENS1_25partition_config_selectorILNS1_17partition_subalgoE9EllbEEZZNS1_14partition_implILS5_9ELb0ES3_jPlS8_PNS0_10empty_typeENS0_5tupleIJS8_S9_EEENSB_IJS8_SA_EEENS0_18inequality_wrapperIZN2at6native12_GLOBAL__N_124unique_dim_cuda_templateIjEESt5tupleIJNSF_6TensorESK_SK_EERKSK_lbbbEUlllE0_EEPmJS9_EEE10hipError_tPvRmT3_T4_T5_T6_T7_T9_mT8_P12ihipStream_tbDpT10_ENKUlT_T0_E_clISt17integral_constantIbLb0EES19_IbLb1EEEEDaS15_S16_EUlS15_E_NS1_11comp_targetILNS1_3genE9ELNS1_11target_archE1100ELNS1_3gpuE3ELNS1_3repE0EEENS1_30default_config_static_selectorELNS0_4arch9wavefront6targetE0EEEvT1_.has_dyn_sized_stack, 0
	.set _ZN7rocprim17ROCPRIM_400000_NS6detail17trampoline_kernelINS0_14default_configENS1_25partition_config_selectorILNS1_17partition_subalgoE9EllbEEZZNS1_14partition_implILS5_9ELb0ES3_jPlS8_PNS0_10empty_typeENS0_5tupleIJS8_S9_EEENSB_IJS8_SA_EEENS0_18inequality_wrapperIZN2at6native12_GLOBAL__N_124unique_dim_cuda_templateIjEESt5tupleIJNSF_6TensorESK_SK_EERKSK_lbbbEUlllE0_EEPmJS9_EEE10hipError_tPvRmT3_T4_T5_T6_T7_T9_mT8_P12ihipStream_tbDpT10_ENKUlT_T0_E_clISt17integral_constantIbLb0EES19_IbLb1EEEEDaS15_S16_EUlS15_E_NS1_11comp_targetILNS1_3genE9ELNS1_11target_archE1100ELNS1_3gpuE3ELNS1_3repE0EEENS1_30default_config_static_selectorELNS0_4arch9wavefront6targetE0EEEvT1_.has_recursion, 0
	.set _ZN7rocprim17ROCPRIM_400000_NS6detail17trampoline_kernelINS0_14default_configENS1_25partition_config_selectorILNS1_17partition_subalgoE9EllbEEZZNS1_14partition_implILS5_9ELb0ES3_jPlS8_PNS0_10empty_typeENS0_5tupleIJS8_S9_EEENSB_IJS8_SA_EEENS0_18inequality_wrapperIZN2at6native12_GLOBAL__N_124unique_dim_cuda_templateIjEESt5tupleIJNSF_6TensorESK_SK_EERKSK_lbbbEUlllE0_EEPmJS9_EEE10hipError_tPvRmT3_T4_T5_T6_T7_T9_mT8_P12ihipStream_tbDpT10_ENKUlT_T0_E_clISt17integral_constantIbLb0EES19_IbLb1EEEEDaS15_S16_EUlS15_E_NS1_11comp_targetILNS1_3genE9ELNS1_11target_archE1100ELNS1_3gpuE3ELNS1_3repE0EEENS1_30default_config_static_selectorELNS0_4arch9wavefront6targetE0EEEvT1_.has_indirect_call, 0
	.section	.AMDGPU.csdata,"",@progbits
; Kernel info:
; codeLenInByte = 0
; TotalNumSgprs: 0
; NumVgprs: 0
; ScratchSize: 0
; MemoryBound: 0
; FloatMode: 240
; IeeeMode: 1
; LDSByteSize: 0 bytes/workgroup (compile time only)
; SGPRBlocks: 0
; VGPRBlocks: 0
; NumSGPRsForWavesPerEU: 1
; NumVGPRsForWavesPerEU: 1
; NamedBarCnt: 0
; Occupancy: 16
; WaveLimiterHint : 0
; COMPUTE_PGM_RSRC2:SCRATCH_EN: 0
; COMPUTE_PGM_RSRC2:USER_SGPR: 2
; COMPUTE_PGM_RSRC2:TRAP_HANDLER: 0
; COMPUTE_PGM_RSRC2:TGID_X_EN: 1
; COMPUTE_PGM_RSRC2:TGID_Y_EN: 0
; COMPUTE_PGM_RSRC2:TGID_Z_EN: 0
; COMPUTE_PGM_RSRC2:TIDIG_COMP_CNT: 0
	.section	.text._ZN7rocprim17ROCPRIM_400000_NS6detail17trampoline_kernelINS0_14default_configENS1_25partition_config_selectorILNS1_17partition_subalgoE9EllbEEZZNS1_14partition_implILS5_9ELb0ES3_jPlS8_PNS0_10empty_typeENS0_5tupleIJS8_S9_EEENSB_IJS8_SA_EEENS0_18inequality_wrapperIZN2at6native12_GLOBAL__N_124unique_dim_cuda_templateIjEESt5tupleIJNSF_6TensorESK_SK_EERKSK_lbbbEUlllE0_EEPmJS9_EEE10hipError_tPvRmT3_T4_T5_T6_T7_T9_mT8_P12ihipStream_tbDpT10_ENKUlT_T0_E_clISt17integral_constantIbLb0EES19_IbLb1EEEEDaS15_S16_EUlS15_E_NS1_11comp_targetILNS1_3genE8ELNS1_11target_archE1030ELNS1_3gpuE2ELNS1_3repE0EEENS1_30default_config_static_selectorELNS0_4arch9wavefront6targetE0EEEvT1_,"axG",@progbits,_ZN7rocprim17ROCPRIM_400000_NS6detail17trampoline_kernelINS0_14default_configENS1_25partition_config_selectorILNS1_17partition_subalgoE9EllbEEZZNS1_14partition_implILS5_9ELb0ES3_jPlS8_PNS0_10empty_typeENS0_5tupleIJS8_S9_EEENSB_IJS8_SA_EEENS0_18inequality_wrapperIZN2at6native12_GLOBAL__N_124unique_dim_cuda_templateIjEESt5tupleIJNSF_6TensorESK_SK_EERKSK_lbbbEUlllE0_EEPmJS9_EEE10hipError_tPvRmT3_T4_T5_T6_T7_T9_mT8_P12ihipStream_tbDpT10_ENKUlT_T0_E_clISt17integral_constantIbLb0EES19_IbLb1EEEEDaS15_S16_EUlS15_E_NS1_11comp_targetILNS1_3genE8ELNS1_11target_archE1030ELNS1_3gpuE2ELNS1_3repE0EEENS1_30default_config_static_selectorELNS0_4arch9wavefront6targetE0EEEvT1_,comdat
	.globl	_ZN7rocprim17ROCPRIM_400000_NS6detail17trampoline_kernelINS0_14default_configENS1_25partition_config_selectorILNS1_17partition_subalgoE9EllbEEZZNS1_14partition_implILS5_9ELb0ES3_jPlS8_PNS0_10empty_typeENS0_5tupleIJS8_S9_EEENSB_IJS8_SA_EEENS0_18inequality_wrapperIZN2at6native12_GLOBAL__N_124unique_dim_cuda_templateIjEESt5tupleIJNSF_6TensorESK_SK_EERKSK_lbbbEUlllE0_EEPmJS9_EEE10hipError_tPvRmT3_T4_T5_T6_T7_T9_mT8_P12ihipStream_tbDpT10_ENKUlT_T0_E_clISt17integral_constantIbLb0EES19_IbLb1EEEEDaS15_S16_EUlS15_E_NS1_11comp_targetILNS1_3genE8ELNS1_11target_archE1030ELNS1_3gpuE2ELNS1_3repE0EEENS1_30default_config_static_selectorELNS0_4arch9wavefront6targetE0EEEvT1_ ; -- Begin function _ZN7rocprim17ROCPRIM_400000_NS6detail17trampoline_kernelINS0_14default_configENS1_25partition_config_selectorILNS1_17partition_subalgoE9EllbEEZZNS1_14partition_implILS5_9ELb0ES3_jPlS8_PNS0_10empty_typeENS0_5tupleIJS8_S9_EEENSB_IJS8_SA_EEENS0_18inequality_wrapperIZN2at6native12_GLOBAL__N_124unique_dim_cuda_templateIjEESt5tupleIJNSF_6TensorESK_SK_EERKSK_lbbbEUlllE0_EEPmJS9_EEE10hipError_tPvRmT3_T4_T5_T6_T7_T9_mT8_P12ihipStream_tbDpT10_ENKUlT_T0_E_clISt17integral_constantIbLb0EES19_IbLb1EEEEDaS15_S16_EUlS15_E_NS1_11comp_targetILNS1_3genE8ELNS1_11target_archE1030ELNS1_3gpuE2ELNS1_3repE0EEENS1_30default_config_static_selectorELNS0_4arch9wavefront6targetE0EEEvT1_
	.p2align	8
	.type	_ZN7rocprim17ROCPRIM_400000_NS6detail17trampoline_kernelINS0_14default_configENS1_25partition_config_selectorILNS1_17partition_subalgoE9EllbEEZZNS1_14partition_implILS5_9ELb0ES3_jPlS8_PNS0_10empty_typeENS0_5tupleIJS8_S9_EEENSB_IJS8_SA_EEENS0_18inequality_wrapperIZN2at6native12_GLOBAL__N_124unique_dim_cuda_templateIjEESt5tupleIJNSF_6TensorESK_SK_EERKSK_lbbbEUlllE0_EEPmJS9_EEE10hipError_tPvRmT3_T4_T5_T6_T7_T9_mT8_P12ihipStream_tbDpT10_ENKUlT_T0_E_clISt17integral_constantIbLb0EES19_IbLb1EEEEDaS15_S16_EUlS15_E_NS1_11comp_targetILNS1_3genE8ELNS1_11target_archE1030ELNS1_3gpuE2ELNS1_3repE0EEENS1_30default_config_static_selectorELNS0_4arch9wavefront6targetE0EEEvT1_,@function
_ZN7rocprim17ROCPRIM_400000_NS6detail17trampoline_kernelINS0_14default_configENS1_25partition_config_selectorILNS1_17partition_subalgoE9EllbEEZZNS1_14partition_implILS5_9ELb0ES3_jPlS8_PNS0_10empty_typeENS0_5tupleIJS8_S9_EEENSB_IJS8_SA_EEENS0_18inequality_wrapperIZN2at6native12_GLOBAL__N_124unique_dim_cuda_templateIjEESt5tupleIJNSF_6TensorESK_SK_EERKSK_lbbbEUlllE0_EEPmJS9_EEE10hipError_tPvRmT3_T4_T5_T6_T7_T9_mT8_P12ihipStream_tbDpT10_ENKUlT_T0_E_clISt17integral_constantIbLb0EES19_IbLb1EEEEDaS15_S16_EUlS15_E_NS1_11comp_targetILNS1_3genE8ELNS1_11target_archE1030ELNS1_3gpuE2ELNS1_3repE0EEENS1_30default_config_static_selectorELNS0_4arch9wavefront6targetE0EEEvT1_: ; @_ZN7rocprim17ROCPRIM_400000_NS6detail17trampoline_kernelINS0_14default_configENS1_25partition_config_selectorILNS1_17partition_subalgoE9EllbEEZZNS1_14partition_implILS5_9ELb0ES3_jPlS8_PNS0_10empty_typeENS0_5tupleIJS8_S9_EEENSB_IJS8_SA_EEENS0_18inequality_wrapperIZN2at6native12_GLOBAL__N_124unique_dim_cuda_templateIjEESt5tupleIJNSF_6TensorESK_SK_EERKSK_lbbbEUlllE0_EEPmJS9_EEE10hipError_tPvRmT3_T4_T5_T6_T7_T9_mT8_P12ihipStream_tbDpT10_ENKUlT_T0_E_clISt17integral_constantIbLb0EES19_IbLb1EEEEDaS15_S16_EUlS15_E_NS1_11comp_targetILNS1_3genE8ELNS1_11target_archE1030ELNS1_3gpuE2ELNS1_3repE0EEENS1_30default_config_static_selectorELNS0_4arch9wavefront6targetE0EEEvT1_
; %bb.0:
	.section	.rodata,"a",@progbits
	.p2align	6, 0x0
	.amdhsa_kernel _ZN7rocprim17ROCPRIM_400000_NS6detail17trampoline_kernelINS0_14default_configENS1_25partition_config_selectorILNS1_17partition_subalgoE9EllbEEZZNS1_14partition_implILS5_9ELb0ES3_jPlS8_PNS0_10empty_typeENS0_5tupleIJS8_S9_EEENSB_IJS8_SA_EEENS0_18inequality_wrapperIZN2at6native12_GLOBAL__N_124unique_dim_cuda_templateIjEESt5tupleIJNSF_6TensorESK_SK_EERKSK_lbbbEUlllE0_EEPmJS9_EEE10hipError_tPvRmT3_T4_T5_T6_T7_T9_mT8_P12ihipStream_tbDpT10_ENKUlT_T0_E_clISt17integral_constantIbLb0EES19_IbLb1EEEEDaS15_S16_EUlS15_E_NS1_11comp_targetILNS1_3genE8ELNS1_11target_archE1030ELNS1_3gpuE2ELNS1_3repE0EEENS1_30default_config_static_selectorELNS0_4arch9wavefront6targetE0EEEvT1_
		.amdhsa_group_segment_fixed_size 0
		.amdhsa_private_segment_fixed_size 0
		.amdhsa_kernarg_size 136
		.amdhsa_user_sgpr_count 2
		.amdhsa_user_sgpr_dispatch_ptr 0
		.amdhsa_user_sgpr_queue_ptr 0
		.amdhsa_user_sgpr_kernarg_segment_ptr 1
		.amdhsa_user_sgpr_dispatch_id 0
		.amdhsa_user_sgpr_kernarg_preload_length 0
		.amdhsa_user_sgpr_kernarg_preload_offset 0
		.amdhsa_user_sgpr_private_segment_size 0
		.amdhsa_wavefront_size32 1
		.amdhsa_uses_dynamic_stack 0
		.amdhsa_enable_private_segment 0
		.amdhsa_system_sgpr_workgroup_id_x 1
		.amdhsa_system_sgpr_workgroup_id_y 0
		.amdhsa_system_sgpr_workgroup_id_z 0
		.amdhsa_system_sgpr_workgroup_info 0
		.amdhsa_system_vgpr_workitem_id 0
		.amdhsa_next_free_vgpr 1
		.amdhsa_next_free_sgpr 1
		.amdhsa_named_barrier_count 0
		.amdhsa_reserve_vcc 0
		.amdhsa_float_round_mode_32 0
		.amdhsa_float_round_mode_16_64 0
		.amdhsa_float_denorm_mode_32 3
		.amdhsa_float_denorm_mode_16_64 3
		.amdhsa_fp16_overflow 0
		.amdhsa_memory_ordered 1
		.amdhsa_forward_progress 1
		.amdhsa_inst_pref_size 0
		.amdhsa_round_robin_scheduling 0
		.amdhsa_exception_fp_ieee_invalid_op 0
		.amdhsa_exception_fp_denorm_src 0
		.amdhsa_exception_fp_ieee_div_zero 0
		.amdhsa_exception_fp_ieee_overflow 0
		.amdhsa_exception_fp_ieee_underflow 0
		.amdhsa_exception_fp_ieee_inexact 0
		.amdhsa_exception_int_div_zero 0
	.end_amdhsa_kernel
	.section	.text._ZN7rocprim17ROCPRIM_400000_NS6detail17trampoline_kernelINS0_14default_configENS1_25partition_config_selectorILNS1_17partition_subalgoE9EllbEEZZNS1_14partition_implILS5_9ELb0ES3_jPlS8_PNS0_10empty_typeENS0_5tupleIJS8_S9_EEENSB_IJS8_SA_EEENS0_18inequality_wrapperIZN2at6native12_GLOBAL__N_124unique_dim_cuda_templateIjEESt5tupleIJNSF_6TensorESK_SK_EERKSK_lbbbEUlllE0_EEPmJS9_EEE10hipError_tPvRmT3_T4_T5_T6_T7_T9_mT8_P12ihipStream_tbDpT10_ENKUlT_T0_E_clISt17integral_constantIbLb0EES19_IbLb1EEEEDaS15_S16_EUlS15_E_NS1_11comp_targetILNS1_3genE8ELNS1_11target_archE1030ELNS1_3gpuE2ELNS1_3repE0EEENS1_30default_config_static_selectorELNS0_4arch9wavefront6targetE0EEEvT1_,"axG",@progbits,_ZN7rocprim17ROCPRIM_400000_NS6detail17trampoline_kernelINS0_14default_configENS1_25partition_config_selectorILNS1_17partition_subalgoE9EllbEEZZNS1_14partition_implILS5_9ELb0ES3_jPlS8_PNS0_10empty_typeENS0_5tupleIJS8_S9_EEENSB_IJS8_SA_EEENS0_18inequality_wrapperIZN2at6native12_GLOBAL__N_124unique_dim_cuda_templateIjEESt5tupleIJNSF_6TensorESK_SK_EERKSK_lbbbEUlllE0_EEPmJS9_EEE10hipError_tPvRmT3_T4_T5_T6_T7_T9_mT8_P12ihipStream_tbDpT10_ENKUlT_T0_E_clISt17integral_constantIbLb0EES19_IbLb1EEEEDaS15_S16_EUlS15_E_NS1_11comp_targetILNS1_3genE8ELNS1_11target_archE1030ELNS1_3gpuE2ELNS1_3repE0EEENS1_30default_config_static_selectorELNS0_4arch9wavefront6targetE0EEEvT1_,comdat
.Lfunc_end1604:
	.size	_ZN7rocprim17ROCPRIM_400000_NS6detail17trampoline_kernelINS0_14default_configENS1_25partition_config_selectorILNS1_17partition_subalgoE9EllbEEZZNS1_14partition_implILS5_9ELb0ES3_jPlS8_PNS0_10empty_typeENS0_5tupleIJS8_S9_EEENSB_IJS8_SA_EEENS0_18inequality_wrapperIZN2at6native12_GLOBAL__N_124unique_dim_cuda_templateIjEESt5tupleIJNSF_6TensorESK_SK_EERKSK_lbbbEUlllE0_EEPmJS9_EEE10hipError_tPvRmT3_T4_T5_T6_T7_T9_mT8_P12ihipStream_tbDpT10_ENKUlT_T0_E_clISt17integral_constantIbLb0EES19_IbLb1EEEEDaS15_S16_EUlS15_E_NS1_11comp_targetILNS1_3genE8ELNS1_11target_archE1030ELNS1_3gpuE2ELNS1_3repE0EEENS1_30default_config_static_selectorELNS0_4arch9wavefront6targetE0EEEvT1_, .Lfunc_end1604-_ZN7rocprim17ROCPRIM_400000_NS6detail17trampoline_kernelINS0_14default_configENS1_25partition_config_selectorILNS1_17partition_subalgoE9EllbEEZZNS1_14partition_implILS5_9ELb0ES3_jPlS8_PNS0_10empty_typeENS0_5tupleIJS8_S9_EEENSB_IJS8_SA_EEENS0_18inequality_wrapperIZN2at6native12_GLOBAL__N_124unique_dim_cuda_templateIjEESt5tupleIJNSF_6TensorESK_SK_EERKSK_lbbbEUlllE0_EEPmJS9_EEE10hipError_tPvRmT3_T4_T5_T6_T7_T9_mT8_P12ihipStream_tbDpT10_ENKUlT_T0_E_clISt17integral_constantIbLb0EES19_IbLb1EEEEDaS15_S16_EUlS15_E_NS1_11comp_targetILNS1_3genE8ELNS1_11target_archE1030ELNS1_3gpuE2ELNS1_3repE0EEENS1_30default_config_static_selectorELNS0_4arch9wavefront6targetE0EEEvT1_
                                        ; -- End function
	.set _ZN7rocprim17ROCPRIM_400000_NS6detail17trampoline_kernelINS0_14default_configENS1_25partition_config_selectorILNS1_17partition_subalgoE9EllbEEZZNS1_14partition_implILS5_9ELb0ES3_jPlS8_PNS0_10empty_typeENS0_5tupleIJS8_S9_EEENSB_IJS8_SA_EEENS0_18inequality_wrapperIZN2at6native12_GLOBAL__N_124unique_dim_cuda_templateIjEESt5tupleIJNSF_6TensorESK_SK_EERKSK_lbbbEUlllE0_EEPmJS9_EEE10hipError_tPvRmT3_T4_T5_T6_T7_T9_mT8_P12ihipStream_tbDpT10_ENKUlT_T0_E_clISt17integral_constantIbLb0EES19_IbLb1EEEEDaS15_S16_EUlS15_E_NS1_11comp_targetILNS1_3genE8ELNS1_11target_archE1030ELNS1_3gpuE2ELNS1_3repE0EEENS1_30default_config_static_selectorELNS0_4arch9wavefront6targetE0EEEvT1_.num_vgpr, 0
	.set _ZN7rocprim17ROCPRIM_400000_NS6detail17trampoline_kernelINS0_14default_configENS1_25partition_config_selectorILNS1_17partition_subalgoE9EllbEEZZNS1_14partition_implILS5_9ELb0ES3_jPlS8_PNS0_10empty_typeENS0_5tupleIJS8_S9_EEENSB_IJS8_SA_EEENS0_18inequality_wrapperIZN2at6native12_GLOBAL__N_124unique_dim_cuda_templateIjEESt5tupleIJNSF_6TensorESK_SK_EERKSK_lbbbEUlllE0_EEPmJS9_EEE10hipError_tPvRmT3_T4_T5_T6_T7_T9_mT8_P12ihipStream_tbDpT10_ENKUlT_T0_E_clISt17integral_constantIbLb0EES19_IbLb1EEEEDaS15_S16_EUlS15_E_NS1_11comp_targetILNS1_3genE8ELNS1_11target_archE1030ELNS1_3gpuE2ELNS1_3repE0EEENS1_30default_config_static_selectorELNS0_4arch9wavefront6targetE0EEEvT1_.num_agpr, 0
	.set _ZN7rocprim17ROCPRIM_400000_NS6detail17trampoline_kernelINS0_14default_configENS1_25partition_config_selectorILNS1_17partition_subalgoE9EllbEEZZNS1_14partition_implILS5_9ELb0ES3_jPlS8_PNS0_10empty_typeENS0_5tupleIJS8_S9_EEENSB_IJS8_SA_EEENS0_18inequality_wrapperIZN2at6native12_GLOBAL__N_124unique_dim_cuda_templateIjEESt5tupleIJNSF_6TensorESK_SK_EERKSK_lbbbEUlllE0_EEPmJS9_EEE10hipError_tPvRmT3_T4_T5_T6_T7_T9_mT8_P12ihipStream_tbDpT10_ENKUlT_T0_E_clISt17integral_constantIbLb0EES19_IbLb1EEEEDaS15_S16_EUlS15_E_NS1_11comp_targetILNS1_3genE8ELNS1_11target_archE1030ELNS1_3gpuE2ELNS1_3repE0EEENS1_30default_config_static_selectorELNS0_4arch9wavefront6targetE0EEEvT1_.numbered_sgpr, 0
	.set _ZN7rocprim17ROCPRIM_400000_NS6detail17trampoline_kernelINS0_14default_configENS1_25partition_config_selectorILNS1_17partition_subalgoE9EllbEEZZNS1_14partition_implILS5_9ELb0ES3_jPlS8_PNS0_10empty_typeENS0_5tupleIJS8_S9_EEENSB_IJS8_SA_EEENS0_18inequality_wrapperIZN2at6native12_GLOBAL__N_124unique_dim_cuda_templateIjEESt5tupleIJNSF_6TensorESK_SK_EERKSK_lbbbEUlllE0_EEPmJS9_EEE10hipError_tPvRmT3_T4_T5_T6_T7_T9_mT8_P12ihipStream_tbDpT10_ENKUlT_T0_E_clISt17integral_constantIbLb0EES19_IbLb1EEEEDaS15_S16_EUlS15_E_NS1_11comp_targetILNS1_3genE8ELNS1_11target_archE1030ELNS1_3gpuE2ELNS1_3repE0EEENS1_30default_config_static_selectorELNS0_4arch9wavefront6targetE0EEEvT1_.num_named_barrier, 0
	.set _ZN7rocprim17ROCPRIM_400000_NS6detail17trampoline_kernelINS0_14default_configENS1_25partition_config_selectorILNS1_17partition_subalgoE9EllbEEZZNS1_14partition_implILS5_9ELb0ES3_jPlS8_PNS0_10empty_typeENS0_5tupleIJS8_S9_EEENSB_IJS8_SA_EEENS0_18inequality_wrapperIZN2at6native12_GLOBAL__N_124unique_dim_cuda_templateIjEESt5tupleIJNSF_6TensorESK_SK_EERKSK_lbbbEUlllE0_EEPmJS9_EEE10hipError_tPvRmT3_T4_T5_T6_T7_T9_mT8_P12ihipStream_tbDpT10_ENKUlT_T0_E_clISt17integral_constantIbLb0EES19_IbLb1EEEEDaS15_S16_EUlS15_E_NS1_11comp_targetILNS1_3genE8ELNS1_11target_archE1030ELNS1_3gpuE2ELNS1_3repE0EEENS1_30default_config_static_selectorELNS0_4arch9wavefront6targetE0EEEvT1_.private_seg_size, 0
	.set _ZN7rocprim17ROCPRIM_400000_NS6detail17trampoline_kernelINS0_14default_configENS1_25partition_config_selectorILNS1_17partition_subalgoE9EllbEEZZNS1_14partition_implILS5_9ELb0ES3_jPlS8_PNS0_10empty_typeENS0_5tupleIJS8_S9_EEENSB_IJS8_SA_EEENS0_18inequality_wrapperIZN2at6native12_GLOBAL__N_124unique_dim_cuda_templateIjEESt5tupleIJNSF_6TensorESK_SK_EERKSK_lbbbEUlllE0_EEPmJS9_EEE10hipError_tPvRmT3_T4_T5_T6_T7_T9_mT8_P12ihipStream_tbDpT10_ENKUlT_T0_E_clISt17integral_constantIbLb0EES19_IbLb1EEEEDaS15_S16_EUlS15_E_NS1_11comp_targetILNS1_3genE8ELNS1_11target_archE1030ELNS1_3gpuE2ELNS1_3repE0EEENS1_30default_config_static_selectorELNS0_4arch9wavefront6targetE0EEEvT1_.uses_vcc, 0
	.set _ZN7rocprim17ROCPRIM_400000_NS6detail17trampoline_kernelINS0_14default_configENS1_25partition_config_selectorILNS1_17partition_subalgoE9EllbEEZZNS1_14partition_implILS5_9ELb0ES3_jPlS8_PNS0_10empty_typeENS0_5tupleIJS8_S9_EEENSB_IJS8_SA_EEENS0_18inequality_wrapperIZN2at6native12_GLOBAL__N_124unique_dim_cuda_templateIjEESt5tupleIJNSF_6TensorESK_SK_EERKSK_lbbbEUlllE0_EEPmJS9_EEE10hipError_tPvRmT3_T4_T5_T6_T7_T9_mT8_P12ihipStream_tbDpT10_ENKUlT_T0_E_clISt17integral_constantIbLb0EES19_IbLb1EEEEDaS15_S16_EUlS15_E_NS1_11comp_targetILNS1_3genE8ELNS1_11target_archE1030ELNS1_3gpuE2ELNS1_3repE0EEENS1_30default_config_static_selectorELNS0_4arch9wavefront6targetE0EEEvT1_.uses_flat_scratch, 0
	.set _ZN7rocprim17ROCPRIM_400000_NS6detail17trampoline_kernelINS0_14default_configENS1_25partition_config_selectorILNS1_17partition_subalgoE9EllbEEZZNS1_14partition_implILS5_9ELb0ES3_jPlS8_PNS0_10empty_typeENS0_5tupleIJS8_S9_EEENSB_IJS8_SA_EEENS0_18inequality_wrapperIZN2at6native12_GLOBAL__N_124unique_dim_cuda_templateIjEESt5tupleIJNSF_6TensorESK_SK_EERKSK_lbbbEUlllE0_EEPmJS9_EEE10hipError_tPvRmT3_T4_T5_T6_T7_T9_mT8_P12ihipStream_tbDpT10_ENKUlT_T0_E_clISt17integral_constantIbLb0EES19_IbLb1EEEEDaS15_S16_EUlS15_E_NS1_11comp_targetILNS1_3genE8ELNS1_11target_archE1030ELNS1_3gpuE2ELNS1_3repE0EEENS1_30default_config_static_selectorELNS0_4arch9wavefront6targetE0EEEvT1_.has_dyn_sized_stack, 0
	.set _ZN7rocprim17ROCPRIM_400000_NS6detail17trampoline_kernelINS0_14default_configENS1_25partition_config_selectorILNS1_17partition_subalgoE9EllbEEZZNS1_14partition_implILS5_9ELb0ES3_jPlS8_PNS0_10empty_typeENS0_5tupleIJS8_S9_EEENSB_IJS8_SA_EEENS0_18inequality_wrapperIZN2at6native12_GLOBAL__N_124unique_dim_cuda_templateIjEESt5tupleIJNSF_6TensorESK_SK_EERKSK_lbbbEUlllE0_EEPmJS9_EEE10hipError_tPvRmT3_T4_T5_T6_T7_T9_mT8_P12ihipStream_tbDpT10_ENKUlT_T0_E_clISt17integral_constantIbLb0EES19_IbLb1EEEEDaS15_S16_EUlS15_E_NS1_11comp_targetILNS1_3genE8ELNS1_11target_archE1030ELNS1_3gpuE2ELNS1_3repE0EEENS1_30default_config_static_selectorELNS0_4arch9wavefront6targetE0EEEvT1_.has_recursion, 0
	.set _ZN7rocprim17ROCPRIM_400000_NS6detail17trampoline_kernelINS0_14default_configENS1_25partition_config_selectorILNS1_17partition_subalgoE9EllbEEZZNS1_14partition_implILS5_9ELb0ES3_jPlS8_PNS0_10empty_typeENS0_5tupleIJS8_S9_EEENSB_IJS8_SA_EEENS0_18inequality_wrapperIZN2at6native12_GLOBAL__N_124unique_dim_cuda_templateIjEESt5tupleIJNSF_6TensorESK_SK_EERKSK_lbbbEUlllE0_EEPmJS9_EEE10hipError_tPvRmT3_T4_T5_T6_T7_T9_mT8_P12ihipStream_tbDpT10_ENKUlT_T0_E_clISt17integral_constantIbLb0EES19_IbLb1EEEEDaS15_S16_EUlS15_E_NS1_11comp_targetILNS1_3genE8ELNS1_11target_archE1030ELNS1_3gpuE2ELNS1_3repE0EEENS1_30default_config_static_selectorELNS0_4arch9wavefront6targetE0EEEvT1_.has_indirect_call, 0
	.section	.AMDGPU.csdata,"",@progbits
; Kernel info:
; codeLenInByte = 0
; TotalNumSgprs: 0
; NumVgprs: 0
; ScratchSize: 0
; MemoryBound: 0
; FloatMode: 240
; IeeeMode: 1
; LDSByteSize: 0 bytes/workgroup (compile time only)
; SGPRBlocks: 0
; VGPRBlocks: 0
; NumSGPRsForWavesPerEU: 1
; NumVGPRsForWavesPerEU: 1
; NamedBarCnt: 0
; Occupancy: 16
; WaveLimiterHint : 0
; COMPUTE_PGM_RSRC2:SCRATCH_EN: 0
; COMPUTE_PGM_RSRC2:USER_SGPR: 2
; COMPUTE_PGM_RSRC2:TRAP_HANDLER: 0
; COMPUTE_PGM_RSRC2:TGID_X_EN: 1
; COMPUTE_PGM_RSRC2:TGID_Y_EN: 0
; COMPUTE_PGM_RSRC2:TGID_Z_EN: 0
; COMPUTE_PGM_RSRC2:TIDIG_COMP_CNT: 0
	.section	.text._ZN7rocprim17ROCPRIM_400000_NS6detail17trampoline_kernelINS0_14default_configENS1_37merge_sort_block_sort_config_selectorIlNS0_10empty_typeEEEZNS1_21merge_sort_block_sortIS3_PlS8_PS5_S9_ZN2at6native12_GLOBAL__N_124unique_dim_cuda_templateImEESt5tupleIJNSA_6TensorESF_SF_EERKSF_lbbbEUlllE_EE10hipError_tT0_T1_T2_T3_mRjT4_P12ihipStream_tbNS1_7vsmem_tEEUlT_E_NS1_11comp_targetILNS1_3genE0ELNS1_11target_archE4294967295ELNS1_3gpuE0ELNS1_3repE0EEENS1_30default_config_static_selectorELNS0_4arch9wavefront6targetE0EEEvSM_,"axG",@progbits,_ZN7rocprim17ROCPRIM_400000_NS6detail17trampoline_kernelINS0_14default_configENS1_37merge_sort_block_sort_config_selectorIlNS0_10empty_typeEEEZNS1_21merge_sort_block_sortIS3_PlS8_PS5_S9_ZN2at6native12_GLOBAL__N_124unique_dim_cuda_templateImEESt5tupleIJNSA_6TensorESF_SF_EERKSF_lbbbEUlllE_EE10hipError_tT0_T1_T2_T3_mRjT4_P12ihipStream_tbNS1_7vsmem_tEEUlT_E_NS1_11comp_targetILNS1_3genE0ELNS1_11target_archE4294967295ELNS1_3gpuE0ELNS1_3repE0EEENS1_30default_config_static_selectorELNS0_4arch9wavefront6targetE0EEEvSM_,comdat
	.globl	_ZN7rocprim17ROCPRIM_400000_NS6detail17trampoline_kernelINS0_14default_configENS1_37merge_sort_block_sort_config_selectorIlNS0_10empty_typeEEEZNS1_21merge_sort_block_sortIS3_PlS8_PS5_S9_ZN2at6native12_GLOBAL__N_124unique_dim_cuda_templateImEESt5tupleIJNSA_6TensorESF_SF_EERKSF_lbbbEUlllE_EE10hipError_tT0_T1_T2_T3_mRjT4_P12ihipStream_tbNS1_7vsmem_tEEUlT_E_NS1_11comp_targetILNS1_3genE0ELNS1_11target_archE4294967295ELNS1_3gpuE0ELNS1_3repE0EEENS1_30default_config_static_selectorELNS0_4arch9wavefront6targetE0EEEvSM_ ; -- Begin function _ZN7rocprim17ROCPRIM_400000_NS6detail17trampoline_kernelINS0_14default_configENS1_37merge_sort_block_sort_config_selectorIlNS0_10empty_typeEEEZNS1_21merge_sort_block_sortIS3_PlS8_PS5_S9_ZN2at6native12_GLOBAL__N_124unique_dim_cuda_templateImEESt5tupleIJNSA_6TensorESF_SF_EERKSF_lbbbEUlllE_EE10hipError_tT0_T1_T2_T3_mRjT4_P12ihipStream_tbNS1_7vsmem_tEEUlT_E_NS1_11comp_targetILNS1_3genE0ELNS1_11target_archE4294967295ELNS1_3gpuE0ELNS1_3repE0EEENS1_30default_config_static_selectorELNS0_4arch9wavefront6targetE0EEEvSM_
	.p2align	8
	.type	_ZN7rocprim17ROCPRIM_400000_NS6detail17trampoline_kernelINS0_14default_configENS1_37merge_sort_block_sort_config_selectorIlNS0_10empty_typeEEEZNS1_21merge_sort_block_sortIS3_PlS8_PS5_S9_ZN2at6native12_GLOBAL__N_124unique_dim_cuda_templateImEESt5tupleIJNSA_6TensorESF_SF_EERKSF_lbbbEUlllE_EE10hipError_tT0_T1_T2_T3_mRjT4_P12ihipStream_tbNS1_7vsmem_tEEUlT_E_NS1_11comp_targetILNS1_3genE0ELNS1_11target_archE4294967295ELNS1_3gpuE0ELNS1_3repE0EEENS1_30default_config_static_selectorELNS0_4arch9wavefront6targetE0EEEvSM_,@function
_ZN7rocprim17ROCPRIM_400000_NS6detail17trampoline_kernelINS0_14default_configENS1_37merge_sort_block_sort_config_selectorIlNS0_10empty_typeEEEZNS1_21merge_sort_block_sortIS3_PlS8_PS5_S9_ZN2at6native12_GLOBAL__N_124unique_dim_cuda_templateImEESt5tupleIJNSA_6TensorESF_SF_EERKSF_lbbbEUlllE_EE10hipError_tT0_T1_T2_T3_mRjT4_P12ihipStream_tbNS1_7vsmem_tEEUlT_E_NS1_11comp_targetILNS1_3genE0ELNS1_11target_archE4294967295ELNS1_3gpuE0ELNS1_3repE0EEENS1_30default_config_static_selectorELNS0_4arch9wavefront6targetE0EEEvSM_: ; @_ZN7rocprim17ROCPRIM_400000_NS6detail17trampoline_kernelINS0_14default_configENS1_37merge_sort_block_sort_config_selectorIlNS0_10empty_typeEEEZNS1_21merge_sort_block_sortIS3_PlS8_PS5_S9_ZN2at6native12_GLOBAL__N_124unique_dim_cuda_templateImEESt5tupleIJNSA_6TensorESF_SF_EERKSF_lbbbEUlllE_EE10hipError_tT0_T1_T2_T3_mRjT4_P12ihipStream_tbNS1_7vsmem_tEEUlT_E_NS1_11comp_targetILNS1_3genE0ELNS1_11target_archE4294967295ELNS1_3gpuE0ELNS1_3repE0EEENS1_30default_config_static_selectorELNS0_4arch9wavefront6targetE0EEEvSM_
; %bb.0:
	s_clause 0x1
	s_load_b32 s4, s[0:1], 0x0
	s_load_b64 s[8:9], s[0:1], 0x48
	s_bfe_u32 s2, ttmp6, 0x40010
	s_and_b32 s3, ttmp7, 0xffff
	s_add_co_i32 s2, s2, 1
	s_bfe_u32 s6, ttmp6, 0x4000c
	s_mul_i32 s2, s3, s2
	s_bfe_u32 s5, ttmp6, 0x40004
	s_add_co_i32 s6, s6, 1
	s_bfe_u32 s7, ttmp6, 0x40014
	s_add_co_i32 s5, s5, s2
	s_and_b32 s2, ttmp6, 15
	s_mul_i32 s6, ttmp9, s6
	s_lshr_b32 s10, ttmp7, 16
	s_add_co_i32 s7, s7, 1
	s_add_co_i32 s2, s2, s6
	s_mul_i32 s6, s10, s7
	s_bfe_u32 s7, ttmp6, 0x40008
	s_getreg_b32 s11, hwreg(HW_REG_IB_STS2, 6, 4)
	s_add_co_i32 s7, s7, s6
	s_cmp_eq_u32 s11, 0
	s_cselect_b32 s6, s10, s7
	s_cselect_b32 s3, s3, s5
	s_wait_kmcnt 0x0
	s_mul_i32 s6, s9, s6
	s_cselect_b32 s9, ttmp9, s2
	s_add_co_i32 s2, s6, s3
	s_mov_b32 s3, 0
	s_mul_i32 s2, s2, s8
	s_delay_alu instid0(SALU_CYCLE_1) | instskip(NEXT) | instid1(SALU_CYCLE_1)
	s_add_co_i32 s2, s2, s9
	s_cmp_ge_u32 s2, s4
	s_cbranch_scc1 .LBB1605_1486
; %bb.1:
	s_clause 0x2
	s_load_b64 s[4:5], s[0:1], 0x8
	s_load_b128 s[12:15], s[0:1], 0x18
	s_load_b128 s[16:19], s[0:1], 0x38
	v_and_b32_e32 v18, 0x3ff, v0
	s_add_nc_u64 s[10:11], s[0:1], 0x48
	s_wait_xcnt 0x0
	s_lshl_b64 s[0:1], s[2:3], 14
	s_wait_kmcnt 0x0
	s_lshr_b64 s[6:7], s[4:5], 11
	s_add_nc_u64 s[12:13], s[12:13], s[0:1]
	s_cmp_lg_u64 s[6:7], s[2:3]
	s_add_nc_u64 s[20:21], s[14:15], s[0:1]
	s_cbranch_scc0 .LBB1605_8
; %bb.2:
	s_clause 0x7
	global_load_b64 v[2:3], v18, s[12:13] scale_offset
	global_load_b64 v[4:5], v18, s[12:13] offset:2048 scale_offset
	global_load_b64 v[6:7], v18, s[12:13] offset:4096 scale_offset
	;; [unrolled: 1-line block ×7, first 2 shown]
	v_dual_lshrrev_b32 v19, 2, v18 :: v_dual_lshlrev_b32 v1, 3, v18
	v_add_nc_u32_e32 v20, 0x100, v18
	v_add_nc_u32_e32 v21, 0x200, v18
	;; [unrolled: 1-line block ×3, first 2 shown]
	v_or_b32_e32 v23, 0x400, v18
	v_add_nc_u32_e32 v24, 0x500, v18
	v_add_nc_u32_e32 v25, 0x600, v18
	;; [unrolled: 1-line block ×3, first 2 shown]
	v_dual_lshlrev_b32 v27, 1, v18 :: v_dual_lshrrev_b32 v20, 2, v20
	v_and_b32_e32 v19, 0xf8, v19
	v_dual_lshrrev_b32 v21, 2, v21 :: v_dual_lshrrev_b32 v22, 2, v22
	v_dual_lshrrev_b32 v23, 2, v23 :: v_dual_lshrrev_b32 v24, 2, v24
	v_dual_lshrrev_b32 v25, 2, v25 :: v_dual_lshrrev_b32 v26, 2, v26
	v_and_b32_e32 v27, 0x7f8, v27
	v_add_nc_u32_e32 v36, v19, v1
	v_and_b32_e32 v19, 0x1f8, v20
	v_and_b32_e32 v20, 0x1f8, v21
	;; [unrolled: 1-line block ×7, first 2 shown]
	v_lshl_add_u32 v44, v18, 6, v27
	v_dual_add_nc_u32 v37, v19, v1 :: v_dual_add_nc_u32 v38, v20, v1
	v_add_nc_u32_e32 v39, v21, v1
	s_cmp_lt_u32 s9, s8
	v_dual_add_nc_u32 v40, v22, v1 :: v_dual_add_nc_u32 v41, v23, v1
	v_dual_add_nc_u32 v42, v24, v1 :: v_dual_add_nc_u32 v43, v25, v1
	s_mov_b32 s1, 0
	s_cselect_b32 s0, 12, 18
	v_bfe_u32 v19, v0, 10, 10
	s_add_nc_u64 s[0:1], s[10:11], s[0:1]
	v_bfe_u32 v20, v0, 20, 10
	v_cmp_gt_i64_e64 s14, s[16:17], 0
	s_wait_loadcnt 0x7
	ds_store_b64 v36, v[2:3]
	s_wait_loadcnt 0x6
	ds_store_b64 v37, v[4:5] offset:2048
	s_wait_loadcnt 0x5
	ds_store_b64 v38, v[6:7] offset:4096
	;; [unrolled: 2-line block ×7, first 2 shown]
	s_wait_dscnt 0x0
	s_barrier_signal -1
	s_barrier_wait -1
	ds_load_2addr_b64 v[14:17], v44 offset1:1
	ds_load_2addr_b64 v[10:13], v44 offset0:2 offset1:3
	ds_load_2addr_b64 v[6:9], v44 offset0:4 offset1:5
	;; [unrolled: 1-line block ×3, first 2 shown]
	s_wait_dscnt 0x0
	s_barrier_signal -1
	s_barrier_wait -1
	s_load_u16 s5, s[10:11], 0xe
	v_cndmask_b32_e64 v45, 0, 1, s14
	s_load_u16 s0, s[0:1], 0x0
	s_wait_kmcnt 0x0
	v_mad_u32_u24 v19, v20, s5, v19
	s_mov_b32 s5, exec_lo
	s_delay_alu instid0(VALU_DEP_1) | instskip(NEXT) | instid1(VALU_DEP_1)
	v_mul_lo_u32 v19, v19, s0
	v_add_lshl_u32 v24, v19, v18, 3
	v_mov_b32_e32 v19, 0
	s_delay_alu instid0(VALU_DEP_2)
	v_cmpx_gt_u32_e32 0x800, v24
	s_cbranch_execz .LBB1605_188
; %bb.3:
	s_and_not1_b32 vcc_lo, exec_lo, s14
	s_cbranch_vccnz .LBB1605_18
; %bb.4:
	v_mul_u64_e32 v[20:21], s[16:17], v[16:17]
	v_mul_u64_e32 v[22:23], s[16:17], v[14:15]
	s_mov_b32 s22, 0
	s_mov_b64 s[6:7], s[16:17]
                                        ; implicit-def: $sgpr15
                                        ; implicit-def: $sgpr23
                                        ; implicit-def: $sgpr25
                                        ; implicit-def: $sgpr24
                                        ; implicit-def: $sgpr26
	s_delay_alu instid0(VALU_DEP_2) | instskip(NEXT) | instid1(VALU_DEP_2)
	v_lshl_add_u64 v[20:21], v[20:21], 3, s[18:19]
	v_lshl_add_u64 v[22:23], v[22:23], 3, s[18:19]
	s_branch .LBB1605_6
.LBB1605_5:                             ;   in Loop: Header=BB1605_6 Depth=1
	s_or_b32 exec_lo, exec_lo, s27
	s_and_b32 s0, s0, s26
	s_delay_alu instid0(SALU_CYCLE_1) | instskip(SKIP_1) | instid1(SALU_CYCLE_1)
	s_or_b32 s0, vcc_lo, s0
	s_and_b32 s1, exec_lo, s25
	s_or_b32 s22, s1, s22
	s_and_not1_b32 s1, s26, exec_lo
	s_and_b32 s0, s0, exec_lo
	s_and_not1_b32 s23, s23, exec_lo
	s_and_b32 s27, s24, exec_lo
	s_or_b32 s26, s1, s0
	s_and_not1_b32 s1, s15, exec_lo
	s_or_b32 s23, s23, s27
	s_or_b32 s15, s1, s0
	s_and_not1_b32 exec_lo, exec_lo, s22
	s_cbranch_execz .LBB1605_9
.LBB1605_6:                             ; =>This Inner Loop Header: Depth=1
	global_load_b64 v[26:27], v[20:21], off
	global_load_b64 v[28:29], v[22:23], off
	s_or_b32 s24, s24, exec_lo
	s_or_b32 s25, s25, exec_lo
	s_mov_b32 s27, exec_lo
	s_wait_loadcnt 0x0
	v_cmp_le_u64_e64 s0, v[26:27], v[28:29]
	v_cmp_lt_u64_e32 vcc_lo, v[26:27], v[28:29]
	v_cmpx_eq_u64_e64 v[26:27], v[28:29]
	s_cbranch_execz .LBB1605_5
; %bb.7:                                ;   in Loop: Header=BB1605_6 Depth=1
	s_add_nc_u64 s[6:7], s[6:7], -1
	v_add_nc_u64_e32 v[20:21], 8, v[20:21]
	s_cmp_eq_u64 s[6:7], 0
	v_add_nc_u64_e32 v[22:23], 8, v[22:23]
	s_cselect_b32 s1, -1, 0
	s_and_not1_b32 s25, s25, exec_lo
	s_and_b32 s1, s1, exec_lo
	s_and_not1_b32 s24, s24, exec_lo
	s_or_b32 s25, s25, s1
	s_branch .LBB1605_5
.LBB1605_8:
	s_mov_b32 s24, s3
                                        ; implicit-def: $vgpr2_vgpr3
	s_cbranch_execnz .LBB1605_698
	s_branch .LBB1605_1484
.LBB1605_9:
	s_or_b32 exec_lo, exec_lo, s22
	s_and_saveexec_b32 s0, s23
	s_delay_alu instid0(SALU_CYCLE_1)
	s_xor_b32 s0, exec_lo, s0
; %bb.10:
	v_dual_cndmask_b32 v21, v17, v15, s15 :: v_dual_cndmask_b32 v20, v16, v14, s15
	v_dual_cndmask_b32 v15, v15, v17, s15 :: v_dual_cndmask_b32 v14, v14, v16, s15
	s_delay_alu instid0(VALU_DEP_2)
	v_mov_b64_e32 v[16:17], v[20:21]
; %bb.11:
	s_or_b32 exec_lo, exec_lo, s0
	v_mul_u64_e32 v[20:21], s[16:17], v[12:13]
	v_mul_u64_e32 v[22:23], s[16:17], v[10:11]
	s_mov_b32 s22, 0
	s_mov_b64 s[6:7], s[16:17]
                                        ; implicit-def: $sgpr15
                                        ; implicit-def: $sgpr23
                                        ; implicit-def: $sgpr25
                                        ; implicit-def: $sgpr24
                                        ; implicit-def: $sgpr26
	s_delay_alu instid0(VALU_DEP_2) | instskip(NEXT) | instid1(VALU_DEP_2)
	v_lshl_add_u64 v[20:21], v[20:21], 3, s[18:19]
	v_lshl_add_u64 v[22:23], v[22:23], 3, s[18:19]
	s_branch .LBB1605_13
.LBB1605_12:                            ;   in Loop: Header=BB1605_13 Depth=1
	s_or_b32 exec_lo, exec_lo, s27
	s_and_b32 s0, s0, s26
	s_delay_alu instid0(SALU_CYCLE_1) | instskip(SKIP_1) | instid1(SALU_CYCLE_1)
	s_or_b32 s0, vcc_lo, s0
	s_and_b32 s1, exec_lo, s25
	s_or_b32 s22, s1, s22
	s_and_not1_b32 s1, s26, exec_lo
	s_and_b32 s0, s0, exec_lo
	s_and_not1_b32 s23, s23, exec_lo
	s_and_b32 s27, s24, exec_lo
	s_or_b32 s26, s1, s0
	s_and_not1_b32 s1, s15, exec_lo
	s_or_b32 s23, s23, s27
	s_or_b32 s15, s1, s0
	s_and_not1_b32 exec_lo, exec_lo, s22
	s_cbranch_execz .LBB1605_15
.LBB1605_13:                            ; =>This Inner Loop Header: Depth=1
	global_load_b64 v[26:27], v[20:21], off
	global_load_b64 v[28:29], v[22:23], off
	s_or_b32 s24, s24, exec_lo
	s_or_b32 s25, s25, exec_lo
	s_mov_b32 s27, exec_lo
	s_wait_loadcnt 0x0
	v_cmp_le_u64_e64 s0, v[26:27], v[28:29]
	v_cmp_lt_u64_e32 vcc_lo, v[26:27], v[28:29]
	v_cmpx_eq_u64_e64 v[26:27], v[28:29]
	s_cbranch_execz .LBB1605_12
; %bb.14:                               ;   in Loop: Header=BB1605_13 Depth=1
	s_add_nc_u64 s[6:7], s[6:7], -1
	v_add_nc_u64_e32 v[20:21], 8, v[20:21]
	s_cmp_eq_u64 s[6:7], 0
	v_add_nc_u64_e32 v[22:23], 8, v[22:23]
	s_cselect_b32 s1, -1, 0
	s_and_not1_b32 s25, s25, exec_lo
	s_and_b32 s1, s1, exec_lo
	s_and_not1_b32 s24, s24, exec_lo
	s_or_b32 s25, s25, s1
	s_branch .LBB1605_12
.LBB1605_15:
	s_or_b32 exec_lo, exec_lo, s22
	s_and_saveexec_b32 s0, s23
	s_delay_alu instid0(SALU_CYCLE_1)
	s_xor_b32 s0, exec_lo, s0
; %bb.16:
	v_dual_cndmask_b32 v21, v11, v13, s15 :: v_dual_cndmask_b32 v20, v10, v12, s15
	v_dual_cndmask_b32 v13, v13, v11, s15 :: v_dual_cndmask_b32 v12, v12, v10, s15
	s_delay_alu instid0(VALU_DEP_2)
	v_mov_b64_e32 v[10:11], v[20:21]
; %bb.17:
	s_or_b32 exec_lo, exec_lo, s0
.LBB1605_18:
	s_delay_alu instid0(SALU_CYCLE_1)
	s_and_not1_b32 vcc_lo, exec_lo, s14
	s_cbranch_vccnz .LBB1605_32
; %bb.19:
	v_mul_u64_e32 v[20:21], s[16:17], v[8:9]
	v_mul_u64_e32 v[22:23], s[16:17], v[6:7]
	s_mov_b32 s22, 0
	s_mov_b64 s[6:7], s[16:17]
                                        ; implicit-def: $sgpr15
                                        ; implicit-def: $sgpr23
                                        ; implicit-def: $sgpr25
                                        ; implicit-def: $sgpr24
                                        ; implicit-def: $sgpr26
	s_delay_alu instid0(VALU_DEP_2) | instskip(NEXT) | instid1(VALU_DEP_2)
	v_lshl_add_u64 v[20:21], v[20:21], 3, s[18:19]
	v_lshl_add_u64 v[22:23], v[22:23], 3, s[18:19]
	s_branch .LBB1605_21
.LBB1605_20:                            ;   in Loop: Header=BB1605_21 Depth=1
	s_or_b32 exec_lo, exec_lo, s27
	s_and_b32 s0, s0, s26
	s_delay_alu instid0(SALU_CYCLE_1) | instskip(SKIP_1) | instid1(SALU_CYCLE_1)
	s_or_b32 s0, vcc_lo, s0
	s_and_b32 s1, exec_lo, s25
	s_or_b32 s22, s1, s22
	s_and_not1_b32 s1, s26, exec_lo
	s_and_b32 s0, s0, exec_lo
	s_and_not1_b32 s23, s23, exec_lo
	s_and_b32 s27, s24, exec_lo
	s_or_b32 s26, s1, s0
	s_and_not1_b32 s1, s15, exec_lo
	s_or_b32 s23, s23, s27
	s_or_b32 s15, s1, s0
	s_and_not1_b32 exec_lo, exec_lo, s22
	s_cbranch_execz .LBB1605_23
.LBB1605_21:                            ; =>This Inner Loop Header: Depth=1
	global_load_b64 v[26:27], v[20:21], off
	global_load_b64 v[28:29], v[22:23], off
	s_or_b32 s24, s24, exec_lo
	s_or_b32 s25, s25, exec_lo
	s_mov_b32 s27, exec_lo
	s_wait_loadcnt 0x0
	v_cmp_le_u64_e64 s0, v[26:27], v[28:29]
	v_cmp_lt_u64_e32 vcc_lo, v[26:27], v[28:29]
	v_cmpx_eq_u64_e64 v[26:27], v[28:29]
	s_cbranch_execz .LBB1605_20
; %bb.22:                               ;   in Loop: Header=BB1605_21 Depth=1
	s_add_nc_u64 s[6:7], s[6:7], -1
	v_add_nc_u64_e32 v[20:21], 8, v[20:21]
	s_cmp_eq_u64 s[6:7], 0
	v_add_nc_u64_e32 v[22:23], 8, v[22:23]
	s_cselect_b32 s1, -1, 0
	s_and_not1_b32 s25, s25, exec_lo
	s_and_b32 s1, s1, exec_lo
	s_and_not1_b32 s24, s24, exec_lo
	s_or_b32 s25, s25, s1
	s_branch .LBB1605_20
.LBB1605_23:
	s_or_b32 exec_lo, exec_lo, s22
	s_and_saveexec_b32 s0, s23
	s_delay_alu instid0(SALU_CYCLE_1)
	s_xor_b32 s0, exec_lo, s0
; %bb.24:
	v_dual_cndmask_b32 v21, v7, v9, s15 :: v_dual_cndmask_b32 v20, v6, v8, s15
	v_dual_cndmask_b32 v9, v9, v7, s15 :: v_dual_cndmask_b32 v8, v8, v6, s15
	s_delay_alu instid0(VALU_DEP_2)
	v_mov_b64_e32 v[6:7], v[20:21]
; %bb.25:
	s_or_b32 exec_lo, exec_lo, s0
	v_mul_u64_e32 v[20:21], s[16:17], v[4:5]
	v_mul_u64_e32 v[22:23], s[16:17], v[2:3]
	s_mov_b32 s22, 0
	s_mov_b64 s[6:7], s[16:17]
                                        ; implicit-def: $sgpr15
                                        ; implicit-def: $sgpr23
                                        ; implicit-def: $sgpr25
                                        ; implicit-def: $sgpr24
                                        ; implicit-def: $sgpr26
	s_delay_alu instid0(VALU_DEP_2) | instskip(NEXT) | instid1(VALU_DEP_2)
	v_lshl_add_u64 v[20:21], v[20:21], 3, s[18:19]
	v_lshl_add_u64 v[22:23], v[22:23], 3, s[18:19]
	s_branch .LBB1605_27
.LBB1605_26:                            ;   in Loop: Header=BB1605_27 Depth=1
	s_or_b32 exec_lo, exec_lo, s27
	s_and_b32 s0, s0, s26
	s_delay_alu instid0(SALU_CYCLE_1) | instskip(SKIP_1) | instid1(SALU_CYCLE_1)
	s_or_b32 s0, vcc_lo, s0
	s_and_b32 s1, exec_lo, s25
	s_or_b32 s22, s1, s22
	s_and_not1_b32 s1, s26, exec_lo
	s_and_b32 s0, s0, exec_lo
	s_and_not1_b32 s23, s23, exec_lo
	s_and_b32 s27, s24, exec_lo
	s_or_b32 s26, s1, s0
	s_and_not1_b32 s1, s15, exec_lo
	s_or_b32 s23, s23, s27
	s_or_b32 s15, s1, s0
	s_and_not1_b32 exec_lo, exec_lo, s22
	s_cbranch_execz .LBB1605_29
.LBB1605_27:                            ; =>This Inner Loop Header: Depth=1
	global_load_b64 v[26:27], v[20:21], off
	global_load_b64 v[28:29], v[22:23], off
	s_or_b32 s24, s24, exec_lo
	s_or_b32 s25, s25, exec_lo
	s_mov_b32 s27, exec_lo
	s_wait_loadcnt 0x0
	v_cmp_le_u64_e64 s0, v[26:27], v[28:29]
	v_cmp_lt_u64_e32 vcc_lo, v[26:27], v[28:29]
	v_cmpx_eq_u64_e64 v[26:27], v[28:29]
	s_cbranch_execz .LBB1605_26
; %bb.28:                               ;   in Loop: Header=BB1605_27 Depth=1
	s_add_nc_u64 s[6:7], s[6:7], -1
	v_add_nc_u64_e32 v[20:21], 8, v[20:21]
	s_cmp_eq_u64 s[6:7], 0
	v_add_nc_u64_e32 v[22:23], 8, v[22:23]
	s_cselect_b32 s1, -1, 0
	s_and_not1_b32 s25, s25, exec_lo
	s_and_b32 s1, s1, exec_lo
	s_and_not1_b32 s24, s24, exec_lo
	s_or_b32 s25, s25, s1
	s_branch .LBB1605_26
.LBB1605_29:
	s_or_b32 exec_lo, exec_lo, s22
	s_and_saveexec_b32 s0, s23
	s_delay_alu instid0(SALU_CYCLE_1)
	s_xor_b32 s0, exec_lo, s0
; %bb.30:
	v_dual_cndmask_b32 v21, v3, v5, s15 :: v_dual_cndmask_b32 v20, v2, v4, s15
	v_dual_cndmask_b32 v5, v5, v3, s15 :: v_dual_cndmask_b32 v4, v4, v2, s15
	s_delay_alu instid0(VALU_DEP_2)
	v_mov_b64_e32 v[2:3], v[20:21]
; %bb.31:
	s_or_b32 exec_lo, exec_lo, s0
.LBB1605_32:
	s_delay_alu instid0(SALU_CYCLE_1)
	s_and_b32 vcc_lo, exec_lo, s14
	s_cbranch_vccz .LBB1605_46
; %bb.33:
	s_delay_alu instid0(VALU_DEP_1) | instskip(SKIP_3) | instid1(VALU_DEP_2)
	v_mul_u64_e32 v[20:21], s[16:17], v[10:11]
	v_mul_u64_e32 v[22:23], s[16:17], v[16:17]
	s_mov_b32 s15, 0
	s_mov_b64 s[6:7], s[16:17]
                                        ; implicit-def: $sgpr14
                                        ; implicit-def: $sgpr22
                                        ; implicit-def: $sgpr24
                                        ; implicit-def: $sgpr23
                                        ; implicit-def: $sgpr25
	v_lshl_add_u64 v[20:21], v[20:21], 3, s[18:19]
	s_delay_alu instid0(VALU_DEP_2)
	v_lshl_add_u64 v[22:23], v[22:23], 3, s[18:19]
	s_branch .LBB1605_35
.LBB1605_34:                            ;   in Loop: Header=BB1605_35 Depth=1
	s_or_b32 exec_lo, exec_lo, s26
	s_and_b32 s0, s0, s25
	s_delay_alu instid0(SALU_CYCLE_1) | instskip(SKIP_1) | instid1(SALU_CYCLE_1)
	s_or_b32 s0, vcc_lo, s0
	s_and_b32 s1, exec_lo, s24
	s_or_b32 s15, s1, s15
	s_and_not1_b32 s1, s25, exec_lo
	s_and_b32 s0, s0, exec_lo
	s_and_not1_b32 s22, s22, exec_lo
	s_and_b32 s26, s23, exec_lo
	s_or_b32 s25, s1, s0
	s_and_not1_b32 s1, s14, exec_lo
	s_or_b32 s22, s22, s26
	s_or_b32 s14, s1, s0
	s_and_not1_b32 exec_lo, exec_lo, s15
	s_cbranch_execz .LBB1605_37
.LBB1605_35:                            ; =>This Inner Loop Header: Depth=1
	global_load_b64 v[26:27], v[20:21], off
	global_load_b64 v[28:29], v[22:23], off
	s_or_b32 s23, s23, exec_lo
	s_or_b32 s24, s24, exec_lo
	s_mov_b32 s26, exec_lo
	s_wait_loadcnt 0x0
	v_cmp_le_u64_e64 s0, v[26:27], v[28:29]
	v_cmp_lt_u64_e32 vcc_lo, v[26:27], v[28:29]
	v_cmpx_eq_u64_e64 v[26:27], v[28:29]
	s_cbranch_execz .LBB1605_34
; %bb.36:                               ;   in Loop: Header=BB1605_35 Depth=1
	s_add_nc_u64 s[6:7], s[6:7], -1
	v_add_nc_u64_e32 v[20:21], 8, v[20:21]
	s_cmp_eq_u64 s[6:7], 0
	v_add_nc_u64_e32 v[22:23], 8, v[22:23]
	s_cselect_b32 s1, -1, 0
	s_and_not1_b32 s24, s24, exec_lo
	s_and_b32 s1, s1, exec_lo
	s_and_not1_b32 s23, s23, exec_lo
	s_or_b32 s24, s24, s1
	s_branch .LBB1605_34
.LBB1605_37:
	s_or_b32 exec_lo, exec_lo, s15
	s_and_saveexec_b32 s0, s22
	s_delay_alu instid0(SALU_CYCLE_1)
	s_xor_b32 s0, exec_lo, s0
; %bb.38:
	v_dual_cndmask_b32 v21, v17, v11, s14 :: v_dual_cndmask_b32 v20, v16, v10, s14
	v_dual_cndmask_b32 v11, v11, v17, s14 :: v_dual_cndmask_b32 v10, v10, v16, s14
	s_delay_alu instid0(VALU_DEP_2)
	v_mov_b64_e32 v[16:17], v[20:21]
; %bb.39:
	s_or_b32 exec_lo, exec_lo, s0
	v_mul_u64_e32 v[20:21], s[16:17], v[6:7]
	v_mul_u64_e32 v[22:23], s[16:17], v[12:13]
	s_mov_b32 s15, 0
	s_mov_b64 s[6:7], s[16:17]
                                        ; implicit-def: $sgpr14
                                        ; implicit-def: $sgpr22
                                        ; implicit-def: $sgpr24
                                        ; implicit-def: $sgpr23
                                        ; implicit-def: $sgpr25
	s_delay_alu instid0(VALU_DEP_2) | instskip(NEXT) | instid1(VALU_DEP_2)
	v_lshl_add_u64 v[20:21], v[20:21], 3, s[18:19]
	v_lshl_add_u64 v[22:23], v[22:23], 3, s[18:19]
	s_branch .LBB1605_41
.LBB1605_40:                            ;   in Loop: Header=BB1605_41 Depth=1
	s_or_b32 exec_lo, exec_lo, s26
	s_and_b32 s0, s0, s25
	s_delay_alu instid0(SALU_CYCLE_1) | instskip(SKIP_1) | instid1(SALU_CYCLE_1)
	s_or_b32 s0, vcc_lo, s0
	s_and_b32 s1, exec_lo, s24
	s_or_b32 s15, s1, s15
	s_and_not1_b32 s1, s25, exec_lo
	s_and_b32 s0, s0, exec_lo
	s_and_not1_b32 s22, s22, exec_lo
	s_and_b32 s26, s23, exec_lo
	s_or_b32 s25, s1, s0
	s_and_not1_b32 s1, s14, exec_lo
	s_or_b32 s22, s22, s26
	s_or_b32 s14, s1, s0
	s_and_not1_b32 exec_lo, exec_lo, s15
	s_cbranch_execz .LBB1605_43
.LBB1605_41:                            ; =>This Inner Loop Header: Depth=1
	global_load_b64 v[26:27], v[20:21], off
	global_load_b64 v[28:29], v[22:23], off
	s_or_b32 s23, s23, exec_lo
	s_or_b32 s24, s24, exec_lo
	s_mov_b32 s26, exec_lo
	s_wait_loadcnt 0x0
	v_cmp_le_u64_e64 s0, v[26:27], v[28:29]
	v_cmp_lt_u64_e32 vcc_lo, v[26:27], v[28:29]
	v_cmpx_eq_u64_e64 v[26:27], v[28:29]
	s_cbranch_execz .LBB1605_40
; %bb.42:                               ;   in Loop: Header=BB1605_41 Depth=1
	s_add_nc_u64 s[6:7], s[6:7], -1
	v_add_nc_u64_e32 v[20:21], 8, v[20:21]
	s_cmp_eq_u64 s[6:7], 0
	v_add_nc_u64_e32 v[22:23], 8, v[22:23]
	s_cselect_b32 s1, -1, 0
	s_and_not1_b32 s24, s24, exec_lo
	s_and_b32 s1, s1, exec_lo
	s_and_not1_b32 s23, s23, exec_lo
	s_or_b32 s24, s24, s1
	s_branch .LBB1605_40
.LBB1605_43:
	s_or_b32 exec_lo, exec_lo, s15
	s_and_saveexec_b32 s0, s22
	s_delay_alu instid0(SALU_CYCLE_1)
	s_xor_b32 s0, exec_lo, s0
; %bb.44:
	v_dual_cndmask_b32 v21, v13, v7, s14 :: v_dual_cndmask_b32 v20, v12, v6, s14
	v_dual_cndmask_b32 v7, v7, v13, s14 :: v_dual_cndmask_b32 v6, v6, v12, s14
	s_delay_alu instid0(VALU_DEP_2)
	v_mov_b64_e32 v[12:13], v[20:21]
; %bb.45:
	s_or_b32 exec_lo, exec_lo, s0
.LBB1605_46:
	v_cmp_ne_u32_e32 vcc_lo, 1, v45
	s_cbranch_vccnz .LBB1605_72
; %bb.47:
	s_delay_alu instid0(VALU_DEP_2) | instskip(SKIP_3) | instid1(VALU_DEP_2)
	v_mul_u64_e32 v[20:21], s[16:17], v[2:3]
	v_mul_u64_e32 v[22:23], s[16:17], v[8:9]
	s_mov_b32 s15, 0
	s_mov_b64 s[6:7], s[16:17]
                                        ; implicit-def: $sgpr14
                                        ; implicit-def: $sgpr22
                                        ; implicit-def: $sgpr24
                                        ; implicit-def: $sgpr23
                                        ; implicit-def: $sgpr25
	v_lshl_add_u64 v[20:21], v[20:21], 3, s[18:19]
	s_delay_alu instid0(VALU_DEP_2)
	v_lshl_add_u64 v[22:23], v[22:23], 3, s[18:19]
	s_branch .LBB1605_49
.LBB1605_48:                            ;   in Loop: Header=BB1605_49 Depth=1
	s_or_b32 exec_lo, exec_lo, s26
	s_and_b32 s0, s0, s25
	s_delay_alu instid0(SALU_CYCLE_1) | instskip(SKIP_1) | instid1(SALU_CYCLE_1)
	s_or_b32 s0, vcc_lo, s0
	s_and_b32 s1, exec_lo, s24
	s_or_b32 s15, s1, s15
	s_and_not1_b32 s1, s25, exec_lo
	s_and_b32 s0, s0, exec_lo
	s_and_not1_b32 s22, s22, exec_lo
	s_and_b32 s26, s23, exec_lo
	s_or_b32 s25, s1, s0
	s_and_not1_b32 s1, s14, exec_lo
	s_or_b32 s22, s22, s26
	s_or_b32 s14, s1, s0
	s_and_not1_b32 exec_lo, exec_lo, s15
	s_cbranch_execz .LBB1605_51
.LBB1605_49:                            ; =>This Inner Loop Header: Depth=1
	global_load_b64 v[26:27], v[20:21], off
	global_load_b64 v[28:29], v[22:23], off
	s_or_b32 s23, s23, exec_lo
	s_or_b32 s24, s24, exec_lo
	s_mov_b32 s26, exec_lo
	s_wait_loadcnt 0x0
	v_cmp_le_u64_e64 s0, v[26:27], v[28:29]
	v_cmp_lt_u64_e32 vcc_lo, v[26:27], v[28:29]
	v_cmpx_eq_u64_e64 v[26:27], v[28:29]
	s_cbranch_execz .LBB1605_48
; %bb.50:                               ;   in Loop: Header=BB1605_49 Depth=1
	s_add_nc_u64 s[6:7], s[6:7], -1
	v_add_nc_u64_e32 v[20:21], 8, v[20:21]
	s_cmp_eq_u64 s[6:7], 0
	v_add_nc_u64_e32 v[22:23], 8, v[22:23]
	s_cselect_b32 s1, -1, 0
	s_and_not1_b32 s24, s24, exec_lo
	s_and_b32 s1, s1, exec_lo
	s_and_not1_b32 s23, s23, exec_lo
	s_or_b32 s24, s24, s1
	s_branch .LBB1605_48
.LBB1605_51:
	s_or_b32 exec_lo, exec_lo, s15
	s_and_saveexec_b32 s0, s22
	s_delay_alu instid0(SALU_CYCLE_1)
	s_xor_b32 s0, exec_lo, s0
; %bb.52:
	v_dual_cndmask_b32 v21, v9, v3, s14 :: v_dual_cndmask_b32 v20, v8, v2, s14
	v_dual_cndmask_b32 v3, v3, v9, s14 :: v_dual_cndmask_b32 v2, v2, v8, s14
	s_delay_alu instid0(VALU_DEP_2)
	v_mov_b64_e32 v[8:9], v[20:21]
; %bb.53:
	s_or_b32 exec_lo, exec_lo, s0
	v_mul_u64_e32 v[20:21], s[16:17], v[16:17]
	v_mul_u64_e32 v[22:23], s[16:17], v[14:15]
	s_mov_b32 s15, 0
	s_mov_b64 s[6:7], s[16:17]
                                        ; implicit-def: $sgpr14
                                        ; implicit-def: $sgpr22
                                        ; implicit-def: $sgpr24
                                        ; implicit-def: $sgpr23
                                        ; implicit-def: $sgpr25
	s_delay_alu instid0(VALU_DEP_2) | instskip(NEXT) | instid1(VALU_DEP_2)
	v_lshl_add_u64 v[20:21], v[20:21], 3, s[18:19]
	v_lshl_add_u64 v[22:23], v[22:23], 3, s[18:19]
	s_branch .LBB1605_55
.LBB1605_54:                            ;   in Loop: Header=BB1605_55 Depth=1
	s_or_b32 exec_lo, exec_lo, s26
	s_and_b32 s0, s0, s25
	s_delay_alu instid0(SALU_CYCLE_1) | instskip(SKIP_1) | instid1(SALU_CYCLE_1)
	s_or_b32 s0, vcc_lo, s0
	s_and_b32 s1, exec_lo, s24
	s_or_b32 s15, s1, s15
	s_and_not1_b32 s1, s25, exec_lo
	s_and_b32 s0, s0, exec_lo
	s_and_not1_b32 s22, s22, exec_lo
	s_and_b32 s26, s23, exec_lo
	s_or_b32 s25, s1, s0
	s_and_not1_b32 s1, s14, exec_lo
	s_or_b32 s22, s22, s26
	s_or_b32 s14, s1, s0
	s_and_not1_b32 exec_lo, exec_lo, s15
	s_cbranch_execz .LBB1605_57
.LBB1605_55:                            ; =>This Inner Loop Header: Depth=1
	global_load_b64 v[26:27], v[20:21], off
	global_load_b64 v[28:29], v[22:23], off
	s_or_b32 s23, s23, exec_lo
	s_or_b32 s24, s24, exec_lo
	s_mov_b32 s26, exec_lo
	s_wait_loadcnt 0x0
	v_cmp_le_u64_e64 s0, v[26:27], v[28:29]
	v_cmp_lt_u64_e32 vcc_lo, v[26:27], v[28:29]
	v_cmpx_eq_u64_e64 v[26:27], v[28:29]
	s_cbranch_execz .LBB1605_54
; %bb.56:                               ;   in Loop: Header=BB1605_55 Depth=1
	s_add_nc_u64 s[6:7], s[6:7], -1
	v_add_nc_u64_e32 v[20:21], 8, v[20:21]
	s_cmp_eq_u64 s[6:7], 0
	v_add_nc_u64_e32 v[22:23], 8, v[22:23]
	s_cselect_b32 s1, -1, 0
	s_and_not1_b32 s24, s24, exec_lo
	s_and_b32 s1, s1, exec_lo
	s_and_not1_b32 s23, s23, exec_lo
	s_or_b32 s24, s24, s1
	s_branch .LBB1605_54
.LBB1605_57:
	s_or_b32 exec_lo, exec_lo, s15
	s_and_saveexec_b32 s0, s22
	s_delay_alu instid0(SALU_CYCLE_1)
	s_xor_b32 s0, exec_lo, s0
; %bb.58:
	v_dual_cndmask_b32 v21, v17, v15, s14 :: v_dual_cndmask_b32 v20, v16, v14, s14
	v_dual_cndmask_b32 v15, v15, v17, s14 :: v_dual_cndmask_b32 v14, v14, v16, s14
	s_delay_alu instid0(VALU_DEP_2)
	v_mov_b64_e32 v[16:17], v[20:21]
; %bb.59:
	s_or_b32 exec_lo, exec_lo, s0
	v_mul_u64_e32 v[20:21], s[16:17], v[12:13]
	v_mul_u64_e32 v[22:23], s[16:17], v[10:11]
	s_mov_b32 s15, 0
	s_mov_b64 s[6:7], s[16:17]
                                        ; implicit-def: $sgpr14
                                        ; implicit-def: $sgpr22
                                        ; implicit-def: $sgpr24
                                        ; implicit-def: $sgpr23
                                        ; implicit-def: $sgpr25
	s_delay_alu instid0(VALU_DEP_2) | instskip(NEXT) | instid1(VALU_DEP_2)
	v_lshl_add_u64 v[20:21], v[20:21], 3, s[18:19]
	;; [unrolled: 64-line block ×3, first 2 shown]
	v_lshl_add_u64 v[22:23], v[22:23], 3, s[18:19]
	s_branch .LBB1605_67
.LBB1605_66:                            ;   in Loop: Header=BB1605_67 Depth=1
	s_or_b32 exec_lo, exec_lo, s26
	s_and_b32 s0, s0, s25
	s_delay_alu instid0(SALU_CYCLE_1) | instskip(SKIP_1) | instid1(SALU_CYCLE_1)
	s_or_b32 s0, vcc_lo, s0
	s_and_b32 s1, exec_lo, s24
	s_or_b32 s15, s1, s15
	s_and_not1_b32 s1, s25, exec_lo
	s_and_b32 s0, s0, exec_lo
	s_and_not1_b32 s22, s22, exec_lo
	s_and_b32 s26, s23, exec_lo
	s_or_b32 s25, s1, s0
	s_and_not1_b32 s1, s14, exec_lo
	s_or_b32 s22, s22, s26
	s_or_b32 s14, s1, s0
	s_and_not1_b32 exec_lo, exec_lo, s15
	s_cbranch_execz .LBB1605_69
.LBB1605_67:                            ; =>This Inner Loop Header: Depth=1
	global_load_b64 v[26:27], v[20:21], off
	global_load_b64 v[28:29], v[22:23], off
	s_or_b32 s23, s23, exec_lo
	s_or_b32 s24, s24, exec_lo
	s_mov_b32 s26, exec_lo
	s_wait_loadcnt 0x0
	v_cmp_le_u64_e64 s0, v[26:27], v[28:29]
	v_cmp_lt_u64_e32 vcc_lo, v[26:27], v[28:29]
	v_cmpx_eq_u64_e64 v[26:27], v[28:29]
	s_cbranch_execz .LBB1605_66
; %bb.68:                               ;   in Loop: Header=BB1605_67 Depth=1
	s_add_nc_u64 s[6:7], s[6:7], -1
	v_add_nc_u64_e32 v[20:21], 8, v[20:21]
	s_cmp_eq_u64 s[6:7], 0
	v_add_nc_u64_e32 v[22:23], 8, v[22:23]
	s_cselect_b32 s1, -1, 0
	s_and_not1_b32 s24, s24, exec_lo
	s_and_b32 s1, s1, exec_lo
	s_and_not1_b32 s23, s23, exec_lo
	s_or_b32 s24, s24, s1
	s_branch .LBB1605_66
.LBB1605_69:
	s_or_b32 exec_lo, exec_lo, s15
	s_and_saveexec_b32 s0, s22
	s_delay_alu instid0(SALU_CYCLE_1)
	s_xor_b32 s0, exec_lo, s0
; %bb.70:
	v_dual_cndmask_b32 v21, v7, v9, s14 :: v_dual_cndmask_b32 v20, v6, v8, s14
	v_dual_cndmask_b32 v9, v9, v7, s14 :: v_dual_cndmask_b32 v8, v8, v6, s14
	s_delay_alu instid0(VALU_DEP_2)
	v_mov_b64_e32 v[6:7], v[20:21]
; %bb.71:
	s_or_b32 exec_lo, exec_lo, s0
.LBB1605_72:
	v_cmp_ne_u32_e32 vcc_lo, 1, v45
	s_cbranch_vccnz .LBB1605_86
; %bb.73:
	v_mul_u64_e32 v[20:21], s[16:17], v[4:5]
	v_mul_u64_e32 v[22:23], s[16:17], v[2:3]
	s_mov_b32 s15, 0
	s_mov_b64 s[6:7], s[16:17]
                                        ; implicit-def: $sgpr14
                                        ; implicit-def: $sgpr22
                                        ; implicit-def: $sgpr24
                                        ; implicit-def: $sgpr23
                                        ; implicit-def: $sgpr25
	s_delay_alu instid0(VALU_DEP_2) | instskip(NEXT) | instid1(VALU_DEP_2)
	v_lshl_add_u64 v[20:21], v[20:21], 3, s[18:19]
	v_lshl_add_u64 v[22:23], v[22:23], 3, s[18:19]
	s_branch .LBB1605_75
.LBB1605_74:                            ;   in Loop: Header=BB1605_75 Depth=1
	s_or_b32 exec_lo, exec_lo, s26
	s_and_b32 s0, s0, s25
	s_delay_alu instid0(SALU_CYCLE_1) | instskip(SKIP_1) | instid1(SALU_CYCLE_1)
	s_or_b32 s0, vcc_lo, s0
	s_and_b32 s1, exec_lo, s24
	s_or_b32 s15, s1, s15
	s_and_not1_b32 s1, s25, exec_lo
	s_and_b32 s0, s0, exec_lo
	s_and_not1_b32 s22, s22, exec_lo
	s_and_b32 s26, s23, exec_lo
	s_or_b32 s25, s1, s0
	s_and_not1_b32 s1, s14, exec_lo
	s_or_b32 s22, s22, s26
	s_or_b32 s14, s1, s0
	s_and_not1_b32 exec_lo, exec_lo, s15
	s_cbranch_execz .LBB1605_77
.LBB1605_75:                            ; =>This Inner Loop Header: Depth=1
	global_load_b64 v[26:27], v[20:21], off
	global_load_b64 v[28:29], v[22:23], off
	s_or_b32 s23, s23, exec_lo
	s_or_b32 s24, s24, exec_lo
	s_mov_b32 s26, exec_lo
	s_wait_loadcnt 0x0
	v_cmp_le_u64_e64 s0, v[26:27], v[28:29]
	v_cmp_lt_u64_e32 vcc_lo, v[26:27], v[28:29]
	v_cmpx_eq_u64_e64 v[26:27], v[28:29]
	s_cbranch_execz .LBB1605_74
; %bb.76:                               ;   in Loop: Header=BB1605_75 Depth=1
	s_add_nc_u64 s[6:7], s[6:7], -1
	v_add_nc_u64_e32 v[20:21], 8, v[20:21]
	s_cmp_eq_u64 s[6:7], 0
	v_add_nc_u64_e32 v[22:23], 8, v[22:23]
	s_cselect_b32 s1, -1, 0
	s_and_not1_b32 s24, s24, exec_lo
	s_and_b32 s1, s1, exec_lo
	s_and_not1_b32 s23, s23, exec_lo
	s_or_b32 s24, s24, s1
	s_branch .LBB1605_74
.LBB1605_77:
	s_or_b32 exec_lo, exec_lo, s15
	s_and_saveexec_b32 s0, s22
	s_delay_alu instid0(SALU_CYCLE_1)
	s_xor_b32 s0, exec_lo, s0
; %bb.78:
	v_dual_cndmask_b32 v21, v3, v5, s14 :: v_dual_cndmask_b32 v20, v2, v4, s14
	v_dual_cndmask_b32 v5, v5, v3, s14 :: v_dual_cndmask_b32 v4, v4, v2, s14
	s_delay_alu instid0(VALU_DEP_2)
	v_mov_b64_e32 v[2:3], v[20:21]
; %bb.79:
	s_or_b32 exec_lo, exec_lo, s0
	v_mul_u64_e32 v[20:21], s[16:17], v[10:11]
	v_mul_u64_e32 v[22:23], s[16:17], v[16:17]
	s_mov_b32 s15, 0
	s_mov_b64 s[6:7], s[16:17]
                                        ; implicit-def: $sgpr14
                                        ; implicit-def: $sgpr22
                                        ; implicit-def: $sgpr24
                                        ; implicit-def: $sgpr23
                                        ; implicit-def: $sgpr25
	s_delay_alu instid0(VALU_DEP_2) | instskip(NEXT) | instid1(VALU_DEP_2)
	v_lshl_add_u64 v[20:21], v[20:21], 3, s[18:19]
	v_lshl_add_u64 v[22:23], v[22:23], 3, s[18:19]
	s_branch .LBB1605_81
.LBB1605_80:                            ;   in Loop: Header=BB1605_81 Depth=1
	s_or_b32 exec_lo, exec_lo, s26
	s_and_b32 s0, s0, s25
	s_delay_alu instid0(SALU_CYCLE_1) | instskip(SKIP_1) | instid1(SALU_CYCLE_1)
	s_or_b32 s0, vcc_lo, s0
	s_and_b32 s1, exec_lo, s24
	s_or_b32 s15, s1, s15
	s_and_not1_b32 s1, s25, exec_lo
	s_and_b32 s0, s0, exec_lo
	s_and_not1_b32 s22, s22, exec_lo
	s_and_b32 s26, s23, exec_lo
	s_or_b32 s25, s1, s0
	s_and_not1_b32 s1, s14, exec_lo
	s_or_b32 s22, s22, s26
	s_or_b32 s14, s1, s0
	s_and_not1_b32 exec_lo, exec_lo, s15
	s_cbranch_execz .LBB1605_83
.LBB1605_81:                            ; =>This Inner Loop Header: Depth=1
	global_load_b64 v[26:27], v[20:21], off
	global_load_b64 v[28:29], v[22:23], off
	s_or_b32 s23, s23, exec_lo
	s_or_b32 s24, s24, exec_lo
	s_mov_b32 s26, exec_lo
	s_wait_loadcnt 0x0
	v_cmp_le_u64_e64 s0, v[26:27], v[28:29]
	v_cmp_lt_u64_e32 vcc_lo, v[26:27], v[28:29]
	v_cmpx_eq_u64_e64 v[26:27], v[28:29]
	s_cbranch_execz .LBB1605_80
; %bb.82:                               ;   in Loop: Header=BB1605_81 Depth=1
	s_add_nc_u64 s[6:7], s[6:7], -1
	v_add_nc_u64_e32 v[20:21], 8, v[20:21]
	s_cmp_eq_u64 s[6:7], 0
	v_add_nc_u64_e32 v[22:23], 8, v[22:23]
	s_cselect_b32 s1, -1, 0
	s_and_not1_b32 s24, s24, exec_lo
	s_and_b32 s1, s1, exec_lo
	s_and_not1_b32 s23, s23, exec_lo
	s_or_b32 s24, s24, s1
	s_branch .LBB1605_80
.LBB1605_83:
	s_or_b32 exec_lo, exec_lo, s15
	s_and_saveexec_b32 s0, s22
	s_delay_alu instid0(SALU_CYCLE_1)
	s_xor_b32 s0, exec_lo, s0
; %bb.84:
	v_dual_cndmask_b32 v21, v17, v11, s14 :: v_dual_cndmask_b32 v20, v16, v10, s14
	v_dual_cndmask_b32 v11, v11, v17, s14 :: v_dual_cndmask_b32 v10, v10, v16, s14
	s_delay_alu instid0(VALU_DEP_2)
	v_mov_b64_e32 v[16:17], v[20:21]
; %bb.85:
	s_or_b32 exec_lo, exec_lo, s0
.LBB1605_86:
	v_cmp_ne_u32_e32 vcc_lo, 1, v45
	s_cbranch_vccnz .LBB1605_100
; %bb.87:
	s_delay_alu instid0(VALU_DEP_3) | instskip(SKIP_3) | instid1(VALU_DEP_2)
	v_mul_u64_e32 v[20:21], s[16:17], v[6:7]
	v_mul_u64_e32 v[22:23], s[16:17], v[12:13]
	s_mov_b32 s15, 0
	s_mov_b64 s[6:7], s[16:17]
                                        ; implicit-def: $sgpr14
                                        ; implicit-def: $sgpr22
                                        ; implicit-def: $sgpr24
                                        ; implicit-def: $sgpr23
                                        ; implicit-def: $sgpr25
	v_lshl_add_u64 v[20:21], v[20:21], 3, s[18:19]
	s_delay_alu instid0(VALU_DEP_2)
	v_lshl_add_u64 v[22:23], v[22:23], 3, s[18:19]
	s_branch .LBB1605_89
.LBB1605_88:                            ;   in Loop: Header=BB1605_89 Depth=1
	s_or_b32 exec_lo, exec_lo, s26
	s_and_b32 s0, s0, s25
	s_delay_alu instid0(SALU_CYCLE_1) | instskip(SKIP_1) | instid1(SALU_CYCLE_1)
	s_or_b32 s0, vcc_lo, s0
	s_and_b32 s1, exec_lo, s24
	s_or_b32 s15, s1, s15
	s_and_not1_b32 s1, s25, exec_lo
	s_and_b32 s0, s0, exec_lo
	s_and_not1_b32 s22, s22, exec_lo
	s_and_b32 s26, s23, exec_lo
	s_or_b32 s25, s1, s0
	s_and_not1_b32 s1, s14, exec_lo
	s_or_b32 s22, s22, s26
	s_or_b32 s14, s1, s0
	s_and_not1_b32 exec_lo, exec_lo, s15
	s_cbranch_execz .LBB1605_91
.LBB1605_89:                            ; =>This Inner Loop Header: Depth=1
	global_load_b64 v[26:27], v[20:21], off
	global_load_b64 v[28:29], v[22:23], off
	s_or_b32 s23, s23, exec_lo
	s_or_b32 s24, s24, exec_lo
	s_mov_b32 s26, exec_lo
	s_wait_loadcnt 0x0
	v_cmp_le_u64_e64 s0, v[26:27], v[28:29]
	v_cmp_lt_u64_e32 vcc_lo, v[26:27], v[28:29]
	v_cmpx_eq_u64_e64 v[26:27], v[28:29]
	s_cbranch_execz .LBB1605_88
; %bb.90:                               ;   in Loop: Header=BB1605_89 Depth=1
	s_add_nc_u64 s[6:7], s[6:7], -1
	v_add_nc_u64_e32 v[20:21], 8, v[20:21]
	s_cmp_eq_u64 s[6:7], 0
	v_add_nc_u64_e32 v[22:23], 8, v[22:23]
	s_cselect_b32 s1, -1, 0
	s_and_not1_b32 s24, s24, exec_lo
	s_and_b32 s1, s1, exec_lo
	s_and_not1_b32 s23, s23, exec_lo
	s_or_b32 s24, s24, s1
	s_branch .LBB1605_88
.LBB1605_91:
	s_or_b32 exec_lo, exec_lo, s15
	s_and_saveexec_b32 s0, s22
	s_delay_alu instid0(SALU_CYCLE_1)
	s_xor_b32 s0, exec_lo, s0
; %bb.92:
	v_dual_cndmask_b32 v21, v13, v7, s14 :: v_dual_cndmask_b32 v20, v12, v6, s14
	v_dual_cndmask_b32 v7, v7, v13, s14 :: v_dual_cndmask_b32 v6, v6, v12, s14
	s_delay_alu instid0(VALU_DEP_2)
	v_mov_b64_e32 v[12:13], v[20:21]
; %bb.93:
	s_or_b32 exec_lo, exec_lo, s0
	v_mul_u64_e32 v[20:21], s[16:17], v[2:3]
	v_mul_u64_e32 v[22:23], s[16:17], v[8:9]
	s_mov_b32 s15, 0
	s_mov_b64 s[6:7], s[16:17]
                                        ; implicit-def: $sgpr14
                                        ; implicit-def: $sgpr22
                                        ; implicit-def: $sgpr24
                                        ; implicit-def: $sgpr23
                                        ; implicit-def: $sgpr25
	s_delay_alu instid0(VALU_DEP_2) | instskip(NEXT) | instid1(VALU_DEP_2)
	v_lshl_add_u64 v[20:21], v[20:21], 3, s[18:19]
	v_lshl_add_u64 v[22:23], v[22:23], 3, s[18:19]
	s_branch .LBB1605_95
.LBB1605_94:                            ;   in Loop: Header=BB1605_95 Depth=1
	s_or_b32 exec_lo, exec_lo, s26
	s_and_b32 s0, s0, s25
	s_delay_alu instid0(SALU_CYCLE_1) | instskip(SKIP_1) | instid1(SALU_CYCLE_1)
	s_or_b32 s0, vcc_lo, s0
	s_and_b32 s1, exec_lo, s24
	s_or_b32 s15, s1, s15
	s_and_not1_b32 s1, s25, exec_lo
	s_and_b32 s0, s0, exec_lo
	s_and_not1_b32 s22, s22, exec_lo
	s_and_b32 s26, s23, exec_lo
	s_or_b32 s25, s1, s0
	s_and_not1_b32 s1, s14, exec_lo
	s_or_b32 s22, s22, s26
	s_or_b32 s14, s1, s0
	s_and_not1_b32 exec_lo, exec_lo, s15
	s_cbranch_execz .LBB1605_97
.LBB1605_95:                            ; =>This Inner Loop Header: Depth=1
	global_load_b64 v[26:27], v[20:21], off
	global_load_b64 v[28:29], v[22:23], off
	s_or_b32 s23, s23, exec_lo
	s_or_b32 s24, s24, exec_lo
	s_mov_b32 s26, exec_lo
	s_wait_loadcnt 0x0
	v_cmp_le_u64_e64 s0, v[26:27], v[28:29]
	v_cmp_lt_u64_e32 vcc_lo, v[26:27], v[28:29]
	v_cmpx_eq_u64_e64 v[26:27], v[28:29]
	s_cbranch_execz .LBB1605_94
; %bb.96:                               ;   in Loop: Header=BB1605_95 Depth=1
	s_add_nc_u64 s[6:7], s[6:7], -1
	v_add_nc_u64_e32 v[20:21], 8, v[20:21]
	s_cmp_eq_u64 s[6:7], 0
	v_add_nc_u64_e32 v[22:23], 8, v[22:23]
	s_cselect_b32 s1, -1, 0
	s_and_not1_b32 s24, s24, exec_lo
	s_and_b32 s1, s1, exec_lo
	s_and_not1_b32 s23, s23, exec_lo
	s_or_b32 s24, s24, s1
	s_branch .LBB1605_94
.LBB1605_97:
	s_or_b32 exec_lo, exec_lo, s15
	s_and_saveexec_b32 s0, s22
	s_delay_alu instid0(SALU_CYCLE_1)
	s_xor_b32 s0, exec_lo, s0
; %bb.98:
	v_dual_cndmask_b32 v21, v9, v3, s14 :: v_dual_cndmask_b32 v20, v8, v2, s14
	v_dual_cndmask_b32 v3, v3, v9, s14 :: v_dual_cndmask_b32 v2, v2, v8, s14
	s_delay_alu instid0(VALU_DEP_2)
	v_mov_b64_e32 v[8:9], v[20:21]
; %bb.99:
	s_or_b32 exec_lo, exec_lo, s0
.LBB1605_100:
	v_cmp_ne_u32_e32 vcc_lo, 1, v45
	s_cbranch_vccnz .LBB1605_114
; %bb.101:
	s_delay_alu instid0(VALU_DEP_3) | instskip(SKIP_3) | instid1(VALU_DEP_2)
	v_mul_u64_e32 v[20:21], s[16:17], v[16:17]
	v_mul_u64_e32 v[22:23], s[16:17], v[14:15]
	s_mov_b32 s15, 0
	s_mov_b64 s[6:7], s[16:17]
                                        ; implicit-def: $sgpr14
                                        ; implicit-def: $sgpr22
                                        ; implicit-def: $sgpr24
                                        ; implicit-def: $sgpr23
                                        ; implicit-def: $sgpr25
	v_lshl_add_u64 v[20:21], v[20:21], 3, s[18:19]
	s_delay_alu instid0(VALU_DEP_2)
	v_lshl_add_u64 v[22:23], v[22:23], 3, s[18:19]
	s_branch .LBB1605_103
.LBB1605_102:                           ;   in Loop: Header=BB1605_103 Depth=1
	s_or_b32 exec_lo, exec_lo, s26
	s_and_b32 s0, s0, s25
	s_delay_alu instid0(SALU_CYCLE_1) | instskip(SKIP_1) | instid1(SALU_CYCLE_1)
	s_or_b32 s0, vcc_lo, s0
	s_and_b32 s1, exec_lo, s24
	s_or_b32 s15, s1, s15
	s_and_not1_b32 s1, s25, exec_lo
	s_and_b32 s0, s0, exec_lo
	s_and_not1_b32 s22, s22, exec_lo
	s_and_b32 s26, s23, exec_lo
	s_or_b32 s25, s1, s0
	s_and_not1_b32 s1, s14, exec_lo
	s_or_b32 s22, s22, s26
	s_or_b32 s14, s1, s0
	s_and_not1_b32 exec_lo, exec_lo, s15
	s_cbranch_execz .LBB1605_105
.LBB1605_103:                           ; =>This Inner Loop Header: Depth=1
	global_load_b64 v[26:27], v[20:21], off
	global_load_b64 v[28:29], v[22:23], off
	s_or_b32 s23, s23, exec_lo
	s_or_b32 s24, s24, exec_lo
	s_mov_b32 s26, exec_lo
	s_wait_loadcnt 0x0
	v_cmp_le_u64_e64 s0, v[26:27], v[28:29]
	v_cmp_lt_u64_e32 vcc_lo, v[26:27], v[28:29]
	v_cmpx_eq_u64_e64 v[26:27], v[28:29]
	s_cbranch_execz .LBB1605_102
; %bb.104:                              ;   in Loop: Header=BB1605_103 Depth=1
	s_add_nc_u64 s[6:7], s[6:7], -1
	v_add_nc_u64_e32 v[20:21], 8, v[20:21]
	s_cmp_eq_u64 s[6:7], 0
	v_add_nc_u64_e32 v[22:23], 8, v[22:23]
	s_cselect_b32 s1, -1, 0
	s_and_not1_b32 s24, s24, exec_lo
	s_and_b32 s1, s1, exec_lo
	s_and_not1_b32 s23, s23, exec_lo
	s_or_b32 s24, s24, s1
	s_branch .LBB1605_102
.LBB1605_105:
	s_or_b32 exec_lo, exec_lo, s15
	s_and_saveexec_b32 s0, s22
	s_delay_alu instid0(SALU_CYCLE_1)
	s_xor_b32 s0, exec_lo, s0
; %bb.106:
	v_dual_cndmask_b32 v21, v17, v15, s14 :: v_dual_cndmask_b32 v20, v16, v14, s14
	v_dual_cndmask_b32 v15, v15, v17, s14 :: v_dual_cndmask_b32 v14, v14, v16, s14
	s_delay_alu instid0(VALU_DEP_2)
	v_mov_b64_e32 v[16:17], v[20:21]
; %bb.107:
	s_or_b32 exec_lo, exec_lo, s0
	v_mul_u64_e32 v[20:21], s[16:17], v[12:13]
	v_mul_u64_e32 v[22:23], s[16:17], v[10:11]
	s_mov_b32 s15, 0
	s_mov_b64 s[6:7], s[16:17]
                                        ; implicit-def: $sgpr14
                                        ; implicit-def: $sgpr22
                                        ; implicit-def: $sgpr24
                                        ; implicit-def: $sgpr23
                                        ; implicit-def: $sgpr25
	s_delay_alu instid0(VALU_DEP_2) | instskip(NEXT) | instid1(VALU_DEP_2)
	v_lshl_add_u64 v[20:21], v[20:21], 3, s[18:19]
	v_lshl_add_u64 v[22:23], v[22:23], 3, s[18:19]
	s_branch .LBB1605_109
.LBB1605_108:                           ;   in Loop: Header=BB1605_109 Depth=1
	s_or_b32 exec_lo, exec_lo, s26
	s_and_b32 s0, s0, s25
	s_delay_alu instid0(SALU_CYCLE_1) | instskip(SKIP_1) | instid1(SALU_CYCLE_1)
	s_or_b32 s0, vcc_lo, s0
	s_and_b32 s1, exec_lo, s24
	s_or_b32 s15, s1, s15
	s_and_not1_b32 s1, s25, exec_lo
	s_and_b32 s0, s0, exec_lo
	s_and_not1_b32 s22, s22, exec_lo
	s_and_b32 s26, s23, exec_lo
	s_or_b32 s25, s1, s0
	s_and_not1_b32 s1, s14, exec_lo
	s_or_b32 s22, s22, s26
	s_or_b32 s14, s1, s0
	s_and_not1_b32 exec_lo, exec_lo, s15
	s_cbranch_execz .LBB1605_111
.LBB1605_109:                           ; =>This Inner Loop Header: Depth=1
	global_load_b64 v[26:27], v[20:21], off
	global_load_b64 v[28:29], v[22:23], off
	s_or_b32 s23, s23, exec_lo
	s_or_b32 s24, s24, exec_lo
	s_mov_b32 s26, exec_lo
	s_wait_loadcnt 0x0
	v_cmp_le_u64_e64 s0, v[26:27], v[28:29]
	v_cmp_lt_u64_e32 vcc_lo, v[26:27], v[28:29]
	v_cmpx_eq_u64_e64 v[26:27], v[28:29]
	s_cbranch_execz .LBB1605_108
; %bb.110:                              ;   in Loop: Header=BB1605_109 Depth=1
	s_add_nc_u64 s[6:7], s[6:7], -1
	v_add_nc_u64_e32 v[20:21], 8, v[20:21]
	s_cmp_eq_u64 s[6:7], 0
	v_add_nc_u64_e32 v[22:23], 8, v[22:23]
	s_cselect_b32 s1, -1, 0
	s_and_not1_b32 s24, s24, exec_lo
	s_and_b32 s1, s1, exec_lo
	s_and_not1_b32 s23, s23, exec_lo
	s_or_b32 s24, s24, s1
	s_branch .LBB1605_108
.LBB1605_111:
	s_or_b32 exec_lo, exec_lo, s15
	s_and_saveexec_b32 s0, s22
	s_delay_alu instid0(SALU_CYCLE_1)
	s_xor_b32 s0, exec_lo, s0
; %bb.112:
	v_dual_cndmask_b32 v21, v11, v13, s14 :: v_dual_cndmask_b32 v20, v10, v12, s14
	v_dual_cndmask_b32 v13, v13, v11, s14 :: v_dual_cndmask_b32 v12, v12, v10, s14
	s_delay_alu instid0(VALU_DEP_2)
	v_mov_b64_e32 v[10:11], v[20:21]
; %bb.113:
	s_or_b32 exec_lo, exec_lo, s0
.LBB1605_114:
	v_cmp_ne_u32_e32 vcc_lo, 1, v45
	s_cbranch_vccnz .LBB1605_188
; %bb.115:
	s_delay_alu instid0(VALU_DEP_3) | instskip(SKIP_3) | instid1(VALU_DEP_2)
	v_mul_u64_e32 v[20:21], s[16:17], v[8:9]
	v_mul_u64_e32 v[22:23], s[16:17], v[6:7]
	s_mov_b32 s15, 0
	s_mov_b64 s[6:7], s[16:17]
                                        ; implicit-def: $sgpr14
                                        ; implicit-def: $sgpr22
                                        ; implicit-def: $sgpr24
                                        ; implicit-def: $sgpr23
                                        ; implicit-def: $sgpr25
	v_lshl_add_u64 v[20:21], v[20:21], 3, s[18:19]
	s_delay_alu instid0(VALU_DEP_2)
	v_lshl_add_u64 v[22:23], v[22:23], 3, s[18:19]
	s_branch .LBB1605_117
.LBB1605_116:                           ;   in Loop: Header=BB1605_117 Depth=1
	s_or_b32 exec_lo, exec_lo, s26
	s_and_b32 s0, s0, s25
	s_delay_alu instid0(SALU_CYCLE_1) | instskip(SKIP_1) | instid1(SALU_CYCLE_1)
	s_or_b32 s0, vcc_lo, s0
	s_and_b32 s1, exec_lo, s24
	s_or_b32 s15, s1, s15
	s_and_not1_b32 s1, s25, exec_lo
	s_and_b32 s0, s0, exec_lo
	s_and_not1_b32 s22, s22, exec_lo
	s_and_b32 s26, s23, exec_lo
	s_or_b32 s25, s1, s0
	s_and_not1_b32 s1, s14, exec_lo
	s_or_b32 s22, s22, s26
	s_or_b32 s14, s1, s0
	s_and_not1_b32 exec_lo, exec_lo, s15
	s_cbranch_execz .LBB1605_119
.LBB1605_117:                           ; =>This Inner Loop Header: Depth=1
	global_load_b64 v[26:27], v[20:21], off
	global_load_b64 v[28:29], v[22:23], off
	s_or_b32 s23, s23, exec_lo
	s_or_b32 s24, s24, exec_lo
	s_mov_b32 s26, exec_lo
	s_wait_loadcnt 0x0
	v_cmp_le_u64_e64 s0, v[26:27], v[28:29]
	v_cmp_lt_u64_e32 vcc_lo, v[26:27], v[28:29]
	v_cmpx_eq_u64_e64 v[26:27], v[28:29]
	s_cbranch_execz .LBB1605_116
; %bb.118:                              ;   in Loop: Header=BB1605_117 Depth=1
	s_add_nc_u64 s[6:7], s[6:7], -1
	v_add_nc_u64_e32 v[20:21], 8, v[20:21]
	s_cmp_eq_u64 s[6:7], 0
	v_add_nc_u64_e32 v[22:23], 8, v[22:23]
	s_cselect_b32 s1, -1, 0
	s_and_not1_b32 s24, s24, exec_lo
	s_and_b32 s1, s1, exec_lo
	s_and_not1_b32 s23, s23, exec_lo
	s_or_b32 s24, s24, s1
	s_branch .LBB1605_116
.LBB1605_119:
	s_or_b32 exec_lo, exec_lo, s15
	s_and_saveexec_b32 s0, s22
	s_delay_alu instid0(SALU_CYCLE_1)
	s_xor_b32 s0, exec_lo, s0
; %bb.120:
	v_dual_cndmask_b32 v21, v7, v9, s14 :: v_dual_cndmask_b32 v20, v6, v8, s14
	v_dual_cndmask_b32 v9, v9, v7, s14 :: v_dual_cndmask_b32 v8, v8, v6, s14
	s_delay_alu instid0(VALU_DEP_2)
	v_mov_b64_e32 v[6:7], v[20:21]
; %bb.121:
	s_or_b32 exec_lo, exec_lo, s0
	v_mul_u64_e32 v[20:21], s[16:17], v[4:5]
	v_mul_u64_e32 v[22:23], s[16:17], v[2:3]
	s_mov_b32 s15, 0
	s_mov_b64 s[6:7], s[16:17]
                                        ; implicit-def: $sgpr14
                                        ; implicit-def: $sgpr22
                                        ; implicit-def: $sgpr24
                                        ; implicit-def: $sgpr23
                                        ; implicit-def: $sgpr25
	s_delay_alu instid0(VALU_DEP_2) | instskip(NEXT) | instid1(VALU_DEP_2)
	v_lshl_add_u64 v[20:21], v[20:21], 3, s[18:19]
	v_lshl_add_u64 v[22:23], v[22:23], 3, s[18:19]
	s_branch .LBB1605_123
.LBB1605_122:                           ;   in Loop: Header=BB1605_123 Depth=1
	s_or_b32 exec_lo, exec_lo, s26
	s_and_b32 s0, s0, s25
	s_delay_alu instid0(SALU_CYCLE_1) | instskip(SKIP_1) | instid1(SALU_CYCLE_1)
	s_or_b32 s0, vcc_lo, s0
	s_and_b32 s1, exec_lo, s24
	s_or_b32 s15, s1, s15
	s_and_not1_b32 s1, s25, exec_lo
	s_and_b32 s0, s0, exec_lo
	s_and_not1_b32 s22, s22, exec_lo
	s_and_b32 s26, s23, exec_lo
	s_or_b32 s25, s1, s0
	s_and_not1_b32 s1, s14, exec_lo
	s_or_b32 s22, s22, s26
	s_or_b32 s14, s1, s0
	s_and_not1_b32 exec_lo, exec_lo, s15
	s_cbranch_execz .LBB1605_125
.LBB1605_123:                           ; =>This Inner Loop Header: Depth=1
	global_load_b64 v[26:27], v[20:21], off
	global_load_b64 v[28:29], v[22:23], off
	s_or_b32 s23, s23, exec_lo
	s_or_b32 s24, s24, exec_lo
	s_mov_b32 s26, exec_lo
	s_wait_loadcnt 0x0
	v_cmp_le_u64_e64 s0, v[26:27], v[28:29]
	v_cmp_lt_u64_e32 vcc_lo, v[26:27], v[28:29]
	v_cmpx_eq_u64_e64 v[26:27], v[28:29]
	s_cbranch_execz .LBB1605_122
; %bb.124:                              ;   in Loop: Header=BB1605_123 Depth=1
	s_add_nc_u64 s[6:7], s[6:7], -1
	v_add_nc_u64_e32 v[20:21], 8, v[20:21]
	s_cmp_eq_u64 s[6:7], 0
	v_add_nc_u64_e32 v[22:23], 8, v[22:23]
	s_cselect_b32 s1, -1, 0
	s_and_not1_b32 s24, s24, exec_lo
	s_and_b32 s1, s1, exec_lo
	s_and_not1_b32 s23, s23, exec_lo
	s_or_b32 s24, s24, s1
	s_branch .LBB1605_122
.LBB1605_125:
	s_or_b32 exec_lo, exec_lo, s15
	s_and_saveexec_b32 s0, s22
	s_delay_alu instid0(SALU_CYCLE_1)
	s_xor_b32 s0, exec_lo, s0
; %bb.126:
	v_dual_cndmask_b32 v21, v3, v5, s14 :: v_dual_cndmask_b32 v20, v2, v4, s14
	v_dual_cndmask_b32 v5, v5, v3, s14 :: v_dual_cndmask_b32 v4, v4, v2, s14
	s_delay_alu instid0(VALU_DEP_2)
	v_mov_b64_e32 v[2:3], v[20:21]
; %bb.127:
	s_or_b32 exec_lo, exec_lo, s0
	v_mul_u64_e32 v[20:21], s[16:17], v[10:11]
	v_mul_u64_e32 v[22:23], s[16:17], v[16:17]
	s_mov_b32 s15, 0
	s_mov_b64 s[6:7], s[16:17]
                                        ; implicit-def: $sgpr14
                                        ; implicit-def: $sgpr22
                                        ; implicit-def: $sgpr24
                                        ; implicit-def: $sgpr23
                                        ; implicit-def: $sgpr25
	s_delay_alu instid0(VALU_DEP_2) | instskip(NEXT) | instid1(VALU_DEP_2)
	v_lshl_add_u64 v[20:21], v[20:21], 3, s[18:19]
	;; [unrolled: 64-line block ×11, first 2 shown]
	v_lshl_add_u64 v[22:23], v[22:23], 3, s[18:19]
	s_branch .LBB1605_183
.LBB1605_182:                           ;   in Loop: Header=BB1605_183 Depth=1
	s_or_b32 exec_lo, exec_lo, s26
	s_and_b32 s0, s0, s25
	s_delay_alu instid0(SALU_CYCLE_1) | instskip(SKIP_1) | instid1(SALU_CYCLE_1)
	s_or_b32 s0, vcc_lo, s0
	s_and_b32 s1, exec_lo, s24
	s_or_b32 s15, s1, s15
	s_and_not1_b32 s1, s25, exec_lo
	s_and_b32 s0, s0, exec_lo
	s_and_not1_b32 s22, s22, exec_lo
	s_and_b32 s26, s23, exec_lo
	s_or_b32 s25, s1, s0
	s_and_not1_b32 s1, s14, exec_lo
	s_or_b32 s22, s22, s26
	s_or_b32 s14, s1, s0
	s_and_not1_b32 exec_lo, exec_lo, s15
	s_cbranch_execz .LBB1605_185
.LBB1605_183:                           ; =>This Inner Loop Header: Depth=1
	global_load_b64 v[26:27], v[20:21], off
	global_load_b64 v[28:29], v[22:23], off
	s_or_b32 s23, s23, exec_lo
	s_or_b32 s24, s24, exec_lo
	s_mov_b32 s26, exec_lo
	s_wait_loadcnt 0x0
	v_cmp_le_u64_e64 s0, v[26:27], v[28:29]
	v_cmp_lt_u64_e32 vcc_lo, v[26:27], v[28:29]
	v_cmpx_eq_u64_e64 v[26:27], v[28:29]
	s_cbranch_execz .LBB1605_182
; %bb.184:                              ;   in Loop: Header=BB1605_183 Depth=1
	s_add_nc_u64 s[6:7], s[6:7], -1
	v_add_nc_u64_e32 v[20:21], 8, v[20:21]
	s_cmp_eq_u64 s[6:7], 0
	v_add_nc_u64_e32 v[22:23], 8, v[22:23]
	s_cselect_b32 s1, -1, 0
	s_and_not1_b32 s24, s24, exec_lo
	s_and_b32 s1, s1, exec_lo
	s_and_not1_b32 s23, s23, exec_lo
	s_or_b32 s24, s24, s1
	s_branch .LBB1605_182
.LBB1605_185:
	s_or_b32 exec_lo, exec_lo, s15
	s_and_saveexec_b32 s0, s22
	s_delay_alu instid0(SALU_CYCLE_1)
	s_xor_b32 s0, exec_lo, s0
; %bb.186:
	v_dual_cndmask_b32 v21, v9, v3, s14 :: v_dual_cndmask_b32 v20, v8, v2, s14
	v_dual_cndmask_b32 v3, v3, v9, s14 :: v_dual_cndmask_b32 v2, v2, v8, s14
	s_delay_alu instid0(VALU_DEP_2)
	v_mov_b64_e32 v[8:9], v[20:21]
; %bb.187:
	s_or_b32 exec_lo, exec_lo, s0
.LBB1605_188:
	s_delay_alu instid0(SALU_CYCLE_1) | instskip(SKIP_4) | instid1(VALU_DEP_1)
	s_or_b32 exec_lo, exec_lo, s5
	v_mbcnt_lo_u32_b32 v20, -1, 0
	v_and_b32_e32 v21, 0xffffff00, v24
	s_mov_b32 s1, 0
	s_mov_b32 s5, exec_lo
	v_dual_lshlrev_b32 v48, 3, v20 :: v_dual_lshlrev_b32 v46, 3, v21
	v_sub_nc_u32_e64 v47, 0x800, v21 clamp
	s_delay_alu instid0(VALU_DEP_2) | instskip(SKIP_1) | instid1(VALU_DEP_4)
	v_or_b32_e32 v22, 8, v48
	v_and_b32_e32 v26, 0xf0, v48
	v_lshl_or_b32 v49, v20, 6, v46
	ds_store_b128 v49, v[14:17]
	ds_store_b128 v49, v[10:13] offset:16
	v_min_u32_e32 v50, v47, v22
	v_and_b32_e32 v22, 8, v48
	v_lshl_or_b32 v25, v26, 3, v46
	ds_store_b128 v49, v[6:9] offset:32
	ds_store_b128 v49, v[2:5] offset:48
	v_add_min_u32_e64 v51, v50, 8, v47
	v_min_u32_e32 v27, v47, v22
	v_sub_nc_u32_e32 v22, v50, v26
	; wave barrier
	s_delay_alu instid0(VALU_DEP_3) | instskip(NEXT) | instid1(VALU_DEP_2)
	v_sub_nc_u32_e32 v21, v51, v50
	v_min_u32_e32 v28, v27, v22
	s_delay_alu instid0(VALU_DEP_2) | instskip(NEXT) | instid1(VALU_DEP_1)
	v_sub_nc_u32_e64 v24, v27, v21 clamp
	v_cmpx_lt_u32_e64 v24, v28
	s_cbranch_execz .LBB1605_199
; %bb.189:
	v_dual_lshlrev_b32 v20, 3, v50 :: v_dual_lshlrev_b32 v21, 3, v27
	s_lshl_b64 s[6:7], s[16:17], 3
	s_delay_alu instid0(VALU_DEP_1)
	v_add3_u32 v29, v46, v20, v21
	s_branch .LBB1605_192
.LBB1605_190:                           ;   in Loop: Header=BB1605_192 Depth=1
	s_or_b32 exec_lo, exec_lo, s23
.LBB1605_191:                           ;   in Loop: Header=BB1605_192 Depth=1
	s_delay_alu instid0(VALU_DEP_1) | instskip(NEXT) | instid1(VALU_DEP_1)
	v_dual_add_nc_u32 v20, 1, v30 :: v_dual_cndmask_b32 v28, v28, v30, s22
	v_cndmask_b32_e64 v24, v20, v24, s22
	s_delay_alu instid0(VALU_DEP_1) | instskip(SKIP_1) | instid1(SALU_CYCLE_1)
	v_cmp_ge_u32_e32 vcc_lo, v24, v28
	s_or_b32 s1, vcc_lo, s1
	s_and_not1_b32 exec_lo, exec_lo, s1
	s_cbranch_execz .LBB1605_198
.LBB1605_192:                           ; =>This Loop Header: Depth=1
                                        ;     Child Loop BB1605_195 Depth 2
	v_add_nc_u32_e32 v20, v28, v24
	v_cmp_ne_u32_e32 vcc_lo, 1, v45
	s_delay_alu instid0(VALU_DEP_2)
	v_lshrrev_b32_e32 v30, 1, v20
	s_cbranch_vccnz .LBB1605_197
; %bb.193:                              ;   in Loop: Header=BB1605_192 Depth=1
	s_delay_alu instid0(VALU_DEP_1) | instskip(SKIP_3) | instid1(VALU_DEP_2)
	v_not_b32_e32 v20, v30
	v_lshl_add_u32 v21, v30, 3, v25
	s_mov_b32 s23, 0
	s_mov_b64 s[14:15], s[16:17]
                                        ; implicit-def: $sgpr22
                                        ; implicit-def: $sgpr24
                                        ; implicit-def: $sgpr25
                                        ; implicit-def: $sgpr26
	v_lshl_add_u32 v20, v20, 3, v29
	ds_load_b64 v[32:33], v20
	ds_load_b64 v[34:35], v21
	s_wait_dscnt 0x1
	v_mad_nc_u64_u32 v[20:21], s6, v32, s[18:19]
	s_wait_dscnt 0x0
	v_mad_nc_u64_u32 v[22:23], s6, v34, s[18:19]
	s_delay_alu instid0(VALU_DEP_2) | instskip(NEXT) | instid1(VALU_DEP_2)
	v_mad_u32 v21, s7, v32, v21
	v_mad_u32 v23, s7, v34, v23
	s_delay_alu instid0(VALU_DEP_2) | instskip(NEXT) | instid1(VALU_DEP_2)
	v_mad_u32 v21, s6, v33, v21
	v_mad_u32 v23, s6, v35, v23
	s_branch .LBB1605_195
.LBB1605_194:                           ;   in Loop: Header=BB1605_195 Depth=2
	s_or_b32 exec_lo, exec_lo, s27
	s_delay_alu instid0(SALU_CYCLE_1) | instskip(NEXT) | instid1(SALU_CYCLE_1)
	s_and_b32 s27, exec_lo, s24
	s_or_b32 s23, s27, s23
	s_and_not1_b32 s26, s26, exec_lo
	s_and_b32 s0, s0, exec_lo
	s_and_not1_b32 s22, s22, exec_lo
	s_and_b32 s27, s25, exec_lo
	s_or_b32 s26, s26, s0
	s_or_b32 s22, s22, s27
	s_and_not1_b32 exec_lo, exec_lo, s23
	s_cbranch_execz .LBB1605_190
.LBB1605_195:                           ;   Parent Loop BB1605_192 Depth=1
                                        ; =>  This Inner Loop Header: Depth=2
	global_load_b64 v[32:33], v[20:21], off
	global_load_b64 v[34:35], v[22:23], off
	s_and_not1_b32 s25, s25, exec_lo
	s_or_b32 s24, s24, exec_lo
	s_wait_loadcnt 0x0
	v_cmp_le_u64_e32 vcc_lo, v[32:33], v[34:35]
	v_cmp_lt_u64_e64 s0, v[32:33], v[34:35]
	s_and_b32 s27, vcc_lo, s26
	s_delay_alu instid0(SALU_CYCLE_1) | instskip(NEXT) | instid1(SALU_CYCLE_1)
	s_or_b32 s0, s0, s27
	s_and_b32 s27, s0, exec_lo
	s_delay_alu instid0(SALU_CYCLE_1)
	s_or_b32 s25, s25, s27
	s_mov_b32 s27, exec_lo
	v_cmpx_eq_u64_e64 v[32:33], v[34:35]
	s_cbranch_execz .LBB1605_194
; %bb.196:                              ;   in Loop: Header=BB1605_195 Depth=2
	s_add_nc_u64 s[14:15], s[14:15], -1
	v_add_nc_u64_e32 v[20:21], 8, v[20:21]
	s_cmp_eq_u64 s[14:15], 0
	v_add_nc_u64_e32 v[22:23], 8, v[22:23]
	s_cselect_b32 s26, -1, 0
	s_and_not1_b32 s24, s24, exec_lo
	s_and_b32 s26, s26, exec_lo
	s_and_not1_b32 s25, s25, exec_lo
	s_or_b32 s24, s24, s26
                                        ; implicit-def: $sgpr26
	s_branch .LBB1605_194
.LBB1605_197:                           ;   in Loop: Header=BB1605_192 Depth=1
	s_mov_b32 s22, 0
	s_branch .LBB1605_191
.LBB1605_198:
	s_or_b32 exec_lo, exec_lo, s1
.LBB1605_199:
	s_delay_alu instid0(SALU_CYCLE_1) | instskip(SKIP_1) | instid1(VALU_DEP_1)
	s_or_b32 exec_lo, exec_lo, s5
	v_dual_add_nc_u32 v21, v50, v27 :: v_dual_add_nc_u32 v20, v24, v26
	v_sub_nc_u32_e32 v21, v21, v24
	s_delay_alu instid0(VALU_DEP_2) | instskip(NEXT) | instid1(VALU_DEP_2)
	v_cmp_le_u32_e32 vcc_lo, v20, v50
	v_cmp_le_u32_e64 s0, v21, v51
	s_or_b32 s0, vcc_lo, s0
	s_delay_alu instid0(SALU_CYCLE_1)
	s_and_saveexec_b32 s1, s0
	s_cbranch_execz .LBB1605_290
; %bb.200:
	s_mov_b32 s5, exec_lo
	v_cmp_ge_u32_e32 vcc_lo, v20, v50
                                        ; implicit-def: $vgpr2_vgpr3
	v_cmpx_lt_u32_e64 v20, v50
; %bb.201:
	v_lshl_add_u32 v2, v24, 3, v25
	ds_load_b64 v[2:3], v2
; %bb.202:
	s_or_b32 exec_lo, exec_lo, s5
	v_cmp_ge_u32_e64 s5, v21, v51
	s_mov_b32 s6, exec_lo
                                        ; implicit-def: $vgpr4_vgpr5
	v_cmpx_lt_u32_e64 v21, v51
; %bb.203:
	v_lshl_add_u32 v4, v21, 3, v46
	ds_load_b64 v[4:5], v4
; %bb.204:
	s_or_b32 exec_lo, exec_lo, s6
	s_nor_b32 s0, vcc_lo, s5
	s_delay_alu instid0(SALU_CYCLE_1)
	s_and_saveexec_b32 s14, s0
	s_cbranch_execz .LBB1605_213
; %bb.205:
	v_cmp_ne_u32_e32 vcc_lo, 1, v45
	s_cbranch_vccnz .LBB1605_211
; %bb.206:
	s_wait_dscnt 0x0
	v_mul_u64_e32 v[6:7], s[16:17], v[4:5]
	v_mul_u64_e32 v[8:9], s[16:17], v[2:3]
	s_mov_b32 s15, 0
	s_mov_b64 s[6:7], s[16:17]
                                        ; implicit-def: $sgpr22
                                        ; implicit-def: $sgpr23
                                        ; implicit-def: $sgpr24
                                        ; implicit-def: $sgpr25
	s_delay_alu instid0(VALU_DEP_2) | instskip(NEXT) | instid1(VALU_DEP_2)
	v_lshl_add_u64 v[6:7], v[6:7], 3, s[18:19]
	v_lshl_add_u64 v[8:9], v[8:9], 3, s[18:19]
	s_branch .LBB1605_208
.LBB1605_207:                           ;   in Loop: Header=BB1605_208 Depth=1
	s_or_b32 exec_lo, exec_lo, s26
	s_delay_alu instid0(SALU_CYCLE_1) | instskip(NEXT) | instid1(SALU_CYCLE_1)
	s_and_b32 s26, exec_lo, s23
	s_or_b32 s15, s26, s15
	s_and_not1_b32 s25, s25, exec_lo
	s_and_b32 s0, s0, exec_lo
	s_and_not1_b32 s22, s22, exec_lo
	s_and_b32 s26, s24, exec_lo
	s_or_b32 s25, s25, s0
	s_or_b32 s22, s22, s26
	s_and_not1_b32 exec_lo, exec_lo, s15
	s_cbranch_execz .LBB1605_210
.LBB1605_208:                           ; =>This Inner Loop Header: Depth=1
	global_load_b64 v[10:11], v[6:7], off
	global_load_b64 v[12:13], v[8:9], off
	s_and_not1_b32 s24, s24, exec_lo
	s_or_b32 s23, s23, exec_lo
	s_wait_loadcnt 0x0
	v_cmp_le_u64_e32 vcc_lo, v[10:11], v[12:13]
	v_cmp_lt_u64_e64 s0, v[10:11], v[12:13]
	s_and_b32 s26, vcc_lo, s25
	s_delay_alu instid0(SALU_CYCLE_1) | instskip(NEXT) | instid1(SALU_CYCLE_1)
	s_or_b32 s0, s0, s26
	s_and_b32 s26, s0, exec_lo
	s_delay_alu instid0(SALU_CYCLE_1)
	s_or_b32 s24, s24, s26
	s_mov_b32 s26, exec_lo
	v_cmpx_eq_u64_e64 v[10:11], v[12:13]
	s_cbranch_execz .LBB1605_207
; %bb.209:                              ;   in Loop: Header=BB1605_208 Depth=1
	s_add_nc_u64 s[6:7], s[6:7], -1
	v_add_nc_u64_e32 v[6:7], 8, v[6:7]
	s_cmp_eq_u64 s[6:7], 0
	v_add_nc_u64_e32 v[8:9], 8, v[8:9]
	s_cselect_b32 s25, -1, 0
	s_and_not1_b32 s23, s23, exec_lo
	s_and_b32 s25, s25, exec_lo
	s_and_not1_b32 s24, s24, exec_lo
	s_or_b32 s23, s23, s25
                                        ; implicit-def: $sgpr25
	s_branch .LBB1605_207
.LBB1605_210:
	s_or_b32 exec_lo, exec_lo, s15
	s_xor_b32 s0, s22, -1
	s_branch .LBB1605_212
.LBB1605_211:
	s_mov_b32 s0, -1
.LBB1605_212:
	s_and_not1_b32 s5, s5, exec_lo
	s_and_b32 s0, s0, exec_lo
	s_delay_alu instid0(SALU_CYCLE_1)
	s_or_b32 s5, s5, s0
.LBB1605_213:
	s_or_b32 exec_lo, exec_lo, s14
	v_dual_cndmask_b32 v6, v21, v20, s5 :: v_dual_cndmask_b32 v7, v51, v50, s5
	s_mov_b32 s15, -1
	s_mov_b32 s14, -1
	s_mov_b32 s22, exec_lo
	s_delay_alu instid0(VALU_DEP_1) | instskip(NEXT) | instid1(VALU_DEP_1)
	v_add_nc_u32_e32 v8, 1, v6
	v_add_min_u32_e64 v6, v7, -1, v8
	s_delay_alu instid0(VALU_DEP_1)
	v_lshl_add_u32 v6, v6, 3, v46
	ds_load_b64 v[6:7], v6
	s_wait_dscnt 0x0
	v_cndmask_b32_e64 v15, v7, v5, s5
	v_dual_cndmask_b32 v10, v8, v21, s5 :: v_dual_cndmask_b32 v14, v6, v4, s5
	v_dual_cndmask_b32 v11, v20, v8, s5 :: v_dual_cndmask_b32 v17, v3, v7, s5
	v_cndmask_b32_e64 v16, v2, v6, s5
	s_delay_alu instid0(VALU_DEP_3)
	v_cmpx_lt_u32_e64 v10, v51
	s_cbranch_execz .LBB1605_224
; %bb.214:
	s_mov_b32 s0, 0
	s_mov_b32 s14, exec_lo
	v_cmpx_lt_u32_e64 v11, v50
	s_cbranch_execz .LBB1605_223
; %bb.215:
	v_cmp_ne_u32_e32 vcc_lo, 1, v45
	s_cbranch_vccnz .LBB1605_221
; %bb.216:
	v_mul_u64_e32 v[6:7], s[16:17], v[14:15]
	v_mul_u64_e32 v[8:9], s[16:17], v[16:17]
	s_mov_b32 s23, 0
	s_mov_b64 s[6:7], s[16:17]
                                        ; implicit-def: $sgpr24
                                        ; implicit-def: $sgpr25
                                        ; implicit-def: $sgpr26
                                        ; implicit-def: $sgpr27
	s_delay_alu instid0(VALU_DEP_2) | instskip(NEXT) | instid1(VALU_DEP_2)
	v_lshl_add_u64 v[6:7], v[6:7], 3, s[18:19]
	v_lshl_add_u64 v[8:9], v[8:9], 3, s[18:19]
	s_branch .LBB1605_218
.LBB1605_217:                           ;   in Loop: Header=BB1605_218 Depth=1
	s_or_b32 exec_lo, exec_lo, s28
	s_delay_alu instid0(SALU_CYCLE_1) | instskip(NEXT) | instid1(SALU_CYCLE_1)
	s_and_b32 s28, exec_lo, s25
	s_or_b32 s23, s28, s23
	s_and_not1_b32 s27, s27, exec_lo
	s_and_b32 s0, s0, exec_lo
	s_and_not1_b32 s24, s24, exec_lo
	s_and_b32 s28, s26, exec_lo
	s_or_b32 s27, s27, s0
	s_or_b32 s24, s24, s28
	s_and_not1_b32 exec_lo, exec_lo, s23
	s_cbranch_execz .LBB1605_220
.LBB1605_218:                           ; =>This Inner Loop Header: Depth=1
	global_load_b64 v[12:13], v[6:7], off
	global_load_b64 v[20:21], v[8:9], off
	s_and_not1_b32 s26, s26, exec_lo
	s_or_b32 s25, s25, exec_lo
	s_wait_loadcnt 0x0
	v_cmp_le_u64_e32 vcc_lo, v[12:13], v[20:21]
	v_cmp_lt_u64_e64 s0, v[12:13], v[20:21]
	s_and_b32 s28, vcc_lo, s27
	s_delay_alu instid0(SALU_CYCLE_1) | instskip(NEXT) | instid1(SALU_CYCLE_1)
	s_or_b32 s0, s0, s28
	s_and_b32 s28, s0, exec_lo
	s_delay_alu instid0(SALU_CYCLE_1)
	s_or_b32 s26, s26, s28
	s_mov_b32 s28, exec_lo
	v_cmpx_eq_u64_e64 v[12:13], v[20:21]
	s_cbranch_execz .LBB1605_217
; %bb.219:                              ;   in Loop: Header=BB1605_218 Depth=1
	s_add_nc_u64 s[6:7], s[6:7], -1
	v_add_nc_u64_e32 v[6:7], 8, v[6:7]
	s_cmp_eq_u64 s[6:7], 0
	v_add_nc_u64_e32 v[8:9], 8, v[8:9]
	s_cselect_b32 s27, -1, 0
	s_and_not1_b32 s25, s25, exec_lo
	s_and_b32 s27, s27, exec_lo
	s_and_not1_b32 s26, s26, exec_lo
	s_or_b32 s25, s25, s27
                                        ; implicit-def: $sgpr27
	s_branch .LBB1605_217
.LBB1605_220:
	s_or_b32 exec_lo, exec_lo, s23
	s_xor_b32 s0, s24, -1
	s_branch .LBB1605_222
.LBB1605_221:
	s_mov_b32 s0, -1
.LBB1605_222:
	s_delay_alu instid0(SALU_CYCLE_1)
	s_and_b32 s0, s0, exec_lo
.LBB1605_223:
	s_or_b32 exec_lo, exec_lo, s14
	s_delay_alu instid0(SALU_CYCLE_1)
	s_or_not1_b32 s14, s0, exec_lo
.LBB1605_224:
	s_or_b32 exec_lo, exec_lo, s22
	v_dual_cndmask_b32 v6, v10, v11, s14 :: v_dual_cndmask_b32 v7, v51, v50, s14
	s_mov_b32 s22, exec_lo
	s_delay_alu instid0(VALU_DEP_1) | instskip(NEXT) | instid1(VALU_DEP_1)
	v_add_nc_u32_e32 v8, 1, v6
	v_add_min_u32_e64 v6, v7, -1, v8
	s_delay_alu instid0(VALU_DEP_1)
	v_lshl_add_u32 v6, v6, 3, v46
	ds_load_b64 v[6:7], v6
	v_cndmask_b32_e64 v13, v11, v8, s14
	s_wait_dscnt 0x0
	v_dual_cndmask_b32 v11, v7, v15, s14 :: v_dual_cndmask_b32 v12, v8, v10, s14
	v_dual_cndmask_b32 v21, v17, v7, s14 :: v_dual_cndmask_b32 v10, v6, v14, s14
	v_cndmask_b32_e64 v20, v16, v6, s14
	s_delay_alu instid0(VALU_DEP_3)
	v_cmpx_lt_u32_e64 v12, v51
	s_cbranch_execz .LBB1605_235
; %bb.225:
	s_mov_b32 s0, 0
	s_mov_b32 s15, exec_lo
	v_cmpx_lt_u32_e64 v13, v50
	s_cbranch_execz .LBB1605_234
; %bb.226:
	v_cmp_ne_u32_e32 vcc_lo, 1, v45
	s_cbranch_vccnz .LBB1605_232
; %bb.227:
	v_mul_u64_e32 v[6:7], s[16:17], v[10:11]
	v_mul_u64_e32 v[8:9], s[16:17], v[20:21]
	s_mov_b32 s23, 0
	s_mov_b64 s[6:7], s[16:17]
                                        ; implicit-def: $sgpr24
                                        ; implicit-def: $sgpr25
                                        ; implicit-def: $sgpr26
                                        ; implicit-def: $sgpr27
	s_delay_alu instid0(VALU_DEP_2) | instskip(NEXT) | instid1(VALU_DEP_2)
	v_lshl_add_u64 v[6:7], v[6:7], 3, s[18:19]
	v_lshl_add_u64 v[8:9], v[8:9], 3, s[18:19]
	s_branch .LBB1605_229
.LBB1605_228:                           ;   in Loop: Header=BB1605_229 Depth=1
	s_or_b32 exec_lo, exec_lo, s28
	s_delay_alu instid0(SALU_CYCLE_1) | instskip(NEXT) | instid1(SALU_CYCLE_1)
	s_and_b32 s28, exec_lo, s25
	s_or_b32 s23, s28, s23
	s_and_not1_b32 s27, s27, exec_lo
	s_and_b32 s0, s0, exec_lo
	s_and_not1_b32 s24, s24, exec_lo
	s_and_b32 s28, s26, exec_lo
	s_or_b32 s27, s27, s0
	s_or_b32 s24, s24, s28
	s_and_not1_b32 exec_lo, exec_lo, s23
	s_cbranch_execz .LBB1605_231
.LBB1605_229:                           ; =>This Inner Loop Header: Depth=1
	global_load_b64 v[22:23], v[6:7], off
	global_load_b64 v[24:25], v[8:9], off
	s_and_not1_b32 s26, s26, exec_lo
	s_or_b32 s25, s25, exec_lo
	s_wait_loadcnt 0x0
	v_cmp_le_u64_e32 vcc_lo, v[22:23], v[24:25]
	v_cmp_lt_u64_e64 s0, v[22:23], v[24:25]
	s_and_b32 s28, vcc_lo, s27
	s_delay_alu instid0(SALU_CYCLE_1) | instskip(NEXT) | instid1(SALU_CYCLE_1)
	s_or_b32 s0, s0, s28
	s_and_b32 s28, s0, exec_lo
	s_delay_alu instid0(SALU_CYCLE_1)
	s_or_b32 s26, s26, s28
	s_mov_b32 s28, exec_lo
	v_cmpx_eq_u64_e64 v[22:23], v[24:25]
	s_cbranch_execz .LBB1605_228
; %bb.230:                              ;   in Loop: Header=BB1605_229 Depth=1
	s_add_nc_u64 s[6:7], s[6:7], -1
	v_add_nc_u64_e32 v[6:7], 8, v[6:7]
	s_cmp_eq_u64 s[6:7], 0
	v_add_nc_u64_e32 v[8:9], 8, v[8:9]
	s_cselect_b32 s27, -1, 0
	s_and_not1_b32 s25, s25, exec_lo
	s_and_b32 s27, s27, exec_lo
	s_and_not1_b32 s26, s26, exec_lo
	s_or_b32 s25, s25, s27
                                        ; implicit-def: $sgpr27
	s_branch .LBB1605_228
.LBB1605_231:
	s_or_b32 exec_lo, exec_lo, s23
	s_xor_b32 s0, s24, -1
	s_branch .LBB1605_233
.LBB1605_232:
	s_mov_b32 s0, -1
.LBB1605_233:
	s_delay_alu instid0(SALU_CYCLE_1)
	s_and_b32 s0, s0, exec_lo
.LBB1605_234:
	s_or_b32 exec_lo, exec_lo, s15
	s_delay_alu instid0(SALU_CYCLE_1)
	s_or_not1_b32 s15, s0, exec_lo
.LBB1605_235:
	s_or_b32 exec_lo, exec_lo, s22
	v_dual_cndmask_b32 v6, v12, v13, s15 :: v_dual_cndmask_b32 v7, v51, v50, s15
	s_mov_b32 s23, -1
	s_mov_b32 s22, -1
	s_mov_b32 s24, exec_lo
	s_delay_alu instid0(VALU_DEP_1) | instskip(NEXT) | instid1(VALU_DEP_1)
	v_add_nc_u32_e32 v8, 1, v6
	v_add_min_u32_e64 v6, v7, -1, v8
	s_delay_alu instid0(VALU_DEP_1)
	v_lshl_add_u32 v6, v6, 3, v46
	ds_load_b64 v[6:7], v6
	s_wait_dscnt 0x0
	v_dual_cndmask_b32 v25, v13, v8, s15 :: v_dual_cndmask_b32 v22, v20, v6, s15
	v_dual_cndmask_b32 v13, v7, v11, s15 :: v_dual_cndmask_b32 v24, v8, v12, s15
	;; [unrolled: 1-line block ×3, first 2 shown]
	s_delay_alu instid0(VALU_DEP_2)
	v_cmpx_lt_u32_e64 v24, v51
	s_cbranch_execz .LBB1605_246
; %bb.236:
	s_mov_b32 s0, 0
	s_mov_b32 s22, exec_lo
	v_cmpx_lt_u32_e64 v25, v50
	s_cbranch_execz .LBB1605_245
; %bb.237:
	v_cmp_ne_u32_e32 vcc_lo, 1, v45
	s_cbranch_vccnz .LBB1605_243
; %bb.238:
	v_mul_u64_e32 v[6:7], s[16:17], v[12:13]
	v_mul_u64_e32 v[8:9], s[16:17], v[22:23]
	s_mov_b32 s25, 0
	s_mov_b64 s[6:7], s[16:17]
                                        ; implicit-def: $sgpr26
                                        ; implicit-def: $sgpr27
                                        ; implicit-def: $sgpr28
                                        ; implicit-def: $sgpr29
	s_delay_alu instid0(VALU_DEP_2) | instskip(NEXT) | instid1(VALU_DEP_2)
	v_lshl_add_u64 v[6:7], v[6:7], 3, s[18:19]
	v_lshl_add_u64 v[8:9], v[8:9], 3, s[18:19]
	s_branch .LBB1605_240
.LBB1605_239:                           ;   in Loop: Header=BB1605_240 Depth=1
	s_or_b32 exec_lo, exec_lo, s30
	s_delay_alu instid0(SALU_CYCLE_1) | instskip(NEXT) | instid1(SALU_CYCLE_1)
	s_and_b32 s30, exec_lo, s27
	s_or_b32 s25, s30, s25
	s_and_not1_b32 s29, s29, exec_lo
	s_and_b32 s0, s0, exec_lo
	s_and_not1_b32 s26, s26, exec_lo
	s_and_b32 s30, s28, exec_lo
	s_or_b32 s29, s29, s0
	s_or_b32 s26, s26, s30
	s_and_not1_b32 exec_lo, exec_lo, s25
	s_cbranch_execz .LBB1605_242
.LBB1605_240:                           ; =>This Inner Loop Header: Depth=1
	global_load_b64 v[26:27], v[6:7], off
	global_load_b64 v[28:29], v[8:9], off
	s_and_not1_b32 s28, s28, exec_lo
	s_or_b32 s27, s27, exec_lo
	s_wait_loadcnt 0x0
	v_cmp_le_u64_e32 vcc_lo, v[26:27], v[28:29]
	v_cmp_lt_u64_e64 s0, v[26:27], v[28:29]
	s_and_b32 s30, vcc_lo, s29
	s_delay_alu instid0(SALU_CYCLE_1) | instskip(NEXT) | instid1(SALU_CYCLE_1)
	s_or_b32 s0, s0, s30
	s_and_b32 s30, s0, exec_lo
	s_delay_alu instid0(SALU_CYCLE_1)
	s_or_b32 s28, s28, s30
	s_mov_b32 s30, exec_lo
	v_cmpx_eq_u64_e64 v[26:27], v[28:29]
	s_cbranch_execz .LBB1605_239
; %bb.241:                              ;   in Loop: Header=BB1605_240 Depth=1
	s_add_nc_u64 s[6:7], s[6:7], -1
	v_add_nc_u64_e32 v[6:7], 8, v[6:7]
	s_cmp_eq_u64 s[6:7], 0
	v_add_nc_u64_e32 v[8:9], 8, v[8:9]
	s_cselect_b32 s29, -1, 0
	s_and_not1_b32 s27, s27, exec_lo
	s_and_b32 s29, s29, exec_lo
	s_and_not1_b32 s28, s28, exec_lo
	s_or_b32 s27, s27, s29
                                        ; implicit-def: $sgpr29
	s_branch .LBB1605_239
.LBB1605_242:
	s_or_b32 exec_lo, exec_lo, s25
	s_xor_b32 s0, s26, -1
	s_branch .LBB1605_244
.LBB1605_243:
	s_mov_b32 s0, -1
.LBB1605_244:
	s_delay_alu instid0(SALU_CYCLE_1)
	s_and_b32 s0, s0, exec_lo
.LBB1605_245:
	s_or_b32 exec_lo, exec_lo, s22
	s_delay_alu instid0(SALU_CYCLE_1)
	s_or_not1_b32 s22, s0, exec_lo
.LBB1605_246:
	s_or_b32 exec_lo, exec_lo, s24
	v_dual_cndmask_b32 v6, v24, v25, s22 :: v_dual_cndmask_b32 v7, v51, v50, s22
	s_mov_b32 s24, exec_lo
	s_delay_alu instid0(VALU_DEP_1) | instskip(NEXT) | instid1(VALU_DEP_1)
	v_add_nc_u32_e32 v6, 1, v6
	v_add_min_u32_e64 v7, v7, -1, v6
	s_delay_alu instid0(VALU_DEP_1)
	v_lshl_add_u32 v7, v7, 3, v46
	ds_load_b64 v[8:9], v7
	s_wait_dscnt 0x0
	v_dual_cndmask_b32 v7, v9, v13, s22 :: v_dual_cndmask_b32 v28, v6, v24, s22
	v_dual_cndmask_b32 v29, v25, v6, s22 :: v_dual_cndmask_b32 v6, v8, v12, s22
	;; [unrolled: 1-line block ×3, first 2 shown]
	s_delay_alu instid0(VALU_DEP_3)
	v_cmpx_lt_u32_e64 v28, v51
	s_cbranch_execz .LBB1605_257
; %bb.247:
	s_mov_b32 s0, 0
	s_mov_b32 s23, exec_lo
	v_cmpx_lt_u32_e64 v29, v50
	s_cbranch_execz .LBB1605_256
; %bb.248:
	v_cmp_ne_u32_e32 vcc_lo, 1, v45
	s_cbranch_vccnz .LBB1605_254
; %bb.249:
	v_mul_u64_e32 v[8:9], s[16:17], v[6:7]
	v_mul_u64_e32 v[26:27], s[16:17], v[24:25]
	s_mov_b32 s25, 0
	s_mov_b64 s[6:7], s[16:17]
                                        ; implicit-def: $sgpr26
                                        ; implicit-def: $sgpr27
                                        ; implicit-def: $sgpr28
                                        ; implicit-def: $sgpr29
	s_delay_alu instid0(VALU_DEP_2) | instskip(NEXT) | instid1(VALU_DEP_2)
	v_lshl_add_u64 v[8:9], v[8:9], 3, s[18:19]
	v_lshl_add_u64 v[26:27], v[26:27], 3, s[18:19]
	s_branch .LBB1605_251
.LBB1605_250:                           ;   in Loop: Header=BB1605_251 Depth=1
	s_or_b32 exec_lo, exec_lo, s30
	s_delay_alu instid0(SALU_CYCLE_1) | instskip(NEXT) | instid1(SALU_CYCLE_1)
	s_and_b32 s30, exec_lo, s27
	s_or_b32 s25, s30, s25
	s_and_not1_b32 s29, s29, exec_lo
	s_and_b32 s0, s0, exec_lo
	s_and_not1_b32 s26, s26, exec_lo
	s_and_b32 s30, s28, exec_lo
	s_or_b32 s29, s29, s0
	s_or_b32 s26, s26, s30
	s_and_not1_b32 exec_lo, exec_lo, s25
	s_cbranch_execz .LBB1605_253
.LBB1605_251:                           ; =>This Inner Loop Header: Depth=1
	global_load_b64 v[30:31], v[8:9], off
	global_load_b64 v[32:33], v[26:27], off
	s_and_not1_b32 s28, s28, exec_lo
	s_or_b32 s27, s27, exec_lo
	s_wait_loadcnt 0x0
	v_cmp_le_u64_e32 vcc_lo, v[30:31], v[32:33]
	v_cmp_lt_u64_e64 s0, v[30:31], v[32:33]
	s_and_b32 s30, vcc_lo, s29
	s_delay_alu instid0(SALU_CYCLE_1) | instskip(NEXT) | instid1(SALU_CYCLE_1)
	s_or_b32 s0, s0, s30
	s_and_b32 s30, s0, exec_lo
	s_delay_alu instid0(SALU_CYCLE_1)
	s_or_b32 s28, s28, s30
	s_mov_b32 s30, exec_lo
	v_cmpx_eq_u64_e64 v[30:31], v[32:33]
	s_cbranch_execz .LBB1605_250
; %bb.252:                              ;   in Loop: Header=BB1605_251 Depth=1
	s_add_nc_u64 s[6:7], s[6:7], -1
	v_add_nc_u64_e32 v[8:9], 8, v[8:9]
	s_cmp_eq_u64 s[6:7], 0
	v_add_nc_u64_e32 v[26:27], 8, v[26:27]
	s_cselect_b32 s29, -1, 0
	s_and_not1_b32 s27, s27, exec_lo
	s_and_b32 s29, s29, exec_lo
	s_and_not1_b32 s28, s28, exec_lo
	s_or_b32 s27, s27, s29
                                        ; implicit-def: $sgpr29
	s_branch .LBB1605_250
.LBB1605_253:
	s_or_b32 exec_lo, exec_lo, s25
	s_xor_b32 s0, s26, -1
	s_branch .LBB1605_255
.LBB1605_254:
	s_mov_b32 s0, -1
.LBB1605_255:
	s_delay_alu instid0(SALU_CYCLE_1)
	s_and_b32 s0, s0, exec_lo
.LBB1605_256:
	s_or_b32 exec_lo, exec_lo, s23
	s_delay_alu instid0(SALU_CYCLE_1)
	s_or_not1_b32 s23, s0, exec_lo
.LBB1605_257:
	s_or_b32 exec_lo, exec_lo, s24
	v_dual_cndmask_b32 v8, v28, v29, s23 :: v_dual_cndmask_b32 v9, v51, v50, s23
	s_mov_b32 s24, -1
	s_mov_b32 s25, -1
	s_mov_b32 s26, exec_lo
	s_delay_alu instid0(VALU_DEP_1) | instskip(NEXT) | instid1(VALU_DEP_1)
	v_add_nc_u32_e32 v8, 1, v8
	v_add_min_u32_e64 v9, v9, -1, v8
	s_delay_alu instid0(VALU_DEP_1)
	v_lshl_add_u32 v9, v9, 3, v46
	ds_load_b64 v[26:27], v9
	s_wait_dscnt 0x0
	v_dual_cndmask_b32 v9, v27, v7, s23 :: v_dual_cndmask_b32 v32, v8, v28, s23
	v_dual_cndmask_b32 v33, v29, v8, s23 :: v_dual_cndmask_b32 v8, v26, v6, s23
	v_dual_cndmask_b32 v27, v25, v27, s23 :: v_dual_cndmask_b32 v26, v24, v26, s23
	s_delay_alu instid0(VALU_DEP_3)
	v_cmpx_lt_u32_e64 v32, v51
	s_cbranch_execz .LBB1605_268
; %bb.258:
	s_mov_b32 s0, 0
	s_mov_b32 s25, exec_lo
	v_cmpx_lt_u32_e64 v33, v50
	s_cbranch_execz .LBB1605_267
; %bb.259:
	v_cmp_ne_u32_e32 vcc_lo, 1, v45
	s_cbranch_vccnz .LBB1605_265
; %bb.260:
	v_mul_u64_e32 v[28:29], s[16:17], v[8:9]
	v_mul_u64_e32 v[30:31], s[16:17], v[26:27]
	s_mov_b32 s27, 0
	s_mov_b64 s[6:7], s[16:17]
                                        ; implicit-def: $sgpr28
                                        ; implicit-def: $sgpr29
                                        ; implicit-def: $sgpr30
                                        ; implicit-def: $sgpr31
	s_delay_alu instid0(VALU_DEP_2) | instskip(NEXT) | instid1(VALU_DEP_2)
	v_lshl_add_u64 v[28:29], v[28:29], 3, s[18:19]
	v_lshl_add_u64 v[30:31], v[30:31], 3, s[18:19]
	s_branch .LBB1605_262
.LBB1605_261:                           ;   in Loop: Header=BB1605_262 Depth=1
	s_or_b32 exec_lo, exec_lo, s33
	s_delay_alu instid0(SALU_CYCLE_1) | instskip(NEXT) | instid1(SALU_CYCLE_1)
	s_and_b32 s33, exec_lo, s29
	s_or_b32 s27, s33, s27
	s_and_not1_b32 s31, s31, exec_lo
	s_and_b32 s0, s0, exec_lo
	s_and_not1_b32 s28, s28, exec_lo
	s_and_b32 s33, s30, exec_lo
	s_or_b32 s31, s31, s0
	s_or_b32 s28, s28, s33
	s_and_not1_b32 exec_lo, exec_lo, s27
	s_cbranch_execz .LBB1605_264
.LBB1605_262:                           ; =>This Inner Loop Header: Depth=1
	global_load_b64 v[34:35], v[28:29], off
	global_load_b64 v[52:53], v[30:31], off
	s_and_not1_b32 s30, s30, exec_lo
	s_or_b32 s29, s29, exec_lo
	s_wait_loadcnt 0x0
	v_cmp_le_u64_e32 vcc_lo, v[34:35], v[52:53]
	v_cmp_lt_u64_e64 s0, v[34:35], v[52:53]
	s_and_b32 s33, vcc_lo, s31
	s_delay_alu instid0(SALU_CYCLE_1) | instskip(NEXT) | instid1(SALU_CYCLE_1)
	s_or_b32 s0, s0, s33
	s_and_b32 s33, s0, exec_lo
	s_delay_alu instid0(SALU_CYCLE_1)
	s_or_b32 s30, s30, s33
	s_mov_b32 s33, exec_lo
	v_cmpx_eq_u64_e64 v[34:35], v[52:53]
	s_cbranch_execz .LBB1605_261
; %bb.263:                              ;   in Loop: Header=BB1605_262 Depth=1
	s_add_nc_u64 s[6:7], s[6:7], -1
	v_add_nc_u64_e32 v[28:29], 8, v[28:29]
	s_cmp_eq_u64 s[6:7], 0
	v_add_nc_u64_e32 v[30:31], 8, v[30:31]
	s_cselect_b32 s31, -1, 0
	s_and_not1_b32 s29, s29, exec_lo
	s_and_b32 s31, s31, exec_lo
	s_and_not1_b32 s30, s30, exec_lo
	s_or_b32 s29, s29, s31
                                        ; implicit-def: $sgpr31
	s_branch .LBB1605_261
.LBB1605_264:
	s_or_b32 exec_lo, exec_lo, s27
	s_xor_b32 s0, s28, -1
	s_branch .LBB1605_266
.LBB1605_265:
	s_mov_b32 s0, -1
.LBB1605_266:
	s_delay_alu instid0(SALU_CYCLE_1)
	s_and_b32 s0, s0, exec_lo
.LBB1605_267:
	s_or_b32 exec_lo, exec_lo, s25
	s_delay_alu instid0(SALU_CYCLE_1)
	s_or_not1_b32 s25, s0, exec_lo
.LBB1605_268:
	s_or_b32 exec_lo, exec_lo, s26
	v_dual_cndmask_b32 v28, v32, v33, s25 :: v_dual_cndmask_b32 v29, v51, v50, s25
	s_mov_b32 s26, exec_lo
	s_delay_alu instid0(VALU_DEP_1) | instskip(NEXT) | instid1(VALU_DEP_1)
	v_add_nc_u32_e32 v28, 1, v28
	v_add_min_u32_e64 v29, v29, -1, v28
	s_delay_alu instid0(VALU_DEP_1)
	v_lshl_add_u32 v29, v29, 3, v46
	ds_load_b64 v[30:31], v29
	s_wait_dscnt 0x0
	v_dual_cndmask_b32 v29, v31, v9, s25 :: v_dual_cndmask_b32 v53, v28, v32, s25
	v_dual_cndmask_b32 v31, v27, v31, s25 :: v_dual_cndmask_b32 v52, v33, v28, s25
	v_cndmask_b32_e64 v28, v30, v8, s25
	v_cndmask_b32_e64 v30, v26, v30, s25
	s_delay_alu instid0(VALU_DEP_4)
	v_cmpx_lt_u32_e64 v53, v51
	s_cbranch_execz .LBB1605_279
; %bb.269:
	s_mov_b32 s0, 0
	s_mov_b32 s24, exec_lo
	v_cmpx_lt_u32_e64 v52, v50
	s_cbranch_execz .LBB1605_278
; %bb.270:
	v_cmp_ne_u32_e32 vcc_lo, 1, v45
	s_cbranch_vccnz .LBB1605_276
; %bb.271:
	v_mul_u64_e32 v[32:33], s[16:17], v[28:29]
	v_mul_u64_e32 v[34:35], s[16:17], v[30:31]
	s_mov_b32 s27, 0
	s_mov_b64 s[6:7], s[16:17]
                                        ; implicit-def: $sgpr28
                                        ; implicit-def: $sgpr29
                                        ; implicit-def: $sgpr30
                                        ; implicit-def: $sgpr31
	s_delay_alu instid0(VALU_DEP_2) | instskip(NEXT) | instid1(VALU_DEP_2)
	v_lshl_add_u64 v[32:33], v[32:33], 3, s[18:19]
	v_lshl_add_u64 v[34:35], v[34:35], 3, s[18:19]
	s_branch .LBB1605_273
.LBB1605_272:                           ;   in Loop: Header=BB1605_273 Depth=1
	s_or_b32 exec_lo, exec_lo, s33
	s_delay_alu instid0(SALU_CYCLE_1) | instskip(NEXT) | instid1(SALU_CYCLE_1)
	s_and_b32 s33, exec_lo, s29
	s_or_b32 s27, s33, s27
	s_and_not1_b32 s31, s31, exec_lo
	s_and_b32 s0, s0, exec_lo
	s_and_not1_b32 s28, s28, exec_lo
	s_and_b32 s33, s30, exec_lo
	s_or_b32 s31, s31, s0
	s_or_b32 s28, s28, s33
	s_and_not1_b32 exec_lo, exec_lo, s27
	s_cbranch_execz .LBB1605_275
.LBB1605_273:                           ; =>This Inner Loop Header: Depth=1
	global_load_b64 v[54:55], v[32:33], off
	global_load_b64 v[56:57], v[34:35], off
	s_and_not1_b32 s30, s30, exec_lo
	s_or_b32 s29, s29, exec_lo
	s_wait_loadcnt 0x0
	v_cmp_le_u64_e32 vcc_lo, v[54:55], v[56:57]
	v_cmp_lt_u64_e64 s0, v[54:55], v[56:57]
	s_and_b32 s33, vcc_lo, s31
	s_delay_alu instid0(SALU_CYCLE_1) | instskip(NEXT) | instid1(SALU_CYCLE_1)
	s_or_b32 s0, s0, s33
	s_and_b32 s33, s0, exec_lo
	s_delay_alu instid0(SALU_CYCLE_1)
	s_or_b32 s30, s30, s33
	s_mov_b32 s33, exec_lo
	v_cmpx_eq_u64_e64 v[54:55], v[56:57]
	s_cbranch_execz .LBB1605_272
; %bb.274:                              ;   in Loop: Header=BB1605_273 Depth=1
	s_add_nc_u64 s[6:7], s[6:7], -1
	v_add_nc_u64_e32 v[32:33], 8, v[32:33]
	s_cmp_eq_u64 s[6:7], 0
	v_add_nc_u64_e32 v[34:35], 8, v[34:35]
	s_cselect_b32 s31, -1, 0
	s_and_not1_b32 s29, s29, exec_lo
	s_and_b32 s31, s31, exec_lo
	s_and_not1_b32 s30, s30, exec_lo
	s_or_b32 s29, s29, s31
                                        ; implicit-def: $sgpr31
	s_branch .LBB1605_272
.LBB1605_275:
	s_or_b32 exec_lo, exec_lo, s27
	s_xor_b32 s0, s28, -1
	s_branch .LBB1605_277
.LBB1605_276:
	s_mov_b32 s0, -1
.LBB1605_277:
	s_delay_alu instid0(SALU_CYCLE_1)
	s_and_b32 s0, s0, exec_lo
.LBB1605_278:
	s_or_b32 exec_lo, exec_lo, s24
	s_delay_alu instid0(SALU_CYCLE_1)
	s_or_not1_b32 s24, s0, exec_lo
.LBB1605_279:
	s_or_b32 exec_lo, exec_lo, s26
	v_dual_cndmask_b32 v32, v53, v52, s24 :: v_dual_cndmask_b32 v33, v51, v50, s24
	v_dual_cndmask_b32 v8, v8, v26, s25 :: v_dual_cndmask_b32 v7, v7, v25, s23
	;; [unrolled: 1-line block ×3, first 2 shown]
	s_delay_alu instid0(VALU_DEP_3) | instskip(SKIP_2) | instid1(VALU_DEP_3)
	v_dual_add_nc_u32 v34, 1, v32 :: v_dual_cndmask_b32 v9, v9, v27, s25
	v_dual_cndmask_b32 v12, v12, v22, s22 :: v_dual_cndmask_b32 v11, v11, v21, s15
	v_dual_cndmask_b32 v10, v10, v20, s15 :: v_dual_cndmask_b32 v17, v15, v17, s14
	v_add_min_u32_e64 v32, v33, -1, v34
	v_dual_cndmask_b32 v16, v14, v16, s14 :: v_dual_cndmask_b32 v15, v5, v3, s5
	v_dual_cndmask_b32 v14, v4, v2, s5 :: v_dual_cndmask_b32 v20, v34, v53, s24
	s_delay_alu instid0(VALU_DEP_3)
	v_lshl_add_u32 v32, v32, 3, v46
	v_dual_cndmask_b32 v3, v29, v31, s24 :: v_dual_cndmask_b32 v2, v28, v30, s24
	s_mov_b32 s5, exec_lo
	ds_load_b64 v[32:33], v32
	s_wait_dscnt 0x0
	v_dual_cndmask_b32 v5, v31, v33, s24 :: v_dual_cndmask_b32 v4, v30, v32, s24
	v_cmpx_lt_u32_e64 v20, v51
	s_cbranch_execz .LBB1605_289
; %bb.280:
	v_dual_cndmask_b32 v22, v52, v34, s24 :: v_dual_cndmask_b32 v21, v33, v29, s24
	v_cndmask_b32_e64 v20, v32, v28, s24
	s_mov_b32 s14, exec_lo
	s_delay_alu instid0(VALU_DEP_2)
	v_cmpx_lt_u32_e64 v22, v50
	s_cbranch_execz .LBB1605_288
; %bb.281:
	v_cmp_ne_u32_e32 vcc_lo, 1, v45
	s_cbranch_vccnz .LBB1605_287
; %bb.282:
	v_mul_u64_e32 v[22:23], s[16:17], v[20:21]
	v_mul_u64_e32 v[24:25], s[16:17], v[4:5]
	s_mov_b32 s15, 0
	s_mov_b64 s[6:7], s[16:17]
                                        ; implicit-def: $sgpr22
                                        ; implicit-def: $sgpr23
                                        ; implicit-def: $sgpr24
                                        ; implicit-def: $sgpr25
	s_delay_alu instid0(VALU_DEP_2) | instskip(NEXT) | instid1(VALU_DEP_2)
	v_lshl_add_u64 v[22:23], v[22:23], 3, s[18:19]
	v_lshl_add_u64 v[24:25], v[24:25], 3, s[18:19]
	s_branch .LBB1605_284
.LBB1605_283:                           ;   in Loop: Header=BB1605_284 Depth=1
	s_or_b32 exec_lo, exec_lo, s26
	s_delay_alu instid0(SALU_CYCLE_1) | instskip(NEXT) | instid1(SALU_CYCLE_1)
	s_and_b32 s26, exec_lo, s23
	s_or_b32 s15, s26, s15
	s_and_not1_b32 s25, s25, exec_lo
	s_and_b32 s0, s0, exec_lo
	s_and_not1_b32 s22, s22, exec_lo
	s_and_b32 s26, s24, exec_lo
	s_or_b32 s25, s25, s0
	s_or_b32 s22, s22, s26
	s_and_not1_b32 exec_lo, exec_lo, s15
	s_cbranch_execz .LBB1605_286
.LBB1605_284:                           ; =>This Inner Loop Header: Depth=1
	global_load_b64 v[26:27], v[22:23], off
	global_load_b64 v[28:29], v[24:25], off
	s_and_not1_b32 s24, s24, exec_lo
	s_or_b32 s23, s23, exec_lo
	s_wait_loadcnt 0x0
	v_cmp_le_u64_e32 vcc_lo, v[26:27], v[28:29]
	v_cmp_lt_u64_e64 s0, v[26:27], v[28:29]
	s_and_b32 s26, vcc_lo, s25
	s_delay_alu instid0(SALU_CYCLE_1) | instskip(NEXT) | instid1(SALU_CYCLE_1)
	s_or_b32 s0, s0, s26
	s_and_b32 s26, s0, exec_lo
	s_delay_alu instid0(SALU_CYCLE_1)
	s_or_b32 s24, s24, s26
	s_mov_b32 s26, exec_lo
	v_cmpx_eq_u64_e64 v[26:27], v[28:29]
	s_cbranch_execz .LBB1605_283
; %bb.285:                              ;   in Loop: Header=BB1605_284 Depth=1
	s_add_nc_u64 s[6:7], s[6:7], -1
	v_add_nc_u64_e32 v[22:23], 8, v[22:23]
	s_cmp_eq_u64 s[6:7], 0
	v_add_nc_u64_e32 v[24:25], 8, v[24:25]
	s_cselect_b32 s25, -1, 0
	s_and_not1_b32 s23, s23, exec_lo
	s_and_b32 s25, s25, exec_lo
	s_and_not1_b32 s24, s24, exec_lo
	s_or_b32 s23, s23, s25
                                        ; implicit-def: $sgpr25
	s_branch .LBB1605_283
.LBB1605_286:
	s_or_b32 exec_lo, exec_lo, s15
	v_dual_cndmask_b32 v5, v5, v21, s22 :: v_dual_cndmask_b32 v4, v4, v20, s22
.LBB1605_287:
	s_delay_alu instid0(VALU_DEP_1)
	v_mov_b64_e32 v[20:21], v[4:5]
.LBB1605_288:
	s_or_b32 exec_lo, exec_lo, s14
	s_delay_alu instid0(VALU_DEP_1)
	v_mov_b64_e32 v[4:5], v[20:21]
.LBB1605_289:
	s_or_b32 exec_lo, exec_lo, s5
.LBB1605_290:
	s_delay_alu instid0(SALU_CYCLE_1)
	s_or_b32 exec_lo, exec_lo, s1
	v_and_b32_e32 v26, 0xe0, v48
	s_mov_b32 s1, exec_lo
	; wave barrier
	ds_store_b128 v49, v[14:17]
	ds_store_b128 v49, v[10:13] offset:16
	v_or_b32_e32 v20, 16, v26
	v_lshl_add_u32 v25, v26, 3, v46
	ds_store_b128 v49, v[6:9] offset:32
	ds_store_b128 v49, v[2:5] offset:48
	; wave barrier
	v_min_u32_e32 v50, v47, v20
	v_and_b32_e32 v20, 24, v48
	s_delay_alu instid0(VALU_DEP_2) | instskip(NEXT) | instid1(VALU_DEP_2)
	v_add_min_u32_e64 v51, v50, 16, v47
	v_min_u32_e32 v27, v47, v20
	v_sub_nc_u32_e32 v21, v50, v26
	s_delay_alu instid0(VALU_DEP_3) | instskip(NEXT) | instid1(VALU_DEP_2)
	v_sub_nc_u32_e32 v20, v51, v50
	v_min_u32_e32 v28, v27, v21
	s_delay_alu instid0(VALU_DEP_2) | instskip(NEXT) | instid1(VALU_DEP_1)
	v_sub_nc_u32_e64 v24, v27, v20 clamp
	v_cmpx_lt_u32_e64 v24, v28
	s_cbranch_execz .LBB1605_300
; %bb.291:
	v_dual_lshlrev_b32 v20, 3, v50 :: v_dual_lshlrev_b32 v21, 3, v27
	s_lshl_b64 s[6:7], s[16:17], 3
	s_mov_b32 s5, 0
	s_delay_alu instid0(VALU_DEP_1)
	v_add3_u32 v29, v46, v20, v21
	s_branch .LBB1605_294
.LBB1605_292:                           ;   in Loop: Header=BB1605_294 Depth=1
	s_or_b32 exec_lo, exec_lo, s23
.LBB1605_293:                           ;   in Loop: Header=BB1605_294 Depth=1
	s_delay_alu instid0(VALU_DEP_1) | instskip(NEXT) | instid1(VALU_DEP_1)
	v_dual_add_nc_u32 v20, 1, v30 :: v_dual_cndmask_b32 v28, v28, v30, s22
	v_cndmask_b32_e64 v24, v20, v24, s22
	s_delay_alu instid0(VALU_DEP_1) | instskip(SKIP_1) | instid1(SALU_CYCLE_1)
	v_cmp_ge_u32_e32 vcc_lo, v24, v28
	s_or_b32 s5, vcc_lo, s5
	s_and_not1_b32 exec_lo, exec_lo, s5
	s_cbranch_execz .LBB1605_299
.LBB1605_294:                           ; =>This Loop Header: Depth=1
                                        ;     Child Loop BB1605_297 Depth 2
	v_add_nc_u32_e32 v20, v28, v24
	v_cmp_ne_u32_e32 vcc_lo, 1, v45
	s_mov_b32 s22, 0
	s_delay_alu instid0(VALU_DEP_2)
	v_lshrrev_b32_e32 v30, 1, v20
	s_cbranch_vccnz .LBB1605_293
; %bb.295:                              ;   in Loop: Header=BB1605_294 Depth=1
	s_delay_alu instid0(VALU_DEP_1) | instskip(SKIP_3) | instid1(VALU_DEP_2)
	v_not_b32_e32 v20, v30
	v_lshl_add_u32 v21, v30, 3, v25
	s_mov_b32 s23, 0
	s_mov_b64 s[14:15], s[16:17]
                                        ; implicit-def: $sgpr22
                                        ; implicit-def: $sgpr24
                                        ; implicit-def: $sgpr25
                                        ; implicit-def: $sgpr26
	v_lshl_add_u32 v20, v20, 3, v29
	ds_load_b64 v[32:33], v20
	ds_load_b64 v[34:35], v21
	s_wait_dscnt 0x1
	v_mad_nc_u64_u32 v[20:21], s6, v32, s[18:19]
	s_wait_dscnt 0x0
	v_mad_nc_u64_u32 v[22:23], s6, v34, s[18:19]
	s_delay_alu instid0(VALU_DEP_2) | instskip(NEXT) | instid1(VALU_DEP_2)
	v_mad_u32 v21, s7, v32, v21
	v_mad_u32 v23, s7, v34, v23
	s_delay_alu instid0(VALU_DEP_2) | instskip(NEXT) | instid1(VALU_DEP_2)
	v_mad_u32 v21, s6, v33, v21
	v_mad_u32 v23, s6, v35, v23
	s_branch .LBB1605_297
.LBB1605_296:                           ;   in Loop: Header=BB1605_297 Depth=2
	s_or_b32 exec_lo, exec_lo, s27
	s_delay_alu instid0(SALU_CYCLE_1) | instskip(NEXT) | instid1(SALU_CYCLE_1)
	s_and_b32 s27, exec_lo, s24
	s_or_b32 s23, s27, s23
	s_and_not1_b32 s26, s26, exec_lo
	s_and_b32 s0, s0, exec_lo
	s_and_not1_b32 s22, s22, exec_lo
	s_and_b32 s27, s25, exec_lo
	s_or_b32 s26, s26, s0
	s_or_b32 s22, s22, s27
	s_and_not1_b32 exec_lo, exec_lo, s23
	s_cbranch_execz .LBB1605_292
.LBB1605_297:                           ;   Parent Loop BB1605_294 Depth=1
                                        ; =>  This Inner Loop Header: Depth=2
	global_load_b64 v[32:33], v[20:21], off
	global_load_b64 v[34:35], v[22:23], off
	s_and_not1_b32 s25, s25, exec_lo
	s_or_b32 s24, s24, exec_lo
	s_wait_loadcnt 0x0
	v_cmp_le_u64_e32 vcc_lo, v[32:33], v[34:35]
	v_cmp_lt_u64_e64 s0, v[32:33], v[34:35]
	s_and_b32 s27, vcc_lo, s26
	s_delay_alu instid0(SALU_CYCLE_1) | instskip(NEXT) | instid1(SALU_CYCLE_1)
	s_or_b32 s0, s0, s27
	s_and_b32 s27, s0, exec_lo
	s_delay_alu instid0(SALU_CYCLE_1)
	s_or_b32 s25, s25, s27
	s_mov_b32 s27, exec_lo
	v_cmpx_eq_u64_e64 v[32:33], v[34:35]
	s_cbranch_execz .LBB1605_296
; %bb.298:                              ;   in Loop: Header=BB1605_297 Depth=2
	s_add_nc_u64 s[14:15], s[14:15], -1
	v_add_nc_u64_e32 v[20:21], 8, v[20:21]
	s_cmp_eq_u64 s[14:15], 0
	v_add_nc_u64_e32 v[22:23], 8, v[22:23]
	s_cselect_b32 s26, -1, 0
	s_and_not1_b32 s24, s24, exec_lo
	s_and_b32 s26, s26, exec_lo
	s_and_not1_b32 s25, s25, exec_lo
	s_or_b32 s24, s24, s26
                                        ; implicit-def: $sgpr26
	s_branch .LBB1605_296
.LBB1605_299:
	s_or_b32 exec_lo, exec_lo, s5
.LBB1605_300:
	s_delay_alu instid0(SALU_CYCLE_1) | instskip(SKIP_1) | instid1(VALU_DEP_1)
	s_or_b32 exec_lo, exec_lo, s1
	v_dual_add_nc_u32 v21, v50, v27 :: v_dual_add_nc_u32 v20, v24, v26
	v_sub_nc_u32_e32 v21, v21, v24
	s_delay_alu instid0(VALU_DEP_2) | instskip(NEXT) | instid1(VALU_DEP_2)
	v_cmp_le_u32_e32 vcc_lo, v20, v50
	v_cmp_le_u32_e64 s0, v21, v51
	s_or_b32 s0, vcc_lo, s0
	s_delay_alu instid0(SALU_CYCLE_1)
	s_and_saveexec_b32 s1, s0
	s_cbranch_execz .LBB1605_391
; %bb.301:
	s_mov_b32 s5, exec_lo
	v_cmp_ge_u32_e32 vcc_lo, v20, v50
                                        ; implicit-def: $vgpr2_vgpr3
	v_cmpx_lt_u32_e64 v20, v50
; %bb.302:
	v_lshl_add_u32 v2, v24, 3, v25
	ds_load_b64 v[2:3], v2
; %bb.303:
	s_or_b32 exec_lo, exec_lo, s5
	v_cmp_ge_u32_e64 s5, v21, v51
	s_mov_b32 s6, exec_lo
                                        ; implicit-def: $vgpr4_vgpr5
	v_cmpx_lt_u32_e64 v21, v51
; %bb.304:
	v_lshl_add_u32 v4, v21, 3, v46
	ds_load_b64 v[4:5], v4
; %bb.305:
	s_or_b32 exec_lo, exec_lo, s6
	s_nor_b32 s0, vcc_lo, s5
	s_delay_alu instid0(SALU_CYCLE_1)
	s_and_saveexec_b32 s14, s0
	s_cbranch_execz .LBB1605_314
; %bb.306:
	v_cmp_ne_u32_e32 vcc_lo, 1, v45
	s_cbranch_vccnz .LBB1605_312
; %bb.307:
	s_wait_dscnt 0x0
	v_mul_u64_e32 v[6:7], s[16:17], v[4:5]
	v_mul_u64_e32 v[8:9], s[16:17], v[2:3]
	s_mov_b32 s15, 0
	s_mov_b64 s[6:7], s[16:17]
                                        ; implicit-def: $sgpr22
                                        ; implicit-def: $sgpr23
                                        ; implicit-def: $sgpr24
                                        ; implicit-def: $sgpr25
	s_delay_alu instid0(VALU_DEP_2) | instskip(NEXT) | instid1(VALU_DEP_2)
	v_lshl_add_u64 v[6:7], v[6:7], 3, s[18:19]
	v_lshl_add_u64 v[8:9], v[8:9], 3, s[18:19]
	s_branch .LBB1605_309
.LBB1605_308:                           ;   in Loop: Header=BB1605_309 Depth=1
	s_or_b32 exec_lo, exec_lo, s26
	s_delay_alu instid0(SALU_CYCLE_1) | instskip(NEXT) | instid1(SALU_CYCLE_1)
	s_and_b32 s26, exec_lo, s23
	s_or_b32 s15, s26, s15
	s_and_not1_b32 s25, s25, exec_lo
	s_and_b32 s0, s0, exec_lo
	s_and_not1_b32 s22, s22, exec_lo
	s_and_b32 s26, s24, exec_lo
	s_or_b32 s25, s25, s0
	s_or_b32 s22, s22, s26
	s_and_not1_b32 exec_lo, exec_lo, s15
	s_cbranch_execz .LBB1605_311
.LBB1605_309:                           ; =>This Inner Loop Header: Depth=1
	global_load_b64 v[10:11], v[6:7], off
	global_load_b64 v[12:13], v[8:9], off
	s_and_not1_b32 s24, s24, exec_lo
	s_or_b32 s23, s23, exec_lo
	s_wait_loadcnt 0x0
	v_cmp_le_u64_e32 vcc_lo, v[10:11], v[12:13]
	v_cmp_lt_u64_e64 s0, v[10:11], v[12:13]
	s_and_b32 s26, vcc_lo, s25
	s_delay_alu instid0(SALU_CYCLE_1) | instskip(NEXT) | instid1(SALU_CYCLE_1)
	s_or_b32 s0, s0, s26
	s_and_b32 s26, s0, exec_lo
	s_delay_alu instid0(SALU_CYCLE_1)
	s_or_b32 s24, s24, s26
	s_mov_b32 s26, exec_lo
	v_cmpx_eq_u64_e64 v[10:11], v[12:13]
	s_cbranch_execz .LBB1605_308
; %bb.310:                              ;   in Loop: Header=BB1605_309 Depth=1
	s_add_nc_u64 s[6:7], s[6:7], -1
	v_add_nc_u64_e32 v[6:7], 8, v[6:7]
	s_cmp_eq_u64 s[6:7], 0
	v_add_nc_u64_e32 v[8:9], 8, v[8:9]
	s_cselect_b32 s25, -1, 0
	s_and_not1_b32 s23, s23, exec_lo
	s_and_b32 s25, s25, exec_lo
	s_and_not1_b32 s24, s24, exec_lo
	s_or_b32 s23, s23, s25
                                        ; implicit-def: $sgpr25
	s_branch .LBB1605_308
.LBB1605_311:
	s_or_b32 exec_lo, exec_lo, s15
	s_xor_b32 s0, s22, -1
	s_branch .LBB1605_313
.LBB1605_312:
	s_mov_b32 s0, -1
.LBB1605_313:
	s_and_not1_b32 s5, s5, exec_lo
	s_and_b32 s0, s0, exec_lo
	s_delay_alu instid0(SALU_CYCLE_1)
	s_or_b32 s5, s5, s0
.LBB1605_314:
	s_or_b32 exec_lo, exec_lo, s14
	v_dual_cndmask_b32 v6, v21, v20, s5 :: v_dual_cndmask_b32 v7, v51, v50, s5
	s_mov_b32 s15, -1
	s_mov_b32 s14, -1
	s_mov_b32 s22, exec_lo
	s_delay_alu instid0(VALU_DEP_1) | instskip(NEXT) | instid1(VALU_DEP_1)
	v_add_nc_u32_e32 v8, 1, v6
	v_add_min_u32_e64 v6, v7, -1, v8
	s_delay_alu instid0(VALU_DEP_1)
	v_lshl_add_u32 v6, v6, 3, v46
	ds_load_b64 v[6:7], v6
	s_wait_dscnt 0x0
	v_cndmask_b32_e64 v15, v7, v5, s5
	v_dual_cndmask_b32 v10, v8, v21, s5 :: v_dual_cndmask_b32 v14, v6, v4, s5
	v_dual_cndmask_b32 v11, v20, v8, s5 :: v_dual_cndmask_b32 v17, v3, v7, s5
	v_cndmask_b32_e64 v16, v2, v6, s5
	s_delay_alu instid0(VALU_DEP_3)
	v_cmpx_lt_u32_e64 v10, v51
	s_cbranch_execz .LBB1605_325
; %bb.315:
	s_mov_b32 s0, 0
	s_mov_b32 s14, exec_lo
	v_cmpx_lt_u32_e64 v11, v50
	s_cbranch_execz .LBB1605_324
; %bb.316:
	v_cmp_ne_u32_e32 vcc_lo, 1, v45
	s_cbranch_vccnz .LBB1605_322
; %bb.317:
	v_mul_u64_e32 v[6:7], s[16:17], v[14:15]
	v_mul_u64_e32 v[8:9], s[16:17], v[16:17]
	s_mov_b32 s23, 0
	s_mov_b64 s[6:7], s[16:17]
                                        ; implicit-def: $sgpr24
                                        ; implicit-def: $sgpr25
                                        ; implicit-def: $sgpr26
                                        ; implicit-def: $sgpr27
	s_delay_alu instid0(VALU_DEP_2) | instskip(NEXT) | instid1(VALU_DEP_2)
	v_lshl_add_u64 v[6:7], v[6:7], 3, s[18:19]
	v_lshl_add_u64 v[8:9], v[8:9], 3, s[18:19]
	s_branch .LBB1605_319
.LBB1605_318:                           ;   in Loop: Header=BB1605_319 Depth=1
	s_or_b32 exec_lo, exec_lo, s28
	s_delay_alu instid0(SALU_CYCLE_1) | instskip(NEXT) | instid1(SALU_CYCLE_1)
	s_and_b32 s28, exec_lo, s25
	s_or_b32 s23, s28, s23
	s_and_not1_b32 s27, s27, exec_lo
	s_and_b32 s0, s0, exec_lo
	s_and_not1_b32 s24, s24, exec_lo
	s_and_b32 s28, s26, exec_lo
	s_or_b32 s27, s27, s0
	s_or_b32 s24, s24, s28
	s_and_not1_b32 exec_lo, exec_lo, s23
	s_cbranch_execz .LBB1605_321
.LBB1605_319:                           ; =>This Inner Loop Header: Depth=1
	global_load_b64 v[12:13], v[6:7], off
	global_load_b64 v[20:21], v[8:9], off
	s_and_not1_b32 s26, s26, exec_lo
	s_or_b32 s25, s25, exec_lo
	s_wait_loadcnt 0x0
	v_cmp_le_u64_e32 vcc_lo, v[12:13], v[20:21]
	v_cmp_lt_u64_e64 s0, v[12:13], v[20:21]
	s_and_b32 s28, vcc_lo, s27
	s_delay_alu instid0(SALU_CYCLE_1) | instskip(NEXT) | instid1(SALU_CYCLE_1)
	s_or_b32 s0, s0, s28
	s_and_b32 s28, s0, exec_lo
	s_delay_alu instid0(SALU_CYCLE_1)
	s_or_b32 s26, s26, s28
	s_mov_b32 s28, exec_lo
	v_cmpx_eq_u64_e64 v[12:13], v[20:21]
	s_cbranch_execz .LBB1605_318
; %bb.320:                              ;   in Loop: Header=BB1605_319 Depth=1
	s_add_nc_u64 s[6:7], s[6:7], -1
	v_add_nc_u64_e32 v[6:7], 8, v[6:7]
	s_cmp_eq_u64 s[6:7], 0
	v_add_nc_u64_e32 v[8:9], 8, v[8:9]
	s_cselect_b32 s27, -1, 0
	s_and_not1_b32 s25, s25, exec_lo
	s_and_b32 s27, s27, exec_lo
	s_and_not1_b32 s26, s26, exec_lo
	s_or_b32 s25, s25, s27
                                        ; implicit-def: $sgpr27
	s_branch .LBB1605_318
.LBB1605_321:
	s_or_b32 exec_lo, exec_lo, s23
	s_xor_b32 s0, s24, -1
	s_branch .LBB1605_323
.LBB1605_322:
	s_mov_b32 s0, -1
.LBB1605_323:
	s_delay_alu instid0(SALU_CYCLE_1)
	s_and_b32 s0, s0, exec_lo
.LBB1605_324:
	s_or_b32 exec_lo, exec_lo, s14
	s_delay_alu instid0(SALU_CYCLE_1)
	s_or_not1_b32 s14, s0, exec_lo
.LBB1605_325:
	s_or_b32 exec_lo, exec_lo, s22
	v_dual_cndmask_b32 v6, v10, v11, s14 :: v_dual_cndmask_b32 v7, v51, v50, s14
	s_mov_b32 s22, exec_lo
	s_delay_alu instid0(VALU_DEP_1) | instskip(NEXT) | instid1(VALU_DEP_1)
	v_add_nc_u32_e32 v8, 1, v6
	v_add_min_u32_e64 v6, v7, -1, v8
	s_delay_alu instid0(VALU_DEP_1)
	v_lshl_add_u32 v6, v6, 3, v46
	ds_load_b64 v[6:7], v6
	v_cndmask_b32_e64 v13, v11, v8, s14
	s_wait_dscnt 0x0
	v_dual_cndmask_b32 v11, v7, v15, s14 :: v_dual_cndmask_b32 v12, v8, v10, s14
	v_dual_cndmask_b32 v21, v17, v7, s14 :: v_dual_cndmask_b32 v10, v6, v14, s14
	v_cndmask_b32_e64 v20, v16, v6, s14
	s_delay_alu instid0(VALU_DEP_3)
	v_cmpx_lt_u32_e64 v12, v51
	s_cbranch_execz .LBB1605_336
; %bb.326:
	s_mov_b32 s0, 0
	s_mov_b32 s15, exec_lo
	v_cmpx_lt_u32_e64 v13, v50
	s_cbranch_execz .LBB1605_335
; %bb.327:
	v_cmp_ne_u32_e32 vcc_lo, 1, v45
	s_cbranch_vccnz .LBB1605_333
; %bb.328:
	v_mul_u64_e32 v[6:7], s[16:17], v[10:11]
	v_mul_u64_e32 v[8:9], s[16:17], v[20:21]
	s_mov_b32 s23, 0
	s_mov_b64 s[6:7], s[16:17]
                                        ; implicit-def: $sgpr24
                                        ; implicit-def: $sgpr25
                                        ; implicit-def: $sgpr26
                                        ; implicit-def: $sgpr27
	s_delay_alu instid0(VALU_DEP_2) | instskip(NEXT) | instid1(VALU_DEP_2)
	v_lshl_add_u64 v[6:7], v[6:7], 3, s[18:19]
	v_lshl_add_u64 v[8:9], v[8:9], 3, s[18:19]
	s_branch .LBB1605_330
.LBB1605_329:                           ;   in Loop: Header=BB1605_330 Depth=1
	s_or_b32 exec_lo, exec_lo, s28
	s_delay_alu instid0(SALU_CYCLE_1) | instskip(NEXT) | instid1(SALU_CYCLE_1)
	s_and_b32 s28, exec_lo, s25
	s_or_b32 s23, s28, s23
	s_and_not1_b32 s27, s27, exec_lo
	s_and_b32 s0, s0, exec_lo
	s_and_not1_b32 s24, s24, exec_lo
	s_and_b32 s28, s26, exec_lo
	s_or_b32 s27, s27, s0
	s_or_b32 s24, s24, s28
	s_and_not1_b32 exec_lo, exec_lo, s23
	s_cbranch_execz .LBB1605_332
.LBB1605_330:                           ; =>This Inner Loop Header: Depth=1
	global_load_b64 v[22:23], v[6:7], off
	global_load_b64 v[24:25], v[8:9], off
	s_and_not1_b32 s26, s26, exec_lo
	s_or_b32 s25, s25, exec_lo
	s_wait_loadcnt 0x0
	v_cmp_le_u64_e32 vcc_lo, v[22:23], v[24:25]
	v_cmp_lt_u64_e64 s0, v[22:23], v[24:25]
	s_and_b32 s28, vcc_lo, s27
	s_delay_alu instid0(SALU_CYCLE_1) | instskip(NEXT) | instid1(SALU_CYCLE_1)
	s_or_b32 s0, s0, s28
	s_and_b32 s28, s0, exec_lo
	s_delay_alu instid0(SALU_CYCLE_1)
	s_or_b32 s26, s26, s28
	s_mov_b32 s28, exec_lo
	v_cmpx_eq_u64_e64 v[22:23], v[24:25]
	s_cbranch_execz .LBB1605_329
; %bb.331:                              ;   in Loop: Header=BB1605_330 Depth=1
	s_add_nc_u64 s[6:7], s[6:7], -1
	v_add_nc_u64_e32 v[6:7], 8, v[6:7]
	s_cmp_eq_u64 s[6:7], 0
	v_add_nc_u64_e32 v[8:9], 8, v[8:9]
	s_cselect_b32 s27, -1, 0
	s_and_not1_b32 s25, s25, exec_lo
	s_and_b32 s27, s27, exec_lo
	s_and_not1_b32 s26, s26, exec_lo
	s_or_b32 s25, s25, s27
                                        ; implicit-def: $sgpr27
	s_branch .LBB1605_329
.LBB1605_332:
	s_or_b32 exec_lo, exec_lo, s23
	s_xor_b32 s0, s24, -1
	s_branch .LBB1605_334
.LBB1605_333:
	s_mov_b32 s0, -1
.LBB1605_334:
	s_delay_alu instid0(SALU_CYCLE_1)
	s_and_b32 s0, s0, exec_lo
.LBB1605_335:
	s_or_b32 exec_lo, exec_lo, s15
	s_delay_alu instid0(SALU_CYCLE_1)
	s_or_not1_b32 s15, s0, exec_lo
.LBB1605_336:
	s_or_b32 exec_lo, exec_lo, s22
	v_dual_cndmask_b32 v6, v12, v13, s15 :: v_dual_cndmask_b32 v7, v51, v50, s15
	s_mov_b32 s23, -1
	s_mov_b32 s22, -1
	s_mov_b32 s24, exec_lo
	s_delay_alu instid0(VALU_DEP_1) | instskip(NEXT) | instid1(VALU_DEP_1)
	v_add_nc_u32_e32 v8, 1, v6
	v_add_min_u32_e64 v6, v7, -1, v8
	s_delay_alu instid0(VALU_DEP_1)
	v_lshl_add_u32 v6, v6, 3, v46
	ds_load_b64 v[6:7], v6
	s_wait_dscnt 0x0
	v_dual_cndmask_b32 v25, v13, v8, s15 :: v_dual_cndmask_b32 v22, v20, v6, s15
	v_dual_cndmask_b32 v13, v7, v11, s15 :: v_dual_cndmask_b32 v24, v8, v12, s15
	;; [unrolled: 1-line block ×3, first 2 shown]
	s_delay_alu instid0(VALU_DEP_2)
	v_cmpx_lt_u32_e64 v24, v51
	s_cbranch_execz .LBB1605_347
; %bb.337:
	s_mov_b32 s0, 0
	s_mov_b32 s22, exec_lo
	v_cmpx_lt_u32_e64 v25, v50
	s_cbranch_execz .LBB1605_346
; %bb.338:
	v_cmp_ne_u32_e32 vcc_lo, 1, v45
	s_cbranch_vccnz .LBB1605_344
; %bb.339:
	v_mul_u64_e32 v[6:7], s[16:17], v[12:13]
	v_mul_u64_e32 v[8:9], s[16:17], v[22:23]
	s_mov_b32 s25, 0
	s_mov_b64 s[6:7], s[16:17]
                                        ; implicit-def: $sgpr26
                                        ; implicit-def: $sgpr27
                                        ; implicit-def: $sgpr28
                                        ; implicit-def: $sgpr29
	s_delay_alu instid0(VALU_DEP_2) | instskip(NEXT) | instid1(VALU_DEP_2)
	v_lshl_add_u64 v[6:7], v[6:7], 3, s[18:19]
	v_lshl_add_u64 v[8:9], v[8:9], 3, s[18:19]
	s_branch .LBB1605_341
.LBB1605_340:                           ;   in Loop: Header=BB1605_341 Depth=1
	s_or_b32 exec_lo, exec_lo, s30
	s_delay_alu instid0(SALU_CYCLE_1) | instskip(NEXT) | instid1(SALU_CYCLE_1)
	s_and_b32 s30, exec_lo, s27
	s_or_b32 s25, s30, s25
	s_and_not1_b32 s29, s29, exec_lo
	s_and_b32 s0, s0, exec_lo
	s_and_not1_b32 s26, s26, exec_lo
	s_and_b32 s30, s28, exec_lo
	s_or_b32 s29, s29, s0
	s_or_b32 s26, s26, s30
	s_and_not1_b32 exec_lo, exec_lo, s25
	s_cbranch_execz .LBB1605_343
.LBB1605_341:                           ; =>This Inner Loop Header: Depth=1
	global_load_b64 v[26:27], v[6:7], off
	global_load_b64 v[28:29], v[8:9], off
	s_and_not1_b32 s28, s28, exec_lo
	s_or_b32 s27, s27, exec_lo
	s_wait_loadcnt 0x0
	v_cmp_le_u64_e32 vcc_lo, v[26:27], v[28:29]
	v_cmp_lt_u64_e64 s0, v[26:27], v[28:29]
	s_and_b32 s30, vcc_lo, s29
	s_delay_alu instid0(SALU_CYCLE_1) | instskip(NEXT) | instid1(SALU_CYCLE_1)
	s_or_b32 s0, s0, s30
	s_and_b32 s30, s0, exec_lo
	s_delay_alu instid0(SALU_CYCLE_1)
	s_or_b32 s28, s28, s30
	s_mov_b32 s30, exec_lo
	v_cmpx_eq_u64_e64 v[26:27], v[28:29]
	s_cbranch_execz .LBB1605_340
; %bb.342:                              ;   in Loop: Header=BB1605_341 Depth=1
	s_add_nc_u64 s[6:7], s[6:7], -1
	v_add_nc_u64_e32 v[6:7], 8, v[6:7]
	s_cmp_eq_u64 s[6:7], 0
	v_add_nc_u64_e32 v[8:9], 8, v[8:9]
	s_cselect_b32 s29, -1, 0
	s_and_not1_b32 s27, s27, exec_lo
	s_and_b32 s29, s29, exec_lo
	s_and_not1_b32 s28, s28, exec_lo
	s_or_b32 s27, s27, s29
                                        ; implicit-def: $sgpr29
	s_branch .LBB1605_340
.LBB1605_343:
	s_or_b32 exec_lo, exec_lo, s25
	s_xor_b32 s0, s26, -1
	s_branch .LBB1605_345
.LBB1605_344:
	s_mov_b32 s0, -1
.LBB1605_345:
	s_delay_alu instid0(SALU_CYCLE_1)
	s_and_b32 s0, s0, exec_lo
.LBB1605_346:
	s_or_b32 exec_lo, exec_lo, s22
	s_delay_alu instid0(SALU_CYCLE_1)
	s_or_not1_b32 s22, s0, exec_lo
.LBB1605_347:
	s_or_b32 exec_lo, exec_lo, s24
	v_dual_cndmask_b32 v6, v24, v25, s22 :: v_dual_cndmask_b32 v7, v51, v50, s22
	s_mov_b32 s24, exec_lo
	s_delay_alu instid0(VALU_DEP_1) | instskip(NEXT) | instid1(VALU_DEP_1)
	v_add_nc_u32_e32 v6, 1, v6
	v_add_min_u32_e64 v7, v7, -1, v6
	s_delay_alu instid0(VALU_DEP_1)
	v_lshl_add_u32 v7, v7, 3, v46
	ds_load_b64 v[8:9], v7
	s_wait_dscnt 0x0
	v_dual_cndmask_b32 v7, v9, v13, s22 :: v_dual_cndmask_b32 v28, v6, v24, s22
	v_dual_cndmask_b32 v29, v25, v6, s22 :: v_dual_cndmask_b32 v6, v8, v12, s22
	;; [unrolled: 1-line block ×3, first 2 shown]
	s_delay_alu instid0(VALU_DEP_3)
	v_cmpx_lt_u32_e64 v28, v51
	s_cbranch_execz .LBB1605_358
; %bb.348:
	s_mov_b32 s0, 0
	s_mov_b32 s23, exec_lo
	v_cmpx_lt_u32_e64 v29, v50
	s_cbranch_execz .LBB1605_357
; %bb.349:
	v_cmp_ne_u32_e32 vcc_lo, 1, v45
	s_cbranch_vccnz .LBB1605_355
; %bb.350:
	v_mul_u64_e32 v[8:9], s[16:17], v[6:7]
	v_mul_u64_e32 v[26:27], s[16:17], v[24:25]
	s_mov_b32 s25, 0
	s_mov_b64 s[6:7], s[16:17]
                                        ; implicit-def: $sgpr26
                                        ; implicit-def: $sgpr27
                                        ; implicit-def: $sgpr28
                                        ; implicit-def: $sgpr29
	s_delay_alu instid0(VALU_DEP_2) | instskip(NEXT) | instid1(VALU_DEP_2)
	v_lshl_add_u64 v[8:9], v[8:9], 3, s[18:19]
	v_lshl_add_u64 v[26:27], v[26:27], 3, s[18:19]
	s_branch .LBB1605_352
.LBB1605_351:                           ;   in Loop: Header=BB1605_352 Depth=1
	s_or_b32 exec_lo, exec_lo, s30
	s_delay_alu instid0(SALU_CYCLE_1) | instskip(NEXT) | instid1(SALU_CYCLE_1)
	s_and_b32 s30, exec_lo, s27
	s_or_b32 s25, s30, s25
	s_and_not1_b32 s29, s29, exec_lo
	s_and_b32 s0, s0, exec_lo
	s_and_not1_b32 s26, s26, exec_lo
	s_and_b32 s30, s28, exec_lo
	s_or_b32 s29, s29, s0
	s_or_b32 s26, s26, s30
	s_and_not1_b32 exec_lo, exec_lo, s25
	s_cbranch_execz .LBB1605_354
.LBB1605_352:                           ; =>This Inner Loop Header: Depth=1
	global_load_b64 v[30:31], v[8:9], off
	global_load_b64 v[32:33], v[26:27], off
	s_and_not1_b32 s28, s28, exec_lo
	s_or_b32 s27, s27, exec_lo
	s_wait_loadcnt 0x0
	v_cmp_le_u64_e32 vcc_lo, v[30:31], v[32:33]
	v_cmp_lt_u64_e64 s0, v[30:31], v[32:33]
	s_and_b32 s30, vcc_lo, s29
	s_delay_alu instid0(SALU_CYCLE_1) | instskip(NEXT) | instid1(SALU_CYCLE_1)
	s_or_b32 s0, s0, s30
	s_and_b32 s30, s0, exec_lo
	s_delay_alu instid0(SALU_CYCLE_1)
	s_or_b32 s28, s28, s30
	s_mov_b32 s30, exec_lo
	v_cmpx_eq_u64_e64 v[30:31], v[32:33]
	s_cbranch_execz .LBB1605_351
; %bb.353:                              ;   in Loop: Header=BB1605_352 Depth=1
	s_add_nc_u64 s[6:7], s[6:7], -1
	v_add_nc_u64_e32 v[8:9], 8, v[8:9]
	s_cmp_eq_u64 s[6:7], 0
	v_add_nc_u64_e32 v[26:27], 8, v[26:27]
	s_cselect_b32 s29, -1, 0
	s_and_not1_b32 s27, s27, exec_lo
	s_and_b32 s29, s29, exec_lo
	s_and_not1_b32 s28, s28, exec_lo
	s_or_b32 s27, s27, s29
                                        ; implicit-def: $sgpr29
	s_branch .LBB1605_351
.LBB1605_354:
	s_or_b32 exec_lo, exec_lo, s25
	s_xor_b32 s0, s26, -1
	s_branch .LBB1605_356
.LBB1605_355:
	s_mov_b32 s0, -1
.LBB1605_356:
	s_delay_alu instid0(SALU_CYCLE_1)
	s_and_b32 s0, s0, exec_lo
.LBB1605_357:
	s_or_b32 exec_lo, exec_lo, s23
	s_delay_alu instid0(SALU_CYCLE_1)
	s_or_not1_b32 s23, s0, exec_lo
.LBB1605_358:
	s_or_b32 exec_lo, exec_lo, s24
	v_dual_cndmask_b32 v8, v28, v29, s23 :: v_dual_cndmask_b32 v9, v51, v50, s23
	s_mov_b32 s24, -1
	s_mov_b32 s25, -1
	s_mov_b32 s26, exec_lo
	s_delay_alu instid0(VALU_DEP_1) | instskip(NEXT) | instid1(VALU_DEP_1)
	v_add_nc_u32_e32 v8, 1, v8
	v_add_min_u32_e64 v9, v9, -1, v8
	s_delay_alu instid0(VALU_DEP_1)
	v_lshl_add_u32 v9, v9, 3, v46
	ds_load_b64 v[26:27], v9
	s_wait_dscnt 0x0
	v_dual_cndmask_b32 v9, v27, v7, s23 :: v_dual_cndmask_b32 v32, v8, v28, s23
	v_dual_cndmask_b32 v33, v29, v8, s23 :: v_dual_cndmask_b32 v8, v26, v6, s23
	;; [unrolled: 1-line block ×3, first 2 shown]
	s_delay_alu instid0(VALU_DEP_3)
	v_cmpx_lt_u32_e64 v32, v51
	s_cbranch_execz .LBB1605_369
; %bb.359:
	s_mov_b32 s0, 0
	s_mov_b32 s25, exec_lo
	v_cmpx_lt_u32_e64 v33, v50
	s_cbranch_execz .LBB1605_368
; %bb.360:
	v_cmp_ne_u32_e32 vcc_lo, 1, v45
	s_cbranch_vccnz .LBB1605_366
; %bb.361:
	v_mul_u64_e32 v[28:29], s[16:17], v[8:9]
	v_mul_u64_e32 v[30:31], s[16:17], v[26:27]
	s_mov_b32 s27, 0
	s_mov_b64 s[6:7], s[16:17]
                                        ; implicit-def: $sgpr28
                                        ; implicit-def: $sgpr29
                                        ; implicit-def: $sgpr30
                                        ; implicit-def: $sgpr31
	s_delay_alu instid0(VALU_DEP_2) | instskip(NEXT) | instid1(VALU_DEP_2)
	v_lshl_add_u64 v[28:29], v[28:29], 3, s[18:19]
	v_lshl_add_u64 v[30:31], v[30:31], 3, s[18:19]
	s_branch .LBB1605_363
.LBB1605_362:                           ;   in Loop: Header=BB1605_363 Depth=1
	s_or_b32 exec_lo, exec_lo, s33
	s_delay_alu instid0(SALU_CYCLE_1) | instskip(NEXT) | instid1(SALU_CYCLE_1)
	s_and_b32 s33, exec_lo, s29
	s_or_b32 s27, s33, s27
	s_and_not1_b32 s31, s31, exec_lo
	s_and_b32 s0, s0, exec_lo
	s_and_not1_b32 s28, s28, exec_lo
	s_and_b32 s33, s30, exec_lo
	s_or_b32 s31, s31, s0
	s_or_b32 s28, s28, s33
	s_and_not1_b32 exec_lo, exec_lo, s27
	s_cbranch_execz .LBB1605_365
.LBB1605_363:                           ; =>This Inner Loop Header: Depth=1
	global_load_b64 v[34:35], v[28:29], off
	global_load_b64 v[52:53], v[30:31], off
	s_and_not1_b32 s30, s30, exec_lo
	s_or_b32 s29, s29, exec_lo
	s_wait_loadcnt 0x0
	v_cmp_le_u64_e32 vcc_lo, v[34:35], v[52:53]
	v_cmp_lt_u64_e64 s0, v[34:35], v[52:53]
	s_and_b32 s33, vcc_lo, s31
	s_delay_alu instid0(SALU_CYCLE_1) | instskip(NEXT) | instid1(SALU_CYCLE_1)
	s_or_b32 s0, s0, s33
	s_and_b32 s33, s0, exec_lo
	s_delay_alu instid0(SALU_CYCLE_1)
	s_or_b32 s30, s30, s33
	s_mov_b32 s33, exec_lo
	v_cmpx_eq_u64_e64 v[34:35], v[52:53]
	s_cbranch_execz .LBB1605_362
; %bb.364:                              ;   in Loop: Header=BB1605_363 Depth=1
	s_add_nc_u64 s[6:7], s[6:7], -1
	v_add_nc_u64_e32 v[28:29], 8, v[28:29]
	s_cmp_eq_u64 s[6:7], 0
	v_add_nc_u64_e32 v[30:31], 8, v[30:31]
	s_cselect_b32 s31, -1, 0
	s_and_not1_b32 s29, s29, exec_lo
	s_and_b32 s31, s31, exec_lo
	s_and_not1_b32 s30, s30, exec_lo
	s_or_b32 s29, s29, s31
                                        ; implicit-def: $sgpr31
	s_branch .LBB1605_362
.LBB1605_365:
	s_or_b32 exec_lo, exec_lo, s27
	s_xor_b32 s0, s28, -1
	s_branch .LBB1605_367
.LBB1605_366:
	s_mov_b32 s0, -1
.LBB1605_367:
	s_delay_alu instid0(SALU_CYCLE_1)
	s_and_b32 s0, s0, exec_lo
.LBB1605_368:
	s_or_b32 exec_lo, exec_lo, s25
	s_delay_alu instid0(SALU_CYCLE_1)
	s_or_not1_b32 s25, s0, exec_lo
.LBB1605_369:
	s_or_b32 exec_lo, exec_lo, s26
	v_dual_cndmask_b32 v28, v32, v33, s25 :: v_dual_cndmask_b32 v29, v51, v50, s25
	s_mov_b32 s26, exec_lo
	s_delay_alu instid0(VALU_DEP_1) | instskip(NEXT) | instid1(VALU_DEP_1)
	v_add_nc_u32_e32 v28, 1, v28
	v_add_min_u32_e64 v29, v29, -1, v28
	s_delay_alu instid0(VALU_DEP_1)
	v_lshl_add_u32 v29, v29, 3, v46
	ds_load_b64 v[30:31], v29
	s_wait_dscnt 0x0
	v_dual_cndmask_b32 v29, v31, v9, s25 :: v_dual_cndmask_b32 v53, v28, v32, s25
	v_dual_cndmask_b32 v31, v27, v31, s25 :: v_dual_cndmask_b32 v52, v33, v28, s25
	v_cndmask_b32_e64 v28, v30, v8, s25
	v_cndmask_b32_e64 v30, v26, v30, s25
	s_delay_alu instid0(VALU_DEP_4)
	v_cmpx_lt_u32_e64 v53, v51
	s_cbranch_execz .LBB1605_380
; %bb.370:
	s_mov_b32 s0, 0
	s_mov_b32 s24, exec_lo
	v_cmpx_lt_u32_e64 v52, v50
	s_cbranch_execz .LBB1605_379
; %bb.371:
	v_cmp_ne_u32_e32 vcc_lo, 1, v45
	s_cbranch_vccnz .LBB1605_377
; %bb.372:
	v_mul_u64_e32 v[32:33], s[16:17], v[28:29]
	v_mul_u64_e32 v[34:35], s[16:17], v[30:31]
	s_mov_b32 s27, 0
	s_mov_b64 s[6:7], s[16:17]
                                        ; implicit-def: $sgpr28
                                        ; implicit-def: $sgpr29
                                        ; implicit-def: $sgpr30
                                        ; implicit-def: $sgpr31
	s_delay_alu instid0(VALU_DEP_2) | instskip(NEXT) | instid1(VALU_DEP_2)
	v_lshl_add_u64 v[32:33], v[32:33], 3, s[18:19]
	v_lshl_add_u64 v[34:35], v[34:35], 3, s[18:19]
	s_branch .LBB1605_374
.LBB1605_373:                           ;   in Loop: Header=BB1605_374 Depth=1
	s_or_b32 exec_lo, exec_lo, s33
	s_delay_alu instid0(SALU_CYCLE_1) | instskip(NEXT) | instid1(SALU_CYCLE_1)
	s_and_b32 s33, exec_lo, s29
	s_or_b32 s27, s33, s27
	s_and_not1_b32 s31, s31, exec_lo
	s_and_b32 s0, s0, exec_lo
	s_and_not1_b32 s28, s28, exec_lo
	s_and_b32 s33, s30, exec_lo
	s_or_b32 s31, s31, s0
	s_or_b32 s28, s28, s33
	s_and_not1_b32 exec_lo, exec_lo, s27
	s_cbranch_execz .LBB1605_376
.LBB1605_374:                           ; =>This Inner Loop Header: Depth=1
	global_load_b64 v[54:55], v[32:33], off
	global_load_b64 v[56:57], v[34:35], off
	s_and_not1_b32 s30, s30, exec_lo
	s_or_b32 s29, s29, exec_lo
	s_wait_loadcnt 0x0
	v_cmp_le_u64_e32 vcc_lo, v[54:55], v[56:57]
	v_cmp_lt_u64_e64 s0, v[54:55], v[56:57]
	s_and_b32 s33, vcc_lo, s31
	s_delay_alu instid0(SALU_CYCLE_1) | instskip(NEXT) | instid1(SALU_CYCLE_1)
	s_or_b32 s0, s0, s33
	s_and_b32 s33, s0, exec_lo
	s_delay_alu instid0(SALU_CYCLE_1)
	s_or_b32 s30, s30, s33
	s_mov_b32 s33, exec_lo
	v_cmpx_eq_u64_e64 v[54:55], v[56:57]
	s_cbranch_execz .LBB1605_373
; %bb.375:                              ;   in Loop: Header=BB1605_374 Depth=1
	s_add_nc_u64 s[6:7], s[6:7], -1
	v_add_nc_u64_e32 v[32:33], 8, v[32:33]
	s_cmp_eq_u64 s[6:7], 0
	v_add_nc_u64_e32 v[34:35], 8, v[34:35]
	s_cselect_b32 s31, -1, 0
	s_and_not1_b32 s29, s29, exec_lo
	s_and_b32 s31, s31, exec_lo
	s_and_not1_b32 s30, s30, exec_lo
	s_or_b32 s29, s29, s31
                                        ; implicit-def: $sgpr31
	s_branch .LBB1605_373
.LBB1605_376:
	s_or_b32 exec_lo, exec_lo, s27
	s_xor_b32 s0, s28, -1
	s_branch .LBB1605_378
.LBB1605_377:
	s_mov_b32 s0, -1
.LBB1605_378:
	s_delay_alu instid0(SALU_CYCLE_1)
	s_and_b32 s0, s0, exec_lo
.LBB1605_379:
	s_or_b32 exec_lo, exec_lo, s24
	s_delay_alu instid0(SALU_CYCLE_1)
	s_or_not1_b32 s24, s0, exec_lo
.LBB1605_380:
	s_or_b32 exec_lo, exec_lo, s26
	v_dual_cndmask_b32 v32, v53, v52, s24 :: v_dual_cndmask_b32 v33, v51, v50, s24
	v_dual_cndmask_b32 v8, v8, v26, s25 :: v_dual_cndmask_b32 v7, v7, v25, s23
	;; [unrolled: 1-line block ×3, first 2 shown]
	s_delay_alu instid0(VALU_DEP_3) | instskip(SKIP_2) | instid1(VALU_DEP_3)
	v_dual_add_nc_u32 v34, 1, v32 :: v_dual_cndmask_b32 v9, v9, v27, s25
	v_dual_cndmask_b32 v12, v12, v22, s22 :: v_dual_cndmask_b32 v11, v11, v21, s15
	v_dual_cndmask_b32 v10, v10, v20, s15 :: v_dual_cndmask_b32 v17, v15, v17, s14
	v_add_min_u32_e64 v32, v33, -1, v34
	v_dual_cndmask_b32 v16, v14, v16, s14 :: v_dual_cndmask_b32 v15, v5, v3, s5
	v_dual_cndmask_b32 v14, v4, v2, s5 :: v_dual_cndmask_b32 v20, v34, v53, s24
	s_delay_alu instid0(VALU_DEP_3)
	v_lshl_add_u32 v32, v32, 3, v46
	v_dual_cndmask_b32 v3, v29, v31, s24 :: v_dual_cndmask_b32 v2, v28, v30, s24
	s_mov_b32 s5, exec_lo
	ds_load_b64 v[32:33], v32
	s_wait_dscnt 0x0
	v_dual_cndmask_b32 v5, v31, v33, s24 :: v_dual_cndmask_b32 v4, v30, v32, s24
	v_cmpx_lt_u32_e64 v20, v51
	s_cbranch_execz .LBB1605_390
; %bb.381:
	v_dual_cndmask_b32 v22, v52, v34, s24 :: v_dual_cndmask_b32 v21, v33, v29, s24
	v_cndmask_b32_e64 v20, v32, v28, s24
	s_mov_b32 s14, exec_lo
	s_delay_alu instid0(VALU_DEP_2)
	v_cmpx_lt_u32_e64 v22, v50
	s_cbranch_execz .LBB1605_389
; %bb.382:
	v_cmp_ne_u32_e32 vcc_lo, 1, v45
	s_cbranch_vccnz .LBB1605_388
; %bb.383:
	v_mul_u64_e32 v[22:23], s[16:17], v[20:21]
	v_mul_u64_e32 v[24:25], s[16:17], v[4:5]
	s_mov_b32 s15, 0
	s_mov_b64 s[6:7], s[16:17]
                                        ; implicit-def: $sgpr22
                                        ; implicit-def: $sgpr23
                                        ; implicit-def: $sgpr24
                                        ; implicit-def: $sgpr25
	s_delay_alu instid0(VALU_DEP_2) | instskip(NEXT) | instid1(VALU_DEP_2)
	v_lshl_add_u64 v[22:23], v[22:23], 3, s[18:19]
	v_lshl_add_u64 v[24:25], v[24:25], 3, s[18:19]
	s_branch .LBB1605_385
.LBB1605_384:                           ;   in Loop: Header=BB1605_385 Depth=1
	s_or_b32 exec_lo, exec_lo, s26
	s_delay_alu instid0(SALU_CYCLE_1) | instskip(NEXT) | instid1(SALU_CYCLE_1)
	s_and_b32 s26, exec_lo, s23
	s_or_b32 s15, s26, s15
	s_and_not1_b32 s25, s25, exec_lo
	s_and_b32 s0, s0, exec_lo
	s_and_not1_b32 s22, s22, exec_lo
	s_and_b32 s26, s24, exec_lo
	s_or_b32 s25, s25, s0
	s_or_b32 s22, s22, s26
	s_and_not1_b32 exec_lo, exec_lo, s15
	s_cbranch_execz .LBB1605_387
.LBB1605_385:                           ; =>This Inner Loop Header: Depth=1
	global_load_b64 v[26:27], v[22:23], off
	global_load_b64 v[28:29], v[24:25], off
	s_and_not1_b32 s24, s24, exec_lo
	s_or_b32 s23, s23, exec_lo
	s_wait_loadcnt 0x0
	v_cmp_le_u64_e32 vcc_lo, v[26:27], v[28:29]
	v_cmp_lt_u64_e64 s0, v[26:27], v[28:29]
	s_and_b32 s26, vcc_lo, s25
	s_delay_alu instid0(SALU_CYCLE_1) | instskip(NEXT) | instid1(SALU_CYCLE_1)
	s_or_b32 s0, s0, s26
	s_and_b32 s26, s0, exec_lo
	s_delay_alu instid0(SALU_CYCLE_1)
	s_or_b32 s24, s24, s26
	s_mov_b32 s26, exec_lo
	v_cmpx_eq_u64_e64 v[26:27], v[28:29]
	s_cbranch_execz .LBB1605_384
; %bb.386:                              ;   in Loop: Header=BB1605_385 Depth=1
	s_add_nc_u64 s[6:7], s[6:7], -1
	v_add_nc_u64_e32 v[22:23], 8, v[22:23]
	s_cmp_eq_u64 s[6:7], 0
	v_add_nc_u64_e32 v[24:25], 8, v[24:25]
	s_cselect_b32 s25, -1, 0
	s_and_not1_b32 s23, s23, exec_lo
	s_and_b32 s25, s25, exec_lo
	s_and_not1_b32 s24, s24, exec_lo
	s_or_b32 s23, s23, s25
                                        ; implicit-def: $sgpr25
	s_branch .LBB1605_384
.LBB1605_387:
	s_or_b32 exec_lo, exec_lo, s15
	v_dual_cndmask_b32 v5, v5, v21, s22 :: v_dual_cndmask_b32 v4, v4, v20, s22
.LBB1605_388:
	s_delay_alu instid0(VALU_DEP_1)
	v_mov_b64_e32 v[20:21], v[4:5]
.LBB1605_389:
	s_or_b32 exec_lo, exec_lo, s14
	s_delay_alu instid0(VALU_DEP_1)
	v_mov_b64_e32 v[4:5], v[20:21]
.LBB1605_390:
	s_or_b32 exec_lo, exec_lo, s5
.LBB1605_391:
	s_delay_alu instid0(SALU_CYCLE_1)
	s_or_b32 exec_lo, exec_lo, s1
	v_and_b32_e32 v26, 0xc0, v48
	s_mov_b32 s1, exec_lo
	; wave barrier
	ds_store_b128 v49, v[14:17]
	ds_store_b128 v49, v[10:13] offset:16
	v_or_b32_e32 v20, 32, v26
	v_lshl_add_u32 v25, v26, 3, v46
	ds_store_b128 v49, v[6:9] offset:32
	ds_store_b128 v49, v[2:5] offset:48
	; wave barrier
	v_min_u32_e32 v50, v47, v20
	v_and_b32_e32 v20, 56, v48
	s_delay_alu instid0(VALU_DEP_2) | instskip(NEXT) | instid1(VALU_DEP_2)
	v_add_min_u32_e64 v51, v50, 32, v47
	v_min_u32_e32 v27, v47, v20
	v_sub_nc_u32_e32 v21, v50, v26
	s_delay_alu instid0(VALU_DEP_3) | instskip(NEXT) | instid1(VALU_DEP_2)
	v_sub_nc_u32_e32 v20, v51, v50
	v_min_u32_e32 v28, v27, v21
	s_delay_alu instid0(VALU_DEP_2) | instskip(NEXT) | instid1(VALU_DEP_1)
	v_sub_nc_u32_e64 v24, v27, v20 clamp
	v_cmpx_lt_u32_e64 v24, v28
	s_cbranch_execz .LBB1605_401
; %bb.392:
	v_dual_lshlrev_b32 v20, 3, v50 :: v_dual_lshlrev_b32 v21, 3, v27
	s_lshl_b64 s[6:7], s[16:17], 3
	s_mov_b32 s5, 0
	s_delay_alu instid0(VALU_DEP_1)
	v_add3_u32 v29, v46, v20, v21
	s_branch .LBB1605_395
.LBB1605_393:                           ;   in Loop: Header=BB1605_395 Depth=1
	s_or_b32 exec_lo, exec_lo, s23
.LBB1605_394:                           ;   in Loop: Header=BB1605_395 Depth=1
	s_delay_alu instid0(VALU_DEP_1) | instskip(NEXT) | instid1(VALU_DEP_1)
	v_dual_add_nc_u32 v20, 1, v30 :: v_dual_cndmask_b32 v28, v28, v30, s22
	v_cndmask_b32_e64 v24, v20, v24, s22
	s_delay_alu instid0(VALU_DEP_1) | instskip(SKIP_1) | instid1(SALU_CYCLE_1)
	v_cmp_ge_u32_e32 vcc_lo, v24, v28
	s_or_b32 s5, vcc_lo, s5
	s_and_not1_b32 exec_lo, exec_lo, s5
	s_cbranch_execz .LBB1605_400
.LBB1605_395:                           ; =>This Loop Header: Depth=1
                                        ;     Child Loop BB1605_398 Depth 2
	v_add_nc_u32_e32 v20, v28, v24
	v_cmp_ne_u32_e32 vcc_lo, 1, v45
	s_mov_b32 s22, 0
	s_delay_alu instid0(VALU_DEP_2)
	v_lshrrev_b32_e32 v30, 1, v20
	s_cbranch_vccnz .LBB1605_394
; %bb.396:                              ;   in Loop: Header=BB1605_395 Depth=1
	s_delay_alu instid0(VALU_DEP_1) | instskip(SKIP_3) | instid1(VALU_DEP_2)
	v_not_b32_e32 v20, v30
	v_lshl_add_u32 v21, v30, 3, v25
	s_mov_b32 s23, 0
	s_mov_b64 s[14:15], s[16:17]
                                        ; implicit-def: $sgpr22
                                        ; implicit-def: $sgpr24
                                        ; implicit-def: $sgpr25
                                        ; implicit-def: $sgpr26
	v_lshl_add_u32 v20, v20, 3, v29
	ds_load_b64 v[32:33], v20
	ds_load_b64 v[34:35], v21
	s_wait_dscnt 0x1
	v_mad_nc_u64_u32 v[20:21], s6, v32, s[18:19]
	s_wait_dscnt 0x0
	v_mad_nc_u64_u32 v[22:23], s6, v34, s[18:19]
	s_delay_alu instid0(VALU_DEP_2) | instskip(NEXT) | instid1(VALU_DEP_2)
	v_mad_u32 v21, s7, v32, v21
	v_mad_u32 v23, s7, v34, v23
	s_delay_alu instid0(VALU_DEP_2) | instskip(NEXT) | instid1(VALU_DEP_2)
	v_mad_u32 v21, s6, v33, v21
	v_mad_u32 v23, s6, v35, v23
	s_branch .LBB1605_398
.LBB1605_397:                           ;   in Loop: Header=BB1605_398 Depth=2
	s_or_b32 exec_lo, exec_lo, s27
	s_delay_alu instid0(SALU_CYCLE_1) | instskip(NEXT) | instid1(SALU_CYCLE_1)
	s_and_b32 s27, exec_lo, s24
	s_or_b32 s23, s27, s23
	s_and_not1_b32 s26, s26, exec_lo
	s_and_b32 s0, s0, exec_lo
	s_and_not1_b32 s22, s22, exec_lo
	s_and_b32 s27, s25, exec_lo
	s_or_b32 s26, s26, s0
	s_or_b32 s22, s22, s27
	s_and_not1_b32 exec_lo, exec_lo, s23
	s_cbranch_execz .LBB1605_393
.LBB1605_398:                           ;   Parent Loop BB1605_395 Depth=1
                                        ; =>  This Inner Loop Header: Depth=2
	global_load_b64 v[32:33], v[20:21], off
	global_load_b64 v[34:35], v[22:23], off
	s_and_not1_b32 s25, s25, exec_lo
	s_or_b32 s24, s24, exec_lo
	s_wait_loadcnt 0x0
	v_cmp_le_u64_e32 vcc_lo, v[32:33], v[34:35]
	v_cmp_lt_u64_e64 s0, v[32:33], v[34:35]
	s_and_b32 s27, vcc_lo, s26
	s_delay_alu instid0(SALU_CYCLE_1) | instskip(NEXT) | instid1(SALU_CYCLE_1)
	s_or_b32 s0, s0, s27
	s_and_b32 s27, s0, exec_lo
	s_delay_alu instid0(SALU_CYCLE_1)
	s_or_b32 s25, s25, s27
	s_mov_b32 s27, exec_lo
	v_cmpx_eq_u64_e64 v[32:33], v[34:35]
	s_cbranch_execz .LBB1605_397
; %bb.399:                              ;   in Loop: Header=BB1605_398 Depth=2
	s_add_nc_u64 s[14:15], s[14:15], -1
	v_add_nc_u64_e32 v[20:21], 8, v[20:21]
	s_cmp_eq_u64 s[14:15], 0
	v_add_nc_u64_e32 v[22:23], 8, v[22:23]
	s_cselect_b32 s26, -1, 0
	s_and_not1_b32 s24, s24, exec_lo
	s_and_b32 s26, s26, exec_lo
	s_and_not1_b32 s25, s25, exec_lo
	s_or_b32 s24, s24, s26
                                        ; implicit-def: $sgpr26
	s_branch .LBB1605_397
.LBB1605_400:
	s_or_b32 exec_lo, exec_lo, s5
.LBB1605_401:
	s_delay_alu instid0(SALU_CYCLE_1) | instskip(SKIP_1) | instid1(VALU_DEP_1)
	s_or_b32 exec_lo, exec_lo, s1
	v_dual_add_nc_u32 v21, v50, v27 :: v_dual_add_nc_u32 v20, v24, v26
	v_sub_nc_u32_e32 v21, v21, v24
	s_delay_alu instid0(VALU_DEP_2) | instskip(NEXT) | instid1(VALU_DEP_2)
	v_cmp_le_u32_e32 vcc_lo, v20, v50
	v_cmp_le_u32_e64 s0, v21, v51
	s_or_b32 s0, vcc_lo, s0
	s_delay_alu instid0(SALU_CYCLE_1)
	s_and_saveexec_b32 s1, s0
	s_cbranch_execz .LBB1605_492
; %bb.402:
	s_mov_b32 s5, exec_lo
	v_cmp_ge_u32_e32 vcc_lo, v20, v50
                                        ; implicit-def: $vgpr2_vgpr3
	v_cmpx_lt_u32_e64 v20, v50
; %bb.403:
	v_lshl_add_u32 v2, v24, 3, v25
	ds_load_b64 v[2:3], v2
; %bb.404:
	s_or_b32 exec_lo, exec_lo, s5
	v_cmp_ge_u32_e64 s5, v21, v51
	s_mov_b32 s6, exec_lo
                                        ; implicit-def: $vgpr4_vgpr5
	v_cmpx_lt_u32_e64 v21, v51
; %bb.405:
	v_lshl_add_u32 v4, v21, 3, v46
	ds_load_b64 v[4:5], v4
; %bb.406:
	s_or_b32 exec_lo, exec_lo, s6
	s_nor_b32 s0, vcc_lo, s5
	s_delay_alu instid0(SALU_CYCLE_1)
	s_and_saveexec_b32 s14, s0
	s_cbranch_execz .LBB1605_415
; %bb.407:
	v_cmp_ne_u32_e32 vcc_lo, 1, v45
	s_cbranch_vccnz .LBB1605_413
; %bb.408:
	s_wait_dscnt 0x0
	v_mul_u64_e32 v[6:7], s[16:17], v[4:5]
	v_mul_u64_e32 v[8:9], s[16:17], v[2:3]
	s_mov_b32 s15, 0
	s_mov_b64 s[6:7], s[16:17]
                                        ; implicit-def: $sgpr22
                                        ; implicit-def: $sgpr23
                                        ; implicit-def: $sgpr24
                                        ; implicit-def: $sgpr25
	s_delay_alu instid0(VALU_DEP_2) | instskip(NEXT) | instid1(VALU_DEP_2)
	v_lshl_add_u64 v[6:7], v[6:7], 3, s[18:19]
	v_lshl_add_u64 v[8:9], v[8:9], 3, s[18:19]
	s_branch .LBB1605_410
.LBB1605_409:                           ;   in Loop: Header=BB1605_410 Depth=1
	s_or_b32 exec_lo, exec_lo, s26
	s_delay_alu instid0(SALU_CYCLE_1) | instskip(NEXT) | instid1(SALU_CYCLE_1)
	s_and_b32 s26, exec_lo, s23
	s_or_b32 s15, s26, s15
	s_and_not1_b32 s25, s25, exec_lo
	s_and_b32 s0, s0, exec_lo
	s_and_not1_b32 s22, s22, exec_lo
	s_and_b32 s26, s24, exec_lo
	s_or_b32 s25, s25, s0
	s_or_b32 s22, s22, s26
	s_and_not1_b32 exec_lo, exec_lo, s15
	s_cbranch_execz .LBB1605_412
.LBB1605_410:                           ; =>This Inner Loop Header: Depth=1
	global_load_b64 v[10:11], v[6:7], off
	global_load_b64 v[12:13], v[8:9], off
	s_and_not1_b32 s24, s24, exec_lo
	s_or_b32 s23, s23, exec_lo
	s_wait_loadcnt 0x0
	v_cmp_le_u64_e32 vcc_lo, v[10:11], v[12:13]
	v_cmp_lt_u64_e64 s0, v[10:11], v[12:13]
	s_and_b32 s26, vcc_lo, s25
	s_delay_alu instid0(SALU_CYCLE_1) | instskip(NEXT) | instid1(SALU_CYCLE_1)
	s_or_b32 s0, s0, s26
	s_and_b32 s26, s0, exec_lo
	s_delay_alu instid0(SALU_CYCLE_1)
	s_or_b32 s24, s24, s26
	s_mov_b32 s26, exec_lo
	v_cmpx_eq_u64_e64 v[10:11], v[12:13]
	s_cbranch_execz .LBB1605_409
; %bb.411:                              ;   in Loop: Header=BB1605_410 Depth=1
	s_add_nc_u64 s[6:7], s[6:7], -1
	v_add_nc_u64_e32 v[6:7], 8, v[6:7]
	s_cmp_eq_u64 s[6:7], 0
	v_add_nc_u64_e32 v[8:9], 8, v[8:9]
	s_cselect_b32 s25, -1, 0
	s_and_not1_b32 s23, s23, exec_lo
	s_and_b32 s25, s25, exec_lo
	s_and_not1_b32 s24, s24, exec_lo
	s_or_b32 s23, s23, s25
                                        ; implicit-def: $sgpr25
	s_branch .LBB1605_409
.LBB1605_412:
	s_or_b32 exec_lo, exec_lo, s15
	s_xor_b32 s0, s22, -1
	s_branch .LBB1605_414
.LBB1605_413:
	s_mov_b32 s0, -1
.LBB1605_414:
	s_and_not1_b32 s5, s5, exec_lo
	s_and_b32 s0, s0, exec_lo
	s_delay_alu instid0(SALU_CYCLE_1)
	s_or_b32 s5, s5, s0
.LBB1605_415:
	s_or_b32 exec_lo, exec_lo, s14
	v_dual_cndmask_b32 v6, v21, v20, s5 :: v_dual_cndmask_b32 v7, v51, v50, s5
	s_mov_b32 s15, -1
	s_mov_b32 s14, -1
	s_mov_b32 s22, exec_lo
	s_delay_alu instid0(VALU_DEP_1) | instskip(NEXT) | instid1(VALU_DEP_1)
	v_add_nc_u32_e32 v8, 1, v6
	v_add_min_u32_e64 v6, v7, -1, v8
	s_delay_alu instid0(VALU_DEP_1)
	v_lshl_add_u32 v6, v6, 3, v46
	ds_load_b64 v[6:7], v6
	s_wait_dscnt 0x0
	v_cndmask_b32_e64 v15, v7, v5, s5
	v_dual_cndmask_b32 v10, v8, v21, s5 :: v_dual_cndmask_b32 v14, v6, v4, s5
	v_dual_cndmask_b32 v11, v20, v8, s5 :: v_dual_cndmask_b32 v17, v3, v7, s5
	v_cndmask_b32_e64 v16, v2, v6, s5
	s_delay_alu instid0(VALU_DEP_3)
	v_cmpx_lt_u32_e64 v10, v51
	s_cbranch_execz .LBB1605_426
; %bb.416:
	s_mov_b32 s0, 0
	s_mov_b32 s14, exec_lo
	v_cmpx_lt_u32_e64 v11, v50
	s_cbranch_execz .LBB1605_425
; %bb.417:
	v_cmp_ne_u32_e32 vcc_lo, 1, v45
	s_cbranch_vccnz .LBB1605_423
; %bb.418:
	v_mul_u64_e32 v[6:7], s[16:17], v[14:15]
	v_mul_u64_e32 v[8:9], s[16:17], v[16:17]
	s_mov_b32 s23, 0
	s_mov_b64 s[6:7], s[16:17]
                                        ; implicit-def: $sgpr24
                                        ; implicit-def: $sgpr25
                                        ; implicit-def: $sgpr26
                                        ; implicit-def: $sgpr27
	s_delay_alu instid0(VALU_DEP_2) | instskip(NEXT) | instid1(VALU_DEP_2)
	v_lshl_add_u64 v[6:7], v[6:7], 3, s[18:19]
	v_lshl_add_u64 v[8:9], v[8:9], 3, s[18:19]
	s_branch .LBB1605_420
.LBB1605_419:                           ;   in Loop: Header=BB1605_420 Depth=1
	s_or_b32 exec_lo, exec_lo, s28
	s_delay_alu instid0(SALU_CYCLE_1) | instskip(NEXT) | instid1(SALU_CYCLE_1)
	s_and_b32 s28, exec_lo, s25
	s_or_b32 s23, s28, s23
	s_and_not1_b32 s27, s27, exec_lo
	s_and_b32 s0, s0, exec_lo
	s_and_not1_b32 s24, s24, exec_lo
	s_and_b32 s28, s26, exec_lo
	s_or_b32 s27, s27, s0
	s_or_b32 s24, s24, s28
	s_and_not1_b32 exec_lo, exec_lo, s23
	s_cbranch_execz .LBB1605_422
.LBB1605_420:                           ; =>This Inner Loop Header: Depth=1
	global_load_b64 v[12:13], v[6:7], off
	global_load_b64 v[20:21], v[8:9], off
	s_and_not1_b32 s26, s26, exec_lo
	s_or_b32 s25, s25, exec_lo
	s_wait_loadcnt 0x0
	v_cmp_le_u64_e32 vcc_lo, v[12:13], v[20:21]
	v_cmp_lt_u64_e64 s0, v[12:13], v[20:21]
	s_and_b32 s28, vcc_lo, s27
	s_delay_alu instid0(SALU_CYCLE_1) | instskip(NEXT) | instid1(SALU_CYCLE_1)
	s_or_b32 s0, s0, s28
	s_and_b32 s28, s0, exec_lo
	s_delay_alu instid0(SALU_CYCLE_1)
	s_or_b32 s26, s26, s28
	s_mov_b32 s28, exec_lo
	v_cmpx_eq_u64_e64 v[12:13], v[20:21]
	s_cbranch_execz .LBB1605_419
; %bb.421:                              ;   in Loop: Header=BB1605_420 Depth=1
	s_add_nc_u64 s[6:7], s[6:7], -1
	v_add_nc_u64_e32 v[6:7], 8, v[6:7]
	s_cmp_eq_u64 s[6:7], 0
	v_add_nc_u64_e32 v[8:9], 8, v[8:9]
	s_cselect_b32 s27, -1, 0
	s_and_not1_b32 s25, s25, exec_lo
	s_and_b32 s27, s27, exec_lo
	s_and_not1_b32 s26, s26, exec_lo
	s_or_b32 s25, s25, s27
                                        ; implicit-def: $sgpr27
	s_branch .LBB1605_419
.LBB1605_422:
	s_or_b32 exec_lo, exec_lo, s23
	s_xor_b32 s0, s24, -1
	s_branch .LBB1605_424
.LBB1605_423:
	s_mov_b32 s0, -1
.LBB1605_424:
	s_delay_alu instid0(SALU_CYCLE_1)
	s_and_b32 s0, s0, exec_lo
.LBB1605_425:
	s_or_b32 exec_lo, exec_lo, s14
	s_delay_alu instid0(SALU_CYCLE_1)
	s_or_not1_b32 s14, s0, exec_lo
.LBB1605_426:
	s_or_b32 exec_lo, exec_lo, s22
	v_dual_cndmask_b32 v6, v10, v11, s14 :: v_dual_cndmask_b32 v7, v51, v50, s14
	s_mov_b32 s22, exec_lo
	s_delay_alu instid0(VALU_DEP_1) | instskip(NEXT) | instid1(VALU_DEP_1)
	v_add_nc_u32_e32 v8, 1, v6
	v_add_min_u32_e64 v6, v7, -1, v8
	s_delay_alu instid0(VALU_DEP_1)
	v_lshl_add_u32 v6, v6, 3, v46
	ds_load_b64 v[6:7], v6
	v_cndmask_b32_e64 v13, v11, v8, s14
	s_wait_dscnt 0x0
	v_dual_cndmask_b32 v11, v7, v15, s14 :: v_dual_cndmask_b32 v12, v8, v10, s14
	v_dual_cndmask_b32 v21, v17, v7, s14 :: v_dual_cndmask_b32 v10, v6, v14, s14
	v_cndmask_b32_e64 v20, v16, v6, s14
	s_delay_alu instid0(VALU_DEP_3)
	v_cmpx_lt_u32_e64 v12, v51
	s_cbranch_execz .LBB1605_437
; %bb.427:
	s_mov_b32 s0, 0
	s_mov_b32 s15, exec_lo
	v_cmpx_lt_u32_e64 v13, v50
	s_cbranch_execz .LBB1605_436
; %bb.428:
	v_cmp_ne_u32_e32 vcc_lo, 1, v45
	s_cbranch_vccnz .LBB1605_434
; %bb.429:
	v_mul_u64_e32 v[6:7], s[16:17], v[10:11]
	v_mul_u64_e32 v[8:9], s[16:17], v[20:21]
	s_mov_b32 s23, 0
	s_mov_b64 s[6:7], s[16:17]
                                        ; implicit-def: $sgpr24
                                        ; implicit-def: $sgpr25
                                        ; implicit-def: $sgpr26
                                        ; implicit-def: $sgpr27
	s_delay_alu instid0(VALU_DEP_2) | instskip(NEXT) | instid1(VALU_DEP_2)
	v_lshl_add_u64 v[6:7], v[6:7], 3, s[18:19]
	v_lshl_add_u64 v[8:9], v[8:9], 3, s[18:19]
	s_branch .LBB1605_431
.LBB1605_430:                           ;   in Loop: Header=BB1605_431 Depth=1
	s_or_b32 exec_lo, exec_lo, s28
	s_delay_alu instid0(SALU_CYCLE_1) | instskip(NEXT) | instid1(SALU_CYCLE_1)
	s_and_b32 s28, exec_lo, s25
	s_or_b32 s23, s28, s23
	s_and_not1_b32 s27, s27, exec_lo
	s_and_b32 s0, s0, exec_lo
	s_and_not1_b32 s24, s24, exec_lo
	s_and_b32 s28, s26, exec_lo
	s_or_b32 s27, s27, s0
	s_or_b32 s24, s24, s28
	s_and_not1_b32 exec_lo, exec_lo, s23
	s_cbranch_execz .LBB1605_433
.LBB1605_431:                           ; =>This Inner Loop Header: Depth=1
	global_load_b64 v[22:23], v[6:7], off
	global_load_b64 v[24:25], v[8:9], off
	s_and_not1_b32 s26, s26, exec_lo
	s_or_b32 s25, s25, exec_lo
	s_wait_loadcnt 0x0
	v_cmp_le_u64_e32 vcc_lo, v[22:23], v[24:25]
	v_cmp_lt_u64_e64 s0, v[22:23], v[24:25]
	s_and_b32 s28, vcc_lo, s27
	s_delay_alu instid0(SALU_CYCLE_1) | instskip(NEXT) | instid1(SALU_CYCLE_1)
	s_or_b32 s0, s0, s28
	s_and_b32 s28, s0, exec_lo
	s_delay_alu instid0(SALU_CYCLE_1)
	s_or_b32 s26, s26, s28
	s_mov_b32 s28, exec_lo
	v_cmpx_eq_u64_e64 v[22:23], v[24:25]
	s_cbranch_execz .LBB1605_430
; %bb.432:                              ;   in Loop: Header=BB1605_431 Depth=1
	s_add_nc_u64 s[6:7], s[6:7], -1
	v_add_nc_u64_e32 v[6:7], 8, v[6:7]
	s_cmp_eq_u64 s[6:7], 0
	v_add_nc_u64_e32 v[8:9], 8, v[8:9]
	s_cselect_b32 s27, -1, 0
	s_and_not1_b32 s25, s25, exec_lo
	s_and_b32 s27, s27, exec_lo
	s_and_not1_b32 s26, s26, exec_lo
	s_or_b32 s25, s25, s27
                                        ; implicit-def: $sgpr27
	s_branch .LBB1605_430
.LBB1605_433:
	s_or_b32 exec_lo, exec_lo, s23
	s_xor_b32 s0, s24, -1
	s_branch .LBB1605_435
.LBB1605_434:
	s_mov_b32 s0, -1
.LBB1605_435:
	s_delay_alu instid0(SALU_CYCLE_1)
	s_and_b32 s0, s0, exec_lo
.LBB1605_436:
	s_or_b32 exec_lo, exec_lo, s15
	s_delay_alu instid0(SALU_CYCLE_1)
	s_or_not1_b32 s15, s0, exec_lo
.LBB1605_437:
	s_or_b32 exec_lo, exec_lo, s22
	v_dual_cndmask_b32 v6, v12, v13, s15 :: v_dual_cndmask_b32 v7, v51, v50, s15
	s_mov_b32 s23, -1
	s_mov_b32 s22, -1
	s_mov_b32 s24, exec_lo
	s_delay_alu instid0(VALU_DEP_1) | instskip(NEXT) | instid1(VALU_DEP_1)
	v_add_nc_u32_e32 v8, 1, v6
	v_add_min_u32_e64 v6, v7, -1, v8
	s_delay_alu instid0(VALU_DEP_1)
	v_lshl_add_u32 v6, v6, 3, v46
	ds_load_b64 v[6:7], v6
	s_wait_dscnt 0x0
	v_dual_cndmask_b32 v25, v13, v8, s15 :: v_dual_cndmask_b32 v22, v20, v6, s15
	v_dual_cndmask_b32 v13, v7, v11, s15 :: v_dual_cndmask_b32 v24, v8, v12, s15
	;; [unrolled: 1-line block ×3, first 2 shown]
	s_delay_alu instid0(VALU_DEP_2)
	v_cmpx_lt_u32_e64 v24, v51
	s_cbranch_execz .LBB1605_448
; %bb.438:
	s_mov_b32 s0, 0
	s_mov_b32 s22, exec_lo
	v_cmpx_lt_u32_e64 v25, v50
	s_cbranch_execz .LBB1605_447
; %bb.439:
	v_cmp_ne_u32_e32 vcc_lo, 1, v45
	s_cbranch_vccnz .LBB1605_445
; %bb.440:
	v_mul_u64_e32 v[6:7], s[16:17], v[12:13]
	v_mul_u64_e32 v[8:9], s[16:17], v[22:23]
	s_mov_b32 s25, 0
	s_mov_b64 s[6:7], s[16:17]
                                        ; implicit-def: $sgpr26
                                        ; implicit-def: $sgpr27
                                        ; implicit-def: $sgpr28
                                        ; implicit-def: $sgpr29
	s_delay_alu instid0(VALU_DEP_2) | instskip(NEXT) | instid1(VALU_DEP_2)
	v_lshl_add_u64 v[6:7], v[6:7], 3, s[18:19]
	v_lshl_add_u64 v[8:9], v[8:9], 3, s[18:19]
	s_branch .LBB1605_442
.LBB1605_441:                           ;   in Loop: Header=BB1605_442 Depth=1
	s_or_b32 exec_lo, exec_lo, s30
	s_delay_alu instid0(SALU_CYCLE_1) | instskip(NEXT) | instid1(SALU_CYCLE_1)
	s_and_b32 s30, exec_lo, s27
	s_or_b32 s25, s30, s25
	s_and_not1_b32 s29, s29, exec_lo
	s_and_b32 s0, s0, exec_lo
	s_and_not1_b32 s26, s26, exec_lo
	s_and_b32 s30, s28, exec_lo
	s_or_b32 s29, s29, s0
	s_or_b32 s26, s26, s30
	s_and_not1_b32 exec_lo, exec_lo, s25
	s_cbranch_execz .LBB1605_444
.LBB1605_442:                           ; =>This Inner Loop Header: Depth=1
	global_load_b64 v[26:27], v[6:7], off
	global_load_b64 v[28:29], v[8:9], off
	s_and_not1_b32 s28, s28, exec_lo
	s_or_b32 s27, s27, exec_lo
	s_wait_loadcnt 0x0
	v_cmp_le_u64_e32 vcc_lo, v[26:27], v[28:29]
	v_cmp_lt_u64_e64 s0, v[26:27], v[28:29]
	s_and_b32 s30, vcc_lo, s29
	s_delay_alu instid0(SALU_CYCLE_1) | instskip(NEXT) | instid1(SALU_CYCLE_1)
	s_or_b32 s0, s0, s30
	s_and_b32 s30, s0, exec_lo
	s_delay_alu instid0(SALU_CYCLE_1)
	s_or_b32 s28, s28, s30
	s_mov_b32 s30, exec_lo
	v_cmpx_eq_u64_e64 v[26:27], v[28:29]
	s_cbranch_execz .LBB1605_441
; %bb.443:                              ;   in Loop: Header=BB1605_442 Depth=1
	s_add_nc_u64 s[6:7], s[6:7], -1
	v_add_nc_u64_e32 v[6:7], 8, v[6:7]
	s_cmp_eq_u64 s[6:7], 0
	v_add_nc_u64_e32 v[8:9], 8, v[8:9]
	s_cselect_b32 s29, -1, 0
	s_and_not1_b32 s27, s27, exec_lo
	s_and_b32 s29, s29, exec_lo
	s_and_not1_b32 s28, s28, exec_lo
	s_or_b32 s27, s27, s29
                                        ; implicit-def: $sgpr29
	s_branch .LBB1605_441
.LBB1605_444:
	s_or_b32 exec_lo, exec_lo, s25
	s_xor_b32 s0, s26, -1
	s_branch .LBB1605_446
.LBB1605_445:
	s_mov_b32 s0, -1
.LBB1605_446:
	s_delay_alu instid0(SALU_CYCLE_1)
	s_and_b32 s0, s0, exec_lo
.LBB1605_447:
	s_or_b32 exec_lo, exec_lo, s22
	s_delay_alu instid0(SALU_CYCLE_1)
	s_or_not1_b32 s22, s0, exec_lo
.LBB1605_448:
	s_or_b32 exec_lo, exec_lo, s24
	v_dual_cndmask_b32 v6, v24, v25, s22 :: v_dual_cndmask_b32 v7, v51, v50, s22
	s_mov_b32 s24, exec_lo
	s_delay_alu instid0(VALU_DEP_1) | instskip(NEXT) | instid1(VALU_DEP_1)
	v_add_nc_u32_e32 v6, 1, v6
	v_add_min_u32_e64 v7, v7, -1, v6
	s_delay_alu instid0(VALU_DEP_1)
	v_lshl_add_u32 v7, v7, 3, v46
	ds_load_b64 v[8:9], v7
	s_wait_dscnt 0x0
	v_dual_cndmask_b32 v7, v9, v13, s22 :: v_dual_cndmask_b32 v28, v6, v24, s22
	v_dual_cndmask_b32 v29, v25, v6, s22 :: v_dual_cndmask_b32 v6, v8, v12, s22
	;; [unrolled: 1-line block ×3, first 2 shown]
	s_delay_alu instid0(VALU_DEP_3)
	v_cmpx_lt_u32_e64 v28, v51
	s_cbranch_execz .LBB1605_459
; %bb.449:
	s_mov_b32 s0, 0
	s_mov_b32 s23, exec_lo
	v_cmpx_lt_u32_e64 v29, v50
	s_cbranch_execz .LBB1605_458
; %bb.450:
	v_cmp_ne_u32_e32 vcc_lo, 1, v45
	s_cbranch_vccnz .LBB1605_456
; %bb.451:
	v_mul_u64_e32 v[8:9], s[16:17], v[6:7]
	v_mul_u64_e32 v[26:27], s[16:17], v[24:25]
	s_mov_b32 s25, 0
	s_mov_b64 s[6:7], s[16:17]
                                        ; implicit-def: $sgpr26
                                        ; implicit-def: $sgpr27
                                        ; implicit-def: $sgpr28
                                        ; implicit-def: $sgpr29
	s_delay_alu instid0(VALU_DEP_2) | instskip(NEXT) | instid1(VALU_DEP_2)
	v_lshl_add_u64 v[8:9], v[8:9], 3, s[18:19]
	v_lshl_add_u64 v[26:27], v[26:27], 3, s[18:19]
	s_branch .LBB1605_453
.LBB1605_452:                           ;   in Loop: Header=BB1605_453 Depth=1
	s_or_b32 exec_lo, exec_lo, s30
	s_delay_alu instid0(SALU_CYCLE_1) | instskip(NEXT) | instid1(SALU_CYCLE_1)
	s_and_b32 s30, exec_lo, s27
	s_or_b32 s25, s30, s25
	s_and_not1_b32 s29, s29, exec_lo
	s_and_b32 s0, s0, exec_lo
	s_and_not1_b32 s26, s26, exec_lo
	s_and_b32 s30, s28, exec_lo
	s_or_b32 s29, s29, s0
	s_or_b32 s26, s26, s30
	s_and_not1_b32 exec_lo, exec_lo, s25
	s_cbranch_execz .LBB1605_455
.LBB1605_453:                           ; =>This Inner Loop Header: Depth=1
	global_load_b64 v[30:31], v[8:9], off
	global_load_b64 v[32:33], v[26:27], off
	s_and_not1_b32 s28, s28, exec_lo
	s_or_b32 s27, s27, exec_lo
	s_wait_loadcnt 0x0
	v_cmp_le_u64_e32 vcc_lo, v[30:31], v[32:33]
	v_cmp_lt_u64_e64 s0, v[30:31], v[32:33]
	s_and_b32 s30, vcc_lo, s29
	s_delay_alu instid0(SALU_CYCLE_1) | instskip(NEXT) | instid1(SALU_CYCLE_1)
	s_or_b32 s0, s0, s30
	s_and_b32 s30, s0, exec_lo
	s_delay_alu instid0(SALU_CYCLE_1)
	s_or_b32 s28, s28, s30
	s_mov_b32 s30, exec_lo
	v_cmpx_eq_u64_e64 v[30:31], v[32:33]
	s_cbranch_execz .LBB1605_452
; %bb.454:                              ;   in Loop: Header=BB1605_453 Depth=1
	s_add_nc_u64 s[6:7], s[6:7], -1
	v_add_nc_u64_e32 v[8:9], 8, v[8:9]
	s_cmp_eq_u64 s[6:7], 0
	v_add_nc_u64_e32 v[26:27], 8, v[26:27]
	s_cselect_b32 s29, -1, 0
	s_and_not1_b32 s27, s27, exec_lo
	s_and_b32 s29, s29, exec_lo
	s_and_not1_b32 s28, s28, exec_lo
	s_or_b32 s27, s27, s29
                                        ; implicit-def: $sgpr29
	s_branch .LBB1605_452
.LBB1605_455:
	s_or_b32 exec_lo, exec_lo, s25
	s_xor_b32 s0, s26, -1
	s_branch .LBB1605_457
.LBB1605_456:
	s_mov_b32 s0, -1
.LBB1605_457:
	s_delay_alu instid0(SALU_CYCLE_1)
	s_and_b32 s0, s0, exec_lo
.LBB1605_458:
	s_or_b32 exec_lo, exec_lo, s23
	s_delay_alu instid0(SALU_CYCLE_1)
	s_or_not1_b32 s23, s0, exec_lo
.LBB1605_459:
	s_or_b32 exec_lo, exec_lo, s24
	v_dual_cndmask_b32 v8, v28, v29, s23 :: v_dual_cndmask_b32 v9, v51, v50, s23
	s_mov_b32 s24, -1
	s_mov_b32 s25, -1
	s_mov_b32 s26, exec_lo
	s_delay_alu instid0(VALU_DEP_1) | instskip(NEXT) | instid1(VALU_DEP_1)
	v_add_nc_u32_e32 v8, 1, v8
	v_add_min_u32_e64 v9, v9, -1, v8
	s_delay_alu instid0(VALU_DEP_1)
	v_lshl_add_u32 v9, v9, 3, v46
	ds_load_b64 v[26:27], v9
	s_wait_dscnt 0x0
	v_dual_cndmask_b32 v9, v27, v7, s23 :: v_dual_cndmask_b32 v32, v8, v28, s23
	v_dual_cndmask_b32 v33, v29, v8, s23 :: v_dual_cndmask_b32 v8, v26, v6, s23
	;; [unrolled: 1-line block ×3, first 2 shown]
	s_delay_alu instid0(VALU_DEP_3)
	v_cmpx_lt_u32_e64 v32, v51
	s_cbranch_execz .LBB1605_470
; %bb.460:
	s_mov_b32 s0, 0
	s_mov_b32 s25, exec_lo
	v_cmpx_lt_u32_e64 v33, v50
	s_cbranch_execz .LBB1605_469
; %bb.461:
	v_cmp_ne_u32_e32 vcc_lo, 1, v45
	s_cbranch_vccnz .LBB1605_467
; %bb.462:
	v_mul_u64_e32 v[28:29], s[16:17], v[8:9]
	v_mul_u64_e32 v[30:31], s[16:17], v[26:27]
	s_mov_b32 s27, 0
	s_mov_b64 s[6:7], s[16:17]
                                        ; implicit-def: $sgpr28
                                        ; implicit-def: $sgpr29
                                        ; implicit-def: $sgpr30
                                        ; implicit-def: $sgpr31
	s_delay_alu instid0(VALU_DEP_2) | instskip(NEXT) | instid1(VALU_DEP_2)
	v_lshl_add_u64 v[28:29], v[28:29], 3, s[18:19]
	v_lshl_add_u64 v[30:31], v[30:31], 3, s[18:19]
	s_branch .LBB1605_464
.LBB1605_463:                           ;   in Loop: Header=BB1605_464 Depth=1
	s_or_b32 exec_lo, exec_lo, s33
	s_delay_alu instid0(SALU_CYCLE_1) | instskip(NEXT) | instid1(SALU_CYCLE_1)
	s_and_b32 s33, exec_lo, s29
	s_or_b32 s27, s33, s27
	s_and_not1_b32 s31, s31, exec_lo
	s_and_b32 s0, s0, exec_lo
	s_and_not1_b32 s28, s28, exec_lo
	s_and_b32 s33, s30, exec_lo
	s_or_b32 s31, s31, s0
	s_or_b32 s28, s28, s33
	s_and_not1_b32 exec_lo, exec_lo, s27
	s_cbranch_execz .LBB1605_466
.LBB1605_464:                           ; =>This Inner Loop Header: Depth=1
	global_load_b64 v[34:35], v[28:29], off
	global_load_b64 v[52:53], v[30:31], off
	s_and_not1_b32 s30, s30, exec_lo
	s_or_b32 s29, s29, exec_lo
	s_wait_loadcnt 0x0
	v_cmp_le_u64_e32 vcc_lo, v[34:35], v[52:53]
	v_cmp_lt_u64_e64 s0, v[34:35], v[52:53]
	s_and_b32 s33, vcc_lo, s31
	s_delay_alu instid0(SALU_CYCLE_1) | instskip(NEXT) | instid1(SALU_CYCLE_1)
	s_or_b32 s0, s0, s33
	s_and_b32 s33, s0, exec_lo
	s_delay_alu instid0(SALU_CYCLE_1)
	s_or_b32 s30, s30, s33
	s_mov_b32 s33, exec_lo
	v_cmpx_eq_u64_e64 v[34:35], v[52:53]
	s_cbranch_execz .LBB1605_463
; %bb.465:                              ;   in Loop: Header=BB1605_464 Depth=1
	s_add_nc_u64 s[6:7], s[6:7], -1
	v_add_nc_u64_e32 v[28:29], 8, v[28:29]
	s_cmp_eq_u64 s[6:7], 0
	v_add_nc_u64_e32 v[30:31], 8, v[30:31]
	s_cselect_b32 s31, -1, 0
	s_and_not1_b32 s29, s29, exec_lo
	s_and_b32 s31, s31, exec_lo
	s_and_not1_b32 s30, s30, exec_lo
	s_or_b32 s29, s29, s31
                                        ; implicit-def: $sgpr31
	s_branch .LBB1605_463
.LBB1605_466:
	s_or_b32 exec_lo, exec_lo, s27
	s_xor_b32 s0, s28, -1
	s_branch .LBB1605_468
.LBB1605_467:
	s_mov_b32 s0, -1
.LBB1605_468:
	s_delay_alu instid0(SALU_CYCLE_1)
	s_and_b32 s0, s0, exec_lo
.LBB1605_469:
	s_or_b32 exec_lo, exec_lo, s25
	s_delay_alu instid0(SALU_CYCLE_1)
	s_or_not1_b32 s25, s0, exec_lo
.LBB1605_470:
	s_or_b32 exec_lo, exec_lo, s26
	v_dual_cndmask_b32 v28, v32, v33, s25 :: v_dual_cndmask_b32 v29, v51, v50, s25
	s_mov_b32 s26, exec_lo
	s_delay_alu instid0(VALU_DEP_1) | instskip(NEXT) | instid1(VALU_DEP_1)
	v_add_nc_u32_e32 v28, 1, v28
	v_add_min_u32_e64 v29, v29, -1, v28
	s_delay_alu instid0(VALU_DEP_1)
	v_lshl_add_u32 v29, v29, 3, v46
	ds_load_b64 v[30:31], v29
	s_wait_dscnt 0x0
	v_dual_cndmask_b32 v29, v31, v9, s25 :: v_dual_cndmask_b32 v53, v28, v32, s25
	v_dual_cndmask_b32 v31, v27, v31, s25 :: v_dual_cndmask_b32 v52, v33, v28, s25
	v_cndmask_b32_e64 v28, v30, v8, s25
	v_cndmask_b32_e64 v30, v26, v30, s25
	s_delay_alu instid0(VALU_DEP_4)
	v_cmpx_lt_u32_e64 v53, v51
	s_cbranch_execz .LBB1605_481
; %bb.471:
	s_mov_b32 s0, 0
	s_mov_b32 s24, exec_lo
	v_cmpx_lt_u32_e64 v52, v50
	s_cbranch_execz .LBB1605_480
; %bb.472:
	v_cmp_ne_u32_e32 vcc_lo, 1, v45
	s_cbranch_vccnz .LBB1605_478
; %bb.473:
	v_mul_u64_e32 v[32:33], s[16:17], v[28:29]
	v_mul_u64_e32 v[34:35], s[16:17], v[30:31]
	s_mov_b32 s27, 0
	s_mov_b64 s[6:7], s[16:17]
                                        ; implicit-def: $sgpr28
                                        ; implicit-def: $sgpr29
                                        ; implicit-def: $sgpr30
                                        ; implicit-def: $sgpr31
	s_delay_alu instid0(VALU_DEP_2) | instskip(NEXT) | instid1(VALU_DEP_2)
	v_lshl_add_u64 v[32:33], v[32:33], 3, s[18:19]
	v_lshl_add_u64 v[34:35], v[34:35], 3, s[18:19]
	s_branch .LBB1605_475
.LBB1605_474:                           ;   in Loop: Header=BB1605_475 Depth=1
	s_or_b32 exec_lo, exec_lo, s33
	s_delay_alu instid0(SALU_CYCLE_1) | instskip(NEXT) | instid1(SALU_CYCLE_1)
	s_and_b32 s33, exec_lo, s29
	s_or_b32 s27, s33, s27
	s_and_not1_b32 s31, s31, exec_lo
	s_and_b32 s0, s0, exec_lo
	s_and_not1_b32 s28, s28, exec_lo
	s_and_b32 s33, s30, exec_lo
	s_or_b32 s31, s31, s0
	s_or_b32 s28, s28, s33
	s_and_not1_b32 exec_lo, exec_lo, s27
	s_cbranch_execz .LBB1605_477
.LBB1605_475:                           ; =>This Inner Loop Header: Depth=1
	global_load_b64 v[54:55], v[32:33], off
	global_load_b64 v[56:57], v[34:35], off
	s_and_not1_b32 s30, s30, exec_lo
	s_or_b32 s29, s29, exec_lo
	s_wait_loadcnt 0x0
	v_cmp_le_u64_e32 vcc_lo, v[54:55], v[56:57]
	v_cmp_lt_u64_e64 s0, v[54:55], v[56:57]
	s_and_b32 s33, vcc_lo, s31
	s_delay_alu instid0(SALU_CYCLE_1) | instskip(NEXT) | instid1(SALU_CYCLE_1)
	s_or_b32 s0, s0, s33
	s_and_b32 s33, s0, exec_lo
	s_delay_alu instid0(SALU_CYCLE_1)
	s_or_b32 s30, s30, s33
	s_mov_b32 s33, exec_lo
	v_cmpx_eq_u64_e64 v[54:55], v[56:57]
	s_cbranch_execz .LBB1605_474
; %bb.476:                              ;   in Loop: Header=BB1605_475 Depth=1
	s_add_nc_u64 s[6:7], s[6:7], -1
	v_add_nc_u64_e32 v[32:33], 8, v[32:33]
	s_cmp_eq_u64 s[6:7], 0
	v_add_nc_u64_e32 v[34:35], 8, v[34:35]
	s_cselect_b32 s31, -1, 0
	s_and_not1_b32 s29, s29, exec_lo
	s_and_b32 s31, s31, exec_lo
	s_and_not1_b32 s30, s30, exec_lo
	s_or_b32 s29, s29, s31
                                        ; implicit-def: $sgpr31
	s_branch .LBB1605_474
.LBB1605_477:
	s_or_b32 exec_lo, exec_lo, s27
	s_xor_b32 s0, s28, -1
	s_branch .LBB1605_479
.LBB1605_478:
	s_mov_b32 s0, -1
.LBB1605_479:
	s_delay_alu instid0(SALU_CYCLE_1)
	s_and_b32 s0, s0, exec_lo
.LBB1605_480:
	s_or_b32 exec_lo, exec_lo, s24
	s_delay_alu instid0(SALU_CYCLE_1)
	s_or_not1_b32 s24, s0, exec_lo
.LBB1605_481:
	s_or_b32 exec_lo, exec_lo, s26
	v_dual_cndmask_b32 v32, v53, v52, s24 :: v_dual_cndmask_b32 v33, v51, v50, s24
	v_dual_cndmask_b32 v8, v8, v26, s25 :: v_dual_cndmask_b32 v7, v7, v25, s23
	;; [unrolled: 1-line block ×3, first 2 shown]
	s_delay_alu instid0(VALU_DEP_3) | instskip(SKIP_2) | instid1(VALU_DEP_3)
	v_dual_add_nc_u32 v34, 1, v32 :: v_dual_cndmask_b32 v9, v9, v27, s25
	v_dual_cndmask_b32 v12, v12, v22, s22 :: v_dual_cndmask_b32 v11, v11, v21, s15
	v_dual_cndmask_b32 v10, v10, v20, s15 :: v_dual_cndmask_b32 v17, v15, v17, s14
	v_add_min_u32_e64 v32, v33, -1, v34
	v_dual_cndmask_b32 v16, v14, v16, s14 :: v_dual_cndmask_b32 v15, v5, v3, s5
	v_dual_cndmask_b32 v14, v4, v2, s5 :: v_dual_cndmask_b32 v20, v34, v53, s24
	s_delay_alu instid0(VALU_DEP_3)
	v_lshl_add_u32 v32, v32, 3, v46
	v_dual_cndmask_b32 v3, v29, v31, s24 :: v_dual_cndmask_b32 v2, v28, v30, s24
	s_mov_b32 s5, exec_lo
	ds_load_b64 v[32:33], v32
	s_wait_dscnt 0x0
	v_dual_cndmask_b32 v5, v31, v33, s24 :: v_dual_cndmask_b32 v4, v30, v32, s24
	v_cmpx_lt_u32_e64 v20, v51
	s_cbranch_execz .LBB1605_491
; %bb.482:
	v_dual_cndmask_b32 v22, v52, v34, s24 :: v_dual_cndmask_b32 v21, v33, v29, s24
	v_cndmask_b32_e64 v20, v32, v28, s24
	s_mov_b32 s14, exec_lo
	s_delay_alu instid0(VALU_DEP_2)
	v_cmpx_lt_u32_e64 v22, v50
	s_cbranch_execz .LBB1605_490
; %bb.483:
	v_cmp_ne_u32_e32 vcc_lo, 1, v45
	s_cbranch_vccnz .LBB1605_489
; %bb.484:
	v_mul_u64_e32 v[22:23], s[16:17], v[20:21]
	v_mul_u64_e32 v[24:25], s[16:17], v[4:5]
	s_mov_b32 s15, 0
	s_mov_b64 s[6:7], s[16:17]
                                        ; implicit-def: $sgpr22
                                        ; implicit-def: $sgpr23
                                        ; implicit-def: $sgpr24
                                        ; implicit-def: $sgpr25
	s_delay_alu instid0(VALU_DEP_2) | instskip(NEXT) | instid1(VALU_DEP_2)
	v_lshl_add_u64 v[22:23], v[22:23], 3, s[18:19]
	v_lshl_add_u64 v[24:25], v[24:25], 3, s[18:19]
	s_branch .LBB1605_486
.LBB1605_485:                           ;   in Loop: Header=BB1605_486 Depth=1
	s_or_b32 exec_lo, exec_lo, s26
	s_delay_alu instid0(SALU_CYCLE_1) | instskip(NEXT) | instid1(SALU_CYCLE_1)
	s_and_b32 s26, exec_lo, s23
	s_or_b32 s15, s26, s15
	s_and_not1_b32 s25, s25, exec_lo
	s_and_b32 s0, s0, exec_lo
	s_and_not1_b32 s22, s22, exec_lo
	s_and_b32 s26, s24, exec_lo
	s_or_b32 s25, s25, s0
	s_or_b32 s22, s22, s26
	s_and_not1_b32 exec_lo, exec_lo, s15
	s_cbranch_execz .LBB1605_488
.LBB1605_486:                           ; =>This Inner Loop Header: Depth=1
	global_load_b64 v[26:27], v[22:23], off
	global_load_b64 v[28:29], v[24:25], off
	s_and_not1_b32 s24, s24, exec_lo
	s_or_b32 s23, s23, exec_lo
	s_wait_loadcnt 0x0
	v_cmp_le_u64_e32 vcc_lo, v[26:27], v[28:29]
	v_cmp_lt_u64_e64 s0, v[26:27], v[28:29]
	s_and_b32 s26, vcc_lo, s25
	s_delay_alu instid0(SALU_CYCLE_1) | instskip(NEXT) | instid1(SALU_CYCLE_1)
	s_or_b32 s0, s0, s26
	s_and_b32 s26, s0, exec_lo
	s_delay_alu instid0(SALU_CYCLE_1)
	s_or_b32 s24, s24, s26
	s_mov_b32 s26, exec_lo
	v_cmpx_eq_u64_e64 v[26:27], v[28:29]
	s_cbranch_execz .LBB1605_485
; %bb.487:                              ;   in Loop: Header=BB1605_486 Depth=1
	s_add_nc_u64 s[6:7], s[6:7], -1
	v_add_nc_u64_e32 v[22:23], 8, v[22:23]
	s_cmp_eq_u64 s[6:7], 0
	v_add_nc_u64_e32 v[24:25], 8, v[24:25]
	s_cselect_b32 s25, -1, 0
	s_and_not1_b32 s23, s23, exec_lo
	s_and_b32 s25, s25, exec_lo
	s_and_not1_b32 s24, s24, exec_lo
	s_or_b32 s23, s23, s25
                                        ; implicit-def: $sgpr25
	s_branch .LBB1605_485
.LBB1605_488:
	s_or_b32 exec_lo, exec_lo, s15
	v_dual_cndmask_b32 v5, v5, v21, s22 :: v_dual_cndmask_b32 v4, v4, v20, s22
.LBB1605_489:
	s_delay_alu instid0(VALU_DEP_1)
	v_mov_b64_e32 v[20:21], v[4:5]
.LBB1605_490:
	s_or_b32 exec_lo, exec_lo, s14
	s_delay_alu instid0(VALU_DEP_1)
	v_mov_b64_e32 v[4:5], v[20:21]
.LBB1605_491:
	s_or_b32 exec_lo, exec_lo, s5
.LBB1605_492:
	s_delay_alu instid0(SALU_CYCLE_1)
	s_or_b32 exec_lo, exec_lo, s1
	v_and_b32_e32 v26, 0x80, v48
	s_mov_b32 s1, exec_lo
	; wave barrier
	ds_store_b128 v49, v[14:17]
	ds_store_b128 v49, v[10:13] offset:16
	v_or_b32_e32 v20, 64, v26
	v_lshl_add_u32 v25, v26, 3, v46
	ds_store_b128 v49, v[6:9] offset:32
	ds_store_b128 v49, v[2:5] offset:48
	; wave barrier
	v_min_u32_e32 v50, v47, v20
	v_and_b32_e32 v20, 0x78, v48
	s_delay_alu instid0(VALU_DEP_2) | instskip(NEXT) | instid1(VALU_DEP_2)
	v_add_min_u32_e64 v48, v50, 64, v47
	v_min_u32_e32 v27, v47, v20
	v_sub_nc_u32_e32 v21, v50, v26
	s_delay_alu instid0(VALU_DEP_3) | instskip(NEXT) | instid1(VALU_DEP_2)
	v_sub_nc_u32_e32 v20, v48, v50
	v_min_u32_e32 v28, v27, v21
	s_delay_alu instid0(VALU_DEP_2) | instskip(NEXT) | instid1(VALU_DEP_1)
	v_sub_nc_u32_e64 v24, v27, v20 clamp
	v_cmpx_lt_u32_e64 v24, v28
	s_cbranch_execz .LBB1605_502
; %bb.493:
	v_dual_lshlrev_b32 v20, 3, v50 :: v_dual_lshlrev_b32 v21, 3, v27
	s_lshl_b64 s[6:7], s[16:17], 3
	s_mov_b32 s5, 0
	s_delay_alu instid0(VALU_DEP_1)
	v_add3_u32 v29, v46, v20, v21
	s_branch .LBB1605_496
.LBB1605_494:                           ;   in Loop: Header=BB1605_496 Depth=1
	s_or_b32 exec_lo, exec_lo, s23
.LBB1605_495:                           ;   in Loop: Header=BB1605_496 Depth=1
	s_delay_alu instid0(VALU_DEP_1) | instskip(NEXT) | instid1(VALU_DEP_1)
	v_dual_add_nc_u32 v20, 1, v30 :: v_dual_cndmask_b32 v28, v28, v30, s22
	v_cndmask_b32_e64 v24, v20, v24, s22
	s_delay_alu instid0(VALU_DEP_1) | instskip(SKIP_1) | instid1(SALU_CYCLE_1)
	v_cmp_ge_u32_e32 vcc_lo, v24, v28
	s_or_b32 s5, vcc_lo, s5
	s_and_not1_b32 exec_lo, exec_lo, s5
	s_cbranch_execz .LBB1605_501
.LBB1605_496:                           ; =>This Loop Header: Depth=1
                                        ;     Child Loop BB1605_499 Depth 2
	v_add_nc_u32_e32 v20, v28, v24
	v_cmp_ne_u32_e32 vcc_lo, 1, v45
	s_mov_b32 s22, 0
	s_delay_alu instid0(VALU_DEP_2)
	v_lshrrev_b32_e32 v30, 1, v20
	s_cbranch_vccnz .LBB1605_495
; %bb.497:                              ;   in Loop: Header=BB1605_496 Depth=1
	s_delay_alu instid0(VALU_DEP_1) | instskip(SKIP_3) | instid1(VALU_DEP_2)
	v_not_b32_e32 v20, v30
	v_lshl_add_u32 v21, v30, 3, v25
	s_mov_b32 s23, 0
	s_mov_b64 s[14:15], s[16:17]
                                        ; implicit-def: $sgpr22
                                        ; implicit-def: $sgpr24
                                        ; implicit-def: $sgpr25
                                        ; implicit-def: $sgpr26
	v_lshl_add_u32 v20, v20, 3, v29
	ds_load_b64 v[32:33], v20
	ds_load_b64 v[34:35], v21
	s_wait_dscnt 0x1
	v_mad_nc_u64_u32 v[20:21], s6, v32, s[18:19]
	s_wait_dscnt 0x0
	v_mad_nc_u64_u32 v[22:23], s6, v34, s[18:19]
	s_delay_alu instid0(VALU_DEP_2) | instskip(NEXT) | instid1(VALU_DEP_2)
	v_mad_u32 v21, s7, v32, v21
	v_mad_u32 v23, s7, v34, v23
	s_delay_alu instid0(VALU_DEP_2) | instskip(NEXT) | instid1(VALU_DEP_2)
	v_mad_u32 v21, s6, v33, v21
	v_mad_u32 v23, s6, v35, v23
	s_branch .LBB1605_499
.LBB1605_498:                           ;   in Loop: Header=BB1605_499 Depth=2
	s_or_b32 exec_lo, exec_lo, s27
	s_delay_alu instid0(SALU_CYCLE_1) | instskip(NEXT) | instid1(SALU_CYCLE_1)
	s_and_b32 s27, exec_lo, s24
	s_or_b32 s23, s27, s23
	s_and_not1_b32 s26, s26, exec_lo
	s_and_b32 s0, s0, exec_lo
	s_and_not1_b32 s22, s22, exec_lo
	s_and_b32 s27, s25, exec_lo
	s_or_b32 s26, s26, s0
	s_or_b32 s22, s22, s27
	s_and_not1_b32 exec_lo, exec_lo, s23
	s_cbranch_execz .LBB1605_494
.LBB1605_499:                           ;   Parent Loop BB1605_496 Depth=1
                                        ; =>  This Inner Loop Header: Depth=2
	global_load_b64 v[32:33], v[20:21], off
	global_load_b64 v[34:35], v[22:23], off
	s_and_not1_b32 s25, s25, exec_lo
	s_or_b32 s24, s24, exec_lo
	s_wait_loadcnt 0x0
	v_cmp_le_u64_e32 vcc_lo, v[32:33], v[34:35]
	v_cmp_lt_u64_e64 s0, v[32:33], v[34:35]
	s_and_b32 s27, vcc_lo, s26
	s_delay_alu instid0(SALU_CYCLE_1) | instskip(NEXT) | instid1(SALU_CYCLE_1)
	s_or_b32 s0, s0, s27
	s_and_b32 s27, s0, exec_lo
	s_delay_alu instid0(SALU_CYCLE_1)
	s_or_b32 s25, s25, s27
	s_mov_b32 s27, exec_lo
	v_cmpx_eq_u64_e64 v[32:33], v[34:35]
	s_cbranch_execz .LBB1605_498
; %bb.500:                              ;   in Loop: Header=BB1605_499 Depth=2
	s_add_nc_u64 s[14:15], s[14:15], -1
	v_add_nc_u64_e32 v[20:21], 8, v[20:21]
	s_cmp_eq_u64 s[14:15], 0
	v_add_nc_u64_e32 v[22:23], 8, v[22:23]
	s_cselect_b32 s26, -1, 0
	s_and_not1_b32 s24, s24, exec_lo
	s_and_b32 s26, s26, exec_lo
	s_and_not1_b32 s25, s25, exec_lo
	s_or_b32 s24, s24, s26
                                        ; implicit-def: $sgpr26
	s_branch .LBB1605_498
.LBB1605_501:
	s_or_b32 exec_lo, exec_lo, s5
.LBB1605_502:
	s_delay_alu instid0(SALU_CYCLE_1) | instskip(SKIP_1) | instid1(VALU_DEP_1)
	s_or_b32 exec_lo, exec_lo, s1
	v_dual_add_nc_u32 v21, v50, v27 :: v_dual_add_nc_u32 v20, v24, v26
	v_sub_nc_u32_e32 v21, v21, v24
	s_delay_alu instid0(VALU_DEP_2) | instskip(NEXT) | instid1(VALU_DEP_2)
	v_cmp_le_u32_e32 vcc_lo, v20, v50
	v_cmp_le_u32_e64 s0, v21, v48
	s_or_b32 s0, vcc_lo, s0
	s_delay_alu instid0(SALU_CYCLE_1)
	s_and_saveexec_b32 s1, s0
	s_cbranch_execz .LBB1605_593
; %bb.503:
	s_mov_b32 s5, exec_lo
	v_cmp_ge_u32_e32 vcc_lo, v20, v50
                                        ; implicit-def: $vgpr2_vgpr3
	v_cmpx_lt_u32_e64 v20, v50
; %bb.504:
	v_lshl_add_u32 v2, v24, 3, v25
	ds_load_b64 v[2:3], v2
; %bb.505:
	s_or_b32 exec_lo, exec_lo, s5
	v_cmp_ge_u32_e64 s5, v21, v48
	s_mov_b32 s6, exec_lo
                                        ; implicit-def: $vgpr4_vgpr5
	v_cmpx_lt_u32_e64 v21, v48
; %bb.506:
	v_lshl_add_u32 v4, v21, 3, v46
	ds_load_b64 v[4:5], v4
; %bb.507:
	s_or_b32 exec_lo, exec_lo, s6
	s_nor_b32 s0, vcc_lo, s5
	s_delay_alu instid0(SALU_CYCLE_1)
	s_and_saveexec_b32 s14, s0
	s_cbranch_execz .LBB1605_516
; %bb.508:
	v_cmp_ne_u32_e32 vcc_lo, 1, v45
	s_cbranch_vccnz .LBB1605_514
; %bb.509:
	s_wait_dscnt 0x0
	v_mul_u64_e32 v[6:7], s[16:17], v[4:5]
	v_mul_u64_e32 v[8:9], s[16:17], v[2:3]
	s_mov_b32 s15, 0
	s_mov_b64 s[6:7], s[16:17]
                                        ; implicit-def: $sgpr22
                                        ; implicit-def: $sgpr23
                                        ; implicit-def: $sgpr24
                                        ; implicit-def: $sgpr25
	s_delay_alu instid0(VALU_DEP_2) | instskip(NEXT) | instid1(VALU_DEP_2)
	v_lshl_add_u64 v[6:7], v[6:7], 3, s[18:19]
	v_lshl_add_u64 v[8:9], v[8:9], 3, s[18:19]
	s_branch .LBB1605_511
.LBB1605_510:                           ;   in Loop: Header=BB1605_511 Depth=1
	s_or_b32 exec_lo, exec_lo, s26
	s_delay_alu instid0(SALU_CYCLE_1) | instskip(NEXT) | instid1(SALU_CYCLE_1)
	s_and_b32 s26, exec_lo, s23
	s_or_b32 s15, s26, s15
	s_and_not1_b32 s25, s25, exec_lo
	s_and_b32 s0, s0, exec_lo
	s_and_not1_b32 s22, s22, exec_lo
	s_and_b32 s26, s24, exec_lo
	s_or_b32 s25, s25, s0
	s_or_b32 s22, s22, s26
	s_and_not1_b32 exec_lo, exec_lo, s15
	s_cbranch_execz .LBB1605_513
.LBB1605_511:                           ; =>This Inner Loop Header: Depth=1
	global_load_b64 v[10:11], v[6:7], off
	global_load_b64 v[12:13], v[8:9], off
	s_and_not1_b32 s24, s24, exec_lo
	s_or_b32 s23, s23, exec_lo
	s_wait_loadcnt 0x0
	v_cmp_le_u64_e32 vcc_lo, v[10:11], v[12:13]
	v_cmp_lt_u64_e64 s0, v[10:11], v[12:13]
	s_and_b32 s26, vcc_lo, s25
	s_delay_alu instid0(SALU_CYCLE_1) | instskip(NEXT) | instid1(SALU_CYCLE_1)
	s_or_b32 s0, s0, s26
	s_and_b32 s26, s0, exec_lo
	s_delay_alu instid0(SALU_CYCLE_1)
	s_or_b32 s24, s24, s26
	s_mov_b32 s26, exec_lo
	v_cmpx_eq_u64_e64 v[10:11], v[12:13]
	s_cbranch_execz .LBB1605_510
; %bb.512:                              ;   in Loop: Header=BB1605_511 Depth=1
	s_add_nc_u64 s[6:7], s[6:7], -1
	v_add_nc_u64_e32 v[6:7], 8, v[6:7]
	s_cmp_eq_u64 s[6:7], 0
	v_add_nc_u64_e32 v[8:9], 8, v[8:9]
	s_cselect_b32 s25, -1, 0
	s_and_not1_b32 s23, s23, exec_lo
	s_and_b32 s25, s25, exec_lo
	s_and_not1_b32 s24, s24, exec_lo
	s_or_b32 s23, s23, s25
                                        ; implicit-def: $sgpr25
	s_branch .LBB1605_510
.LBB1605_513:
	s_or_b32 exec_lo, exec_lo, s15
	s_xor_b32 s0, s22, -1
	s_branch .LBB1605_515
.LBB1605_514:
	s_mov_b32 s0, -1
.LBB1605_515:
	s_and_not1_b32 s5, s5, exec_lo
	s_and_b32 s0, s0, exec_lo
	s_delay_alu instid0(SALU_CYCLE_1)
	s_or_b32 s5, s5, s0
.LBB1605_516:
	s_or_b32 exec_lo, exec_lo, s14
	v_dual_cndmask_b32 v6, v21, v20, s5 :: v_dual_cndmask_b32 v7, v48, v50, s5
	s_mov_b32 s15, -1
	s_mov_b32 s14, -1
	s_mov_b32 s22, exec_lo
	s_delay_alu instid0(VALU_DEP_1) | instskip(NEXT) | instid1(VALU_DEP_1)
	v_add_nc_u32_e32 v8, 1, v6
	v_add_min_u32_e64 v6, v7, -1, v8
	s_delay_alu instid0(VALU_DEP_1)
	v_lshl_add_u32 v6, v6, 3, v46
	ds_load_b64 v[6:7], v6
	s_wait_dscnt 0x0
	v_cndmask_b32_e64 v15, v7, v5, s5
	v_dual_cndmask_b32 v10, v8, v21, s5 :: v_dual_cndmask_b32 v14, v6, v4, s5
	v_dual_cndmask_b32 v11, v20, v8, s5 :: v_dual_cndmask_b32 v17, v3, v7, s5
	v_cndmask_b32_e64 v16, v2, v6, s5
	s_delay_alu instid0(VALU_DEP_3)
	v_cmpx_lt_u32_e64 v10, v48
	s_cbranch_execz .LBB1605_527
; %bb.517:
	s_mov_b32 s0, 0
	s_mov_b32 s14, exec_lo
	v_cmpx_lt_u32_e64 v11, v50
	s_cbranch_execz .LBB1605_526
; %bb.518:
	v_cmp_ne_u32_e32 vcc_lo, 1, v45
	s_cbranch_vccnz .LBB1605_524
; %bb.519:
	v_mul_u64_e32 v[6:7], s[16:17], v[14:15]
	v_mul_u64_e32 v[8:9], s[16:17], v[16:17]
	s_mov_b32 s23, 0
	s_mov_b64 s[6:7], s[16:17]
                                        ; implicit-def: $sgpr24
                                        ; implicit-def: $sgpr25
                                        ; implicit-def: $sgpr26
                                        ; implicit-def: $sgpr27
	s_delay_alu instid0(VALU_DEP_2) | instskip(NEXT) | instid1(VALU_DEP_2)
	v_lshl_add_u64 v[6:7], v[6:7], 3, s[18:19]
	v_lshl_add_u64 v[8:9], v[8:9], 3, s[18:19]
	s_branch .LBB1605_521
.LBB1605_520:                           ;   in Loop: Header=BB1605_521 Depth=1
	s_or_b32 exec_lo, exec_lo, s28
	s_delay_alu instid0(SALU_CYCLE_1) | instskip(NEXT) | instid1(SALU_CYCLE_1)
	s_and_b32 s28, exec_lo, s25
	s_or_b32 s23, s28, s23
	s_and_not1_b32 s27, s27, exec_lo
	s_and_b32 s0, s0, exec_lo
	s_and_not1_b32 s24, s24, exec_lo
	s_and_b32 s28, s26, exec_lo
	s_or_b32 s27, s27, s0
	s_or_b32 s24, s24, s28
	s_and_not1_b32 exec_lo, exec_lo, s23
	s_cbranch_execz .LBB1605_523
.LBB1605_521:                           ; =>This Inner Loop Header: Depth=1
	global_load_b64 v[12:13], v[6:7], off
	global_load_b64 v[20:21], v[8:9], off
	s_and_not1_b32 s26, s26, exec_lo
	s_or_b32 s25, s25, exec_lo
	s_wait_loadcnt 0x0
	v_cmp_le_u64_e32 vcc_lo, v[12:13], v[20:21]
	v_cmp_lt_u64_e64 s0, v[12:13], v[20:21]
	s_and_b32 s28, vcc_lo, s27
	s_delay_alu instid0(SALU_CYCLE_1) | instskip(NEXT) | instid1(SALU_CYCLE_1)
	s_or_b32 s0, s0, s28
	s_and_b32 s28, s0, exec_lo
	s_delay_alu instid0(SALU_CYCLE_1)
	s_or_b32 s26, s26, s28
	s_mov_b32 s28, exec_lo
	v_cmpx_eq_u64_e64 v[12:13], v[20:21]
	s_cbranch_execz .LBB1605_520
; %bb.522:                              ;   in Loop: Header=BB1605_521 Depth=1
	s_add_nc_u64 s[6:7], s[6:7], -1
	v_add_nc_u64_e32 v[6:7], 8, v[6:7]
	s_cmp_eq_u64 s[6:7], 0
	v_add_nc_u64_e32 v[8:9], 8, v[8:9]
	s_cselect_b32 s27, -1, 0
	s_and_not1_b32 s25, s25, exec_lo
	s_and_b32 s27, s27, exec_lo
	s_and_not1_b32 s26, s26, exec_lo
	s_or_b32 s25, s25, s27
                                        ; implicit-def: $sgpr27
	s_branch .LBB1605_520
.LBB1605_523:
	s_or_b32 exec_lo, exec_lo, s23
	s_xor_b32 s0, s24, -1
	s_branch .LBB1605_525
.LBB1605_524:
	s_mov_b32 s0, -1
.LBB1605_525:
	s_delay_alu instid0(SALU_CYCLE_1)
	s_and_b32 s0, s0, exec_lo
.LBB1605_526:
	s_or_b32 exec_lo, exec_lo, s14
	s_delay_alu instid0(SALU_CYCLE_1)
	s_or_not1_b32 s14, s0, exec_lo
.LBB1605_527:
	s_or_b32 exec_lo, exec_lo, s22
	v_dual_cndmask_b32 v6, v10, v11, s14 :: v_dual_cndmask_b32 v7, v48, v50, s14
	s_mov_b32 s22, exec_lo
	s_delay_alu instid0(VALU_DEP_1) | instskip(NEXT) | instid1(VALU_DEP_1)
	v_add_nc_u32_e32 v8, 1, v6
	v_add_min_u32_e64 v6, v7, -1, v8
	s_delay_alu instid0(VALU_DEP_1)
	v_lshl_add_u32 v6, v6, 3, v46
	ds_load_b64 v[6:7], v6
	v_cndmask_b32_e64 v13, v11, v8, s14
	s_wait_dscnt 0x0
	v_dual_cndmask_b32 v11, v7, v15, s14 :: v_dual_cndmask_b32 v12, v8, v10, s14
	v_dual_cndmask_b32 v21, v17, v7, s14 :: v_dual_cndmask_b32 v10, v6, v14, s14
	v_cndmask_b32_e64 v20, v16, v6, s14
	s_delay_alu instid0(VALU_DEP_3)
	v_cmpx_lt_u32_e64 v12, v48
	s_cbranch_execz .LBB1605_538
; %bb.528:
	s_mov_b32 s0, 0
	s_mov_b32 s15, exec_lo
	v_cmpx_lt_u32_e64 v13, v50
	s_cbranch_execz .LBB1605_537
; %bb.529:
	v_cmp_ne_u32_e32 vcc_lo, 1, v45
	s_cbranch_vccnz .LBB1605_535
; %bb.530:
	v_mul_u64_e32 v[6:7], s[16:17], v[10:11]
	v_mul_u64_e32 v[8:9], s[16:17], v[20:21]
	s_mov_b32 s23, 0
	s_mov_b64 s[6:7], s[16:17]
                                        ; implicit-def: $sgpr24
                                        ; implicit-def: $sgpr25
                                        ; implicit-def: $sgpr26
                                        ; implicit-def: $sgpr27
	s_delay_alu instid0(VALU_DEP_2) | instskip(NEXT) | instid1(VALU_DEP_2)
	v_lshl_add_u64 v[6:7], v[6:7], 3, s[18:19]
	v_lshl_add_u64 v[8:9], v[8:9], 3, s[18:19]
	s_branch .LBB1605_532
.LBB1605_531:                           ;   in Loop: Header=BB1605_532 Depth=1
	s_or_b32 exec_lo, exec_lo, s28
	s_delay_alu instid0(SALU_CYCLE_1) | instskip(NEXT) | instid1(SALU_CYCLE_1)
	s_and_b32 s28, exec_lo, s25
	s_or_b32 s23, s28, s23
	s_and_not1_b32 s27, s27, exec_lo
	s_and_b32 s0, s0, exec_lo
	s_and_not1_b32 s24, s24, exec_lo
	s_and_b32 s28, s26, exec_lo
	s_or_b32 s27, s27, s0
	s_or_b32 s24, s24, s28
	s_and_not1_b32 exec_lo, exec_lo, s23
	s_cbranch_execz .LBB1605_534
.LBB1605_532:                           ; =>This Inner Loop Header: Depth=1
	global_load_b64 v[22:23], v[6:7], off
	global_load_b64 v[24:25], v[8:9], off
	s_and_not1_b32 s26, s26, exec_lo
	s_or_b32 s25, s25, exec_lo
	s_wait_loadcnt 0x0
	v_cmp_le_u64_e32 vcc_lo, v[22:23], v[24:25]
	v_cmp_lt_u64_e64 s0, v[22:23], v[24:25]
	s_and_b32 s28, vcc_lo, s27
	s_delay_alu instid0(SALU_CYCLE_1) | instskip(NEXT) | instid1(SALU_CYCLE_1)
	s_or_b32 s0, s0, s28
	s_and_b32 s28, s0, exec_lo
	s_delay_alu instid0(SALU_CYCLE_1)
	s_or_b32 s26, s26, s28
	s_mov_b32 s28, exec_lo
	v_cmpx_eq_u64_e64 v[22:23], v[24:25]
	s_cbranch_execz .LBB1605_531
; %bb.533:                              ;   in Loop: Header=BB1605_532 Depth=1
	s_add_nc_u64 s[6:7], s[6:7], -1
	v_add_nc_u64_e32 v[6:7], 8, v[6:7]
	s_cmp_eq_u64 s[6:7], 0
	v_add_nc_u64_e32 v[8:9], 8, v[8:9]
	s_cselect_b32 s27, -1, 0
	s_and_not1_b32 s25, s25, exec_lo
	s_and_b32 s27, s27, exec_lo
	s_and_not1_b32 s26, s26, exec_lo
	s_or_b32 s25, s25, s27
                                        ; implicit-def: $sgpr27
	s_branch .LBB1605_531
.LBB1605_534:
	s_or_b32 exec_lo, exec_lo, s23
	s_xor_b32 s0, s24, -1
	s_branch .LBB1605_536
.LBB1605_535:
	s_mov_b32 s0, -1
.LBB1605_536:
	s_delay_alu instid0(SALU_CYCLE_1)
	s_and_b32 s0, s0, exec_lo
.LBB1605_537:
	s_or_b32 exec_lo, exec_lo, s15
	s_delay_alu instid0(SALU_CYCLE_1)
	s_or_not1_b32 s15, s0, exec_lo
.LBB1605_538:
	s_or_b32 exec_lo, exec_lo, s22
	v_cndmask_b32_e64 v6, v12, v13, s15
	v_cndmask_b32_e64 v7, v48, v50, s15
	s_mov_b32 s23, -1
	s_mov_b32 s22, -1
	s_mov_b32 s24, exec_lo
	v_add_nc_u32_e32 v8, 1, v6
	s_delay_alu instid0(VALU_DEP_1) | instskip(SKIP_1) | instid1(VALU_DEP_2)
	v_add_min_u32_e64 v6, v7, -1, v8
	v_cndmask_b32_e64 v25, v13, v8, s15
	v_lshl_add_u32 v6, v6, 3, v46
	ds_load_b64 v[6:7], v6
	s_wait_dscnt 0x0
	v_dual_cndmask_b32 v13, v7, v11, s15 :: v_dual_cndmask_b32 v24, v8, v12, s15
	v_dual_cndmask_b32 v12, v6, v10, s15 :: v_dual_cndmask_b32 v23, v21, v7, s15
	v_cndmask_b32_e64 v22, v20, v6, s15
	s_delay_alu instid0(VALU_DEP_3)
	v_cmpx_lt_u32_e64 v24, v48
	s_cbranch_execz .LBB1605_549
; %bb.539:
	s_mov_b32 s0, 0
	s_mov_b32 s22, exec_lo
	v_cmpx_lt_u32_e64 v25, v50
	s_cbranch_execz .LBB1605_548
; %bb.540:
	v_cmp_ne_u32_e32 vcc_lo, 1, v45
	s_cbranch_vccnz .LBB1605_546
; %bb.541:
	v_mul_u64_e32 v[6:7], s[16:17], v[12:13]
	v_mul_u64_e32 v[8:9], s[16:17], v[22:23]
	s_mov_b32 s25, 0
	s_mov_b64 s[6:7], s[16:17]
                                        ; implicit-def: $sgpr26
                                        ; implicit-def: $sgpr27
                                        ; implicit-def: $sgpr28
                                        ; implicit-def: $sgpr29
	s_delay_alu instid0(VALU_DEP_2) | instskip(NEXT) | instid1(VALU_DEP_2)
	v_lshl_add_u64 v[6:7], v[6:7], 3, s[18:19]
	v_lshl_add_u64 v[8:9], v[8:9], 3, s[18:19]
	s_branch .LBB1605_543
.LBB1605_542:                           ;   in Loop: Header=BB1605_543 Depth=1
	s_or_b32 exec_lo, exec_lo, s30
	s_delay_alu instid0(SALU_CYCLE_1) | instskip(NEXT) | instid1(SALU_CYCLE_1)
	s_and_b32 s30, exec_lo, s27
	s_or_b32 s25, s30, s25
	s_and_not1_b32 s29, s29, exec_lo
	s_and_b32 s0, s0, exec_lo
	s_and_not1_b32 s26, s26, exec_lo
	s_and_b32 s30, s28, exec_lo
	s_or_b32 s29, s29, s0
	s_or_b32 s26, s26, s30
	s_and_not1_b32 exec_lo, exec_lo, s25
	s_cbranch_execz .LBB1605_545
.LBB1605_543:                           ; =>This Inner Loop Header: Depth=1
	global_load_b64 v[26:27], v[6:7], off
	global_load_b64 v[28:29], v[8:9], off
	s_and_not1_b32 s28, s28, exec_lo
	s_or_b32 s27, s27, exec_lo
	s_wait_loadcnt 0x0
	v_cmp_le_u64_e32 vcc_lo, v[26:27], v[28:29]
	v_cmp_lt_u64_e64 s0, v[26:27], v[28:29]
	s_and_b32 s30, vcc_lo, s29
	s_delay_alu instid0(SALU_CYCLE_1) | instskip(NEXT) | instid1(SALU_CYCLE_1)
	s_or_b32 s0, s0, s30
	s_and_b32 s30, s0, exec_lo
	s_delay_alu instid0(SALU_CYCLE_1)
	s_or_b32 s28, s28, s30
	s_mov_b32 s30, exec_lo
	v_cmpx_eq_u64_e64 v[26:27], v[28:29]
	s_cbranch_execz .LBB1605_542
; %bb.544:                              ;   in Loop: Header=BB1605_543 Depth=1
	s_add_nc_u64 s[6:7], s[6:7], -1
	v_add_nc_u64_e32 v[6:7], 8, v[6:7]
	s_cmp_eq_u64 s[6:7], 0
	v_add_nc_u64_e32 v[8:9], 8, v[8:9]
	s_cselect_b32 s29, -1, 0
	s_and_not1_b32 s27, s27, exec_lo
	s_and_b32 s29, s29, exec_lo
	s_and_not1_b32 s28, s28, exec_lo
	s_or_b32 s27, s27, s29
                                        ; implicit-def: $sgpr29
	s_branch .LBB1605_542
.LBB1605_545:
	s_or_b32 exec_lo, exec_lo, s25
	s_xor_b32 s0, s26, -1
	s_branch .LBB1605_547
.LBB1605_546:
	s_mov_b32 s0, -1
.LBB1605_547:
	s_delay_alu instid0(SALU_CYCLE_1)
	s_and_b32 s0, s0, exec_lo
.LBB1605_548:
	s_or_b32 exec_lo, exec_lo, s22
	s_delay_alu instid0(SALU_CYCLE_1)
	s_or_not1_b32 s22, s0, exec_lo
.LBB1605_549:
	s_or_b32 exec_lo, exec_lo, s24
	v_cndmask_b32_e64 v6, v24, v25, s22
	s_mov_b32 s24, exec_lo
	s_delay_alu instid0(VALU_DEP_1) | instskip(NEXT) | instid1(VALU_DEP_1)
	v_add_nc_u32_e32 v6, 1, v6
	v_dual_cndmask_b32 v7, v48, v50, s22 :: v_dual_cndmask_b32 v28, v6, v24, s22
	s_delay_alu instid0(VALU_DEP_1) | instskip(NEXT) | instid1(VALU_DEP_1)
	v_add_min_u32_e64 v7, v7, -1, v6
	v_lshl_add_u32 v7, v7, 3, v46
	ds_load_b64 v[8:9], v7
	s_wait_dscnt 0x0
	v_cndmask_b32_e64 v7, v9, v13, s22
	v_dual_cndmask_b32 v29, v25, v6, s22 :: v_dual_cndmask_b32 v6, v8, v12, s22
	v_dual_cndmask_b32 v25, v23, v9, s22 :: v_dual_cndmask_b32 v24, v22, v8, s22
	v_cmpx_lt_u32_e64 v28, v48
	s_cbranch_execz .LBB1605_560
; %bb.550:
	s_mov_b32 s0, 0
	s_mov_b32 s23, exec_lo
	v_cmpx_lt_u32_e64 v29, v50
	s_cbranch_execz .LBB1605_559
; %bb.551:
	v_cmp_ne_u32_e32 vcc_lo, 1, v45
	s_cbranch_vccnz .LBB1605_557
; %bb.552:
	v_mul_u64_e32 v[8:9], s[16:17], v[6:7]
	v_mul_u64_e32 v[26:27], s[16:17], v[24:25]
	s_mov_b32 s25, 0
	s_mov_b64 s[6:7], s[16:17]
                                        ; implicit-def: $sgpr26
                                        ; implicit-def: $sgpr27
                                        ; implicit-def: $sgpr28
                                        ; implicit-def: $sgpr29
	s_delay_alu instid0(VALU_DEP_2) | instskip(NEXT) | instid1(VALU_DEP_2)
	v_lshl_add_u64 v[8:9], v[8:9], 3, s[18:19]
	v_lshl_add_u64 v[26:27], v[26:27], 3, s[18:19]
	s_branch .LBB1605_554
.LBB1605_553:                           ;   in Loop: Header=BB1605_554 Depth=1
	s_or_b32 exec_lo, exec_lo, s30
	s_delay_alu instid0(SALU_CYCLE_1) | instskip(NEXT) | instid1(SALU_CYCLE_1)
	s_and_b32 s30, exec_lo, s27
	s_or_b32 s25, s30, s25
	s_and_not1_b32 s29, s29, exec_lo
	s_and_b32 s0, s0, exec_lo
	s_and_not1_b32 s26, s26, exec_lo
	s_and_b32 s30, s28, exec_lo
	s_or_b32 s29, s29, s0
	s_or_b32 s26, s26, s30
	s_and_not1_b32 exec_lo, exec_lo, s25
	s_cbranch_execz .LBB1605_556
.LBB1605_554:                           ; =>This Inner Loop Header: Depth=1
	global_load_b64 v[30:31], v[8:9], off
	global_load_b64 v[32:33], v[26:27], off
	s_and_not1_b32 s28, s28, exec_lo
	s_or_b32 s27, s27, exec_lo
	s_wait_loadcnt 0x0
	v_cmp_le_u64_e32 vcc_lo, v[30:31], v[32:33]
	v_cmp_lt_u64_e64 s0, v[30:31], v[32:33]
	s_and_b32 s30, vcc_lo, s29
	s_delay_alu instid0(SALU_CYCLE_1) | instskip(NEXT) | instid1(SALU_CYCLE_1)
	s_or_b32 s0, s0, s30
	s_and_b32 s30, s0, exec_lo
	s_delay_alu instid0(SALU_CYCLE_1)
	s_or_b32 s28, s28, s30
	s_mov_b32 s30, exec_lo
	v_cmpx_eq_u64_e64 v[30:31], v[32:33]
	s_cbranch_execz .LBB1605_553
; %bb.555:                              ;   in Loop: Header=BB1605_554 Depth=1
	s_add_nc_u64 s[6:7], s[6:7], -1
	v_add_nc_u64_e32 v[8:9], 8, v[8:9]
	s_cmp_eq_u64 s[6:7], 0
	v_add_nc_u64_e32 v[26:27], 8, v[26:27]
	s_cselect_b32 s29, -1, 0
	s_and_not1_b32 s27, s27, exec_lo
	s_and_b32 s29, s29, exec_lo
	s_and_not1_b32 s28, s28, exec_lo
	s_or_b32 s27, s27, s29
                                        ; implicit-def: $sgpr29
	s_branch .LBB1605_553
.LBB1605_556:
	s_or_b32 exec_lo, exec_lo, s25
	s_xor_b32 s0, s26, -1
	s_branch .LBB1605_558
.LBB1605_557:
	s_mov_b32 s0, -1
.LBB1605_558:
	s_delay_alu instid0(SALU_CYCLE_1)
	s_and_b32 s0, s0, exec_lo
.LBB1605_559:
	s_or_b32 exec_lo, exec_lo, s23
	s_delay_alu instid0(SALU_CYCLE_1)
	s_or_not1_b32 s23, s0, exec_lo
.LBB1605_560:
	s_or_b32 exec_lo, exec_lo, s24
	v_cndmask_b32_e64 v8, v28, v29, s23
	v_cndmask_b32_e64 v9, v48, v50, s23
	s_mov_b32 s24, -1
	s_mov_b32 s25, -1
	s_mov_b32 s26, exec_lo
	v_add_nc_u32_e32 v8, 1, v8
	s_delay_alu instid0(VALU_DEP_1) | instskip(NEXT) | instid1(VALU_DEP_1)
	v_add_min_u32_e64 v9, v9, -1, v8
	v_lshl_add_u32 v9, v9, 3, v46
	ds_load_b64 v[26:27], v9
	v_cndmask_b32_e64 v32, v8, v28, s23
	s_wait_dscnt 0x0
	v_dual_cndmask_b32 v33, v29, v8, s23 :: v_dual_cndmask_b32 v9, v27, v7, s23
	v_dual_cndmask_b32 v8, v26, v6, s23 :: v_dual_cndmask_b32 v27, v25, v27, s23
	v_cndmask_b32_e64 v26, v24, v26, s23
	v_cmpx_lt_u32_e64 v32, v48
	s_cbranch_execz .LBB1605_571
; %bb.561:
	s_mov_b32 s0, 0
	s_mov_b32 s25, exec_lo
	v_cmpx_lt_u32_e64 v33, v50
	s_cbranch_execz .LBB1605_570
; %bb.562:
	v_cmp_ne_u32_e32 vcc_lo, 1, v45
	s_cbranch_vccnz .LBB1605_568
; %bb.563:
	v_mul_u64_e32 v[28:29], s[16:17], v[8:9]
	v_mul_u64_e32 v[30:31], s[16:17], v[26:27]
	s_mov_b32 s27, 0
	s_mov_b64 s[6:7], s[16:17]
                                        ; implicit-def: $sgpr28
                                        ; implicit-def: $sgpr29
                                        ; implicit-def: $sgpr30
                                        ; implicit-def: $sgpr31
	s_delay_alu instid0(VALU_DEP_2) | instskip(NEXT) | instid1(VALU_DEP_2)
	v_lshl_add_u64 v[28:29], v[28:29], 3, s[18:19]
	v_lshl_add_u64 v[30:31], v[30:31], 3, s[18:19]
	s_branch .LBB1605_565
.LBB1605_564:                           ;   in Loop: Header=BB1605_565 Depth=1
	s_or_b32 exec_lo, exec_lo, s33
	s_delay_alu instid0(SALU_CYCLE_1) | instskip(NEXT) | instid1(SALU_CYCLE_1)
	s_and_b32 s33, exec_lo, s29
	s_or_b32 s27, s33, s27
	s_and_not1_b32 s31, s31, exec_lo
	s_and_b32 s0, s0, exec_lo
	s_and_not1_b32 s28, s28, exec_lo
	s_and_b32 s33, s30, exec_lo
	s_or_b32 s31, s31, s0
	s_or_b32 s28, s28, s33
	s_and_not1_b32 exec_lo, exec_lo, s27
	s_cbranch_execz .LBB1605_567
.LBB1605_565:                           ; =>This Inner Loop Header: Depth=1
	global_load_b64 v[34:35], v[28:29], off
	global_load_b64 v[52:53], v[30:31], off
	s_and_not1_b32 s30, s30, exec_lo
	s_or_b32 s29, s29, exec_lo
	s_wait_loadcnt 0x0
	v_cmp_le_u64_e32 vcc_lo, v[34:35], v[52:53]
	v_cmp_lt_u64_e64 s0, v[34:35], v[52:53]
	s_and_b32 s33, vcc_lo, s31
	s_delay_alu instid0(SALU_CYCLE_1) | instskip(NEXT) | instid1(SALU_CYCLE_1)
	s_or_b32 s0, s0, s33
	s_and_b32 s33, s0, exec_lo
	s_delay_alu instid0(SALU_CYCLE_1)
	s_or_b32 s30, s30, s33
	s_mov_b32 s33, exec_lo
	v_cmpx_eq_u64_e64 v[34:35], v[52:53]
	s_cbranch_execz .LBB1605_564
; %bb.566:                              ;   in Loop: Header=BB1605_565 Depth=1
	s_add_nc_u64 s[6:7], s[6:7], -1
	v_add_nc_u64_e32 v[28:29], 8, v[28:29]
	s_cmp_eq_u64 s[6:7], 0
	v_add_nc_u64_e32 v[30:31], 8, v[30:31]
	s_cselect_b32 s31, -1, 0
	s_and_not1_b32 s29, s29, exec_lo
	s_and_b32 s31, s31, exec_lo
	s_and_not1_b32 s30, s30, exec_lo
	s_or_b32 s29, s29, s31
                                        ; implicit-def: $sgpr31
	s_branch .LBB1605_564
.LBB1605_567:
	s_or_b32 exec_lo, exec_lo, s27
	s_xor_b32 s0, s28, -1
	s_branch .LBB1605_569
.LBB1605_568:
	s_mov_b32 s0, -1
.LBB1605_569:
	s_delay_alu instid0(SALU_CYCLE_1)
	s_and_b32 s0, s0, exec_lo
.LBB1605_570:
	s_or_b32 exec_lo, exec_lo, s25
	s_delay_alu instid0(SALU_CYCLE_1)
	s_or_not1_b32 s25, s0, exec_lo
.LBB1605_571:
	s_or_b32 exec_lo, exec_lo, s26
	v_cndmask_b32_e64 v28, v32, v33, s25
	v_cndmask_b32_e64 v29, v48, v50, s25
	s_mov_b32 s26, exec_lo
	s_delay_alu instid0(VALU_DEP_2) | instskip(NEXT) | instid1(VALU_DEP_1)
	v_add_nc_u32_e32 v28, 1, v28
	v_add_min_u32_e64 v29, v29, -1, v28
	s_delay_alu instid0(VALU_DEP_1)
	v_lshl_add_u32 v29, v29, 3, v46
	ds_load_b64 v[30:31], v29
	v_cndmask_b32_e64 v49, v28, v32, s25
	s_wait_dscnt 0x0
	v_dual_cndmask_b32 v47, v33, v28, s25 :: v_dual_cndmask_b32 v29, v31, v9, s25
	v_dual_cndmask_b32 v28, v30, v8, s25 :: v_dual_cndmask_b32 v31, v27, v31, s25
	v_cndmask_b32_e64 v30, v26, v30, s25
	v_cmpx_lt_u32_e64 v49, v48
	s_cbranch_execz .LBB1605_582
; %bb.572:
	s_mov_b32 s0, 0
	s_mov_b32 s24, exec_lo
	v_cmpx_lt_u32_e64 v47, v50
	s_cbranch_execz .LBB1605_581
; %bb.573:
	v_cmp_ne_u32_e32 vcc_lo, 1, v45
	s_cbranch_vccnz .LBB1605_579
; %bb.574:
	v_mul_u64_e32 v[32:33], s[16:17], v[28:29]
	v_mul_u64_e32 v[34:35], s[16:17], v[30:31]
	s_mov_b32 s27, 0
	s_mov_b64 s[6:7], s[16:17]
                                        ; implicit-def: $sgpr28
                                        ; implicit-def: $sgpr29
                                        ; implicit-def: $sgpr30
                                        ; implicit-def: $sgpr31
	s_delay_alu instid0(VALU_DEP_2) | instskip(NEXT) | instid1(VALU_DEP_2)
	v_lshl_add_u64 v[32:33], v[32:33], 3, s[18:19]
	v_lshl_add_u64 v[34:35], v[34:35], 3, s[18:19]
	s_branch .LBB1605_576
.LBB1605_575:                           ;   in Loop: Header=BB1605_576 Depth=1
	s_or_b32 exec_lo, exec_lo, s33
	s_delay_alu instid0(SALU_CYCLE_1) | instskip(NEXT) | instid1(SALU_CYCLE_1)
	s_and_b32 s33, exec_lo, s29
	s_or_b32 s27, s33, s27
	s_and_not1_b32 s31, s31, exec_lo
	s_and_b32 s0, s0, exec_lo
	s_and_not1_b32 s28, s28, exec_lo
	s_and_b32 s33, s30, exec_lo
	s_or_b32 s31, s31, s0
	s_or_b32 s28, s28, s33
	s_and_not1_b32 exec_lo, exec_lo, s27
	s_cbranch_execz .LBB1605_578
.LBB1605_576:                           ; =>This Inner Loop Header: Depth=1
	global_load_b64 v[52:53], v[32:33], off
	global_load_b64 v[54:55], v[34:35], off
	s_and_not1_b32 s30, s30, exec_lo
	s_or_b32 s29, s29, exec_lo
	s_wait_loadcnt 0x0
	v_cmp_le_u64_e32 vcc_lo, v[52:53], v[54:55]
	v_cmp_lt_u64_e64 s0, v[52:53], v[54:55]
	s_and_b32 s33, vcc_lo, s31
	s_delay_alu instid0(SALU_CYCLE_1) | instskip(NEXT) | instid1(SALU_CYCLE_1)
	s_or_b32 s0, s0, s33
	s_and_b32 s33, s0, exec_lo
	s_delay_alu instid0(SALU_CYCLE_1)
	s_or_b32 s30, s30, s33
	s_mov_b32 s33, exec_lo
	v_cmpx_eq_u64_e64 v[52:53], v[54:55]
	s_cbranch_execz .LBB1605_575
; %bb.577:                              ;   in Loop: Header=BB1605_576 Depth=1
	s_add_nc_u64 s[6:7], s[6:7], -1
	v_add_nc_u64_e32 v[32:33], 8, v[32:33]
	s_cmp_eq_u64 s[6:7], 0
	v_add_nc_u64_e32 v[34:35], 8, v[34:35]
	s_cselect_b32 s31, -1, 0
	s_and_not1_b32 s29, s29, exec_lo
	s_and_b32 s31, s31, exec_lo
	s_and_not1_b32 s30, s30, exec_lo
	s_or_b32 s29, s29, s31
                                        ; implicit-def: $sgpr31
	s_branch .LBB1605_575
.LBB1605_578:
	s_or_b32 exec_lo, exec_lo, s27
	s_xor_b32 s0, s28, -1
	s_branch .LBB1605_580
.LBB1605_579:
	s_mov_b32 s0, -1
.LBB1605_580:
	s_delay_alu instid0(SALU_CYCLE_1)
	s_and_b32 s0, s0, exec_lo
.LBB1605_581:
	s_or_b32 exec_lo, exec_lo, s24
	s_delay_alu instid0(SALU_CYCLE_1)
	s_or_not1_b32 s24, s0, exec_lo
.LBB1605_582:
	s_or_b32 exec_lo, exec_lo, s26
	v_dual_cndmask_b32 v32, v49, v47, s24 :: v_dual_cndmask_b32 v33, v48, v50, s24
	v_dual_cndmask_b32 v8, v8, v26, s25 :: v_dual_cndmask_b32 v7, v7, v25, s23
	;; [unrolled: 1-line block ×3, first 2 shown]
	s_delay_alu instid0(VALU_DEP_3) | instskip(SKIP_2) | instid1(VALU_DEP_3)
	v_dual_add_nc_u32 v34, 1, v32 :: v_dual_cndmask_b32 v9, v9, v27, s25
	v_dual_cndmask_b32 v12, v12, v22, s22 :: v_dual_cndmask_b32 v11, v11, v21, s15
	v_dual_cndmask_b32 v10, v10, v20, s15 :: v_dual_cndmask_b32 v17, v15, v17, s14
	v_add_min_u32_e64 v32, v33, -1, v34
	v_dual_cndmask_b32 v16, v14, v16, s14 :: v_dual_cndmask_b32 v15, v5, v3, s5
	v_dual_cndmask_b32 v14, v4, v2, s5 :: v_dual_cndmask_b32 v20, v34, v49, s24
	s_delay_alu instid0(VALU_DEP_3)
	v_lshl_add_u32 v32, v32, 3, v46
	v_dual_cndmask_b32 v3, v29, v31, s24 :: v_dual_cndmask_b32 v2, v28, v30, s24
	s_mov_b32 s5, exec_lo
	ds_load_b64 v[32:33], v32
	s_wait_dscnt 0x0
	v_dual_cndmask_b32 v5, v31, v33, s24 :: v_dual_cndmask_b32 v4, v30, v32, s24
	v_cmpx_lt_u32_e64 v20, v48
	s_cbranch_execz .LBB1605_592
; %bb.583:
	v_dual_cndmask_b32 v22, v47, v34, s24 :: v_dual_cndmask_b32 v21, v33, v29, s24
	v_cndmask_b32_e64 v20, v32, v28, s24
	s_mov_b32 s14, exec_lo
	s_delay_alu instid0(VALU_DEP_2)
	v_cmpx_lt_u32_e64 v22, v50
	s_cbranch_execz .LBB1605_591
; %bb.584:
	v_cmp_ne_u32_e32 vcc_lo, 1, v45
	s_cbranch_vccnz .LBB1605_590
; %bb.585:
	v_mul_u64_e32 v[22:23], s[16:17], v[20:21]
	v_mul_u64_e32 v[24:25], s[16:17], v[4:5]
	s_mov_b32 s15, 0
	s_mov_b64 s[6:7], s[16:17]
                                        ; implicit-def: $sgpr22
                                        ; implicit-def: $sgpr23
                                        ; implicit-def: $sgpr24
                                        ; implicit-def: $sgpr25
	s_delay_alu instid0(VALU_DEP_2) | instskip(NEXT) | instid1(VALU_DEP_2)
	v_lshl_add_u64 v[22:23], v[22:23], 3, s[18:19]
	v_lshl_add_u64 v[24:25], v[24:25], 3, s[18:19]
	s_branch .LBB1605_587
.LBB1605_586:                           ;   in Loop: Header=BB1605_587 Depth=1
	s_or_b32 exec_lo, exec_lo, s26
	s_delay_alu instid0(SALU_CYCLE_1) | instskip(NEXT) | instid1(SALU_CYCLE_1)
	s_and_b32 s26, exec_lo, s23
	s_or_b32 s15, s26, s15
	s_and_not1_b32 s25, s25, exec_lo
	s_and_b32 s0, s0, exec_lo
	s_and_not1_b32 s22, s22, exec_lo
	s_and_b32 s26, s24, exec_lo
	s_or_b32 s25, s25, s0
	s_or_b32 s22, s22, s26
	s_and_not1_b32 exec_lo, exec_lo, s15
	s_cbranch_execz .LBB1605_589
.LBB1605_587:                           ; =>This Inner Loop Header: Depth=1
	global_load_b64 v[26:27], v[22:23], off
	global_load_b64 v[28:29], v[24:25], off
	s_and_not1_b32 s24, s24, exec_lo
	s_or_b32 s23, s23, exec_lo
	s_wait_loadcnt 0x0
	v_cmp_le_u64_e32 vcc_lo, v[26:27], v[28:29]
	v_cmp_lt_u64_e64 s0, v[26:27], v[28:29]
	s_and_b32 s26, vcc_lo, s25
	s_delay_alu instid0(SALU_CYCLE_1) | instskip(NEXT) | instid1(SALU_CYCLE_1)
	s_or_b32 s0, s0, s26
	s_and_b32 s26, s0, exec_lo
	s_delay_alu instid0(SALU_CYCLE_1)
	s_or_b32 s24, s24, s26
	s_mov_b32 s26, exec_lo
	v_cmpx_eq_u64_e64 v[26:27], v[28:29]
	s_cbranch_execz .LBB1605_586
; %bb.588:                              ;   in Loop: Header=BB1605_587 Depth=1
	s_add_nc_u64 s[6:7], s[6:7], -1
	v_add_nc_u64_e32 v[22:23], 8, v[22:23]
	s_cmp_eq_u64 s[6:7], 0
	v_add_nc_u64_e32 v[24:25], 8, v[24:25]
	s_cselect_b32 s25, -1, 0
	s_and_not1_b32 s23, s23, exec_lo
	s_and_b32 s25, s25, exec_lo
	s_and_not1_b32 s24, s24, exec_lo
	s_or_b32 s23, s23, s25
                                        ; implicit-def: $sgpr25
	s_branch .LBB1605_586
.LBB1605_589:
	s_or_b32 exec_lo, exec_lo, s15
	v_dual_cndmask_b32 v5, v5, v21, s22 :: v_dual_cndmask_b32 v4, v4, v20, s22
.LBB1605_590:
	s_delay_alu instid0(VALU_DEP_1)
	v_mov_b64_e32 v[20:21], v[4:5]
.LBB1605_591:
	s_or_b32 exec_lo, exec_lo, s14
	s_delay_alu instid0(VALU_DEP_1)
	v_mov_b64_e32 v[4:5], v[20:21]
.LBB1605_592:
	s_or_b32 exec_lo, exec_lo, s5
.LBB1605_593:
	s_delay_alu instid0(SALU_CYCLE_1)
	s_or_b32 exec_lo, exec_lo, s1
	v_lshlrev_b32_e32 v24, 3, v1
	s_lshl_b64 s[6:7], s[16:17], 3
	s_movk_i32 s1, 0x80
	; wave barrier
	s_wait_dscnt 0x0
	s_barrier_signal -1
	s_barrier_wait -1
.LBB1605_594:                           ; =>This Loop Header: Depth=1
                                        ;     Child Loop BB1605_598 Depth 2
                                        ;       Child Loop BB1605_601 Depth 3
                                        ;     Child Loop BB1605_613 Depth 2
                                        ;     Child Loop BB1605_623 Depth 2
	;; [unrolled: 1-line block ×8, first 2 shown]
	s_lshl_b32 s5, s1, 1
	s_mov_b32 s22, exec_lo
	s_sub_co_i32 s0, 0, s5
	ds_store_b128 v24, v[14:17]
	ds_store_b128 v24, v[10:13] offset:16
	ds_store_b128 v24, v[6:9] offset:32
	;; [unrolled: 1-line block ×3, first 2 shown]
	v_and_b32_e32 v29, s0, v1
	s_add_co_i32 s0, s5, -1
	s_wait_dscnt 0x0
	v_and_b32_e32 v20, s0, v1
	s_barrier_signal -1
	v_add_min_u32_e64 v25, v29, s1, 0x800
	s_barrier_wait -1
	s_delay_alu instid0(VALU_DEP_2) | instskip(NEXT) | instid1(VALU_DEP_2)
	v_min_u32_e32 v30, 0x800, v20
	v_dual_lshlrev_b32 v28, 3, v29 :: v_dual_sub_nc_u32 v20, v25, v29
	v_add_min_u32_e64 v26, v25, s1, 0x800
	s_delay_alu instid0(VALU_DEP_2) | instskip(NEXT) | instid1(VALU_DEP_2)
	v_min_u32_e32 v31, v30, v20
	v_sub_nc_u32_e32 v21, v26, v25
	s_delay_alu instid0(VALU_DEP_1) | instskip(NEXT) | instid1(VALU_DEP_1)
	v_sub_nc_u32_e64 v27, v30, v21 clamp
	v_cmpx_lt_u32_e64 v27, v31
	s_cbranch_execz .LBB1605_604
; %bb.595:                              ;   in Loop: Header=BB1605_594 Depth=1
	v_lshlrev_b32_e32 v20, 3, v30
	s_mov_b32 s23, 0
	s_delay_alu instid0(VALU_DEP_1)
	v_lshl_add_u32 v32, v25, 3, v20
	s_branch .LBB1605_598
.LBB1605_596:                           ;   in Loop: Header=BB1605_598 Depth=2
	s_or_b32 exec_lo, exec_lo, s25
.LBB1605_597:                           ;   in Loop: Header=BB1605_598 Depth=2
	s_delay_alu instid0(VALU_DEP_1) | instskip(NEXT) | instid1(VALU_DEP_1)
	v_dual_add_nc_u32 v20, 1, v33 :: v_dual_cndmask_b32 v31, v31, v33, s24
	v_cndmask_b32_e64 v27, v20, v27, s24
	s_delay_alu instid0(VALU_DEP_1) | instskip(SKIP_1) | instid1(SALU_CYCLE_1)
	v_cmp_ge_u32_e32 vcc_lo, v27, v31
	s_or_b32 s23, vcc_lo, s23
	s_and_not1_b32 exec_lo, exec_lo, s23
	s_cbranch_execz .LBB1605_603
.LBB1605_598:                           ;   Parent Loop BB1605_594 Depth=1
                                        ; =>  This Loop Header: Depth=2
                                        ;       Child Loop BB1605_601 Depth 3
	v_add_nc_u32_e32 v20, v31, v27
	v_cmp_ne_u32_e32 vcc_lo, 1, v45
	s_mov_b32 s24, 0
	s_delay_alu instid0(VALU_DEP_2)
	v_lshrrev_b32_e32 v33, 1, v20
	s_cbranch_vccnz .LBB1605_597
; %bb.599:                              ;   in Loop: Header=BB1605_598 Depth=2
	s_delay_alu instid0(VALU_DEP_1) | instskip(SKIP_3) | instid1(VALU_DEP_2)
	v_not_b32_e32 v20, v33
	v_lshl_add_u32 v21, v33, 3, v28
	s_mov_b32 s25, 0
	s_mov_b64 s[14:15], s[16:17]
                                        ; implicit-def: $sgpr24
                                        ; implicit-def: $sgpr26
                                        ; implicit-def: $sgpr27
                                        ; implicit-def: $sgpr28
	v_lshl_add_u32 v20, v20, 3, v32
	ds_load_b64 v[34:35], v20
	ds_load_b64 v[46:47], v21
	s_wait_dscnt 0x1
	v_mad_nc_u64_u32 v[20:21], s6, v34, s[18:19]
	s_wait_dscnt 0x0
	v_mad_nc_u64_u32 v[22:23], s6, v46, s[18:19]
	s_delay_alu instid0(VALU_DEP_2) | instskip(NEXT) | instid1(VALU_DEP_2)
	v_mad_u32 v21, s7, v34, v21
	v_mad_u32 v23, s7, v46, v23
	s_delay_alu instid0(VALU_DEP_2) | instskip(NEXT) | instid1(VALU_DEP_2)
	v_mad_u32 v21, s6, v35, v21
	v_mad_u32 v23, s6, v47, v23
	s_branch .LBB1605_601
.LBB1605_600:                           ;   in Loop: Header=BB1605_601 Depth=3
	s_or_b32 exec_lo, exec_lo, s29
	s_delay_alu instid0(SALU_CYCLE_1) | instskip(NEXT) | instid1(SALU_CYCLE_1)
	s_and_b32 s29, exec_lo, s26
	s_or_b32 s25, s29, s25
	s_and_not1_b32 s28, s28, exec_lo
	s_and_b32 s0, s0, exec_lo
	s_and_not1_b32 s24, s24, exec_lo
	s_and_b32 s29, s27, exec_lo
	s_or_b32 s28, s28, s0
	s_or_b32 s24, s24, s29
	s_and_not1_b32 exec_lo, exec_lo, s25
	s_cbranch_execz .LBB1605_596
.LBB1605_601:                           ;   Parent Loop BB1605_594 Depth=1
                                        ;     Parent Loop BB1605_598 Depth=2
                                        ; =>    This Inner Loop Header: Depth=3
	global_load_b64 v[34:35], v[20:21], off
	global_load_b64 v[46:47], v[22:23], off
	s_and_not1_b32 s27, s27, exec_lo
	s_or_b32 s26, s26, exec_lo
	s_wait_loadcnt 0x0
	v_cmp_le_u64_e32 vcc_lo, v[34:35], v[46:47]
	v_cmp_lt_u64_e64 s0, v[34:35], v[46:47]
	s_and_b32 s29, vcc_lo, s28
	s_delay_alu instid0(SALU_CYCLE_1) | instskip(NEXT) | instid1(SALU_CYCLE_1)
	s_or_b32 s0, s0, s29
	s_and_b32 s29, s0, exec_lo
	s_delay_alu instid0(SALU_CYCLE_1)
	s_or_b32 s27, s27, s29
	s_mov_b32 s29, exec_lo
	v_cmpx_eq_u64_e64 v[34:35], v[46:47]
	s_cbranch_execz .LBB1605_600
; %bb.602:                              ;   in Loop: Header=BB1605_601 Depth=3
	s_add_nc_u64 s[14:15], s[14:15], -1
	v_add_nc_u64_e32 v[20:21], 8, v[20:21]
	s_cmp_eq_u64 s[14:15], 0
	v_add_nc_u64_e32 v[22:23], 8, v[22:23]
	s_cselect_b32 s28, -1, 0
	s_and_not1_b32 s26, s26, exec_lo
	s_and_b32 s28, s28, exec_lo
	s_and_not1_b32 s27, s27, exec_lo
	s_or_b32 s26, s26, s28
                                        ; implicit-def: $sgpr28
	s_branch .LBB1605_600
.LBB1605_603:                           ;   in Loop: Header=BB1605_594 Depth=1
	s_or_b32 exec_lo, exec_lo, s23
.LBB1605_604:                           ;   in Loop: Header=BB1605_594 Depth=1
	s_delay_alu instid0(SALU_CYCLE_1) | instskip(SKIP_1) | instid1(VALU_DEP_1)
	s_or_b32 exec_lo, exec_lo, s22
	v_dual_sub_nc_u32 v21, v30, v27 :: v_dual_add_nc_u32 v20, v27, v29
	v_add_nc_u32_e32 v21, v21, v25
	s_delay_alu instid0(VALU_DEP_2) | instskip(NEXT) | instid1(VALU_DEP_2)
	v_cmp_le_u32_e32 vcc_lo, v20, v25
	v_cmp_le_u32_e64 s0, v21, v26
	s_or_b32 s0, vcc_lo, s0
	s_delay_alu instid0(SALU_CYCLE_1)
	s_and_saveexec_b32 s22, s0
	s_cbranch_execz .LBB1605_695
; %bb.605:                              ;   in Loop: Header=BB1605_594 Depth=1
	s_mov_b32 s14, exec_lo
	v_cmp_ge_u32_e32 vcc_lo, v20, v25
                                        ; implicit-def: $vgpr2_vgpr3
	v_cmpx_lt_u32_e64 v20, v25
; %bb.606:                              ;   in Loop: Header=BB1605_594 Depth=1
	v_lshl_add_u32 v2, v27, 3, v28
	ds_load_b64 v[2:3], v2
; %bb.607:                              ;   in Loop: Header=BB1605_594 Depth=1
	s_or_b32 exec_lo, exec_lo, s14
	v_cmp_ge_u32_e64 s23, v21, v26
	s_mov_b32 s14, exec_lo
                                        ; implicit-def: $vgpr14_vgpr15
	v_cmpx_lt_u32_e64 v21, v26
; %bb.608:                              ;   in Loop: Header=BB1605_594 Depth=1
	v_lshlrev_b32_e32 v4, 3, v21
	ds_load_b64 v[14:15], v4
; %bb.609:                              ;   in Loop: Header=BB1605_594 Depth=1
	s_or_b32 exec_lo, exec_lo, s14
	s_nor_b32 s0, vcc_lo, s23
	s_delay_alu instid0(SALU_CYCLE_1)
	s_and_saveexec_b32 s24, s0
	s_cbranch_execz .LBB1605_618
; %bb.610:                              ;   in Loop: Header=BB1605_594 Depth=1
	v_cmp_ne_u32_e32 vcc_lo, 1, v45
	s_cbranch_vccnz .LBB1605_616
; %bb.611:                              ;   in Loop: Header=BB1605_594 Depth=1
	s_wait_dscnt 0x0
	v_mad_nc_u64_u32 v[4:5], s6, v14, s[18:19]
	v_mad_nc_u64_u32 v[6:7], s6, v2, s[18:19]
	s_mov_b32 s25, 0
	s_mov_b64 s[14:15], s[16:17]
                                        ; implicit-def: $sgpr26
                                        ; implicit-def: $sgpr27
                                        ; implicit-def: $sgpr28
                                        ; implicit-def: $sgpr29
	s_delay_alu instid0(VALU_DEP_2) | instskip(NEXT) | instid1(VALU_DEP_2)
	v_mad_u32 v5, s7, v14, v5
	v_mad_u32 v7, s7, v2, v7
	s_delay_alu instid0(VALU_DEP_2) | instskip(NEXT) | instid1(VALU_DEP_2)
	v_mad_u32 v5, s6, v15, v5
	v_mad_u32 v7, s6, v3, v7
	s_branch .LBB1605_613
.LBB1605_612:                           ;   in Loop: Header=BB1605_613 Depth=2
	s_or_b32 exec_lo, exec_lo, s30
	s_delay_alu instid0(SALU_CYCLE_1) | instskip(NEXT) | instid1(SALU_CYCLE_1)
	s_and_b32 s30, exec_lo, s27
	s_or_b32 s25, s30, s25
	s_and_not1_b32 s29, s29, exec_lo
	s_and_b32 s0, s0, exec_lo
	s_and_not1_b32 s26, s26, exec_lo
	s_and_b32 s30, s28, exec_lo
	s_or_b32 s29, s29, s0
	s_or_b32 s26, s26, s30
	s_and_not1_b32 exec_lo, exec_lo, s25
	s_cbranch_execz .LBB1605_615
.LBB1605_613:                           ;   Parent Loop BB1605_594 Depth=1
                                        ; =>  This Inner Loop Header: Depth=2
	global_load_b64 v[8:9], v[4:5], off
	global_load_b64 v[10:11], v[6:7], off
	s_and_not1_b32 s28, s28, exec_lo
	s_or_b32 s27, s27, exec_lo
	s_wait_loadcnt 0x0
	v_cmp_le_u64_e32 vcc_lo, v[8:9], v[10:11]
	v_cmp_lt_u64_e64 s0, v[8:9], v[10:11]
	s_and_b32 s30, vcc_lo, s29
	s_delay_alu instid0(SALU_CYCLE_1) | instskip(NEXT) | instid1(SALU_CYCLE_1)
	s_or_b32 s0, s0, s30
	s_and_b32 s30, s0, exec_lo
	s_delay_alu instid0(SALU_CYCLE_1)
	s_or_b32 s28, s28, s30
	s_mov_b32 s30, exec_lo
	v_cmpx_eq_u64_e64 v[8:9], v[10:11]
	s_cbranch_execz .LBB1605_612
; %bb.614:                              ;   in Loop: Header=BB1605_613 Depth=2
	s_add_nc_u64 s[14:15], s[14:15], -1
	v_add_nc_u64_e32 v[4:5], 8, v[4:5]
	s_cmp_eq_u64 s[14:15], 0
	v_add_nc_u64_e32 v[6:7], 8, v[6:7]
	s_cselect_b32 s29, -1, 0
	s_and_not1_b32 s27, s27, exec_lo
	s_and_b32 s29, s29, exec_lo
	s_and_not1_b32 s28, s28, exec_lo
	s_or_b32 s27, s27, s29
                                        ; implicit-def: $sgpr29
	s_branch .LBB1605_612
.LBB1605_615:                           ;   in Loop: Header=BB1605_594 Depth=1
	s_or_b32 exec_lo, exec_lo, s25
	s_xor_b32 s0, s26, -1
	s_branch .LBB1605_617
.LBB1605_616:                           ;   in Loop: Header=BB1605_594 Depth=1
	s_mov_b32 s0, -1
.LBB1605_617:                           ;   in Loop: Header=BB1605_594 Depth=1
	s_and_not1_b32 s14, s23, exec_lo
	s_and_b32 s0, s0, exec_lo
	s_delay_alu instid0(SALU_CYCLE_1)
	s_or_b32 s23, s14, s0
.LBB1605_618:                           ;   in Loop: Header=BB1605_594 Depth=1
	s_or_b32 exec_lo, exec_lo, s24
	v_dual_cndmask_b32 v4, v21, v20, s23 :: v_dual_cndmask_b32 v5, v26, v25, s23
	s_mov_b32 s25, -1
	s_mov_b32 s24, -1
	s_mov_b32 s26, exec_lo
	s_delay_alu instid0(VALU_DEP_1) | instskip(NEXT) | instid1(VALU_DEP_1)
	v_add_nc_u32_e32 v6, 1, v4
	v_add_min_u32_e64 v4, v5, -1, v6
	s_delay_alu instid0(VALU_DEP_1)
	v_dual_lshlrev_b32 v4, 3, v4 :: v_dual_cndmask_b32 v8, v6, v21, s23
	v_cndmask_b32_e64 v9, v20, v6, s23
	ds_load_b64 v[4:5], v4
	s_wait_dscnt 0x0
	v_dual_cndmask_b32 v16, v5, v15, s23 :: v_dual_cndmask_b32 v20, v4, v14, s23
	v_dual_cndmask_b32 v17, v3, v5, s23 :: v_dual_cndmask_b32 v21, v2, v4, s23
	v_cmpx_lt_u32_e64 v8, v26
	s_cbranch_execz .LBB1605_629
; %bb.619:                              ;   in Loop: Header=BB1605_594 Depth=1
	s_mov_b32 s0, 0
	s_mov_b32 s24, exec_lo
	v_cmpx_lt_u32_e64 v9, v25
	s_cbranch_execz .LBB1605_628
; %bb.620:                              ;   in Loop: Header=BB1605_594 Depth=1
	v_cmp_ne_u32_e32 vcc_lo, 1, v45
	s_cbranch_vccnz .LBB1605_626
; %bb.621:                              ;   in Loop: Header=BB1605_594 Depth=1
	v_mad_nc_u64_u32 v[4:5], s6, v20, s[18:19]
	v_mad_nc_u64_u32 v[6:7], s6, v21, s[18:19]
	s_mov_b32 s27, 0
	s_mov_b64 s[14:15], s[16:17]
                                        ; implicit-def: $sgpr28
                                        ; implicit-def: $sgpr29
                                        ; implicit-def: $sgpr30
                                        ; implicit-def: $sgpr31
	s_delay_alu instid0(VALU_DEP_2) | instskip(NEXT) | instid1(VALU_DEP_2)
	v_mad_u32 v5, s7, v20, v5
	v_mad_u32 v7, s7, v21, v7
	s_delay_alu instid0(VALU_DEP_2) | instskip(NEXT) | instid1(VALU_DEP_2)
	v_mad_u32 v5, s6, v16, v5
	v_mad_u32 v7, s6, v17, v7
	s_branch .LBB1605_623
.LBB1605_622:                           ;   in Loop: Header=BB1605_623 Depth=2
	s_or_b32 exec_lo, exec_lo, s33
	s_delay_alu instid0(SALU_CYCLE_1) | instskip(NEXT) | instid1(SALU_CYCLE_1)
	s_and_b32 s33, exec_lo, s29
	s_or_b32 s27, s33, s27
	s_and_not1_b32 s31, s31, exec_lo
	s_and_b32 s0, s0, exec_lo
	s_and_not1_b32 s28, s28, exec_lo
	s_and_b32 s33, s30, exec_lo
	s_or_b32 s31, s31, s0
	s_or_b32 s28, s28, s33
	s_and_not1_b32 exec_lo, exec_lo, s27
	s_cbranch_execz .LBB1605_625
.LBB1605_623:                           ;   Parent Loop BB1605_594 Depth=1
                                        ; =>  This Inner Loop Header: Depth=2
	global_load_b64 v[10:11], v[4:5], off
	global_load_b64 v[12:13], v[6:7], off
	s_and_not1_b32 s30, s30, exec_lo
	s_or_b32 s29, s29, exec_lo
	s_wait_loadcnt 0x0
	v_cmp_le_u64_e32 vcc_lo, v[10:11], v[12:13]
	v_cmp_lt_u64_e64 s0, v[10:11], v[12:13]
	s_and_b32 s33, vcc_lo, s31
	s_delay_alu instid0(SALU_CYCLE_1) | instskip(NEXT) | instid1(SALU_CYCLE_1)
	s_or_b32 s0, s0, s33
	s_and_b32 s33, s0, exec_lo
	s_delay_alu instid0(SALU_CYCLE_1)
	s_or_b32 s30, s30, s33
	s_mov_b32 s33, exec_lo
	v_cmpx_eq_u64_e64 v[10:11], v[12:13]
	s_cbranch_execz .LBB1605_622
; %bb.624:                              ;   in Loop: Header=BB1605_623 Depth=2
	s_add_nc_u64 s[14:15], s[14:15], -1
	v_add_nc_u64_e32 v[4:5], 8, v[4:5]
	s_cmp_eq_u64 s[14:15], 0
	v_add_nc_u64_e32 v[6:7], 8, v[6:7]
	s_cselect_b32 s31, -1, 0
	s_and_not1_b32 s29, s29, exec_lo
	s_and_b32 s31, s31, exec_lo
	s_and_not1_b32 s30, s30, exec_lo
	s_or_b32 s29, s29, s31
                                        ; implicit-def: $sgpr31
	s_branch .LBB1605_622
.LBB1605_625:                           ;   in Loop: Header=BB1605_594 Depth=1
	s_or_b32 exec_lo, exec_lo, s27
	s_xor_b32 s0, s28, -1
	s_branch .LBB1605_627
.LBB1605_626:                           ;   in Loop: Header=BB1605_594 Depth=1
	s_mov_b32 s0, -1
.LBB1605_627:                           ;   in Loop: Header=BB1605_594 Depth=1
	s_delay_alu instid0(SALU_CYCLE_1)
	s_and_b32 s0, s0, exec_lo
.LBB1605_628:                           ;   in Loop: Header=BB1605_594 Depth=1
	s_or_b32 exec_lo, exec_lo, s24
	s_delay_alu instid0(SALU_CYCLE_1)
	s_or_not1_b32 s24, s0, exec_lo
.LBB1605_629:                           ;   in Loop: Header=BB1605_594 Depth=1
	s_or_b32 exec_lo, exec_lo, s26
	v_cndmask_b32_e64 v4, v8, v9, s24
	v_cndmask_b32_e64 v5, v26, v25, s24
	s_mov_b32 s26, exec_lo
	s_delay_alu instid0(VALU_DEP_2) | instskip(NEXT) | instid1(VALU_DEP_1)
	v_add_nc_u32_e32 v6, 1, v4
	v_add_min_u32_e64 v4, v5, -1, v6
	v_dual_cndmask_b32 v8, v6, v8, s24 :: v_dual_cndmask_b32 v9, v9, v6, s24
	s_delay_alu instid0(VALU_DEP_2)
	v_lshlrev_b32_e32 v4, 3, v4
	ds_load_b64 v[4:5], v4
	s_wait_dscnt 0x0
	v_cndmask_b32_e64 v22, v5, v16, s24
	v_dual_cndmask_b32 v23, v4, v20, s24 :: v_dual_cndmask_b32 v27, v17, v5, s24
	v_cndmask_b32_e64 v28, v21, v4, s24
	v_cmpx_lt_u32_e64 v8, v26
	s_cbranch_execz .LBB1605_640
; %bb.630:                              ;   in Loop: Header=BB1605_594 Depth=1
	s_mov_b32 s0, 0
	s_mov_b32 s25, exec_lo
	v_cmpx_lt_u32_e64 v9, v25
	s_cbranch_execz .LBB1605_639
; %bb.631:                              ;   in Loop: Header=BB1605_594 Depth=1
	v_cmp_ne_u32_e32 vcc_lo, 1, v45
	s_cbranch_vccnz .LBB1605_637
; %bb.632:                              ;   in Loop: Header=BB1605_594 Depth=1
	v_mad_nc_u64_u32 v[4:5], s6, v23, s[18:19]
	v_mad_nc_u64_u32 v[6:7], s6, v28, s[18:19]
	s_mov_b32 s27, 0
	s_mov_b64 s[14:15], s[16:17]
                                        ; implicit-def: $sgpr28
                                        ; implicit-def: $sgpr29
                                        ; implicit-def: $sgpr30
                                        ; implicit-def: $sgpr31
	s_delay_alu instid0(VALU_DEP_2) | instskip(NEXT) | instid1(VALU_DEP_2)
	v_mad_u32 v5, s7, v23, v5
	v_mad_u32 v7, s7, v28, v7
	s_delay_alu instid0(VALU_DEP_2) | instskip(NEXT) | instid1(VALU_DEP_2)
	v_mad_u32 v5, s6, v22, v5
	v_mad_u32 v7, s6, v27, v7
	s_branch .LBB1605_634
.LBB1605_633:                           ;   in Loop: Header=BB1605_634 Depth=2
	s_or_b32 exec_lo, exec_lo, s33
	s_delay_alu instid0(SALU_CYCLE_1) | instskip(NEXT) | instid1(SALU_CYCLE_1)
	s_and_b32 s33, exec_lo, s29
	s_or_b32 s27, s33, s27
	s_and_not1_b32 s31, s31, exec_lo
	s_and_b32 s0, s0, exec_lo
	s_and_not1_b32 s28, s28, exec_lo
	s_and_b32 s33, s30, exec_lo
	s_or_b32 s31, s31, s0
	s_or_b32 s28, s28, s33
	s_and_not1_b32 exec_lo, exec_lo, s27
	s_cbranch_execz .LBB1605_636
.LBB1605_634:                           ;   Parent Loop BB1605_594 Depth=1
                                        ; =>  This Inner Loop Header: Depth=2
	global_load_b64 v[10:11], v[4:5], off
	global_load_b64 v[12:13], v[6:7], off
	s_and_not1_b32 s30, s30, exec_lo
	s_or_b32 s29, s29, exec_lo
	s_wait_loadcnt 0x0
	v_cmp_le_u64_e32 vcc_lo, v[10:11], v[12:13]
	v_cmp_lt_u64_e64 s0, v[10:11], v[12:13]
	s_and_b32 s33, vcc_lo, s31
	s_delay_alu instid0(SALU_CYCLE_1) | instskip(NEXT) | instid1(SALU_CYCLE_1)
	s_or_b32 s0, s0, s33
	s_and_b32 s33, s0, exec_lo
	s_delay_alu instid0(SALU_CYCLE_1)
	s_or_b32 s30, s30, s33
	s_mov_b32 s33, exec_lo
	v_cmpx_eq_u64_e64 v[10:11], v[12:13]
	s_cbranch_execz .LBB1605_633
; %bb.635:                              ;   in Loop: Header=BB1605_634 Depth=2
	s_add_nc_u64 s[14:15], s[14:15], -1
	v_add_nc_u64_e32 v[4:5], 8, v[4:5]
	s_cmp_eq_u64 s[14:15], 0
	v_add_nc_u64_e32 v[6:7], 8, v[6:7]
	s_cselect_b32 s31, -1, 0
	s_and_not1_b32 s29, s29, exec_lo
	s_and_b32 s31, s31, exec_lo
	s_and_not1_b32 s30, s30, exec_lo
	s_or_b32 s29, s29, s31
                                        ; implicit-def: $sgpr31
	s_branch .LBB1605_633
.LBB1605_636:                           ;   in Loop: Header=BB1605_594 Depth=1
	s_or_b32 exec_lo, exec_lo, s27
	s_xor_b32 s0, s28, -1
	s_branch .LBB1605_638
.LBB1605_637:                           ;   in Loop: Header=BB1605_594 Depth=1
	s_mov_b32 s0, -1
.LBB1605_638:                           ;   in Loop: Header=BB1605_594 Depth=1
	s_delay_alu instid0(SALU_CYCLE_1)
	s_and_b32 s0, s0, exec_lo
.LBB1605_639:                           ;   in Loop: Header=BB1605_594 Depth=1
	s_or_b32 exec_lo, exec_lo, s25
	s_delay_alu instid0(SALU_CYCLE_1)
	s_or_not1_b32 s25, s0, exec_lo
.LBB1605_640:                           ;   in Loop: Header=BB1605_594 Depth=1
	s_or_b32 exec_lo, exec_lo, s26
	v_cndmask_b32_e64 v4, v8, v9, s25
	v_cndmask_b32_e64 v5, v26, v25, s25
	s_mov_b32 s27, -1
	s_mov_b32 s26, -1
	s_mov_b32 s28, exec_lo
	v_add_nc_u32_e32 v6, 1, v4
	s_delay_alu instid0(VALU_DEP_1) | instskip(SKIP_1) | instid1(VALU_DEP_2)
	v_add_min_u32_e64 v4, v5, -1, v6
	v_dual_cndmask_b32 v8, v6, v8, s25 :: v_dual_cndmask_b32 v9, v9, v6, s25
	v_lshlrev_b32_e32 v4, 3, v4
	ds_load_b64 v[4:5], v4
	s_wait_dscnt 0x0
	v_dual_cndmask_b32 v12, v5, v22, s25 :: v_dual_cndmask_b32 v29, v4, v23, s25
	v_dual_cndmask_b32 v13, v27, v5, s25 :: v_dual_cndmask_b32 v30, v28, v4, s25
	v_cmpx_lt_u32_e64 v8, v26
	s_cbranch_execz .LBB1605_651
; %bb.641:                              ;   in Loop: Header=BB1605_594 Depth=1
	s_mov_b32 s0, 0
	s_mov_b32 s26, exec_lo
	v_cmpx_lt_u32_e64 v9, v25
	s_cbranch_execz .LBB1605_650
; %bb.642:                              ;   in Loop: Header=BB1605_594 Depth=1
	v_cmp_ne_u32_e32 vcc_lo, 1, v45
	s_cbranch_vccnz .LBB1605_648
; %bb.643:                              ;   in Loop: Header=BB1605_594 Depth=1
	v_mad_nc_u64_u32 v[4:5], s6, v29, s[18:19]
	v_mad_nc_u64_u32 v[6:7], s6, v30, s[18:19]
	s_mov_b32 s29, 0
	s_mov_b64 s[14:15], s[16:17]
                                        ; implicit-def: $sgpr30
                                        ; implicit-def: $sgpr31
                                        ; implicit-def: $sgpr33
                                        ; implicit-def: $sgpr34
	s_delay_alu instid0(VALU_DEP_2) | instskip(NEXT) | instid1(VALU_DEP_2)
	v_mad_u32 v5, s7, v29, v5
	v_mad_u32 v7, s7, v30, v7
	s_delay_alu instid0(VALU_DEP_2) | instskip(NEXT) | instid1(VALU_DEP_2)
	v_mad_u32 v5, s6, v12, v5
	v_mad_u32 v7, s6, v13, v7
	s_branch .LBB1605_645
.LBB1605_644:                           ;   in Loop: Header=BB1605_645 Depth=2
	s_or_b32 exec_lo, exec_lo, s35
	s_delay_alu instid0(SALU_CYCLE_1) | instskip(NEXT) | instid1(SALU_CYCLE_1)
	s_and_b32 s35, exec_lo, s31
	s_or_b32 s29, s35, s29
	s_and_not1_b32 s34, s34, exec_lo
	s_and_b32 s0, s0, exec_lo
	s_and_not1_b32 s30, s30, exec_lo
	s_and_b32 s35, s33, exec_lo
	s_or_b32 s34, s34, s0
	s_or_b32 s30, s30, s35
	s_and_not1_b32 exec_lo, exec_lo, s29
	s_cbranch_execz .LBB1605_647
.LBB1605_645:                           ;   Parent Loop BB1605_594 Depth=1
                                        ; =>  This Inner Loop Header: Depth=2
	global_load_b64 v[10:11], v[4:5], off
	global_load_b64 v[32:33], v[6:7], off
	s_and_not1_b32 s33, s33, exec_lo
	s_or_b32 s31, s31, exec_lo
	s_wait_loadcnt 0x0
	v_cmp_le_u64_e32 vcc_lo, v[10:11], v[32:33]
	v_cmp_lt_u64_e64 s0, v[10:11], v[32:33]
	s_and_b32 s35, vcc_lo, s34
	s_delay_alu instid0(SALU_CYCLE_1) | instskip(NEXT) | instid1(SALU_CYCLE_1)
	s_or_b32 s0, s0, s35
	s_and_b32 s35, s0, exec_lo
	s_delay_alu instid0(SALU_CYCLE_1)
	s_or_b32 s33, s33, s35
	s_mov_b32 s35, exec_lo
	v_cmpx_eq_u64_e64 v[10:11], v[32:33]
	s_cbranch_execz .LBB1605_644
; %bb.646:                              ;   in Loop: Header=BB1605_645 Depth=2
	s_add_nc_u64 s[14:15], s[14:15], -1
	v_add_nc_u64_e32 v[4:5], 8, v[4:5]
	s_cmp_eq_u64 s[14:15], 0
	v_add_nc_u64_e32 v[6:7], 8, v[6:7]
	s_cselect_b32 s34, -1, 0
	s_and_not1_b32 s31, s31, exec_lo
	s_and_b32 s34, s34, exec_lo
	s_and_not1_b32 s33, s33, exec_lo
	s_or_b32 s31, s31, s34
                                        ; implicit-def: $sgpr34
	s_branch .LBB1605_644
.LBB1605_647:                           ;   in Loop: Header=BB1605_594 Depth=1
	s_or_b32 exec_lo, exec_lo, s29
	s_xor_b32 s0, s30, -1
	s_branch .LBB1605_649
.LBB1605_648:                           ;   in Loop: Header=BB1605_594 Depth=1
	s_mov_b32 s0, -1
.LBB1605_649:                           ;   in Loop: Header=BB1605_594 Depth=1
	s_delay_alu instid0(SALU_CYCLE_1)
	s_and_b32 s0, s0, exec_lo
.LBB1605_650:                           ;   in Loop: Header=BB1605_594 Depth=1
	s_or_b32 exec_lo, exec_lo, s26
	s_delay_alu instid0(SALU_CYCLE_1)
	s_or_not1_b32 s26, s0, exec_lo
.LBB1605_651:                           ;   in Loop: Header=BB1605_594 Depth=1
	s_or_b32 exec_lo, exec_lo, s28
	v_cndmask_b32_e64 v4, v8, v9, s26
	v_cndmask_b32_e64 v5, v26, v25, s26
	s_mov_b32 s28, exec_lo
	s_delay_alu instid0(VALU_DEP_2) | instskip(NEXT) | instid1(VALU_DEP_1)
	v_add_nc_u32_e32 v6, 1, v4
	v_add_min_u32_e64 v4, v5, -1, v6
	v_dual_cndmask_b32 v8, v6, v8, s26 :: v_dual_cndmask_b32 v9, v9, v6, s26
	s_delay_alu instid0(VALU_DEP_2)
	v_lshlrev_b32_e32 v4, 3, v4
	ds_load_b64 v[4:5], v4
	s_wait_dscnt 0x0
	v_dual_cndmask_b32 v31, v5, v12, s26 :: v_dual_cndmask_b32 v32, v4, v29, s26
	v_dual_cndmask_b32 v33, v13, v5, s26 :: v_dual_cndmask_b32 v34, v30, v4, s26
	v_cmpx_lt_u32_e64 v8, v26
	s_cbranch_execz .LBB1605_662
; %bb.652:                              ;   in Loop: Header=BB1605_594 Depth=1
	s_mov_b32 s0, 0
	s_mov_b32 s27, exec_lo
	v_cmpx_lt_u32_e64 v9, v25
	s_cbranch_execz .LBB1605_661
; %bb.653:                              ;   in Loop: Header=BB1605_594 Depth=1
	v_cmp_ne_u32_e32 vcc_lo, 1, v45
	s_cbranch_vccnz .LBB1605_659
; %bb.654:                              ;   in Loop: Header=BB1605_594 Depth=1
	v_mad_nc_u64_u32 v[4:5], s6, v32, s[18:19]
	v_mad_nc_u64_u32 v[6:7], s6, v34, s[18:19]
	s_mov_b32 s29, 0
	s_mov_b64 s[14:15], s[16:17]
                                        ; implicit-def: $sgpr30
                                        ; implicit-def: $sgpr31
                                        ; implicit-def: $sgpr33
                                        ; implicit-def: $sgpr34
	s_delay_alu instid0(VALU_DEP_2) | instskip(NEXT) | instid1(VALU_DEP_2)
	v_mad_u32 v5, s7, v32, v5
	v_mad_u32 v7, s7, v34, v7
	s_delay_alu instid0(VALU_DEP_2) | instskip(NEXT) | instid1(VALU_DEP_2)
	v_mad_u32 v5, s6, v31, v5
	v_mad_u32 v7, s6, v33, v7
	s_branch .LBB1605_656
.LBB1605_655:                           ;   in Loop: Header=BB1605_656 Depth=2
	s_or_b32 exec_lo, exec_lo, s35
	s_delay_alu instid0(SALU_CYCLE_1) | instskip(NEXT) | instid1(SALU_CYCLE_1)
	s_and_b32 s35, exec_lo, s31
	s_or_b32 s29, s35, s29
	s_and_not1_b32 s34, s34, exec_lo
	s_and_b32 s0, s0, exec_lo
	s_and_not1_b32 s30, s30, exec_lo
	s_and_b32 s35, s33, exec_lo
	s_or_b32 s34, s34, s0
	s_or_b32 s30, s30, s35
	s_and_not1_b32 exec_lo, exec_lo, s29
	s_cbranch_execz .LBB1605_658
.LBB1605_656:                           ;   Parent Loop BB1605_594 Depth=1
                                        ; =>  This Inner Loop Header: Depth=2
	global_load_b64 v[10:11], v[4:5], off
	global_load_b64 v[46:47], v[6:7], off
	s_and_not1_b32 s33, s33, exec_lo
	s_or_b32 s31, s31, exec_lo
	s_wait_loadcnt 0x0
	v_cmp_le_u64_e32 vcc_lo, v[10:11], v[46:47]
	v_cmp_lt_u64_e64 s0, v[10:11], v[46:47]
	s_and_b32 s35, vcc_lo, s34
	s_delay_alu instid0(SALU_CYCLE_1) | instskip(NEXT) | instid1(SALU_CYCLE_1)
	s_or_b32 s0, s0, s35
	s_and_b32 s35, s0, exec_lo
	s_delay_alu instid0(SALU_CYCLE_1)
	s_or_b32 s33, s33, s35
	s_mov_b32 s35, exec_lo
	v_cmpx_eq_u64_e64 v[10:11], v[46:47]
	s_cbranch_execz .LBB1605_655
; %bb.657:                              ;   in Loop: Header=BB1605_656 Depth=2
	s_add_nc_u64 s[14:15], s[14:15], -1
	v_add_nc_u64_e32 v[4:5], 8, v[4:5]
	s_cmp_eq_u64 s[14:15], 0
	v_add_nc_u64_e32 v[6:7], 8, v[6:7]
	s_cselect_b32 s34, -1, 0
	s_and_not1_b32 s31, s31, exec_lo
	s_and_b32 s34, s34, exec_lo
	s_and_not1_b32 s33, s33, exec_lo
	s_or_b32 s31, s31, s34
                                        ; implicit-def: $sgpr34
	s_branch .LBB1605_655
.LBB1605_658:                           ;   in Loop: Header=BB1605_594 Depth=1
	s_or_b32 exec_lo, exec_lo, s29
	s_xor_b32 s0, s30, -1
	s_branch .LBB1605_660
.LBB1605_659:                           ;   in Loop: Header=BB1605_594 Depth=1
	s_mov_b32 s0, -1
.LBB1605_660:                           ;   in Loop: Header=BB1605_594 Depth=1
	s_delay_alu instid0(SALU_CYCLE_1)
	s_and_b32 s0, s0, exec_lo
.LBB1605_661:                           ;   in Loop: Header=BB1605_594 Depth=1
	s_or_b32 exec_lo, exec_lo, s27
	s_delay_alu instid0(SALU_CYCLE_1)
	s_or_not1_b32 s27, s0, exec_lo
.LBB1605_662:                           ;   in Loop: Header=BB1605_594 Depth=1
	s_or_b32 exec_lo, exec_lo, s28
	v_cndmask_b32_e64 v4, v8, v9, s27
	v_cndmask_b32_e64 v5, v26, v25, s27
	s_mov_b32 s28, -1
	s_mov_b32 s29, -1
	s_mov_b32 s30, exec_lo
	v_add_nc_u32_e32 v6, 1, v4
	s_delay_alu instid0(VALU_DEP_1) | instskip(SKIP_1) | instid1(VALU_DEP_2)
	v_add_min_u32_e64 v4, v5, -1, v6
	v_dual_cndmask_b32 v8, v6, v8, s27 :: v_dual_cndmask_b32 v9, v9, v6, s27
	v_lshlrev_b32_e32 v4, 3, v4
	ds_load_b64 v[4:5], v4
	s_wait_dscnt 0x0
	v_dual_cndmask_b32 v35, v5, v31, s27 :: v_dual_cndmask_b32 v46, v4, v32, s27
	v_dual_cndmask_b32 v47, v33, v5, s27 :: v_dual_cndmask_b32 v48, v34, v4, s27
	v_cmpx_lt_u32_e64 v8, v26
	s_cbranch_execz .LBB1605_673
; %bb.663:                              ;   in Loop: Header=BB1605_594 Depth=1
	s_mov_b32 s0, 0
	s_mov_b32 s29, exec_lo
	v_cmpx_lt_u32_e64 v9, v25
	s_cbranch_execz .LBB1605_672
; %bb.664:                              ;   in Loop: Header=BB1605_594 Depth=1
	v_cmp_ne_u32_e32 vcc_lo, 1, v45
	s_cbranch_vccnz .LBB1605_670
; %bb.665:                              ;   in Loop: Header=BB1605_594 Depth=1
	v_mad_nc_u64_u32 v[4:5], s6, v46, s[18:19]
	v_mad_nc_u64_u32 v[6:7], s6, v48, s[18:19]
	s_mov_b32 s31, 0
	s_mov_b64 s[14:15], s[16:17]
                                        ; implicit-def: $sgpr33
                                        ; implicit-def: $sgpr34
                                        ; implicit-def: $sgpr35
                                        ; implicit-def: $sgpr36
	s_delay_alu instid0(VALU_DEP_2) | instskip(NEXT) | instid1(VALU_DEP_2)
	v_mad_u32 v5, s7, v46, v5
	v_mad_u32 v7, s7, v48, v7
	s_delay_alu instid0(VALU_DEP_2) | instskip(NEXT) | instid1(VALU_DEP_2)
	v_mad_u32 v5, s6, v35, v5
	v_mad_u32 v7, s6, v47, v7
	s_branch .LBB1605_667
.LBB1605_666:                           ;   in Loop: Header=BB1605_667 Depth=2
	s_or_b32 exec_lo, exec_lo, s37
	s_delay_alu instid0(SALU_CYCLE_1) | instskip(NEXT) | instid1(SALU_CYCLE_1)
	s_and_b32 s37, exec_lo, s34
	s_or_b32 s31, s37, s31
	s_and_not1_b32 s36, s36, exec_lo
	s_and_b32 s0, s0, exec_lo
	s_and_not1_b32 s33, s33, exec_lo
	s_and_b32 s37, s35, exec_lo
	s_or_b32 s36, s36, s0
	s_or_b32 s33, s33, s37
	s_and_not1_b32 exec_lo, exec_lo, s31
	s_cbranch_execz .LBB1605_669
.LBB1605_667:                           ;   Parent Loop BB1605_594 Depth=1
                                        ; =>  This Inner Loop Header: Depth=2
	global_load_b64 v[10:11], v[4:5], off
	global_load_b64 v[50:51], v[6:7], off
	s_and_not1_b32 s35, s35, exec_lo
	s_or_b32 s34, s34, exec_lo
	s_wait_loadcnt 0x0
	v_cmp_le_u64_e32 vcc_lo, v[10:11], v[50:51]
	v_cmp_lt_u64_e64 s0, v[10:11], v[50:51]
	s_and_b32 s37, vcc_lo, s36
	s_delay_alu instid0(SALU_CYCLE_1) | instskip(NEXT) | instid1(SALU_CYCLE_1)
	s_or_b32 s0, s0, s37
	s_and_b32 s37, s0, exec_lo
	s_delay_alu instid0(SALU_CYCLE_1)
	s_or_b32 s35, s35, s37
	s_mov_b32 s37, exec_lo
	v_cmpx_eq_u64_e64 v[10:11], v[50:51]
	s_cbranch_execz .LBB1605_666
; %bb.668:                              ;   in Loop: Header=BB1605_667 Depth=2
	s_add_nc_u64 s[14:15], s[14:15], -1
	v_add_nc_u64_e32 v[4:5], 8, v[4:5]
	s_cmp_eq_u64 s[14:15], 0
	v_add_nc_u64_e32 v[6:7], 8, v[6:7]
	s_cselect_b32 s36, -1, 0
	s_and_not1_b32 s34, s34, exec_lo
	s_and_b32 s36, s36, exec_lo
	s_and_not1_b32 s35, s35, exec_lo
	s_or_b32 s34, s34, s36
                                        ; implicit-def: $sgpr36
	s_branch .LBB1605_666
.LBB1605_669:                           ;   in Loop: Header=BB1605_594 Depth=1
	s_or_b32 exec_lo, exec_lo, s31
	s_xor_b32 s0, s33, -1
	s_branch .LBB1605_671
.LBB1605_670:                           ;   in Loop: Header=BB1605_594 Depth=1
	s_mov_b32 s0, -1
.LBB1605_671:                           ;   in Loop: Header=BB1605_594 Depth=1
	s_delay_alu instid0(SALU_CYCLE_1)
	s_and_b32 s0, s0, exec_lo
.LBB1605_672:                           ;   in Loop: Header=BB1605_594 Depth=1
	s_or_b32 exec_lo, exec_lo, s29
	s_delay_alu instid0(SALU_CYCLE_1)
	s_or_not1_b32 s29, s0, exec_lo
.LBB1605_673:                           ;   in Loop: Header=BB1605_594 Depth=1
	s_or_b32 exec_lo, exec_lo, s30
	v_cndmask_b32_e64 v4, v8, v9, s29
	v_cndmask_b32_e64 v5, v26, v25, s29
	s_mov_b32 s30, exec_lo
	s_delay_alu instid0(VALU_DEP_2) | instskip(NEXT) | instid1(VALU_DEP_1)
	v_add_nc_u32_e32 v6, 1, v4
	v_add_min_u32_e64 v4, v5, -1, v6
	v_dual_cndmask_b32 v10, v6, v8, s29 :: v_dual_cndmask_b32 v8, v9, v6, s29
	s_delay_alu instid0(VALU_DEP_2)
	v_lshlrev_b32_e32 v4, 3, v4
	ds_load_b64 v[4:5], v4
	s_wait_dscnt 0x0
	v_dual_cndmask_b32 v49, v5, v35, s29 :: v_dual_cndmask_b32 v50, v4, v46, s29
	v_dual_cndmask_b32 v51, v47, v5, s29 :: v_dual_cndmask_b32 v52, v48, v4, s29
	v_cmpx_lt_u32_e64 v10, v26
	s_cbranch_execz .LBB1605_684
; %bb.674:                              ;   in Loop: Header=BB1605_594 Depth=1
	s_mov_b32 s0, 0
	s_mov_b32 s28, exec_lo
	v_cmpx_lt_u32_e64 v8, v25
	s_cbranch_execz .LBB1605_683
; %bb.675:                              ;   in Loop: Header=BB1605_594 Depth=1
	v_cmp_ne_u32_e32 vcc_lo, 1, v45
	s_cbranch_vccnz .LBB1605_681
; %bb.676:                              ;   in Loop: Header=BB1605_594 Depth=1
	v_mad_nc_u64_u32 v[4:5], s6, v50, s[18:19]
	v_mad_nc_u64_u32 v[6:7], s6, v52, s[18:19]
	s_mov_b32 s31, 0
	s_mov_b64 s[14:15], s[16:17]
                                        ; implicit-def: $sgpr33
                                        ; implicit-def: $sgpr34
                                        ; implicit-def: $sgpr35
                                        ; implicit-def: $sgpr36
	s_delay_alu instid0(VALU_DEP_2) | instskip(NEXT) | instid1(VALU_DEP_2)
	v_mad_u32 v5, s7, v50, v5
	v_mad_u32 v7, s7, v52, v7
	s_delay_alu instid0(VALU_DEP_2) | instskip(NEXT) | instid1(VALU_DEP_2)
	v_mad_u32 v5, s6, v49, v5
	v_mad_u32 v7, s6, v51, v7
	s_branch .LBB1605_678
.LBB1605_677:                           ;   in Loop: Header=BB1605_678 Depth=2
	s_or_b32 exec_lo, exec_lo, s37
	s_delay_alu instid0(SALU_CYCLE_1) | instskip(NEXT) | instid1(SALU_CYCLE_1)
	s_and_b32 s37, exec_lo, s34
	s_or_b32 s31, s37, s31
	s_and_not1_b32 s36, s36, exec_lo
	s_and_b32 s0, s0, exec_lo
	s_and_not1_b32 s33, s33, exec_lo
	s_and_b32 s37, s35, exec_lo
	s_or_b32 s36, s36, s0
	s_or_b32 s33, s33, s37
	s_and_not1_b32 exec_lo, exec_lo, s31
	s_cbranch_execz .LBB1605_680
.LBB1605_678:                           ;   Parent Loop BB1605_594 Depth=1
                                        ; =>  This Inner Loop Header: Depth=2
	global_load_b64 v[54:55], v[4:5], off
	global_load_b64 v[56:57], v[6:7], off
	s_and_not1_b32 s35, s35, exec_lo
	s_or_b32 s34, s34, exec_lo
	s_wait_loadcnt 0x0
	v_cmp_le_u64_e32 vcc_lo, v[54:55], v[56:57]
	v_cmp_lt_u64_e64 s0, v[54:55], v[56:57]
	s_and_b32 s37, vcc_lo, s36
	s_delay_alu instid0(SALU_CYCLE_1) | instskip(NEXT) | instid1(SALU_CYCLE_1)
	s_or_b32 s0, s0, s37
	s_and_b32 s37, s0, exec_lo
	s_delay_alu instid0(SALU_CYCLE_1)
	s_or_b32 s35, s35, s37
	s_mov_b32 s37, exec_lo
	v_cmpx_eq_u64_e64 v[54:55], v[56:57]
	s_cbranch_execz .LBB1605_677
; %bb.679:                              ;   in Loop: Header=BB1605_678 Depth=2
	s_add_nc_u64 s[14:15], s[14:15], -1
	v_add_nc_u64_e32 v[4:5], 8, v[4:5]
	s_cmp_eq_u64 s[14:15], 0
	v_add_nc_u64_e32 v[6:7], 8, v[6:7]
	s_cselect_b32 s36, -1, 0
	s_and_not1_b32 s34, s34, exec_lo
	s_and_b32 s36, s36, exec_lo
	s_and_not1_b32 s35, s35, exec_lo
	s_or_b32 s34, s34, s36
                                        ; implicit-def: $sgpr36
	s_branch .LBB1605_677
.LBB1605_680:                           ;   in Loop: Header=BB1605_594 Depth=1
	s_or_b32 exec_lo, exec_lo, s31
	s_xor_b32 s0, s33, -1
	s_branch .LBB1605_682
.LBB1605_681:                           ;   in Loop: Header=BB1605_594 Depth=1
	s_mov_b32 s0, -1
.LBB1605_682:                           ;   in Loop: Header=BB1605_594 Depth=1
	s_delay_alu instid0(SALU_CYCLE_1)
	s_and_b32 s0, s0, exec_lo
.LBB1605_683:                           ;   in Loop: Header=BB1605_594 Depth=1
	s_or_b32 exec_lo, exec_lo, s28
	s_delay_alu instid0(SALU_CYCLE_1)
	s_or_not1_b32 s28, s0, exec_lo
.LBB1605_684:                           ;   in Loop: Header=BB1605_594 Depth=1
	s_or_b32 exec_lo, exec_lo, s30
	v_cndmask_b32_e64 v4, v10, v8, s28
	v_cndmask_b32_e64 v5, v26, v25, s28
	s_mov_b32 s30, exec_lo
	s_delay_alu instid0(VALU_DEP_2) | instskip(NEXT) | instid1(VALU_DEP_1)
	v_add_nc_u32_e32 v9, 1, v4
	v_add_min_u32_e64 v4, v5, -1, v9
	s_delay_alu instid0(VALU_DEP_1)
	v_dual_cndmask_b32 v10, v9, v10, s28 :: v_dual_lshlrev_b32 v4, 3, v4
	ds_load_b64 v[6:7], v4
	s_wait_dscnt 0x0
	v_dual_cndmask_b32 v5, v51, v7, s28 :: v_dual_cndmask_b32 v4, v52, v6, s28
	v_cmpx_lt_u32_e64 v10, v26
	s_cbranch_execz .LBB1605_694
; %bb.685:                              ;   in Loop: Header=BB1605_594 Depth=1
	v_dual_cndmask_b32 v8, v8, v9, s28 :: v_dual_cndmask_b32 v6, v6, v50, s28
	v_cndmask_b32_e64 v7, v7, v49, s28
	s_mov_b32 s31, exec_lo
	s_delay_alu instid0(VALU_DEP_2)
	v_cmpx_lt_u32_e64 v8, v25
	s_cbranch_execz .LBB1605_693
; %bb.686:                              ;   in Loop: Header=BB1605_594 Depth=1
	v_cmp_ne_u32_e32 vcc_lo, 1, v45
	s_cbranch_vccnz .LBB1605_692
; %bb.687:                              ;   in Loop: Header=BB1605_594 Depth=1
	v_mad_nc_u64_u32 v[8:9], s6, v6, s[18:19]
	v_mad_nc_u64_u32 v[10:11], s6, v4, s[18:19]
	s_mov_b32 s33, 0
	s_mov_b64 s[14:15], s[16:17]
                                        ; implicit-def: $sgpr34
                                        ; implicit-def: $sgpr35
                                        ; implicit-def: $sgpr36
                                        ; implicit-def: $sgpr37
	s_delay_alu instid0(VALU_DEP_2) | instskip(NEXT) | instid1(VALU_DEP_2)
	v_mad_u32 v9, s7, v6, v9
	v_mad_u32 v11, s7, v4, v11
	s_delay_alu instid0(VALU_DEP_2) | instskip(NEXT) | instid1(VALU_DEP_2)
	v_mad_u32 v9, s6, v7, v9
	v_mad_u32 v11, s6, v5, v11
	s_branch .LBB1605_689
.LBB1605_688:                           ;   in Loop: Header=BB1605_689 Depth=2
	s_or_b32 exec_lo, exec_lo, s38
	s_delay_alu instid0(SALU_CYCLE_1) | instskip(NEXT) | instid1(SALU_CYCLE_1)
	s_and_b32 s38, exec_lo, s35
	s_or_b32 s33, s38, s33
	s_and_not1_b32 s37, s37, exec_lo
	s_and_b32 s0, s0, exec_lo
	s_and_not1_b32 s34, s34, exec_lo
	s_and_b32 s38, s36, exec_lo
	s_or_b32 s37, s37, s0
	s_or_b32 s34, s34, s38
	s_and_not1_b32 exec_lo, exec_lo, s33
	s_cbranch_execz .LBB1605_691
.LBB1605_689:                           ;   Parent Loop BB1605_594 Depth=1
                                        ; =>  This Inner Loop Header: Depth=2
	global_load_b64 v[54:55], v[8:9], off
	global_load_b64 v[56:57], v[10:11], off
	s_and_not1_b32 s36, s36, exec_lo
	s_or_b32 s35, s35, exec_lo
	s_wait_loadcnt 0x0
	v_cmp_le_u64_e32 vcc_lo, v[54:55], v[56:57]
	v_cmp_lt_u64_e64 s0, v[54:55], v[56:57]
	s_and_b32 s38, vcc_lo, s37
	s_delay_alu instid0(SALU_CYCLE_1) | instskip(NEXT) | instid1(SALU_CYCLE_1)
	s_or_b32 s0, s0, s38
	s_and_b32 s38, s0, exec_lo
	s_delay_alu instid0(SALU_CYCLE_1)
	s_or_b32 s36, s36, s38
	s_mov_b32 s38, exec_lo
	v_cmpx_eq_u64_e64 v[54:55], v[56:57]
	s_cbranch_execz .LBB1605_688
; %bb.690:                              ;   in Loop: Header=BB1605_689 Depth=2
	s_add_nc_u64 s[14:15], s[14:15], -1
	v_add_nc_u64_e32 v[8:9], 8, v[8:9]
	s_cmp_eq_u64 s[14:15], 0
	v_add_nc_u64_e32 v[10:11], 8, v[10:11]
	s_cselect_b32 s37, -1, 0
	s_and_not1_b32 s35, s35, exec_lo
	s_and_b32 s37, s37, exec_lo
	s_and_not1_b32 s36, s36, exec_lo
	s_or_b32 s35, s35, s37
                                        ; implicit-def: $sgpr37
	s_branch .LBB1605_688
.LBB1605_691:                           ;   in Loop: Header=BB1605_594 Depth=1
	s_or_b32 exec_lo, exec_lo, s33
	v_dual_cndmask_b32 v5, v5, v7, s34 :: v_dual_cndmask_b32 v4, v4, v6, s34
.LBB1605_692:                           ;   in Loop: Header=BB1605_594 Depth=1
	s_delay_alu instid0(VALU_DEP_1)
	v_mov_b64_e32 v[6:7], v[4:5]
.LBB1605_693:                           ;   in Loop: Header=BB1605_594 Depth=1
	s_or_b32 exec_lo, exec_lo, s31
	s_delay_alu instid0(VALU_DEP_1)
	v_mov_b64_e32 v[4:5], v[6:7]
.LBB1605_694:                           ;   in Loop: Header=BB1605_594 Depth=1
	s_or_b32 exec_lo, exec_lo, s30
	v_dual_cndmask_b32 v9, v35, v47, s29 :: v_dual_cndmask_b32 v8, v46, v48, s29
	v_dual_cndmask_b32 v7, v31, v33, s27 :: v_dual_cndmask_b32 v6, v32, v34, s27
	;; [unrolled: 1-line block ×7, first 2 shown]
.LBB1605_695:                           ;   in Loop: Header=BB1605_594 Depth=1
	s_or_b32 exec_lo, exec_lo, s22
	s_cmp_lt_u32 s1, 0x400
	s_barrier_signal -1
	s_barrier_wait -1
	s_cbranch_scc0 .LBB1605_697
; %bb.696:                              ;   in Loop: Header=BB1605_594 Depth=1
	s_mov_b32 s1, s5
	s_branch .LBB1605_594
.LBB1605_697:
	s_barrier_signal -1
	s_barrier_wait -1
	ds_store_2addr_b64 v44, v[14:15], v[16:17] offset1:1
	ds_store_2addr_b64 v44, v[10:11], v[12:13] offset0:2 offset1:3
	ds_store_2addr_b64 v44, v[6:7], v[8:9] offset0:4 offset1:5
	;; [unrolled: 1-line block ×3, first 2 shown]
	s_wait_dscnt 0x0
	s_barrier_signal -1
	s_barrier_wait -1
	ds_load_b64 v[4:5], v36
	ds_load_b64 v[6:7], v37 offset:2048
	ds_load_b64 v[8:9], v38 offset:4096
	;; [unrolled: 1-line block ×7, first 2 shown]
	s_mov_b32 s24, -1
	s_wait_dscnt 0x7
	global_store_b64 v18, v[4:5], s[20:21] scale_offset
	s_wait_dscnt 0x6
	global_store_b64 v18, v[6:7], s[20:21] offset:2048 scale_offset
	s_wait_dscnt 0x5
	global_store_b64 v18, v[8:9], s[20:21] offset:4096 scale_offset
	;; [unrolled: 2-line block ×6, first 2 shown]
	s_branch .LBB1605_1484
.LBB1605_698:
	s_lshl_b64 s[0:1], s[2:3], 11
                                        ; implicit-def: $vgpr2_vgpr3
	s_delay_alu instid0(SALU_CYCLE_1) | instskip(NEXT) | instid1(SALU_CYCLE_1)
	s_sub_co_i32 s25, s4, s0
	v_cmp_gt_u32_e64 s0, s25, v18
	s_wait_xcnt 0x0
	s_and_saveexec_b32 s1, s0
	s_cbranch_execz .LBB1605_700
; %bb.699:
	s_wait_dscnt 0x0
	global_load_b64 v[2:3], v18, s[12:13] scale_offset
.LBB1605_700:
	s_wait_xcnt 0x0
	s_or_b32 exec_lo, exec_lo, s1
	v_add_nc_u32_e32 v1, 0x100, v18
                                        ; implicit-def: $vgpr4_vgpr5
	s_delay_alu instid0(VALU_DEP_1)
	v_cmp_gt_u32_e64 s1, s25, v1
	s_and_saveexec_b32 s2, s1
	s_cbranch_execz .LBB1605_702
; %bb.701:
	global_load_b64 v[4:5], v18, s[12:13] offset:2048 scale_offset
.LBB1605_702:
	s_wait_xcnt 0x0
	s_or_b32 exec_lo, exec_lo, s2
	v_add_nc_u32_e32 v19, 0x200, v18
                                        ; implicit-def: $vgpr6_vgpr7
	s_delay_alu instid0(VALU_DEP_1)
	v_cmp_gt_u32_e64 s2, s25, v19
	s_and_saveexec_b32 s3, s2
	s_cbranch_execz .LBB1605_704
; %bb.703:
	global_load_b64 v[6:7], v18, s[12:13] offset:4096 scale_offset
.LBB1605_704:
	s_wait_xcnt 0x0
	s_or_b32 exec_lo, exec_lo, s3
	v_add_nc_u32_e32 v20, 0x300, v18
                                        ; implicit-def: $vgpr10_vgpr11
	s_delay_alu instid0(VALU_DEP_1)
	v_cmp_gt_u32_e64 s3, s25, v20
	s_and_saveexec_b32 s4, s3
	s_cbranch_execz .LBB1605_706
; %bb.705:
	global_load_b64 v[10:11], v18, s[12:13] offset:6144 scale_offset
.LBB1605_706:
	s_wait_xcnt 0x0
	s_or_b32 exec_lo, exec_lo, s4
	v_or_b32_e32 v22, 0x400, v18
                                        ; implicit-def: $vgpr8_vgpr9
	s_delay_alu instid0(VALU_DEP_1)
	v_cmp_gt_u32_e64 s4, s25, v22
	s_and_saveexec_b32 s5, s4
	s_cbranch_execz .LBB1605_708
; %bb.707:
	global_load_b64 v[8:9], v18, s[12:13] offset:8192 scale_offset
.LBB1605_708:
	s_wait_xcnt 0x0
	s_or_b32 exec_lo, exec_lo, s5
	v_add_nc_u32_e32 v23, 0x500, v18
                                        ; implicit-def: $vgpr12_vgpr13
	s_delay_alu instid0(VALU_DEP_1)
	v_cmp_gt_u32_e64 s5, s25, v23
	s_and_saveexec_b32 s6, s5
	s_cbranch_execz .LBB1605_710
; %bb.709:
	global_load_b64 v[12:13], v18, s[12:13] offset:10240 scale_offset
.LBB1605_710:
	s_wait_xcnt 0x0
	s_or_b32 exec_lo, exec_lo, s6
	v_add_nc_u32_e32 v24, 0x600, v18
                                        ; implicit-def: $vgpr14_vgpr15
	s_delay_alu instid0(VALU_DEP_1)
	v_cmp_gt_u32_e64 s6, s25, v24
	s_and_saveexec_b32 s7, s6
	s_cbranch_execz .LBB1605_712
; %bb.711:
	global_load_b64 v[14:15], v18, s[12:13] offset:12288 scale_offset
.LBB1605_712:
	s_wait_xcnt 0x0
	s_or_b32 exec_lo, exec_lo, s7
	v_add_nc_u32_e32 v25, 0x700, v18
                                        ; implicit-def: $vgpr16_vgpr17
	s_delay_alu instid0(VALU_DEP_1)
	v_cmp_gt_u32_e64 s24, s25, v25
	s_and_saveexec_b32 s7, s24
	s_cbranch_execz .LBB1605_714
; %bb.713:
	global_load_b64 v[16:17], v18, s[12:13] offset:14336 scale_offset
.LBB1605_714:
	s_wait_xcnt 0x0
	s_or_b32 exec_lo, exec_lo, s7
	v_dual_lshrrev_b32 v21, 2, v18 :: v_dual_lshrrev_b32 v1, 2, v1
	v_dual_lshrrev_b32 v19, 2, v19 :: v_dual_lshrrev_b32 v26, 2, v20
	v_lshlrev_b32_e32 v20, 3, v18
	s_delay_alu instid0(VALU_DEP_3) | instskip(NEXT) | instid1(VALU_DEP_4)
	v_and_b32_e32 v21, 0xf8, v21
	v_and_b32_e32 v1, 0x1f8, v1
	s_delay_alu instid0(VALU_DEP_4)
	v_and_b32_e32 v27, 0x1f8, v19
	v_and_b32_e32 v26, 0x1f8, v26
	s_cmp_lt_u32 s9, s8
	v_add_nc_u32_e32 v19, v21, v20
	v_dual_add_nc_u32 v21, v1, v20 :: v_dual_lshrrev_b32 v1, 2, v22
	v_dual_lshrrev_b32 v22, 2, v23 :: v_dual_add_nc_u32 v36, v27, v20
	v_add_nc_u32_e32 v37, v26, v20
	v_dual_lshrrev_b32 v23, 2, v24 :: v_dual_lshrrev_b32 v24, 2, v25
	s_wait_loadcnt_dscnt 0x0
	ds_store_b64 v19, v[2:3]
	ds_store_b64 v21, v[4:5] offset:2048
	ds_store_b64 v36, v[6:7] offset:4096
	;; [unrolled: 1-line block ×3, first 2 shown]
	v_and_b32_e32 v1, 0x1f8, v1
	v_lshlrev_b32_e32 v5, 1, v18
	v_and_b32_e32 v2, 0x3f8, v22
	v_and_b32_e32 v3, 0x3f8, v23
	;; [unrolled: 1-line block ×3, first 2 shown]
	v_add_nc_u32_e32 v38, v1, v20
	v_and_b32_e32 v1, 0x7f8, v5
	s_delay_alu instid0(VALU_DEP_4) | instskip(NEXT) | instid1(VALU_DEP_4)
	v_dual_add_nc_u32 v39, v2, v20 :: v_dual_add_nc_u32 v40, v3, v20
	v_add_nc_u32_e32 v41, v4, v20
	ds_store_b64 v38, v[8:9] offset:8192
	ds_store_b64 v39, v[12:13] offset:10240
	;; [unrolled: 1-line block ×4, first 2 shown]
	v_lshl_add_u32 v42, v18, 6, v1
	s_wait_storecnt_dscnt 0x0
	s_barrier_signal -1
	s_barrier_wait -1
	ds_load_2addr_b64 v[14:17], v42 offset1:1
	ds_load_2addr_b64 v[10:13], v42 offset0:2 offset1:3
	ds_load_2addr_b64 v[6:9], v42 offset0:4 offset1:5
	;; [unrolled: 1-line block ×3, first 2 shown]
	s_wait_dscnt 0x0
	s_barrier_signal -1
	s_barrier_wait -1
	s_load_u16 s7, s[10:11], 0xe
	s_cselect_b32 s8, 12, 18
	s_mov_b32 s9, 0
	v_bfe_u32 v1, v0, 10, 10
	s_add_nc_u64 s[8:9], s[10:11], s[8:9]
	v_bfe_u32 v0, v0, 20, 10
	s_load_u16 s8, s[8:9], 0x0
	v_cmp_gt_i64_e64 s26, s[16:17], 0
	s_wait_kmcnt 0x0
	s_delay_alu instid0(VALU_DEP_2) | instskip(NEXT) | instid1(VALU_DEP_1)
	v_mad_u32_u24 v0, v0, s7, v1
	v_mul_lo_u32 v0, v0, s8
	s_delay_alu instid0(VALU_DEP_1) | instskip(NEXT) | instid1(VALU_DEP_1)
	v_add_lshl_u32 v24, v0, v18, 3
	v_sub_nc_u32_e64 v25, s25, v24 clamp
	s_delay_alu instid0(VALU_DEP_1)
	v_cmp_lt_u32_e64 s7, 1, v25
	s_and_saveexec_b32 s12, s7
	s_cbranch_execz .LBB1605_723
; %bb.715:
	s_and_not1_b32 vcc_lo, exec_lo, s26
	s_cbranch_vccnz .LBB1605_723
; %bb.716:
	v_mul_u64_e32 v[0:1], s[16:17], v[16:17]
	v_mul_u64_e32 v[22:23], s[16:17], v[14:15]
	s_mov_b32 s14, 0
	s_mov_b64 s[10:11], s[16:17]
                                        ; implicit-def: $sgpr13
                                        ; implicit-def: $sgpr15
                                        ; implicit-def: $sgpr23
                                        ; implicit-def: $sgpr22
                                        ; implicit-def: $sgpr27
	s_delay_alu instid0(VALU_DEP_2) | instskip(NEXT) | instid1(VALU_DEP_2)
	v_lshl_add_u64 v[0:1], v[0:1], 3, s[18:19]
	v_lshl_add_u64 v[22:23], v[22:23], 3, s[18:19]
	s_branch .LBB1605_718
.LBB1605_717:                           ;   in Loop: Header=BB1605_718 Depth=1
	s_or_b32 exec_lo, exec_lo, s28
	s_and_b32 s8, s8, s27
	s_delay_alu instid0(SALU_CYCLE_1) | instskip(SKIP_1) | instid1(SALU_CYCLE_1)
	s_or_b32 s8, vcc_lo, s8
	s_and_b32 s9, exec_lo, s23
	s_or_b32 s14, s9, s14
	s_and_not1_b32 s9, s27, exec_lo
	s_and_b32 s8, s8, exec_lo
	s_and_not1_b32 s15, s15, exec_lo
	s_and_b32 s28, s22, exec_lo
	s_or_b32 s27, s9, s8
	s_and_not1_b32 s9, s13, exec_lo
	s_or_b32 s15, s15, s28
	s_or_b32 s13, s9, s8
	s_and_not1_b32 exec_lo, exec_lo, s14
	s_cbranch_execz .LBB1605_720
.LBB1605_718:                           ; =>This Inner Loop Header: Depth=1
	global_load_b64 v[26:27], v[0:1], off
	global_load_b64 v[28:29], v[22:23], off
	s_or_b32 s22, s22, exec_lo
	s_or_b32 s23, s23, exec_lo
	s_mov_b32 s28, exec_lo
	s_wait_loadcnt 0x0
	v_cmp_le_u64_e64 s8, v[26:27], v[28:29]
	v_cmp_lt_u64_e32 vcc_lo, v[26:27], v[28:29]
	v_cmpx_eq_u64_e64 v[26:27], v[28:29]
	s_cbranch_execz .LBB1605_717
; %bb.719:                              ;   in Loop: Header=BB1605_718 Depth=1
	s_add_nc_u64 s[10:11], s[10:11], -1
	v_add_nc_u64_e32 v[0:1], 8, v[0:1]
	s_cmp_eq_u64 s[10:11], 0
	v_add_nc_u64_e32 v[22:23], 8, v[22:23]
	s_cselect_b32 s9, -1, 0
	s_and_not1_b32 s23, s23, exec_lo
	s_and_b32 s9, s9, exec_lo
	s_and_not1_b32 s22, s22, exec_lo
	s_or_b32 s23, s23, s9
	s_branch .LBB1605_717
.LBB1605_720:
	s_or_b32 exec_lo, exec_lo, s14
	s_and_saveexec_b32 s8, s15
	s_delay_alu instid0(SALU_CYCLE_1)
	s_xor_b32 s8, exec_lo, s8
; %bb.721:
	v_dual_cndmask_b32 v1, v17, v15, s13 :: v_dual_cndmask_b32 v0, v16, v14, s13
	v_dual_cndmask_b32 v15, v15, v17, s13 :: v_dual_cndmask_b32 v14, v14, v16, s13
	s_delay_alu instid0(VALU_DEP_2)
	v_mov_b64_e32 v[16:17], v[0:1]
; %bb.722:
	s_or_b32 exec_lo, exec_lo, s8
.LBB1605_723:
	s_delay_alu instid0(SALU_CYCLE_1)
	s_or_b32 exec_lo, exec_lo, s12
	v_cmp_lt_u32_e64 s8, 3, v25
	s_and_saveexec_b32 s11, s8
	s_cbranch_execz .LBB1605_732
; %bb.724:
	s_and_not1_b32 vcc_lo, exec_lo, s26
	s_cbranch_vccnz .LBB1605_732
; %bb.725:
	v_mul_u64_e32 v[0:1], s[16:17], v[12:13]
	v_mul_u64_e32 v[22:23], s[16:17], v[10:11]
	s_mov_b32 s15, 0
	s_mov_b64 s[12:13], s[16:17]
                                        ; implicit-def: $sgpr14
                                        ; implicit-def: $sgpr22
                                        ; implicit-def: $sgpr27
                                        ; implicit-def: $sgpr23
                                        ; implicit-def: $sgpr28
	s_delay_alu instid0(VALU_DEP_2) | instskip(NEXT) | instid1(VALU_DEP_2)
	v_lshl_add_u64 v[0:1], v[0:1], 3, s[18:19]
	v_lshl_add_u64 v[22:23], v[22:23], 3, s[18:19]
	s_branch .LBB1605_727
.LBB1605_726:                           ;   in Loop: Header=BB1605_727 Depth=1
	s_or_b32 exec_lo, exec_lo, s29
	s_and_b32 s9, s9, s28
	s_delay_alu instid0(SALU_CYCLE_1) | instskip(SKIP_1) | instid1(SALU_CYCLE_1)
	s_or_b32 s9, vcc_lo, s9
	s_and_b32 s10, exec_lo, s27
	s_or_b32 s15, s10, s15
	s_and_not1_b32 s10, s28, exec_lo
	s_and_b32 s9, s9, exec_lo
	s_and_not1_b32 s22, s22, exec_lo
	s_and_b32 s29, s23, exec_lo
	s_or_b32 s28, s10, s9
	s_and_not1_b32 s10, s14, exec_lo
	s_or_b32 s22, s22, s29
	s_or_b32 s14, s10, s9
	s_and_not1_b32 exec_lo, exec_lo, s15
	s_cbranch_execz .LBB1605_729
.LBB1605_727:                           ; =>This Inner Loop Header: Depth=1
	global_load_b64 v[26:27], v[0:1], off
	global_load_b64 v[28:29], v[22:23], off
	s_or_b32 s23, s23, exec_lo
	s_or_b32 s27, s27, exec_lo
	s_mov_b32 s29, exec_lo
	s_wait_loadcnt 0x0
	v_cmp_le_u64_e64 s9, v[26:27], v[28:29]
	v_cmp_lt_u64_e32 vcc_lo, v[26:27], v[28:29]
	v_cmpx_eq_u64_e64 v[26:27], v[28:29]
	s_cbranch_execz .LBB1605_726
; %bb.728:                              ;   in Loop: Header=BB1605_727 Depth=1
	s_add_nc_u64 s[12:13], s[12:13], -1
	v_add_nc_u64_e32 v[0:1], 8, v[0:1]
	s_cmp_eq_u64 s[12:13], 0
	v_add_nc_u64_e32 v[22:23], 8, v[22:23]
	s_cselect_b32 s10, -1, 0
	s_and_not1_b32 s27, s27, exec_lo
	s_and_b32 s10, s10, exec_lo
	s_and_not1_b32 s23, s23, exec_lo
	s_or_b32 s27, s27, s10
	s_branch .LBB1605_726
.LBB1605_729:
	s_or_b32 exec_lo, exec_lo, s15
	s_and_saveexec_b32 s9, s22
	s_delay_alu instid0(SALU_CYCLE_1)
	s_xor_b32 s9, exec_lo, s9
; %bb.730:
	v_dual_cndmask_b32 v1, v11, v13, s14 :: v_dual_cndmask_b32 v0, v10, v12, s14
	v_dual_cndmask_b32 v13, v13, v11, s14 :: v_dual_cndmask_b32 v12, v12, v10, s14
	s_delay_alu instid0(VALU_DEP_2)
	v_mov_b64_e32 v[10:11], v[0:1]
; %bb.731:
	s_or_b32 exec_lo, exec_lo, s9
.LBB1605_732:
	s_delay_alu instid0(SALU_CYCLE_1)
	s_or_b32 exec_lo, exec_lo, s11
	v_cmp_lt_u32_e64 s9, 5, v25
	s_and_saveexec_b32 s14, s9
	s_cbranch_execz .LBB1605_741
; %bb.733:
	s_and_not1_b32 vcc_lo, exec_lo, s26
	s_cbranch_vccnz .LBB1605_741
; %bb.734:
	v_mul_u64_e32 v[0:1], s[16:17], v[8:9]
	v_mul_u64_e32 v[22:23], s[16:17], v[6:7]
	s_mov_b32 s22, 0
	s_mov_b64 s[12:13], s[16:17]
                                        ; implicit-def: $sgpr15
                                        ; implicit-def: $sgpr23
                                        ; implicit-def: $sgpr28
                                        ; implicit-def: $sgpr27
                                        ; implicit-def: $sgpr29
	s_delay_alu instid0(VALU_DEP_2) | instskip(NEXT) | instid1(VALU_DEP_2)
	v_lshl_add_u64 v[0:1], v[0:1], 3, s[18:19]
	v_lshl_add_u64 v[22:23], v[22:23], 3, s[18:19]
	s_branch .LBB1605_736
.LBB1605_735:                           ;   in Loop: Header=BB1605_736 Depth=1
	s_or_b32 exec_lo, exec_lo, s30
	s_and_b32 s10, s10, s29
	s_delay_alu instid0(SALU_CYCLE_1) | instskip(SKIP_1) | instid1(SALU_CYCLE_1)
	s_or_b32 s10, vcc_lo, s10
	s_and_b32 s11, exec_lo, s28
	s_or_b32 s22, s11, s22
	s_and_not1_b32 s11, s29, exec_lo
	s_and_b32 s10, s10, exec_lo
	s_and_not1_b32 s23, s23, exec_lo
	s_and_b32 s30, s27, exec_lo
	s_or_b32 s29, s11, s10
	s_and_not1_b32 s11, s15, exec_lo
	s_or_b32 s23, s23, s30
	s_or_b32 s15, s11, s10
	s_and_not1_b32 exec_lo, exec_lo, s22
	s_cbranch_execz .LBB1605_738
.LBB1605_736:                           ; =>This Inner Loop Header: Depth=1
	global_load_b64 v[26:27], v[0:1], off
	global_load_b64 v[28:29], v[22:23], off
	s_or_b32 s27, s27, exec_lo
	s_or_b32 s28, s28, exec_lo
	s_mov_b32 s30, exec_lo
	s_wait_loadcnt 0x0
	v_cmp_le_u64_e64 s10, v[26:27], v[28:29]
	v_cmp_lt_u64_e32 vcc_lo, v[26:27], v[28:29]
	v_cmpx_eq_u64_e64 v[26:27], v[28:29]
	s_cbranch_execz .LBB1605_735
; %bb.737:                              ;   in Loop: Header=BB1605_736 Depth=1
	s_add_nc_u64 s[12:13], s[12:13], -1
	v_add_nc_u64_e32 v[0:1], 8, v[0:1]
	s_cmp_eq_u64 s[12:13], 0
	v_add_nc_u64_e32 v[22:23], 8, v[22:23]
	s_cselect_b32 s11, -1, 0
	s_and_not1_b32 s28, s28, exec_lo
	s_and_b32 s11, s11, exec_lo
	s_and_not1_b32 s27, s27, exec_lo
	s_or_b32 s28, s28, s11
	s_branch .LBB1605_735
.LBB1605_738:
	s_or_b32 exec_lo, exec_lo, s22
	s_and_saveexec_b32 s10, s23
	s_delay_alu instid0(SALU_CYCLE_1)
	s_xor_b32 s10, exec_lo, s10
; %bb.739:
	v_dual_cndmask_b32 v1, v7, v9, s15 :: v_dual_cndmask_b32 v0, v6, v8, s15
	v_dual_cndmask_b32 v9, v9, v7, s15 :: v_dual_cndmask_b32 v8, v8, v6, s15
	s_delay_alu instid0(VALU_DEP_2)
	v_mov_b64_e32 v[6:7], v[0:1]
; %bb.740:
	s_or_b32 exec_lo, exec_lo, s10
.LBB1605_741:
	s_delay_alu instid0(SALU_CYCLE_1)
	s_or_b32 exec_lo, exec_lo, s14
	v_cmp_lt_u32_e64 s10, 7, v25
	s_and_saveexec_b32 s13, s10
	s_cbranch_execz .LBB1605_750
; %bb.742:
	s_and_not1_b32 vcc_lo, exec_lo, s26
	s_cbranch_vccnz .LBB1605_750
; %bb.743:
	v_mul_u64_e32 v[0:1], s[16:17], v[4:5]
	v_mul_u64_e32 v[22:23], s[16:17], v[2:3]
	s_mov_b32 s23, 0
	s_mov_b64 s[14:15], s[16:17]
                                        ; implicit-def: $sgpr22
                                        ; implicit-def: $sgpr27
                                        ; implicit-def: $sgpr29
                                        ; implicit-def: $sgpr28
                                        ; implicit-def: $sgpr30
	s_delay_alu instid0(VALU_DEP_2) | instskip(NEXT) | instid1(VALU_DEP_2)
	v_lshl_add_u64 v[0:1], v[0:1], 3, s[18:19]
	v_lshl_add_u64 v[22:23], v[22:23], 3, s[18:19]
	s_branch .LBB1605_745
.LBB1605_744:                           ;   in Loop: Header=BB1605_745 Depth=1
	s_or_b32 exec_lo, exec_lo, s31
	s_and_b32 s11, s11, s30
	s_delay_alu instid0(SALU_CYCLE_1) | instskip(SKIP_1) | instid1(SALU_CYCLE_1)
	s_or_b32 s11, vcc_lo, s11
	s_and_b32 s12, exec_lo, s29
	s_or_b32 s23, s12, s23
	s_and_not1_b32 s12, s30, exec_lo
	s_and_b32 s11, s11, exec_lo
	s_and_not1_b32 s27, s27, exec_lo
	s_and_b32 s31, s28, exec_lo
	s_or_b32 s30, s12, s11
	s_and_not1_b32 s12, s22, exec_lo
	s_or_b32 s27, s27, s31
	s_or_b32 s22, s12, s11
	s_and_not1_b32 exec_lo, exec_lo, s23
	s_cbranch_execz .LBB1605_747
.LBB1605_745:                           ; =>This Inner Loop Header: Depth=1
	global_load_b64 v[26:27], v[0:1], off
	global_load_b64 v[28:29], v[22:23], off
	s_or_b32 s28, s28, exec_lo
	s_or_b32 s29, s29, exec_lo
	s_mov_b32 s31, exec_lo
	s_wait_loadcnt 0x0
	v_cmp_le_u64_e64 s11, v[26:27], v[28:29]
	v_cmp_lt_u64_e32 vcc_lo, v[26:27], v[28:29]
	v_cmpx_eq_u64_e64 v[26:27], v[28:29]
	s_cbranch_execz .LBB1605_744
; %bb.746:                              ;   in Loop: Header=BB1605_745 Depth=1
	s_add_nc_u64 s[14:15], s[14:15], -1
	v_add_nc_u64_e32 v[0:1], 8, v[0:1]
	s_cmp_eq_u64 s[14:15], 0
	v_add_nc_u64_e32 v[22:23], 8, v[22:23]
	s_cselect_b32 s12, -1, 0
	s_and_not1_b32 s29, s29, exec_lo
	s_and_b32 s12, s12, exec_lo
	s_and_not1_b32 s28, s28, exec_lo
	s_or_b32 s29, s29, s12
	s_branch .LBB1605_744
.LBB1605_747:
	s_or_b32 exec_lo, exec_lo, s23
	s_and_saveexec_b32 s11, s27
	s_delay_alu instid0(SALU_CYCLE_1)
	s_xor_b32 s11, exec_lo, s11
; %bb.748:
	v_dual_cndmask_b32 v1, v3, v5, s22 :: v_dual_cndmask_b32 v0, v2, v4, s22
	v_dual_cndmask_b32 v5, v5, v3, s22 :: v_dual_cndmask_b32 v4, v4, v2, s22
	s_delay_alu instid0(VALU_DEP_2)
	v_mov_b64_e32 v[2:3], v[0:1]
; %bb.749:
	s_or_b32 exec_lo, exec_lo, s11
.LBB1605_750:
	s_delay_alu instid0(SALU_CYCLE_1) | instskip(SKIP_2) | instid1(SALU_CYCLE_1)
	s_or_b32 exec_lo, exec_lo, s13
	v_cmp_lt_u32_e64 s11, 2, v25
	s_and_saveexec_b32 s12, s11
	s_xor_b32 s22, exec_lo, s12
	s_cbranch_execz .LBB1605_759
; %bb.751:
	s_and_not1_b32 vcc_lo, exec_lo, s26
	s_cbranch_vccnz .LBB1605_759
; %bb.752:
	v_mul_u64_e32 v[0:1], s[16:17], v[10:11]
	v_mul_u64_e32 v[22:23], s[16:17], v[16:17]
	s_mov_b32 s27, 0
	s_mov_b64 s[14:15], s[16:17]
                                        ; implicit-def: $sgpr23
                                        ; implicit-def: $sgpr28
                                        ; implicit-def: $sgpr30
                                        ; implicit-def: $sgpr29
                                        ; implicit-def: $sgpr31
	s_delay_alu instid0(VALU_DEP_2) | instskip(NEXT) | instid1(VALU_DEP_2)
	v_lshl_add_u64 v[0:1], v[0:1], 3, s[18:19]
	v_lshl_add_u64 v[22:23], v[22:23], 3, s[18:19]
	s_branch .LBB1605_754
.LBB1605_753:                           ;   in Loop: Header=BB1605_754 Depth=1
	s_or_b32 exec_lo, exec_lo, s33
	s_and_b32 s12, s12, s31
	s_delay_alu instid0(SALU_CYCLE_1) | instskip(SKIP_1) | instid1(SALU_CYCLE_1)
	s_or_b32 s12, vcc_lo, s12
	s_and_b32 s13, exec_lo, s30
	s_or_b32 s27, s13, s27
	s_and_not1_b32 s13, s31, exec_lo
	s_and_b32 s12, s12, exec_lo
	s_and_not1_b32 s28, s28, exec_lo
	s_and_b32 s33, s29, exec_lo
	s_or_b32 s31, s13, s12
	s_and_not1_b32 s13, s23, exec_lo
	s_or_b32 s28, s28, s33
	s_or_b32 s23, s13, s12
	s_and_not1_b32 exec_lo, exec_lo, s27
	s_cbranch_execz .LBB1605_756
.LBB1605_754:                           ; =>This Inner Loop Header: Depth=1
	global_load_b64 v[26:27], v[0:1], off
	global_load_b64 v[28:29], v[22:23], off
	s_or_b32 s29, s29, exec_lo
	s_or_b32 s30, s30, exec_lo
	s_mov_b32 s33, exec_lo
	s_wait_loadcnt 0x0
	v_cmp_le_u64_e64 s12, v[26:27], v[28:29]
	v_cmp_lt_u64_e32 vcc_lo, v[26:27], v[28:29]
	v_cmpx_eq_u64_e64 v[26:27], v[28:29]
	s_cbranch_execz .LBB1605_753
; %bb.755:                              ;   in Loop: Header=BB1605_754 Depth=1
	s_add_nc_u64 s[14:15], s[14:15], -1
	v_add_nc_u64_e32 v[0:1], 8, v[0:1]
	s_cmp_eq_u64 s[14:15], 0
	v_add_nc_u64_e32 v[22:23], 8, v[22:23]
	s_cselect_b32 s13, -1, 0
	s_and_not1_b32 s30, s30, exec_lo
	s_and_b32 s13, s13, exec_lo
	s_and_not1_b32 s29, s29, exec_lo
	s_or_b32 s30, s30, s13
	s_branch .LBB1605_753
.LBB1605_756:
	s_or_b32 exec_lo, exec_lo, s27
	s_and_saveexec_b32 s12, s28
	s_delay_alu instid0(SALU_CYCLE_1)
	s_xor_b32 s12, exec_lo, s12
; %bb.757:
	v_dual_cndmask_b32 v1, v17, v11, s23 :: v_dual_cndmask_b32 v0, v16, v10, s23
	v_dual_cndmask_b32 v11, v11, v17, s23 :: v_dual_cndmask_b32 v10, v10, v16, s23
	s_delay_alu instid0(VALU_DEP_2)
	v_mov_b64_e32 v[16:17], v[0:1]
; %bb.758:
	s_or_b32 exec_lo, exec_lo, s12
.LBB1605_759:
	s_delay_alu instid0(SALU_CYCLE_1)
	s_or_b32 exec_lo, exec_lo, s22
	v_cmp_lt_u32_e64 s12, 4, v25
	s_and_saveexec_b32 s15, s12
	s_cbranch_execz .LBB1605_768
; %bb.760:
	s_and_not1_b32 vcc_lo, exec_lo, s26
	s_cbranch_vccnz .LBB1605_768
; %bb.761:
	v_mul_u64_e32 v[0:1], s[16:17], v[6:7]
	v_mul_u64_e32 v[22:23], s[16:17], v[12:13]
	s_mov_b32 s28, 0
	s_mov_b64 s[22:23], s[16:17]
                                        ; implicit-def: $sgpr27
                                        ; implicit-def: $sgpr29
                                        ; implicit-def: $sgpr31
                                        ; implicit-def: $sgpr30
                                        ; implicit-def: $sgpr33
	s_delay_alu instid0(VALU_DEP_2) | instskip(NEXT) | instid1(VALU_DEP_2)
	v_lshl_add_u64 v[0:1], v[0:1], 3, s[18:19]
	v_lshl_add_u64 v[22:23], v[22:23], 3, s[18:19]
	s_branch .LBB1605_763
.LBB1605_762:                           ;   in Loop: Header=BB1605_763 Depth=1
	s_or_b32 exec_lo, exec_lo, s34
	s_and_b32 s13, s13, s33
	s_delay_alu instid0(SALU_CYCLE_1) | instskip(SKIP_1) | instid1(SALU_CYCLE_1)
	s_or_b32 s13, vcc_lo, s13
	s_and_b32 s14, exec_lo, s31
	s_or_b32 s28, s14, s28
	s_and_not1_b32 s14, s33, exec_lo
	s_and_b32 s13, s13, exec_lo
	s_and_not1_b32 s29, s29, exec_lo
	s_and_b32 s34, s30, exec_lo
	s_or_b32 s33, s14, s13
	s_and_not1_b32 s14, s27, exec_lo
	s_or_b32 s29, s29, s34
	s_or_b32 s27, s14, s13
	s_and_not1_b32 exec_lo, exec_lo, s28
	s_cbranch_execz .LBB1605_765
.LBB1605_763:                           ; =>This Inner Loop Header: Depth=1
	global_load_b64 v[26:27], v[0:1], off
	global_load_b64 v[28:29], v[22:23], off
	s_or_b32 s30, s30, exec_lo
	s_or_b32 s31, s31, exec_lo
	s_mov_b32 s34, exec_lo
	s_wait_loadcnt 0x0
	v_cmp_le_u64_e64 s13, v[26:27], v[28:29]
	v_cmp_lt_u64_e32 vcc_lo, v[26:27], v[28:29]
	v_cmpx_eq_u64_e64 v[26:27], v[28:29]
	s_cbranch_execz .LBB1605_762
; %bb.764:                              ;   in Loop: Header=BB1605_763 Depth=1
	s_add_nc_u64 s[22:23], s[22:23], -1
	v_add_nc_u64_e32 v[0:1], 8, v[0:1]
	s_cmp_eq_u64 s[22:23], 0
	v_add_nc_u64_e32 v[22:23], 8, v[22:23]
	s_cselect_b32 s14, -1, 0
	s_and_not1_b32 s31, s31, exec_lo
	s_and_b32 s14, s14, exec_lo
	s_and_not1_b32 s30, s30, exec_lo
	s_or_b32 s31, s31, s14
	s_branch .LBB1605_762
.LBB1605_765:
	s_or_b32 exec_lo, exec_lo, s28
	s_and_saveexec_b32 s13, s29
	s_delay_alu instid0(SALU_CYCLE_1)
	s_xor_b32 s13, exec_lo, s13
; %bb.766:
	v_dual_cndmask_b32 v1, v13, v7, s27 :: v_dual_cndmask_b32 v0, v12, v6, s27
	v_dual_cndmask_b32 v7, v7, v13, s27 :: v_dual_cndmask_b32 v6, v6, v12, s27
	s_delay_alu instid0(VALU_DEP_2)
	v_mov_b64_e32 v[12:13], v[0:1]
; %bb.767:
	s_or_b32 exec_lo, exec_lo, s13
.LBB1605_768:
	s_delay_alu instid0(SALU_CYCLE_1)
	s_or_b32 exec_lo, exec_lo, s15
	v_cmp_lt_u32_e64 s13, 6, v25
	s_and_saveexec_b32 s27, s13
	s_cbranch_execz .LBB1605_777
; %bb.769:
	s_and_not1_b32 vcc_lo, exec_lo, s26
	s_cbranch_vccnz .LBB1605_777
; %bb.770:
	v_mul_u64_e32 v[0:1], s[16:17], v[2:3]
	v_mul_u64_e32 v[22:23], s[16:17], v[8:9]
	s_mov_b32 s29, 0
	s_mov_b64 s[22:23], s[16:17]
                                        ; implicit-def: $sgpr28
                                        ; implicit-def: $sgpr30
                                        ; implicit-def: $sgpr33
                                        ; implicit-def: $sgpr31
                                        ; implicit-def: $sgpr34
	s_delay_alu instid0(VALU_DEP_2) | instskip(NEXT) | instid1(VALU_DEP_2)
	v_lshl_add_u64 v[0:1], v[0:1], 3, s[18:19]
	v_lshl_add_u64 v[22:23], v[22:23], 3, s[18:19]
	s_branch .LBB1605_772
.LBB1605_771:                           ;   in Loop: Header=BB1605_772 Depth=1
	s_or_b32 exec_lo, exec_lo, s35
	s_and_b32 s14, s14, s34
	s_delay_alu instid0(SALU_CYCLE_1) | instskip(SKIP_1) | instid1(SALU_CYCLE_1)
	s_or_b32 s14, vcc_lo, s14
	s_and_b32 s15, exec_lo, s33
	s_or_b32 s29, s15, s29
	s_and_not1_b32 s15, s34, exec_lo
	s_and_b32 s14, s14, exec_lo
	s_and_not1_b32 s30, s30, exec_lo
	s_and_b32 s35, s31, exec_lo
	s_or_b32 s34, s15, s14
	s_and_not1_b32 s15, s28, exec_lo
	s_or_b32 s30, s30, s35
	s_or_b32 s28, s15, s14
	s_and_not1_b32 exec_lo, exec_lo, s29
	s_cbranch_execz .LBB1605_774
.LBB1605_772:                           ; =>This Inner Loop Header: Depth=1
	global_load_b64 v[26:27], v[0:1], off
	global_load_b64 v[28:29], v[22:23], off
	s_or_b32 s31, s31, exec_lo
	s_or_b32 s33, s33, exec_lo
	s_mov_b32 s35, exec_lo
	s_wait_loadcnt 0x0
	v_cmp_le_u64_e64 s14, v[26:27], v[28:29]
	v_cmp_lt_u64_e32 vcc_lo, v[26:27], v[28:29]
	v_cmpx_eq_u64_e64 v[26:27], v[28:29]
	s_cbranch_execz .LBB1605_771
; %bb.773:                              ;   in Loop: Header=BB1605_772 Depth=1
	s_add_nc_u64 s[22:23], s[22:23], -1
	v_add_nc_u64_e32 v[0:1], 8, v[0:1]
	s_cmp_eq_u64 s[22:23], 0
	v_add_nc_u64_e32 v[22:23], 8, v[22:23]
	s_cselect_b32 s15, -1, 0
	s_and_not1_b32 s33, s33, exec_lo
	s_and_b32 s15, s15, exec_lo
	s_and_not1_b32 s31, s31, exec_lo
	s_or_b32 s33, s33, s15
	s_branch .LBB1605_771
.LBB1605_774:
	s_or_b32 exec_lo, exec_lo, s29
	s_and_saveexec_b32 s14, s30
	s_delay_alu instid0(SALU_CYCLE_1)
	s_xor_b32 s14, exec_lo, s14
; %bb.775:
	v_dual_cndmask_b32 v1, v9, v3, s28 :: v_dual_cndmask_b32 v0, v8, v2, s28
	v_dual_cndmask_b32 v3, v3, v9, s28 :: v_dual_cndmask_b32 v2, v2, v8, s28
	s_delay_alu instid0(VALU_DEP_2)
	v_mov_b64_e32 v[8:9], v[0:1]
; %bb.776:
	s_or_b32 exec_lo, exec_lo, s14
.LBB1605_777:
	s_delay_alu instid0(SALU_CYCLE_1)
	s_or_b32 exec_lo, exec_lo, s27
	s_and_saveexec_b32 s27, s7
	s_cbranch_execz .LBB1605_786
; %bb.778:
	s_and_not1_b32 vcc_lo, exec_lo, s26
	s_cbranch_vccnz .LBB1605_786
; %bb.779:
	v_mul_u64_e32 v[0:1], s[16:17], v[16:17]
	v_mul_u64_e32 v[22:23], s[16:17], v[14:15]
	s_mov_b32 s29, 0
	s_mov_b64 s[22:23], s[16:17]
                                        ; implicit-def: $sgpr28
                                        ; implicit-def: $sgpr30
                                        ; implicit-def: $sgpr33
                                        ; implicit-def: $sgpr31
                                        ; implicit-def: $sgpr34
	s_delay_alu instid0(VALU_DEP_2) | instskip(NEXT) | instid1(VALU_DEP_2)
	v_lshl_add_u64 v[0:1], v[0:1], 3, s[18:19]
	v_lshl_add_u64 v[22:23], v[22:23], 3, s[18:19]
	s_branch .LBB1605_781
.LBB1605_780:                           ;   in Loop: Header=BB1605_781 Depth=1
	s_or_b32 exec_lo, exec_lo, s35
	s_and_b32 s14, s14, s34
	s_delay_alu instid0(SALU_CYCLE_1) | instskip(SKIP_1) | instid1(SALU_CYCLE_1)
	s_or_b32 s14, vcc_lo, s14
	s_and_b32 s15, exec_lo, s33
	s_or_b32 s29, s15, s29
	s_and_not1_b32 s15, s34, exec_lo
	s_and_b32 s14, s14, exec_lo
	s_and_not1_b32 s30, s30, exec_lo
	s_and_b32 s35, s31, exec_lo
	s_or_b32 s34, s15, s14
	s_and_not1_b32 s15, s28, exec_lo
	s_or_b32 s30, s30, s35
	s_or_b32 s28, s15, s14
	s_and_not1_b32 exec_lo, exec_lo, s29
	s_cbranch_execz .LBB1605_783
.LBB1605_781:                           ; =>This Inner Loop Header: Depth=1
	global_load_b64 v[26:27], v[0:1], off
	global_load_b64 v[28:29], v[22:23], off
	s_or_b32 s31, s31, exec_lo
	s_or_b32 s33, s33, exec_lo
	s_mov_b32 s35, exec_lo
	s_wait_loadcnt 0x0
	v_cmp_le_u64_e64 s14, v[26:27], v[28:29]
	v_cmp_lt_u64_e32 vcc_lo, v[26:27], v[28:29]
	v_cmpx_eq_u64_e64 v[26:27], v[28:29]
	s_cbranch_execz .LBB1605_780
; %bb.782:                              ;   in Loop: Header=BB1605_781 Depth=1
	s_add_nc_u64 s[22:23], s[22:23], -1
	v_add_nc_u64_e32 v[0:1], 8, v[0:1]
	s_cmp_eq_u64 s[22:23], 0
	v_add_nc_u64_e32 v[22:23], 8, v[22:23]
	s_cselect_b32 s15, -1, 0
	s_and_not1_b32 s33, s33, exec_lo
	s_and_b32 s15, s15, exec_lo
	s_and_not1_b32 s31, s31, exec_lo
	s_or_b32 s33, s33, s15
	s_branch .LBB1605_780
.LBB1605_783:
	s_or_b32 exec_lo, exec_lo, s29
	s_and_saveexec_b32 s14, s30
	s_delay_alu instid0(SALU_CYCLE_1)
	s_xor_b32 s14, exec_lo, s14
; %bb.784:
	v_dual_cndmask_b32 v1, v17, v15, s28 :: v_dual_cndmask_b32 v0, v16, v14, s28
	v_dual_cndmask_b32 v15, v15, v17, s28 :: v_dual_cndmask_b32 v14, v14, v16, s28
	s_delay_alu instid0(VALU_DEP_2)
	v_mov_b64_e32 v[16:17], v[0:1]
; %bb.785:
	s_or_b32 exec_lo, exec_lo, s14
.LBB1605_786:
	s_delay_alu instid0(SALU_CYCLE_1)
	s_or_b32 exec_lo, exec_lo, s27
	s_and_saveexec_b32 s27, s8
	s_cbranch_execz .LBB1605_795
; %bb.787:
	s_and_not1_b32 vcc_lo, exec_lo, s26
	s_cbranch_vccnz .LBB1605_795
; %bb.788:
	v_mul_u64_e32 v[0:1], s[16:17], v[12:13]
	v_mul_u64_e32 v[22:23], s[16:17], v[10:11]
	s_mov_b32 s29, 0
	s_mov_b64 s[22:23], s[16:17]
                                        ; implicit-def: $sgpr28
                                        ; implicit-def: $sgpr30
                                        ; implicit-def: $sgpr33
                                        ; implicit-def: $sgpr31
                                        ; implicit-def: $sgpr34
	s_delay_alu instid0(VALU_DEP_2) | instskip(NEXT) | instid1(VALU_DEP_2)
	v_lshl_add_u64 v[0:1], v[0:1], 3, s[18:19]
	v_lshl_add_u64 v[22:23], v[22:23], 3, s[18:19]
	s_branch .LBB1605_790
.LBB1605_789:                           ;   in Loop: Header=BB1605_790 Depth=1
	s_or_b32 exec_lo, exec_lo, s35
	s_and_b32 s14, s14, s34
	s_delay_alu instid0(SALU_CYCLE_1) | instskip(SKIP_1) | instid1(SALU_CYCLE_1)
	s_or_b32 s14, vcc_lo, s14
	s_and_b32 s15, exec_lo, s33
	s_or_b32 s29, s15, s29
	s_and_not1_b32 s15, s34, exec_lo
	s_and_b32 s14, s14, exec_lo
	s_and_not1_b32 s30, s30, exec_lo
	s_and_b32 s35, s31, exec_lo
	s_or_b32 s34, s15, s14
	s_and_not1_b32 s15, s28, exec_lo
	s_or_b32 s30, s30, s35
	s_or_b32 s28, s15, s14
	s_and_not1_b32 exec_lo, exec_lo, s29
	s_cbranch_execz .LBB1605_792
.LBB1605_790:                           ; =>This Inner Loop Header: Depth=1
	global_load_b64 v[26:27], v[0:1], off
	global_load_b64 v[28:29], v[22:23], off
	s_or_b32 s31, s31, exec_lo
	s_or_b32 s33, s33, exec_lo
	s_mov_b32 s35, exec_lo
	s_wait_loadcnt 0x0
	v_cmp_le_u64_e64 s14, v[26:27], v[28:29]
	v_cmp_lt_u64_e32 vcc_lo, v[26:27], v[28:29]
	v_cmpx_eq_u64_e64 v[26:27], v[28:29]
	s_cbranch_execz .LBB1605_789
; %bb.791:                              ;   in Loop: Header=BB1605_790 Depth=1
	s_add_nc_u64 s[22:23], s[22:23], -1
	v_add_nc_u64_e32 v[0:1], 8, v[0:1]
	s_cmp_eq_u64 s[22:23], 0
	v_add_nc_u64_e32 v[22:23], 8, v[22:23]
	s_cselect_b32 s15, -1, 0
	s_and_not1_b32 s33, s33, exec_lo
	s_and_b32 s15, s15, exec_lo
	s_and_not1_b32 s31, s31, exec_lo
	s_or_b32 s33, s33, s15
	s_branch .LBB1605_789
.LBB1605_792:
	s_or_b32 exec_lo, exec_lo, s29
	s_and_saveexec_b32 s14, s30
	s_delay_alu instid0(SALU_CYCLE_1)
	s_xor_b32 s14, exec_lo, s14
; %bb.793:
	v_dual_cndmask_b32 v1, v11, v13, s28 :: v_dual_cndmask_b32 v0, v10, v12, s28
	v_dual_cndmask_b32 v13, v13, v11, s28 :: v_dual_cndmask_b32 v12, v12, v10, s28
	s_delay_alu instid0(VALU_DEP_2)
	v_mov_b64_e32 v[10:11], v[0:1]
; %bb.794:
	s_or_b32 exec_lo, exec_lo, s14
.LBB1605_795:
	s_delay_alu instid0(SALU_CYCLE_1)
	s_or_b32 exec_lo, exec_lo, s27
	s_and_saveexec_b32 s27, s9
	s_cbranch_execz .LBB1605_804
; %bb.796:
	s_and_not1_b32 vcc_lo, exec_lo, s26
	s_cbranch_vccnz .LBB1605_804
; %bb.797:
	v_mul_u64_e32 v[0:1], s[16:17], v[8:9]
	v_mul_u64_e32 v[22:23], s[16:17], v[6:7]
	s_mov_b32 s29, 0
	s_mov_b64 s[22:23], s[16:17]
                                        ; implicit-def: $sgpr28
                                        ; implicit-def: $sgpr30
                                        ; implicit-def: $sgpr33
                                        ; implicit-def: $sgpr31
                                        ; implicit-def: $sgpr34
	s_delay_alu instid0(VALU_DEP_2) | instskip(NEXT) | instid1(VALU_DEP_2)
	v_lshl_add_u64 v[0:1], v[0:1], 3, s[18:19]
	v_lshl_add_u64 v[22:23], v[22:23], 3, s[18:19]
	s_branch .LBB1605_799
.LBB1605_798:                           ;   in Loop: Header=BB1605_799 Depth=1
	s_or_b32 exec_lo, exec_lo, s35
	s_and_b32 s14, s14, s34
	s_delay_alu instid0(SALU_CYCLE_1) | instskip(SKIP_1) | instid1(SALU_CYCLE_1)
	s_or_b32 s14, vcc_lo, s14
	s_and_b32 s15, exec_lo, s33
	s_or_b32 s29, s15, s29
	s_and_not1_b32 s15, s34, exec_lo
	s_and_b32 s14, s14, exec_lo
	s_and_not1_b32 s30, s30, exec_lo
	s_and_b32 s35, s31, exec_lo
	s_or_b32 s34, s15, s14
	s_and_not1_b32 s15, s28, exec_lo
	s_or_b32 s30, s30, s35
	s_or_b32 s28, s15, s14
	s_and_not1_b32 exec_lo, exec_lo, s29
	s_cbranch_execz .LBB1605_801
.LBB1605_799:                           ; =>This Inner Loop Header: Depth=1
	global_load_b64 v[26:27], v[0:1], off
	global_load_b64 v[28:29], v[22:23], off
	s_or_b32 s31, s31, exec_lo
	s_or_b32 s33, s33, exec_lo
	s_mov_b32 s35, exec_lo
	s_wait_loadcnt 0x0
	v_cmp_le_u64_e64 s14, v[26:27], v[28:29]
	v_cmp_lt_u64_e32 vcc_lo, v[26:27], v[28:29]
	v_cmpx_eq_u64_e64 v[26:27], v[28:29]
	s_cbranch_execz .LBB1605_798
; %bb.800:                              ;   in Loop: Header=BB1605_799 Depth=1
	s_add_nc_u64 s[22:23], s[22:23], -1
	v_add_nc_u64_e32 v[0:1], 8, v[0:1]
	s_cmp_eq_u64 s[22:23], 0
	v_add_nc_u64_e32 v[22:23], 8, v[22:23]
	s_cselect_b32 s15, -1, 0
	s_and_not1_b32 s33, s33, exec_lo
	s_and_b32 s15, s15, exec_lo
	s_and_not1_b32 s31, s31, exec_lo
	s_or_b32 s33, s33, s15
	s_branch .LBB1605_798
.LBB1605_801:
	s_or_b32 exec_lo, exec_lo, s29
	s_and_saveexec_b32 s14, s30
	s_delay_alu instid0(SALU_CYCLE_1)
	s_xor_b32 s14, exec_lo, s14
; %bb.802:
	v_dual_cndmask_b32 v1, v7, v9, s28 :: v_dual_cndmask_b32 v0, v6, v8, s28
	v_dual_cndmask_b32 v9, v9, v7, s28 :: v_dual_cndmask_b32 v8, v8, v6, s28
	s_delay_alu instid0(VALU_DEP_2)
	v_mov_b64_e32 v[6:7], v[0:1]
; %bb.803:
	s_or_b32 exec_lo, exec_lo, s14
.LBB1605_804:
	s_delay_alu instid0(SALU_CYCLE_1)
	s_or_b32 exec_lo, exec_lo, s27
	s_and_saveexec_b32 s27, s10
	s_cbranch_execz .LBB1605_813
; %bb.805:
	s_and_not1_b32 vcc_lo, exec_lo, s26
	s_cbranch_vccnz .LBB1605_813
; %bb.806:
	v_mul_u64_e32 v[0:1], s[16:17], v[4:5]
	v_mul_u64_e32 v[22:23], s[16:17], v[2:3]
	s_mov_b32 s29, 0
	s_mov_b64 s[22:23], s[16:17]
                                        ; implicit-def: $sgpr28
                                        ; implicit-def: $sgpr30
                                        ; implicit-def: $sgpr33
                                        ; implicit-def: $sgpr31
                                        ; implicit-def: $sgpr34
	s_delay_alu instid0(VALU_DEP_2) | instskip(NEXT) | instid1(VALU_DEP_2)
	v_lshl_add_u64 v[0:1], v[0:1], 3, s[18:19]
	v_lshl_add_u64 v[22:23], v[22:23], 3, s[18:19]
	s_branch .LBB1605_808
.LBB1605_807:                           ;   in Loop: Header=BB1605_808 Depth=1
	s_or_b32 exec_lo, exec_lo, s35
	s_and_b32 s14, s14, s34
	s_delay_alu instid0(SALU_CYCLE_1) | instskip(SKIP_1) | instid1(SALU_CYCLE_1)
	s_or_b32 s14, vcc_lo, s14
	s_and_b32 s15, exec_lo, s33
	s_or_b32 s29, s15, s29
	s_and_not1_b32 s15, s34, exec_lo
	s_and_b32 s14, s14, exec_lo
	s_and_not1_b32 s30, s30, exec_lo
	s_and_b32 s35, s31, exec_lo
	s_or_b32 s34, s15, s14
	s_and_not1_b32 s15, s28, exec_lo
	s_or_b32 s30, s30, s35
	s_or_b32 s28, s15, s14
	s_and_not1_b32 exec_lo, exec_lo, s29
	s_cbranch_execz .LBB1605_810
.LBB1605_808:                           ; =>This Inner Loop Header: Depth=1
	global_load_b64 v[26:27], v[0:1], off
	global_load_b64 v[28:29], v[22:23], off
	s_or_b32 s31, s31, exec_lo
	s_or_b32 s33, s33, exec_lo
	s_mov_b32 s35, exec_lo
	s_wait_loadcnt 0x0
	v_cmp_le_u64_e64 s14, v[26:27], v[28:29]
	v_cmp_lt_u64_e32 vcc_lo, v[26:27], v[28:29]
	v_cmpx_eq_u64_e64 v[26:27], v[28:29]
	s_cbranch_execz .LBB1605_807
; %bb.809:                              ;   in Loop: Header=BB1605_808 Depth=1
	s_add_nc_u64 s[22:23], s[22:23], -1
	v_add_nc_u64_e32 v[0:1], 8, v[0:1]
	s_cmp_eq_u64 s[22:23], 0
	v_add_nc_u64_e32 v[22:23], 8, v[22:23]
	s_cselect_b32 s15, -1, 0
	s_and_not1_b32 s33, s33, exec_lo
	s_and_b32 s15, s15, exec_lo
	s_and_not1_b32 s31, s31, exec_lo
	s_or_b32 s33, s33, s15
	s_branch .LBB1605_807
.LBB1605_810:
	s_or_b32 exec_lo, exec_lo, s29
	s_and_saveexec_b32 s14, s30
	s_delay_alu instid0(SALU_CYCLE_1)
	s_xor_b32 s14, exec_lo, s14
; %bb.811:
	v_dual_cndmask_b32 v1, v3, v5, s28 :: v_dual_cndmask_b32 v0, v2, v4, s28
	v_dual_cndmask_b32 v5, v5, v3, s28 :: v_dual_cndmask_b32 v4, v4, v2, s28
	s_delay_alu instid0(VALU_DEP_2)
	v_mov_b64_e32 v[2:3], v[0:1]
; %bb.812:
	s_or_b32 exec_lo, exec_lo, s14
.LBB1605_813:
	s_delay_alu instid0(SALU_CYCLE_1)
	s_or_b32 exec_lo, exec_lo, s27
	s_and_saveexec_b32 s27, s11
	s_cbranch_execz .LBB1605_822
; %bb.814:
	s_and_not1_b32 vcc_lo, exec_lo, s26
	s_cbranch_vccnz .LBB1605_822
; %bb.815:
	v_mul_u64_e32 v[0:1], s[16:17], v[10:11]
	v_mul_u64_e32 v[22:23], s[16:17], v[16:17]
	s_mov_b32 s29, 0
	s_mov_b64 s[22:23], s[16:17]
                                        ; implicit-def: $sgpr28
                                        ; implicit-def: $sgpr30
                                        ; implicit-def: $sgpr33
                                        ; implicit-def: $sgpr31
                                        ; implicit-def: $sgpr34
	s_delay_alu instid0(VALU_DEP_2) | instskip(NEXT) | instid1(VALU_DEP_2)
	v_lshl_add_u64 v[0:1], v[0:1], 3, s[18:19]
	v_lshl_add_u64 v[22:23], v[22:23], 3, s[18:19]
	s_branch .LBB1605_817
.LBB1605_816:                           ;   in Loop: Header=BB1605_817 Depth=1
	s_or_b32 exec_lo, exec_lo, s35
	s_and_b32 s14, s14, s34
	s_delay_alu instid0(SALU_CYCLE_1) | instskip(SKIP_1) | instid1(SALU_CYCLE_1)
	s_or_b32 s14, vcc_lo, s14
	s_and_b32 s15, exec_lo, s33
	s_or_b32 s29, s15, s29
	s_and_not1_b32 s15, s34, exec_lo
	s_and_b32 s14, s14, exec_lo
	s_and_not1_b32 s30, s30, exec_lo
	s_and_b32 s35, s31, exec_lo
	s_or_b32 s34, s15, s14
	s_and_not1_b32 s15, s28, exec_lo
	s_or_b32 s30, s30, s35
	s_or_b32 s28, s15, s14
	s_and_not1_b32 exec_lo, exec_lo, s29
	s_cbranch_execz .LBB1605_819
.LBB1605_817:                           ; =>This Inner Loop Header: Depth=1
	global_load_b64 v[26:27], v[0:1], off
	global_load_b64 v[28:29], v[22:23], off
	s_or_b32 s31, s31, exec_lo
	s_or_b32 s33, s33, exec_lo
	s_mov_b32 s35, exec_lo
	s_wait_loadcnt 0x0
	v_cmp_le_u64_e64 s14, v[26:27], v[28:29]
	v_cmp_lt_u64_e32 vcc_lo, v[26:27], v[28:29]
	v_cmpx_eq_u64_e64 v[26:27], v[28:29]
	s_cbranch_execz .LBB1605_816
; %bb.818:                              ;   in Loop: Header=BB1605_817 Depth=1
	s_add_nc_u64 s[22:23], s[22:23], -1
	v_add_nc_u64_e32 v[0:1], 8, v[0:1]
	s_cmp_eq_u64 s[22:23], 0
	v_add_nc_u64_e32 v[22:23], 8, v[22:23]
	s_cselect_b32 s15, -1, 0
	s_and_not1_b32 s33, s33, exec_lo
	s_and_b32 s15, s15, exec_lo
	s_and_not1_b32 s31, s31, exec_lo
	s_or_b32 s33, s33, s15
	s_branch .LBB1605_816
.LBB1605_819:
	s_or_b32 exec_lo, exec_lo, s29
	s_and_saveexec_b32 s14, s30
	s_delay_alu instid0(SALU_CYCLE_1)
	s_xor_b32 s14, exec_lo, s14
; %bb.820:
	v_dual_cndmask_b32 v1, v17, v11, s28 :: v_dual_cndmask_b32 v0, v16, v10, s28
	v_dual_cndmask_b32 v11, v11, v17, s28 :: v_dual_cndmask_b32 v10, v10, v16, s28
	s_delay_alu instid0(VALU_DEP_2)
	v_mov_b64_e32 v[16:17], v[0:1]
; %bb.821:
	s_or_b32 exec_lo, exec_lo, s14
.LBB1605_822:
	s_delay_alu instid0(SALU_CYCLE_1)
	s_or_b32 exec_lo, exec_lo, s27
	s_and_saveexec_b32 s27, s12
	s_cbranch_execz .LBB1605_831
; %bb.823:
	s_and_not1_b32 vcc_lo, exec_lo, s26
	s_cbranch_vccnz .LBB1605_831
; %bb.824:
	v_mul_u64_e32 v[0:1], s[16:17], v[6:7]
	v_mul_u64_e32 v[22:23], s[16:17], v[12:13]
	s_mov_b32 s29, 0
	s_mov_b64 s[22:23], s[16:17]
                                        ; implicit-def: $sgpr28
                                        ; implicit-def: $sgpr30
                                        ; implicit-def: $sgpr33
                                        ; implicit-def: $sgpr31
                                        ; implicit-def: $sgpr34
	s_delay_alu instid0(VALU_DEP_2) | instskip(NEXT) | instid1(VALU_DEP_2)
	v_lshl_add_u64 v[0:1], v[0:1], 3, s[18:19]
	v_lshl_add_u64 v[22:23], v[22:23], 3, s[18:19]
	s_branch .LBB1605_826
.LBB1605_825:                           ;   in Loop: Header=BB1605_826 Depth=1
	s_or_b32 exec_lo, exec_lo, s35
	s_and_b32 s14, s14, s34
	s_delay_alu instid0(SALU_CYCLE_1) | instskip(SKIP_1) | instid1(SALU_CYCLE_1)
	s_or_b32 s14, vcc_lo, s14
	s_and_b32 s15, exec_lo, s33
	s_or_b32 s29, s15, s29
	s_and_not1_b32 s15, s34, exec_lo
	s_and_b32 s14, s14, exec_lo
	s_and_not1_b32 s30, s30, exec_lo
	s_and_b32 s35, s31, exec_lo
	s_or_b32 s34, s15, s14
	s_and_not1_b32 s15, s28, exec_lo
	s_or_b32 s30, s30, s35
	s_or_b32 s28, s15, s14
	s_and_not1_b32 exec_lo, exec_lo, s29
	s_cbranch_execz .LBB1605_828
.LBB1605_826:                           ; =>This Inner Loop Header: Depth=1
	global_load_b64 v[26:27], v[0:1], off
	global_load_b64 v[28:29], v[22:23], off
	s_or_b32 s31, s31, exec_lo
	s_or_b32 s33, s33, exec_lo
	s_mov_b32 s35, exec_lo
	s_wait_loadcnt 0x0
	v_cmp_le_u64_e64 s14, v[26:27], v[28:29]
	v_cmp_lt_u64_e32 vcc_lo, v[26:27], v[28:29]
	v_cmpx_eq_u64_e64 v[26:27], v[28:29]
	s_cbranch_execz .LBB1605_825
; %bb.827:                              ;   in Loop: Header=BB1605_826 Depth=1
	s_add_nc_u64 s[22:23], s[22:23], -1
	v_add_nc_u64_e32 v[0:1], 8, v[0:1]
	s_cmp_eq_u64 s[22:23], 0
	v_add_nc_u64_e32 v[22:23], 8, v[22:23]
	s_cselect_b32 s15, -1, 0
	s_and_not1_b32 s33, s33, exec_lo
	s_and_b32 s15, s15, exec_lo
	s_and_not1_b32 s31, s31, exec_lo
	s_or_b32 s33, s33, s15
	s_branch .LBB1605_825
.LBB1605_828:
	s_or_b32 exec_lo, exec_lo, s29
	s_and_saveexec_b32 s14, s30
	s_delay_alu instid0(SALU_CYCLE_1)
	s_xor_b32 s14, exec_lo, s14
; %bb.829:
	v_dual_cndmask_b32 v1, v13, v7, s28 :: v_dual_cndmask_b32 v0, v12, v6, s28
	v_dual_cndmask_b32 v7, v7, v13, s28 :: v_dual_cndmask_b32 v6, v6, v12, s28
	s_delay_alu instid0(VALU_DEP_2)
	v_mov_b64_e32 v[12:13], v[0:1]
; %bb.830:
	s_or_b32 exec_lo, exec_lo, s14
.LBB1605_831:
	s_delay_alu instid0(SALU_CYCLE_1)
	s_or_b32 exec_lo, exec_lo, s27
	s_and_saveexec_b32 s27, s13
	s_cbranch_execz .LBB1605_840
; %bb.832:
	s_and_not1_b32 vcc_lo, exec_lo, s26
	s_cbranch_vccnz .LBB1605_840
; %bb.833:
	v_mul_u64_e32 v[0:1], s[16:17], v[2:3]
	v_mul_u64_e32 v[22:23], s[16:17], v[8:9]
	s_mov_b32 s29, 0
	s_mov_b64 s[22:23], s[16:17]
                                        ; implicit-def: $sgpr28
                                        ; implicit-def: $sgpr30
                                        ; implicit-def: $sgpr33
                                        ; implicit-def: $sgpr31
                                        ; implicit-def: $sgpr34
	s_delay_alu instid0(VALU_DEP_2) | instskip(NEXT) | instid1(VALU_DEP_2)
	v_lshl_add_u64 v[0:1], v[0:1], 3, s[18:19]
	v_lshl_add_u64 v[22:23], v[22:23], 3, s[18:19]
	s_branch .LBB1605_835
.LBB1605_834:                           ;   in Loop: Header=BB1605_835 Depth=1
	s_or_b32 exec_lo, exec_lo, s35
	s_and_b32 s14, s14, s34
	s_delay_alu instid0(SALU_CYCLE_1) | instskip(SKIP_1) | instid1(SALU_CYCLE_1)
	s_or_b32 s14, vcc_lo, s14
	s_and_b32 s15, exec_lo, s33
	s_or_b32 s29, s15, s29
	s_and_not1_b32 s15, s34, exec_lo
	s_and_b32 s14, s14, exec_lo
	s_and_not1_b32 s30, s30, exec_lo
	s_and_b32 s35, s31, exec_lo
	s_or_b32 s34, s15, s14
	s_and_not1_b32 s15, s28, exec_lo
	s_or_b32 s30, s30, s35
	s_or_b32 s28, s15, s14
	s_and_not1_b32 exec_lo, exec_lo, s29
	s_cbranch_execz .LBB1605_837
.LBB1605_835:                           ; =>This Inner Loop Header: Depth=1
	global_load_b64 v[26:27], v[0:1], off
	global_load_b64 v[28:29], v[22:23], off
	s_or_b32 s31, s31, exec_lo
	s_or_b32 s33, s33, exec_lo
	s_mov_b32 s35, exec_lo
	s_wait_loadcnt 0x0
	v_cmp_le_u64_e64 s14, v[26:27], v[28:29]
	v_cmp_lt_u64_e32 vcc_lo, v[26:27], v[28:29]
	v_cmpx_eq_u64_e64 v[26:27], v[28:29]
	s_cbranch_execz .LBB1605_834
; %bb.836:                              ;   in Loop: Header=BB1605_835 Depth=1
	s_add_nc_u64 s[22:23], s[22:23], -1
	v_add_nc_u64_e32 v[0:1], 8, v[0:1]
	s_cmp_eq_u64 s[22:23], 0
	v_add_nc_u64_e32 v[22:23], 8, v[22:23]
	s_cselect_b32 s15, -1, 0
	s_and_not1_b32 s33, s33, exec_lo
	s_and_b32 s15, s15, exec_lo
	s_and_not1_b32 s31, s31, exec_lo
	s_or_b32 s33, s33, s15
	s_branch .LBB1605_834
.LBB1605_837:
	s_or_b32 exec_lo, exec_lo, s29
	s_and_saveexec_b32 s14, s30
	s_delay_alu instid0(SALU_CYCLE_1)
	s_xor_b32 s14, exec_lo, s14
; %bb.838:
	v_dual_cndmask_b32 v1, v9, v3, s28 :: v_dual_cndmask_b32 v0, v8, v2, s28
	v_dual_cndmask_b32 v3, v3, v9, s28 :: v_dual_cndmask_b32 v2, v2, v8, s28
	s_delay_alu instid0(VALU_DEP_2)
	v_mov_b64_e32 v[8:9], v[0:1]
; %bb.839:
	s_or_b32 exec_lo, exec_lo, s14
.LBB1605_840:
	s_delay_alu instid0(SALU_CYCLE_1)
	s_or_b32 exec_lo, exec_lo, s27
	s_and_saveexec_b32 s27, s7
	s_cbranch_execz .LBB1605_849
; %bb.841:
	s_and_not1_b32 vcc_lo, exec_lo, s26
	s_cbranch_vccnz .LBB1605_849
; %bb.842:
	v_mul_u64_e32 v[0:1], s[16:17], v[16:17]
	v_mul_u64_e32 v[22:23], s[16:17], v[14:15]
	s_mov_b32 s29, 0
	s_mov_b64 s[22:23], s[16:17]
                                        ; implicit-def: $sgpr28
                                        ; implicit-def: $sgpr30
                                        ; implicit-def: $sgpr33
                                        ; implicit-def: $sgpr31
                                        ; implicit-def: $sgpr34
	s_delay_alu instid0(VALU_DEP_2) | instskip(NEXT) | instid1(VALU_DEP_2)
	v_lshl_add_u64 v[0:1], v[0:1], 3, s[18:19]
	v_lshl_add_u64 v[22:23], v[22:23], 3, s[18:19]
	s_branch .LBB1605_844
.LBB1605_843:                           ;   in Loop: Header=BB1605_844 Depth=1
	s_or_b32 exec_lo, exec_lo, s35
	s_and_b32 s14, s14, s34
	s_delay_alu instid0(SALU_CYCLE_1) | instskip(SKIP_1) | instid1(SALU_CYCLE_1)
	s_or_b32 s14, vcc_lo, s14
	s_and_b32 s15, exec_lo, s33
	s_or_b32 s29, s15, s29
	s_and_not1_b32 s15, s34, exec_lo
	s_and_b32 s14, s14, exec_lo
	s_and_not1_b32 s30, s30, exec_lo
	s_and_b32 s35, s31, exec_lo
	s_or_b32 s34, s15, s14
	s_and_not1_b32 s15, s28, exec_lo
	s_or_b32 s30, s30, s35
	s_or_b32 s28, s15, s14
	s_and_not1_b32 exec_lo, exec_lo, s29
	s_cbranch_execz .LBB1605_846
.LBB1605_844:                           ; =>This Inner Loop Header: Depth=1
	global_load_b64 v[26:27], v[0:1], off
	global_load_b64 v[28:29], v[22:23], off
	s_or_b32 s31, s31, exec_lo
	s_or_b32 s33, s33, exec_lo
	s_mov_b32 s35, exec_lo
	s_wait_loadcnt 0x0
	v_cmp_le_u64_e64 s14, v[26:27], v[28:29]
	v_cmp_lt_u64_e32 vcc_lo, v[26:27], v[28:29]
	v_cmpx_eq_u64_e64 v[26:27], v[28:29]
	s_cbranch_execz .LBB1605_843
; %bb.845:                              ;   in Loop: Header=BB1605_844 Depth=1
	s_add_nc_u64 s[22:23], s[22:23], -1
	v_add_nc_u64_e32 v[0:1], 8, v[0:1]
	s_cmp_eq_u64 s[22:23], 0
	v_add_nc_u64_e32 v[22:23], 8, v[22:23]
	s_cselect_b32 s15, -1, 0
	s_and_not1_b32 s33, s33, exec_lo
	s_and_b32 s15, s15, exec_lo
	s_and_not1_b32 s31, s31, exec_lo
	s_or_b32 s33, s33, s15
	s_branch .LBB1605_843
.LBB1605_846:
	s_or_b32 exec_lo, exec_lo, s29
	s_and_saveexec_b32 s14, s30
	s_delay_alu instid0(SALU_CYCLE_1)
	s_xor_b32 s14, exec_lo, s14
; %bb.847:
	v_dual_cndmask_b32 v1, v17, v15, s28 :: v_dual_cndmask_b32 v0, v16, v14, s28
	v_dual_cndmask_b32 v15, v15, v17, s28 :: v_dual_cndmask_b32 v14, v14, v16, s28
	s_delay_alu instid0(VALU_DEP_2)
	v_mov_b64_e32 v[16:17], v[0:1]
; %bb.848:
	s_or_b32 exec_lo, exec_lo, s14
.LBB1605_849:
	s_delay_alu instid0(SALU_CYCLE_1)
	s_or_b32 exec_lo, exec_lo, s27
	s_and_saveexec_b32 s27, s8
	s_cbranch_execz .LBB1605_858
; %bb.850:
	s_and_not1_b32 vcc_lo, exec_lo, s26
	s_cbranch_vccnz .LBB1605_858
; %bb.851:
	v_mul_u64_e32 v[0:1], s[16:17], v[12:13]
	v_mul_u64_e32 v[22:23], s[16:17], v[10:11]
	s_mov_b32 s29, 0
	s_mov_b64 s[22:23], s[16:17]
                                        ; implicit-def: $sgpr28
                                        ; implicit-def: $sgpr30
                                        ; implicit-def: $sgpr33
                                        ; implicit-def: $sgpr31
                                        ; implicit-def: $sgpr34
	s_delay_alu instid0(VALU_DEP_2) | instskip(NEXT) | instid1(VALU_DEP_2)
	v_lshl_add_u64 v[0:1], v[0:1], 3, s[18:19]
	v_lshl_add_u64 v[22:23], v[22:23], 3, s[18:19]
	s_branch .LBB1605_853
.LBB1605_852:                           ;   in Loop: Header=BB1605_853 Depth=1
	s_or_b32 exec_lo, exec_lo, s35
	s_and_b32 s14, s14, s34
	s_delay_alu instid0(SALU_CYCLE_1) | instskip(SKIP_1) | instid1(SALU_CYCLE_1)
	s_or_b32 s14, vcc_lo, s14
	s_and_b32 s15, exec_lo, s33
	s_or_b32 s29, s15, s29
	s_and_not1_b32 s15, s34, exec_lo
	s_and_b32 s14, s14, exec_lo
	s_and_not1_b32 s30, s30, exec_lo
	s_and_b32 s35, s31, exec_lo
	s_or_b32 s34, s15, s14
	s_and_not1_b32 s15, s28, exec_lo
	s_or_b32 s30, s30, s35
	s_or_b32 s28, s15, s14
	s_and_not1_b32 exec_lo, exec_lo, s29
	s_cbranch_execz .LBB1605_855
.LBB1605_853:                           ; =>This Inner Loop Header: Depth=1
	global_load_b64 v[26:27], v[0:1], off
	global_load_b64 v[28:29], v[22:23], off
	s_or_b32 s31, s31, exec_lo
	s_or_b32 s33, s33, exec_lo
	s_mov_b32 s35, exec_lo
	s_wait_loadcnt 0x0
	v_cmp_le_u64_e64 s14, v[26:27], v[28:29]
	v_cmp_lt_u64_e32 vcc_lo, v[26:27], v[28:29]
	v_cmpx_eq_u64_e64 v[26:27], v[28:29]
	s_cbranch_execz .LBB1605_852
; %bb.854:                              ;   in Loop: Header=BB1605_853 Depth=1
	s_add_nc_u64 s[22:23], s[22:23], -1
	v_add_nc_u64_e32 v[0:1], 8, v[0:1]
	s_cmp_eq_u64 s[22:23], 0
	v_add_nc_u64_e32 v[22:23], 8, v[22:23]
	s_cselect_b32 s15, -1, 0
	s_and_not1_b32 s33, s33, exec_lo
	s_and_b32 s15, s15, exec_lo
	s_and_not1_b32 s31, s31, exec_lo
	s_or_b32 s33, s33, s15
	s_branch .LBB1605_852
.LBB1605_855:
	s_or_b32 exec_lo, exec_lo, s29
	s_and_saveexec_b32 s14, s30
	s_delay_alu instid0(SALU_CYCLE_1)
	s_xor_b32 s14, exec_lo, s14
; %bb.856:
	v_dual_cndmask_b32 v1, v11, v13, s28 :: v_dual_cndmask_b32 v0, v10, v12, s28
	v_dual_cndmask_b32 v13, v13, v11, s28 :: v_dual_cndmask_b32 v12, v12, v10, s28
	s_delay_alu instid0(VALU_DEP_2)
	v_mov_b64_e32 v[10:11], v[0:1]
; %bb.857:
	s_or_b32 exec_lo, exec_lo, s14
.LBB1605_858:
	s_delay_alu instid0(SALU_CYCLE_1)
	s_or_b32 exec_lo, exec_lo, s27
	s_and_saveexec_b32 s27, s9
	s_cbranch_execz .LBB1605_867
; %bb.859:
	s_and_not1_b32 vcc_lo, exec_lo, s26
	s_cbranch_vccnz .LBB1605_867
; %bb.860:
	v_mul_u64_e32 v[0:1], s[16:17], v[8:9]
	v_mul_u64_e32 v[22:23], s[16:17], v[6:7]
	s_mov_b32 s29, 0
	s_mov_b64 s[22:23], s[16:17]
                                        ; implicit-def: $sgpr28
                                        ; implicit-def: $sgpr30
                                        ; implicit-def: $sgpr33
                                        ; implicit-def: $sgpr31
                                        ; implicit-def: $sgpr34
	s_delay_alu instid0(VALU_DEP_2) | instskip(NEXT) | instid1(VALU_DEP_2)
	v_lshl_add_u64 v[0:1], v[0:1], 3, s[18:19]
	v_lshl_add_u64 v[22:23], v[22:23], 3, s[18:19]
	s_branch .LBB1605_862
.LBB1605_861:                           ;   in Loop: Header=BB1605_862 Depth=1
	s_or_b32 exec_lo, exec_lo, s35
	s_and_b32 s14, s14, s34
	s_delay_alu instid0(SALU_CYCLE_1) | instskip(SKIP_1) | instid1(SALU_CYCLE_1)
	s_or_b32 s14, vcc_lo, s14
	s_and_b32 s15, exec_lo, s33
	s_or_b32 s29, s15, s29
	s_and_not1_b32 s15, s34, exec_lo
	s_and_b32 s14, s14, exec_lo
	s_and_not1_b32 s30, s30, exec_lo
	s_and_b32 s35, s31, exec_lo
	s_or_b32 s34, s15, s14
	s_and_not1_b32 s15, s28, exec_lo
	s_or_b32 s30, s30, s35
	s_or_b32 s28, s15, s14
	s_and_not1_b32 exec_lo, exec_lo, s29
	s_cbranch_execz .LBB1605_864
.LBB1605_862:                           ; =>This Inner Loop Header: Depth=1
	global_load_b64 v[26:27], v[0:1], off
	global_load_b64 v[28:29], v[22:23], off
	s_or_b32 s31, s31, exec_lo
	s_or_b32 s33, s33, exec_lo
	s_mov_b32 s35, exec_lo
	s_wait_loadcnt 0x0
	v_cmp_le_u64_e64 s14, v[26:27], v[28:29]
	v_cmp_lt_u64_e32 vcc_lo, v[26:27], v[28:29]
	v_cmpx_eq_u64_e64 v[26:27], v[28:29]
	s_cbranch_execz .LBB1605_861
; %bb.863:                              ;   in Loop: Header=BB1605_862 Depth=1
	s_add_nc_u64 s[22:23], s[22:23], -1
	v_add_nc_u64_e32 v[0:1], 8, v[0:1]
	s_cmp_eq_u64 s[22:23], 0
	v_add_nc_u64_e32 v[22:23], 8, v[22:23]
	s_cselect_b32 s15, -1, 0
	s_and_not1_b32 s33, s33, exec_lo
	s_and_b32 s15, s15, exec_lo
	s_and_not1_b32 s31, s31, exec_lo
	s_or_b32 s33, s33, s15
	s_branch .LBB1605_861
.LBB1605_864:
	s_or_b32 exec_lo, exec_lo, s29
	s_and_saveexec_b32 s14, s30
	s_delay_alu instid0(SALU_CYCLE_1)
	s_xor_b32 s14, exec_lo, s14
; %bb.865:
	v_dual_cndmask_b32 v1, v7, v9, s28 :: v_dual_cndmask_b32 v0, v6, v8, s28
	v_dual_cndmask_b32 v9, v9, v7, s28 :: v_dual_cndmask_b32 v8, v8, v6, s28
	s_delay_alu instid0(VALU_DEP_2)
	v_mov_b64_e32 v[6:7], v[0:1]
; %bb.866:
	s_or_b32 exec_lo, exec_lo, s14
.LBB1605_867:
	s_delay_alu instid0(SALU_CYCLE_1)
	s_or_b32 exec_lo, exec_lo, s27
	s_and_saveexec_b32 s27, s10
	s_cbranch_execz .LBB1605_876
; %bb.868:
	s_and_not1_b32 vcc_lo, exec_lo, s26
	s_cbranch_vccnz .LBB1605_876
; %bb.869:
	v_mul_u64_e32 v[0:1], s[16:17], v[4:5]
	v_mul_u64_e32 v[22:23], s[16:17], v[2:3]
	s_mov_b32 s29, 0
	s_mov_b64 s[22:23], s[16:17]
                                        ; implicit-def: $sgpr28
                                        ; implicit-def: $sgpr30
                                        ; implicit-def: $sgpr33
                                        ; implicit-def: $sgpr31
                                        ; implicit-def: $sgpr34
	s_delay_alu instid0(VALU_DEP_2) | instskip(NEXT) | instid1(VALU_DEP_2)
	v_lshl_add_u64 v[0:1], v[0:1], 3, s[18:19]
	v_lshl_add_u64 v[22:23], v[22:23], 3, s[18:19]
	s_branch .LBB1605_871
.LBB1605_870:                           ;   in Loop: Header=BB1605_871 Depth=1
	s_or_b32 exec_lo, exec_lo, s35
	s_and_b32 s14, s14, s34
	s_delay_alu instid0(SALU_CYCLE_1) | instskip(SKIP_1) | instid1(SALU_CYCLE_1)
	s_or_b32 s14, vcc_lo, s14
	s_and_b32 s15, exec_lo, s33
	s_or_b32 s29, s15, s29
	s_and_not1_b32 s15, s34, exec_lo
	s_and_b32 s14, s14, exec_lo
	s_and_not1_b32 s30, s30, exec_lo
	s_and_b32 s35, s31, exec_lo
	s_or_b32 s34, s15, s14
	s_and_not1_b32 s15, s28, exec_lo
	s_or_b32 s30, s30, s35
	s_or_b32 s28, s15, s14
	s_and_not1_b32 exec_lo, exec_lo, s29
	s_cbranch_execz .LBB1605_873
.LBB1605_871:                           ; =>This Inner Loop Header: Depth=1
	global_load_b64 v[26:27], v[0:1], off
	global_load_b64 v[28:29], v[22:23], off
	s_or_b32 s31, s31, exec_lo
	s_or_b32 s33, s33, exec_lo
	s_mov_b32 s35, exec_lo
	s_wait_loadcnt 0x0
	v_cmp_le_u64_e64 s14, v[26:27], v[28:29]
	v_cmp_lt_u64_e32 vcc_lo, v[26:27], v[28:29]
	v_cmpx_eq_u64_e64 v[26:27], v[28:29]
	s_cbranch_execz .LBB1605_870
; %bb.872:                              ;   in Loop: Header=BB1605_871 Depth=1
	s_add_nc_u64 s[22:23], s[22:23], -1
	v_add_nc_u64_e32 v[0:1], 8, v[0:1]
	s_cmp_eq_u64 s[22:23], 0
	v_add_nc_u64_e32 v[22:23], 8, v[22:23]
	s_cselect_b32 s15, -1, 0
	s_and_not1_b32 s33, s33, exec_lo
	s_and_b32 s15, s15, exec_lo
	s_and_not1_b32 s31, s31, exec_lo
	s_or_b32 s33, s33, s15
	s_branch .LBB1605_870
.LBB1605_873:
	s_or_b32 exec_lo, exec_lo, s29
	s_and_saveexec_b32 s14, s30
	s_delay_alu instid0(SALU_CYCLE_1)
	s_xor_b32 s14, exec_lo, s14
; %bb.874:
	v_dual_cndmask_b32 v1, v3, v5, s28 :: v_dual_cndmask_b32 v0, v2, v4, s28
	v_dual_cndmask_b32 v5, v5, v3, s28 :: v_dual_cndmask_b32 v4, v4, v2, s28
	s_delay_alu instid0(VALU_DEP_2)
	v_mov_b64_e32 v[2:3], v[0:1]
; %bb.875:
	s_or_b32 exec_lo, exec_lo, s14
.LBB1605_876:
	s_delay_alu instid0(SALU_CYCLE_1)
	s_or_b32 exec_lo, exec_lo, s27
	s_and_saveexec_b32 s27, s11
	s_cbranch_execz .LBB1605_885
; %bb.877:
	s_and_not1_b32 vcc_lo, exec_lo, s26
	s_cbranch_vccnz .LBB1605_885
; %bb.878:
	v_mul_u64_e32 v[0:1], s[16:17], v[10:11]
	v_mul_u64_e32 v[22:23], s[16:17], v[16:17]
	s_mov_b32 s29, 0
	s_mov_b64 s[22:23], s[16:17]
                                        ; implicit-def: $sgpr28
                                        ; implicit-def: $sgpr30
                                        ; implicit-def: $sgpr33
                                        ; implicit-def: $sgpr31
                                        ; implicit-def: $sgpr34
	s_delay_alu instid0(VALU_DEP_2) | instskip(NEXT) | instid1(VALU_DEP_2)
	v_lshl_add_u64 v[0:1], v[0:1], 3, s[18:19]
	v_lshl_add_u64 v[22:23], v[22:23], 3, s[18:19]
	s_branch .LBB1605_880
.LBB1605_879:                           ;   in Loop: Header=BB1605_880 Depth=1
	s_or_b32 exec_lo, exec_lo, s35
	s_and_b32 s14, s14, s34
	s_delay_alu instid0(SALU_CYCLE_1) | instskip(SKIP_1) | instid1(SALU_CYCLE_1)
	s_or_b32 s14, vcc_lo, s14
	s_and_b32 s15, exec_lo, s33
	s_or_b32 s29, s15, s29
	s_and_not1_b32 s15, s34, exec_lo
	s_and_b32 s14, s14, exec_lo
	s_and_not1_b32 s30, s30, exec_lo
	s_and_b32 s35, s31, exec_lo
	s_or_b32 s34, s15, s14
	s_and_not1_b32 s15, s28, exec_lo
	s_or_b32 s30, s30, s35
	s_or_b32 s28, s15, s14
	s_and_not1_b32 exec_lo, exec_lo, s29
	s_cbranch_execz .LBB1605_882
.LBB1605_880:                           ; =>This Inner Loop Header: Depth=1
	global_load_b64 v[26:27], v[0:1], off
	global_load_b64 v[28:29], v[22:23], off
	s_or_b32 s31, s31, exec_lo
	s_or_b32 s33, s33, exec_lo
	s_mov_b32 s35, exec_lo
	s_wait_loadcnt 0x0
	v_cmp_le_u64_e64 s14, v[26:27], v[28:29]
	v_cmp_lt_u64_e32 vcc_lo, v[26:27], v[28:29]
	v_cmpx_eq_u64_e64 v[26:27], v[28:29]
	s_cbranch_execz .LBB1605_879
; %bb.881:                              ;   in Loop: Header=BB1605_880 Depth=1
	s_add_nc_u64 s[22:23], s[22:23], -1
	v_add_nc_u64_e32 v[0:1], 8, v[0:1]
	s_cmp_eq_u64 s[22:23], 0
	v_add_nc_u64_e32 v[22:23], 8, v[22:23]
	s_cselect_b32 s15, -1, 0
	s_and_not1_b32 s33, s33, exec_lo
	s_and_b32 s15, s15, exec_lo
	s_and_not1_b32 s31, s31, exec_lo
	s_or_b32 s33, s33, s15
	s_branch .LBB1605_879
.LBB1605_882:
	s_or_b32 exec_lo, exec_lo, s29
	s_and_saveexec_b32 s14, s30
	s_delay_alu instid0(SALU_CYCLE_1)
	s_xor_b32 s14, exec_lo, s14
; %bb.883:
	v_dual_cndmask_b32 v1, v17, v11, s28 :: v_dual_cndmask_b32 v0, v16, v10, s28
	v_dual_cndmask_b32 v11, v11, v17, s28 :: v_dual_cndmask_b32 v10, v10, v16, s28
	s_delay_alu instid0(VALU_DEP_2)
	v_mov_b64_e32 v[16:17], v[0:1]
; %bb.884:
	s_or_b32 exec_lo, exec_lo, s14
.LBB1605_885:
	s_delay_alu instid0(SALU_CYCLE_1)
	s_or_b32 exec_lo, exec_lo, s27
	s_and_saveexec_b32 s27, s12
	s_cbranch_execz .LBB1605_894
; %bb.886:
	s_and_not1_b32 vcc_lo, exec_lo, s26
	s_cbranch_vccnz .LBB1605_894
; %bb.887:
	v_mul_u64_e32 v[0:1], s[16:17], v[6:7]
	v_mul_u64_e32 v[22:23], s[16:17], v[12:13]
	s_mov_b32 s29, 0
	s_mov_b64 s[22:23], s[16:17]
                                        ; implicit-def: $sgpr28
                                        ; implicit-def: $sgpr30
                                        ; implicit-def: $sgpr33
                                        ; implicit-def: $sgpr31
                                        ; implicit-def: $sgpr34
	s_delay_alu instid0(VALU_DEP_2) | instskip(NEXT) | instid1(VALU_DEP_2)
	v_lshl_add_u64 v[0:1], v[0:1], 3, s[18:19]
	v_lshl_add_u64 v[22:23], v[22:23], 3, s[18:19]
	s_branch .LBB1605_889
.LBB1605_888:                           ;   in Loop: Header=BB1605_889 Depth=1
	s_or_b32 exec_lo, exec_lo, s35
	s_and_b32 s14, s14, s34
	s_delay_alu instid0(SALU_CYCLE_1) | instskip(SKIP_1) | instid1(SALU_CYCLE_1)
	s_or_b32 s14, vcc_lo, s14
	s_and_b32 s15, exec_lo, s33
	s_or_b32 s29, s15, s29
	s_and_not1_b32 s15, s34, exec_lo
	s_and_b32 s14, s14, exec_lo
	s_and_not1_b32 s30, s30, exec_lo
	s_and_b32 s35, s31, exec_lo
	s_or_b32 s34, s15, s14
	s_and_not1_b32 s15, s28, exec_lo
	s_or_b32 s30, s30, s35
	s_or_b32 s28, s15, s14
	s_and_not1_b32 exec_lo, exec_lo, s29
	s_cbranch_execz .LBB1605_891
.LBB1605_889:                           ; =>This Inner Loop Header: Depth=1
	global_load_b64 v[26:27], v[0:1], off
	global_load_b64 v[28:29], v[22:23], off
	s_or_b32 s31, s31, exec_lo
	s_or_b32 s33, s33, exec_lo
	s_mov_b32 s35, exec_lo
	s_wait_loadcnt 0x0
	v_cmp_le_u64_e64 s14, v[26:27], v[28:29]
	v_cmp_lt_u64_e32 vcc_lo, v[26:27], v[28:29]
	v_cmpx_eq_u64_e64 v[26:27], v[28:29]
	s_cbranch_execz .LBB1605_888
; %bb.890:                              ;   in Loop: Header=BB1605_889 Depth=1
	s_add_nc_u64 s[22:23], s[22:23], -1
	v_add_nc_u64_e32 v[0:1], 8, v[0:1]
	s_cmp_eq_u64 s[22:23], 0
	v_add_nc_u64_e32 v[22:23], 8, v[22:23]
	s_cselect_b32 s15, -1, 0
	s_and_not1_b32 s33, s33, exec_lo
	s_and_b32 s15, s15, exec_lo
	s_and_not1_b32 s31, s31, exec_lo
	s_or_b32 s33, s33, s15
	s_branch .LBB1605_888
.LBB1605_891:
	s_or_b32 exec_lo, exec_lo, s29
	s_and_saveexec_b32 s14, s30
	s_delay_alu instid0(SALU_CYCLE_1)
	s_xor_b32 s14, exec_lo, s14
; %bb.892:
	v_dual_cndmask_b32 v1, v13, v7, s28 :: v_dual_cndmask_b32 v0, v12, v6, s28
	v_dual_cndmask_b32 v7, v7, v13, s28 :: v_dual_cndmask_b32 v6, v6, v12, s28
	s_delay_alu instid0(VALU_DEP_2)
	v_mov_b64_e32 v[12:13], v[0:1]
; %bb.893:
	s_or_b32 exec_lo, exec_lo, s14
.LBB1605_894:
	s_delay_alu instid0(SALU_CYCLE_1)
	s_or_b32 exec_lo, exec_lo, s27
	s_and_saveexec_b32 s27, s13
	s_cbranch_execz .LBB1605_903
; %bb.895:
	s_and_not1_b32 vcc_lo, exec_lo, s26
	s_cbranch_vccnz .LBB1605_903
; %bb.896:
	v_mul_u64_e32 v[0:1], s[16:17], v[2:3]
	v_mul_u64_e32 v[22:23], s[16:17], v[8:9]
	s_mov_b32 s29, 0
	s_mov_b64 s[22:23], s[16:17]
                                        ; implicit-def: $sgpr28
                                        ; implicit-def: $sgpr30
                                        ; implicit-def: $sgpr33
                                        ; implicit-def: $sgpr31
                                        ; implicit-def: $sgpr34
	s_delay_alu instid0(VALU_DEP_2) | instskip(NEXT) | instid1(VALU_DEP_2)
	v_lshl_add_u64 v[0:1], v[0:1], 3, s[18:19]
	v_lshl_add_u64 v[22:23], v[22:23], 3, s[18:19]
	s_branch .LBB1605_898
.LBB1605_897:                           ;   in Loop: Header=BB1605_898 Depth=1
	s_or_b32 exec_lo, exec_lo, s35
	s_and_b32 s14, s14, s34
	s_delay_alu instid0(SALU_CYCLE_1) | instskip(SKIP_1) | instid1(SALU_CYCLE_1)
	s_or_b32 s14, vcc_lo, s14
	s_and_b32 s15, exec_lo, s33
	s_or_b32 s29, s15, s29
	s_and_not1_b32 s15, s34, exec_lo
	s_and_b32 s14, s14, exec_lo
	s_and_not1_b32 s30, s30, exec_lo
	s_and_b32 s35, s31, exec_lo
	s_or_b32 s34, s15, s14
	s_and_not1_b32 s15, s28, exec_lo
	s_or_b32 s30, s30, s35
	s_or_b32 s28, s15, s14
	s_and_not1_b32 exec_lo, exec_lo, s29
	s_cbranch_execz .LBB1605_900
.LBB1605_898:                           ; =>This Inner Loop Header: Depth=1
	global_load_b64 v[26:27], v[0:1], off
	global_load_b64 v[28:29], v[22:23], off
	s_or_b32 s31, s31, exec_lo
	s_or_b32 s33, s33, exec_lo
	s_mov_b32 s35, exec_lo
	s_wait_loadcnt 0x0
	v_cmp_le_u64_e64 s14, v[26:27], v[28:29]
	v_cmp_lt_u64_e32 vcc_lo, v[26:27], v[28:29]
	v_cmpx_eq_u64_e64 v[26:27], v[28:29]
	s_cbranch_execz .LBB1605_897
; %bb.899:                              ;   in Loop: Header=BB1605_898 Depth=1
	s_add_nc_u64 s[22:23], s[22:23], -1
	v_add_nc_u64_e32 v[0:1], 8, v[0:1]
	s_cmp_eq_u64 s[22:23], 0
	v_add_nc_u64_e32 v[22:23], 8, v[22:23]
	s_cselect_b32 s15, -1, 0
	s_and_not1_b32 s33, s33, exec_lo
	s_and_b32 s15, s15, exec_lo
	s_and_not1_b32 s31, s31, exec_lo
	s_or_b32 s33, s33, s15
	s_branch .LBB1605_897
.LBB1605_900:
	s_or_b32 exec_lo, exec_lo, s29
	s_and_saveexec_b32 s14, s30
	s_delay_alu instid0(SALU_CYCLE_1)
	s_xor_b32 s14, exec_lo, s14
; %bb.901:
	v_dual_cndmask_b32 v1, v9, v3, s28 :: v_dual_cndmask_b32 v0, v8, v2, s28
	v_dual_cndmask_b32 v3, v3, v9, s28 :: v_dual_cndmask_b32 v2, v2, v8, s28
	s_delay_alu instid0(VALU_DEP_2)
	v_mov_b64_e32 v[8:9], v[0:1]
; %bb.902:
	s_or_b32 exec_lo, exec_lo, s14
.LBB1605_903:
	s_delay_alu instid0(SALU_CYCLE_1)
	s_or_b32 exec_lo, exec_lo, s27
	s_and_saveexec_b32 s15, s7
	s_cbranch_execz .LBB1605_912
; %bb.904:
	s_and_not1_b32 vcc_lo, exec_lo, s26
	s_cbranch_vccnz .LBB1605_912
; %bb.905:
	v_mul_u64_e32 v[0:1], s[16:17], v[16:17]
	v_mul_u64_e32 v[22:23], s[16:17], v[14:15]
	s_mov_b32 s28, 0
	s_mov_b64 s[22:23], s[16:17]
                                        ; implicit-def: $sgpr27
                                        ; implicit-def: $sgpr29
                                        ; implicit-def: $sgpr31
                                        ; implicit-def: $sgpr30
                                        ; implicit-def: $sgpr33
	s_delay_alu instid0(VALU_DEP_2) | instskip(NEXT) | instid1(VALU_DEP_2)
	v_lshl_add_u64 v[0:1], v[0:1], 3, s[18:19]
	v_lshl_add_u64 v[22:23], v[22:23], 3, s[18:19]
	s_branch .LBB1605_907
.LBB1605_906:                           ;   in Loop: Header=BB1605_907 Depth=1
	s_or_b32 exec_lo, exec_lo, s34
	s_and_b32 s7, s7, s33
	s_delay_alu instid0(SALU_CYCLE_1) | instskip(SKIP_1) | instid1(SALU_CYCLE_1)
	s_or_b32 s7, vcc_lo, s7
	s_and_b32 s14, exec_lo, s31
	s_or_b32 s28, s14, s28
	s_and_not1_b32 s14, s33, exec_lo
	s_and_b32 s7, s7, exec_lo
	s_and_not1_b32 s29, s29, exec_lo
	s_and_b32 s34, s30, exec_lo
	s_or_b32 s33, s14, s7
	s_and_not1_b32 s14, s27, exec_lo
	s_or_b32 s29, s29, s34
	s_or_b32 s27, s14, s7
	s_and_not1_b32 exec_lo, exec_lo, s28
	s_cbranch_execz .LBB1605_909
.LBB1605_907:                           ; =>This Inner Loop Header: Depth=1
	global_load_b64 v[26:27], v[0:1], off
	global_load_b64 v[28:29], v[22:23], off
	s_or_b32 s30, s30, exec_lo
	s_or_b32 s31, s31, exec_lo
	s_mov_b32 s34, exec_lo
	s_wait_loadcnt 0x0
	v_cmp_le_u64_e64 s7, v[26:27], v[28:29]
	v_cmp_lt_u64_e32 vcc_lo, v[26:27], v[28:29]
	v_cmpx_eq_u64_e64 v[26:27], v[28:29]
	s_cbranch_execz .LBB1605_906
; %bb.908:                              ;   in Loop: Header=BB1605_907 Depth=1
	s_add_nc_u64 s[22:23], s[22:23], -1
	v_add_nc_u64_e32 v[0:1], 8, v[0:1]
	s_cmp_eq_u64 s[22:23], 0
	v_add_nc_u64_e32 v[22:23], 8, v[22:23]
	s_cselect_b32 s14, -1, 0
	s_and_not1_b32 s31, s31, exec_lo
	s_and_b32 s14, s14, exec_lo
	s_and_not1_b32 s30, s30, exec_lo
	s_or_b32 s31, s31, s14
	s_branch .LBB1605_906
.LBB1605_909:
	s_or_b32 exec_lo, exec_lo, s28
	s_and_saveexec_b32 s7, s29
	s_delay_alu instid0(SALU_CYCLE_1)
	s_xor_b32 s7, exec_lo, s7
; %bb.910:
	v_dual_cndmask_b32 v1, v17, v15, s27 :: v_dual_cndmask_b32 v0, v16, v14, s27
	v_dual_cndmask_b32 v15, v15, v17, s27 :: v_dual_cndmask_b32 v14, v14, v16, s27
	s_delay_alu instid0(VALU_DEP_2)
	v_mov_b64_e32 v[16:17], v[0:1]
; %bb.911:
	s_or_b32 exec_lo, exec_lo, s7
.LBB1605_912:
	s_delay_alu instid0(SALU_CYCLE_1)
	s_or_b32 exec_lo, exec_lo, s15
	s_and_saveexec_b32 s22, s8
	s_cbranch_execz .LBB1605_921
; %bb.913:
	s_and_not1_b32 vcc_lo, exec_lo, s26
	s_cbranch_vccnz .LBB1605_921
; %bb.914:
	v_mul_u64_e32 v[0:1], s[16:17], v[12:13]
	v_mul_u64_e32 v[22:23], s[16:17], v[10:11]
	s_mov_b32 s27, 0
	s_mov_b64 s[14:15], s[16:17]
                                        ; implicit-def: $sgpr23
                                        ; implicit-def: $sgpr28
                                        ; implicit-def: $sgpr30
                                        ; implicit-def: $sgpr29
                                        ; implicit-def: $sgpr31
	s_delay_alu instid0(VALU_DEP_2) | instskip(NEXT) | instid1(VALU_DEP_2)
	v_lshl_add_u64 v[0:1], v[0:1], 3, s[18:19]
	v_lshl_add_u64 v[22:23], v[22:23], 3, s[18:19]
	s_branch .LBB1605_916
.LBB1605_915:                           ;   in Loop: Header=BB1605_916 Depth=1
	s_or_b32 exec_lo, exec_lo, s33
	s_and_b32 s7, s7, s31
	s_delay_alu instid0(SALU_CYCLE_1) | instskip(SKIP_1) | instid1(SALU_CYCLE_1)
	s_or_b32 s7, vcc_lo, s7
	s_and_b32 s8, exec_lo, s30
	s_or_b32 s27, s8, s27
	s_and_not1_b32 s8, s31, exec_lo
	s_and_b32 s7, s7, exec_lo
	s_and_not1_b32 s28, s28, exec_lo
	s_and_b32 s33, s29, exec_lo
	s_or_b32 s31, s8, s7
	s_and_not1_b32 s8, s23, exec_lo
	s_or_b32 s28, s28, s33
	s_or_b32 s23, s8, s7
	s_and_not1_b32 exec_lo, exec_lo, s27
	s_cbranch_execz .LBB1605_918
.LBB1605_916:                           ; =>This Inner Loop Header: Depth=1
	global_load_b64 v[26:27], v[0:1], off
	global_load_b64 v[28:29], v[22:23], off
	s_or_b32 s29, s29, exec_lo
	s_or_b32 s30, s30, exec_lo
	s_mov_b32 s33, exec_lo
	s_wait_loadcnt 0x0
	v_cmp_le_u64_e64 s7, v[26:27], v[28:29]
	v_cmp_lt_u64_e32 vcc_lo, v[26:27], v[28:29]
	v_cmpx_eq_u64_e64 v[26:27], v[28:29]
	s_cbranch_execz .LBB1605_915
; %bb.917:                              ;   in Loop: Header=BB1605_916 Depth=1
	s_add_nc_u64 s[14:15], s[14:15], -1
	v_add_nc_u64_e32 v[0:1], 8, v[0:1]
	s_cmp_eq_u64 s[14:15], 0
	v_add_nc_u64_e32 v[22:23], 8, v[22:23]
	s_cselect_b32 s8, -1, 0
	s_and_not1_b32 s30, s30, exec_lo
	s_and_b32 s8, s8, exec_lo
	s_and_not1_b32 s29, s29, exec_lo
	s_or_b32 s30, s30, s8
	s_branch .LBB1605_915
.LBB1605_918:
	s_or_b32 exec_lo, exec_lo, s27
	s_and_saveexec_b32 s7, s28
	s_delay_alu instid0(SALU_CYCLE_1)
	s_xor_b32 s7, exec_lo, s7
; %bb.919:
	v_dual_cndmask_b32 v1, v11, v13, s23 :: v_dual_cndmask_b32 v0, v10, v12, s23
	v_dual_cndmask_b32 v13, v13, v11, s23 :: v_dual_cndmask_b32 v12, v12, v10, s23
	s_delay_alu instid0(VALU_DEP_2)
	v_mov_b64_e32 v[10:11], v[0:1]
; %bb.920:
	s_or_b32 exec_lo, exec_lo, s7
.LBB1605_921:
	s_delay_alu instid0(SALU_CYCLE_1)
	s_or_b32 exec_lo, exec_lo, s22
	s_and_saveexec_b32 s22, s9
	s_cbranch_execz .LBB1605_930
; %bb.922:
	s_and_not1_b32 vcc_lo, exec_lo, s26
	s_cbranch_vccnz .LBB1605_930
; %bb.923:
	v_mul_u64_e32 v[0:1], s[16:17], v[8:9]
	v_mul_u64_e32 v[22:23], s[16:17], v[6:7]
	s_mov_b32 s23, 0
	s_mov_b64 s[14:15], s[16:17]
                                        ; implicit-def: $sgpr9
                                        ; implicit-def: $sgpr27
                                        ; implicit-def: $sgpr29
                                        ; implicit-def: $sgpr28
                                        ; implicit-def: $sgpr30
	s_delay_alu instid0(VALU_DEP_2) | instskip(NEXT) | instid1(VALU_DEP_2)
	v_lshl_add_u64 v[0:1], v[0:1], 3, s[18:19]
	v_lshl_add_u64 v[22:23], v[22:23], 3, s[18:19]
	s_branch .LBB1605_925
.LBB1605_924:                           ;   in Loop: Header=BB1605_925 Depth=1
	s_or_b32 exec_lo, exec_lo, s31
	s_and_b32 s7, s7, s30
	s_delay_alu instid0(SALU_CYCLE_1) | instskip(SKIP_1) | instid1(SALU_CYCLE_1)
	s_or_b32 s7, vcc_lo, s7
	s_and_b32 s8, exec_lo, s29
	s_or_b32 s23, s8, s23
	s_and_not1_b32 s8, s30, exec_lo
	s_and_b32 s7, s7, exec_lo
	s_and_not1_b32 s27, s27, exec_lo
	s_and_b32 s31, s28, exec_lo
	s_or_b32 s30, s8, s7
	s_and_not1_b32 s8, s9, exec_lo
	s_or_b32 s27, s27, s31
	s_or_b32 s9, s8, s7
	s_and_not1_b32 exec_lo, exec_lo, s23
	s_cbranch_execz .LBB1605_927
.LBB1605_925:                           ; =>This Inner Loop Header: Depth=1
	global_load_b64 v[26:27], v[0:1], off
	global_load_b64 v[28:29], v[22:23], off
	s_or_b32 s28, s28, exec_lo
	s_or_b32 s29, s29, exec_lo
	s_mov_b32 s31, exec_lo
	s_wait_loadcnt 0x0
	v_cmp_le_u64_e64 s7, v[26:27], v[28:29]
	v_cmp_lt_u64_e32 vcc_lo, v[26:27], v[28:29]
	v_cmpx_eq_u64_e64 v[26:27], v[28:29]
	s_cbranch_execz .LBB1605_924
; %bb.926:                              ;   in Loop: Header=BB1605_925 Depth=1
	s_add_nc_u64 s[14:15], s[14:15], -1
	v_add_nc_u64_e32 v[0:1], 8, v[0:1]
	s_cmp_eq_u64 s[14:15], 0
	v_add_nc_u64_e32 v[22:23], 8, v[22:23]
	s_cselect_b32 s8, -1, 0
	s_and_not1_b32 s29, s29, exec_lo
	s_and_b32 s8, s8, exec_lo
	s_and_not1_b32 s28, s28, exec_lo
	s_or_b32 s29, s29, s8
	s_branch .LBB1605_924
.LBB1605_927:
	s_or_b32 exec_lo, exec_lo, s23
	s_and_saveexec_b32 s7, s27
	s_delay_alu instid0(SALU_CYCLE_1)
	s_xor_b32 s7, exec_lo, s7
; %bb.928:
	v_dual_cndmask_b32 v1, v7, v9, s9 :: v_dual_cndmask_b32 v0, v6, v8, s9
	v_dual_cndmask_b32 v9, v9, v7, s9 :: v_dual_cndmask_b32 v8, v8, v6, s9
	s_delay_alu instid0(VALU_DEP_2)
	v_mov_b64_e32 v[6:7], v[0:1]
; %bb.929:
	s_or_b32 exec_lo, exec_lo, s7
.LBB1605_930:
	s_delay_alu instid0(SALU_CYCLE_1)
	s_or_b32 exec_lo, exec_lo, s22
	s_and_saveexec_b32 s9, s10
	s_cbranch_execz .LBB1605_939
; %bb.931:
	s_and_not1_b32 vcc_lo, exec_lo, s26
	s_cbranch_vccnz .LBB1605_939
; %bb.932:
	v_mul_u64_e32 v[0:1], s[16:17], v[4:5]
	v_mul_u64_e32 v[22:23], s[16:17], v[2:3]
	s_mov_b32 s22, 0
	s_mov_b64 s[14:15], s[16:17]
                                        ; implicit-def: $sgpr10
                                        ; implicit-def: $sgpr23
                                        ; implicit-def: $sgpr28
                                        ; implicit-def: $sgpr27
                                        ; implicit-def: $sgpr29
	s_delay_alu instid0(VALU_DEP_2) | instskip(NEXT) | instid1(VALU_DEP_2)
	v_lshl_add_u64 v[0:1], v[0:1], 3, s[18:19]
	v_lshl_add_u64 v[22:23], v[22:23], 3, s[18:19]
	s_branch .LBB1605_934
.LBB1605_933:                           ;   in Loop: Header=BB1605_934 Depth=1
	s_or_b32 exec_lo, exec_lo, s30
	s_and_b32 s7, s7, s29
	s_delay_alu instid0(SALU_CYCLE_1) | instskip(SKIP_1) | instid1(SALU_CYCLE_1)
	s_or_b32 s7, vcc_lo, s7
	s_and_b32 s8, exec_lo, s28
	s_or_b32 s22, s8, s22
	s_and_not1_b32 s8, s29, exec_lo
	s_and_b32 s7, s7, exec_lo
	s_and_not1_b32 s23, s23, exec_lo
	s_and_b32 s30, s27, exec_lo
	s_or_b32 s29, s8, s7
	s_and_not1_b32 s8, s10, exec_lo
	s_or_b32 s23, s23, s30
	s_or_b32 s10, s8, s7
	s_and_not1_b32 exec_lo, exec_lo, s22
	s_cbranch_execz .LBB1605_936
.LBB1605_934:                           ; =>This Inner Loop Header: Depth=1
	global_load_b64 v[26:27], v[0:1], off
	global_load_b64 v[28:29], v[22:23], off
	s_or_b32 s27, s27, exec_lo
	s_or_b32 s28, s28, exec_lo
	s_mov_b32 s30, exec_lo
	s_wait_loadcnt 0x0
	v_cmp_le_u64_e64 s7, v[26:27], v[28:29]
	v_cmp_lt_u64_e32 vcc_lo, v[26:27], v[28:29]
	v_cmpx_eq_u64_e64 v[26:27], v[28:29]
	s_cbranch_execz .LBB1605_933
; %bb.935:                              ;   in Loop: Header=BB1605_934 Depth=1
	s_add_nc_u64 s[14:15], s[14:15], -1
	v_add_nc_u64_e32 v[0:1], 8, v[0:1]
	s_cmp_eq_u64 s[14:15], 0
	v_add_nc_u64_e32 v[22:23], 8, v[22:23]
	s_cselect_b32 s8, -1, 0
	s_and_not1_b32 s28, s28, exec_lo
	s_and_b32 s8, s8, exec_lo
	s_and_not1_b32 s27, s27, exec_lo
	s_or_b32 s28, s28, s8
	s_branch .LBB1605_933
.LBB1605_936:
	s_or_b32 exec_lo, exec_lo, s22
	s_and_saveexec_b32 s7, s23
	s_delay_alu instid0(SALU_CYCLE_1)
	s_xor_b32 s7, exec_lo, s7
; %bb.937:
	v_dual_cndmask_b32 v1, v3, v5, s10 :: v_dual_cndmask_b32 v0, v2, v4, s10
	v_dual_cndmask_b32 v5, v5, v3, s10 :: v_dual_cndmask_b32 v4, v4, v2, s10
	s_delay_alu instid0(VALU_DEP_2)
	v_mov_b64_e32 v[2:3], v[0:1]
; %bb.938:
	s_or_b32 exec_lo, exec_lo, s7
.LBB1605_939:
	s_delay_alu instid0(SALU_CYCLE_1)
	s_or_b32 exec_lo, exec_lo, s9
	s_and_saveexec_b32 s9, s11
	s_cbranch_execz .LBB1605_948
; %bb.940:
	s_and_not1_b32 vcc_lo, exec_lo, s26
	s_cbranch_vccnz .LBB1605_948
; %bb.941:
	v_mul_u64_e32 v[0:1], s[16:17], v[10:11]
	v_mul_u64_e32 v[22:23], s[16:17], v[16:17]
	s_mov_b32 s15, 0
	s_mov_b64 s[10:11], s[16:17]
                                        ; implicit-def: $sgpr14
                                        ; implicit-def: $sgpr22
                                        ; implicit-def: $sgpr27
                                        ; implicit-def: $sgpr23
                                        ; implicit-def: $sgpr28
	s_delay_alu instid0(VALU_DEP_2) | instskip(NEXT) | instid1(VALU_DEP_2)
	v_lshl_add_u64 v[0:1], v[0:1], 3, s[18:19]
	v_lshl_add_u64 v[22:23], v[22:23], 3, s[18:19]
	s_branch .LBB1605_943
.LBB1605_942:                           ;   in Loop: Header=BB1605_943 Depth=1
	s_or_b32 exec_lo, exec_lo, s29
	s_and_b32 s7, s7, s28
	s_delay_alu instid0(SALU_CYCLE_1) | instskip(SKIP_1) | instid1(SALU_CYCLE_1)
	s_or_b32 s7, vcc_lo, s7
	s_and_b32 s8, exec_lo, s27
	s_or_b32 s15, s8, s15
	s_and_not1_b32 s8, s28, exec_lo
	s_and_b32 s7, s7, exec_lo
	s_and_not1_b32 s22, s22, exec_lo
	s_and_b32 s29, s23, exec_lo
	s_or_b32 s28, s8, s7
	s_and_not1_b32 s8, s14, exec_lo
	s_or_b32 s22, s22, s29
	s_or_b32 s14, s8, s7
	s_and_not1_b32 exec_lo, exec_lo, s15
	s_cbranch_execz .LBB1605_945
.LBB1605_943:                           ; =>This Inner Loop Header: Depth=1
	global_load_b64 v[26:27], v[0:1], off
	global_load_b64 v[28:29], v[22:23], off
	s_or_b32 s23, s23, exec_lo
	s_or_b32 s27, s27, exec_lo
	s_mov_b32 s29, exec_lo
	s_wait_loadcnt 0x0
	v_cmp_le_u64_e64 s7, v[26:27], v[28:29]
	v_cmp_lt_u64_e32 vcc_lo, v[26:27], v[28:29]
	v_cmpx_eq_u64_e64 v[26:27], v[28:29]
	s_cbranch_execz .LBB1605_942
; %bb.944:                              ;   in Loop: Header=BB1605_943 Depth=1
	s_add_nc_u64 s[10:11], s[10:11], -1
	v_add_nc_u64_e32 v[0:1], 8, v[0:1]
	s_cmp_eq_u64 s[10:11], 0
	v_add_nc_u64_e32 v[22:23], 8, v[22:23]
	s_cselect_b32 s8, -1, 0
	s_and_not1_b32 s27, s27, exec_lo
	s_and_b32 s8, s8, exec_lo
	s_and_not1_b32 s23, s23, exec_lo
	s_or_b32 s27, s27, s8
	s_branch .LBB1605_942
.LBB1605_945:
	s_or_b32 exec_lo, exec_lo, s15
	s_and_saveexec_b32 s7, s22
	s_delay_alu instid0(SALU_CYCLE_1)
	s_xor_b32 s7, exec_lo, s7
; %bb.946:
	v_dual_cndmask_b32 v1, v17, v11, s14 :: v_dual_cndmask_b32 v0, v16, v10, s14
	v_dual_cndmask_b32 v11, v11, v17, s14 :: v_dual_cndmask_b32 v10, v10, v16, s14
	s_delay_alu instid0(VALU_DEP_2)
	v_mov_b64_e32 v[16:17], v[0:1]
; %bb.947:
	s_or_b32 exec_lo, exec_lo, s7
.LBB1605_948:
	s_delay_alu instid0(SALU_CYCLE_1)
	s_or_b32 exec_lo, exec_lo, s9
	s_and_saveexec_b32 s9, s12
	s_cbranch_execz .LBB1605_957
; %bb.949:
	s_and_not1_b32 vcc_lo, exec_lo, s26
	s_cbranch_vccnz .LBB1605_957
; %bb.950:
	v_mul_u64_e32 v[0:1], s[16:17], v[6:7]
	v_mul_u64_e32 v[22:23], s[16:17], v[12:13]
	s_mov_b32 s14, 0
	s_mov_b64 s[10:11], s[16:17]
                                        ; implicit-def: $sgpr12
                                        ; implicit-def: $sgpr15
                                        ; implicit-def: $sgpr23
                                        ; implicit-def: $sgpr22
                                        ; implicit-def: $sgpr27
	s_delay_alu instid0(VALU_DEP_2) | instskip(NEXT) | instid1(VALU_DEP_2)
	v_lshl_add_u64 v[0:1], v[0:1], 3, s[18:19]
	v_lshl_add_u64 v[22:23], v[22:23], 3, s[18:19]
	s_branch .LBB1605_952
.LBB1605_951:                           ;   in Loop: Header=BB1605_952 Depth=1
	s_or_b32 exec_lo, exec_lo, s28
	s_and_b32 s7, s7, s27
	s_delay_alu instid0(SALU_CYCLE_1) | instskip(SKIP_1) | instid1(SALU_CYCLE_1)
	s_or_b32 s7, vcc_lo, s7
	s_and_b32 s8, exec_lo, s23
	s_or_b32 s14, s8, s14
	s_and_not1_b32 s8, s27, exec_lo
	s_and_b32 s7, s7, exec_lo
	s_and_not1_b32 s15, s15, exec_lo
	s_and_b32 s28, s22, exec_lo
	s_or_b32 s27, s8, s7
	s_and_not1_b32 s8, s12, exec_lo
	s_or_b32 s15, s15, s28
	s_or_b32 s12, s8, s7
	s_and_not1_b32 exec_lo, exec_lo, s14
	s_cbranch_execz .LBB1605_954
.LBB1605_952:                           ; =>This Inner Loop Header: Depth=1
	global_load_b64 v[26:27], v[0:1], off
	global_load_b64 v[28:29], v[22:23], off
	s_or_b32 s22, s22, exec_lo
	s_or_b32 s23, s23, exec_lo
	s_mov_b32 s28, exec_lo
	s_wait_loadcnt 0x0
	v_cmp_le_u64_e64 s7, v[26:27], v[28:29]
	v_cmp_lt_u64_e32 vcc_lo, v[26:27], v[28:29]
	v_cmpx_eq_u64_e64 v[26:27], v[28:29]
	s_cbranch_execz .LBB1605_951
; %bb.953:                              ;   in Loop: Header=BB1605_952 Depth=1
	s_add_nc_u64 s[10:11], s[10:11], -1
	v_add_nc_u64_e32 v[0:1], 8, v[0:1]
	s_cmp_eq_u64 s[10:11], 0
	v_add_nc_u64_e32 v[22:23], 8, v[22:23]
	s_cselect_b32 s8, -1, 0
	s_and_not1_b32 s23, s23, exec_lo
	s_and_b32 s8, s8, exec_lo
	s_and_not1_b32 s22, s22, exec_lo
	s_or_b32 s23, s23, s8
	s_branch .LBB1605_951
.LBB1605_954:
	s_or_b32 exec_lo, exec_lo, s14
	s_and_saveexec_b32 s7, s15
	s_delay_alu instid0(SALU_CYCLE_1)
	s_xor_b32 s7, exec_lo, s7
; %bb.955:
	v_dual_cndmask_b32 v1, v13, v7, s12 :: v_dual_cndmask_b32 v0, v12, v6, s12
	v_dual_cndmask_b32 v7, v7, v13, s12 :: v_dual_cndmask_b32 v6, v6, v12, s12
	s_delay_alu instid0(VALU_DEP_2)
	v_mov_b64_e32 v[12:13], v[0:1]
; %bb.956:
	s_or_b32 exec_lo, exec_lo, s7
.LBB1605_957:
	s_delay_alu instid0(SALU_CYCLE_1)
	s_or_b32 exec_lo, exec_lo, s9
	s_and_saveexec_b32 s9, s13
	s_cbranch_execz .LBB1605_966
; %bb.958:
	s_and_not1_b32 vcc_lo, exec_lo, s26
	s_cbranch_vccnz .LBB1605_966
; %bb.959:
	v_mul_u64_e32 v[0:1], s[16:17], v[2:3]
	v_mul_u64_e32 v[22:23], s[16:17], v[8:9]
	s_mov_b32 s13, 0
	s_mov_b64 s[10:11], s[16:17]
                                        ; implicit-def: $sgpr12
                                        ; implicit-def: $sgpr14
                                        ; implicit-def: $sgpr22
                                        ; implicit-def: $sgpr15
                                        ; implicit-def: $sgpr23
	s_delay_alu instid0(VALU_DEP_2) | instskip(NEXT) | instid1(VALU_DEP_2)
	v_lshl_add_u64 v[0:1], v[0:1], 3, s[18:19]
	v_lshl_add_u64 v[22:23], v[22:23], 3, s[18:19]
	s_branch .LBB1605_961
.LBB1605_960:                           ;   in Loop: Header=BB1605_961 Depth=1
	s_or_b32 exec_lo, exec_lo, s27
	s_and_b32 s7, s7, s23
	s_delay_alu instid0(SALU_CYCLE_1) | instskip(SKIP_1) | instid1(SALU_CYCLE_1)
	s_or_b32 s7, vcc_lo, s7
	s_and_b32 s8, exec_lo, s22
	s_or_b32 s13, s8, s13
	s_and_not1_b32 s8, s23, exec_lo
	s_and_b32 s7, s7, exec_lo
	s_and_not1_b32 s14, s14, exec_lo
	s_and_b32 s27, s15, exec_lo
	s_or_b32 s23, s8, s7
	s_and_not1_b32 s8, s12, exec_lo
	s_or_b32 s14, s14, s27
	s_or_b32 s12, s8, s7
	s_and_not1_b32 exec_lo, exec_lo, s13
	s_cbranch_execz .LBB1605_963
.LBB1605_961:                           ; =>This Inner Loop Header: Depth=1
	global_load_b64 v[26:27], v[0:1], off
	global_load_b64 v[28:29], v[22:23], off
	s_or_b32 s15, s15, exec_lo
	s_or_b32 s22, s22, exec_lo
	s_mov_b32 s27, exec_lo
	s_wait_loadcnt 0x0
	v_cmp_le_u64_e64 s7, v[26:27], v[28:29]
	v_cmp_lt_u64_e32 vcc_lo, v[26:27], v[28:29]
	v_cmpx_eq_u64_e64 v[26:27], v[28:29]
	s_cbranch_execz .LBB1605_960
; %bb.962:                              ;   in Loop: Header=BB1605_961 Depth=1
	s_add_nc_u64 s[10:11], s[10:11], -1
	v_add_nc_u64_e32 v[0:1], 8, v[0:1]
	s_cmp_eq_u64 s[10:11], 0
	v_add_nc_u64_e32 v[22:23], 8, v[22:23]
	s_cselect_b32 s8, -1, 0
	s_and_not1_b32 s22, s22, exec_lo
	s_and_b32 s8, s8, exec_lo
	s_and_not1_b32 s15, s15, exec_lo
	s_or_b32 s22, s22, s8
	s_branch .LBB1605_960
.LBB1605_963:
	s_or_b32 exec_lo, exec_lo, s13
	s_and_saveexec_b32 s7, s14
	s_delay_alu instid0(SALU_CYCLE_1)
	s_xor_b32 s7, exec_lo, s7
; %bb.964:
	v_dual_cndmask_b32 v1, v9, v3, s12 :: v_dual_cndmask_b32 v0, v8, v2, s12
	v_dual_cndmask_b32 v3, v3, v9, s12 :: v_dual_cndmask_b32 v2, v2, v8, s12
	s_delay_alu instid0(VALU_DEP_2)
	v_mov_b64_e32 v[8:9], v[0:1]
; %bb.965:
	s_or_b32 exec_lo, exec_lo, s7
.LBB1605_966:
	s_delay_alu instid0(SALU_CYCLE_1) | instskip(SKIP_4) | instid1(VALU_DEP_1)
	s_or_b32 exec_lo, exec_lo, s9
	v_mbcnt_lo_u32_b32 v0, -1, 0
	v_and_b32_e32 v1, 0xffffff00, v24
	s_mov_b32 s12, 0
	s_mov_b32 s13, exec_lo
	v_dual_lshlrev_b32 v45, 3, v0 :: v_dual_lshlrev_b32 v43, 3, v1
	v_sub_nc_u32_e64 v44, s25, v1 clamp
	s_delay_alu instid0(VALU_DEP_2) | instskip(SKIP_1) | instid1(VALU_DEP_4)
	v_or_b32_e32 v22, 8, v45
	v_and_b32_e32 v26, 0xf0, v45
	v_lshl_or_b32 v46, v0, 6, v43
	ds_store_b128 v46, v[14:17]
	ds_store_b128 v46, v[10:13] offset:16
	v_min_u32_e32 v47, v44, v22
	v_and_b32_e32 v22, 8, v45
	v_lshl_or_b32 v25, v26, 3, v43
	ds_store_b128 v46, v[6:9] offset:32
	ds_store_b128 v46, v[2:5] offset:48
	v_add_min_u32_e64 v48, v47, 8, v44
	v_min_u32_e32 v27, v44, v22
	v_sub_nc_u32_e32 v22, v47, v26
	; wave barrier
	s_delay_alu instid0(VALU_DEP_3) | instskip(NEXT) | instid1(VALU_DEP_2)
	v_sub_nc_u32_e32 v1, v48, v47
	v_min_u32_e32 v28, v27, v22
	s_delay_alu instid0(VALU_DEP_2) | instskip(NEXT) | instid1(VALU_DEP_1)
	v_sub_nc_u32_e64 v24, v27, v1 clamp
	v_cmpx_lt_u32_e64 v24, v28
	s_cbranch_execz .LBB1605_977
; %bb.967:
	v_lshlrev_b32_e32 v0, 3, v47
	v_lshlrev_b32_e32 v1, 3, v27
	s_lshl_b64 s[8:9], s[16:17], 3
	s_delay_alu instid0(VALU_DEP_1)
	v_add3_u32 v29, v43, v0, v1
	s_branch .LBB1605_970
.LBB1605_968:                           ;   in Loop: Header=BB1605_970 Depth=1
	s_or_b32 exec_lo, exec_lo, s15
.LBB1605_969:                           ;   in Loop: Header=BB1605_970 Depth=1
	s_delay_alu instid0(VALU_DEP_1) | instskip(NEXT) | instid1(VALU_DEP_1)
	v_dual_add_nc_u32 v0, 1, v30 :: v_dual_cndmask_b32 v28, v28, v30, s14
	v_cndmask_b32_e64 v24, v0, v24, s14
	s_delay_alu instid0(VALU_DEP_1) | instskip(SKIP_1) | instid1(SALU_CYCLE_1)
	v_cmp_ge_u32_e32 vcc_lo, v24, v28
	s_or_b32 s12, vcc_lo, s12
	s_and_not1_b32 exec_lo, exec_lo, s12
	s_cbranch_execz .LBB1605_976
.LBB1605_970:                           ; =>This Loop Header: Depth=1
                                        ;     Child Loop BB1605_973 Depth 2
	v_add_nc_u32_e32 v0, v28, v24
	s_and_not1_b32 vcc_lo, exec_lo, s26
	s_delay_alu instid0(VALU_DEP_1)
	v_lshrrev_b32_e32 v30, 1, v0
	s_cbranch_vccnz .LBB1605_975
; %bb.971:                              ;   in Loop: Header=BB1605_970 Depth=1
	s_delay_alu instid0(VALU_DEP_1) | instskip(SKIP_3) | instid1(VALU_DEP_2)
	v_not_b32_e32 v0, v30
	v_lshl_add_u32 v1, v30, 3, v25
	s_mov_b32 s15, 0
	s_mov_b64 s[10:11], s[16:17]
                                        ; implicit-def: $sgpr14
                                        ; implicit-def: $sgpr22
                                        ; implicit-def: $sgpr23
                                        ; implicit-def: $sgpr27
	v_lshl_add_u32 v0, v0, 3, v29
	ds_load_b64 v[32:33], v0
	ds_load_b64 v[34:35], v1
	s_wait_dscnt 0x1
	v_mad_nc_u64_u32 v[0:1], s8, v32, s[18:19]
	s_wait_dscnt 0x0
	v_mad_nc_u64_u32 v[22:23], s8, v34, s[18:19]
	s_delay_alu instid0(VALU_DEP_2) | instskip(NEXT) | instid1(VALU_DEP_2)
	v_mad_u32 v1, s9, v32, v1
	v_mad_u32 v23, s9, v34, v23
	s_delay_alu instid0(VALU_DEP_2) | instskip(NEXT) | instid1(VALU_DEP_2)
	v_mad_u32 v1, s8, v33, v1
	v_mad_u32 v23, s8, v35, v23
	s_branch .LBB1605_973
.LBB1605_972:                           ;   in Loop: Header=BB1605_973 Depth=2
	s_or_b32 exec_lo, exec_lo, s28
	s_delay_alu instid0(SALU_CYCLE_1) | instskip(NEXT) | instid1(SALU_CYCLE_1)
	s_and_b32 s28, exec_lo, s22
	s_or_b32 s15, s28, s15
	s_and_not1_b32 s27, s27, exec_lo
	s_and_b32 s7, s7, exec_lo
	s_and_not1_b32 s14, s14, exec_lo
	s_and_b32 s28, s23, exec_lo
	s_or_b32 s27, s27, s7
	s_or_b32 s14, s14, s28
	s_and_not1_b32 exec_lo, exec_lo, s15
	s_cbranch_execz .LBB1605_968
.LBB1605_973:                           ;   Parent Loop BB1605_970 Depth=1
                                        ; =>  This Inner Loop Header: Depth=2
	global_load_b64 v[32:33], v[0:1], off
	global_load_b64 v[34:35], v[22:23], off
	s_and_not1_b32 s23, s23, exec_lo
	s_or_b32 s22, s22, exec_lo
	s_wait_loadcnt 0x0
	v_cmp_le_u64_e32 vcc_lo, v[32:33], v[34:35]
	v_cmp_lt_u64_e64 s7, v[32:33], v[34:35]
	s_and_b32 s28, vcc_lo, s27
	s_delay_alu instid0(SALU_CYCLE_1) | instskip(NEXT) | instid1(SALU_CYCLE_1)
	s_or_b32 s7, s7, s28
	s_and_b32 s28, s7, exec_lo
	s_delay_alu instid0(SALU_CYCLE_1)
	s_or_b32 s23, s23, s28
	s_mov_b32 s28, exec_lo
	v_cmpx_eq_u64_e64 v[32:33], v[34:35]
	s_cbranch_execz .LBB1605_972
; %bb.974:                              ;   in Loop: Header=BB1605_973 Depth=2
	s_add_nc_u64 s[10:11], s[10:11], -1
	v_add_nc_u64_e32 v[0:1], 8, v[0:1]
	s_cmp_eq_u64 s[10:11], 0
	v_add_nc_u64_e32 v[22:23], 8, v[22:23]
	s_cselect_b32 s27, -1, 0
	s_and_not1_b32 s22, s22, exec_lo
	s_and_b32 s27, s27, exec_lo
	s_and_not1_b32 s23, s23, exec_lo
	s_or_b32 s22, s22, s27
                                        ; implicit-def: $sgpr27
	s_branch .LBB1605_972
.LBB1605_975:                           ;   in Loop: Header=BB1605_970 Depth=1
	s_mov_b32 s14, 0
	s_branch .LBB1605_969
.LBB1605_976:
	s_or_b32 exec_lo, exec_lo, s12
.LBB1605_977:
	s_delay_alu instid0(SALU_CYCLE_1) | instskip(SKIP_1) | instid1(VALU_DEP_1)
	s_or_b32 exec_lo, exec_lo, s13
	v_dual_add_nc_u32 v0, v47, v27 :: v_dual_add_nc_u32 v22, v24, v26
	v_sub_nc_u32_e32 v23, v0, v24
	s_delay_alu instid0(VALU_DEP_2) | instskip(NEXT) | instid1(VALU_DEP_2)
	v_cmp_le_u32_e32 vcc_lo, v22, v47
	v_cmp_le_u32_e64 s7, v23, v48
	s_or_b32 s7, vcc_lo, s7
	s_delay_alu instid0(SALU_CYCLE_1)
	s_and_saveexec_b32 s10, s7
	s_cbranch_execz .LBB1605_1068
; %bb.978:
	s_mov_b32 s8, exec_lo
	v_cmp_ge_u32_e32 vcc_lo, v22, v47
                                        ; implicit-def: $vgpr0_vgpr1
	v_cmpx_lt_u32_e64 v22, v47
; %bb.979:
	v_lshl_add_u32 v0, v24, 3, v25
	ds_load_b64 v[0:1], v0
; %bb.980:
	s_or_b32 exec_lo, exec_lo, s8
	v_cmp_ge_u32_e64 s11, v23, v48
	s_mov_b32 s8, exec_lo
                                        ; implicit-def: $vgpr2_vgpr3
	v_cmpx_lt_u32_e64 v23, v48
; %bb.981:
	v_lshl_add_u32 v2, v23, 3, v43
	ds_load_b64 v[2:3], v2
; %bb.982:
	s_or_b32 exec_lo, exec_lo, s8
	s_nor_b32 s7, vcc_lo, s11
	s_delay_alu instid0(SALU_CYCLE_1)
	s_and_saveexec_b32 s12, s7
	s_cbranch_execz .LBB1605_991
; %bb.983:
	s_and_not1_b32 vcc_lo, exec_lo, s26
	s_cbranch_vccnz .LBB1605_989
; %bb.984:
	s_wait_dscnt 0x0
	v_mul_u64_e32 v[4:5], s[16:17], v[2:3]
	v_mul_u64_e32 v[6:7], s[16:17], v[0:1]
	s_mov_b32 s13, 0
	s_mov_b64 s[8:9], s[16:17]
                                        ; implicit-def: $sgpr14
                                        ; implicit-def: $sgpr15
                                        ; implicit-def: $sgpr22
                                        ; implicit-def: $sgpr23
	s_delay_alu instid0(VALU_DEP_2) | instskip(NEXT) | instid1(VALU_DEP_2)
	v_lshl_add_u64 v[4:5], v[4:5], 3, s[18:19]
	v_lshl_add_u64 v[6:7], v[6:7], 3, s[18:19]
	s_branch .LBB1605_986
.LBB1605_985:                           ;   in Loop: Header=BB1605_986 Depth=1
	s_or_b32 exec_lo, exec_lo, s27
	s_delay_alu instid0(SALU_CYCLE_1) | instskip(NEXT) | instid1(SALU_CYCLE_1)
	s_and_b32 s27, exec_lo, s15
	s_or_b32 s13, s27, s13
	s_and_not1_b32 s23, s23, exec_lo
	s_and_b32 s7, s7, exec_lo
	s_and_not1_b32 s14, s14, exec_lo
	s_and_b32 s27, s22, exec_lo
	s_or_b32 s23, s23, s7
	s_or_b32 s14, s14, s27
	s_and_not1_b32 exec_lo, exec_lo, s13
	s_cbranch_execz .LBB1605_988
.LBB1605_986:                           ; =>This Inner Loop Header: Depth=1
	global_load_b64 v[8:9], v[4:5], off
	global_load_b64 v[10:11], v[6:7], off
	s_and_not1_b32 s22, s22, exec_lo
	s_or_b32 s15, s15, exec_lo
	s_wait_loadcnt 0x0
	v_cmp_le_u64_e32 vcc_lo, v[8:9], v[10:11]
	v_cmp_lt_u64_e64 s7, v[8:9], v[10:11]
	s_and_b32 s27, vcc_lo, s23
	s_delay_alu instid0(SALU_CYCLE_1) | instskip(NEXT) | instid1(SALU_CYCLE_1)
	s_or_b32 s7, s7, s27
	s_and_b32 s27, s7, exec_lo
	s_delay_alu instid0(SALU_CYCLE_1)
	s_or_b32 s22, s22, s27
	s_mov_b32 s27, exec_lo
	v_cmpx_eq_u64_e64 v[8:9], v[10:11]
	s_cbranch_execz .LBB1605_985
; %bb.987:                              ;   in Loop: Header=BB1605_986 Depth=1
	s_add_nc_u64 s[8:9], s[8:9], -1
	v_add_nc_u64_e32 v[4:5], 8, v[4:5]
	s_cmp_eq_u64 s[8:9], 0
	v_add_nc_u64_e32 v[6:7], 8, v[6:7]
	s_cselect_b32 s23, -1, 0
	s_and_not1_b32 s15, s15, exec_lo
	s_and_b32 s23, s23, exec_lo
	s_and_not1_b32 s22, s22, exec_lo
	s_or_b32 s15, s15, s23
                                        ; implicit-def: $sgpr23
	s_branch .LBB1605_985
.LBB1605_988:
	s_or_b32 exec_lo, exec_lo, s13
	s_xor_b32 s7, s14, -1
	s_branch .LBB1605_990
.LBB1605_989:
	s_mov_b32 s7, -1
.LBB1605_990:
	s_and_not1_b32 s8, s11, exec_lo
	s_and_b32 s7, s7, exec_lo
	s_delay_alu instid0(SALU_CYCLE_1)
	s_or_b32 s11, s8, s7
.LBB1605_991:
	s_or_b32 exec_lo, exec_lo, s12
	v_dual_cndmask_b32 v4, v23, v22, s11 :: v_dual_cndmask_b32 v5, v48, v47, s11
	s_mov_b32 s13, -1
	s_mov_b32 s12, -1
	s_mov_b32 s14, exec_lo
	s_delay_alu instid0(VALU_DEP_1) | instskip(NEXT) | instid1(VALU_DEP_1)
	v_add_nc_u32_e32 v4, 1, v4
	v_add_min_u32_e64 v5, v5, -1, v4
	s_delay_alu instid0(VALU_DEP_1)
	v_lshl_add_u32 v5, v5, 3, v43
	ds_load_b64 v[6:7], v5
	s_wait_dscnt 0x0
	v_cndmask_b32_e64 v5, v7, v3, s11
	v_dual_cndmask_b32 v10, v4, v23, s11 :: v_dual_cndmask_b32 v11, v22, v4, s11
	v_dual_cndmask_b32 v4, v6, v2, s11 :: v_dual_cndmask_b32 v15, v1, v7, s11
	v_cndmask_b32_e64 v14, v0, v6, s11
	s_delay_alu instid0(VALU_DEP_3)
	v_cmpx_lt_u32_e64 v10, v48
	s_cbranch_execz .LBB1605_1002
; %bb.992:
	s_mov_b32 s7, 0
	s_mov_b32 s12, exec_lo
	v_cmpx_lt_u32_e64 v11, v47
	s_cbranch_execz .LBB1605_1001
; %bb.993:
	s_and_not1_b32 vcc_lo, exec_lo, s26
	s_cbranch_vccnz .LBB1605_999
; %bb.994:
	v_mul_u64_e32 v[6:7], s[16:17], v[4:5]
	v_mul_u64_e32 v[8:9], s[16:17], v[14:15]
	s_mov_b32 s15, 0
	s_mov_b64 s[8:9], s[16:17]
                                        ; implicit-def: $sgpr22
                                        ; implicit-def: $sgpr23
                                        ; implicit-def: $sgpr27
                                        ; implicit-def: $sgpr28
	s_delay_alu instid0(VALU_DEP_2) | instskip(NEXT) | instid1(VALU_DEP_2)
	v_lshl_add_u64 v[6:7], v[6:7], 3, s[18:19]
	v_lshl_add_u64 v[8:9], v[8:9], 3, s[18:19]
	s_branch .LBB1605_996
.LBB1605_995:                           ;   in Loop: Header=BB1605_996 Depth=1
	s_or_b32 exec_lo, exec_lo, s29
	s_delay_alu instid0(SALU_CYCLE_1) | instskip(NEXT) | instid1(SALU_CYCLE_1)
	s_and_b32 s29, exec_lo, s23
	s_or_b32 s15, s29, s15
	s_and_not1_b32 s28, s28, exec_lo
	s_and_b32 s7, s7, exec_lo
	s_and_not1_b32 s22, s22, exec_lo
	s_and_b32 s29, s27, exec_lo
	s_or_b32 s28, s28, s7
	s_or_b32 s22, s22, s29
	s_and_not1_b32 exec_lo, exec_lo, s15
	s_cbranch_execz .LBB1605_998
.LBB1605_996:                           ; =>This Inner Loop Header: Depth=1
	global_load_b64 v[12:13], v[6:7], off
	global_load_b64 v[16:17], v[8:9], off
	s_and_not1_b32 s27, s27, exec_lo
	s_or_b32 s23, s23, exec_lo
	s_wait_loadcnt 0x0
	v_cmp_le_u64_e32 vcc_lo, v[12:13], v[16:17]
	v_cmp_lt_u64_e64 s7, v[12:13], v[16:17]
	s_and_b32 s29, vcc_lo, s28
	s_delay_alu instid0(SALU_CYCLE_1) | instskip(NEXT) | instid1(SALU_CYCLE_1)
	s_or_b32 s7, s7, s29
	s_and_b32 s29, s7, exec_lo
	s_delay_alu instid0(SALU_CYCLE_1)
	s_or_b32 s27, s27, s29
	s_mov_b32 s29, exec_lo
	v_cmpx_eq_u64_e64 v[12:13], v[16:17]
	s_cbranch_execz .LBB1605_995
; %bb.997:                              ;   in Loop: Header=BB1605_996 Depth=1
	s_add_nc_u64 s[8:9], s[8:9], -1
	v_add_nc_u64_e32 v[6:7], 8, v[6:7]
	s_cmp_eq_u64 s[8:9], 0
	v_add_nc_u64_e32 v[8:9], 8, v[8:9]
	s_cselect_b32 s28, -1, 0
	s_and_not1_b32 s23, s23, exec_lo
	s_and_b32 s28, s28, exec_lo
	s_and_not1_b32 s27, s27, exec_lo
	s_or_b32 s23, s23, s28
                                        ; implicit-def: $sgpr28
	s_branch .LBB1605_995
.LBB1605_998:
	s_or_b32 exec_lo, exec_lo, s15
	s_xor_b32 s7, s22, -1
	s_branch .LBB1605_1000
.LBB1605_999:
	s_mov_b32 s7, -1
.LBB1605_1000:
	s_delay_alu instid0(SALU_CYCLE_1)
	s_and_b32 s7, s7, exec_lo
.LBB1605_1001:
	s_or_b32 exec_lo, exec_lo, s12
	s_delay_alu instid0(SALU_CYCLE_1)
	s_or_not1_b32 s12, s7, exec_lo
.LBB1605_1002:
	s_or_b32 exec_lo, exec_lo, s14
	v_cndmask_b32_e64 v6, v10, v11, s12
	v_cndmask_b32_e64 v7, v48, v47, s12
	s_mov_b32 s14, exec_lo
	s_delay_alu instid0(VALU_DEP_2) | instskip(NEXT) | instid1(VALU_DEP_1)
	v_add_nc_u32_e32 v8, 1, v6
	v_add_min_u32_e64 v6, v7, -1, v8
	v_cndmask_b32_e64 v12, v8, v10, s12
	s_delay_alu instid0(VALU_DEP_2)
	v_lshl_add_u32 v6, v6, 3, v43
	ds_load_b64 v[6:7], v6
	s_wait_dscnt 0x0
	v_dual_cndmask_b32 v13, v11, v8, s12 :: v_dual_cndmask_b32 v16, v14, v6, s12
	v_dual_cndmask_b32 v11, v7, v5, s12 :: v_dual_cndmask_b32 v10, v6, v4, s12
	v_cndmask_b32_e64 v17, v15, v7, s12
	v_cmpx_lt_u32_e64 v12, v48
	s_cbranch_execz .LBB1605_1013
; %bb.1003:
	s_mov_b32 s7, 0
	s_mov_b32 s13, exec_lo
	v_cmpx_lt_u32_e64 v13, v47
	s_cbranch_execz .LBB1605_1012
; %bb.1004:
	s_and_not1_b32 vcc_lo, exec_lo, s26
	s_cbranch_vccnz .LBB1605_1010
; %bb.1005:
	v_mul_u64_e32 v[6:7], s[16:17], v[10:11]
	v_mul_u64_e32 v[8:9], s[16:17], v[16:17]
	s_mov_b32 s15, 0
	s_mov_b64 s[8:9], s[16:17]
                                        ; implicit-def: $sgpr22
                                        ; implicit-def: $sgpr23
                                        ; implicit-def: $sgpr27
                                        ; implicit-def: $sgpr28
	s_delay_alu instid0(VALU_DEP_2) | instskip(NEXT) | instid1(VALU_DEP_2)
	v_lshl_add_u64 v[6:7], v[6:7], 3, s[18:19]
	v_lshl_add_u64 v[8:9], v[8:9], 3, s[18:19]
	s_branch .LBB1605_1007
.LBB1605_1006:                          ;   in Loop: Header=BB1605_1007 Depth=1
	s_or_b32 exec_lo, exec_lo, s29
	s_delay_alu instid0(SALU_CYCLE_1) | instskip(NEXT) | instid1(SALU_CYCLE_1)
	s_and_b32 s29, exec_lo, s23
	s_or_b32 s15, s29, s15
	s_and_not1_b32 s28, s28, exec_lo
	s_and_b32 s7, s7, exec_lo
	s_and_not1_b32 s22, s22, exec_lo
	s_and_b32 s29, s27, exec_lo
	s_or_b32 s28, s28, s7
	s_or_b32 s22, s22, s29
	s_and_not1_b32 exec_lo, exec_lo, s15
	s_cbranch_execz .LBB1605_1009
.LBB1605_1007:                          ; =>This Inner Loop Header: Depth=1
	global_load_b64 v[22:23], v[6:7], off
	global_load_b64 v[24:25], v[8:9], off
	s_and_not1_b32 s27, s27, exec_lo
	s_or_b32 s23, s23, exec_lo
	s_wait_loadcnt 0x0
	v_cmp_le_u64_e32 vcc_lo, v[22:23], v[24:25]
	v_cmp_lt_u64_e64 s7, v[22:23], v[24:25]
	s_and_b32 s29, vcc_lo, s28
	s_delay_alu instid0(SALU_CYCLE_1) | instskip(NEXT) | instid1(SALU_CYCLE_1)
	s_or_b32 s7, s7, s29
	s_and_b32 s29, s7, exec_lo
	s_delay_alu instid0(SALU_CYCLE_1)
	s_or_b32 s27, s27, s29
	s_mov_b32 s29, exec_lo
	v_cmpx_eq_u64_e64 v[22:23], v[24:25]
	s_cbranch_execz .LBB1605_1006
; %bb.1008:                             ;   in Loop: Header=BB1605_1007 Depth=1
	s_add_nc_u64 s[8:9], s[8:9], -1
	v_add_nc_u64_e32 v[6:7], 8, v[6:7]
	s_cmp_eq_u64 s[8:9], 0
	v_add_nc_u64_e32 v[8:9], 8, v[8:9]
	s_cselect_b32 s28, -1, 0
	s_and_not1_b32 s23, s23, exec_lo
	s_and_b32 s28, s28, exec_lo
	s_and_not1_b32 s27, s27, exec_lo
	s_or_b32 s23, s23, s28
                                        ; implicit-def: $sgpr28
	s_branch .LBB1605_1006
.LBB1605_1009:
	s_or_b32 exec_lo, exec_lo, s15
	s_xor_b32 s7, s22, -1
	s_branch .LBB1605_1011
.LBB1605_1010:
	s_mov_b32 s7, -1
.LBB1605_1011:
	s_delay_alu instid0(SALU_CYCLE_1)
	s_and_b32 s7, s7, exec_lo
.LBB1605_1012:
	s_or_b32 exec_lo, exec_lo, s13
	s_delay_alu instid0(SALU_CYCLE_1)
	s_or_not1_b32 s13, s7, exec_lo
.LBB1605_1013:
	s_or_b32 exec_lo, exec_lo, s14
	v_cndmask_b32_e64 v6, v12, v13, s13
	v_cndmask_b32_e64 v7, v48, v47, s13
	s_mov_b32 s15, -1
	s_mov_b32 s14, -1
	s_mov_b32 s22, exec_lo
	v_add_nc_u32_e32 v8, 1, v6
	s_delay_alu instid0(VALU_DEP_1) | instskip(SKIP_1) | instid1(VALU_DEP_2)
	v_add_min_u32_e64 v6, v7, -1, v8
	v_cndmask_b32_e64 v25, v13, v8, s13
	v_lshl_add_u32 v6, v6, 3, v43
	ds_load_b64 v[6:7], v6
	s_wait_dscnt 0x0
	v_dual_cndmask_b32 v24, v8, v12, s13 :: v_dual_cndmask_b32 v13, v7, v11, s13
	v_dual_cndmask_b32 v12, v6, v10, s13 :: v_dual_cndmask_b32 v23, v17, v7, s13
	v_cndmask_b32_e64 v22, v16, v6, s13
	s_delay_alu instid0(VALU_DEP_3)
	v_cmpx_lt_u32_e64 v24, v48
	s_cbranch_execz .LBB1605_1024
; %bb.1014:
	s_mov_b32 s7, 0
	s_mov_b32 s14, exec_lo
	v_cmpx_lt_u32_e64 v25, v47
	s_cbranch_execz .LBB1605_1023
; %bb.1015:
	s_and_not1_b32 vcc_lo, exec_lo, s26
	s_cbranch_vccnz .LBB1605_1021
; %bb.1016:
	v_mul_u64_e32 v[6:7], s[16:17], v[12:13]
	v_mul_u64_e32 v[8:9], s[16:17], v[22:23]
	s_mov_b32 s23, 0
	s_mov_b64 s[8:9], s[16:17]
                                        ; implicit-def: $sgpr27
                                        ; implicit-def: $sgpr28
                                        ; implicit-def: $sgpr29
                                        ; implicit-def: $sgpr30
	s_delay_alu instid0(VALU_DEP_2) | instskip(NEXT) | instid1(VALU_DEP_2)
	v_lshl_add_u64 v[6:7], v[6:7], 3, s[18:19]
	v_lshl_add_u64 v[8:9], v[8:9], 3, s[18:19]
	s_branch .LBB1605_1018
.LBB1605_1017:                          ;   in Loop: Header=BB1605_1018 Depth=1
	s_or_b32 exec_lo, exec_lo, s31
	s_delay_alu instid0(SALU_CYCLE_1) | instskip(NEXT) | instid1(SALU_CYCLE_1)
	s_and_b32 s31, exec_lo, s28
	s_or_b32 s23, s31, s23
	s_and_not1_b32 s30, s30, exec_lo
	s_and_b32 s7, s7, exec_lo
	s_and_not1_b32 s27, s27, exec_lo
	s_and_b32 s31, s29, exec_lo
	s_or_b32 s30, s30, s7
	s_or_b32 s27, s27, s31
	s_and_not1_b32 exec_lo, exec_lo, s23
	s_cbranch_execz .LBB1605_1020
.LBB1605_1018:                          ; =>This Inner Loop Header: Depth=1
	global_load_b64 v[26:27], v[6:7], off
	global_load_b64 v[28:29], v[8:9], off
	s_and_not1_b32 s29, s29, exec_lo
	s_or_b32 s28, s28, exec_lo
	s_wait_loadcnt 0x0
	v_cmp_le_u64_e32 vcc_lo, v[26:27], v[28:29]
	v_cmp_lt_u64_e64 s7, v[26:27], v[28:29]
	s_and_b32 s31, vcc_lo, s30
	s_delay_alu instid0(SALU_CYCLE_1) | instskip(NEXT) | instid1(SALU_CYCLE_1)
	s_or_b32 s7, s7, s31
	s_and_b32 s31, s7, exec_lo
	s_delay_alu instid0(SALU_CYCLE_1)
	s_or_b32 s29, s29, s31
	s_mov_b32 s31, exec_lo
	v_cmpx_eq_u64_e64 v[26:27], v[28:29]
	s_cbranch_execz .LBB1605_1017
; %bb.1019:                             ;   in Loop: Header=BB1605_1018 Depth=1
	s_add_nc_u64 s[8:9], s[8:9], -1
	v_add_nc_u64_e32 v[6:7], 8, v[6:7]
	s_cmp_eq_u64 s[8:9], 0
	v_add_nc_u64_e32 v[8:9], 8, v[8:9]
	s_cselect_b32 s30, -1, 0
	s_and_not1_b32 s28, s28, exec_lo
	s_and_b32 s30, s30, exec_lo
	s_and_not1_b32 s29, s29, exec_lo
	s_or_b32 s28, s28, s30
                                        ; implicit-def: $sgpr30
	s_branch .LBB1605_1017
.LBB1605_1020:
	s_or_b32 exec_lo, exec_lo, s23
	s_xor_b32 s7, s27, -1
	s_branch .LBB1605_1022
.LBB1605_1021:
	s_mov_b32 s7, -1
.LBB1605_1022:
	s_delay_alu instid0(SALU_CYCLE_1)
	s_and_b32 s7, s7, exec_lo
.LBB1605_1023:
	s_or_b32 exec_lo, exec_lo, s14
	s_delay_alu instid0(SALU_CYCLE_1)
	s_or_not1_b32 s14, s7, exec_lo
.LBB1605_1024:
	s_or_b32 exec_lo, exec_lo, s22
	v_cndmask_b32_e64 v6, v24, v25, s14
	v_cndmask_b32_e64 v7, v48, v47, s14
	s_mov_b32 s22, exec_lo
	s_delay_alu instid0(VALU_DEP_2) | instskip(NEXT) | instid1(VALU_DEP_1)
	v_add_nc_u32_e32 v6, 1, v6
	v_add_min_u32_e64 v7, v7, -1, v6
	v_dual_cndmask_b32 v28, v6, v24, s14 :: v_dual_cndmask_b32 v29, v25, v6, s14
	s_delay_alu instid0(VALU_DEP_2)
	v_lshl_add_u32 v7, v7, 3, v43
	ds_load_b64 v[8:9], v7
	s_wait_dscnt 0x0
	v_dual_cndmask_b32 v7, v9, v13, s14 :: v_dual_cndmask_b32 v6, v8, v12, s14
	v_dual_cndmask_b32 v25, v23, v9, s14 :: v_dual_cndmask_b32 v24, v22, v8, s14
	v_cmpx_lt_u32_e64 v28, v48
	s_cbranch_execz .LBB1605_1035
; %bb.1025:
	s_mov_b32 s7, 0
	s_mov_b32 s15, exec_lo
	v_cmpx_lt_u32_e64 v29, v47
	s_cbranch_execz .LBB1605_1034
; %bb.1026:
	s_and_not1_b32 vcc_lo, exec_lo, s26
	s_cbranch_vccnz .LBB1605_1032
; %bb.1027:
	v_mul_u64_e32 v[8:9], s[16:17], v[6:7]
	v_mul_u64_e32 v[26:27], s[16:17], v[24:25]
	s_mov_b32 s23, 0
	s_mov_b64 s[8:9], s[16:17]
                                        ; implicit-def: $sgpr27
                                        ; implicit-def: $sgpr28
                                        ; implicit-def: $sgpr29
                                        ; implicit-def: $sgpr30
	s_delay_alu instid0(VALU_DEP_2) | instskip(NEXT) | instid1(VALU_DEP_2)
	v_lshl_add_u64 v[8:9], v[8:9], 3, s[18:19]
	v_lshl_add_u64 v[26:27], v[26:27], 3, s[18:19]
	s_branch .LBB1605_1029
.LBB1605_1028:                          ;   in Loop: Header=BB1605_1029 Depth=1
	s_or_b32 exec_lo, exec_lo, s31
	s_delay_alu instid0(SALU_CYCLE_1) | instskip(NEXT) | instid1(SALU_CYCLE_1)
	s_and_b32 s31, exec_lo, s28
	s_or_b32 s23, s31, s23
	s_and_not1_b32 s30, s30, exec_lo
	s_and_b32 s7, s7, exec_lo
	s_and_not1_b32 s27, s27, exec_lo
	s_and_b32 s31, s29, exec_lo
	s_or_b32 s30, s30, s7
	s_or_b32 s27, s27, s31
	s_and_not1_b32 exec_lo, exec_lo, s23
	s_cbranch_execz .LBB1605_1031
.LBB1605_1029:                          ; =>This Inner Loop Header: Depth=1
	global_load_b64 v[30:31], v[8:9], off
	global_load_b64 v[32:33], v[26:27], off
	s_and_not1_b32 s29, s29, exec_lo
	s_or_b32 s28, s28, exec_lo
	s_wait_loadcnt 0x0
	v_cmp_le_u64_e32 vcc_lo, v[30:31], v[32:33]
	v_cmp_lt_u64_e64 s7, v[30:31], v[32:33]
	s_and_b32 s31, vcc_lo, s30
	s_delay_alu instid0(SALU_CYCLE_1) | instskip(NEXT) | instid1(SALU_CYCLE_1)
	s_or_b32 s7, s7, s31
	s_and_b32 s31, s7, exec_lo
	s_delay_alu instid0(SALU_CYCLE_1)
	s_or_b32 s29, s29, s31
	s_mov_b32 s31, exec_lo
	v_cmpx_eq_u64_e64 v[30:31], v[32:33]
	s_cbranch_execz .LBB1605_1028
; %bb.1030:                             ;   in Loop: Header=BB1605_1029 Depth=1
	s_add_nc_u64 s[8:9], s[8:9], -1
	v_add_nc_u64_e32 v[8:9], 8, v[8:9]
	s_cmp_eq_u64 s[8:9], 0
	v_add_nc_u64_e32 v[26:27], 8, v[26:27]
	s_cselect_b32 s30, -1, 0
	s_and_not1_b32 s28, s28, exec_lo
	s_and_b32 s30, s30, exec_lo
	s_and_not1_b32 s29, s29, exec_lo
	s_or_b32 s28, s28, s30
                                        ; implicit-def: $sgpr30
	s_branch .LBB1605_1028
.LBB1605_1031:
	s_or_b32 exec_lo, exec_lo, s23
	s_xor_b32 s7, s27, -1
	s_branch .LBB1605_1033
.LBB1605_1032:
	s_mov_b32 s7, -1
.LBB1605_1033:
	s_delay_alu instid0(SALU_CYCLE_1)
	s_and_b32 s7, s7, exec_lo
.LBB1605_1034:
	s_or_b32 exec_lo, exec_lo, s15
	s_delay_alu instid0(SALU_CYCLE_1)
	s_or_not1_b32 s15, s7, exec_lo
.LBB1605_1035:
	s_or_b32 exec_lo, exec_lo, s22
	v_cndmask_b32_e64 v8, v28, v29, s15
	v_cndmask_b32_e64 v9, v48, v47, s15
	s_mov_b32 s22, -1
	s_mov_b32 s23, -1
	s_mov_b32 s27, exec_lo
	v_add_nc_u32_e32 v8, 1, v8
	s_delay_alu instid0(VALU_DEP_1) | instskip(NEXT) | instid1(VALU_DEP_1)
	v_add_min_u32_e64 v9, v9, -1, v8
	v_lshl_add_u32 v9, v9, 3, v43
	ds_load_b64 v[26:27], v9
	v_cndmask_b32_e64 v32, v8, v28, s15
	s_wait_dscnt 0x0
	v_dual_cndmask_b32 v33, v29, v8, s15 :: v_dual_cndmask_b32 v9, v27, v7, s15
	v_dual_cndmask_b32 v8, v26, v6, s15 :: v_dual_cndmask_b32 v27, v25, v27, s15
	v_cndmask_b32_e64 v26, v24, v26, s15
	v_cmpx_lt_u32_e64 v32, v48
	s_cbranch_execz .LBB1605_1046
; %bb.1036:
	s_mov_b32 s7, 0
	s_mov_b32 s23, exec_lo
	v_cmpx_lt_u32_e64 v33, v47
	s_cbranch_execz .LBB1605_1045
; %bb.1037:
	s_and_not1_b32 vcc_lo, exec_lo, s26
	s_cbranch_vccnz .LBB1605_1043
; %bb.1038:
	v_mul_u64_e32 v[28:29], s[16:17], v[8:9]
	v_mul_u64_e32 v[30:31], s[16:17], v[26:27]
	s_mov_b32 s28, 0
	s_mov_b64 s[8:9], s[16:17]
                                        ; implicit-def: $sgpr29
                                        ; implicit-def: $sgpr30
                                        ; implicit-def: $sgpr31
                                        ; implicit-def: $sgpr33
	s_delay_alu instid0(VALU_DEP_2) | instskip(NEXT) | instid1(VALU_DEP_2)
	v_lshl_add_u64 v[28:29], v[28:29], 3, s[18:19]
	v_lshl_add_u64 v[30:31], v[30:31], 3, s[18:19]
	s_branch .LBB1605_1040
.LBB1605_1039:                          ;   in Loop: Header=BB1605_1040 Depth=1
	s_or_b32 exec_lo, exec_lo, s34
	s_delay_alu instid0(SALU_CYCLE_1) | instskip(NEXT) | instid1(SALU_CYCLE_1)
	s_and_b32 s34, exec_lo, s30
	s_or_b32 s28, s34, s28
	s_and_not1_b32 s33, s33, exec_lo
	s_and_b32 s7, s7, exec_lo
	s_and_not1_b32 s29, s29, exec_lo
	s_and_b32 s34, s31, exec_lo
	s_or_b32 s33, s33, s7
	s_or_b32 s29, s29, s34
	s_and_not1_b32 exec_lo, exec_lo, s28
	s_cbranch_execz .LBB1605_1042
.LBB1605_1040:                          ; =>This Inner Loop Header: Depth=1
	global_load_b64 v[34:35], v[28:29], off
	global_load_b64 v[50:51], v[30:31], off
	s_and_not1_b32 s31, s31, exec_lo
	s_or_b32 s30, s30, exec_lo
	s_wait_loadcnt 0x0
	v_cmp_le_u64_e32 vcc_lo, v[34:35], v[50:51]
	v_cmp_lt_u64_e64 s7, v[34:35], v[50:51]
	s_and_b32 s34, vcc_lo, s33
	s_delay_alu instid0(SALU_CYCLE_1) | instskip(NEXT) | instid1(SALU_CYCLE_1)
	s_or_b32 s7, s7, s34
	s_and_b32 s34, s7, exec_lo
	s_delay_alu instid0(SALU_CYCLE_1)
	s_or_b32 s31, s31, s34
	s_mov_b32 s34, exec_lo
	v_cmpx_eq_u64_e64 v[34:35], v[50:51]
	s_cbranch_execz .LBB1605_1039
; %bb.1041:                             ;   in Loop: Header=BB1605_1040 Depth=1
	s_add_nc_u64 s[8:9], s[8:9], -1
	v_add_nc_u64_e32 v[28:29], 8, v[28:29]
	s_cmp_eq_u64 s[8:9], 0
	v_add_nc_u64_e32 v[30:31], 8, v[30:31]
	s_cselect_b32 s33, -1, 0
	s_and_not1_b32 s30, s30, exec_lo
	s_and_b32 s33, s33, exec_lo
	s_and_not1_b32 s31, s31, exec_lo
	s_or_b32 s30, s30, s33
                                        ; implicit-def: $sgpr33
	s_branch .LBB1605_1039
.LBB1605_1042:
	s_or_b32 exec_lo, exec_lo, s28
	s_xor_b32 s7, s29, -1
	s_branch .LBB1605_1044
.LBB1605_1043:
	s_mov_b32 s7, -1
.LBB1605_1044:
	s_delay_alu instid0(SALU_CYCLE_1)
	s_and_b32 s7, s7, exec_lo
.LBB1605_1045:
	s_or_b32 exec_lo, exec_lo, s23
	s_delay_alu instid0(SALU_CYCLE_1)
	s_or_not1_b32 s23, s7, exec_lo
.LBB1605_1046:
	s_or_b32 exec_lo, exec_lo, s27
	v_cndmask_b32_e64 v28, v32, v33, s23
	v_cndmask_b32_e64 v29, v48, v47, s23
	s_mov_b32 s27, exec_lo
	s_delay_alu instid0(VALU_DEP_2) | instskip(NEXT) | instid1(VALU_DEP_1)
	v_add_nc_u32_e32 v28, 1, v28
	v_add_min_u32_e64 v29, v29, -1, v28
	s_delay_alu instid0(VALU_DEP_1)
	v_lshl_add_u32 v29, v29, 3, v43
	ds_load_b64 v[30:31], v29
	v_cndmask_b32_e64 v50, v28, v32, s23
	s_wait_dscnt 0x0
	v_dual_cndmask_b32 v49, v33, v28, s23 :: v_dual_cndmask_b32 v29, v31, v9, s23
	v_dual_cndmask_b32 v28, v30, v8, s23 :: v_dual_cndmask_b32 v31, v27, v31, s23
	v_cndmask_b32_e64 v30, v26, v30, s23
	v_cmpx_lt_u32_e64 v50, v48
	s_cbranch_execz .LBB1605_1057
; %bb.1047:
	s_mov_b32 s7, 0
	s_mov_b32 s22, exec_lo
	v_cmpx_lt_u32_e64 v49, v47
	s_cbranch_execz .LBB1605_1056
; %bb.1048:
	s_and_not1_b32 vcc_lo, exec_lo, s26
	s_cbranch_vccnz .LBB1605_1054
; %bb.1049:
	v_mul_u64_e32 v[32:33], s[16:17], v[28:29]
	v_mul_u64_e32 v[34:35], s[16:17], v[30:31]
	s_mov_b32 s28, 0
	s_mov_b64 s[8:9], s[16:17]
                                        ; implicit-def: $sgpr29
                                        ; implicit-def: $sgpr30
                                        ; implicit-def: $sgpr31
                                        ; implicit-def: $sgpr33
	s_delay_alu instid0(VALU_DEP_2) | instskip(NEXT) | instid1(VALU_DEP_2)
	v_lshl_add_u64 v[32:33], v[32:33], 3, s[18:19]
	v_lshl_add_u64 v[34:35], v[34:35], 3, s[18:19]
	s_branch .LBB1605_1051
.LBB1605_1050:                          ;   in Loop: Header=BB1605_1051 Depth=1
	s_or_b32 exec_lo, exec_lo, s34
	s_delay_alu instid0(SALU_CYCLE_1) | instskip(NEXT) | instid1(SALU_CYCLE_1)
	s_and_b32 s34, exec_lo, s30
	s_or_b32 s28, s34, s28
	s_and_not1_b32 s33, s33, exec_lo
	s_and_b32 s7, s7, exec_lo
	s_and_not1_b32 s29, s29, exec_lo
	s_and_b32 s34, s31, exec_lo
	s_or_b32 s33, s33, s7
	s_or_b32 s29, s29, s34
	s_and_not1_b32 exec_lo, exec_lo, s28
	s_cbranch_execz .LBB1605_1053
.LBB1605_1051:                          ; =>This Inner Loop Header: Depth=1
	global_load_b64 v[52:53], v[32:33], off
	global_load_b64 v[54:55], v[34:35], off
	s_and_not1_b32 s31, s31, exec_lo
	s_or_b32 s30, s30, exec_lo
	s_wait_loadcnt 0x0
	v_cmp_le_u64_e32 vcc_lo, v[52:53], v[54:55]
	v_cmp_lt_u64_e64 s7, v[52:53], v[54:55]
	s_and_b32 s34, vcc_lo, s33
	s_delay_alu instid0(SALU_CYCLE_1) | instskip(NEXT) | instid1(SALU_CYCLE_1)
	s_or_b32 s7, s7, s34
	s_and_b32 s34, s7, exec_lo
	s_delay_alu instid0(SALU_CYCLE_1)
	s_or_b32 s31, s31, s34
	s_mov_b32 s34, exec_lo
	v_cmpx_eq_u64_e64 v[52:53], v[54:55]
	s_cbranch_execz .LBB1605_1050
; %bb.1052:                             ;   in Loop: Header=BB1605_1051 Depth=1
	s_add_nc_u64 s[8:9], s[8:9], -1
	v_add_nc_u64_e32 v[32:33], 8, v[32:33]
	s_cmp_eq_u64 s[8:9], 0
	v_add_nc_u64_e32 v[34:35], 8, v[34:35]
	s_cselect_b32 s33, -1, 0
	s_and_not1_b32 s30, s30, exec_lo
	s_and_b32 s33, s33, exec_lo
	s_and_not1_b32 s31, s31, exec_lo
	s_or_b32 s30, s30, s33
                                        ; implicit-def: $sgpr33
	s_branch .LBB1605_1050
.LBB1605_1053:
	s_or_b32 exec_lo, exec_lo, s28
	s_xor_b32 s7, s29, -1
	s_branch .LBB1605_1055
.LBB1605_1054:
	s_mov_b32 s7, -1
.LBB1605_1055:
	s_delay_alu instid0(SALU_CYCLE_1)
	s_and_b32 s7, s7, exec_lo
.LBB1605_1056:
	s_or_b32 exec_lo, exec_lo, s22
	s_delay_alu instid0(SALU_CYCLE_1)
	s_or_not1_b32 s22, s7, exec_lo
.LBB1605_1057:
	s_or_b32 exec_lo, exec_lo, s27
	v_dual_cndmask_b32 v32, v50, v49, s22 :: v_dual_cndmask_b32 v33, v48, v47, s22
	v_dual_cndmask_b32 v8, v8, v26, s23 :: v_dual_cndmask_b32 v7, v7, v25, s15
	;; [unrolled: 1-line block ×3, first 2 shown]
	s_delay_alu instid0(VALU_DEP_3) | instskip(SKIP_2) | instid1(VALU_DEP_3)
	v_dual_add_nc_u32 v34, 1, v32 :: v_dual_cndmask_b32 v9, v9, v27, s23
	v_dual_cndmask_b32 v12, v12, v22, s14 :: v_dual_cndmask_b32 v11, v11, v17, s13
	v_dual_cndmask_b32 v10, v10, v16, s13 :: v_dual_cndmask_b32 v17, v5, v15, s12
	v_add_min_u32_e64 v32, v33, -1, v34
	v_dual_cndmask_b32 v16, v4, v14, s12 :: v_dual_cndmask_b32 v15, v3, v1, s11
	v_dual_cndmask_b32 v14, v2, v0, s11 :: v_dual_cndmask_b32 v3, v29, v31, s22
	s_delay_alu instid0(VALU_DEP_3)
	v_lshl_add_u32 v32, v32, 3, v43
	s_mov_b32 s11, exec_lo
	ds_load_b64 v[32:33], v32
	v_cndmask_b32_e64 v0, v34, v50, s22
	s_wait_dscnt 0x0
	v_dual_cndmask_b32 v2, v28, v30, s22 :: v_dual_cndmask_b32 v4, v30, v32, s22
	v_cndmask_b32_e64 v5, v31, v33, s22
	s_delay_alu instid0(VALU_DEP_3)
	v_cmpx_lt_u32_e64 v0, v48
	s_cbranch_execz .LBB1605_1067
; %bb.1058:
	v_dual_cndmask_b32 v22, v49, v34, s22 :: v_dual_cndmask_b32 v0, v32, v28, s22
	v_cndmask_b32_e64 v1, v33, v29, s22
	s_mov_b32 s12, exec_lo
	s_delay_alu instid0(VALU_DEP_2)
	v_cmpx_lt_u32_e64 v22, v47
	s_cbranch_execz .LBB1605_1066
; %bb.1059:
	s_and_not1_b32 vcc_lo, exec_lo, s26
	s_cbranch_vccnz .LBB1605_1065
; %bb.1060:
	v_mul_u64_e32 v[22:23], s[16:17], v[0:1]
	v_mul_u64_e32 v[24:25], s[16:17], v[4:5]
	s_mov_b32 s13, 0
	s_mov_b64 s[8:9], s[16:17]
                                        ; implicit-def: $sgpr14
                                        ; implicit-def: $sgpr15
                                        ; implicit-def: $sgpr22
                                        ; implicit-def: $sgpr23
	s_delay_alu instid0(VALU_DEP_2) | instskip(NEXT) | instid1(VALU_DEP_2)
	v_lshl_add_u64 v[22:23], v[22:23], 3, s[18:19]
	v_lshl_add_u64 v[24:25], v[24:25], 3, s[18:19]
	s_branch .LBB1605_1062
.LBB1605_1061:                          ;   in Loop: Header=BB1605_1062 Depth=1
	s_or_b32 exec_lo, exec_lo, s27
	s_delay_alu instid0(SALU_CYCLE_1) | instskip(NEXT) | instid1(SALU_CYCLE_1)
	s_and_b32 s27, exec_lo, s15
	s_or_b32 s13, s27, s13
	s_and_not1_b32 s23, s23, exec_lo
	s_and_b32 s7, s7, exec_lo
	s_and_not1_b32 s14, s14, exec_lo
	s_and_b32 s27, s22, exec_lo
	s_or_b32 s23, s23, s7
	s_or_b32 s14, s14, s27
	s_and_not1_b32 exec_lo, exec_lo, s13
	s_cbranch_execz .LBB1605_1064
.LBB1605_1062:                          ; =>This Inner Loop Header: Depth=1
	global_load_b64 v[26:27], v[22:23], off
	global_load_b64 v[28:29], v[24:25], off
	s_and_not1_b32 s22, s22, exec_lo
	s_or_b32 s15, s15, exec_lo
	s_wait_loadcnt 0x0
	v_cmp_le_u64_e32 vcc_lo, v[26:27], v[28:29]
	v_cmp_lt_u64_e64 s7, v[26:27], v[28:29]
	s_and_b32 s27, vcc_lo, s23
	s_delay_alu instid0(SALU_CYCLE_1) | instskip(NEXT) | instid1(SALU_CYCLE_1)
	s_or_b32 s7, s7, s27
	s_and_b32 s27, s7, exec_lo
	s_delay_alu instid0(SALU_CYCLE_1)
	s_or_b32 s22, s22, s27
	s_mov_b32 s27, exec_lo
	v_cmpx_eq_u64_e64 v[26:27], v[28:29]
	s_cbranch_execz .LBB1605_1061
; %bb.1063:                             ;   in Loop: Header=BB1605_1062 Depth=1
	s_add_nc_u64 s[8:9], s[8:9], -1
	v_add_nc_u64_e32 v[22:23], 8, v[22:23]
	s_cmp_eq_u64 s[8:9], 0
	v_add_nc_u64_e32 v[24:25], 8, v[24:25]
	s_cselect_b32 s23, -1, 0
	s_and_not1_b32 s15, s15, exec_lo
	s_and_b32 s23, s23, exec_lo
	s_and_not1_b32 s22, s22, exec_lo
	s_or_b32 s15, s15, s23
                                        ; implicit-def: $sgpr23
	s_branch .LBB1605_1061
.LBB1605_1064:
	s_or_b32 exec_lo, exec_lo, s13
	v_dual_cndmask_b32 v5, v5, v1, s14 :: v_dual_cndmask_b32 v4, v4, v0, s14
.LBB1605_1065:
	s_delay_alu instid0(VALU_DEP_1)
	v_mov_b64_e32 v[0:1], v[4:5]
.LBB1605_1066:
	s_or_b32 exec_lo, exec_lo, s12
	s_delay_alu instid0(VALU_DEP_1)
	v_mov_b64_e32 v[4:5], v[0:1]
.LBB1605_1067:
	s_or_b32 exec_lo, exec_lo, s11
.LBB1605_1068:
	s_delay_alu instid0(SALU_CYCLE_1)
	s_or_b32 exec_lo, exec_lo, s10
	v_and_b32_e32 v26, 0xe0, v45
	s_mov_b32 s12, exec_lo
	; wave barrier
	ds_store_b128 v46, v[14:17]
	ds_store_b128 v46, v[10:13] offset:16
	v_or_b32_e32 v0, 16, v26
	v_lshl_add_u32 v25, v26, 3, v43
	ds_store_b128 v46, v[6:9] offset:32
	ds_store_b128 v46, v[2:5] offset:48
	; wave barrier
	v_min_u32_e32 v47, v44, v0
	v_and_b32_e32 v0, 24, v45
	s_delay_alu instid0(VALU_DEP_2) | instskip(NEXT) | instid1(VALU_DEP_2)
	v_add_min_u32_e64 v48, v47, 16, v44
	v_min_u32_e32 v27, v44, v0
	s_delay_alu instid0(VALU_DEP_2) | instskip(NEXT) | instid1(VALU_DEP_1)
	v_dual_sub_nc_u32 v1, v47, v26 :: v_dual_sub_nc_u32 v0, v48, v47
	v_min_u32_e32 v28, v27, v1
	s_delay_alu instid0(VALU_DEP_2) | instskip(NEXT) | instid1(VALU_DEP_1)
	v_sub_nc_u32_e64 v24, v27, v0 clamp
	v_cmpx_lt_u32_e64 v24, v28
	s_cbranch_execz .LBB1605_1078
; %bb.1069:
	v_lshlrev_b32_e32 v0, 3, v47
	v_lshlrev_b32_e32 v1, 3, v27
	s_lshl_b64 s[8:9], s[16:17], 3
	s_mov_b32 s13, 0
	s_delay_alu instid0(VALU_DEP_1)
	v_add3_u32 v29, v43, v0, v1
	s_branch .LBB1605_1072
.LBB1605_1070:                          ;   in Loop: Header=BB1605_1072 Depth=1
	s_or_b32 exec_lo, exec_lo, s15
.LBB1605_1071:                          ;   in Loop: Header=BB1605_1072 Depth=1
	s_delay_alu instid0(VALU_DEP_1) | instskip(NEXT) | instid1(VALU_DEP_1)
	v_dual_add_nc_u32 v0, 1, v30 :: v_dual_cndmask_b32 v28, v28, v30, s14
	v_cndmask_b32_e64 v24, v0, v24, s14
	s_delay_alu instid0(VALU_DEP_1) | instskip(SKIP_1) | instid1(SALU_CYCLE_1)
	v_cmp_ge_u32_e32 vcc_lo, v24, v28
	s_or_b32 s13, vcc_lo, s13
	s_and_not1_b32 exec_lo, exec_lo, s13
	s_cbranch_execz .LBB1605_1077
.LBB1605_1072:                          ; =>This Loop Header: Depth=1
                                        ;     Child Loop BB1605_1075 Depth 2
	v_add_nc_u32_e32 v0, v28, v24
	s_and_not1_b32 vcc_lo, exec_lo, s26
	s_mov_b32 s14, 0
	s_delay_alu instid0(VALU_DEP_1)
	v_lshrrev_b32_e32 v30, 1, v0
	s_cbranch_vccnz .LBB1605_1071
; %bb.1073:                             ;   in Loop: Header=BB1605_1072 Depth=1
	s_delay_alu instid0(VALU_DEP_1) | instskip(SKIP_3) | instid1(VALU_DEP_2)
	v_not_b32_e32 v0, v30
	v_lshl_add_u32 v1, v30, 3, v25
	s_mov_b32 s15, 0
	s_mov_b64 s[10:11], s[16:17]
                                        ; implicit-def: $sgpr14
                                        ; implicit-def: $sgpr22
                                        ; implicit-def: $sgpr23
                                        ; implicit-def: $sgpr27
	v_lshl_add_u32 v0, v0, 3, v29
	ds_load_b64 v[32:33], v0
	ds_load_b64 v[34:35], v1
	s_wait_dscnt 0x1
	v_mad_nc_u64_u32 v[0:1], s8, v32, s[18:19]
	s_wait_dscnt 0x0
	v_mad_nc_u64_u32 v[22:23], s8, v34, s[18:19]
	s_delay_alu instid0(VALU_DEP_2) | instskip(NEXT) | instid1(VALU_DEP_2)
	v_mad_u32 v1, s9, v32, v1
	v_mad_u32 v23, s9, v34, v23
	s_delay_alu instid0(VALU_DEP_2) | instskip(NEXT) | instid1(VALU_DEP_2)
	v_mad_u32 v1, s8, v33, v1
	v_mad_u32 v23, s8, v35, v23
	s_branch .LBB1605_1075
.LBB1605_1074:                          ;   in Loop: Header=BB1605_1075 Depth=2
	s_or_b32 exec_lo, exec_lo, s28
	s_delay_alu instid0(SALU_CYCLE_1) | instskip(NEXT) | instid1(SALU_CYCLE_1)
	s_and_b32 s28, exec_lo, s22
	s_or_b32 s15, s28, s15
	s_and_not1_b32 s27, s27, exec_lo
	s_and_b32 s7, s7, exec_lo
	s_and_not1_b32 s14, s14, exec_lo
	s_and_b32 s28, s23, exec_lo
	s_or_b32 s27, s27, s7
	s_or_b32 s14, s14, s28
	s_and_not1_b32 exec_lo, exec_lo, s15
	s_cbranch_execz .LBB1605_1070
.LBB1605_1075:                          ;   Parent Loop BB1605_1072 Depth=1
                                        ; =>  This Inner Loop Header: Depth=2
	global_load_b64 v[32:33], v[0:1], off
	global_load_b64 v[34:35], v[22:23], off
	s_and_not1_b32 s23, s23, exec_lo
	s_or_b32 s22, s22, exec_lo
	s_wait_loadcnt 0x0
	v_cmp_le_u64_e32 vcc_lo, v[32:33], v[34:35]
	v_cmp_lt_u64_e64 s7, v[32:33], v[34:35]
	s_and_b32 s28, vcc_lo, s27
	s_delay_alu instid0(SALU_CYCLE_1) | instskip(NEXT) | instid1(SALU_CYCLE_1)
	s_or_b32 s7, s7, s28
	s_and_b32 s28, s7, exec_lo
	s_delay_alu instid0(SALU_CYCLE_1)
	s_or_b32 s23, s23, s28
	s_mov_b32 s28, exec_lo
	v_cmpx_eq_u64_e64 v[32:33], v[34:35]
	s_cbranch_execz .LBB1605_1074
; %bb.1076:                             ;   in Loop: Header=BB1605_1075 Depth=2
	s_add_nc_u64 s[10:11], s[10:11], -1
	v_add_nc_u64_e32 v[0:1], 8, v[0:1]
	s_cmp_eq_u64 s[10:11], 0
	v_add_nc_u64_e32 v[22:23], 8, v[22:23]
	s_cselect_b32 s27, -1, 0
	s_and_not1_b32 s22, s22, exec_lo
	s_and_b32 s27, s27, exec_lo
	s_and_not1_b32 s23, s23, exec_lo
	s_or_b32 s22, s22, s27
                                        ; implicit-def: $sgpr27
	s_branch .LBB1605_1074
.LBB1605_1077:
	s_or_b32 exec_lo, exec_lo, s13
.LBB1605_1078:
	s_delay_alu instid0(SALU_CYCLE_1) | instskip(SKIP_1) | instid1(VALU_DEP_1)
	s_or_b32 exec_lo, exec_lo, s12
	v_dual_add_nc_u32 v0, v47, v27 :: v_dual_add_nc_u32 v22, v24, v26
	v_sub_nc_u32_e32 v23, v0, v24
	s_delay_alu instid0(VALU_DEP_2) | instskip(NEXT) | instid1(VALU_DEP_2)
	v_cmp_le_u32_e32 vcc_lo, v22, v47
	v_cmp_le_u32_e64 s7, v23, v48
	s_or_b32 s7, vcc_lo, s7
	s_delay_alu instid0(SALU_CYCLE_1)
	s_and_saveexec_b32 s10, s7
	s_cbranch_execz .LBB1605_1169
; %bb.1079:
	s_mov_b32 s8, exec_lo
	v_cmp_ge_u32_e32 vcc_lo, v22, v47
                                        ; implicit-def: $vgpr0_vgpr1
	v_cmpx_lt_u32_e64 v22, v47
; %bb.1080:
	v_lshl_add_u32 v0, v24, 3, v25
	ds_load_b64 v[0:1], v0
; %bb.1081:
	s_or_b32 exec_lo, exec_lo, s8
	v_cmp_ge_u32_e64 s11, v23, v48
	s_mov_b32 s8, exec_lo
                                        ; implicit-def: $vgpr2_vgpr3
	v_cmpx_lt_u32_e64 v23, v48
; %bb.1082:
	v_lshl_add_u32 v2, v23, 3, v43
	ds_load_b64 v[2:3], v2
; %bb.1083:
	s_or_b32 exec_lo, exec_lo, s8
	s_nor_b32 s7, vcc_lo, s11
	s_delay_alu instid0(SALU_CYCLE_1)
	s_and_saveexec_b32 s12, s7
	s_cbranch_execz .LBB1605_1092
; %bb.1084:
	s_and_not1_b32 vcc_lo, exec_lo, s26
	s_cbranch_vccnz .LBB1605_1090
; %bb.1085:
	s_wait_dscnt 0x0
	v_mul_u64_e32 v[4:5], s[16:17], v[2:3]
	v_mul_u64_e32 v[6:7], s[16:17], v[0:1]
	s_mov_b32 s13, 0
	s_mov_b64 s[8:9], s[16:17]
                                        ; implicit-def: $sgpr14
                                        ; implicit-def: $sgpr15
                                        ; implicit-def: $sgpr22
                                        ; implicit-def: $sgpr23
	s_delay_alu instid0(VALU_DEP_2) | instskip(NEXT) | instid1(VALU_DEP_2)
	v_lshl_add_u64 v[4:5], v[4:5], 3, s[18:19]
	v_lshl_add_u64 v[6:7], v[6:7], 3, s[18:19]
	s_branch .LBB1605_1087
.LBB1605_1086:                          ;   in Loop: Header=BB1605_1087 Depth=1
	s_or_b32 exec_lo, exec_lo, s27
	s_delay_alu instid0(SALU_CYCLE_1) | instskip(NEXT) | instid1(SALU_CYCLE_1)
	s_and_b32 s27, exec_lo, s15
	s_or_b32 s13, s27, s13
	s_and_not1_b32 s23, s23, exec_lo
	s_and_b32 s7, s7, exec_lo
	s_and_not1_b32 s14, s14, exec_lo
	s_and_b32 s27, s22, exec_lo
	s_or_b32 s23, s23, s7
	s_or_b32 s14, s14, s27
	s_and_not1_b32 exec_lo, exec_lo, s13
	s_cbranch_execz .LBB1605_1089
.LBB1605_1087:                          ; =>This Inner Loop Header: Depth=1
	global_load_b64 v[8:9], v[4:5], off
	global_load_b64 v[10:11], v[6:7], off
	s_and_not1_b32 s22, s22, exec_lo
	s_or_b32 s15, s15, exec_lo
	s_wait_loadcnt 0x0
	v_cmp_le_u64_e32 vcc_lo, v[8:9], v[10:11]
	v_cmp_lt_u64_e64 s7, v[8:9], v[10:11]
	s_and_b32 s27, vcc_lo, s23
	s_delay_alu instid0(SALU_CYCLE_1) | instskip(NEXT) | instid1(SALU_CYCLE_1)
	s_or_b32 s7, s7, s27
	s_and_b32 s27, s7, exec_lo
	s_delay_alu instid0(SALU_CYCLE_1)
	s_or_b32 s22, s22, s27
	s_mov_b32 s27, exec_lo
	v_cmpx_eq_u64_e64 v[8:9], v[10:11]
	s_cbranch_execz .LBB1605_1086
; %bb.1088:                             ;   in Loop: Header=BB1605_1087 Depth=1
	s_add_nc_u64 s[8:9], s[8:9], -1
	v_add_nc_u64_e32 v[4:5], 8, v[4:5]
	s_cmp_eq_u64 s[8:9], 0
	v_add_nc_u64_e32 v[6:7], 8, v[6:7]
	s_cselect_b32 s23, -1, 0
	s_and_not1_b32 s15, s15, exec_lo
	s_and_b32 s23, s23, exec_lo
	s_and_not1_b32 s22, s22, exec_lo
	s_or_b32 s15, s15, s23
                                        ; implicit-def: $sgpr23
	s_branch .LBB1605_1086
.LBB1605_1089:
	s_or_b32 exec_lo, exec_lo, s13
	s_xor_b32 s7, s14, -1
	s_branch .LBB1605_1091
.LBB1605_1090:
	s_mov_b32 s7, -1
.LBB1605_1091:
	s_and_not1_b32 s8, s11, exec_lo
	s_and_b32 s7, s7, exec_lo
	s_delay_alu instid0(SALU_CYCLE_1)
	s_or_b32 s11, s8, s7
.LBB1605_1092:
	s_or_b32 exec_lo, exec_lo, s12
	v_dual_cndmask_b32 v4, v23, v22, s11 :: v_dual_cndmask_b32 v5, v48, v47, s11
	s_mov_b32 s13, -1
	s_mov_b32 s12, -1
	s_mov_b32 s14, exec_lo
	s_delay_alu instid0(VALU_DEP_1) | instskip(NEXT) | instid1(VALU_DEP_1)
	v_add_nc_u32_e32 v4, 1, v4
	v_add_min_u32_e64 v5, v5, -1, v4
	s_delay_alu instid0(VALU_DEP_1)
	v_lshl_add_u32 v5, v5, 3, v43
	ds_load_b64 v[6:7], v5
	s_wait_dscnt 0x0
	v_cndmask_b32_e64 v5, v7, v3, s11
	v_dual_cndmask_b32 v10, v4, v23, s11 :: v_dual_cndmask_b32 v11, v22, v4, s11
	v_dual_cndmask_b32 v4, v6, v2, s11 :: v_dual_cndmask_b32 v15, v1, v7, s11
	v_cndmask_b32_e64 v14, v0, v6, s11
	s_delay_alu instid0(VALU_DEP_3)
	v_cmpx_lt_u32_e64 v10, v48
	s_cbranch_execz .LBB1605_1103
; %bb.1093:
	s_mov_b32 s7, 0
	s_mov_b32 s12, exec_lo
	v_cmpx_lt_u32_e64 v11, v47
	s_cbranch_execz .LBB1605_1102
; %bb.1094:
	s_and_not1_b32 vcc_lo, exec_lo, s26
	s_cbranch_vccnz .LBB1605_1100
; %bb.1095:
	v_mul_u64_e32 v[6:7], s[16:17], v[4:5]
	v_mul_u64_e32 v[8:9], s[16:17], v[14:15]
	s_mov_b32 s15, 0
	s_mov_b64 s[8:9], s[16:17]
                                        ; implicit-def: $sgpr22
                                        ; implicit-def: $sgpr23
                                        ; implicit-def: $sgpr27
                                        ; implicit-def: $sgpr28
	s_delay_alu instid0(VALU_DEP_2) | instskip(NEXT) | instid1(VALU_DEP_2)
	v_lshl_add_u64 v[6:7], v[6:7], 3, s[18:19]
	v_lshl_add_u64 v[8:9], v[8:9], 3, s[18:19]
	s_branch .LBB1605_1097
.LBB1605_1096:                          ;   in Loop: Header=BB1605_1097 Depth=1
	s_or_b32 exec_lo, exec_lo, s29
	s_delay_alu instid0(SALU_CYCLE_1) | instskip(NEXT) | instid1(SALU_CYCLE_1)
	s_and_b32 s29, exec_lo, s23
	s_or_b32 s15, s29, s15
	s_and_not1_b32 s28, s28, exec_lo
	s_and_b32 s7, s7, exec_lo
	s_and_not1_b32 s22, s22, exec_lo
	s_and_b32 s29, s27, exec_lo
	s_or_b32 s28, s28, s7
	s_or_b32 s22, s22, s29
	s_and_not1_b32 exec_lo, exec_lo, s15
	s_cbranch_execz .LBB1605_1099
.LBB1605_1097:                          ; =>This Inner Loop Header: Depth=1
	global_load_b64 v[12:13], v[6:7], off
	global_load_b64 v[16:17], v[8:9], off
	s_and_not1_b32 s27, s27, exec_lo
	s_or_b32 s23, s23, exec_lo
	s_wait_loadcnt 0x0
	v_cmp_le_u64_e32 vcc_lo, v[12:13], v[16:17]
	v_cmp_lt_u64_e64 s7, v[12:13], v[16:17]
	s_and_b32 s29, vcc_lo, s28
	s_delay_alu instid0(SALU_CYCLE_1) | instskip(NEXT) | instid1(SALU_CYCLE_1)
	s_or_b32 s7, s7, s29
	s_and_b32 s29, s7, exec_lo
	s_delay_alu instid0(SALU_CYCLE_1)
	s_or_b32 s27, s27, s29
	s_mov_b32 s29, exec_lo
	v_cmpx_eq_u64_e64 v[12:13], v[16:17]
	s_cbranch_execz .LBB1605_1096
; %bb.1098:                             ;   in Loop: Header=BB1605_1097 Depth=1
	s_add_nc_u64 s[8:9], s[8:9], -1
	v_add_nc_u64_e32 v[6:7], 8, v[6:7]
	s_cmp_eq_u64 s[8:9], 0
	v_add_nc_u64_e32 v[8:9], 8, v[8:9]
	s_cselect_b32 s28, -1, 0
	s_and_not1_b32 s23, s23, exec_lo
	s_and_b32 s28, s28, exec_lo
	s_and_not1_b32 s27, s27, exec_lo
	s_or_b32 s23, s23, s28
                                        ; implicit-def: $sgpr28
	s_branch .LBB1605_1096
.LBB1605_1099:
	s_or_b32 exec_lo, exec_lo, s15
	s_xor_b32 s7, s22, -1
	s_branch .LBB1605_1101
.LBB1605_1100:
	s_mov_b32 s7, -1
.LBB1605_1101:
	s_delay_alu instid0(SALU_CYCLE_1)
	s_and_b32 s7, s7, exec_lo
.LBB1605_1102:
	s_or_b32 exec_lo, exec_lo, s12
	s_delay_alu instid0(SALU_CYCLE_1)
	s_or_not1_b32 s12, s7, exec_lo
.LBB1605_1103:
	s_or_b32 exec_lo, exec_lo, s14
	v_cndmask_b32_e64 v6, v10, v11, s12
	v_cndmask_b32_e64 v7, v48, v47, s12
	s_mov_b32 s14, exec_lo
	s_delay_alu instid0(VALU_DEP_2) | instskip(NEXT) | instid1(VALU_DEP_1)
	v_add_nc_u32_e32 v8, 1, v6
	v_add_min_u32_e64 v6, v7, -1, v8
	v_cndmask_b32_e64 v12, v8, v10, s12
	s_delay_alu instid0(VALU_DEP_2)
	v_lshl_add_u32 v6, v6, 3, v43
	ds_load_b64 v[6:7], v6
	s_wait_dscnt 0x0
	v_dual_cndmask_b32 v13, v11, v8, s12 :: v_dual_cndmask_b32 v16, v14, v6, s12
	v_dual_cndmask_b32 v11, v7, v5, s12 :: v_dual_cndmask_b32 v10, v6, v4, s12
	v_cndmask_b32_e64 v17, v15, v7, s12
	v_cmpx_lt_u32_e64 v12, v48
	s_cbranch_execz .LBB1605_1114
; %bb.1104:
	s_mov_b32 s7, 0
	s_mov_b32 s13, exec_lo
	v_cmpx_lt_u32_e64 v13, v47
	s_cbranch_execz .LBB1605_1113
; %bb.1105:
	s_and_not1_b32 vcc_lo, exec_lo, s26
	s_cbranch_vccnz .LBB1605_1111
; %bb.1106:
	v_mul_u64_e32 v[6:7], s[16:17], v[10:11]
	v_mul_u64_e32 v[8:9], s[16:17], v[16:17]
	s_mov_b32 s15, 0
	s_mov_b64 s[8:9], s[16:17]
                                        ; implicit-def: $sgpr22
                                        ; implicit-def: $sgpr23
                                        ; implicit-def: $sgpr27
                                        ; implicit-def: $sgpr28
	s_delay_alu instid0(VALU_DEP_2) | instskip(NEXT) | instid1(VALU_DEP_2)
	v_lshl_add_u64 v[6:7], v[6:7], 3, s[18:19]
	v_lshl_add_u64 v[8:9], v[8:9], 3, s[18:19]
	s_branch .LBB1605_1108
.LBB1605_1107:                          ;   in Loop: Header=BB1605_1108 Depth=1
	s_or_b32 exec_lo, exec_lo, s29
	s_delay_alu instid0(SALU_CYCLE_1) | instskip(NEXT) | instid1(SALU_CYCLE_1)
	s_and_b32 s29, exec_lo, s23
	s_or_b32 s15, s29, s15
	s_and_not1_b32 s28, s28, exec_lo
	s_and_b32 s7, s7, exec_lo
	s_and_not1_b32 s22, s22, exec_lo
	s_and_b32 s29, s27, exec_lo
	s_or_b32 s28, s28, s7
	s_or_b32 s22, s22, s29
	s_and_not1_b32 exec_lo, exec_lo, s15
	s_cbranch_execz .LBB1605_1110
.LBB1605_1108:                          ; =>This Inner Loop Header: Depth=1
	global_load_b64 v[22:23], v[6:7], off
	global_load_b64 v[24:25], v[8:9], off
	s_and_not1_b32 s27, s27, exec_lo
	s_or_b32 s23, s23, exec_lo
	s_wait_loadcnt 0x0
	v_cmp_le_u64_e32 vcc_lo, v[22:23], v[24:25]
	v_cmp_lt_u64_e64 s7, v[22:23], v[24:25]
	s_and_b32 s29, vcc_lo, s28
	s_delay_alu instid0(SALU_CYCLE_1) | instskip(NEXT) | instid1(SALU_CYCLE_1)
	s_or_b32 s7, s7, s29
	s_and_b32 s29, s7, exec_lo
	s_delay_alu instid0(SALU_CYCLE_1)
	s_or_b32 s27, s27, s29
	s_mov_b32 s29, exec_lo
	v_cmpx_eq_u64_e64 v[22:23], v[24:25]
	s_cbranch_execz .LBB1605_1107
; %bb.1109:                             ;   in Loop: Header=BB1605_1108 Depth=1
	s_add_nc_u64 s[8:9], s[8:9], -1
	v_add_nc_u64_e32 v[6:7], 8, v[6:7]
	s_cmp_eq_u64 s[8:9], 0
	v_add_nc_u64_e32 v[8:9], 8, v[8:9]
	s_cselect_b32 s28, -1, 0
	s_and_not1_b32 s23, s23, exec_lo
	s_and_b32 s28, s28, exec_lo
	s_and_not1_b32 s27, s27, exec_lo
	s_or_b32 s23, s23, s28
                                        ; implicit-def: $sgpr28
	s_branch .LBB1605_1107
.LBB1605_1110:
	s_or_b32 exec_lo, exec_lo, s15
	s_xor_b32 s7, s22, -1
	s_branch .LBB1605_1112
.LBB1605_1111:
	s_mov_b32 s7, -1
.LBB1605_1112:
	s_delay_alu instid0(SALU_CYCLE_1)
	s_and_b32 s7, s7, exec_lo
.LBB1605_1113:
	s_or_b32 exec_lo, exec_lo, s13
	s_delay_alu instid0(SALU_CYCLE_1)
	s_or_not1_b32 s13, s7, exec_lo
.LBB1605_1114:
	s_or_b32 exec_lo, exec_lo, s14
	v_cndmask_b32_e64 v6, v12, v13, s13
	v_cndmask_b32_e64 v7, v48, v47, s13
	s_mov_b32 s15, -1
	s_mov_b32 s14, -1
	s_mov_b32 s22, exec_lo
	v_add_nc_u32_e32 v8, 1, v6
	s_delay_alu instid0(VALU_DEP_1) | instskip(SKIP_1) | instid1(VALU_DEP_2)
	v_add_min_u32_e64 v6, v7, -1, v8
	v_cndmask_b32_e64 v25, v13, v8, s13
	v_lshl_add_u32 v6, v6, 3, v43
	ds_load_b64 v[6:7], v6
	s_wait_dscnt 0x0
	v_dual_cndmask_b32 v24, v8, v12, s13 :: v_dual_cndmask_b32 v13, v7, v11, s13
	v_dual_cndmask_b32 v12, v6, v10, s13 :: v_dual_cndmask_b32 v23, v17, v7, s13
	v_cndmask_b32_e64 v22, v16, v6, s13
	s_delay_alu instid0(VALU_DEP_3)
	v_cmpx_lt_u32_e64 v24, v48
	s_cbranch_execz .LBB1605_1125
; %bb.1115:
	s_mov_b32 s7, 0
	s_mov_b32 s14, exec_lo
	v_cmpx_lt_u32_e64 v25, v47
	s_cbranch_execz .LBB1605_1124
; %bb.1116:
	s_and_not1_b32 vcc_lo, exec_lo, s26
	s_cbranch_vccnz .LBB1605_1122
; %bb.1117:
	v_mul_u64_e32 v[6:7], s[16:17], v[12:13]
	v_mul_u64_e32 v[8:9], s[16:17], v[22:23]
	s_mov_b32 s23, 0
	s_mov_b64 s[8:9], s[16:17]
                                        ; implicit-def: $sgpr27
                                        ; implicit-def: $sgpr28
                                        ; implicit-def: $sgpr29
                                        ; implicit-def: $sgpr30
	s_delay_alu instid0(VALU_DEP_2) | instskip(NEXT) | instid1(VALU_DEP_2)
	v_lshl_add_u64 v[6:7], v[6:7], 3, s[18:19]
	v_lshl_add_u64 v[8:9], v[8:9], 3, s[18:19]
	s_branch .LBB1605_1119
.LBB1605_1118:                          ;   in Loop: Header=BB1605_1119 Depth=1
	s_or_b32 exec_lo, exec_lo, s31
	s_delay_alu instid0(SALU_CYCLE_1) | instskip(NEXT) | instid1(SALU_CYCLE_1)
	s_and_b32 s31, exec_lo, s28
	s_or_b32 s23, s31, s23
	s_and_not1_b32 s30, s30, exec_lo
	s_and_b32 s7, s7, exec_lo
	s_and_not1_b32 s27, s27, exec_lo
	s_and_b32 s31, s29, exec_lo
	s_or_b32 s30, s30, s7
	s_or_b32 s27, s27, s31
	s_and_not1_b32 exec_lo, exec_lo, s23
	s_cbranch_execz .LBB1605_1121
.LBB1605_1119:                          ; =>This Inner Loop Header: Depth=1
	global_load_b64 v[26:27], v[6:7], off
	global_load_b64 v[28:29], v[8:9], off
	s_and_not1_b32 s29, s29, exec_lo
	s_or_b32 s28, s28, exec_lo
	s_wait_loadcnt 0x0
	v_cmp_le_u64_e32 vcc_lo, v[26:27], v[28:29]
	v_cmp_lt_u64_e64 s7, v[26:27], v[28:29]
	s_and_b32 s31, vcc_lo, s30
	s_delay_alu instid0(SALU_CYCLE_1) | instskip(NEXT) | instid1(SALU_CYCLE_1)
	s_or_b32 s7, s7, s31
	s_and_b32 s31, s7, exec_lo
	s_delay_alu instid0(SALU_CYCLE_1)
	s_or_b32 s29, s29, s31
	s_mov_b32 s31, exec_lo
	v_cmpx_eq_u64_e64 v[26:27], v[28:29]
	s_cbranch_execz .LBB1605_1118
; %bb.1120:                             ;   in Loop: Header=BB1605_1119 Depth=1
	s_add_nc_u64 s[8:9], s[8:9], -1
	v_add_nc_u64_e32 v[6:7], 8, v[6:7]
	s_cmp_eq_u64 s[8:9], 0
	v_add_nc_u64_e32 v[8:9], 8, v[8:9]
	s_cselect_b32 s30, -1, 0
	s_and_not1_b32 s28, s28, exec_lo
	s_and_b32 s30, s30, exec_lo
	s_and_not1_b32 s29, s29, exec_lo
	s_or_b32 s28, s28, s30
                                        ; implicit-def: $sgpr30
	s_branch .LBB1605_1118
.LBB1605_1121:
	s_or_b32 exec_lo, exec_lo, s23
	s_xor_b32 s7, s27, -1
	s_branch .LBB1605_1123
.LBB1605_1122:
	s_mov_b32 s7, -1
.LBB1605_1123:
	s_delay_alu instid0(SALU_CYCLE_1)
	s_and_b32 s7, s7, exec_lo
.LBB1605_1124:
	s_or_b32 exec_lo, exec_lo, s14
	s_delay_alu instid0(SALU_CYCLE_1)
	s_or_not1_b32 s14, s7, exec_lo
.LBB1605_1125:
	s_or_b32 exec_lo, exec_lo, s22
	v_cndmask_b32_e64 v6, v24, v25, s14
	v_cndmask_b32_e64 v7, v48, v47, s14
	s_mov_b32 s22, exec_lo
	s_delay_alu instid0(VALU_DEP_2) | instskip(NEXT) | instid1(VALU_DEP_1)
	v_add_nc_u32_e32 v6, 1, v6
	v_add_min_u32_e64 v7, v7, -1, v6
	v_dual_cndmask_b32 v28, v6, v24, s14 :: v_dual_cndmask_b32 v29, v25, v6, s14
	s_delay_alu instid0(VALU_DEP_2)
	v_lshl_add_u32 v7, v7, 3, v43
	ds_load_b64 v[8:9], v7
	s_wait_dscnt 0x0
	v_dual_cndmask_b32 v7, v9, v13, s14 :: v_dual_cndmask_b32 v6, v8, v12, s14
	v_dual_cndmask_b32 v25, v23, v9, s14 :: v_dual_cndmask_b32 v24, v22, v8, s14
	v_cmpx_lt_u32_e64 v28, v48
	s_cbranch_execz .LBB1605_1136
; %bb.1126:
	s_mov_b32 s7, 0
	s_mov_b32 s15, exec_lo
	v_cmpx_lt_u32_e64 v29, v47
	s_cbranch_execz .LBB1605_1135
; %bb.1127:
	s_and_not1_b32 vcc_lo, exec_lo, s26
	s_cbranch_vccnz .LBB1605_1133
; %bb.1128:
	v_mul_u64_e32 v[8:9], s[16:17], v[6:7]
	v_mul_u64_e32 v[26:27], s[16:17], v[24:25]
	s_mov_b32 s23, 0
	s_mov_b64 s[8:9], s[16:17]
                                        ; implicit-def: $sgpr27
                                        ; implicit-def: $sgpr28
                                        ; implicit-def: $sgpr29
                                        ; implicit-def: $sgpr30
	s_delay_alu instid0(VALU_DEP_2) | instskip(NEXT) | instid1(VALU_DEP_2)
	v_lshl_add_u64 v[8:9], v[8:9], 3, s[18:19]
	v_lshl_add_u64 v[26:27], v[26:27], 3, s[18:19]
	s_branch .LBB1605_1130
.LBB1605_1129:                          ;   in Loop: Header=BB1605_1130 Depth=1
	s_or_b32 exec_lo, exec_lo, s31
	s_delay_alu instid0(SALU_CYCLE_1) | instskip(NEXT) | instid1(SALU_CYCLE_1)
	s_and_b32 s31, exec_lo, s28
	s_or_b32 s23, s31, s23
	s_and_not1_b32 s30, s30, exec_lo
	s_and_b32 s7, s7, exec_lo
	s_and_not1_b32 s27, s27, exec_lo
	s_and_b32 s31, s29, exec_lo
	s_or_b32 s30, s30, s7
	s_or_b32 s27, s27, s31
	s_and_not1_b32 exec_lo, exec_lo, s23
	s_cbranch_execz .LBB1605_1132
.LBB1605_1130:                          ; =>This Inner Loop Header: Depth=1
	global_load_b64 v[30:31], v[8:9], off
	global_load_b64 v[32:33], v[26:27], off
	s_and_not1_b32 s29, s29, exec_lo
	s_or_b32 s28, s28, exec_lo
	s_wait_loadcnt 0x0
	v_cmp_le_u64_e32 vcc_lo, v[30:31], v[32:33]
	v_cmp_lt_u64_e64 s7, v[30:31], v[32:33]
	s_and_b32 s31, vcc_lo, s30
	s_delay_alu instid0(SALU_CYCLE_1) | instskip(NEXT) | instid1(SALU_CYCLE_1)
	s_or_b32 s7, s7, s31
	s_and_b32 s31, s7, exec_lo
	s_delay_alu instid0(SALU_CYCLE_1)
	s_or_b32 s29, s29, s31
	s_mov_b32 s31, exec_lo
	v_cmpx_eq_u64_e64 v[30:31], v[32:33]
	s_cbranch_execz .LBB1605_1129
; %bb.1131:                             ;   in Loop: Header=BB1605_1130 Depth=1
	s_add_nc_u64 s[8:9], s[8:9], -1
	v_add_nc_u64_e32 v[8:9], 8, v[8:9]
	s_cmp_eq_u64 s[8:9], 0
	v_add_nc_u64_e32 v[26:27], 8, v[26:27]
	s_cselect_b32 s30, -1, 0
	s_and_not1_b32 s28, s28, exec_lo
	s_and_b32 s30, s30, exec_lo
	s_and_not1_b32 s29, s29, exec_lo
	s_or_b32 s28, s28, s30
                                        ; implicit-def: $sgpr30
	s_branch .LBB1605_1129
.LBB1605_1132:
	s_or_b32 exec_lo, exec_lo, s23
	s_xor_b32 s7, s27, -1
	s_branch .LBB1605_1134
.LBB1605_1133:
	s_mov_b32 s7, -1
.LBB1605_1134:
	s_delay_alu instid0(SALU_CYCLE_1)
	s_and_b32 s7, s7, exec_lo
.LBB1605_1135:
	s_or_b32 exec_lo, exec_lo, s15
	s_delay_alu instid0(SALU_CYCLE_1)
	s_or_not1_b32 s15, s7, exec_lo
.LBB1605_1136:
	s_or_b32 exec_lo, exec_lo, s22
	v_cndmask_b32_e64 v8, v28, v29, s15
	v_cndmask_b32_e64 v9, v48, v47, s15
	s_mov_b32 s22, -1
	s_mov_b32 s23, -1
	s_mov_b32 s27, exec_lo
	v_add_nc_u32_e32 v8, 1, v8
	s_delay_alu instid0(VALU_DEP_1) | instskip(NEXT) | instid1(VALU_DEP_1)
	v_add_min_u32_e64 v9, v9, -1, v8
	v_lshl_add_u32 v9, v9, 3, v43
	ds_load_b64 v[26:27], v9
	v_cndmask_b32_e64 v32, v8, v28, s15
	s_wait_dscnt 0x0
	v_dual_cndmask_b32 v33, v29, v8, s15 :: v_dual_cndmask_b32 v9, v27, v7, s15
	v_dual_cndmask_b32 v8, v26, v6, s15 :: v_dual_cndmask_b32 v27, v25, v27, s15
	v_cndmask_b32_e64 v26, v24, v26, s15
	v_cmpx_lt_u32_e64 v32, v48
	s_cbranch_execz .LBB1605_1147
; %bb.1137:
	s_mov_b32 s7, 0
	s_mov_b32 s23, exec_lo
	v_cmpx_lt_u32_e64 v33, v47
	s_cbranch_execz .LBB1605_1146
; %bb.1138:
	s_and_not1_b32 vcc_lo, exec_lo, s26
	s_cbranch_vccnz .LBB1605_1144
; %bb.1139:
	v_mul_u64_e32 v[28:29], s[16:17], v[8:9]
	v_mul_u64_e32 v[30:31], s[16:17], v[26:27]
	s_mov_b32 s28, 0
	s_mov_b64 s[8:9], s[16:17]
                                        ; implicit-def: $sgpr29
                                        ; implicit-def: $sgpr30
                                        ; implicit-def: $sgpr31
                                        ; implicit-def: $sgpr33
	s_delay_alu instid0(VALU_DEP_2) | instskip(NEXT) | instid1(VALU_DEP_2)
	v_lshl_add_u64 v[28:29], v[28:29], 3, s[18:19]
	v_lshl_add_u64 v[30:31], v[30:31], 3, s[18:19]
	s_branch .LBB1605_1141
.LBB1605_1140:                          ;   in Loop: Header=BB1605_1141 Depth=1
	s_or_b32 exec_lo, exec_lo, s34
	s_delay_alu instid0(SALU_CYCLE_1) | instskip(NEXT) | instid1(SALU_CYCLE_1)
	s_and_b32 s34, exec_lo, s30
	s_or_b32 s28, s34, s28
	s_and_not1_b32 s33, s33, exec_lo
	s_and_b32 s7, s7, exec_lo
	s_and_not1_b32 s29, s29, exec_lo
	s_and_b32 s34, s31, exec_lo
	s_or_b32 s33, s33, s7
	s_or_b32 s29, s29, s34
	s_and_not1_b32 exec_lo, exec_lo, s28
	s_cbranch_execz .LBB1605_1143
.LBB1605_1141:                          ; =>This Inner Loop Header: Depth=1
	global_load_b64 v[34:35], v[28:29], off
	global_load_b64 v[50:51], v[30:31], off
	s_and_not1_b32 s31, s31, exec_lo
	s_or_b32 s30, s30, exec_lo
	s_wait_loadcnt 0x0
	v_cmp_le_u64_e32 vcc_lo, v[34:35], v[50:51]
	v_cmp_lt_u64_e64 s7, v[34:35], v[50:51]
	s_and_b32 s34, vcc_lo, s33
	s_delay_alu instid0(SALU_CYCLE_1) | instskip(NEXT) | instid1(SALU_CYCLE_1)
	s_or_b32 s7, s7, s34
	s_and_b32 s34, s7, exec_lo
	s_delay_alu instid0(SALU_CYCLE_1)
	s_or_b32 s31, s31, s34
	s_mov_b32 s34, exec_lo
	v_cmpx_eq_u64_e64 v[34:35], v[50:51]
	s_cbranch_execz .LBB1605_1140
; %bb.1142:                             ;   in Loop: Header=BB1605_1141 Depth=1
	s_add_nc_u64 s[8:9], s[8:9], -1
	v_add_nc_u64_e32 v[28:29], 8, v[28:29]
	s_cmp_eq_u64 s[8:9], 0
	v_add_nc_u64_e32 v[30:31], 8, v[30:31]
	s_cselect_b32 s33, -1, 0
	s_and_not1_b32 s30, s30, exec_lo
	s_and_b32 s33, s33, exec_lo
	s_and_not1_b32 s31, s31, exec_lo
	s_or_b32 s30, s30, s33
                                        ; implicit-def: $sgpr33
	s_branch .LBB1605_1140
.LBB1605_1143:
	s_or_b32 exec_lo, exec_lo, s28
	s_xor_b32 s7, s29, -1
	s_branch .LBB1605_1145
.LBB1605_1144:
	s_mov_b32 s7, -1
.LBB1605_1145:
	s_delay_alu instid0(SALU_CYCLE_1)
	s_and_b32 s7, s7, exec_lo
.LBB1605_1146:
	s_or_b32 exec_lo, exec_lo, s23
	s_delay_alu instid0(SALU_CYCLE_1)
	s_or_not1_b32 s23, s7, exec_lo
.LBB1605_1147:
	s_or_b32 exec_lo, exec_lo, s27
	v_cndmask_b32_e64 v28, v32, v33, s23
	v_cndmask_b32_e64 v29, v48, v47, s23
	s_mov_b32 s27, exec_lo
	s_delay_alu instid0(VALU_DEP_2) | instskip(NEXT) | instid1(VALU_DEP_1)
	v_add_nc_u32_e32 v28, 1, v28
	v_add_min_u32_e64 v29, v29, -1, v28
	s_delay_alu instid0(VALU_DEP_1)
	v_lshl_add_u32 v29, v29, 3, v43
	ds_load_b64 v[30:31], v29
	v_cndmask_b32_e64 v50, v28, v32, s23
	s_wait_dscnt 0x0
	v_dual_cndmask_b32 v49, v33, v28, s23 :: v_dual_cndmask_b32 v29, v31, v9, s23
	v_dual_cndmask_b32 v28, v30, v8, s23 :: v_dual_cndmask_b32 v31, v27, v31, s23
	v_cndmask_b32_e64 v30, v26, v30, s23
	v_cmpx_lt_u32_e64 v50, v48
	s_cbranch_execz .LBB1605_1158
; %bb.1148:
	s_mov_b32 s7, 0
	s_mov_b32 s22, exec_lo
	v_cmpx_lt_u32_e64 v49, v47
	s_cbranch_execz .LBB1605_1157
; %bb.1149:
	s_and_not1_b32 vcc_lo, exec_lo, s26
	s_cbranch_vccnz .LBB1605_1155
; %bb.1150:
	v_mul_u64_e32 v[32:33], s[16:17], v[28:29]
	v_mul_u64_e32 v[34:35], s[16:17], v[30:31]
	s_mov_b32 s28, 0
	s_mov_b64 s[8:9], s[16:17]
                                        ; implicit-def: $sgpr29
                                        ; implicit-def: $sgpr30
                                        ; implicit-def: $sgpr31
                                        ; implicit-def: $sgpr33
	s_delay_alu instid0(VALU_DEP_2) | instskip(NEXT) | instid1(VALU_DEP_2)
	v_lshl_add_u64 v[32:33], v[32:33], 3, s[18:19]
	v_lshl_add_u64 v[34:35], v[34:35], 3, s[18:19]
	s_branch .LBB1605_1152
.LBB1605_1151:                          ;   in Loop: Header=BB1605_1152 Depth=1
	s_or_b32 exec_lo, exec_lo, s34
	s_delay_alu instid0(SALU_CYCLE_1) | instskip(NEXT) | instid1(SALU_CYCLE_1)
	s_and_b32 s34, exec_lo, s30
	s_or_b32 s28, s34, s28
	s_and_not1_b32 s33, s33, exec_lo
	s_and_b32 s7, s7, exec_lo
	s_and_not1_b32 s29, s29, exec_lo
	s_and_b32 s34, s31, exec_lo
	s_or_b32 s33, s33, s7
	s_or_b32 s29, s29, s34
	s_and_not1_b32 exec_lo, exec_lo, s28
	s_cbranch_execz .LBB1605_1154
.LBB1605_1152:                          ; =>This Inner Loop Header: Depth=1
	global_load_b64 v[52:53], v[32:33], off
	global_load_b64 v[54:55], v[34:35], off
	s_and_not1_b32 s31, s31, exec_lo
	s_or_b32 s30, s30, exec_lo
	s_wait_loadcnt 0x0
	v_cmp_le_u64_e32 vcc_lo, v[52:53], v[54:55]
	v_cmp_lt_u64_e64 s7, v[52:53], v[54:55]
	s_and_b32 s34, vcc_lo, s33
	s_delay_alu instid0(SALU_CYCLE_1) | instskip(NEXT) | instid1(SALU_CYCLE_1)
	s_or_b32 s7, s7, s34
	s_and_b32 s34, s7, exec_lo
	s_delay_alu instid0(SALU_CYCLE_1)
	s_or_b32 s31, s31, s34
	s_mov_b32 s34, exec_lo
	v_cmpx_eq_u64_e64 v[52:53], v[54:55]
	s_cbranch_execz .LBB1605_1151
; %bb.1153:                             ;   in Loop: Header=BB1605_1152 Depth=1
	s_add_nc_u64 s[8:9], s[8:9], -1
	v_add_nc_u64_e32 v[32:33], 8, v[32:33]
	s_cmp_eq_u64 s[8:9], 0
	v_add_nc_u64_e32 v[34:35], 8, v[34:35]
	s_cselect_b32 s33, -1, 0
	s_and_not1_b32 s30, s30, exec_lo
	s_and_b32 s33, s33, exec_lo
	s_and_not1_b32 s31, s31, exec_lo
	s_or_b32 s30, s30, s33
                                        ; implicit-def: $sgpr33
	s_branch .LBB1605_1151
.LBB1605_1154:
	s_or_b32 exec_lo, exec_lo, s28
	s_xor_b32 s7, s29, -1
	s_branch .LBB1605_1156
.LBB1605_1155:
	s_mov_b32 s7, -1
.LBB1605_1156:
	s_delay_alu instid0(SALU_CYCLE_1)
	s_and_b32 s7, s7, exec_lo
.LBB1605_1157:
	s_or_b32 exec_lo, exec_lo, s22
	s_delay_alu instid0(SALU_CYCLE_1)
	s_or_not1_b32 s22, s7, exec_lo
.LBB1605_1158:
	s_or_b32 exec_lo, exec_lo, s27
	v_dual_cndmask_b32 v32, v50, v49, s22 :: v_dual_cndmask_b32 v33, v48, v47, s22
	v_dual_cndmask_b32 v8, v8, v26, s23 :: v_dual_cndmask_b32 v7, v7, v25, s15
	v_dual_cndmask_b32 v6, v6, v24, s15 :: v_dual_cndmask_b32 v13, v13, v23, s14
	s_delay_alu instid0(VALU_DEP_3) | instskip(SKIP_2) | instid1(VALU_DEP_3)
	v_dual_add_nc_u32 v34, 1, v32 :: v_dual_cndmask_b32 v9, v9, v27, s23
	v_dual_cndmask_b32 v12, v12, v22, s14 :: v_dual_cndmask_b32 v11, v11, v17, s13
	v_dual_cndmask_b32 v10, v10, v16, s13 :: v_dual_cndmask_b32 v17, v5, v15, s12
	v_add_min_u32_e64 v32, v33, -1, v34
	v_dual_cndmask_b32 v16, v4, v14, s12 :: v_dual_cndmask_b32 v15, v3, v1, s11
	v_dual_cndmask_b32 v14, v2, v0, s11 :: v_dual_cndmask_b32 v3, v29, v31, s22
	s_delay_alu instid0(VALU_DEP_3)
	v_lshl_add_u32 v32, v32, 3, v43
	s_mov_b32 s11, exec_lo
	ds_load_b64 v[32:33], v32
	v_cndmask_b32_e64 v0, v34, v50, s22
	s_wait_dscnt 0x0
	v_dual_cndmask_b32 v2, v28, v30, s22 :: v_dual_cndmask_b32 v4, v30, v32, s22
	v_cndmask_b32_e64 v5, v31, v33, s22
	s_delay_alu instid0(VALU_DEP_3)
	v_cmpx_lt_u32_e64 v0, v48
	s_cbranch_execz .LBB1605_1168
; %bb.1159:
	v_dual_cndmask_b32 v22, v49, v34, s22 :: v_dual_cndmask_b32 v0, v32, v28, s22
	v_cndmask_b32_e64 v1, v33, v29, s22
	s_mov_b32 s12, exec_lo
	s_delay_alu instid0(VALU_DEP_2)
	v_cmpx_lt_u32_e64 v22, v47
	s_cbranch_execz .LBB1605_1167
; %bb.1160:
	s_and_not1_b32 vcc_lo, exec_lo, s26
	s_cbranch_vccnz .LBB1605_1166
; %bb.1161:
	v_mul_u64_e32 v[22:23], s[16:17], v[0:1]
	v_mul_u64_e32 v[24:25], s[16:17], v[4:5]
	s_mov_b32 s13, 0
	s_mov_b64 s[8:9], s[16:17]
                                        ; implicit-def: $sgpr14
                                        ; implicit-def: $sgpr15
                                        ; implicit-def: $sgpr22
                                        ; implicit-def: $sgpr23
	s_delay_alu instid0(VALU_DEP_2) | instskip(NEXT) | instid1(VALU_DEP_2)
	v_lshl_add_u64 v[22:23], v[22:23], 3, s[18:19]
	v_lshl_add_u64 v[24:25], v[24:25], 3, s[18:19]
	s_branch .LBB1605_1163
.LBB1605_1162:                          ;   in Loop: Header=BB1605_1163 Depth=1
	s_or_b32 exec_lo, exec_lo, s27
	s_delay_alu instid0(SALU_CYCLE_1) | instskip(NEXT) | instid1(SALU_CYCLE_1)
	s_and_b32 s27, exec_lo, s15
	s_or_b32 s13, s27, s13
	s_and_not1_b32 s23, s23, exec_lo
	s_and_b32 s7, s7, exec_lo
	s_and_not1_b32 s14, s14, exec_lo
	s_and_b32 s27, s22, exec_lo
	s_or_b32 s23, s23, s7
	s_or_b32 s14, s14, s27
	s_and_not1_b32 exec_lo, exec_lo, s13
	s_cbranch_execz .LBB1605_1165
.LBB1605_1163:                          ; =>This Inner Loop Header: Depth=1
	global_load_b64 v[26:27], v[22:23], off
	global_load_b64 v[28:29], v[24:25], off
	s_and_not1_b32 s22, s22, exec_lo
	s_or_b32 s15, s15, exec_lo
	s_wait_loadcnt 0x0
	v_cmp_le_u64_e32 vcc_lo, v[26:27], v[28:29]
	v_cmp_lt_u64_e64 s7, v[26:27], v[28:29]
	s_and_b32 s27, vcc_lo, s23
	s_delay_alu instid0(SALU_CYCLE_1) | instskip(NEXT) | instid1(SALU_CYCLE_1)
	s_or_b32 s7, s7, s27
	s_and_b32 s27, s7, exec_lo
	s_delay_alu instid0(SALU_CYCLE_1)
	s_or_b32 s22, s22, s27
	s_mov_b32 s27, exec_lo
	v_cmpx_eq_u64_e64 v[26:27], v[28:29]
	s_cbranch_execz .LBB1605_1162
; %bb.1164:                             ;   in Loop: Header=BB1605_1163 Depth=1
	s_add_nc_u64 s[8:9], s[8:9], -1
	v_add_nc_u64_e32 v[22:23], 8, v[22:23]
	s_cmp_eq_u64 s[8:9], 0
	v_add_nc_u64_e32 v[24:25], 8, v[24:25]
	s_cselect_b32 s23, -1, 0
	s_and_not1_b32 s15, s15, exec_lo
	s_and_b32 s23, s23, exec_lo
	s_and_not1_b32 s22, s22, exec_lo
	s_or_b32 s15, s15, s23
                                        ; implicit-def: $sgpr23
	s_branch .LBB1605_1162
.LBB1605_1165:
	s_or_b32 exec_lo, exec_lo, s13
	v_dual_cndmask_b32 v5, v5, v1, s14 :: v_dual_cndmask_b32 v4, v4, v0, s14
.LBB1605_1166:
	s_delay_alu instid0(VALU_DEP_1)
	v_mov_b64_e32 v[0:1], v[4:5]
.LBB1605_1167:
	s_or_b32 exec_lo, exec_lo, s12
	s_delay_alu instid0(VALU_DEP_1)
	v_mov_b64_e32 v[4:5], v[0:1]
.LBB1605_1168:
	s_or_b32 exec_lo, exec_lo, s11
.LBB1605_1169:
	s_delay_alu instid0(SALU_CYCLE_1)
	s_or_b32 exec_lo, exec_lo, s10
	v_and_b32_e32 v26, 0xc0, v45
	s_mov_b32 s12, exec_lo
	; wave barrier
	ds_store_b128 v46, v[14:17]
	ds_store_b128 v46, v[10:13] offset:16
	v_or_b32_e32 v0, 32, v26
	v_lshl_add_u32 v25, v26, 3, v43
	ds_store_b128 v46, v[6:9] offset:32
	ds_store_b128 v46, v[2:5] offset:48
	; wave barrier
	v_min_u32_e32 v47, v44, v0
	v_and_b32_e32 v0, 56, v45
	s_delay_alu instid0(VALU_DEP_2) | instskip(NEXT) | instid1(VALU_DEP_2)
	v_add_min_u32_e64 v48, v47, 32, v44
	v_min_u32_e32 v27, v44, v0
	s_delay_alu instid0(VALU_DEP_2) | instskip(NEXT) | instid1(VALU_DEP_1)
	v_dual_sub_nc_u32 v1, v47, v26 :: v_dual_sub_nc_u32 v0, v48, v47
	v_min_u32_e32 v28, v27, v1
	s_delay_alu instid0(VALU_DEP_2) | instskip(NEXT) | instid1(VALU_DEP_1)
	v_sub_nc_u32_e64 v24, v27, v0 clamp
	v_cmpx_lt_u32_e64 v24, v28
	s_cbranch_execz .LBB1605_1179
; %bb.1170:
	v_lshlrev_b32_e32 v0, 3, v47
	v_lshlrev_b32_e32 v1, 3, v27
	s_lshl_b64 s[8:9], s[16:17], 3
	s_mov_b32 s13, 0
	s_delay_alu instid0(VALU_DEP_1)
	v_add3_u32 v29, v43, v0, v1
	s_branch .LBB1605_1173
.LBB1605_1171:                          ;   in Loop: Header=BB1605_1173 Depth=1
	s_or_b32 exec_lo, exec_lo, s15
.LBB1605_1172:                          ;   in Loop: Header=BB1605_1173 Depth=1
	s_delay_alu instid0(VALU_DEP_1) | instskip(NEXT) | instid1(VALU_DEP_1)
	v_dual_add_nc_u32 v0, 1, v30 :: v_dual_cndmask_b32 v28, v28, v30, s14
	v_cndmask_b32_e64 v24, v0, v24, s14
	s_delay_alu instid0(VALU_DEP_1) | instskip(SKIP_1) | instid1(SALU_CYCLE_1)
	v_cmp_ge_u32_e32 vcc_lo, v24, v28
	s_or_b32 s13, vcc_lo, s13
	s_and_not1_b32 exec_lo, exec_lo, s13
	s_cbranch_execz .LBB1605_1178
.LBB1605_1173:                          ; =>This Loop Header: Depth=1
                                        ;     Child Loop BB1605_1176 Depth 2
	v_add_nc_u32_e32 v0, v28, v24
	s_and_not1_b32 vcc_lo, exec_lo, s26
	s_mov_b32 s14, 0
	s_delay_alu instid0(VALU_DEP_1)
	v_lshrrev_b32_e32 v30, 1, v0
	s_cbranch_vccnz .LBB1605_1172
; %bb.1174:                             ;   in Loop: Header=BB1605_1173 Depth=1
	s_delay_alu instid0(VALU_DEP_1) | instskip(SKIP_3) | instid1(VALU_DEP_2)
	v_not_b32_e32 v0, v30
	v_lshl_add_u32 v1, v30, 3, v25
	s_mov_b32 s15, 0
	s_mov_b64 s[10:11], s[16:17]
                                        ; implicit-def: $sgpr14
                                        ; implicit-def: $sgpr22
                                        ; implicit-def: $sgpr23
                                        ; implicit-def: $sgpr27
	v_lshl_add_u32 v0, v0, 3, v29
	ds_load_b64 v[32:33], v0
	ds_load_b64 v[34:35], v1
	s_wait_dscnt 0x1
	v_mad_nc_u64_u32 v[0:1], s8, v32, s[18:19]
	s_wait_dscnt 0x0
	v_mad_nc_u64_u32 v[22:23], s8, v34, s[18:19]
	s_delay_alu instid0(VALU_DEP_2) | instskip(NEXT) | instid1(VALU_DEP_2)
	v_mad_u32 v1, s9, v32, v1
	v_mad_u32 v23, s9, v34, v23
	s_delay_alu instid0(VALU_DEP_2) | instskip(NEXT) | instid1(VALU_DEP_2)
	v_mad_u32 v1, s8, v33, v1
	v_mad_u32 v23, s8, v35, v23
	s_branch .LBB1605_1176
.LBB1605_1175:                          ;   in Loop: Header=BB1605_1176 Depth=2
	s_or_b32 exec_lo, exec_lo, s28
	s_delay_alu instid0(SALU_CYCLE_1) | instskip(NEXT) | instid1(SALU_CYCLE_1)
	s_and_b32 s28, exec_lo, s22
	s_or_b32 s15, s28, s15
	s_and_not1_b32 s27, s27, exec_lo
	s_and_b32 s7, s7, exec_lo
	s_and_not1_b32 s14, s14, exec_lo
	s_and_b32 s28, s23, exec_lo
	s_or_b32 s27, s27, s7
	s_or_b32 s14, s14, s28
	s_and_not1_b32 exec_lo, exec_lo, s15
	s_cbranch_execz .LBB1605_1171
.LBB1605_1176:                          ;   Parent Loop BB1605_1173 Depth=1
                                        ; =>  This Inner Loop Header: Depth=2
	global_load_b64 v[32:33], v[0:1], off
	global_load_b64 v[34:35], v[22:23], off
	s_and_not1_b32 s23, s23, exec_lo
	s_or_b32 s22, s22, exec_lo
	s_wait_loadcnt 0x0
	v_cmp_le_u64_e32 vcc_lo, v[32:33], v[34:35]
	v_cmp_lt_u64_e64 s7, v[32:33], v[34:35]
	s_and_b32 s28, vcc_lo, s27
	s_delay_alu instid0(SALU_CYCLE_1) | instskip(NEXT) | instid1(SALU_CYCLE_1)
	s_or_b32 s7, s7, s28
	s_and_b32 s28, s7, exec_lo
	s_delay_alu instid0(SALU_CYCLE_1)
	s_or_b32 s23, s23, s28
	s_mov_b32 s28, exec_lo
	v_cmpx_eq_u64_e64 v[32:33], v[34:35]
	s_cbranch_execz .LBB1605_1175
; %bb.1177:                             ;   in Loop: Header=BB1605_1176 Depth=2
	s_add_nc_u64 s[10:11], s[10:11], -1
	v_add_nc_u64_e32 v[0:1], 8, v[0:1]
	s_cmp_eq_u64 s[10:11], 0
	v_add_nc_u64_e32 v[22:23], 8, v[22:23]
	s_cselect_b32 s27, -1, 0
	s_and_not1_b32 s22, s22, exec_lo
	s_and_b32 s27, s27, exec_lo
	s_and_not1_b32 s23, s23, exec_lo
	s_or_b32 s22, s22, s27
                                        ; implicit-def: $sgpr27
	s_branch .LBB1605_1175
.LBB1605_1178:
	s_or_b32 exec_lo, exec_lo, s13
.LBB1605_1179:
	s_delay_alu instid0(SALU_CYCLE_1) | instskip(SKIP_1) | instid1(VALU_DEP_1)
	s_or_b32 exec_lo, exec_lo, s12
	v_dual_add_nc_u32 v0, v47, v27 :: v_dual_add_nc_u32 v22, v24, v26
	v_sub_nc_u32_e32 v23, v0, v24
	s_delay_alu instid0(VALU_DEP_2) | instskip(NEXT) | instid1(VALU_DEP_2)
	v_cmp_le_u32_e32 vcc_lo, v22, v47
	v_cmp_le_u32_e64 s7, v23, v48
	s_or_b32 s7, vcc_lo, s7
	s_delay_alu instid0(SALU_CYCLE_1)
	s_and_saveexec_b32 s10, s7
	s_cbranch_execz .LBB1605_1270
; %bb.1180:
	s_mov_b32 s8, exec_lo
	v_cmp_ge_u32_e32 vcc_lo, v22, v47
                                        ; implicit-def: $vgpr0_vgpr1
	v_cmpx_lt_u32_e64 v22, v47
; %bb.1181:
	v_lshl_add_u32 v0, v24, 3, v25
	ds_load_b64 v[0:1], v0
; %bb.1182:
	s_or_b32 exec_lo, exec_lo, s8
	v_cmp_ge_u32_e64 s11, v23, v48
	s_mov_b32 s8, exec_lo
                                        ; implicit-def: $vgpr2_vgpr3
	v_cmpx_lt_u32_e64 v23, v48
; %bb.1183:
	v_lshl_add_u32 v2, v23, 3, v43
	ds_load_b64 v[2:3], v2
; %bb.1184:
	s_or_b32 exec_lo, exec_lo, s8
	s_nor_b32 s7, vcc_lo, s11
	s_delay_alu instid0(SALU_CYCLE_1)
	s_and_saveexec_b32 s12, s7
	s_cbranch_execz .LBB1605_1193
; %bb.1185:
	s_and_not1_b32 vcc_lo, exec_lo, s26
	s_cbranch_vccnz .LBB1605_1191
; %bb.1186:
	s_wait_dscnt 0x0
	v_mul_u64_e32 v[4:5], s[16:17], v[2:3]
	v_mul_u64_e32 v[6:7], s[16:17], v[0:1]
	s_mov_b32 s13, 0
	s_mov_b64 s[8:9], s[16:17]
                                        ; implicit-def: $sgpr14
                                        ; implicit-def: $sgpr15
                                        ; implicit-def: $sgpr22
                                        ; implicit-def: $sgpr23
	s_delay_alu instid0(VALU_DEP_2) | instskip(NEXT) | instid1(VALU_DEP_2)
	v_lshl_add_u64 v[4:5], v[4:5], 3, s[18:19]
	v_lshl_add_u64 v[6:7], v[6:7], 3, s[18:19]
	s_branch .LBB1605_1188
.LBB1605_1187:                          ;   in Loop: Header=BB1605_1188 Depth=1
	s_or_b32 exec_lo, exec_lo, s27
	s_delay_alu instid0(SALU_CYCLE_1) | instskip(NEXT) | instid1(SALU_CYCLE_1)
	s_and_b32 s27, exec_lo, s15
	s_or_b32 s13, s27, s13
	s_and_not1_b32 s23, s23, exec_lo
	s_and_b32 s7, s7, exec_lo
	s_and_not1_b32 s14, s14, exec_lo
	s_and_b32 s27, s22, exec_lo
	s_or_b32 s23, s23, s7
	s_or_b32 s14, s14, s27
	s_and_not1_b32 exec_lo, exec_lo, s13
	s_cbranch_execz .LBB1605_1190
.LBB1605_1188:                          ; =>This Inner Loop Header: Depth=1
	global_load_b64 v[8:9], v[4:5], off
	global_load_b64 v[10:11], v[6:7], off
	s_and_not1_b32 s22, s22, exec_lo
	s_or_b32 s15, s15, exec_lo
	s_wait_loadcnt 0x0
	v_cmp_le_u64_e32 vcc_lo, v[8:9], v[10:11]
	v_cmp_lt_u64_e64 s7, v[8:9], v[10:11]
	s_and_b32 s27, vcc_lo, s23
	s_delay_alu instid0(SALU_CYCLE_1) | instskip(NEXT) | instid1(SALU_CYCLE_1)
	s_or_b32 s7, s7, s27
	s_and_b32 s27, s7, exec_lo
	s_delay_alu instid0(SALU_CYCLE_1)
	s_or_b32 s22, s22, s27
	s_mov_b32 s27, exec_lo
	v_cmpx_eq_u64_e64 v[8:9], v[10:11]
	s_cbranch_execz .LBB1605_1187
; %bb.1189:                             ;   in Loop: Header=BB1605_1188 Depth=1
	s_add_nc_u64 s[8:9], s[8:9], -1
	v_add_nc_u64_e32 v[4:5], 8, v[4:5]
	s_cmp_eq_u64 s[8:9], 0
	v_add_nc_u64_e32 v[6:7], 8, v[6:7]
	s_cselect_b32 s23, -1, 0
	s_and_not1_b32 s15, s15, exec_lo
	s_and_b32 s23, s23, exec_lo
	s_and_not1_b32 s22, s22, exec_lo
	s_or_b32 s15, s15, s23
                                        ; implicit-def: $sgpr23
	s_branch .LBB1605_1187
.LBB1605_1190:
	s_or_b32 exec_lo, exec_lo, s13
	s_xor_b32 s7, s14, -1
	s_branch .LBB1605_1192
.LBB1605_1191:
	s_mov_b32 s7, -1
.LBB1605_1192:
	s_and_not1_b32 s8, s11, exec_lo
	s_and_b32 s7, s7, exec_lo
	s_delay_alu instid0(SALU_CYCLE_1)
	s_or_b32 s11, s8, s7
.LBB1605_1193:
	s_or_b32 exec_lo, exec_lo, s12
	v_dual_cndmask_b32 v4, v23, v22, s11 :: v_dual_cndmask_b32 v5, v48, v47, s11
	s_mov_b32 s13, -1
	s_mov_b32 s12, -1
	s_mov_b32 s14, exec_lo
	s_delay_alu instid0(VALU_DEP_1) | instskip(NEXT) | instid1(VALU_DEP_1)
	v_add_nc_u32_e32 v4, 1, v4
	v_add_min_u32_e64 v5, v5, -1, v4
	s_delay_alu instid0(VALU_DEP_1)
	v_lshl_add_u32 v5, v5, 3, v43
	ds_load_b64 v[6:7], v5
	s_wait_dscnt 0x0
	v_cndmask_b32_e64 v5, v7, v3, s11
	v_dual_cndmask_b32 v10, v4, v23, s11 :: v_dual_cndmask_b32 v11, v22, v4, s11
	v_dual_cndmask_b32 v4, v6, v2, s11 :: v_dual_cndmask_b32 v15, v1, v7, s11
	v_cndmask_b32_e64 v14, v0, v6, s11
	s_delay_alu instid0(VALU_DEP_3)
	v_cmpx_lt_u32_e64 v10, v48
	s_cbranch_execz .LBB1605_1204
; %bb.1194:
	s_mov_b32 s7, 0
	s_mov_b32 s12, exec_lo
	v_cmpx_lt_u32_e64 v11, v47
	s_cbranch_execz .LBB1605_1203
; %bb.1195:
	s_and_not1_b32 vcc_lo, exec_lo, s26
	s_cbranch_vccnz .LBB1605_1201
; %bb.1196:
	v_mul_u64_e32 v[6:7], s[16:17], v[4:5]
	v_mul_u64_e32 v[8:9], s[16:17], v[14:15]
	s_mov_b32 s15, 0
	s_mov_b64 s[8:9], s[16:17]
                                        ; implicit-def: $sgpr22
                                        ; implicit-def: $sgpr23
                                        ; implicit-def: $sgpr27
                                        ; implicit-def: $sgpr28
	s_delay_alu instid0(VALU_DEP_2) | instskip(NEXT) | instid1(VALU_DEP_2)
	v_lshl_add_u64 v[6:7], v[6:7], 3, s[18:19]
	v_lshl_add_u64 v[8:9], v[8:9], 3, s[18:19]
	s_branch .LBB1605_1198
.LBB1605_1197:                          ;   in Loop: Header=BB1605_1198 Depth=1
	s_or_b32 exec_lo, exec_lo, s29
	s_delay_alu instid0(SALU_CYCLE_1) | instskip(NEXT) | instid1(SALU_CYCLE_1)
	s_and_b32 s29, exec_lo, s23
	s_or_b32 s15, s29, s15
	s_and_not1_b32 s28, s28, exec_lo
	s_and_b32 s7, s7, exec_lo
	s_and_not1_b32 s22, s22, exec_lo
	s_and_b32 s29, s27, exec_lo
	s_or_b32 s28, s28, s7
	s_or_b32 s22, s22, s29
	s_and_not1_b32 exec_lo, exec_lo, s15
	s_cbranch_execz .LBB1605_1200
.LBB1605_1198:                          ; =>This Inner Loop Header: Depth=1
	global_load_b64 v[12:13], v[6:7], off
	global_load_b64 v[16:17], v[8:9], off
	s_and_not1_b32 s27, s27, exec_lo
	s_or_b32 s23, s23, exec_lo
	s_wait_loadcnt 0x0
	v_cmp_le_u64_e32 vcc_lo, v[12:13], v[16:17]
	v_cmp_lt_u64_e64 s7, v[12:13], v[16:17]
	s_and_b32 s29, vcc_lo, s28
	s_delay_alu instid0(SALU_CYCLE_1) | instskip(NEXT) | instid1(SALU_CYCLE_1)
	s_or_b32 s7, s7, s29
	s_and_b32 s29, s7, exec_lo
	s_delay_alu instid0(SALU_CYCLE_1)
	s_or_b32 s27, s27, s29
	s_mov_b32 s29, exec_lo
	v_cmpx_eq_u64_e64 v[12:13], v[16:17]
	s_cbranch_execz .LBB1605_1197
; %bb.1199:                             ;   in Loop: Header=BB1605_1198 Depth=1
	s_add_nc_u64 s[8:9], s[8:9], -1
	v_add_nc_u64_e32 v[6:7], 8, v[6:7]
	s_cmp_eq_u64 s[8:9], 0
	v_add_nc_u64_e32 v[8:9], 8, v[8:9]
	s_cselect_b32 s28, -1, 0
	s_and_not1_b32 s23, s23, exec_lo
	s_and_b32 s28, s28, exec_lo
	s_and_not1_b32 s27, s27, exec_lo
	s_or_b32 s23, s23, s28
                                        ; implicit-def: $sgpr28
	s_branch .LBB1605_1197
.LBB1605_1200:
	s_or_b32 exec_lo, exec_lo, s15
	s_xor_b32 s7, s22, -1
	s_branch .LBB1605_1202
.LBB1605_1201:
	s_mov_b32 s7, -1
.LBB1605_1202:
	s_delay_alu instid0(SALU_CYCLE_1)
	s_and_b32 s7, s7, exec_lo
.LBB1605_1203:
	s_or_b32 exec_lo, exec_lo, s12
	s_delay_alu instid0(SALU_CYCLE_1)
	s_or_not1_b32 s12, s7, exec_lo
.LBB1605_1204:
	s_or_b32 exec_lo, exec_lo, s14
	v_cndmask_b32_e64 v6, v10, v11, s12
	v_cndmask_b32_e64 v7, v48, v47, s12
	s_mov_b32 s14, exec_lo
	s_delay_alu instid0(VALU_DEP_2) | instskip(NEXT) | instid1(VALU_DEP_1)
	v_add_nc_u32_e32 v8, 1, v6
	v_add_min_u32_e64 v6, v7, -1, v8
	v_cndmask_b32_e64 v12, v8, v10, s12
	s_delay_alu instid0(VALU_DEP_2)
	v_lshl_add_u32 v6, v6, 3, v43
	ds_load_b64 v[6:7], v6
	s_wait_dscnt 0x0
	v_dual_cndmask_b32 v13, v11, v8, s12 :: v_dual_cndmask_b32 v16, v14, v6, s12
	v_dual_cndmask_b32 v11, v7, v5, s12 :: v_dual_cndmask_b32 v10, v6, v4, s12
	v_cndmask_b32_e64 v17, v15, v7, s12
	v_cmpx_lt_u32_e64 v12, v48
	s_cbranch_execz .LBB1605_1215
; %bb.1205:
	s_mov_b32 s7, 0
	s_mov_b32 s13, exec_lo
	v_cmpx_lt_u32_e64 v13, v47
	s_cbranch_execz .LBB1605_1214
; %bb.1206:
	s_and_not1_b32 vcc_lo, exec_lo, s26
	s_cbranch_vccnz .LBB1605_1212
; %bb.1207:
	v_mul_u64_e32 v[6:7], s[16:17], v[10:11]
	v_mul_u64_e32 v[8:9], s[16:17], v[16:17]
	s_mov_b32 s15, 0
	s_mov_b64 s[8:9], s[16:17]
                                        ; implicit-def: $sgpr22
                                        ; implicit-def: $sgpr23
                                        ; implicit-def: $sgpr27
                                        ; implicit-def: $sgpr28
	s_delay_alu instid0(VALU_DEP_2) | instskip(NEXT) | instid1(VALU_DEP_2)
	v_lshl_add_u64 v[6:7], v[6:7], 3, s[18:19]
	v_lshl_add_u64 v[8:9], v[8:9], 3, s[18:19]
	s_branch .LBB1605_1209
.LBB1605_1208:                          ;   in Loop: Header=BB1605_1209 Depth=1
	s_or_b32 exec_lo, exec_lo, s29
	s_delay_alu instid0(SALU_CYCLE_1) | instskip(NEXT) | instid1(SALU_CYCLE_1)
	s_and_b32 s29, exec_lo, s23
	s_or_b32 s15, s29, s15
	s_and_not1_b32 s28, s28, exec_lo
	s_and_b32 s7, s7, exec_lo
	s_and_not1_b32 s22, s22, exec_lo
	s_and_b32 s29, s27, exec_lo
	s_or_b32 s28, s28, s7
	s_or_b32 s22, s22, s29
	s_and_not1_b32 exec_lo, exec_lo, s15
	s_cbranch_execz .LBB1605_1211
.LBB1605_1209:                          ; =>This Inner Loop Header: Depth=1
	global_load_b64 v[22:23], v[6:7], off
	global_load_b64 v[24:25], v[8:9], off
	s_and_not1_b32 s27, s27, exec_lo
	s_or_b32 s23, s23, exec_lo
	s_wait_loadcnt 0x0
	v_cmp_le_u64_e32 vcc_lo, v[22:23], v[24:25]
	v_cmp_lt_u64_e64 s7, v[22:23], v[24:25]
	s_and_b32 s29, vcc_lo, s28
	s_delay_alu instid0(SALU_CYCLE_1) | instskip(NEXT) | instid1(SALU_CYCLE_1)
	s_or_b32 s7, s7, s29
	s_and_b32 s29, s7, exec_lo
	s_delay_alu instid0(SALU_CYCLE_1)
	s_or_b32 s27, s27, s29
	s_mov_b32 s29, exec_lo
	v_cmpx_eq_u64_e64 v[22:23], v[24:25]
	s_cbranch_execz .LBB1605_1208
; %bb.1210:                             ;   in Loop: Header=BB1605_1209 Depth=1
	s_add_nc_u64 s[8:9], s[8:9], -1
	v_add_nc_u64_e32 v[6:7], 8, v[6:7]
	s_cmp_eq_u64 s[8:9], 0
	v_add_nc_u64_e32 v[8:9], 8, v[8:9]
	s_cselect_b32 s28, -1, 0
	s_and_not1_b32 s23, s23, exec_lo
	s_and_b32 s28, s28, exec_lo
	s_and_not1_b32 s27, s27, exec_lo
	s_or_b32 s23, s23, s28
                                        ; implicit-def: $sgpr28
	s_branch .LBB1605_1208
.LBB1605_1211:
	s_or_b32 exec_lo, exec_lo, s15
	s_xor_b32 s7, s22, -1
	s_branch .LBB1605_1213
.LBB1605_1212:
	s_mov_b32 s7, -1
.LBB1605_1213:
	s_delay_alu instid0(SALU_CYCLE_1)
	s_and_b32 s7, s7, exec_lo
.LBB1605_1214:
	s_or_b32 exec_lo, exec_lo, s13
	s_delay_alu instid0(SALU_CYCLE_1)
	s_or_not1_b32 s13, s7, exec_lo
.LBB1605_1215:
	s_or_b32 exec_lo, exec_lo, s14
	v_cndmask_b32_e64 v6, v12, v13, s13
	v_cndmask_b32_e64 v7, v48, v47, s13
	s_mov_b32 s15, -1
	s_mov_b32 s14, -1
	s_mov_b32 s22, exec_lo
	v_add_nc_u32_e32 v8, 1, v6
	s_delay_alu instid0(VALU_DEP_1) | instskip(SKIP_1) | instid1(VALU_DEP_2)
	v_add_min_u32_e64 v6, v7, -1, v8
	v_cndmask_b32_e64 v25, v13, v8, s13
	v_lshl_add_u32 v6, v6, 3, v43
	ds_load_b64 v[6:7], v6
	s_wait_dscnt 0x0
	v_dual_cndmask_b32 v24, v8, v12, s13 :: v_dual_cndmask_b32 v13, v7, v11, s13
	v_dual_cndmask_b32 v12, v6, v10, s13 :: v_dual_cndmask_b32 v23, v17, v7, s13
	v_cndmask_b32_e64 v22, v16, v6, s13
	s_delay_alu instid0(VALU_DEP_3)
	v_cmpx_lt_u32_e64 v24, v48
	s_cbranch_execz .LBB1605_1226
; %bb.1216:
	s_mov_b32 s7, 0
	s_mov_b32 s14, exec_lo
	v_cmpx_lt_u32_e64 v25, v47
	s_cbranch_execz .LBB1605_1225
; %bb.1217:
	s_and_not1_b32 vcc_lo, exec_lo, s26
	s_cbranch_vccnz .LBB1605_1223
; %bb.1218:
	v_mul_u64_e32 v[6:7], s[16:17], v[12:13]
	v_mul_u64_e32 v[8:9], s[16:17], v[22:23]
	s_mov_b32 s23, 0
	s_mov_b64 s[8:9], s[16:17]
                                        ; implicit-def: $sgpr27
                                        ; implicit-def: $sgpr28
                                        ; implicit-def: $sgpr29
                                        ; implicit-def: $sgpr30
	s_delay_alu instid0(VALU_DEP_2) | instskip(NEXT) | instid1(VALU_DEP_2)
	v_lshl_add_u64 v[6:7], v[6:7], 3, s[18:19]
	v_lshl_add_u64 v[8:9], v[8:9], 3, s[18:19]
	s_branch .LBB1605_1220
.LBB1605_1219:                          ;   in Loop: Header=BB1605_1220 Depth=1
	s_or_b32 exec_lo, exec_lo, s31
	s_delay_alu instid0(SALU_CYCLE_1) | instskip(NEXT) | instid1(SALU_CYCLE_1)
	s_and_b32 s31, exec_lo, s28
	s_or_b32 s23, s31, s23
	s_and_not1_b32 s30, s30, exec_lo
	s_and_b32 s7, s7, exec_lo
	s_and_not1_b32 s27, s27, exec_lo
	s_and_b32 s31, s29, exec_lo
	s_or_b32 s30, s30, s7
	s_or_b32 s27, s27, s31
	s_and_not1_b32 exec_lo, exec_lo, s23
	s_cbranch_execz .LBB1605_1222
.LBB1605_1220:                          ; =>This Inner Loop Header: Depth=1
	global_load_b64 v[26:27], v[6:7], off
	global_load_b64 v[28:29], v[8:9], off
	s_and_not1_b32 s29, s29, exec_lo
	s_or_b32 s28, s28, exec_lo
	s_wait_loadcnt 0x0
	v_cmp_le_u64_e32 vcc_lo, v[26:27], v[28:29]
	v_cmp_lt_u64_e64 s7, v[26:27], v[28:29]
	s_and_b32 s31, vcc_lo, s30
	s_delay_alu instid0(SALU_CYCLE_1) | instskip(NEXT) | instid1(SALU_CYCLE_1)
	s_or_b32 s7, s7, s31
	s_and_b32 s31, s7, exec_lo
	s_delay_alu instid0(SALU_CYCLE_1)
	s_or_b32 s29, s29, s31
	s_mov_b32 s31, exec_lo
	v_cmpx_eq_u64_e64 v[26:27], v[28:29]
	s_cbranch_execz .LBB1605_1219
; %bb.1221:                             ;   in Loop: Header=BB1605_1220 Depth=1
	s_add_nc_u64 s[8:9], s[8:9], -1
	v_add_nc_u64_e32 v[6:7], 8, v[6:7]
	s_cmp_eq_u64 s[8:9], 0
	v_add_nc_u64_e32 v[8:9], 8, v[8:9]
	s_cselect_b32 s30, -1, 0
	s_and_not1_b32 s28, s28, exec_lo
	s_and_b32 s30, s30, exec_lo
	s_and_not1_b32 s29, s29, exec_lo
	s_or_b32 s28, s28, s30
                                        ; implicit-def: $sgpr30
	s_branch .LBB1605_1219
.LBB1605_1222:
	s_or_b32 exec_lo, exec_lo, s23
	s_xor_b32 s7, s27, -1
	s_branch .LBB1605_1224
.LBB1605_1223:
	s_mov_b32 s7, -1
.LBB1605_1224:
	s_delay_alu instid0(SALU_CYCLE_1)
	s_and_b32 s7, s7, exec_lo
.LBB1605_1225:
	s_or_b32 exec_lo, exec_lo, s14
	s_delay_alu instid0(SALU_CYCLE_1)
	s_or_not1_b32 s14, s7, exec_lo
.LBB1605_1226:
	s_or_b32 exec_lo, exec_lo, s22
	v_cndmask_b32_e64 v6, v24, v25, s14
	v_cndmask_b32_e64 v7, v48, v47, s14
	s_mov_b32 s22, exec_lo
	s_delay_alu instid0(VALU_DEP_2) | instskip(NEXT) | instid1(VALU_DEP_1)
	v_add_nc_u32_e32 v6, 1, v6
	v_add_min_u32_e64 v7, v7, -1, v6
	v_dual_cndmask_b32 v28, v6, v24, s14 :: v_dual_cndmask_b32 v29, v25, v6, s14
	s_delay_alu instid0(VALU_DEP_2)
	v_lshl_add_u32 v7, v7, 3, v43
	ds_load_b64 v[8:9], v7
	s_wait_dscnt 0x0
	v_dual_cndmask_b32 v7, v9, v13, s14 :: v_dual_cndmask_b32 v6, v8, v12, s14
	v_dual_cndmask_b32 v25, v23, v9, s14 :: v_dual_cndmask_b32 v24, v22, v8, s14
	v_cmpx_lt_u32_e64 v28, v48
	s_cbranch_execz .LBB1605_1237
; %bb.1227:
	s_mov_b32 s7, 0
	s_mov_b32 s15, exec_lo
	v_cmpx_lt_u32_e64 v29, v47
	s_cbranch_execz .LBB1605_1236
; %bb.1228:
	s_and_not1_b32 vcc_lo, exec_lo, s26
	s_cbranch_vccnz .LBB1605_1234
; %bb.1229:
	v_mul_u64_e32 v[8:9], s[16:17], v[6:7]
	v_mul_u64_e32 v[26:27], s[16:17], v[24:25]
	s_mov_b32 s23, 0
	s_mov_b64 s[8:9], s[16:17]
                                        ; implicit-def: $sgpr27
                                        ; implicit-def: $sgpr28
                                        ; implicit-def: $sgpr29
                                        ; implicit-def: $sgpr30
	s_delay_alu instid0(VALU_DEP_2) | instskip(NEXT) | instid1(VALU_DEP_2)
	v_lshl_add_u64 v[8:9], v[8:9], 3, s[18:19]
	v_lshl_add_u64 v[26:27], v[26:27], 3, s[18:19]
	s_branch .LBB1605_1231
.LBB1605_1230:                          ;   in Loop: Header=BB1605_1231 Depth=1
	s_or_b32 exec_lo, exec_lo, s31
	s_delay_alu instid0(SALU_CYCLE_1) | instskip(NEXT) | instid1(SALU_CYCLE_1)
	s_and_b32 s31, exec_lo, s28
	s_or_b32 s23, s31, s23
	s_and_not1_b32 s30, s30, exec_lo
	s_and_b32 s7, s7, exec_lo
	s_and_not1_b32 s27, s27, exec_lo
	s_and_b32 s31, s29, exec_lo
	s_or_b32 s30, s30, s7
	s_or_b32 s27, s27, s31
	s_and_not1_b32 exec_lo, exec_lo, s23
	s_cbranch_execz .LBB1605_1233
.LBB1605_1231:                          ; =>This Inner Loop Header: Depth=1
	global_load_b64 v[30:31], v[8:9], off
	global_load_b64 v[32:33], v[26:27], off
	s_and_not1_b32 s29, s29, exec_lo
	s_or_b32 s28, s28, exec_lo
	s_wait_loadcnt 0x0
	v_cmp_le_u64_e32 vcc_lo, v[30:31], v[32:33]
	v_cmp_lt_u64_e64 s7, v[30:31], v[32:33]
	s_and_b32 s31, vcc_lo, s30
	s_delay_alu instid0(SALU_CYCLE_1) | instskip(NEXT) | instid1(SALU_CYCLE_1)
	s_or_b32 s7, s7, s31
	s_and_b32 s31, s7, exec_lo
	s_delay_alu instid0(SALU_CYCLE_1)
	s_or_b32 s29, s29, s31
	s_mov_b32 s31, exec_lo
	v_cmpx_eq_u64_e64 v[30:31], v[32:33]
	s_cbranch_execz .LBB1605_1230
; %bb.1232:                             ;   in Loop: Header=BB1605_1231 Depth=1
	s_add_nc_u64 s[8:9], s[8:9], -1
	v_add_nc_u64_e32 v[8:9], 8, v[8:9]
	s_cmp_eq_u64 s[8:9], 0
	v_add_nc_u64_e32 v[26:27], 8, v[26:27]
	s_cselect_b32 s30, -1, 0
	s_and_not1_b32 s28, s28, exec_lo
	s_and_b32 s30, s30, exec_lo
	s_and_not1_b32 s29, s29, exec_lo
	s_or_b32 s28, s28, s30
                                        ; implicit-def: $sgpr30
	s_branch .LBB1605_1230
.LBB1605_1233:
	s_or_b32 exec_lo, exec_lo, s23
	s_xor_b32 s7, s27, -1
	s_branch .LBB1605_1235
.LBB1605_1234:
	s_mov_b32 s7, -1
.LBB1605_1235:
	s_delay_alu instid0(SALU_CYCLE_1)
	s_and_b32 s7, s7, exec_lo
.LBB1605_1236:
	s_or_b32 exec_lo, exec_lo, s15
	s_delay_alu instid0(SALU_CYCLE_1)
	s_or_not1_b32 s15, s7, exec_lo
.LBB1605_1237:
	s_or_b32 exec_lo, exec_lo, s22
	v_cndmask_b32_e64 v8, v28, v29, s15
	v_cndmask_b32_e64 v9, v48, v47, s15
	s_mov_b32 s22, -1
	s_mov_b32 s23, -1
	s_mov_b32 s27, exec_lo
	v_add_nc_u32_e32 v8, 1, v8
	s_delay_alu instid0(VALU_DEP_1) | instskip(NEXT) | instid1(VALU_DEP_1)
	v_add_min_u32_e64 v9, v9, -1, v8
	v_lshl_add_u32 v9, v9, 3, v43
	ds_load_b64 v[26:27], v9
	v_cndmask_b32_e64 v32, v8, v28, s15
	s_wait_dscnt 0x0
	v_dual_cndmask_b32 v33, v29, v8, s15 :: v_dual_cndmask_b32 v9, v27, v7, s15
	v_dual_cndmask_b32 v8, v26, v6, s15 :: v_dual_cndmask_b32 v27, v25, v27, s15
	v_cndmask_b32_e64 v26, v24, v26, s15
	v_cmpx_lt_u32_e64 v32, v48
	s_cbranch_execz .LBB1605_1248
; %bb.1238:
	s_mov_b32 s7, 0
	s_mov_b32 s23, exec_lo
	v_cmpx_lt_u32_e64 v33, v47
	s_cbranch_execz .LBB1605_1247
; %bb.1239:
	s_and_not1_b32 vcc_lo, exec_lo, s26
	s_cbranch_vccnz .LBB1605_1245
; %bb.1240:
	v_mul_u64_e32 v[28:29], s[16:17], v[8:9]
	v_mul_u64_e32 v[30:31], s[16:17], v[26:27]
	s_mov_b32 s28, 0
	s_mov_b64 s[8:9], s[16:17]
                                        ; implicit-def: $sgpr29
                                        ; implicit-def: $sgpr30
                                        ; implicit-def: $sgpr31
                                        ; implicit-def: $sgpr33
	s_delay_alu instid0(VALU_DEP_2) | instskip(NEXT) | instid1(VALU_DEP_2)
	v_lshl_add_u64 v[28:29], v[28:29], 3, s[18:19]
	v_lshl_add_u64 v[30:31], v[30:31], 3, s[18:19]
	s_branch .LBB1605_1242
.LBB1605_1241:                          ;   in Loop: Header=BB1605_1242 Depth=1
	s_or_b32 exec_lo, exec_lo, s34
	s_delay_alu instid0(SALU_CYCLE_1) | instskip(NEXT) | instid1(SALU_CYCLE_1)
	s_and_b32 s34, exec_lo, s30
	s_or_b32 s28, s34, s28
	s_and_not1_b32 s33, s33, exec_lo
	s_and_b32 s7, s7, exec_lo
	s_and_not1_b32 s29, s29, exec_lo
	s_and_b32 s34, s31, exec_lo
	s_or_b32 s33, s33, s7
	s_or_b32 s29, s29, s34
	s_and_not1_b32 exec_lo, exec_lo, s28
	s_cbranch_execz .LBB1605_1244
.LBB1605_1242:                          ; =>This Inner Loop Header: Depth=1
	global_load_b64 v[34:35], v[28:29], off
	global_load_b64 v[50:51], v[30:31], off
	s_and_not1_b32 s31, s31, exec_lo
	s_or_b32 s30, s30, exec_lo
	s_wait_loadcnt 0x0
	v_cmp_le_u64_e32 vcc_lo, v[34:35], v[50:51]
	v_cmp_lt_u64_e64 s7, v[34:35], v[50:51]
	s_and_b32 s34, vcc_lo, s33
	s_delay_alu instid0(SALU_CYCLE_1) | instskip(NEXT) | instid1(SALU_CYCLE_1)
	s_or_b32 s7, s7, s34
	s_and_b32 s34, s7, exec_lo
	s_delay_alu instid0(SALU_CYCLE_1)
	s_or_b32 s31, s31, s34
	s_mov_b32 s34, exec_lo
	v_cmpx_eq_u64_e64 v[34:35], v[50:51]
	s_cbranch_execz .LBB1605_1241
; %bb.1243:                             ;   in Loop: Header=BB1605_1242 Depth=1
	s_add_nc_u64 s[8:9], s[8:9], -1
	v_add_nc_u64_e32 v[28:29], 8, v[28:29]
	s_cmp_eq_u64 s[8:9], 0
	v_add_nc_u64_e32 v[30:31], 8, v[30:31]
	s_cselect_b32 s33, -1, 0
	s_and_not1_b32 s30, s30, exec_lo
	s_and_b32 s33, s33, exec_lo
	s_and_not1_b32 s31, s31, exec_lo
	s_or_b32 s30, s30, s33
                                        ; implicit-def: $sgpr33
	s_branch .LBB1605_1241
.LBB1605_1244:
	s_or_b32 exec_lo, exec_lo, s28
	s_xor_b32 s7, s29, -1
	s_branch .LBB1605_1246
.LBB1605_1245:
	s_mov_b32 s7, -1
.LBB1605_1246:
	s_delay_alu instid0(SALU_CYCLE_1)
	s_and_b32 s7, s7, exec_lo
.LBB1605_1247:
	s_or_b32 exec_lo, exec_lo, s23
	s_delay_alu instid0(SALU_CYCLE_1)
	s_or_not1_b32 s23, s7, exec_lo
.LBB1605_1248:
	s_or_b32 exec_lo, exec_lo, s27
	v_cndmask_b32_e64 v28, v32, v33, s23
	v_cndmask_b32_e64 v29, v48, v47, s23
	s_mov_b32 s27, exec_lo
	s_delay_alu instid0(VALU_DEP_2) | instskip(NEXT) | instid1(VALU_DEP_1)
	v_add_nc_u32_e32 v28, 1, v28
	v_add_min_u32_e64 v29, v29, -1, v28
	s_delay_alu instid0(VALU_DEP_1)
	v_lshl_add_u32 v29, v29, 3, v43
	ds_load_b64 v[30:31], v29
	v_cndmask_b32_e64 v50, v28, v32, s23
	s_wait_dscnt 0x0
	v_dual_cndmask_b32 v49, v33, v28, s23 :: v_dual_cndmask_b32 v29, v31, v9, s23
	v_dual_cndmask_b32 v28, v30, v8, s23 :: v_dual_cndmask_b32 v31, v27, v31, s23
	v_cndmask_b32_e64 v30, v26, v30, s23
	v_cmpx_lt_u32_e64 v50, v48
	s_cbranch_execz .LBB1605_1259
; %bb.1249:
	s_mov_b32 s7, 0
	s_mov_b32 s22, exec_lo
	v_cmpx_lt_u32_e64 v49, v47
	s_cbranch_execz .LBB1605_1258
; %bb.1250:
	s_and_not1_b32 vcc_lo, exec_lo, s26
	s_cbranch_vccnz .LBB1605_1256
; %bb.1251:
	v_mul_u64_e32 v[32:33], s[16:17], v[28:29]
	v_mul_u64_e32 v[34:35], s[16:17], v[30:31]
	s_mov_b32 s28, 0
	s_mov_b64 s[8:9], s[16:17]
                                        ; implicit-def: $sgpr29
                                        ; implicit-def: $sgpr30
                                        ; implicit-def: $sgpr31
                                        ; implicit-def: $sgpr33
	s_delay_alu instid0(VALU_DEP_2) | instskip(NEXT) | instid1(VALU_DEP_2)
	v_lshl_add_u64 v[32:33], v[32:33], 3, s[18:19]
	v_lshl_add_u64 v[34:35], v[34:35], 3, s[18:19]
	s_branch .LBB1605_1253
.LBB1605_1252:                          ;   in Loop: Header=BB1605_1253 Depth=1
	s_or_b32 exec_lo, exec_lo, s34
	s_delay_alu instid0(SALU_CYCLE_1) | instskip(NEXT) | instid1(SALU_CYCLE_1)
	s_and_b32 s34, exec_lo, s30
	s_or_b32 s28, s34, s28
	s_and_not1_b32 s33, s33, exec_lo
	s_and_b32 s7, s7, exec_lo
	s_and_not1_b32 s29, s29, exec_lo
	s_and_b32 s34, s31, exec_lo
	s_or_b32 s33, s33, s7
	s_or_b32 s29, s29, s34
	s_and_not1_b32 exec_lo, exec_lo, s28
	s_cbranch_execz .LBB1605_1255
.LBB1605_1253:                          ; =>This Inner Loop Header: Depth=1
	global_load_b64 v[52:53], v[32:33], off
	global_load_b64 v[54:55], v[34:35], off
	s_and_not1_b32 s31, s31, exec_lo
	s_or_b32 s30, s30, exec_lo
	s_wait_loadcnt 0x0
	v_cmp_le_u64_e32 vcc_lo, v[52:53], v[54:55]
	v_cmp_lt_u64_e64 s7, v[52:53], v[54:55]
	s_and_b32 s34, vcc_lo, s33
	s_delay_alu instid0(SALU_CYCLE_1) | instskip(NEXT) | instid1(SALU_CYCLE_1)
	s_or_b32 s7, s7, s34
	s_and_b32 s34, s7, exec_lo
	s_delay_alu instid0(SALU_CYCLE_1)
	s_or_b32 s31, s31, s34
	s_mov_b32 s34, exec_lo
	v_cmpx_eq_u64_e64 v[52:53], v[54:55]
	s_cbranch_execz .LBB1605_1252
; %bb.1254:                             ;   in Loop: Header=BB1605_1253 Depth=1
	s_add_nc_u64 s[8:9], s[8:9], -1
	v_add_nc_u64_e32 v[32:33], 8, v[32:33]
	s_cmp_eq_u64 s[8:9], 0
	v_add_nc_u64_e32 v[34:35], 8, v[34:35]
	s_cselect_b32 s33, -1, 0
	s_and_not1_b32 s30, s30, exec_lo
	s_and_b32 s33, s33, exec_lo
	s_and_not1_b32 s31, s31, exec_lo
	s_or_b32 s30, s30, s33
                                        ; implicit-def: $sgpr33
	s_branch .LBB1605_1252
.LBB1605_1255:
	s_or_b32 exec_lo, exec_lo, s28
	s_xor_b32 s7, s29, -1
	s_branch .LBB1605_1257
.LBB1605_1256:
	s_mov_b32 s7, -1
.LBB1605_1257:
	s_delay_alu instid0(SALU_CYCLE_1)
	s_and_b32 s7, s7, exec_lo
.LBB1605_1258:
	s_or_b32 exec_lo, exec_lo, s22
	s_delay_alu instid0(SALU_CYCLE_1)
	s_or_not1_b32 s22, s7, exec_lo
.LBB1605_1259:
	s_or_b32 exec_lo, exec_lo, s27
	v_dual_cndmask_b32 v32, v50, v49, s22 :: v_dual_cndmask_b32 v33, v48, v47, s22
	v_dual_cndmask_b32 v8, v8, v26, s23 :: v_dual_cndmask_b32 v7, v7, v25, s15
	;; [unrolled: 1-line block ×3, first 2 shown]
	s_delay_alu instid0(VALU_DEP_3) | instskip(SKIP_2) | instid1(VALU_DEP_3)
	v_dual_add_nc_u32 v34, 1, v32 :: v_dual_cndmask_b32 v9, v9, v27, s23
	v_dual_cndmask_b32 v12, v12, v22, s14 :: v_dual_cndmask_b32 v11, v11, v17, s13
	v_dual_cndmask_b32 v10, v10, v16, s13 :: v_dual_cndmask_b32 v17, v5, v15, s12
	v_add_min_u32_e64 v32, v33, -1, v34
	v_dual_cndmask_b32 v16, v4, v14, s12 :: v_dual_cndmask_b32 v15, v3, v1, s11
	v_dual_cndmask_b32 v14, v2, v0, s11 :: v_dual_cndmask_b32 v3, v29, v31, s22
	s_delay_alu instid0(VALU_DEP_3)
	v_lshl_add_u32 v32, v32, 3, v43
	s_mov_b32 s11, exec_lo
	ds_load_b64 v[32:33], v32
	v_cndmask_b32_e64 v0, v34, v50, s22
	s_wait_dscnt 0x0
	v_dual_cndmask_b32 v2, v28, v30, s22 :: v_dual_cndmask_b32 v4, v30, v32, s22
	v_cndmask_b32_e64 v5, v31, v33, s22
	s_delay_alu instid0(VALU_DEP_3)
	v_cmpx_lt_u32_e64 v0, v48
	s_cbranch_execz .LBB1605_1269
; %bb.1260:
	v_dual_cndmask_b32 v22, v49, v34, s22 :: v_dual_cndmask_b32 v0, v32, v28, s22
	v_cndmask_b32_e64 v1, v33, v29, s22
	s_mov_b32 s12, exec_lo
	s_delay_alu instid0(VALU_DEP_2)
	v_cmpx_lt_u32_e64 v22, v47
	s_cbranch_execz .LBB1605_1268
; %bb.1261:
	s_and_not1_b32 vcc_lo, exec_lo, s26
	s_cbranch_vccnz .LBB1605_1267
; %bb.1262:
	v_mul_u64_e32 v[22:23], s[16:17], v[0:1]
	v_mul_u64_e32 v[24:25], s[16:17], v[4:5]
	s_mov_b32 s13, 0
	s_mov_b64 s[8:9], s[16:17]
                                        ; implicit-def: $sgpr14
                                        ; implicit-def: $sgpr15
                                        ; implicit-def: $sgpr22
                                        ; implicit-def: $sgpr23
	s_delay_alu instid0(VALU_DEP_2) | instskip(NEXT) | instid1(VALU_DEP_2)
	v_lshl_add_u64 v[22:23], v[22:23], 3, s[18:19]
	v_lshl_add_u64 v[24:25], v[24:25], 3, s[18:19]
	s_branch .LBB1605_1264
.LBB1605_1263:                          ;   in Loop: Header=BB1605_1264 Depth=1
	s_or_b32 exec_lo, exec_lo, s27
	s_delay_alu instid0(SALU_CYCLE_1) | instskip(NEXT) | instid1(SALU_CYCLE_1)
	s_and_b32 s27, exec_lo, s15
	s_or_b32 s13, s27, s13
	s_and_not1_b32 s23, s23, exec_lo
	s_and_b32 s7, s7, exec_lo
	s_and_not1_b32 s14, s14, exec_lo
	s_and_b32 s27, s22, exec_lo
	s_or_b32 s23, s23, s7
	s_or_b32 s14, s14, s27
	s_and_not1_b32 exec_lo, exec_lo, s13
	s_cbranch_execz .LBB1605_1266
.LBB1605_1264:                          ; =>This Inner Loop Header: Depth=1
	global_load_b64 v[26:27], v[22:23], off
	global_load_b64 v[28:29], v[24:25], off
	s_and_not1_b32 s22, s22, exec_lo
	s_or_b32 s15, s15, exec_lo
	s_wait_loadcnt 0x0
	v_cmp_le_u64_e32 vcc_lo, v[26:27], v[28:29]
	v_cmp_lt_u64_e64 s7, v[26:27], v[28:29]
	s_and_b32 s27, vcc_lo, s23
	s_delay_alu instid0(SALU_CYCLE_1) | instskip(NEXT) | instid1(SALU_CYCLE_1)
	s_or_b32 s7, s7, s27
	s_and_b32 s27, s7, exec_lo
	s_delay_alu instid0(SALU_CYCLE_1)
	s_or_b32 s22, s22, s27
	s_mov_b32 s27, exec_lo
	v_cmpx_eq_u64_e64 v[26:27], v[28:29]
	s_cbranch_execz .LBB1605_1263
; %bb.1265:                             ;   in Loop: Header=BB1605_1264 Depth=1
	s_add_nc_u64 s[8:9], s[8:9], -1
	v_add_nc_u64_e32 v[22:23], 8, v[22:23]
	s_cmp_eq_u64 s[8:9], 0
	v_add_nc_u64_e32 v[24:25], 8, v[24:25]
	s_cselect_b32 s23, -1, 0
	s_and_not1_b32 s15, s15, exec_lo
	s_and_b32 s23, s23, exec_lo
	s_and_not1_b32 s22, s22, exec_lo
	s_or_b32 s15, s15, s23
                                        ; implicit-def: $sgpr23
	s_branch .LBB1605_1263
.LBB1605_1266:
	s_or_b32 exec_lo, exec_lo, s13
	v_dual_cndmask_b32 v5, v5, v1, s14 :: v_dual_cndmask_b32 v4, v4, v0, s14
.LBB1605_1267:
	s_delay_alu instid0(VALU_DEP_1)
	v_mov_b64_e32 v[0:1], v[4:5]
.LBB1605_1268:
	s_or_b32 exec_lo, exec_lo, s12
	s_delay_alu instid0(VALU_DEP_1)
	v_mov_b64_e32 v[4:5], v[0:1]
.LBB1605_1269:
	s_or_b32 exec_lo, exec_lo, s11
.LBB1605_1270:
	s_delay_alu instid0(SALU_CYCLE_1)
	s_or_b32 exec_lo, exec_lo, s10
	v_and_b32_e32 v26, 0x80, v45
	s_mov_b32 s12, exec_lo
	; wave barrier
	ds_store_b128 v46, v[14:17]
	ds_store_b128 v46, v[10:13] offset:16
	v_or_b32_e32 v0, 64, v26
	v_lshl_add_u32 v25, v26, 3, v43
	ds_store_b128 v46, v[6:9] offset:32
	ds_store_b128 v46, v[2:5] offset:48
	; wave barrier
	v_min_u32_e32 v47, v44, v0
	v_and_b32_e32 v0, 0x78, v45
	s_delay_alu instid0(VALU_DEP_2) | instskip(NEXT) | instid1(VALU_DEP_2)
	v_add_min_u32_e64 v45, v47, 64, v44
	v_min_u32_e32 v27, v44, v0
	s_delay_alu instid0(VALU_DEP_2) | instskip(NEXT) | instid1(VALU_DEP_1)
	v_dual_sub_nc_u32 v1, v47, v26 :: v_dual_sub_nc_u32 v0, v45, v47
	v_min_u32_e32 v28, v27, v1
	s_delay_alu instid0(VALU_DEP_2) | instskip(NEXT) | instid1(VALU_DEP_1)
	v_sub_nc_u32_e64 v24, v27, v0 clamp
	v_cmpx_lt_u32_e64 v24, v28
	s_cbranch_execz .LBB1605_1280
; %bb.1271:
	v_lshlrev_b32_e32 v0, 3, v47
	v_lshlrev_b32_e32 v1, 3, v27
	s_lshl_b64 s[8:9], s[16:17], 3
	s_mov_b32 s13, 0
	s_delay_alu instid0(VALU_DEP_1)
	v_add3_u32 v29, v43, v0, v1
	s_branch .LBB1605_1274
.LBB1605_1272:                          ;   in Loop: Header=BB1605_1274 Depth=1
	s_or_b32 exec_lo, exec_lo, s15
.LBB1605_1273:                          ;   in Loop: Header=BB1605_1274 Depth=1
	s_delay_alu instid0(VALU_DEP_1) | instskip(NEXT) | instid1(VALU_DEP_1)
	v_dual_add_nc_u32 v0, 1, v30 :: v_dual_cndmask_b32 v28, v28, v30, s14
	v_cndmask_b32_e64 v24, v0, v24, s14
	s_delay_alu instid0(VALU_DEP_1) | instskip(SKIP_1) | instid1(SALU_CYCLE_1)
	v_cmp_ge_u32_e32 vcc_lo, v24, v28
	s_or_b32 s13, vcc_lo, s13
	s_and_not1_b32 exec_lo, exec_lo, s13
	s_cbranch_execz .LBB1605_1279
.LBB1605_1274:                          ; =>This Loop Header: Depth=1
                                        ;     Child Loop BB1605_1277 Depth 2
	v_add_nc_u32_e32 v0, v28, v24
	s_and_not1_b32 vcc_lo, exec_lo, s26
	s_mov_b32 s14, 0
	s_delay_alu instid0(VALU_DEP_1)
	v_lshrrev_b32_e32 v30, 1, v0
	s_cbranch_vccnz .LBB1605_1273
; %bb.1275:                             ;   in Loop: Header=BB1605_1274 Depth=1
	s_delay_alu instid0(VALU_DEP_1) | instskip(SKIP_3) | instid1(VALU_DEP_2)
	v_not_b32_e32 v0, v30
	v_lshl_add_u32 v1, v30, 3, v25
	s_mov_b32 s15, 0
	s_mov_b64 s[10:11], s[16:17]
                                        ; implicit-def: $sgpr14
                                        ; implicit-def: $sgpr22
                                        ; implicit-def: $sgpr23
                                        ; implicit-def: $sgpr27
	v_lshl_add_u32 v0, v0, 3, v29
	ds_load_b64 v[32:33], v0
	ds_load_b64 v[34:35], v1
	s_wait_dscnt 0x1
	v_mad_nc_u64_u32 v[0:1], s8, v32, s[18:19]
	s_wait_dscnt 0x0
	v_mad_nc_u64_u32 v[22:23], s8, v34, s[18:19]
	s_delay_alu instid0(VALU_DEP_2) | instskip(NEXT) | instid1(VALU_DEP_2)
	v_mad_u32 v1, s9, v32, v1
	v_mad_u32 v23, s9, v34, v23
	s_delay_alu instid0(VALU_DEP_2) | instskip(NEXT) | instid1(VALU_DEP_2)
	v_mad_u32 v1, s8, v33, v1
	v_mad_u32 v23, s8, v35, v23
	s_branch .LBB1605_1277
.LBB1605_1276:                          ;   in Loop: Header=BB1605_1277 Depth=2
	s_or_b32 exec_lo, exec_lo, s28
	s_delay_alu instid0(SALU_CYCLE_1) | instskip(NEXT) | instid1(SALU_CYCLE_1)
	s_and_b32 s28, exec_lo, s22
	s_or_b32 s15, s28, s15
	s_and_not1_b32 s27, s27, exec_lo
	s_and_b32 s7, s7, exec_lo
	s_and_not1_b32 s14, s14, exec_lo
	s_and_b32 s28, s23, exec_lo
	s_or_b32 s27, s27, s7
	s_or_b32 s14, s14, s28
	s_and_not1_b32 exec_lo, exec_lo, s15
	s_cbranch_execz .LBB1605_1272
.LBB1605_1277:                          ;   Parent Loop BB1605_1274 Depth=1
                                        ; =>  This Inner Loop Header: Depth=2
	global_load_b64 v[32:33], v[0:1], off
	global_load_b64 v[34:35], v[22:23], off
	s_and_not1_b32 s23, s23, exec_lo
	s_or_b32 s22, s22, exec_lo
	s_wait_loadcnt 0x0
	v_cmp_le_u64_e32 vcc_lo, v[32:33], v[34:35]
	v_cmp_lt_u64_e64 s7, v[32:33], v[34:35]
	s_and_b32 s28, vcc_lo, s27
	s_delay_alu instid0(SALU_CYCLE_1) | instskip(NEXT) | instid1(SALU_CYCLE_1)
	s_or_b32 s7, s7, s28
	s_and_b32 s28, s7, exec_lo
	s_delay_alu instid0(SALU_CYCLE_1)
	s_or_b32 s23, s23, s28
	s_mov_b32 s28, exec_lo
	v_cmpx_eq_u64_e64 v[32:33], v[34:35]
	s_cbranch_execz .LBB1605_1276
; %bb.1278:                             ;   in Loop: Header=BB1605_1277 Depth=2
	s_add_nc_u64 s[10:11], s[10:11], -1
	v_add_nc_u64_e32 v[0:1], 8, v[0:1]
	s_cmp_eq_u64 s[10:11], 0
	v_add_nc_u64_e32 v[22:23], 8, v[22:23]
	s_cselect_b32 s27, -1, 0
	s_and_not1_b32 s22, s22, exec_lo
	s_and_b32 s27, s27, exec_lo
	s_and_not1_b32 s23, s23, exec_lo
	s_or_b32 s22, s22, s27
                                        ; implicit-def: $sgpr27
	s_branch .LBB1605_1276
.LBB1605_1279:
	s_or_b32 exec_lo, exec_lo, s13
.LBB1605_1280:
	s_delay_alu instid0(SALU_CYCLE_1) | instskip(SKIP_1) | instid1(VALU_DEP_1)
	s_or_b32 exec_lo, exec_lo, s12
	v_dual_add_nc_u32 v0, v47, v27 :: v_dual_add_nc_u32 v22, v24, v26
	v_sub_nc_u32_e32 v23, v0, v24
	s_delay_alu instid0(VALU_DEP_2) | instskip(NEXT) | instid1(VALU_DEP_2)
	v_cmp_le_u32_e32 vcc_lo, v22, v47
	v_cmp_le_u32_e64 s7, v23, v45
	s_or_b32 s7, vcc_lo, s7
	s_delay_alu instid0(SALU_CYCLE_1)
	s_and_saveexec_b32 s10, s7
	s_cbranch_execz .LBB1605_1371
; %bb.1281:
	s_mov_b32 s8, exec_lo
	v_cmp_ge_u32_e32 vcc_lo, v22, v47
                                        ; implicit-def: $vgpr0_vgpr1
	v_cmpx_lt_u32_e64 v22, v47
; %bb.1282:
	v_lshl_add_u32 v0, v24, 3, v25
	ds_load_b64 v[0:1], v0
; %bb.1283:
	s_or_b32 exec_lo, exec_lo, s8
	v_cmp_ge_u32_e64 s11, v23, v45
	s_mov_b32 s8, exec_lo
                                        ; implicit-def: $vgpr2_vgpr3
	v_cmpx_lt_u32_e64 v23, v45
; %bb.1284:
	v_lshl_add_u32 v2, v23, 3, v43
	ds_load_b64 v[2:3], v2
; %bb.1285:
	s_or_b32 exec_lo, exec_lo, s8
	s_nor_b32 s7, vcc_lo, s11
	s_delay_alu instid0(SALU_CYCLE_1)
	s_and_saveexec_b32 s12, s7
	s_cbranch_execz .LBB1605_1294
; %bb.1286:
	s_and_not1_b32 vcc_lo, exec_lo, s26
	s_cbranch_vccnz .LBB1605_1292
; %bb.1287:
	s_wait_dscnt 0x0
	v_mul_u64_e32 v[4:5], s[16:17], v[2:3]
	v_mul_u64_e32 v[6:7], s[16:17], v[0:1]
	s_mov_b32 s13, 0
	s_mov_b64 s[8:9], s[16:17]
                                        ; implicit-def: $sgpr14
                                        ; implicit-def: $sgpr15
                                        ; implicit-def: $sgpr22
                                        ; implicit-def: $sgpr23
	s_delay_alu instid0(VALU_DEP_2) | instskip(NEXT) | instid1(VALU_DEP_2)
	v_lshl_add_u64 v[4:5], v[4:5], 3, s[18:19]
	v_lshl_add_u64 v[6:7], v[6:7], 3, s[18:19]
	s_branch .LBB1605_1289
.LBB1605_1288:                          ;   in Loop: Header=BB1605_1289 Depth=1
	s_or_b32 exec_lo, exec_lo, s27
	s_delay_alu instid0(SALU_CYCLE_1) | instskip(NEXT) | instid1(SALU_CYCLE_1)
	s_and_b32 s27, exec_lo, s15
	s_or_b32 s13, s27, s13
	s_and_not1_b32 s23, s23, exec_lo
	s_and_b32 s7, s7, exec_lo
	s_and_not1_b32 s14, s14, exec_lo
	s_and_b32 s27, s22, exec_lo
	s_or_b32 s23, s23, s7
	s_or_b32 s14, s14, s27
	s_and_not1_b32 exec_lo, exec_lo, s13
	s_cbranch_execz .LBB1605_1291
.LBB1605_1289:                          ; =>This Inner Loop Header: Depth=1
	global_load_b64 v[8:9], v[4:5], off
	global_load_b64 v[10:11], v[6:7], off
	s_and_not1_b32 s22, s22, exec_lo
	s_or_b32 s15, s15, exec_lo
	s_wait_loadcnt 0x0
	v_cmp_le_u64_e32 vcc_lo, v[8:9], v[10:11]
	v_cmp_lt_u64_e64 s7, v[8:9], v[10:11]
	s_and_b32 s27, vcc_lo, s23
	s_delay_alu instid0(SALU_CYCLE_1) | instskip(NEXT) | instid1(SALU_CYCLE_1)
	s_or_b32 s7, s7, s27
	s_and_b32 s27, s7, exec_lo
	s_delay_alu instid0(SALU_CYCLE_1)
	s_or_b32 s22, s22, s27
	s_mov_b32 s27, exec_lo
	v_cmpx_eq_u64_e64 v[8:9], v[10:11]
	s_cbranch_execz .LBB1605_1288
; %bb.1290:                             ;   in Loop: Header=BB1605_1289 Depth=1
	s_add_nc_u64 s[8:9], s[8:9], -1
	v_add_nc_u64_e32 v[4:5], 8, v[4:5]
	s_cmp_eq_u64 s[8:9], 0
	v_add_nc_u64_e32 v[6:7], 8, v[6:7]
	s_cselect_b32 s23, -1, 0
	s_and_not1_b32 s15, s15, exec_lo
	s_and_b32 s23, s23, exec_lo
	s_and_not1_b32 s22, s22, exec_lo
	s_or_b32 s15, s15, s23
                                        ; implicit-def: $sgpr23
	s_branch .LBB1605_1288
.LBB1605_1291:
	s_or_b32 exec_lo, exec_lo, s13
	s_xor_b32 s7, s14, -1
	s_branch .LBB1605_1293
.LBB1605_1292:
	s_mov_b32 s7, -1
.LBB1605_1293:
	s_and_not1_b32 s8, s11, exec_lo
	s_and_b32 s7, s7, exec_lo
	s_delay_alu instid0(SALU_CYCLE_1)
	s_or_b32 s11, s8, s7
.LBB1605_1294:
	s_or_b32 exec_lo, exec_lo, s12
	v_dual_cndmask_b32 v4, v23, v22, s11 :: v_dual_cndmask_b32 v5, v45, v47, s11
	s_mov_b32 s13, -1
	s_mov_b32 s12, -1
	s_mov_b32 s14, exec_lo
	s_delay_alu instid0(VALU_DEP_1) | instskip(NEXT) | instid1(VALU_DEP_1)
	v_add_nc_u32_e32 v4, 1, v4
	v_add_min_u32_e64 v5, v5, -1, v4
	s_delay_alu instid0(VALU_DEP_1)
	v_lshl_add_u32 v5, v5, 3, v43
	ds_load_b64 v[6:7], v5
	s_wait_dscnt 0x0
	v_cndmask_b32_e64 v5, v7, v3, s11
	v_dual_cndmask_b32 v10, v4, v23, s11 :: v_dual_cndmask_b32 v11, v22, v4, s11
	v_dual_cndmask_b32 v4, v6, v2, s11 :: v_dual_cndmask_b32 v15, v1, v7, s11
	v_cndmask_b32_e64 v14, v0, v6, s11
	s_delay_alu instid0(VALU_DEP_3)
	v_cmpx_lt_u32_e64 v10, v45
	s_cbranch_execz .LBB1605_1305
; %bb.1295:
	s_mov_b32 s7, 0
	s_mov_b32 s12, exec_lo
	v_cmpx_lt_u32_e64 v11, v47
	s_cbranch_execz .LBB1605_1304
; %bb.1296:
	s_and_not1_b32 vcc_lo, exec_lo, s26
	s_cbranch_vccnz .LBB1605_1302
; %bb.1297:
	v_mul_u64_e32 v[6:7], s[16:17], v[4:5]
	v_mul_u64_e32 v[8:9], s[16:17], v[14:15]
	s_mov_b32 s15, 0
	s_mov_b64 s[8:9], s[16:17]
                                        ; implicit-def: $sgpr22
                                        ; implicit-def: $sgpr23
                                        ; implicit-def: $sgpr27
                                        ; implicit-def: $sgpr28
	s_delay_alu instid0(VALU_DEP_2) | instskip(NEXT) | instid1(VALU_DEP_2)
	v_lshl_add_u64 v[6:7], v[6:7], 3, s[18:19]
	v_lshl_add_u64 v[8:9], v[8:9], 3, s[18:19]
	s_branch .LBB1605_1299
.LBB1605_1298:                          ;   in Loop: Header=BB1605_1299 Depth=1
	s_or_b32 exec_lo, exec_lo, s29
	s_delay_alu instid0(SALU_CYCLE_1) | instskip(NEXT) | instid1(SALU_CYCLE_1)
	s_and_b32 s29, exec_lo, s23
	s_or_b32 s15, s29, s15
	s_and_not1_b32 s28, s28, exec_lo
	s_and_b32 s7, s7, exec_lo
	s_and_not1_b32 s22, s22, exec_lo
	s_and_b32 s29, s27, exec_lo
	s_or_b32 s28, s28, s7
	s_or_b32 s22, s22, s29
	s_and_not1_b32 exec_lo, exec_lo, s15
	s_cbranch_execz .LBB1605_1301
.LBB1605_1299:                          ; =>This Inner Loop Header: Depth=1
	global_load_b64 v[12:13], v[6:7], off
	global_load_b64 v[16:17], v[8:9], off
	s_and_not1_b32 s27, s27, exec_lo
	s_or_b32 s23, s23, exec_lo
	s_wait_loadcnt 0x0
	v_cmp_le_u64_e32 vcc_lo, v[12:13], v[16:17]
	v_cmp_lt_u64_e64 s7, v[12:13], v[16:17]
	s_and_b32 s29, vcc_lo, s28
	s_delay_alu instid0(SALU_CYCLE_1) | instskip(NEXT) | instid1(SALU_CYCLE_1)
	s_or_b32 s7, s7, s29
	s_and_b32 s29, s7, exec_lo
	s_delay_alu instid0(SALU_CYCLE_1)
	s_or_b32 s27, s27, s29
	s_mov_b32 s29, exec_lo
	v_cmpx_eq_u64_e64 v[12:13], v[16:17]
	s_cbranch_execz .LBB1605_1298
; %bb.1300:                             ;   in Loop: Header=BB1605_1299 Depth=1
	s_add_nc_u64 s[8:9], s[8:9], -1
	v_add_nc_u64_e32 v[6:7], 8, v[6:7]
	s_cmp_eq_u64 s[8:9], 0
	v_add_nc_u64_e32 v[8:9], 8, v[8:9]
	s_cselect_b32 s28, -1, 0
	s_and_not1_b32 s23, s23, exec_lo
	s_and_b32 s28, s28, exec_lo
	s_and_not1_b32 s27, s27, exec_lo
	s_or_b32 s23, s23, s28
                                        ; implicit-def: $sgpr28
	s_branch .LBB1605_1298
.LBB1605_1301:
	s_or_b32 exec_lo, exec_lo, s15
	s_xor_b32 s7, s22, -1
	s_branch .LBB1605_1303
.LBB1605_1302:
	s_mov_b32 s7, -1
.LBB1605_1303:
	s_delay_alu instid0(SALU_CYCLE_1)
	s_and_b32 s7, s7, exec_lo
.LBB1605_1304:
	s_or_b32 exec_lo, exec_lo, s12
	s_delay_alu instid0(SALU_CYCLE_1)
	s_or_not1_b32 s12, s7, exec_lo
.LBB1605_1305:
	s_or_b32 exec_lo, exec_lo, s14
	v_cndmask_b32_e64 v6, v10, v11, s12
	v_cndmask_b32_e64 v7, v45, v47, s12
	s_mov_b32 s14, exec_lo
	s_delay_alu instid0(VALU_DEP_2) | instskip(NEXT) | instid1(VALU_DEP_1)
	v_add_nc_u32_e32 v8, 1, v6
	v_add_min_u32_e64 v6, v7, -1, v8
	v_cndmask_b32_e64 v12, v8, v10, s12
	s_delay_alu instid0(VALU_DEP_2)
	v_lshl_add_u32 v6, v6, 3, v43
	ds_load_b64 v[6:7], v6
	s_wait_dscnt 0x0
	v_dual_cndmask_b32 v13, v11, v8, s12 :: v_dual_cndmask_b32 v16, v14, v6, s12
	v_dual_cndmask_b32 v11, v7, v5, s12 :: v_dual_cndmask_b32 v10, v6, v4, s12
	v_cndmask_b32_e64 v17, v15, v7, s12
	v_cmpx_lt_u32_e64 v12, v45
	s_cbranch_execz .LBB1605_1316
; %bb.1306:
	s_mov_b32 s7, 0
	s_mov_b32 s13, exec_lo
	v_cmpx_lt_u32_e64 v13, v47
	s_cbranch_execz .LBB1605_1315
; %bb.1307:
	s_and_not1_b32 vcc_lo, exec_lo, s26
	s_cbranch_vccnz .LBB1605_1313
; %bb.1308:
	v_mul_u64_e32 v[6:7], s[16:17], v[10:11]
	v_mul_u64_e32 v[8:9], s[16:17], v[16:17]
	s_mov_b32 s15, 0
	s_mov_b64 s[8:9], s[16:17]
                                        ; implicit-def: $sgpr22
                                        ; implicit-def: $sgpr23
                                        ; implicit-def: $sgpr27
                                        ; implicit-def: $sgpr28
	s_delay_alu instid0(VALU_DEP_2) | instskip(NEXT) | instid1(VALU_DEP_2)
	v_lshl_add_u64 v[6:7], v[6:7], 3, s[18:19]
	v_lshl_add_u64 v[8:9], v[8:9], 3, s[18:19]
	s_branch .LBB1605_1310
.LBB1605_1309:                          ;   in Loop: Header=BB1605_1310 Depth=1
	s_or_b32 exec_lo, exec_lo, s29
	s_delay_alu instid0(SALU_CYCLE_1) | instskip(NEXT) | instid1(SALU_CYCLE_1)
	s_and_b32 s29, exec_lo, s23
	s_or_b32 s15, s29, s15
	s_and_not1_b32 s28, s28, exec_lo
	s_and_b32 s7, s7, exec_lo
	s_and_not1_b32 s22, s22, exec_lo
	s_and_b32 s29, s27, exec_lo
	s_or_b32 s28, s28, s7
	s_or_b32 s22, s22, s29
	s_and_not1_b32 exec_lo, exec_lo, s15
	s_cbranch_execz .LBB1605_1312
.LBB1605_1310:                          ; =>This Inner Loop Header: Depth=1
	global_load_b64 v[22:23], v[6:7], off
	global_load_b64 v[24:25], v[8:9], off
	s_and_not1_b32 s27, s27, exec_lo
	s_or_b32 s23, s23, exec_lo
	s_wait_loadcnt 0x0
	v_cmp_le_u64_e32 vcc_lo, v[22:23], v[24:25]
	v_cmp_lt_u64_e64 s7, v[22:23], v[24:25]
	s_and_b32 s29, vcc_lo, s28
	s_delay_alu instid0(SALU_CYCLE_1) | instskip(NEXT) | instid1(SALU_CYCLE_1)
	s_or_b32 s7, s7, s29
	s_and_b32 s29, s7, exec_lo
	s_delay_alu instid0(SALU_CYCLE_1)
	s_or_b32 s27, s27, s29
	s_mov_b32 s29, exec_lo
	v_cmpx_eq_u64_e64 v[22:23], v[24:25]
	s_cbranch_execz .LBB1605_1309
; %bb.1311:                             ;   in Loop: Header=BB1605_1310 Depth=1
	s_add_nc_u64 s[8:9], s[8:9], -1
	v_add_nc_u64_e32 v[6:7], 8, v[6:7]
	s_cmp_eq_u64 s[8:9], 0
	v_add_nc_u64_e32 v[8:9], 8, v[8:9]
	s_cselect_b32 s28, -1, 0
	s_and_not1_b32 s23, s23, exec_lo
	s_and_b32 s28, s28, exec_lo
	s_and_not1_b32 s27, s27, exec_lo
	s_or_b32 s23, s23, s28
                                        ; implicit-def: $sgpr28
	s_branch .LBB1605_1309
.LBB1605_1312:
	s_or_b32 exec_lo, exec_lo, s15
	s_xor_b32 s7, s22, -1
	s_branch .LBB1605_1314
.LBB1605_1313:
	s_mov_b32 s7, -1
.LBB1605_1314:
	s_delay_alu instid0(SALU_CYCLE_1)
	s_and_b32 s7, s7, exec_lo
.LBB1605_1315:
	s_or_b32 exec_lo, exec_lo, s13
	s_delay_alu instid0(SALU_CYCLE_1)
	s_or_not1_b32 s13, s7, exec_lo
.LBB1605_1316:
	s_or_b32 exec_lo, exec_lo, s14
	v_dual_cndmask_b32 v6, v12, v13, s13 :: v_dual_cndmask_b32 v7, v45, v47, s13
	s_mov_b32 s15, -1
	s_mov_b32 s14, -1
	s_mov_b32 s22, exec_lo
	s_delay_alu instid0(VALU_DEP_1) | instskip(NEXT) | instid1(VALU_DEP_1)
	v_add_nc_u32_e32 v8, 1, v6
	v_add_min_u32_e64 v6, v7, -1, v8
	s_delay_alu instid0(VALU_DEP_1)
	v_lshl_add_u32 v6, v6, 3, v43
	ds_load_b64 v[6:7], v6
	s_wait_dscnt 0x0
	v_dual_cndmask_b32 v25, v13, v8, s13 :: v_dual_cndmask_b32 v22, v16, v6, s13
	v_dual_cndmask_b32 v13, v7, v11, s13 :: v_dual_cndmask_b32 v24, v8, v12, s13
	v_dual_cndmask_b32 v12, v6, v10, s13 :: v_dual_cndmask_b32 v23, v17, v7, s13
	s_delay_alu instid0(VALU_DEP_2)
	v_cmpx_lt_u32_e64 v24, v45
	s_cbranch_execz .LBB1605_1327
; %bb.1317:
	s_mov_b32 s7, 0
	s_mov_b32 s14, exec_lo
	v_cmpx_lt_u32_e64 v25, v47
	s_cbranch_execz .LBB1605_1326
; %bb.1318:
	s_and_not1_b32 vcc_lo, exec_lo, s26
	s_cbranch_vccnz .LBB1605_1324
; %bb.1319:
	v_mul_u64_e32 v[6:7], s[16:17], v[12:13]
	v_mul_u64_e32 v[8:9], s[16:17], v[22:23]
	s_mov_b32 s23, 0
	s_mov_b64 s[8:9], s[16:17]
                                        ; implicit-def: $sgpr27
                                        ; implicit-def: $sgpr28
                                        ; implicit-def: $sgpr29
                                        ; implicit-def: $sgpr30
	s_delay_alu instid0(VALU_DEP_2) | instskip(NEXT) | instid1(VALU_DEP_2)
	v_lshl_add_u64 v[6:7], v[6:7], 3, s[18:19]
	v_lshl_add_u64 v[8:9], v[8:9], 3, s[18:19]
	s_branch .LBB1605_1321
.LBB1605_1320:                          ;   in Loop: Header=BB1605_1321 Depth=1
	s_or_b32 exec_lo, exec_lo, s31
	s_delay_alu instid0(SALU_CYCLE_1) | instskip(NEXT) | instid1(SALU_CYCLE_1)
	s_and_b32 s31, exec_lo, s28
	s_or_b32 s23, s31, s23
	s_and_not1_b32 s30, s30, exec_lo
	s_and_b32 s7, s7, exec_lo
	s_and_not1_b32 s27, s27, exec_lo
	s_and_b32 s31, s29, exec_lo
	s_or_b32 s30, s30, s7
	s_or_b32 s27, s27, s31
	s_and_not1_b32 exec_lo, exec_lo, s23
	s_cbranch_execz .LBB1605_1323
.LBB1605_1321:                          ; =>This Inner Loop Header: Depth=1
	global_load_b64 v[26:27], v[6:7], off
	global_load_b64 v[28:29], v[8:9], off
	s_and_not1_b32 s29, s29, exec_lo
	s_or_b32 s28, s28, exec_lo
	s_wait_loadcnt 0x0
	v_cmp_le_u64_e32 vcc_lo, v[26:27], v[28:29]
	v_cmp_lt_u64_e64 s7, v[26:27], v[28:29]
	s_and_b32 s31, vcc_lo, s30
	s_delay_alu instid0(SALU_CYCLE_1) | instskip(NEXT) | instid1(SALU_CYCLE_1)
	s_or_b32 s7, s7, s31
	s_and_b32 s31, s7, exec_lo
	s_delay_alu instid0(SALU_CYCLE_1)
	s_or_b32 s29, s29, s31
	s_mov_b32 s31, exec_lo
	v_cmpx_eq_u64_e64 v[26:27], v[28:29]
	s_cbranch_execz .LBB1605_1320
; %bb.1322:                             ;   in Loop: Header=BB1605_1321 Depth=1
	s_add_nc_u64 s[8:9], s[8:9], -1
	v_add_nc_u64_e32 v[6:7], 8, v[6:7]
	s_cmp_eq_u64 s[8:9], 0
	v_add_nc_u64_e32 v[8:9], 8, v[8:9]
	s_cselect_b32 s30, -1, 0
	s_and_not1_b32 s28, s28, exec_lo
	s_and_b32 s30, s30, exec_lo
	s_and_not1_b32 s29, s29, exec_lo
	s_or_b32 s28, s28, s30
                                        ; implicit-def: $sgpr30
	s_branch .LBB1605_1320
.LBB1605_1323:
	s_or_b32 exec_lo, exec_lo, s23
	s_xor_b32 s7, s27, -1
	s_branch .LBB1605_1325
.LBB1605_1324:
	s_mov_b32 s7, -1
.LBB1605_1325:
	s_delay_alu instid0(SALU_CYCLE_1)
	s_and_b32 s7, s7, exec_lo
.LBB1605_1326:
	s_or_b32 exec_lo, exec_lo, s14
	s_delay_alu instid0(SALU_CYCLE_1)
	s_or_not1_b32 s14, s7, exec_lo
.LBB1605_1327:
	s_or_b32 exec_lo, exec_lo, s22
	v_dual_cndmask_b32 v6, v24, v25, s14 :: v_dual_cndmask_b32 v7, v45, v47, s14
	s_mov_b32 s22, exec_lo
	s_delay_alu instid0(VALU_DEP_1) | instskip(NEXT) | instid1(VALU_DEP_1)
	v_add_nc_u32_e32 v6, 1, v6
	v_add_min_u32_e64 v7, v7, -1, v6
	s_delay_alu instid0(VALU_DEP_1)
	v_lshl_add_u32 v7, v7, 3, v43
	ds_load_b64 v[8:9], v7
	s_wait_dscnt 0x0
	v_dual_cndmask_b32 v7, v9, v13, s14 :: v_dual_cndmask_b32 v28, v6, v24, s14
	v_dual_cndmask_b32 v29, v25, v6, s14 :: v_dual_cndmask_b32 v6, v8, v12, s14
	;; [unrolled: 1-line block ×3, first 2 shown]
	s_delay_alu instid0(VALU_DEP_3)
	v_cmpx_lt_u32_e64 v28, v45
	s_cbranch_execz .LBB1605_1338
; %bb.1328:
	s_mov_b32 s7, 0
	s_mov_b32 s15, exec_lo
	v_cmpx_lt_u32_e64 v29, v47
	s_cbranch_execz .LBB1605_1337
; %bb.1329:
	s_and_not1_b32 vcc_lo, exec_lo, s26
	s_cbranch_vccnz .LBB1605_1335
; %bb.1330:
	v_mul_u64_e32 v[8:9], s[16:17], v[6:7]
	v_mul_u64_e32 v[26:27], s[16:17], v[24:25]
	s_mov_b32 s23, 0
	s_mov_b64 s[8:9], s[16:17]
                                        ; implicit-def: $sgpr27
                                        ; implicit-def: $sgpr28
                                        ; implicit-def: $sgpr29
                                        ; implicit-def: $sgpr30
	s_delay_alu instid0(VALU_DEP_2) | instskip(NEXT) | instid1(VALU_DEP_2)
	v_lshl_add_u64 v[8:9], v[8:9], 3, s[18:19]
	v_lshl_add_u64 v[26:27], v[26:27], 3, s[18:19]
	s_branch .LBB1605_1332
.LBB1605_1331:                          ;   in Loop: Header=BB1605_1332 Depth=1
	s_or_b32 exec_lo, exec_lo, s31
	s_delay_alu instid0(SALU_CYCLE_1) | instskip(NEXT) | instid1(SALU_CYCLE_1)
	s_and_b32 s31, exec_lo, s28
	s_or_b32 s23, s31, s23
	s_and_not1_b32 s30, s30, exec_lo
	s_and_b32 s7, s7, exec_lo
	s_and_not1_b32 s27, s27, exec_lo
	s_and_b32 s31, s29, exec_lo
	s_or_b32 s30, s30, s7
	s_or_b32 s27, s27, s31
	s_and_not1_b32 exec_lo, exec_lo, s23
	s_cbranch_execz .LBB1605_1334
.LBB1605_1332:                          ; =>This Inner Loop Header: Depth=1
	global_load_b64 v[30:31], v[8:9], off
	global_load_b64 v[32:33], v[26:27], off
	s_and_not1_b32 s29, s29, exec_lo
	s_or_b32 s28, s28, exec_lo
	s_wait_loadcnt 0x0
	v_cmp_le_u64_e32 vcc_lo, v[30:31], v[32:33]
	v_cmp_lt_u64_e64 s7, v[30:31], v[32:33]
	s_and_b32 s31, vcc_lo, s30
	s_delay_alu instid0(SALU_CYCLE_1) | instskip(NEXT) | instid1(SALU_CYCLE_1)
	s_or_b32 s7, s7, s31
	s_and_b32 s31, s7, exec_lo
	s_delay_alu instid0(SALU_CYCLE_1)
	s_or_b32 s29, s29, s31
	s_mov_b32 s31, exec_lo
	v_cmpx_eq_u64_e64 v[30:31], v[32:33]
	s_cbranch_execz .LBB1605_1331
; %bb.1333:                             ;   in Loop: Header=BB1605_1332 Depth=1
	s_add_nc_u64 s[8:9], s[8:9], -1
	v_add_nc_u64_e32 v[8:9], 8, v[8:9]
	s_cmp_eq_u64 s[8:9], 0
	v_add_nc_u64_e32 v[26:27], 8, v[26:27]
	s_cselect_b32 s30, -1, 0
	s_and_not1_b32 s28, s28, exec_lo
	s_and_b32 s30, s30, exec_lo
	s_and_not1_b32 s29, s29, exec_lo
	s_or_b32 s28, s28, s30
                                        ; implicit-def: $sgpr30
	s_branch .LBB1605_1331
.LBB1605_1334:
	s_or_b32 exec_lo, exec_lo, s23
	s_xor_b32 s7, s27, -1
	s_branch .LBB1605_1336
.LBB1605_1335:
	s_mov_b32 s7, -1
.LBB1605_1336:
	s_delay_alu instid0(SALU_CYCLE_1)
	s_and_b32 s7, s7, exec_lo
.LBB1605_1337:
	s_or_b32 exec_lo, exec_lo, s15
	s_delay_alu instid0(SALU_CYCLE_1)
	s_or_not1_b32 s15, s7, exec_lo
.LBB1605_1338:
	s_or_b32 exec_lo, exec_lo, s22
	v_dual_cndmask_b32 v8, v28, v29, s15 :: v_dual_cndmask_b32 v9, v45, v47, s15
	s_mov_b32 s22, -1
	s_mov_b32 s23, -1
	s_mov_b32 s27, exec_lo
	s_delay_alu instid0(VALU_DEP_1) | instskip(NEXT) | instid1(VALU_DEP_1)
	v_add_nc_u32_e32 v8, 1, v8
	v_add_min_u32_e64 v9, v9, -1, v8
	s_delay_alu instid0(VALU_DEP_1)
	v_lshl_add_u32 v9, v9, 3, v43
	ds_load_b64 v[26:27], v9
	s_wait_dscnt 0x0
	v_dual_cndmask_b32 v9, v27, v7, s15 :: v_dual_cndmask_b32 v32, v8, v28, s15
	v_dual_cndmask_b32 v33, v29, v8, s15 :: v_dual_cndmask_b32 v8, v26, v6, s15
	;; [unrolled: 1-line block ×3, first 2 shown]
	s_delay_alu instid0(VALU_DEP_3)
	v_cmpx_lt_u32_e64 v32, v45
	s_cbranch_execz .LBB1605_1349
; %bb.1339:
	s_mov_b32 s7, 0
	s_mov_b32 s23, exec_lo
	v_cmpx_lt_u32_e64 v33, v47
	s_cbranch_execz .LBB1605_1348
; %bb.1340:
	s_and_not1_b32 vcc_lo, exec_lo, s26
	s_cbranch_vccnz .LBB1605_1346
; %bb.1341:
	v_mul_u64_e32 v[28:29], s[16:17], v[8:9]
	v_mul_u64_e32 v[30:31], s[16:17], v[26:27]
	s_mov_b32 s28, 0
	s_mov_b64 s[8:9], s[16:17]
                                        ; implicit-def: $sgpr29
                                        ; implicit-def: $sgpr30
                                        ; implicit-def: $sgpr31
                                        ; implicit-def: $sgpr33
	s_delay_alu instid0(VALU_DEP_2) | instskip(NEXT) | instid1(VALU_DEP_2)
	v_lshl_add_u64 v[28:29], v[28:29], 3, s[18:19]
	v_lshl_add_u64 v[30:31], v[30:31], 3, s[18:19]
	s_branch .LBB1605_1343
.LBB1605_1342:                          ;   in Loop: Header=BB1605_1343 Depth=1
	s_or_b32 exec_lo, exec_lo, s34
	s_delay_alu instid0(SALU_CYCLE_1) | instskip(NEXT) | instid1(SALU_CYCLE_1)
	s_and_b32 s34, exec_lo, s30
	s_or_b32 s28, s34, s28
	s_and_not1_b32 s33, s33, exec_lo
	s_and_b32 s7, s7, exec_lo
	s_and_not1_b32 s29, s29, exec_lo
	s_and_b32 s34, s31, exec_lo
	s_or_b32 s33, s33, s7
	s_or_b32 s29, s29, s34
	s_and_not1_b32 exec_lo, exec_lo, s28
	s_cbranch_execz .LBB1605_1345
.LBB1605_1343:                          ; =>This Inner Loop Header: Depth=1
	global_load_b64 v[34:35], v[28:29], off
	global_load_b64 v[48:49], v[30:31], off
	s_and_not1_b32 s31, s31, exec_lo
	s_or_b32 s30, s30, exec_lo
	s_wait_loadcnt 0x0
	v_cmp_le_u64_e32 vcc_lo, v[34:35], v[48:49]
	v_cmp_lt_u64_e64 s7, v[34:35], v[48:49]
	s_and_b32 s34, vcc_lo, s33
	s_delay_alu instid0(SALU_CYCLE_1) | instskip(NEXT) | instid1(SALU_CYCLE_1)
	s_or_b32 s7, s7, s34
	s_and_b32 s34, s7, exec_lo
	s_delay_alu instid0(SALU_CYCLE_1)
	s_or_b32 s31, s31, s34
	s_mov_b32 s34, exec_lo
	v_cmpx_eq_u64_e64 v[34:35], v[48:49]
	s_cbranch_execz .LBB1605_1342
; %bb.1344:                             ;   in Loop: Header=BB1605_1343 Depth=1
	s_add_nc_u64 s[8:9], s[8:9], -1
	v_add_nc_u64_e32 v[28:29], 8, v[28:29]
	s_cmp_eq_u64 s[8:9], 0
	v_add_nc_u64_e32 v[30:31], 8, v[30:31]
	s_cselect_b32 s33, -1, 0
	s_and_not1_b32 s30, s30, exec_lo
	s_and_b32 s33, s33, exec_lo
	s_and_not1_b32 s31, s31, exec_lo
	s_or_b32 s30, s30, s33
                                        ; implicit-def: $sgpr33
	s_branch .LBB1605_1342
.LBB1605_1345:
	s_or_b32 exec_lo, exec_lo, s28
	s_xor_b32 s7, s29, -1
	s_branch .LBB1605_1347
.LBB1605_1346:
	s_mov_b32 s7, -1
.LBB1605_1347:
	s_delay_alu instid0(SALU_CYCLE_1)
	s_and_b32 s7, s7, exec_lo
.LBB1605_1348:
	s_or_b32 exec_lo, exec_lo, s23
	s_delay_alu instid0(SALU_CYCLE_1)
	s_or_not1_b32 s23, s7, exec_lo
.LBB1605_1349:
	s_or_b32 exec_lo, exec_lo, s27
	v_dual_cndmask_b32 v28, v32, v33, s23 :: v_dual_cndmask_b32 v29, v45, v47, s23
	s_mov_b32 s27, exec_lo
	s_delay_alu instid0(VALU_DEP_1) | instskip(NEXT) | instid1(VALU_DEP_1)
	v_add_nc_u32_e32 v28, 1, v28
	v_add_min_u32_e64 v29, v29, -1, v28
	s_delay_alu instid0(VALU_DEP_1)
	v_lshl_add_u32 v29, v29, 3, v43
	ds_load_b64 v[30:31], v29
	s_wait_dscnt 0x0
	v_dual_cndmask_b32 v29, v31, v9, s23 :: v_dual_cndmask_b32 v46, v28, v32, s23
	v_dual_cndmask_b32 v31, v27, v31, s23 :: v_dual_cndmask_b32 v44, v33, v28, s23
	v_cndmask_b32_e64 v28, v30, v8, s23
	v_cndmask_b32_e64 v30, v26, v30, s23
	s_delay_alu instid0(VALU_DEP_4)
	v_cmpx_lt_u32_e64 v46, v45
	s_cbranch_execz .LBB1605_1360
; %bb.1350:
	s_mov_b32 s7, 0
	s_mov_b32 s22, exec_lo
	v_cmpx_lt_u32_e64 v44, v47
	s_cbranch_execz .LBB1605_1359
; %bb.1351:
	s_and_not1_b32 vcc_lo, exec_lo, s26
	s_cbranch_vccnz .LBB1605_1357
; %bb.1352:
	v_mul_u64_e32 v[32:33], s[16:17], v[28:29]
	v_mul_u64_e32 v[34:35], s[16:17], v[30:31]
	s_mov_b32 s28, 0
	s_mov_b64 s[8:9], s[16:17]
                                        ; implicit-def: $sgpr29
                                        ; implicit-def: $sgpr30
                                        ; implicit-def: $sgpr31
                                        ; implicit-def: $sgpr33
	s_delay_alu instid0(VALU_DEP_2) | instskip(NEXT) | instid1(VALU_DEP_2)
	v_lshl_add_u64 v[32:33], v[32:33], 3, s[18:19]
	v_lshl_add_u64 v[34:35], v[34:35], 3, s[18:19]
	s_branch .LBB1605_1354
.LBB1605_1353:                          ;   in Loop: Header=BB1605_1354 Depth=1
	s_or_b32 exec_lo, exec_lo, s34
	s_delay_alu instid0(SALU_CYCLE_1) | instskip(NEXT) | instid1(SALU_CYCLE_1)
	s_and_b32 s34, exec_lo, s30
	s_or_b32 s28, s34, s28
	s_and_not1_b32 s33, s33, exec_lo
	s_and_b32 s7, s7, exec_lo
	s_and_not1_b32 s29, s29, exec_lo
	s_and_b32 s34, s31, exec_lo
	s_or_b32 s33, s33, s7
	s_or_b32 s29, s29, s34
	s_and_not1_b32 exec_lo, exec_lo, s28
	s_cbranch_execz .LBB1605_1356
.LBB1605_1354:                          ; =>This Inner Loop Header: Depth=1
	global_load_b64 v[48:49], v[32:33], off
	global_load_b64 v[50:51], v[34:35], off
	s_and_not1_b32 s31, s31, exec_lo
	s_or_b32 s30, s30, exec_lo
	s_wait_loadcnt 0x0
	v_cmp_le_u64_e32 vcc_lo, v[48:49], v[50:51]
	v_cmp_lt_u64_e64 s7, v[48:49], v[50:51]
	s_and_b32 s34, vcc_lo, s33
	s_delay_alu instid0(SALU_CYCLE_1) | instskip(NEXT) | instid1(SALU_CYCLE_1)
	s_or_b32 s7, s7, s34
	s_and_b32 s34, s7, exec_lo
	s_delay_alu instid0(SALU_CYCLE_1)
	s_or_b32 s31, s31, s34
	s_mov_b32 s34, exec_lo
	v_cmpx_eq_u64_e64 v[48:49], v[50:51]
	s_cbranch_execz .LBB1605_1353
; %bb.1355:                             ;   in Loop: Header=BB1605_1354 Depth=1
	s_add_nc_u64 s[8:9], s[8:9], -1
	v_add_nc_u64_e32 v[32:33], 8, v[32:33]
	s_cmp_eq_u64 s[8:9], 0
	v_add_nc_u64_e32 v[34:35], 8, v[34:35]
	s_cselect_b32 s33, -1, 0
	s_and_not1_b32 s30, s30, exec_lo
	s_and_b32 s33, s33, exec_lo
	s_and_not1_b32 s31, s31, exec_lo
	s_or_b32 s30, s30, s33
                                        ; implicit-def: $sgpr33
	s_branch .LBB1605_1353
.LBB1605_1356:
	s_or_b32 exec_lo, exec_lo, s28
	s_xor_b32 s7, s29, -1
	s_branch .LBB1605_1358
.LBB1605_1357:
	s_mov_b32 s7, -1
.LBB1605_1358:
	s_delay_alu instid0(SALU_CYCLE_1)
	s_and_b32 s7, s7, exec_lo
.LBB1605_1359:
	s_or_b32 exec_lo, exec_lo, s22
	s_delay_alu instid0(SALU_CYCLE_1)
	s_or_not1_b32 s22, s7, exec_lo
.LBB1605_1360:
	s_or_b32 exec_lo, exec_lo, s27
	v_dual_cndmask_b32 v32, v46, v44, s22 :: v_dual_cndmask_b32 v33, v45, v47, s22
	v_dual_cndmask_b32 v8, v8, v26, s23 :: v_dual_cndmask_b32 v7, v7, v25, s15
	;; [unrolled: 1-line block ×3, first 2 shown]
	s_delay_alu instid0(VALU_DEP_3) | instskip(SKIP_2) | instid1(VALU_DEP_3)
	v_dual_add_nc_u32 v34, 1, v32 :: v_dual_cndmask_b32 v9, v9, v27, s23
	v_dual_cndmask_b32 v12, v12, v22, s14 :: v_dual_cndmask_b32 v11, v11, v17, s13
	v_dual_cndmask_b32 v10, v10, v16, s13 :: v_dual_cndmask_b32 v17, v5, v15, s12
	v_add_min_u32_e64 v32, v33, -1, v34
	v_dual_cndmask_b32 v16, v4, v14, s12 :: v_dual_cndmask_b32 v15, v3, v1, s11
	v_dual_cndmask_b32 v14, v2, v0, s11 :: v_dual_cndmask_b32 v3, v29, v31, s22
	s_delay_alu instid0(VALU_DEP_3)
	v_lshl_add_u32 v32, v32, 3, v43
	s_mov_b32 s11, exec_lo
	ds_load_b64 v[32:33], v32
	v_cndmask_b32_e64 v0, v34, v46, s22
	s_wait_dscnt 0x0
	v_dual_cndmask_b32 v2, v28, v30, s22 :: v_dual_cndmask_b32 v4, v30, v32, s22
	v_cndmask_b32_e64 v5, v31, v33, s22
	s_delay_alu instid0(VALU_DEP_3)
	v_cmpx_lt_u32_e64 v0, v45
	s_cbranch_execz .LBB1605_1370
; %bb.1361:
	v_dual_cndmask_b32 v22, v44, v34, s22 :: v_dual_cndmask_b32 v1, v33, v29, s22
	v_cndmask_b32_e64 v0, v32, v28, s22
	s_mov_b32 s12, exec_lo
	s_delay_alu instid0(VALU_DEP_2)
	v_cmpx_lt_u32_e64 v22, v47
	s_cbranch_execz .LBB1605_1369
; %bb.1362:
	s_and_not1_b32 vcc_lo, exec_lo, s26
	s_cbranch_vccnz .LBB1605_1368
; %bb.1363:
	v_mul_u64_e32 v[22:23], s[16:17], v[0:1]
	v_mul_u64_e32 v[24:25], s[16:17], v[4:5]
	s_mov_b32 s13, 0
	s_mov_b64 s[8:9], s[16:17]
                                        ; implicit-def: $sgpr14
                                        ; implicit-def: $sgpr15
                                        ; implicit-def: $sgpr22
                                        ; implicit-def: $sgpr23
	s_delay_alu instid0(VALU_DEP_2) | instskip(NEXT) | instid1(VALU_DEP_2)
	v_lshl_add_u64 v[22:23], v[22:23], 3, s[18:19]
	v_lshl_add_u64 v[24:25], v[24:25], 3, s[18:19]
	s_branch .LBB1605_1365
.LBB1605_1364:                          ;   in Loop: Header=BB1605_1365 Depth=1
	s_or_b32 exec_lo, exec_lo, s27
	s_delay_alu instid0(SALU_CYCLE_1) | instskip(NEXT) | instid1(SALU_CYCLE_1)
	s_and_b32 s27, exec_lo, s15
	s_or_b32 s13, s27, s13
	s_and_not1_b32 s23, s23, exec_lo
	s_and_b32 s7, s7, exec_lo
	s_and_not1_b32 s14, s14, exec_lo
	s_and_b32 s27, s22, exec_lo
	s_or_b32 s23, s23, s7
	s_or_b32 s14, s14, s27
	s_and_not1_b32 exec_lo, exec_lo, s13
	s_cbranch_execz .LBB1605_1367
.LBB1605_1365:                          ; =>This Inner Loop Header: Depth=1
	global_load_b64 v[26:27], v[22:23], off
	global_load_b64 v[28:29], v[24:25], off
	s_and_not1_b32 s22, s22, exec_lo
	s_or_b32 s15, s15, exec_lo
	s_wait_loadcnt 0x0
	v_cmp_le_u64_e32 vcc_lo, v[26:27], v[28:29]
	v_cmp_lt_u64_e64 s7, v[26:27], v[28:29]
	s_and_b32 s27, vcc_lo, s23
	s_delay_alu instid0(SALU_CYCLE_1) | instskip(NEXT) | instid1(SALU_CYCLE_1)
	s_or_b32 s7, s7, s27
	s_and_b32 s27, s7, exec_lo
	s_delay_alu instid0(SALU_CYCLE_1)
	s_or_b32 s22, s22, s27
	s_mov_b32 s27, exec_lo
	v_cmpx_eq_u64_e64 v[26:27], v[28:29]
	s_cbranch_execz .LBB1605_1364
; %bb.1366:                             ;   in Loop: Header=BB1605_1365 Depth=1
	s_add_nc_u64 s[8:9], s[8:9], -1
	v_add_nc_u64_e32 v[22:23], 8, v[22:23]
	s_cmp_eq_u64 s[8:9], 0
	v_add_nc_u64_e32 v[24:25], 8, v[24:25]
	s_cselect_b32 s23, -1, 0
	s_and_not1_b32 s15, s15, exec_lo
	s_and_b32 s23, s23, exec_lo
	s_and_not1_b32 s22, s22, exec_lo
	s_or_b32 s15, s15, s23
                                        ; implicit-def: $sgpr23
	s_branch .LBB1605_1364
.LBB1605_1367:
	s_or_b32 exec_lo, exec_lo, s13
	v_dual_cndmask_b32 v5, v5, v1, s14 :: v_dual_cndmask_b32 v4, v4, v0, s14
.LBB1605_1368:
	s_delay_alu instid0(VALU_DEP_1)
	v_mov_b64_e32 v[0:1], v[4:5]
.LBB1605_1369:
	s_or_b32 exec_lo, exec_lo, s12
	s_delay_alu instid0(VALU_DEP_1)
	v_mov_b64_e32 v[4:5], v[0:1]
.LBB1605_1370:
	s_or_b32 exec_lo, exec_lo, s11
.LBB1605_1371:
	s_delay_alu instid0(SALU_CYCLE_1)
	s_or_b32 exec_lo, exec_lo, s10
	s_cmp_lt_u32 s25, 0x81
	; wave barrier
	s_wait_dscnt 0x0
	s_barrier_signal -1
	s_barrier_wait -1
	s_cbranch_scc1 .LBB1605_1475
; %bb.1372:
	v_lshlrev_b32_e32 v24, 3, v20
	s_lshl_b64 s[8:9], s[16:17], 3
	s_movk_i32 s12, 0x80
	s_branch .LBB1605_1378
.LBB1605_1373:                          ;   in Loop: Header=BB1605_1378 Depth=1
	s_or_b32 exec_lo, exec_lo, s33
	v_dual_cndmask_b32 v5, v5, v7, s34 :: v_dual_cndmask_b32 v4, v4, v6, s34
.LBB1605_1374:                          ;   in Loop: Header=BB1605_1378 Depth=1
	s_delay_alu instid0(VALU_DEP_1)
	v_mov_b64_e32 v[6:7], v[4:5]
.LBB1605_1375:                          ;   in Loop: Header=BB1605_1378 Depth=1
	s_or_b32 exec_lo, exec_lo, s31
	s_delay_alu instid0(VALU_DEP_1)
	v_mov_b64_e32 v[4:5], v[6:7]
.LBB1605_1376:                          ;   in Loop: Header=BB1605_1378 Depth=1
	s_or_b32 exec_lo, exec_lo, s30
	v_dual_cndmask_b32 v9, v35, v44, s29 :: v_dual_cndmask_b32 v6, v32, v34, s27
	v_cndmask_b32_e64 v8, v43, v45, s29
	v_dual_cndmask_b32 v7, v31, v33, s27 :: v_dual_cndmask_b32 v11, v17, v27, s22
	v_dual_cndmask_b32 v13, v12, v13, s23 :: v_dual_cndmask_b32 v10, v23, v28, s22
	;; [unrolled: 1-line block ×3, first 2 shown]
	v_cndmask_b32_e64 v16, v15, v22, s15
	v_dual_cndmask_b32 v15, v3, v1, s14 :: v_dual_cndmask_b32 v14, v2, v0, s14
	v_dual_cndmask_b32 v3, v46, v48, s28 :: v_dual_cndmask_b32 v2, v47, v49, s28
.LBB1605_1377:                          ;   in Loop: Header=BB1605_1378 Depth=1
	s_or_b32 exec_lo, exec_lo, s13
	s_cmp_lt_u32 s12, s25
	s_barrier_signal -1
	s_barrier_wait -1
	s_cbranch_scc0 .LBB1605_1475
.LBB1605_1378:                          ; =>This Loop Header: Depth=1
                                        ;     Child Loop BB1605_1382 Depth 2
                                        ;       Child Loop BB1605_1385 Depth 3
                                        ;     Child Loop BB1605_1397 Depth 2
                                        ;     Child Loop BB1605_1407 Depth 2
	;; [unrolled: 1-line block ×8, first 2 shown]
	s_mov_b32 s7, s12
	s_lshl_b32 s12, s12, 1
	s_mov_b32 s13, exec_lo
	s_sub_co_i32 s10, 0, s12
	ds_store_b128 v24, v[14:17]
	ds_store_b128 v24, v[10:13] offset:16
	ds_store_b128 v24, v[6:9] offset:32
	;; [unrolled: 1-line block ×3, first 2 shown]
	v_and_b32_e32 v29, s10, v20
	s_add_co_i32 s10, s12, -1
	s_wait_dscnt 0x0
	s_barrier_signal -1
	s_barrier_wait -1
	v_add_min_u32_e64 v25, v29, s7, s25
	s_delay_alu instid0(VALU_DEP_1) | instskip(NEXT) | instid1(VALU_DEP_1)
	v_add_min_u32_e64 v26, v25, s7, s25
	v_dual_sub_nc_u32 v1, v26, v25 :: v_dual_bitop2_b32 v0, s10, v20 bitop3:0x40
	v_lshlrev_b32_e32 v28, 3, v29
	s_delay_alu instid0(VALU_DEP_2) | instskip(SKIP_1) | instid1(VALU_DEP_2)
	v_min_u32_e32 v30, s25, v0
	v_sub_nc_u32_e32 v0, v25, v29
	v_sub_nc_u32_e64 v27, v30, v1 clamp
	s_delay_alu instid0(VALU_DEP_2) | instskip(NEXT) | instid1(VALU_DEP_1)
	v_min_u32_e32 v31, v30, v0
	v_cmpx_lt_u32_e64 v27, v31
	s_cbranch_execz .LBB1605_1388
; %bb.1379:                             ;   in Loop: Header=BB1605_1378 Depth=1
	v_lshlrev_b32_e32 v0, 3, v30
	s_mov_b32 s14, 0
	s_delay_alu instid0(VALU_DEP_1)
	v_lshl_add_u32 v32, v25, 3, v0
	s_branch .LBB1605_1382
.LBB1605_1380:                          ;   in Loop: Header=BB1605_1382 Depth=2
	s_or_b32 exec_lo, exec_lo, s22
.LBB1605_1381:                          ;   in Loop: Header=BB1605_1382 Depth=2
	s_delay_alu instid0(VALU_DEP_1) | instskip(NEXT) | instid1(VALU_DEP_1)
	v_dual_add_nc_u32 v0, 1, v33 :: v_dual_cndmask_b32 v31, v31, v33, s15
	v_cndmask_b32_e64 v27, v0, v27, s15
	s_delay_alu instid0(VALU_DEP_1) | instskip(SKIP_1) | instid1(SALU_CYCLE_1)
	v_cmp_ge_u32_e32 vcc_lo, v27, v31
	s_or_b32 s14, vcc_lo, s14
	s_and_not1_b32 exec_lo, exec_lo, s14
	s_cbranch_execz .LBB1605_1387
.LBB1605_1382:                          ;   Parent Loop BB1605_1378 Depth=1
                                        ; =>  This Loop Header: Depth=2
                                        ;       Child Loop BB1605_1385 Depth 3
	v_add_nc_u32_e32 v0, v31, v27
	s_and_not1_b32 vcc_lo, exec_lo, s26
	s_mov_b32 s15, 0
	s_delay_alu instid0(VALU_DEP_1)
	v_lshrrev_b32_e32 v33, 1, v0
	s_cbranch_vccnz .LBB1605_1381
; %bb.1383:                             ;   in Loop: Header=BB1605_1382 Depth=2
	s_delay_alu instid0(VALU_DEP_1) | instskip(SKIP_3) | instid1(VALU_DEP_2)
	v_not_b32_e32 v0, v33
	v_lshl_add_u32 v1, v33, 3, v28
	s_mov_b32 s22, 0
	s_mov_b64 s[10:11], s[16:17]
                                        ; implicit-def: $sgpr15
                                        ; implicit-def: $sgpr23
                                        ; implicit-def: $sgpr27
                                        ; implicit-def: $sgpr28
	v_lshl_add_u32 v0, v0, 3, v32
	ds_load_b64 v[34:35], v0
	ds_load_b64 v[44:45], v1
	s_wait_dscnt 0x1
	v_mad_nc_u64_u32 v[0:1], s8, v34, s[18:19]
	s_wait_dscnt 0x0
	v_mad_nc_u64_u32 v[22:23], s8, v44, s[18:19]
	s_delay_alu instid0(VALU_DEP_2) | instskip(NEXT) | instid1(VALU_DEP_2)
	v_mad_u32 v1, s9, v34, v1
	v_mad_u32 v23, s9, v44, v23
	s_delay_alu instid0(VALU_DEP_2) | instskip(NEXT) | instid1(VALU_DEP_2)
	v_mad_u32 v1, s8, v35, v1
	v_mad_u32 v23, s8, v45, v23
	s_branch .LBB1605_1385
.LBB1605_1384:                          ;   in Loop: Header=BB1605_1385 Depth=3
	s_or_b32 exec_lo, exec_lo, s29
	s_delay_alu instid0(SALU_CYCLE_1) | instskip(NEXT) | instid1(SALU_CYCLE_1)
	s_and_b32 s29, exec_lo, s23
	s_or_b32 s22, s29, s22
	s_and_not1_b32 s28, s28, exec_lo
	s_and_b32 s7, s7, exec_lo
	s_and_not1_b32 s15, s15, exec_lo
	s_and_b32 s29, s27, exec_lo
	s_or_b32 s28, s28, s7
	s_or_b32 s15, s15, s29
	s_and_not1_b32 exec_lo, exec_lo, s22
	s_cbranch_execz .LBB1605_1380
.LBB1605_1385:                          ;   Parent Loop BB1605_1378 Depth=1
                                        ;     Parent Loop BB1605_1382 Depth=2
                                        ; =>    This Inner Loop Header: Depth=3
	global_load_b64 v[34:35], v[0:1], off
	global_load_b64 v[44:45], v[22:23], off
	s_and_not1_b32 s27, s27, exec_lo
	s_or_b32 s23, s23, exec_lo
	s_wait_loadcnt 0x0
	v_cmp_le_u64_e32 vcc_lo, v[34:35], v[44:45]
	v_cmp_lt_u64_e64 s7, v[34:35], v[44:45]
	s_and_b32 s29, vcc_lo, s28
	s_delay_alu instid0(SALU_CYCLE_1) | instskip(NEXT) | instid1(SALU_CYCLE_1)
	s_or_b32 s7, s7, s29
	s_and_b32 s29, s7, exec_lo
	s_delay_alu instid0(SALU_CYCLE_1)
	s_or_b32 s27, s27, s29
	s_mov_b32 s29, exec_lo
	v_cmpx_eq_u64_e64 v[34:35], v[44:45]
	s_cbranch_execz .LBB1605_1384
; %bb.1386:                             ;   in Loop: Header=BB1605_1385 Depth=3
	s_add_nc_u64 s[10:11], s[10:11], -1
	v_add_nc_u64_e32 v[0:1], 8, v[0:1]
	s_cmp_eq_u64 s[10:11], 0
	v_add_nc_u64_e32 v[22:23], 8, v[22:23]
	s_cselect_b32 s28, -1, 0
	s_and_not1_b32 s23, s23, exec_lo
	s_and_b32 s28, s28, exec_lo
	s_and_not1_b32 s27, s27, exec_lo
	s_or_b32 s23, s23, s28
                                        ; implicit-def: $sgpr28
	s_branch .LBB1605_1384
.LBB1605_1387:                          ;   in Loop: Header=BB1605_1378 Depth=1
	s_or_b32 exec_lo, exec_lo, s14
.LBB1605_1388:                          ;   in Loop: Header=BB1605_1378 Depth=1
	s_delay_alu instid0(SALU_CYCLE_1) | instskip(SKIP_1) | instid1(VALU_DEP_1)
	s_or_b32 exec_lo, exec_lo, s13
	v_dual_sub_nc_u32 v0, v30, v27 :: v_dual_add_nc_u32 v22, v27, v29
	v_add_nc_u32_e32 v23, v0, v25
	s_delay_alu instid0(VALU_DEP_2) | instskip(NEXT) | instid1(VALU_DEP_2)
	v_cmp_le_u32_e32 vcc_lo, v22, v25
	v_cmp_le_u32_e64 s7, v23, v26
	s_or_b32 s7, vcc_lo, s7
	s_delay_alu instid0(SALU_CYCLE_1)
	s_and_saveexec_b32 s13, s7
	s_cbranch_execz .LBB1605_1377
; %bb.1389:                             ;   in Loop: Header=BB1605_1378 Depth=1
	s_mov_b32 s10, exec_lo
	v_cmp_ge_u32_e32 vcc_lo, v22, v25
                                        ; implicit-def: $vgpr0_vgpr1
	v_cmpx_lt_u32_e64 v22, v25
; %bb.1390:                             ;   in Loop: Header=BB1605_1378 Depth=1
	v_lshl_add_u32 v0, v27, 3, v28
	ds_load_b64 v[0:1], v0
; %bb.1391:                             ;   in Loop: Header=BB1605_1378 Depth=1
	s_or_b32 exec_lo, exec_lo, s10
	v_cmp_ge_u32_e64 s14, v23, v26
	s_mov_b32 s10, exec_lo
                                        ; implicit-def: $vgpr2_vgpr3
	v_cmpx_lt_u32_e64 v23, v26
; %bb.1392:                             ;   in Loop: Header=BB1605_1378 Depth=1
	v_lshlrev_b32_e32 v2, 3, v23
	ds_load_b64 v[2:3], v2
; %bb.1393:                             ;   in Loop: Header=BB1605_1378 Depth=1
	s_or_b32 exec_lo, exec_lo, s10
	s_nor_b32 s7, vcc_lo, s14
	s_delay_alu instid0(SALU_CYCLE_1)
	s_and_saveexec_b32 s15, s7
	s_cbranch_execz .LBB1605_1402
; %bb.1394:                             ;   in Loop: Header=BB1605_1378 Depth=1
	s_and_not1_b32 vcc_lo, exec_lo, s26
	s_cbranch_vccnz .LBB1605_1400
; %bb.1395:                             ;   in Loop: Header=BB1605_1378 Depth=1
	s_wait_dscnt 0x0
	v_mad_nc_u64_u32 v[4:5], s8, v2, s[18:19]
	v_mad_nc_u64_u32 v[6:7], s8, v0, s[18:19]
	s_mov_b32 s22, 0
	s_mov_b64 s[10:11], s[16:17]
                                        ; implicit-def: $sgpr23
                                        ; implicit-def: $sgpr27
                                        ; implicit-def: $sgpr28
                                        ; implicit-def: $sgpr29
	s_delay_alu instid0(VALU_DEP_2) | instskip(NEXT) | instid1(VALU_DEP_2)
	v_mad_u32 v5, s9, v2, v5
	v_mad_u32 v7, s9, v0, v7
	s_delay_alu instid0(VALU_DEP_2) | instskip(NEXT) | instid1(VALU_DEP_2)
	v_mad_u32 v5, s8, v3, v5
	v_mad_u32 v7, s8, v1, v7
	s_branch .LBB1605_1397
.LBB1605_1396:                          ;   in Loop: Header=BB1605_1397 Depth=2
	s_or_b32 exec_lo, exec_lo, s30
	s_delay_alu instid0(SALU_CYCLE_1) | instskip(NEXT) | instid1(SALU_CYCLE_1)
	s_and_b32 s30, exec_lo, s27
	s_or_b32 s22, s30, s22
	s_and_not1_b32 s29, s29, exec_lo
	s_and_b32 s7, s7, exec_lo
	s_and_not1_b32 s23, s23, exec_lo
	s_and_b32 s30, s28, exec_lo
	s_or_b32 s29, s29, s7
	s_or_b32 s23, s23, s30
	s_and_not1_b32 exec_lo, exec_lo, s22
	s_cbranch_execz .LBB1605_1399
.LBB1605_1397:                          ;   Parent Loop BB1605_1378 Depth=1
                                        ; =>  This Inner Loop Header: Depth=2
	global_load_b64 v[8:9], v[4:5], off
	global_load_b64 v[10:11], v[6:7], off
	s_and_not1_b32 s28, s28, exec_lo
	s_or_b32 s27, s27, exec_lo
	s_wait_loadcnt 0x0
	v_cmp_le_u64_e32 vcc_lo, v[8:9], v[10:11]
	v_cmp_lt_u64_e64 s7, v[8:9], v[10:11]
	s_and_b32 s30, vcc_lo, s29
	s_delay_alu instid0(SALU_CYCLE_1) | instskip(NEXT) | instid1(SALU_CYCLE_1)
	s_or_b32 s7, s7, s30
	s_and_b32 s30, s7, exec_lo
	s_delay_alu instid0(SALU_CYCLE_1)
	s_or_b32 s28, s28, s30
	s_mov_b32 s30, exec_lo
	v_cmpx_eq_u64_e64 v[8:9], v[10:11]
	s_cbranch_execz .LBB1605_1396
; %bb.1398:                             ;   in Loop: Header=BB1605_1397 Depth=2
	s_add_nc_u64 s[10:11], s[10:11], -1
	v_add_nc_u64_e32 v[4:5], 8, v[4:5]
	s_cmp_eq_u64 s[10:11], 0
	v_add_nc_u64_e32 v[6:7], 8, v[6:7]
	s_cselect_b32 s29, -1, 0
	s_and_not1_b32 s27, s27, exec_lo
	s_and_b32 s29, s29, exec_lo
	s_and_not1_b32 s28, s28, exec_lo
	s_or_b32 s27, s27, s29
                                        ; implicit-def: $sgpr29
	s_branch .LBB1605_1396
.LBB1605_1399:                          ;   in Loop: Header=BB1605_1378 Depth=1
	s_or_b32 exec_lo, exec_lo, s22
	s_xor_b32 s7, s23, -1
	s_branch .LBB1605_1401
.LBB1605_1400:                          ;   in Loop: Header=BB1605_1378 Depth=1
	s_mov_b32 s7, -1
.LBB1605_1401:                          ;   in Loop: Header=BB1605_1378 Depth=1
	s_and_not1_b32 s10, s14, exec_lo
	s_and_b32 s7, s7, exec_lo
	s_delay_alu instid0(SALU_CYCLE_1)
	s_or_b32 s14, s10, s7
.LBB1605_1402:                          ;   in Loop: Header=BB1605_1378 Depth=1
	s_or_b32 exec_lo, exec_lo, s15
	v_dual_cndmask_b32 v4, v23, v22, s14 :: v_dual_cndmask_b32 v5, v26, v25, s14
	s_mov_b32 s22, -1
	s_mov_b32 s15, -1
	s_mov_b32 s23, exec_lo
	s_delay_alu instid0(VALU_DEP_1) | instskip(NEXT) | instid1(VALU_DEP_1)
	v_add_nc_u32_e32 v6, 1, v4
	v_add_min_u32_e64 v4, v5, -1, v6
	s_delay_alu instid0(VALU_DEP_1)
	v_lshlrev_b32_e32 v4, 3, v4
	ds_load_b64 v[4:5], v4
	v_cndmask_b32_e64 v8, v6, v23, s14
	s_wait_dscnt 0x0
	v_dual_cndmask_b32 v9, v22, v6, s14 :: v_dual_cndmask_b32 v14, v5, v3, s14
	v_dual_cndmask_b32 v15, v4, v2, s14 :: v_dual_cndmask_b32 v16, v1, v5, s14
	v_cndmask_b32_e64 v22, v0, v4, s14
	v_cmpx_lt_u32_e64 v8, v26
	s_cbranch_execz .LBB1605_1413
; %bb.1403:                             ;   in Loop: Header=BB1605_1378 Depth=1
	s_mov_b32 s7, 0
	s_mov_b32 s15, exec_lo
	v_cmpx_lt_u32_e64 v9, v25
	s_cbranch_execz .LBB1605_1412
; %bb.1404:                             ;   in Loop: Header=BB1605_1378 Depth=1
	s_and_not1_b32 vcc_lo, exec_lo, s26
	s_cbranch_vccnz .LBB1605_1410
; %bb.1405:                             ;   in Loop: Header=BB1605_1378 Depth=1
	v_mad_nc_u64_u32 v[4:5], s8, v15, s[18:19]
	v_mad_nc_u64_u32 v[6:7], s8, v22, s[18:19]
	s_mov_b32 s27, 0
	s_mov_b64 s[10:11], s[16:17]
                                        ; implicit-def: $sgpr28
                                        ; implicit-def: $sgpr29
                                        ; implicit-def: $sgpr30
                                        ; implicit-def: $sgpr31
	s_delay_alu instid0(VALU_DEP_2) | instskip(NEXT) | instid1(VALU_DEP_2)
	v_mad_u32 v5, s9, v15, v5
	v_mad_u32 v7, s9, v22, v7
	s_delay_alu instid0(VALU_DEP_2) | instskip(NEXT) | instid1(VALU_DEP_2)
	v_mad_u32 v5, s8, v14, v5
	v_mad_u32 v7, s8, v16, v7
	s_branch .LBB1605_1407
.LBB1605_1406:                          ;   in Loop: Header=BB1605_1407 Depth=2
	s_or_b32 exec_lo, exec_lo, s33
	s_delay_alu instid0(SALU_CYCLE_1) | instskip(NEXT) | instid1(SALU_CYCLE_1)
	s_and_b32 s33, exec_lo, s29
	s_or_b32 s27, s33, s27
	s_and_not1_b32 s31, s31, exec_lo
	s_and_b32 s7, s7, exec_lo
	s_and_not1_b32 s28, s28, exec_lo
	s_and_b32 s33, s30, exec_lo
	s_or_b32 s31, s31, s7
	s_or_b32 s28, s28, s33
	s_and_not1_b32 exec_lo, exec_lo, s27
	s_cbranch_execz .LBB1605_1409
.LBB1605_1407:                          ;   Parent Loop BB1605_1378 Depth=1
                                        ; =>  This Inner Loop Header: Depth=2
	global_load_b64 v[10:11], v[4:5], off
	global_load_b64 v[12:13], v[6:7], off
	s_and_not1_b32 s30, s30, exec_lo
	s_or_b32 s29, s29, exec_lo
	s_wait_loadcnt 0x0
	v_cmp_le_u64_e32 vcc_lo, v[10:11], v[12:13]
	v_cmp_lt_u64_e64 s7, v[10:11], v[12:13]
	s_and_b32 s33, vcc_lo, s31
	s_delay_alu instid0(SALU_CYCLE_1) | instskip(NEXT) | instid1(SALU_CYCLE_1)
	s_or_b32 s7, s7, s33
	s_and_b32 s33, s7, exec_lo
	s_delay_alu instid0(SALU_CYCLE_1)
	s_or_b32 s30, s30, s33
	s_mov_b32 s33, exec_lo
	v_cmpx_eq_u64_e64 v[10:11], v[12:13]
	s_cbranch_execz .LBB1605_1406
; %bb.1408:                             ;   in Loop: Header=BB1605_1407 Depth=2
	s_add_nc_u64 s[10:11], s[10:11], -1
	v_add_nc_u64_e32 v[4:5], 8, v[4:5]
	s_cmp_eq_u64 s[10:11], 0
	v_add_nc_u64_e32 v[6:7], 8, v[6:7]
	s_cselect_b32 s31, -1, 0
	s_and_not1_b32 s29, s29, exec_lo
	s_and_b32 s31, s31, exec_lo
	s_and_not1_b32 s30, s30, exec_lo
	s_or_b32 s29, s29, s31
                                        ; implicit-def: $sgpr31
	s_branch .LBB1605_1406
.LBB1605_1409:                          ;   in Loop: Header=BB1605_1378 Depth=1
	s_or_b32 exec_lo, exec_lo, s27
	s_xor_b32 s7, s28, -1
	s_branch .LBB1605_1411
.LBB1605_1410:                          ;   in Loop: Header=BB1605_1378 Depth=1
	s_mov_b32 s7, -1
.LBB1605_1411:                          ;   in Loop: Header=BB1605_1378 Depth=1
	s_delay_alu instid0(SALU_CYCLE_1)
	s_and_b32 s7, s7, exec_lo
.LBB1605_1412:                          ;   in Loop: Header=BB1605_1378 Depth=1
	s_or_b32 exec_lo, exec_lo, s15
	s_delay_alu instid0(SALU_CYCLE_1)
	s_or_not1_b32 s15, s7, exec_lo
.LBB1605_1413:                          ;   in Loop: Header=BB1605_1378 Depth=1
	s_or_b32 exec_lo, exec_lo, s23
	v_cndmask_b32_e64 v4, v8, v9, s15
	v_cndmask_b32_e64 v5, v26, v25, s15
	s_mov_b32 s23, exec_lo
	s_delay_alu instid0(VALU_DEP_2) | instskip(NEXT) | instid1(VALU_DEP_1)
	v_add_nc_u32_e32 v6, 1, v4
	v_add_min_u32_e64 v4, v5, -1, v6
	v_dual_cndmask_b32 v8, v6, v8, s15 :: v_dual_cndmask_b32 v9, v9, v6, s15
	s_delay_alu instid0(VALU_DEP_2)
	v_lshlrev_b32_e32 v4, 3, v4
	ds_load_b64 v[4:5], v4
	s_wait_dscnt 0x0
	v_dual_cndmask_b32 v17, v5, v14, s15 :: v_dual_cndmask_b32 v23, v4, v15, s15
	v_dual_cndmask_b32 v27, v16, v5, s15 :: v_dual_cndmask_b32 v28, v22, v4, s15
	v_cmpx_lt_u32_e64 v8, v26
	s_cbranch_execz .LBB1605_1424
; %bb.1414:                             ;   in Loop: Header=BB1605_1378 Depth=1
	s_mov_b32 s7, 0
	s_mov_b32 s22, exec_lo
	v_cmpx_lt_u32_e64 v9, v25
	s_cbranch_execz .LBB1605_1423
; %bb.1415:                             ;   in Loop: Header=BB1605_1378 Depth=1
	s_and_not1_b32 vcc_lo, exec_lo, s26
	s_cbranch_vccnz .LBB1605_1421
; %bb.1416:                             ;   in Loop: Header=BB1605_1378 Depth=1
	v_mad_nc_u64_u32 v[4:5], s8, v23, s[18:19]
	v_mad_nc_u64_u32 v[6:7], s8, v28, s[18:19]
	s_mov_b32 s27, 0
	s_mov_b64 s[10:11], s[16:17]
                                        ; implicit-def: $sgpr28
                                        ; implicit-def: $sgpr29
                                        ; implicit-def: $sgpr30
                                        ; implicit-def: $sgpr31
	s_delay_alu instid0(VALU_DEP_2) | instskip(NEXT) | instid1(VALU_DEP_2)
	v_mad_u32 v5, s9, v23, v5
	v_mad_u32 v7, s9, v28, v7
	s_delay_alu instid0(VALU_DEP_2) | instskip(NEXT) | instid1(VALU_DEP_2)
	v_mad_u32 v5, s8, v17, v5
	v_mad_u32 v7, s8, v27, v7
	s_branch .LBB1605_1418
.LBB1605_1417:                          ;   in Loop: Header=BB1605_1418 Depth=2
	s_or_b32 exec_lo, exec_lo, s33
	s_delay_alu instid0(SALU_CYCLE_1) | instskip(NEXT) | instid1(SALU_CYCLE_1)
	s_and_b32 s33, exec_lo, s29
	s_or_b32 s27, s33, s27
	s_and_not1_b32 s31, s31, exec_lo
	s_and_b32 s7, s7, exec_lo
	s_and_not1_b32 s28, s28, exec_lo
	s_and_b32 s33, s30, exec_lo
	s_or_b32 s31, s31, s7
	s_or_b32 s28, s28, s33
	s_and_not1_b32 exec_lo, exec_lo, s27
	s_cbranch_execz .LBB1605_1420
.LBB1605_1418:                          ;   Parent Loop BB1605_1378 Depth=1
                                        ; =>  This Inner Loop Header: Depth=2
	global_load_b64 v[10:11], v[4:5], off
	global_load_b64 v[12:13], v[6:7], off
	s_and_not1_b32 s30, s30, exec_lo
	s_or_b32 s29, s29, exec_lo
	s_wait_loadcnt 0x0
	v_cmp_le_u64_e32 vcc_lo, v[10:11], v[12:13]
	v_cmp_lt_u64_e64 s7, v[10:11], v[12:13]
	s_and_b32 s33, vcc_lo, s31
	s_delay_alu instid0(SALU_CYCLE_1) | instskip(NEXT) | instid1(SALU_CYCLE_1)
	s_or_b32 s7, s7, s33
	s_and_b32 s33, s7, exec_lo
	s_delay_alu instid0(SALU_CYCLE_1)
	s_or_b32 s30, s30, s33
	s_mov_b32 s33, exec_lo
	v_cmpx_eq_u64_e64 v[10:11], v[12:13]
	s_cbranch_execz .LBB1605_1417
; %bb.1419:                             ;   in Loop: Header=BB1605_1418 Depth=2
	s_add_nc_u64 s[10:11], s[10:11], -1
	v_add_nc_u64_e32 v[4:5], 8, v[4:5]
	s_cmp_eq_u64 s[10:11], 0
	v_add_nc_u64_e32 v[6:7], 8, v[6:7]
	s_cselect_b32 s31, -1, 0
	s_and_not1_b32 s29, s29, exec_lo
	s_and_b32 s31, s31, exec_lo
	s_and_not1_b32 s30, s30, exec_lo
	s_or_b32 s29, s29, s31
                                        ; implicit-def: $sgpr31
	s_branch .LBB1605_1417
.LBB1605_1420:                          ;   in Loop: Header=BB1605_1378 Depth=1
	s_or_b32 exec_lo, exec_lo, s27
	s_xor_b32 s7, s28, -1
	s_branch .LBB1605_1422
.LBB1605_1421:                          ;   in Loop: Header=BB1605_1378 Depth=1
	s_mov_b32 s7, -1
.LBB1605_1422:                          ;   in Loop: Header=BB1605_1378 Depth=1
	s_delay_alu instid0(SALU_CYCLE_1)
	s_and_b32 s7, s7, exec_lo
.LBB1605_1423:                          ;   in Loop: Header=BB1605_1378 Depth=1
	s_or_b32 exec_lo, exec_lo, s22
	s_delay_alu instid0(SALU_CYCLE_1)
	s_or_not1_b32 s22, s7, exec_lo
.LBB1605_1424:                          ;   in Loop: Header=BB1605_1378 Depth=1
	s_or_b32 exec_lo, exec_lo, s23
	v_cndmask_b32_e64 v4, v8, v9, s22
	v_cndmask_b32_e64 v5, v26, v25, s22
	s_mov_b32 s27, -1
	s_mov_b32 s23, -1
	s_mov_b32 s28, exec_lo
	v_add_nc_u32_e32 v6, 1, v4
	s_delay_alu instid0(VALU_DEP_1) | instskip(SKIP_1) | instid1(VALU_DEP_2)
	v_add_min_u32_e64 v4, v5, -1, v6
	v_dual_cndmask_b32 v8, v6, v8, s22 :: v_dual_cndmask_b32 v9, v9, v6, s22
	v_lshlrev_b32_e32 v4, 3, v4
	ds_load_b64 v[4:5], v4
	s_wait_dscnt 0x0
	v_dual_cndmask_b32 v12, v5, v17, s22 :: v_dual_cndmask_b32 v29, v4, v23, s22
	v_dual_cndmask_b32 v13, v27, v5, s22 :: v_dual_cndmask_b32 v30, v28, v4, s22
	v_cmpx_lt_u32_e64 v8, v26
	s_cbranch_execz .LBB1605_1435
; %bb.1425:                             ;   in Loop: Header=BB1605_1378 Depth=1
	s_mov_b32 s7, 0
	s_mov_b32 s23, exec_lo
	v_cmpx_lt_u32_e64 v9, v25
	s_cbranch_execz .LBB1605_1434
; %bb.1426:                             ;   in Loop: Header=BB1605_1378 Depth=1
	s_and_not1_b32 vcc_lo, exec_lo, s26
	s_cbranch_vccnz .LBB1605_1432
; %bb.1427:                             ;   in Loop: Header=BB1605_1378 Depth=1
	v_mad_nc_u64_u32 v[4:5], s8, v29, s[18:19]
	v_mad_nc_u64_u32 v[6:7], s8, v30, s[18:19]
	s_mov_b32 s29, 0
	s_mov_b64 s[10:11], s[16:17]
                                        ; implicit-def: $sgpr30
                                        ; implicit-def: $sgpr31
                                        ; implicit-def: $sgpr33
                                        ; implicit-def: $sgpr34
	s_delay_alu instid0(VALU_DEP_2) | instskip(NEXT) | instid1(VALU_DEP_2)
	v_mad_u32 v5, s9, v29, v5
	v_mad_u32 v7, s9, v30, v7
	s_delay_alu instid0(VALU_DEP_2) | instskip(NEXT) | instid1(VALU_DEP_2)
	v_mad_u32 v5, s8, v12, v5
	v_mad_u32 v7, s8, v13, v7
	s_branch .LBB1605_1429
.LBB1605_1428:                          ;   in Loop: Header=BB1605_1429 Depth=2
	s_or_b32 exec_lo, exec_lo, s35
	s_delay_alu instid0(SALU_CYCLE_1) | instskip(NEXT) | instid1(SALU_CYCLE_1)
	s_and_b32 s35, exec_lo, s31
	s_or_b32 s29, s35, s29
	s_and_not1_b32 s34, s34, exec_lo
	s_and_b32 s7, s7, exec_lo
	s_and_not1_b32 s30, s30, exec_lo
	s_and_b32 s35, s33, exec_lo
	s_or_b32 s34, s34, s7
	s_or_b32 s30, s30, s35
	s_and_not1_b32 exec_lo, exec_lo, s29
	s_cbranch_execz .LBB1605_1431
.LBB1605_1429:                          ;   Parent Loop BB1605_1378 Depth=1
                                        ; =>  This Inner Loop Header: Depth=2
	global_load_b64 v[10:11], v[4:5], off
	global_load_b64 v[32:33], v[6:7], off
	s_and_not1_b32 s33, s33, exec_lo
	s_or_b32 s31, s31, exec_lo
	s_wait_loadcnt 0x0
	v_cmp_le_u64_e32 vcc_lo, v[10:11], v[32:33]
	v_cmp_lt_u64_e64 s7, v[10:11], v[32:33]
	s_and_b32 s35, vcc_lo, s34
	s_delay_alu instid0(SALU_CYCLE_1) | instskip(NEXT) | instid1(SALU_CYCLE_1)
	s_or_b32 s7, s7, s35
	s_and_b32 s35, s7, exec_lo
	s_delay_alu instid0(SALU_CYCLE_1)
	s_or_b32 s33, s33, s35
	s_mov_b32 s35, exec_lo
	v_cmpx_eq_u64_e64 v[10:11], v[32:33]
	s_cbranch_execz .LBB1605_1428
; %bb.1430:                             ;   in Loop: Header=BB1605_1429 Depth=2
	s_add_nc_u64 s[10:11], s[10:11], -1
	v_add_nc_u64_e32 v[4:5], 8, v[4:5]
	s_cmp_eq_u64 s[10:11], 0
	v_add_nc_u64_e32 v[6:7], 8, v[6:7]
	s_cselect_b32 s34, -1, 0
	s_and_not1_b32 s31, s31, exec_lo
	s_and_b32 s34, s34, exec_lo
	s_and_not1_b32 s33, s33, exec_lo
	s_or_b32 s31, s31, s34
                                        ; implicit-def: $sgpr34
	s_branch .LBB1605_1428
.LBB1605_1431:                          ;   in Loop: Header=BB1605_1378 Depth=1
	s_or_b32 exec_lo, exec_lo, s29
	s_xor_b32 s7, s30, -1
	s_branch .LBB1605_1433
.LBB1605_1432:                          ;   in Loop: Header=BB1605_1378 Depth=1
	s_mov_b32 s7, -1
.LBB1605_1433:                          ;   in Loop: Header=BB1605_1378 Depth=1
	s_delay_alu instid0(SALU_CYCLE_1)
	s_and_b32 s7, s7, exec_lo
.LBB1605_1434:                          ;   in Loop: Header=BB1605_1378 Depth=1
	s_or_b32 exec_lo, exec_lo, s23
	s_delay_alu instid0(SALU_CYCLE_1)
	s_or_not1_b32 s23, s7, exec_lo
.LBB1605_1435:                          ;   in Loop: Header=BB1605_1378 Depth=1
	s_or_b32 exec_lo, exec_lo, s28
	v_cndmask_b32_e64 v4, v8, v9, s23
	v_cndmask_b32_e64 v5, v26, v25, s23
	s_mov_b32 s28, exec_lo
	s_delay_alu instid0(VALU_DEP_2) | instskip(NEXT) | instid1(VALU_DEP_1)
	v_add_nc_u32_e32 v6, 1, v4
	v_add_min_u32_e64 v4, v5, -1, v6
	v_dual_cndmask_b32 v8, v6, v8, s23 :: v_dual_cndmask_b32 v9, v9, v6, s23
	s_delay_alu instid0(VALU_DEP_2)
	v_lshlrev_b32_e32 v4, 3, v4
	ds_load_b64 v[4:5], v4
	s_wait_dscnt 0x0
	v_dual_cndmask_b32 v31, v5, v12, s23 :: v_dual_cndmask_b32 v32, v4, v29, s23
	v_dual_cndmask_b32 v33, v13, v5, s23 :: v_dual_cndmask_b32 v34, v30, v4, s23
	v_cmpx_lt_u32_e64 v8, v26
	s_cbranch_execz .LBB1605_1446
; %bb.1436:                             ;   in Loop: Header=BB1605_1378 Depth=1
	s_mov_b32 s7, 0
	s_mov_b32 s27, exec_lo
	v_cmpx_lt_u32_e64 v9, v25
	s_cbranch_execz .LBB1605_1445
; %bb.1437:                             ;   in Loop: Header=BB1605_1378 Depth=1
	s_and_not1_b32 vcc_lo, exec_lo, s26
	s_cbranch_vccnz .LBB1605_1443
; %bb.1438:                             ;   in Loop: Header=BB1605_1378 Depth=1
	v_mad_nc_u64_u32 v[4:5], s8, v32, s[18:19]
	v_mad_nc_u64_u32 v[6:7], s8, v34, s[18:19]
	s_mov_b32 s29, 0
	s_mov_b64 s[10:11], s[16:17]
                                        ; implicit-def: $sgpr30
                                        ; implicit-def: $sgpr31
                                        ; implicit-def: $sgpr33
                                        ; implicit-def: $sgpr34
	s_delay_alu instid0(VALU_DEP_2) | instskip(NEXT) | instid1(VALU_DEP_2)
	v_mad_u32 v5, s9, v32, v5
	v_mad_u32 v7, s9, v34, v7
	s_delay_alu instid0(VALU_DEP_2) | instskip(NEXT) | instid1(VALU_DEP_2)
	v_mad_u32 v5, s8, v31, v5
	v_mad_u32 v7, s8, v33, v7
	s_branch .LBB1605_1440
.LBB1605_1439:                          ;   in Loop: Header=BB1605_1440 Depth=2
	s_or_b32 exec_lo, exec_lo, s35
	s_delay_alu instid0(SALU_CYCLE_1) | instskip(NEXT) | instid1(SALU_CYCLE_1)
	s_and_b32 s35, exec_lo, s31
	s_or_b32 s29, s35, s29
	s_and_not1_b32 s34, s34, exec_lo
	s_and_b32 s7, s7, exec_lo
	s_and_not1_b32 s30, s30, exec_lo
	s_and_b32 s35, s33, exec_lo
	s_or_b32 s34, s34, s7
	s_or_b32 s30, s30, s35
	s_and_not1_b32 exec_lo, exec_lo, s29
	s_cbranch_execz .LBB1605_1442
.LBB1605_1440:                          ;   Parent Loop BB1605_1378 Depth=1
                                        ; =>  This Inner Loop Header: Depth=2
	global_load_b64 v[10:11], v[4:5], off
	global_load_b64 v[44:45], v[6:7], off
	s_and_not1_b32 s33, s33, exec_lo
	s_or_b32 s31, s31, exec_lo
	s_wait_loadcnt 0x0
	v_cmp_le_u64_e32 vcc_lo, v[10:11], v[44:45]
	v_cmp_lt_u64_e64 s7, v[10:11], v[44:45]
	s_and_b32 s35, vcc_lo, s34
	s_delay_alu instid0(SALU_CYCLE_1) | instskip(NEXT) | instid1(SALU_CYCLE_1)
	s_or_b32 s7, s7, s35
	s_and_b32 s35, s7, exec_lo
	s_delay_alu instid0(SALU_CYCLE_1)
	s_or_b32 s33, s33, s35
	s_mov_b32 s35, exec_lo
	v_cmpx_eq_u64_e64 v[10:11], v[44:45]
	s_cbranch_execz .LBB1605_1439
; %bb.1441:                             ;   in Loop: Header=BB1605_1440 Depth=2
	s_add_nc_u64 s[10:11], s[10:11], -1
	v_add_nc_u64_e32 v[4:5], 8, v[4:5]
	s_cmp_eq_u64 s[10:11], 0
	v_add_nc_u64_e32 v[6:7], 8, v[6:7]
	s_cselect_b32 s34, -1, 0
	s_and_not1_b32 s31, s31, exec_lo
	s_and_b32 s34, s34, exec_lo
	s_and_not1_b32 s33, s33, exec_lo
	s_or_b32 s31, s31, s34
                                        ; implicit-def: $sgpr34
	s_branch .LBB1605_1439
.LBB1605_1442:                          ;   in Loop: Header=BB1605_1378 Depth=1
	s_or_b32 exec_lo, exec_lo, s29
	s_xor_b32 s7, s30, -1
	s_branch .LBB1605_1444
.LBB1605_1443:                          ;   in Loop: Header=BB1605_1378 Depth=1
	s_mov_b32 s7, -1
.LBB1605_1444:                          ;   in Loop: Header=BB1605_1378 Depth=1
	s_delay_alu instid0(SALU_CYCLE_1)
	s_and_b32 s7, s7, exec_lo
.LBB1605_1445:                          ;   in Loop: Header=BB1605_1378 Depth=1
	s_or_b32 exec_lo, exec_lo, s27
	s_delay_alu instid0(SALU_CYCLE_1)
	s_or_not1_b32 s27, s7, exec_lo
.LBB1605_1446:                          ;   in Loop: Header=BB1605_1378 Depth=1
	s_or_b32 exec_lo, exec_lo, s28
	v_cndmask_b32_e64 v4, v8, v9, s27
	v_cndmask_b32_e64 v5, v26, v25, s27
	s_mov_b32 s28, -1
	s_mov_b32 s29, -1
	s_mov_b32 s30, exec_lo
	v_add_nc_u32_e32 v6, 1, v4
	s_delay_alu instid0(VALU_DEP_1) | instskip(SKIP_1) | instid1(VALU_DEP_2)
	v_add_min_u32_e64 v4, v5, -1, v6
	v_dual_cndmask_b32 v8, v6, v8, s27 :: v_dual_cndmask_b32 v9, v9, v6, s27
	v_lshlrev_b32_e32 v4, 3, v4
	ds_load_b64 v[4:5], v4
	s_wait_dscnt 0x0
	v_dual_cndmask_b32 v35, v5, v31, s27 :: v_dual_cndmask_b32 v43, v4, v32, s27
	v_dual_cndmask_b32 v44, v33, v5, s27 :: v_dual_cndmask_b32 v45, v34, v4, s27
	v_cmpx_lt_u32_e64 v8, v26
	s_cbranch_execz .LBB1605_1457
; %bb.1447:                             ;   in Loop: Header=BB1605_1378 Depth=1
	s_mov_b32 s7, 0
	s_mov_b32 s29, exec_lo
	v_cmpx_lt_u32_e64 v9, v25
	s_cbranch_execz .LBB1605_1456
; %bb.1448:                             ;   in Loop: Header=BB1605_1378 Depth=1
	s_and_not1_b32 vcc_lo, exec_lo, s26
	s_cbranch_vccnz .LBB1605_1454
; %bb.1449:                             ;   in Loop: Header=BB1605_1378 Depth=1
	v_mad_nc_u64_u32 v[4:5], s8, v43, s[18:19]
	v_mad_nc_u64_u32 v[6:7], s8, v45, s[18:19]
	s_mov_b32 s31, 0
	s_mov_b64 s[10:11], s[16:17]
                                        ; implicit-def: $sgpr33
                                        ; implicit-def: $sgpr34
                                        ; implicit-def: $sgpr35
                                        ; implicit-def: $sgpr36
	s_delay_alu instid0(VALU_DEP_2) | instskip(NEXT) | instid1(VALU_DEP_2)
	v_mad_u32 v5, s9, v43, v5
	v_mad_u32 v7, s9, v45, v7
	s_delay_alu instid0(VALU_DEP_2) | instskip(NEXT) | instid1(VALU_DEP_2)
	v_mad_u32 v5, s8, v35, v5
	v_mad_u32 v7, s8, v44, v7
	s_branch .LBB1605_1451
.LBB1605_1450:                          ;   in Loop: Header=BB1605_1451 Depth=2
	s_or_b32 exec_lo, exec_lo, s37
	s_delay_alu instid0(SALU_CYCLE_1) | instskip(NEXT) | instid1(SALU_CYCLE_1)
	s_and_b32 s37, exec_lo, s34
	s_or_b32 s31, s37, s31
	s_and_not1_b32 s36, s36, exec_lo
	s_and_b32 s7, s7, exec_lo
	s_and_not1_b32 s33, s33, exec_lo
	s_and_b32 s37, s35, exec_lo
	s_or_b32 s36, s36, s7
	s_or_b32 s33, s33, s37
	s_and_not1_b32 exec_lo, exec_lo, s31
	s_cbranch_execz .LBB1605_1453
.LBB1605_1451:                          ;   Parent Loop BB1605_1378 Depth=1
                                        ; =>  This Inner Loop Header: Depth=2
	global_load_b64 v[10:11], v[4:5], off
	global_load_b64 v[46:47], v[6:7], off
	s_and_not1_b32 s35, s35, exec_lo
	s_or_b32 s34, s34, exec_lo
	s_wait_loadcnt 0x0
	v_cmp_le_u64_e32 vcc_lo, v[10:11], v[46:47]
	v_cmp_lt_u64_e64 s7, v[10:11], v[46:47]
	s_and_b32 s37, vcc_lo, s36
	s_delay_alu instid0(SALU_CYCLE_1) | instskip(NEXT) | instid1(SALU_CYCLE_1)
	s_or_b32 s7, s7, s37
	s_and_b32 s37, s7, exec_lo
	s_delay_alu instid0(SALU_CYCLE_1)
	s_or_b32 s35, s35, s37
	s_mov_b32 s37, exec_lo
	v_cmpx_eq_u64_e64 v[10:11], v[46:47]
	s_cbranch_execz .LBB1605_1450
; %bb.1452:                             ;   in Loop: Header=BB1605_1451 Depth=2
	s_add_nc_u64 s[10:11], s[10:11], -1
	v_add_nc_u64_e32 v[4:5], 8, v[4:5]
	s_cmp_eq_u64 s[10:11], 0
	v_add_nc_u64_e32 v[6:7], 8, v[6:7]
	s_cselect_b32 s36, -1, 0
	s_and_not1_b32 s34, s34, exec_lo
	s_and_b32 s36, s36, exec_lo
	s_and_not1_b32 s35, s35, exec_lo
	s_or_b32 s34, s34, s36
                                        ; implicit-def: $sgpr36
	s_branch .LBB1605_1450
.LBB1605_1453:                          ;   in Loop: Header=BB1605_1378 Depth=1
	s_or_b32 exec_lo, exec_lo, s31
	s_xor_b32 s7, s33, -1
	s_branch .LBB1605_1455
.LBB1605_1454:                          ;   in Loop: Header=BB1605_1378 Depth=1
	s_mov_b32 s7, -1
.LBB1605_1455:                          ;   in Loop: Header=BB1605_1378 Depth=1
	s_delay_alu instid0(SALU_CYCLE_1)
	s_and_b32 s7, s7, exec_lo
.LBB1605_1456:                          ;   in Loop: Header=BB1605_1378 Depth=1
	s_or_b32 exec_lo, exec_lo, s29
	s_delay_alu instid0(SALU_CYCLE_1)
	s_or_not1_b32 s29, s7, exec_lo
.LBB1605_1457:                          ;   in Loop: Header=BB1605_1378 Depth=1
	s_or_b32 exec_lo, exec_lo, s30
	v_cndmask_b32_e64 v4, v8, v9, s29
	v_cndmask_b32_e64 v5, v26, v25, s29
	s_mov_b32 s30, exec_lo
	s_delay_alu instid0(VALU_DEP_2) | instskip(NEXT) | instid1(VALU_DEP_1)
	v_add_nc_u32_e32 v6, 1, v4
	v_add_min_u32_e64 v4, v5, -1, v6
	v_dual_cndmask_b32 v10, v6, v8, s29 :: v_dual_cndmask_b32 v8, v9, v6, s29
	s_delay_alu instid0(VALU_DEP_2)
	v_lshlrev_b32_e32 v4, 3, v4
	ds_load_b64 v[4:5], v4
	s_wait_dscnt 0x0
	v_dual_cndmask_b32 v46, v5, v35, s29 :: v_dual_cndmask_b32 v48, v44, v5, s29
	v_dual_cndmask_b32 v47, v4, v43, s29 :: v_dual_cndmask_b32 v49, v45, v4, s29
	v_cmpx_lt_u32_e64 v10, v26
	s_cbranch_execz .LBB1605_1468
; %bb.1458:                             ;   in Loop: Header=BB1605_1378 Depth=1
	s_mov_b32 s7, 0
	s_mov_b32 s28, exec_lo
	v_cmpx_lt_u32_e64 v8, v25
	s_cbranch_execz .LBB1605_1467
; %bb.1459:                             ;   in Loop: Header=BB1605_1378 Depth=1
	s_and_not1_b32 vcc_lo, exec_lo, s26
	s_cbranch_vccnz .LBB1605_1465
; %bb.1460:                             ;   in Loop: Header=BB1605_1378 Depth=1
	v_mad_nc_u64_u32 v[4:5], s8, v47, s[18:19]
	v_mad_nc_u64_u32 v[6:7], s8, v49, s[18:19]
	s_mov_b32 s31, 0
	s_mov_b64 s[10:11], s[16:17]
                                        ; implicit-def: $sgpr33
                                        ; implicit-def: $sgpr34
                                        ; implicit-def: $sgpr35
                                        ; implicit-def: $sgpr36
	s_delay_alu instid0(VALU_DEP_2) | instskip(NEXT) | instid1(VALU_DEP_2)
	v_mad_u32 v5, s9, v47, v5
	v_mad_u32 v7, s9, v49, v7
	s_delay_alu instid0(VALU_DEP_2) | instskip(NEXT) | instid1(VALU_DEP_2)
	v_mad_u32 v5, s8, v46, v5
	v_mad_u32 v7, s8, v48, v7
	s_branch .LBB1605_1462
.LBB1605_1461:                          ;   in Loop: Header=BB1605_1462 Depth=2
	s_or_b32 exec_lo, exec_lo, s37
	s_delay_alu instid0(SALU_CYCLE_1) | instskip(NEXT) | instid1(SALU_CYCLE_1)
	s_and_b32 s37, exec_lo, s34
	s_or_b32 s31, s37, s31
	s_and_not1_b32 s36, s36, exec_lo
	s_and_b32 s7, s7, exec_lo
	s_and_not1_b32 s33, s33, exec_lo
	s_and_b32 s37, s35, exec_lo
	s_or_b32 s36, s36, s7
	s_or_b32 s33, s33, s37
	s_and_not1_b32 exec_lo, exec_lo, s31
	s_cbranch_execz .LBB1605_1464
.LBB1605_1462:                          ;   Parent Loop BB1605_1378 Depth=1
                                        ; =>  This Inner Loop Header: Depth=2
	global_load_b64 v[50:51], v[4:5], off
	global_load_b64 v[52:53], v[6:7], off
	s_and_not1_b32 s35, s35, exec_lo
	s_or_b32 s34, s34, exec_lo
	s_wait_loadcnt 0x0
	v_cmp_le_u64_e32 vcc_lo, v[50:51], v[52:53]
	v_cmp_lt_u64_e64 s7, v[50:51], v[52:53]
	s_and_b32 s37, vcc_lo, s36
	s_delay_alu instid0(SALU_CYCLE_1) | instskip(NEXT) | instid1(SALU_CYCLE_1)
	s_or_b32 s7, s7, s37
	s_and_b32 s37, s7, exec_lo
	s_delay_alu instid0(SALU_CYCLE_1)
	s_or_b32 s35, s35, s37
	s_mov_b32 s37, exec_lo
	v_cmpx_eq_u64_e64 v[50:51], v[52:53]
	s_cbranch_execz .LBB1605_1461
; %bb.1463:                             ;   in Loop: Header=BB1605_1462 Depth=2
	s_add_nc_u64 s[10:11], s[10:11], -1
	v_add_nc_u64_e32 v[4:5], 8, v[4:5]
	s_cmp_eq_u64 s[10:11], 0
	v_add_nc_u64_e32 v[6:7], 8, v[6:7]
	s_cselect_b32 s36, -1, 0
	s_and_not1_b32 s34, s34, exec_lo
	s_and_b32 s36, s36, exec_lo
	s_and_not1_b32 s35, s35, exec_lo
	s_or_b32 s34, s34, s36
                                        ; implicit-def: $sgpr36
	s_branch .LBB1605_1461
.LBB1605_1464:                          ;   in Loop: Header=BB1605_1378 Depth=1
	s_or_b32 exec_lo, exec_lo, s31
	s_xor_b32 s7, s33, -1
	s_branch .LBB1605_1466
.LBB1605_1465:                          ;   in Loop: Header=BB1605_1378 Depth=1
	s_mov_b32 s7, -1
.LBB1605_1466:                          ;   in Loop: Header=BB1605_1378 Depth=1
	s_delay_alu instid0(SALU_CYCLE_1)
	s_and_b32 s7, s7, exec_lo
.LBB1605_1467:                          ;   in Loop: Header=BB1605_1378 Depth=1
	s_or_b32 exec_lo, exec_lo, s28
	s_delay_alu instid0(SALU_CYCLE_1)
	s_or_not1_b32 s28, s7, exec_lo
.LBB1605_1468:                          ;   in Loop: Header=BB1605_1378 Depth=1
	s_or_b32 exec_lo, exec_lo, s30
	v_cndmask_b32_e64 v4, v10, v8, s28
	v_cndmask_b32_e64 v5, v26, v25, s28
	s_mov_b32 s30, exec_lo
	s_delay_alu instid0(VALU_DEP_2) | instskip(NEXT) | instid1(VALU_DEP_1)
	v_add_nc_u32_e32 v9, 1, v4
	v_add_min_u32_e64 v4, v5, -1, v9
	s_delay_alu instid0(VALU_DEP_1)
	v_dual_cndmask_b32 v10, v9, v10, s28 :: v_dual_lshlrev_b32 v4, 3, v4
	ds_load_b64 v[6:7], v4
	s_wait_dscnt 0x0
	v_dual_cndmask_b32 v5, v48, v7, s28 :: v_dual_cndmask_b32 v4, v49, v6, s28
	v_cmpx_lt_u32_e64 v10, v26
	s_cbranch_execz .LBB1605_1376
; %bb.1469:                             ;   in Loop: Header=BB1605_1378 Depth=1
	v_dual_cndmask_b32 v8, v8, v9, s28 :: v_dual_cndmask_b32 v7, v7, v46, s28
	v_cndmask_b32_e64 v6, v6, v47, s28
	s_mov_b32 s31, exec_lo
	s_delay_alu instid0(VALU_DEP_2)
	v_cmpx_lt_u32_e64 v8, v25
	s_cbranch_execz .LBB1605_1375
; %bb.1470:                             ;   in Loop: Header=BB1605_1378 Depth=1
	s_and_not1_b32 vcc_lo, exec_lo, s26
	s_cbranch_vccnz .LBB1605_1374
; %bb.1471:                             ;   in Loop: Header=BB1605_1378 Depth=1
	v_mad_nc_u64_u32 v[8:9], s8, v6, s[18:19]
	v_mad_nc_u64_u32 v[10:11], s8, v4, s[18:19]
	s_mov_b32 s33, 0
	s_mov_b64 s[10:11], s[16:17]
                                        ; implicit-def: $sgpr34
                                        ; implicit-def: $sgpr35
                                        ; implicit-def: $sgpr36
                                        ; implicit-def: $sgpr37
	s_delay_alu instid0(VALU_DEP_2) | instskip(NEXT) | instid1(VALU_DEP_2)
	v_mad_u32 v9, s9, v6, v9
	v_mad_u32 v11, s9, v4, v11
	s_delay_alu instid0(VALU_DEP_2) | instskip(NEXT) | instid1(VALU_DEP_2)
	v_mad_u32 v9, s8, v7, v9
	v_mad_u32 v11, s8, v5, v11
	s_branch .LBB1605_1473
.LBB1605_1472:                          ;   in Loop: Header=BB1605_1473 Depth=2
	s_or_b32 exec_lo, exec_lo, s38
	s_delay_alu instid0(SALU_CYCLE_1) | instskip(NEXT) | instid1(SALU_CYCLE_1)
	s_and_b32 s38, exec_lo, s35
	s_or_b32 s33, s38, s33
	s_and_not1_b32 s37, s37, exec_lo
	s_and_b32 s7, s7, exec_lo
	s_and_not1_b32 s34, s34, exec_lo
	s_and_b32 s38, s36, exec_lo
	s_or_b32 s37, s37, s7
	s_or_b32 s34, s34, s38
	s_and_not1_b32 exec_lo, exec_lo, s33
	s_cbranch_execz .LBB1605_1373
.LBB1605_1473:                          ;   Parent Loop BB1605_1378 Depth=1
                                        ; =>  This Inner Loop Header: Depth=2
	global_load_b64 v[50:51], v[8:9], off
	global_load_b64 v[52:53], v[10:11], off
	s_and_not1_b32 s36, s36, exec_lo
	s_or_b32 s35, s35, exec_lo
	s_wait_loadcnt 0x0
	v_cmp_le_u64_e32 vcc_lo, v[50:51], v[52:53]
	v_cmp_lt_u64_e64 s7, v[50:51], v[52:53]
	s_and_b32 s38, vcc_lo, s37
	s_delay_alu instid0(SALU_CYCLE_1) | instskip(NEXT) | instid1(SALU_CYCLE_1)
	s_or_b32 s7, s7, s38
	s_and_b32 s38, s7, exec_lo
	s_delay_alu instid0(SALU_CYCLE_1)
	s_or_b32 s36, s36, s38
	s_mov_b32 s38, exec_lo
	v_cmpx_eq_u64_e64 v[50:51], v[52:53]
	s_cbranch_execz .LBB1605_1472
; %bb.1474:                             ;   in Loop: Header=BB1605_1473 Depth=2
	s_add_nc_u64 s[10:11], s[10:11], -1
	v_add_nc_u64_e32 v[8:9], 8, v[8:9]
	s_cmp_eq_u64 s[10:11], 0
	v_add_nc_u64_e32 v[10:11], 8, v[10:11]
	s_cselect_b32 s37, -1, 0
	s_and_not1_b32 s35, s35, exec_lo
	s_and_b32 s37, s37, exec_lo
	s_and_not1_b32 s36, s36, exec_lo
	s_or_b32 s35, s35, s37
                                        ; implicit-def: $sgpr37
	s_branch .LBB1605_1472
.LBB1605_1475:
	s_barrier_signal -1
	s_barrier_wait -1
	ds_store_2addr_b64 v42, v[14:15], v[16:17] offset1:1
	ds_store_2addr_b64 v42, v[10:11], v[12:13] offset0:2 offset1:3
	ds_store_2addr_b64 v42, v[6:7], v[8:9] offset0:4 offset1:5
	;; [unrolled: 1-line block ×3, first 2 shown]
	s_wait_dscnt 0x0
	s_barrier_signal -1
	s_barrier_wait -1
	ds_load_b64 v[14:15], v21 offset:2048
	ds_load_b64 v[12:13], v36 offset:4096
	;; [unrolled: 1-line block ×7, first 2 shown]
	v_mov_b32_e32 v21, 0
	s_delay_alu instid0(VALU_DEP_1)
	v_add_nc_u64_e32 v[4:5], s[20:21], v[20:21]
	s_and_saveexec_b32 s7, s0
	s_cbranch_execnz .LBB1605_1487
; %bb.1476:
	s_or_b32 exec_lo, exec_lo, s7
	s_and_saveexec_b32 s0, s1
	s_cbranch_execnz .LBB1605_1488
.LBB1605_1477:
	s_or_b32 exec_lo, exec_lo, s0
	s_and_saveexec_b32 s0, s2
	s_cbranch_execnz .LBB1605_1489
.LBB1605_1478:
	s_or_b32 exec_lo, exec_lo, s0
	s_and_saveexec_b32 s0, s3
	s_cbranch_execnz .LBB1605_1490
.LBB1605_1479:
	s_or_b32 exec_lo, exec_lo, s0
	s_and_saveexec_b32 s0, s4
	s_cbranch_execnz .LBB1605_1491
.LBB1605_1480:
	s_or_b32 exec_lo, exec_lo, s0
	s_and_saveexec_b32 s0, s5
	s_cbranch_execnz .LBB1605_1492
.LBB1605_1481:
	s_or_b32 exec_lo, exec_lo, s0
	s_and_saveexec_b32 s0, s6
	s_cbranch_execz .LBB1605_1483
.LBB1605_1482:
	s_wait_dscnt 0x1
	global_store_b64 v[4:5], v[0:1], off offset:12288
.LBB1605_1483:
	s_wait_xcnt 0x0
	s_or_b32 exec_lo, exec_lo, s0
	v_mov_b32_e32 v19, v21
.LBB1605_1484:
	s_wait_xcnt 0x0
	s_and_saveexec_b32 s0, s24
	s_cbranch_execz .LBB1605_1486
; %bb.1485:
	s_wait_dscnt 0x1
	v_lshl_add_u64 v[0:1], v[18:19], 3, s[20:21]
	s_wait_dscnt 0x0
	global_store_b64 v[0:1], v[2:3], off offset:14336
.LBB1605_1486:
	s_endpgm
.LBB1605_1487:
	ds_load_b64 v[16:17], v19
	s_wait_dscnt 0x0
	global_store_b64 v[4:5], v[16:17], off
	s_wait_xcnt 0x0
	s_or_b32 exec_lo, exec_lo, s7
	s_and_saveexec_b32 s0, s1
	s_cbranch_execz .LBB1605_1477
.LBB1605_1488:
	s_wait_dscnt 0x6
	global_store_b64 v[4:5], v[14:15], off offset:2048
	s_wait_xcnt 0x0
	s_or_b32 exec_lo, exec_lo, s0
	s_and_saveexec_b32 s0, s2
	s_cbranch_execz .LBB1605_1478
.LBB1605_1489:
	s_wait_dscnt 0x5
	global_store_b64 v[4:5], v[12:13], off offset:4096
	s_wait_xcnt 0x0
	s_or_b32 exec_lo, exec_lo, s0
	s_and_saveexec_b32 s0, s3
	s_cbranch_execz .LBB1605_1479
.LBB1605_1490:
	s_wait_dscnt 0x4
	global_store_b64 v[4:5], v[10:11], off offset:6144
	s_wait_xcnt 0x0
	s_or_b32 exec_lo, exec_lo, s0
	s_and_saveexec_b32 s0, s4
	s_cbranch_execz .LBB1605_1480
.LBB1605_1491:
	s_wait_dscnt 0x3
	global_store_b64 v[4:5], v[8:9], off offset:8192
	s_wait_xcnt 0x0
	s_or_b32 exec_lo, exec_lo, s0
	s_and_saveexec_b32 s0, s5
	s_cbranch_execz .LBB1605_1481
.LBB1605_1492:
	s_wait_dscnt 0x2
	global_store_b64 v[4:5], v[6:7], off offset:10240
	s_wait_xcnt 0x0
	s_or_b32 exec_lo, exec_lo, s0
	s_and_saveexec_b32 s0, s6
	s_cbranch_execnz .LBB1605_1482
	s_branch .LBB1605_1483
	.section	.rodata,"a",@progbits
	.p2align	6, 0x0
	.amdhsa_kernel _ZN7rocprim17ROCPRIM_400000_NS6detail17trampoline_kernelINS0_14default_configENS1_37merge_sort_block_sort_config_selectorIlNS0_10empty_typeEEEZNS1_21merge_sort_block_sortIS3_PlS8_PS5_S9_ZN2at6native12_GLOBAL__N_124unique_dim_cuda_templateImEESt5tupleIJNSA_6TensorESF_SF_EERKSF_lbbbEUlllE_EE10hipError_tT0_T1_T2_T3_mRjT4_P12ihipStream_tbNS1_7vsmem_tEEUlT_E_NS1_11comp_targetILNS1_3genE0ELNS1_11target_archE4294967295ELNS1_3gpuE0ELNS1_3repE0EEENS1_30default_config_static_selectorELNS0_4arch9wavefront6targetE0EEEvSM_
		.amdhsa_group_segment_fixed_size 16896
		.amdhsa_private_segment_fixed_size 0
		.amdhsa_kernarg_size 328
		.amdhsa_user_sgpr_count 2
		.amdhsa_user_sgpr_dispatch_ptr 0
		.amdhsa_user_sgpr_queue_ptr 0
		.amdhsa_user_sgpr_kernarg_segment_ptr 1
		.amdhsa_user_sgpr_dispatch_id 0
		.amdhsa_user_sgpr_kernarg_preload_length 0
		.amdhsa_user_sgpr_kernarg_preload_offset 0
		.amdhsa_user_sgpr_private_segment_size 0
		.amdhsa_wavefront_size32 1
		.amdhsa_uses_dynamic_stack 0
		.amdhsa_enable_private_segment 0
		.amdhsa_system_sgpr_workgroup_id_x 1
		.amdhsa_system_sgpr_workgroup_id_y 1
		.amdhsa_system_sgpr_workgroup_id_z 1
		.amdhsa_system_sgpr_workgroup_info 0
		.amdhsa_system_vgpr_workitem_id 2
		.amdhsa_next_free_vgpr 58
		.amdhsa_next_free_sgpr 39
		.amdhsa_named_barrier_count 0
		.amdhsa_reserve_vcc 1
		.amdhsa_float_round_mode_32 0
		.amdhsa_float_round_mode_16_64 0
		.amdhsa_float_denorm_mode_32 3
		.amdhsa_float_denorm_mode_16_64 3
		.amdhsa_fp16_overflow 0
		.amdhsa_memory_ordered 1
		.amdhsa_forward_progress 1
		.amdhsa_inst_pref_size 255
		.amdhsa_round_robin_scheduling 0
		.amdhsa_exception_fp_ieee_invalid_op 0
		.amdhsa_exception_fp_denorm_src 0
		.amdhsa_exception_fp_ieee_div_zero 0
		.amdhsa_exception_fp_ieee_overflow 0
		.amdhsa_exception_fp_ieee_underflow 0
		.amdhsa_exception_fp_ieee_inexact 0
		.amdhsa_exception_int_div_zero 0
	.end_amdhsa_kernel
	.section	.text._ZN7rocprim17ROCPRIM_400000_NS6detail17trampoline_kernelINS0_14default_configENS1_37merge_sort_block_sort_config_selectorIlNS0_10empty_typeEEEZNS1_21merge_sort_block_sortIS3_PlS8_PS5_S9_ZN2at6native12_GLOBAL__N_124unique_dim_cuda_templateImEESt5tupleIJNSA_6TensorESF_SF_EERKSF_lbbbEUlllE_EE10hipError_tT0_T1_T2_T3_mRjT4_P12ihipStream_tbNS1_7vsmem_tEEUlT_E_NS1_11comp_targetILNS1_3genE0ELNS1_11target_archE4294967295ELNS1_3gpuE0ELNS1_3repE0EEENS1_30default_config_static_selectorELNS0_4arch9wavefront6targetE0EEEvSM_,"axG",@progbits,_ZN7rocprim17ROCPRIM_400000_NS6detail17trampoline_kernelINS0_14default_configENS1_37merge_sort_block_sort_config_selectorIlNS0_10empty_typeEEEZNS1_21merge_sort_block_sortIS3_PlS8_PS5_S9_ZN2at6native12_GLOBAL__N_124unique_dim_cuda_templateImEESt5tupleIJNSA_6TensorESF_SF_EERKSF_lbbbEUlllE_EE10hipError_tT0_T1_T2_T3_mRjT4_P12ihipStream_tbNS1_7vsmem_tEEUlT_E_NS1_11comp_targetILNS1_3genE0ELNS1_11target_archE4294967295ELNS1_3gpuE0ELNS1_3repE0EEENS1_30default_config_static_selectorELNS0_4arch9wavefront6targetE0EEEvSM_,comdat
.Lfunc_end1605:
	.size	_ZN7rocprim17ROCPRIM_400000_NS6detail17trampoline_kernelINS0_14default_configENS1_37merge_sort_block_sort_config_selectorIlNS0_10empty_typeEEEZNS1_21merge_sort_block_sortIS3_PlS8_PS5_S9_ZN2at6native12_GLOBAL__N_124unique_dim_cuda_templateImEESt5tupleIJNSA_6TensorESF_SF_EERKSF_lbbbEUlllE_EE10hipError_tT0_T1_T2_T3_mRjT4_P12ihipStream_tbNS1_7vsmem_tEEUlT_E_NS1_11comp_targetILNS1_3genE0ELNS1_11target_archE4294967295ELNS1_3gpuE0ELNS1_3repE0EEENS1_30default_config_static_selectorELNS0_4arch9wavefront6targetE0EEEvSM_, .Lfunc_end1605-_ZN7rocprim17ROCPRIM_400000_NS6detail17trampoline_kernelINS0_14default_configENS1_37merge_sort_block_sort_config_selectorIlNS0_10empty_typeEEEZNS1_21merge_sort_block_sortIS3_PlS8_PS5_S9_ZN2at6native12_GLOBAL__N_124unique_dim_cuda_templateImEESt5tupleIJNSA_6TensorESF_SF_EERKSF_lbbbEUlllE_EE10hipError_tT0_T1_T2_T3_mRjT4_P12ihipStream_tbNS1_7vsmem_tEEUlT_E_NS1_11comp_targetILNS1_3genE0ELNS1_11target_archE4294967295ELNS1_3gpuE0ELNS1_3repE0EEENS1_30default_config_static_selectorELNS0_4arch9wavefront6targetE0EEEvSM_
                                        ; -- End function
	.set _ZN7rocprim17ROCPRIM_400000_NS6detail17trampoline_kernelINS0_14default_configENS1_37merge_sort_block_sort_config_selectorIlNS0_10empty_typeEEEZNS1_21merge_sort_block_sortIS3_PlS8_PS5_S9_ZN2at6native12_GLOBAL__N_124unique_dim_cuda_templateImEESt5tupleIJNSA_6TensorESF_SF_EERKSF_lbbbEUlllE_EE10hipError_tT0_T1_T2_T3_mRjT4_P12ihipStream_tbNS1_7vsmem_tEEUlT_E_NS1_11comp_targetILNS1_3genE0ELNS1_11target_archE4294967295ELNS1_3gpuE0ELNS1_3repE0EEENS1_30default_config_static_selectorELNS0_4arch9wavefront6targetE0EEEvSM_.num_vgpr, 58
	.set _ZN7rocprim17ROCPRIM_400000_NS6detail17trampoline_kernelINS0_14default_configENS1_37merge_sort_block_sort_config_selectorIlNS0_10empty_typeEEEZNS1_21merge_sort_block_sortIS3_PlS8_PS5_S9_ZN2at6native12_GLOBAL__N_124unique_dim_cuda_templateImEESt5tupleIJNSA_6TensorESF_SF_EERKSF_lbbbEUlllE_EE10hipError_tT0_T1_T2_T3_mRjT4_P12ihipStream_tbNS1_7vsmem_tEEUlT_E_NS1_11comp_targetILNS1_3genE0ELNS1_11target_archE4294967295ELNS1_3gpuE0ELNS1_3repE0EEENS1_30default_config_static_selectorELNS0_4arch9wavefront6targetE0EEEvSM_.num_agpr, 0
	.set _ZN7rocprim17ROCPRIM_400000_NS6detail17trampoline_kernelINS0_14default_configENS1_37merge_sort_block_sort_config_selectorIlNS0_10empty_typeEEEZNS1_21merge_sort_block_sortIS3_PlS8_PS5_S9_ZN2at6native12_GLOBAL__N_124unique_dim_cuda_templateImEESt5tupleIJNSA_6TensorESF_SF_EERKSF_lbbbEUlllE_EE10hipError_tT0_T1_T2_T3_mRjT4_P12ihipStream_tbNS1_7vsmem_tEEUlT_E_NS1_11comp_targetILNS1_3genE0ELNS1_11target_archE4294967295ELNS1_3gpuE0ELNS1_3repE0EEENS1_30default_config_static_selectorELNS0_4arch9wavefront6targetE0EEEvSM_.numbered_sgpr, 39
	.set _ZN7rocprim17ROCPRIM_400000_NS6detail17trampoline_kernelINS0_14default_configENS1_37merge_sort_block_sort_config_selectorIlNS0_10empty_typeEEEZNS1_21merge_sort_block_sortIS3_PlS8_PS5_S9_ZN2at6native12_GLOBAL__N_124unique_dim_cuda_templateImEESt5tupleIJNSA_6TensorESF_SF_EERKSF_lbbbEUlllE_EE10hipError_tT0_T1_T2_T3_mRjT4_P12ihipStream_tbNS1_7vsmem_tEEUlT_E_NS1_11comp_targetILNS1_3genE0ELNS1_11target_archE4294967295ELNS1_3gpuE0ELNS1_3repE0EEENS1_30default_config_static_selectorELNS0_4arch9wavefront6targetE0EEEvSM_.num_named_barrier, 0
	.set _ZN7rocprim17ROCPRIM_400000_NS6detail17trampoline_kernelINS0_14default_configENS1_37merge_sort_block_sort_config_selectorIlNS0_10empty_typeEEEZNS1_21merge_sort_block_sortIS3_PlS8_PS5_S9_ZN2at6native12_GLOBAL__N_124unique_dim_cuda_templateImEESt5tupleIJNSA_6TensorESF_SF_EERKSF_lbbbEUlllE_EE10hipError_tT0_T1_T2_T3_mRjT4_P12ihipStream_tbNS1_7vsmem_tEEUlT_E_NS1_11comp_targetILNS1_3genE0ELNS1_11target_archE4294967295ELNS1_3gpuE0ELNS1_3repE0EEENS1_30default_config_static_selectorELNS0_4arch9wavefront6targetE0EEEvSM_.private_seg_size, 0
	.set _ZN7rocprim17ROCPRIM_400000_NS6detail17trampoline_kernelINS0_14default_configENS1_37merge_sort_block_sort_config_selectorIlNS0_10empty_typeEEEZNS1_21merge_sort_block_sortIS3_PlS8_PS5_S9_ZN2at6native12_GLOBAL__N_124unique_dim_cuda_templateImEESt5tupleIJNSA_6TensorESF_SF_EERKSF_lbbbEUlllE_EE10hipError_tT0_T1_T2_T3_mRjT4_P12ihipStream_tbNS1_7vsmem_tEEUlT_E_NS1_11comp_targetILNS1_3genE0ELNS1_11target_archE4294967295ELNS1_3gpuE0ELNS1_3repE0EEENS1_30default_config_static_selectorELNS0_4arch9wavefront6targetE0EEEvSM_.uses_vcc, 1
	.set _ZN7rocprim17ROCPRIM_400000_NS6detail17trampoline_kernelINS0_14default_configENS1_37merge_sort_block_sort_config_selectorIlNS0_10empty_typeEEEZNS1_21merge_sort_block_sortIS3_PlS8_PS5_S9_ZN2at6native12_GLOBAL__N_124unique_dim_cuda_templateImEESt5tupleIJNSA_6TensorESF_SF_EERKSF_lbbbEUlllE_EE10hipError_tT0_T1_T2_T3_mRjT4_P12ihipStream_tbNS1_7vsmem_tEEUlT_E_NS1_11comp_targetILNS1_3genE0ELNS1_11target_archE4294967295ELNS1_3gpuE0ELNS1_3repE0EEENS1_30default_config_static_selectorELNS0_4arch9wavefront6targetE0EEEvSM_.uses_flat_scratch, 0
	.set _ZN7rocprim17ROCPRIM_400000_NS6detail17trampoline_kernelINS0_14default_configENS1_37merge_sort_block_sort_config_selectorIlNS0_10empty_typeEEEZNS1_21merge_sort_block_sortIS3_PlS8_PS5_S9_ZN2at6native12_GLOBAL__N_124unique_dim_cuda_templateImEESt5tupleIJNSA_6TensorESF_SF_EERKSF_lbbbEUlllE_EE10hipError_tT0_T1_T2_T3_mRjT4_P12ihipStream_tbNS1_7vsmem_tEEUlT_E_NS1_11comp_targetILNS1_3genE0ELNS1_11target_archE4294967295ELNS1_3gpuE0ELNS1_3repE0EEENS1_30default_config_static_selectorELNS0_4arch9wavefront6targetE0EEEvSM_.has_dyn_sized_stack, 0
	.set _ZN7rocprim17ROCPRIM_400000_NS6detail17trampoline_kernelINS0_14default_configENS1_37merge_sort_block_sort_config_selectorIlNS0_10empty_typeEEEZNS1_21merge_sort_block_sortIS3_PlS8_PS5_S9_ZN2at6native12_GLOBAL__N_124unique_dim_cuda_templateImEESt5tupleIJNSA_6TensorESF_SF_EERKSF_lbbbEUlllE_EE10hipError_tT0_T1_T2_T3_mRjT4_P12ihipStream_tbNS1_7vsmem_tEEUlT_E_NS1_11comp_targetILNS1_3genE0ELNS1_11target_archE4294967295ELNS1_3gpuE0ELNS1_3repE0EEENS1_30default_config_static_selectorELNS0_4arch9wavefront6targetE0EEEvSM_.has_recursion, 0
	.set _ZN7rocprim17ROCPRIM_400000_NS6detail17trampoline_kernelINS0_14default_configENS1_37merge_sort_block_sort_config_selectorIlNS0_10empty_typeEEEZNS1_21merge_sort_block_sortIS3_PlS8_PS5_S9_ZN2at6native12_GLOBAL__N_124unique_dim_cuda_templateImEESt5tupleIJNSA_6TensorESF_SF_EERKSF_lbbbEUlllE_EE10hipError_tT0_T1_T2_T3_mRjT4_P12ihipStream_tbNS1_7vsmem_tEEUlT_E_NS1_11comp_targetILNS1_3genE0ELNS1_11target_archE4294967295ELNS1_3gpuE0ELNS1_3repE0EEENS1_30default_config_static_selectorELNS0_4arch9wavefront6targetE0EEEvSM_.has_indirect_call, 0
	.section	.AMDGPU.csdata,"",@progbits
; Kernel info:
; codeLenInByte = 56504
; TotalNumSgprs: 41
; NumVgprs: 58
; ScratchSize: 0
; MemoryBound: 0
; FloatMode: 240
; IeeeMode: 1
; LDSByteSize: 16896 bytes/workgroup (compile time only)
; SGPRBlocks: 0
; VGPRBlocks: 3
; NumSGPRsForWavesPerEU: 41
; NumVGPRsForWavesPerEU: 58
; NamedBarCnt: 0
; Occupancy: 16
; WaveLimiterHint : 1
; COMPUTE_PGM_RSRC2:SCRATCH_EN: 0
; COMPUTE_PGM_RSRC2:USER_SGPR: 2
; COMPUTE_PGM_RSRC2:TRAP_HANDLER: 0
; COMPUTE_PGM_RSRC2:TGID_X_EN: 1
; COMPUTE_PGM_RSRC2:TGID_Y_EN: 1
; COMPUTE_PGM_RSRC2:TGID_Z_EN: 1
; COMPUTE_PGM_RSRC2:TIDIG_COMP_CNT: 2
	.section	.text._ZN7rocprim17ROCPRIM_400000_NS6detail17trampoline_kernelINS0_14default_configENS1_37merge_sort_block_sort_config_selectorIlNS0_10empty_typeEEEZNS1_21merge_sort_block_sortIS3_PlS8_PS5_S9_ZN2at6native12_GLOBAL__N_124unique_dim_cuda_templateImEESt5tupleIJNSA_6TensorESF_SF_EERKSF_lbbbEUlllE_EE10hipError_tT0_T1_T2_T3_mRjT4_P12ihipStream_tbNS1_7vsmem_tEEUlT_E_NS1_11comp_targetILNS1_3genE5ELNS1_11target_archE942ELNS1_3gpuE9ELNS1_3repE0EEENS1_30default_config_static_selectorELNS0_4arch9wavefront6targetE0EEEvSM_,"axG",@progbits,_ZN7rocprim17ROCPRIM_400000_NS6detail17trampoline_kernelINS0_14default_configENS1_37merge_sort_block_sort_config_selectorIlNS0_10empty_typeEEEZNS1_21merge_sort_block_sortIS3_PlS8_PS5_S9_ZN2at6native12_GLOBAL__N_124unique_dim_cuda_templateImEESt5tupleIJNSA_6TensorESF_SF_EERKSF_lbbbEUlllE_EE10hipError_tT0_T1_T2_T3_mRjT4_P12ihipStream_tbNS1_7vsmem_tEEUlT_E_NS1_11comp_targetILNS1_3genE5ELNS1_11target_archE942ELNS1_3gpuE9ELNS1_3repE0EEENS1_30default_config_static_selectorELNS0_4arch9wavefront6targetE0EEEvSM_,comdat
	.globl	_ZN7rocprim17ROCPRIM_400000_NS6detail17trampoline_kernelINS0_14default_configENS1_37merge_sort_block_sort_config_selectorIlNS0_10empty_typeEEEZNS1_21merge_sort_block_sortIS3_PlS8_PS5_S9_ZN2at6native12_GLOBAL__N_124unique_dim_cuda_templateImEESt5tupleIJNSA_6TensorESF_SF_EERKSF_lbbbEUlllE_EE10hipError_tT0_T1_T2_T3_mRjT4_P12ihipStream_tbNS1_7vsmem_tEEUlT_E_NS1_11comp_targetILNS1_3genE5ELNS1_11target_archE942ELNS1_3gpuE9ELNS1_3repE0EEENS1_30default_config_static_selectorELNS0_4arch9wavefront6targetE0EEEvSM_ ; -- Begin function _ZN7rocprim17ROCPRIM_400000_NS6detail17trampoline_kernelINS0_14default_configENS1_37merge_sort_block_sort_config_selectorIlNS0_10empty_typeEEEZNS1_21merge_sort_block_sortIS3_PlS8_PS5_S9_ZN2at6native12_GLOBAL__N_124unique_dim_cuda_templateImEESt5tupleIJNSA_6TensorESF_SF_EERKSF_lbbbEUlllE_EE10hipError_tT0_T1_T2_T3_mRjT4_P12ihipStream_tbNS1_7vsmem_tEEUlT_E_NS1_11comp_targetILNS1_3genE5ELNS1_11target_archE942ELNS1_3gpuE9ELNS1_3repE0EEENS1_30default_config_static_selectorELNS0_4arch9wavefront6targetE0EEEvSM_
	.p2align	8
	.type	_ZN7rocprim17ROCPRIM_400000_NS6detail17trampoline_kernelINS0_14default_configENS1_37merge_sort_block_sort_config_selectorIlNS0_10empty_typeEEEZNS1_21merge_sort_block_sortIS3_PlS8_PS5_S9_ZN2at6native12_GLOBAL__N_124unique_dim_cuda_templateImEESt5tupleIJNSA_6TensorESF_SF_EERKSF_lbbbEUlllE_EE10hipError_tT0_T1_T2_T3_mRjT4_P12ihipStream_tbNS1_7vsmem_tEEUlT_E_NS1_11comp_targetILNS1_3genE5ELNS1_11target_archE942ELNS1_3gpuE9ELNS1_3repE0EEENS1_30default_config_static_selectorELNS0_4arch9wavefront6targetE0EEEvSM_,@function
_ZN7rocprim17ROCPRIM_400000_NS6detail17trampoline_kernelINS0_14default_configENS1_37merge_sort_block_sort_config_selectorIlNS0_10empty_typeEEEZNS1_21merge_sort_block_sortIS3_PlS8_PS5_S9_ZN2at6native12_GLOBAL__N_124unique_dim_cuda_templateImEESt5tupleIJNSA_6TensorESF_SF_EERKSF_lbbbEUlllE_EE10hipError_tT0_T1_T2_T3_mRjT4_P12ihipStream_tbNS1_7vsmem_tEEUlT_E_NS1_11comp_targetILNS1_3genE5ELNS1_11target_archE942ELNS1_3gpuE9ELNS1_3repE0EEENS1_30default_config_static_selectorELNS0_4arch9wavefront6targetE0EEEvSM_: ; @_ZN7rocprim17ROCPRIM_400000_NS6detail17trampoline_kernelINS0_14default_configENS1_37merge_sort_block_sort_config_selectorIlNS0_10empty_typeEEEZNS1_21merge_sort_block_sortIS3_PlS8_PS5_S9_ZN2at6native12_GLOBAL__N_124unique_dim_cuda_templateImEESt5tupleIJNSA_6TensorESF_SF_EERKSF_lbbbEUlllE_EE10hipError_tT0_T1_T2_T3_mRjT4_P12ihipStream_tbNS1_7vsmem_tEEUlT_E_NS1_11comp_targetILNS1_3genE5ELNS1_11target_archE942ELNS1_3gpuE9ELNS1_3repE0EEENS1_30default_config_static_selectorELNS0_4arch9wavefront6targetE0EEEvSM_
; %bb.0:
	.section	.rodata,"a",@progbits
	.p2align	6, 0x0
	.amdhsa_kernel _ZN7rocprim17ROCPRIM_400000_NS6detail17trampoline_kernelINS0_14default_configENS1_37merge_sort_block_sort_config_selectorIlNS0_10empty_typeEEEZNS1_21merge_sort_block_sortIS3_PlS8_PS5_S9_ZN2at6native12_GLOBAL__N_124unique_dim_cuda_templateImEESt5tupleIJNSA_6TensorESF_SF_EERKSF_lbbbEUlllE_EE10hipError_tT0_T1_T2_T3_mRjT4_P12ihipStream_tbNS1_7vsmem_tEEUlT_E_NS1_11comp_targetILNS1_3genE5ELNS1_11target_archE942ELNS1_3gpuE9ELNS1_3repE0EEENS1_30default_config_static_selectorELNS0_4arch9wavefront6targetE0EEEvSM_
		.amdhsa_group_segment_fixed_size 0
		.amdhsa_private_segment_fixed_size 0
		.amdhsa_kernarg_size 72
		.amdhsa_user_sgpr_count 2
		.amdhsa_user_sgpr_dispatch_ptr 0
		.amdhsa_user_sgpr_queue_ptr 0
		.amdhsa_user_sgpr_kernarg_segment_ptr 1
		.amdhsa_user_sgpr_dispatch_id 0
		.amdhsa_user_sgpr_kernarg_preload_length 0
		.amdhsa_user_sgpr_kernarg_preload_offset 0
		.amdhsa_user_sgpr_private_segment_size 0
		.amdhsa_wavefront_size32 1
		.amdhsa_uses_dynamic_stack 0
		.amdhsa_enable_private_segment 0
		.amdhsa_system_sgpr_workgroup_id_x 1
		.amdhsa_system_sgpr_workgroup_id_y 0
		.amdhsa_system_sgpr_workgroup_id_z 0
		.amdhsa_system_sgpr_workgroup_info 0
		.amdhsa_system_vgpr_workitem_id 0
		.amdhsa_next_free_vgpr 1
		.amdhsa_next_free_sgpr 1
		.amdhsa_named_barrier_count 0
		.amdhsa_reserve_vcc 0
		.amdhsa_float_round_mode_32 0
		.amdhsa_float_round_mode_16_64 0
		.amdhsa_float_denorm_mode_32 3
		.amdhsa_float_denorm_mode_16_64 3
		.amdhsa_fp16_overflow 0
		.amdhsa_memory_ordered 1
		.amdhsa_forward_progress 1
		.amdhsa_inst_pref_size 0
		.amdhsa_round_robin_scheduling 0
		.amdhsa_exception_fp_ieee_invalid_op 0
		.amdhsa_exception_fp_denorm_src 0
		.amdhsa_exception_fp_ieee_div_zero 0
		.amdhsa_exception_fp_ieee_overflow 0
		.amdhsa_exception_fp_ieee_underflow 0
		.amdhsa_exception_fp_ieee_inexact 0
		.amdhsa_exception_int_div_zero 0
	.end_amdhsa_kernel
	.section	.text._ZN7rocprim17ROCPRIM_400000_NS6detail17trampoline_kernelINS0_14default_configENS1_37merge_sort_block_sort_config_selectorIlNS0_10empty_typeEEEZNS1_21merge_sort_block_sortIS3_PlS8_PS5_S9_ZN2at6native12_GLOBAL__N_124unique_dim_cuda_templateImEESt5tupleIJNSA_6TensorESF_SF_EERKSF_lbbbEUlllE_EE10hipError_tT0_T1_T2_T3_mRjT4_P12ihipStream_tbNS1_7vsmem_tEEUlT_E_NS1_11comp_targetILNS1_3genE5ELNS1_11target_archE942ELNS1_3gpuE9ELNS1_3repE0EEENS1_30default_config_static_selectorELNS0_4arch9wavefront6targetE0EEEvSM_,"axG",@progbits,_ZN7rocprim17ROCPRIM_400000_NS6detail17trampoline_kernelINS0_14default_configENS1_37merge_sort_block_sort_config_selectorIlNS0_10empty_typeEEEZNS1_21merge_sort_block_sortIS3_PlS8_PS5_S9_ZN2at6native12_GLOBAL__N_124unique_dim_cuda_templateImEESt5tupleIJNSA_6TensorESF_SF_EERKSF_lbbbEUlllE_EE10hipError_tT0_T1_T2_T3_mRjT4_P12ihipStream_tbNS1_7vsmem_tEEUlT_E_NS1_11comp_targetILNS1_3genE5ELNS1_11target_archE942ELNS1_3gpuE9ELNS1_3repE0EEENS1_30default_config_static_selectorELNS0_4arch9wavefront6targetE0EEEvSM_,comdat
.Lfunc_end1606:
	.size	_ZN7rocprim17ROCPRIM_400000_NS6detail17trampoline_kernelINS0_14default_configENS1_37merge_sort_block_sort_config_selectorIlNS0_10empty_typeEEEZNS1_21merge_sort_block_sortIS3_PlS8_PS5_S9_ZN2at6native12_GLOBAL__N_124unique_dim_cuda_templateImEESt5tupleIJNSA_6TensorESF_SF_EERKSF_lbbbEUlllE_EE10hipError_tT0_T1_T2_T3_mRjT4_P12ihipStream_tbNS1_7vsmem_tEEUlT_E_NS1_11comp_targetILNS1_3genE5ELNS1_11target_archE942ELNS1_3gpuE9ELNS1_3repE0EEENS1_30default_config_static_selectorELNS0_4arch9wavefront6targetE0EEEvSM_, .Lfunc_end1606-_ZN7rocprim17ROCPRIM_400000_NS6detail17trampoline_kernelINS0_14default_configENS1_37merge_sort_block_sort_config_selectorIlNS0_10empty_typeEEEZNS1_21merge_sort_block_sortIS3_PlS8_PS5_S9_ZN2at6native12_GLOBAL__N_124unique_dim_cuda_templateImEESt5tupleIJNSA_6TensorESF_SF_EERKSF_lbbbEUlllE_EE10hipError_tT0_T1_T2_T3_mRjT4_P12ihipStream_tbNS1_7vsmem_tEEUlT_E_NS1_11comp_targetILNS1_3genE5ELNS1_11target_archE942ELNS1_3gpuE9ELNS1_3repE0EEENS1_30default_config_static_selectorELNS0_4arch9wavefront6targetE0EEEvSM_
                                        ; -- End function
	.set _ZN7rocprim17ROCPRIM_400000_NS6detail17trampoline_kernelINS0_14default_configENS1_37merge_sort_block_sort_config_selectorIlNS0_10empty_typeEEEZNS1_21merge_sort_block_sortIS3_PlS8_PS5_S9_ZN2at6native12_GLOBAL__N_124unique_dim_cuda_templateImEESt5tupleIJNSA_6TensorESF_SF_EERKSF_lbbbEUlllE_EE10hipError_tT0_T1_T2_T3_mRjT4_P12ihipStream_tbNS1_7vsmem_tEEUlT_E_NS1_11comp_targetILNS1_3genE5ELNS1_11target_archE942ELNS1_3gpuE9ELNS1_3repE0EEENS1_30default_config_static_selectorELNS0_4arch9wavefront6targetE0EEEvSM_.num_vgpr, 0
	.set _ZN7rocprim17ROCPRIM_400000_NS6detail17trampoline_kernelINS0_14default_configENS1_37merge_sort_block_sort_config_selectorIlNS0_10empty_typeEEEZNS1_21merge_sort_block_sortIS3_PlS8_PS5_S9_ZN2at6native12_GLOBAL__N_124unique_dim_cuda_templateImEESt5tupleIJNSA_6TensorESF_SF_EERKSF_lbbbEUlllE_EE10hipError_tT0_T1_T2_T3_mRjT4_P12ihipStream_tbNS1_7vsmem_tEEUlT_E_NS1_11comp_targetILNS1_3genE5ELNS1_11target_archE942ELNS1_3gpuE9ELNS1_3repE0EEENS1_30default_config_static_selectorELNS0_4arch9wavefront6targetE0EEEvSM_.num_agpr, 0
	.set _ZN7rocprim17ROCPRIM_400000_NS6detail17trampoline_kernelINS0_14default_configENS1_37merge_sort_block_sort_config_selectorIlNS0_10empty_typeEEEZNS1_21merge_sort_block_sortIS3_PlS8_PS5_S9_ZN2at6native12_GLOBAL__N_124unique_dim_cuda_templateImEESt5tupleIJNSA_6TensorESF_SF_EERKSF_lbbbEUlllE_EE10hipError_tT0_T1_T2_T3_mRjT4_P12ihipStream_tbNS1_7vsmem_tEEUlT_E_NS1_11comp_targetILNS1_3genE5ELNS1_11target_archE942ELNS1_3gpuE9ELNS1_3repE0EEENS1_30default_config_static_selectorELNS0_4arch9wavefront6targetE0EEEvSM_.numbered_sgpr, 0
	.set _ZN7rocprim17ROCPRIM_400000_NS6detail17trampoline_kernelINS0_14default_configENS1_37merge_sort_block_sort_config_selectorIlNS0_10empty_typeEEEZNS1_21merge_sort_block_sortIS3_PlS8_PS5_S9_ZN2at6native12_GLOBAL__N_124unique_dim_cuda_templateImEESt5tupleIJNSA_6TensorESF_SF_EERKSF_lbbbEUlllE_EE10hipError_tT0_T1_T2_T3_mRjT4_P12ihipStream_tbNS1_7vsmem_tEEUlT_E_NS1_11comp_targetILNS1_3genE5ELNS1_11target_archE942ELNS1_3gpuE9ELNS1_3repE0EEENS1_30default_config_static_selectorELNS0_4arch9wavefront6targetE0EEEvSM_.num_named_barrier, 0
	.set _ZN7rocprim17ROCPRIM_400000_NS6detail17trampoline_kernelINS0_14default_configENS1_37merge_sort_block_sort_config_selectorIlNS0_10empty_typeEEEZNS1_21merge_sort_block_sortIS3_PlS8_PS5_S9_ZN2at6native12_GLOBAL__N_124unique_dim_cuda_templateImEESt5tupleIJNSA_6TensorESF_SF_EERKSF_lbbbEUlllE_EE10hipError_tT0_T1_T2_T3_mRjT4_P12ihipStream_tbNS1_7vsmem_tEEUlT_E_NS1_11comp_targetILNS1_3genE5ELNS1_11target_archE942ELNS1_3gpuE9ELNS1_3repE0EEENS1_30default_config_static_selectorELNS0_4arch9wavefront6targetE0EEEvSM_.private_seg_size, 0
	.set _ZN7rocprim17ROCPRIM_400000_NS6detail17trampoline_kernelINS0_14default_configENS1_37merge_sort_block_sort_config_selectorIlNS0_10empty_typeEEEZNS1_21merge_sort_block_sortIS3_PlS8_PS5_S9_ZN2at6native12_GLOBAL__N_124unique_dim_cuda_templateImEESt5tupleIJNSA_6TensorESF_SF_EERKSF_lbbbEUlllE_EE10hipError_tT0_T1_T2_T3_mRjT4_P12ihipStream_tbNS1_7vsmem_tEEUlT_E_NS1_11comp_targetILNS1_3genE5ELNS1_11target_archE942ELNS1_3gpuE9ELNS1_3repE0EEENS1_30default_config_static_selectorELNS0_4arch9wavefront6targetE0EEEvSM_.uses_vcc, 0
	.set _ZN7rocprim17ROCPRIM_400000_NS6detail17trampoline_kernelINS0_14default_configENS1_37merge_sort_block_sort_config_selectorIlNS0_10empty_typeEEEZNS1_21merge_sort_block_sortIS3_PlS8_PS5_S9_ZN2at6native12_GLOBAL__N_124unique_dim_cuda_templateImEESt5tupleIJNSA_6TensorESF_SF_EERKSF_lbbbEUlllE_EE10hipError_tT0_T1_T2_T3_mRjT4_P12ihipStream_tbNS1_7vsmem_tEEUlT_E_NS1_11comp_targetILNS1_3genE5ELNS1_11target_archE942ELNS1_3gpuE9ELNS1_3repE0EEENS1_30default_config_static_selectorELNS0_4arch9wavefront6targetE0EEEvSM_.uses_flat_scratch, 0
	.set _ZN7rocprim17ROCPRIM_400000_NS6detail17trampoline_kernelINS0_14default_configENS1_37merge_sort_block_sort_config_selectorIlNS0_10empty_typeEEEZNS1_21merge_sort_block_sortIS3_PlS8_PS5_S9_ZN2at6native12_GLOBAL__N_124unique_dim_cuda_templateImEESt5tupleIJNSA_6TensorESF_SF_EERKSF_lbbbEUlllE_EE10hipError_tT0_T1_T2_T3_mRjT4_P12ihipStream_tbNS1_7vsmem_tEEUlT_E_NS1_11comp_targetILNS1_3genE5ELNS1_11target_archE942ELNS1_3gpuE9ELNS1_3repE0EEENS1_30default_config_static_selectorELNS0_4arch9wavefront6targetE0EEEvSM_.has_dyn_sized_stack, 0
	.set _ZN7rocprim17ROCPRIM_400000_NS6detail17trampoline_kernelINS0_14default_configENS1_37merge_sort_block_sort_config_selectorIlNS0_10empty_typeEEEZNS1_21merge_sort_block_sortIS3_PlS8_PS5_S9_ZN2at6native12_GLOBAL__N_124unique_dim_cuda_templateImEESt5tupleIJNSA_6TensorESF_SF_EERKSF_lbbbEUlllE_EE10hipError_tT0_T1_T2_T3_mRjT4_P12ihipStream_tbNS1_7vsmem_tEEUlT_E_NS1_11comp_targetILNS1_3genE5ELNS1_11target_archE942ELNS1_3gpuE9ELNS1_3repE0EEENS1_30default_config_static_selectorELNS0_4arch9wavefront6targetE0EEEvSM_.has_recursion, 0
	.set _ZN7rocprim17ROCPRIM_400000_NS6detail17trampoline_kernelINS0_14default_configENS1_37merge_sort_block_sort_config_selectorIlNS0_10empty_typeEEEZNS1_21merge_sort_block_sortIS3_PlS8_PS5_S9_ZN2at6native12_GLOBAL__N_124unique_dim_cuda_templateImEESt5tupleIJNSA_6TensorESF_SF_EERKSF_lbbbEUlllE_EE10hipError_tT0_T1_T2_T3_mRjT4_P12ihipStream_tbNS1_7vsmem_tEEUlT_E_NS1_11comp_targetILNS1_3genE5ELNS1_11target_archE942ELNS1_3gpuE9ELNS1_3repE0EEENS1_30default_config_static_selectorELNS0_4arch9wavefront6targetE0EEEvSM_.has_indirect_call, 0
	.section	.AMDGPU.csdata,"",@progbits
; Kernel info:
; codeLenInByte = 0
; TotalNumSgprs: 0
; NumVgprs: 0
; ScratchSize: 0
; MemoryBound: 0
; FloatMode: 240
; IeeeMode: 1
; LDSByteSize: 0 bytes/workgroup (compile time only)
; SGPRBlocks: 0
; VGPRBlocks: 0
; NumSGPRsForWavesPerEU: 1
; NumVGPRsForWavesPerEU: 1
; NamedBarCnt: 0
; Occupancy: 16
; WaveLimiterHint : 0
; COMPUTE_PGM_RSRC2:SCRATCH_EN: 0
; COMPUTE_PGM_RSRC2:USER_SGPR: 2
; COMPUTE_PGM_RSRC2:TRAP_HANDLER: 0
; COMPUTE_PGM_RSRC2:TGID_X_EN: 1
; COMPUTE_PGM_RSRC2:TGID_Y_EN: 0
; COMPUTE_PGM_RSRC2:TGID_Z_EN: 0
; COMPUTE_PGM_RSRC2:TIDIG_COMP_CNT: 0
	.section	.text._ZN7rocprim17ROCPRIM_400000_NS6detail17trampoline_kernelINS0_14default_configENS1_37merge_sort_block_sort_config_selectorIlNS0_10empty_typeEEEZNS1_21merge_sort_block_sortIS3_PlS8_PS5_S9_ZN2at6native12_GLOBAL__N_124unique_dim_cuda_templateImEESt5tupleIJNSA_6TensorESF_SF_EERKSF_lbbbEUlllE_EE10hipError_tT0_T1_T2_T3_mRjT4_P12ihipStream_tbNS1_7vsmem_tEEUlT_E_NS1_11comp_targetILNS1_3genE4ELNS1_11target_archE910ELNS1_3gpuE8ELNS1_3repE0EEENS1_30default_config_static_selectorELNS0_4arch9wavefront6targetE0EEEvSM_,"axG",@progbits,_ZN7rocprim17ROCPRIM_400000_NS6detail17trampoline_kernelINS0_14default_configENS1_37merge_sort_block_sort_config_selectorIlNS0_10empty_typeEEEZNS1_21merge_sort_block_sortIS3_PlS8_PS5_S9_ZN2at6native12_GLOBAL__N_124unique_dim_cuda_templateImEESt5tupleIJNSA_6TensorESF_SF_EERKSF_lbbbEUlllE_EE10hipError_tT0_T1_T2_T3_mRjT4_P12ihipStream_tbNS1_7vsmem_tEEUlT_E_NS1_11comp_targetILNS1_3genE4ELNS1_11target_archE910ELNS1_3gpuE8ELNS1_3repE0EEENS1_30default_config_static_selectorELNS0_4arch9wavefront6targetE0EEEvSM_,comdat
	.globl	_ZN7rocprim17ROCPRIM_400000_NS6detail17trampoline_kernelINS0_14default_configENS1_37merge_sort_block_sort_config_selectorIlNS0_10empty_typeEEEZNS1_21merge_sort_block_sortIS3_PlS8_PS5_S9_ZN2at6native12_GLOBAL__N_124unique_dim_cuda_templateImEESt5tupleIJNSA_6TensorESF_SF_EERKSF_lbbbEUlllE_EE10hipError_tT0_T1_T2_T3_mRjT4_P12ihipStream_tbNS1_7vsmem_tEEUlT_E_NS1_11comp_targetILNS1_3genE4ELNS1_11target_archE910ELNS1_3gpuE8ELNS1_3repE0EEENS1_30default_config_static_selectorELNS0_4arch9wavefront6targetE0EEEvSM_ ; -- Begin function _ZN7rocprim17ROCPRIM_400000_NS6detail17trampoline_kernelINS0_14default_configENS1_37merge_sort_block_sort_config_selectorIlNS0_10empty_typeEEEZNS1_21merge_sort_block_sortIS3_PlS8_PS5_S9_ZN2at6native12_GLOBAL__N_124unique_dim_cuda_templateImEESt5tupleIJNSA_6TensorESF_SF_EERKSF_lbbbEUlllE_EE10hipError_tT0_T1_T2_T3_mRjT4_P12ihipStream_tbNS1_7vsmem_tEEUlT_E_NS1_11comp_targetILNS1_3genE4ELNS1_11target_archE910ELNS1_3gpuE8ELNS1_3repE0EEENS1_30default_config_static_selectorELNS0_4arch9wavefront6targetE0EEEvSM_
	.p2align	8
	.type	_ZN7rocprim17ROCPRIM_400000_NS6detail17trampoline_kernelINS0_14default_configENS1_37merge_sort_block_sort_config_selectorIlNS0_10empty_typeEEEZNS1_21merge_sort_block_sortIS3_PlS8_PS5_S9_ZN2at6native12_GLOBAL__N_124unique_dim_cuda_templateImEESt5tupleIJNSA_6TensorESF_SF_EERKSF_lbbbEUlllE_EE10hipError_tT0_T1_T2_T3_mRjT4_P12ihipStream_tbNS1_7vsmem_tEEUlT_E_NS1_11comp_targetILNS1_3genE4ELNS1_11target_archE910ELNS1_3gpuE8ELNS1_3repE0EEENS1_30default_config_static_selectorELNS0_4arch9wavefront6targetE0EEEvSM_,@function
_ZN7rocprim17ROCPRIM_400000_NS6detail17trampoline_kernelINS0_14default_configENS1_37merge_sort_block_sort_config_selectorIlNS0_10empty_typeEEEZNS1_21merge_sort_block_sortIS3_PlS8_PS5_S9_ZN2at6native12_GLOBAL__N_124unique_dim_cuda_templateImEESt5tupleIJNSA_6TensorESF_SF_EERKSF_lbbbEUlllE_EE10hipError_tT0_T1_T2_T3_mRjT4_P12ihipStream_tbNS1_7vsmem_tEEUlT_E_NS1_11comp_targetILNS1_3genE4ELNS1_11target_archE910ELNS1_3gpuE8ELNS1_3repE0EEENS1_30default_config_static_selectorELNS0_4arch9wavefront6targetE0EEEvSM_: ; @_ZN7rocprim17ROCPRIM_400000_NS6detail17trampoline_kernelINS0_14default_configENS1_37merge_sort_block_sort_config_selectorIlNS0_10empty_typeEEEZNS1_21merge_sort_block_sortIS3_PlS8_PS5_S9_ZN2at6native12_GLOBAL__N_124unique_dim_cuda_templateImEESt5tupleIJNSA_6TensorESF_SF_EERKSF_lbbbEUlllE_EE10hipError_tT0_T1_T2_T3_mRjT4_P12ihipStream_tbNS1_7vsmem_tEEUlT_E_NS1_11comp_targetILNS1_3genE4ELNS1_11target_archE910ELNS1_3gpuE8ELNS1_3repE0EEENS1_30default_config_static_selectorELNS0_4arch9wavefront6targetE0EEEvSM_
; %bb.0:
	.section	.rodata,"a",@progbits
	.p2align	6, 0x0
	.amdhsa_kernel _ZN7rocprim17ROCPRIM_400000_NS6detail17trampoline_kernelINS0_14default_configENS1_37merge_sort_block_sort_config_selectorIlNS0_10empty_typeEEEZNS1_21merge_sort_block_sortIS3_PlS8_PS5_S9_ZN2at6native12_GLOBAL__N_124unique_dim_cuda_templateImEESt5tupleIJNSA_6TensorESF_SF_EERKSF_lbbbEUlllE_EE10hipError_tT0_T1_T2_T3_mRjT4_P12ihipStream_tbNS1_7vsmem_tEEUlT_E_NS1_11comp_targetILNS1_3genE4ELNS1_11target_archE910ELNS1_3gpuE8ELNS1_3repE0EEENS1_30default_config_static_selectorELNS0_4arch9wavefront6targetE0EEEvSM_
		.amdhsa_group_segment_fixed_size 0
		.amdhsa_private_segment_fixed_size 0
		.amdhsa_kernarg_size 72
		.amdhsa_user_sgpr_count 2
		.amdhsa_user_sgpr_dispatch_ptr 0
		.amdhsa_user_sgpr_queue_ptr 0
		.amdhsa_user_sgpr_kernarg_segment_ptr 1
		.amdhsa_user_sgpr_dispatch_id 0
		.amdhsa_user_sgpr_kernarg_preload_length 0
		.amdhsa_user_sgpr_kernarg_preload_offset 0
		.amdhsa_user_sgpr_private_segment_size 0
		.amdhsa_wavefront_size32 1
		.amdhsa_uses_dynamic_stack 0
		.amdhsa_enable_private_segment 0
		.amdhsa_system_sgpr_workgroup_id_x 1
		.amdhsa_system_sgpr_workgroup_id_y 0
		.amdhsa_system_sgpr_workgroup_id_z 0
		.amdhsa_system_sgpr_workgroup_info 0
		.amdhsa_system_vgpr_workitem_id 0
		.amdhsa_next_free_vgpr 1
		.amdhsa_next_free_sgpr 1
		.amdhsa_named_barrier_count 0
		.amdhsa_reserve_vcc 0
		.amdhsa_float_round_mode_32 0
		.amdhsa_float_round_mode_16_64 0
		.amdhsa_float_denorm_mode_32 3
		.amdhsa_float_denorm_mode_16_64 3
		.amdhsa_fp16_overflow 0
		.amdhsa_memory_ordered 1
		.amdhsa_forward_progress 1
		.amdhsa_inst_pref_size 0
		.amdhsa_round_robin_scheduling 0
		.amdhsa_exception_fp_ieee_invalid_op 0
		.amdhsa_exception_fp_denorm_src 0
		.amdhsa_exception_fp_ieee_div_zero 0
		.amdhsa_exception_fp_ieee_overflow 0
		.amdhsa_exception_fp_ieee_underflow 0
		.amdhsa_exception_fp_ieee_inexact 0
		.amdhsa_exception_int_div_zero 0
	.end_amdhsa_kernel
	.section	.text._ZN7rocprim17ROCPRIM_400000_NS6detail17trampoline_kernelINS0_14default_configENS1_37merge_sort_block_sort_config_selectorIlNS0_10empty_typeEEEZNS1_21merge_sort_block_sortIS3_PlS8_PS5_S9_ZN2at6native12_GLOBAL__N_124unique_dim_cuda_templateImEESt5tupleIJNSA_6TensorESF_SF_EERKSF_lbbbEUlllE_EE10hipError_tT0_T1_T2_T3_mRjT4_P12ihipStream_tbNS1_7vsmem_tEEUlT_E_NS1_11comp_targetILNS1_3genE4ELNS1_11target_archE910ELNS1_3gpuE8ELNS1_3repE0EEENS1_30default_config_static_selectorELNS0_4arch9wavefront6targetE0EEEvSM_,"axG",@progbits,_ZN7rocprim17ROCPRIM_400000_NS6detail17trampoline_kernelINS0_14default_configENS1_37merge_sort_block_sort_config_selectorIlNS0_10empty_typeEEEZNS1_21merge_sort_block_sortIS3_PlS8_PS5_S9_ZN2at6native12_GLOBAL__N_124unique_dim_cuda_templateImEESt5tupleIJNSA_6TensorESF_SF_EERKSF_lbbbEUlllE_EE10hipError_tT0_T1_T2_T3_mRjT4_P12ihipStream_tbNS1_7vsmem_tEEUlT_E_NS1_11comp_targetILNS1_3genE4ELNS1_11target_archE910ELNS1_3gpuE8ELNS1_3repE0EEENS1_30default_config_static_selectorELNS0_4arch9wavefront6targetE0EEEvSM_,comdat
.Lfunc_end1607:
	.size	_ZN7rocprim17ROCPRIM_400000_NS6detail17trampoline_kernelINS0_14default_configENS1_37merge_sort_block_sort_config_selectorIlNS0_10empty_typeEEEZNS1_21merge_sort_block_sortIS3_PlS8_PS5_S9_ZN2at6native12_GLOBAL__N_124unique_dim_cuda_templateImEESt5tupleIJNSA_6TensorESF_SF_EERKSF_lbbbEUlllE_EE10hipError_tT0_T1_T2_T3_mRjT4_P12ihipStream_tbNS1_7vsmem_tEEUlT_E_NS1_11comp_targetILNS1_3genE4ELNS1_11target_archE910ELNS1_3gpuE8ELNS1_3repE0EEENS1_30default_config_static_selectorELNS0_4arch9wavefront6targetE0EEEvSM_, .Lfunc_end1607-_ZN7rocprim17ROCPRIM_400000_NS6detail17trampoline_kernelINS0_14default_configENS1_37merge_sort_block_sort_config_selectorIlNS0_10empty_typeEEEZNS1_21merge_sort_block_sortIS3_PlS8_PS5_S9_ZN2at6native12_GLOBAL__N_124unique_dim_cuda_templateImEESt5tupleIJNSA_6TensorESF_SF_EERKSF_lbbbEUlllE_EE10hipError_tT0_T1_T2_T3_mRjT4_P12ihipStream_tbNS1_7vsmem_tEEUlT_E_NS1_11comp_targetILNS1_3genE4ELNS1_11target_archE910ELNS1_3gpuE8ELNS1_3repE0EEENS1_30default_config_static_selectorELNS0_4arch9wavefront6targetE0EEEvSM_
                                        ; -- End function
	.set _ZN7rocprim17ROCPRIM_400000_NS6detail17trampoline_kernelINS0_14default_configENS1_37merge_sort_block_sort_config_selectorIlNS0_10empty_typeEEEZNS1_21merge_sort_block_sortIS3_PlS8_PS5_S9_ZN2at6native12_GLOBAL__N_124unique_dim_cuda_templateImEESt5tupleIJNSA_6TensorESF_SF_EERKSF_lbbbEUlllE_EE10hipError_tT0_T1_T2_T3_mRjT4_P12ihipStream_tbNS1_7vsmem_tEEUlT_E_NS1_11comp_targetILNS1_3genE4ELNS1_11target_archE910ELNS1_3gpuE8ELNS1_3repE0EEENS1_30default_config_static_selectorELNS0_4arch9wavefront6targetE0EEEvSM_.num_vgpr, 0
	.set _ZN7rocprim17ROCPRIM_400000_NS6detail17trampoline_kernelINS0_14default_configENS1_37merge_sort_block_sort_config_selectorIlNS0_10empty_typeEEEZNS1_21merge_sort_block_sortIS3_PlS8_PS5_S9_ZN2at6native12_GLOBAL__N_124unique_dim_cuda_templateImEESt5tupleIJNSA_6TensorESF_SF_EERKSF_lbbbEUlllE_EE10hipError_tT0_T1_T2_T3_mRjT4_P12ihipStream_tbNS1_7vsmem_tEEUlT_E_NS1_11comp_targetILNS1_3genE4ELNS1_11target_archE910ELNS1_3gpuE8ELNS1_3repE0EEENS1_30default_config_static_selectorELNS0_4arch9wavefront6targetE0EEEvSM_.num_agpr, 0
	.set _ZN7rocprim17ROCPRIM_400000_NS6detail17trampoline_kernelINS0_14default_configENS1_37merge_sort_block_sort_config_selectorIlNS0_10empty_typeEEEZNS1_21merge_sort_block_sortIS3_PlS8_PS5_S9_ZN2at6native12_GLOBAL__N_124unique_dim_cuda_templateImEESt5tupleIJNSA_6TensorESF_SF_EERKSF_lbbbEUlllE_EE10hipError_tT0_T1_T2_T3_mRjT4_P12ihipStream_tbNS1_7vsmem_tEEUlT_E_NS1_11comp_targetILNS1_3genE4ELNS1_11target_archE910ELNS1_3gpuE8ELNS1_3repE0EEENS1_30default_config_static_selectorELNS0_4arch9wavefront6targetE0EEEvSM_.numbered_sgpr, 0
	.set _ZN7rocprim17ROCPRIM_400000_NS6detail17trampoline_kernelINS0_14default_configENS1_37merge_sort_block_sort_config_selectorIlNS0_10empty_typeEEEZNS1_21merge_sort_block_sortIS3_PlS8_PS5_S9_ZN2at6native12_GLOBAL__N_124unique_dim_cuda_templateImEESt5tupleIJNSA_6TensorESF_SF_EERKSF_lbbbEUlllE_EE10hipError_tT0_T1_T2_T3_mRjT4_P12ihipStream_tbNS1_7vsmem_tEEUlT_E_NS1_11comp_targetILNS1_3genE4ELNS1_11target_archE910ELNS1_3gpuE8ELNS1_3repE0EEENS1_30default_config_static_selectorELNS0_4arch9wavefront6targetE0EEEvSM_.num_named_barrier, 0
	.set _ZN7rocprim17ROCPRIM_400000_NS6detail17trampoline_kernelINS0_14default_configENS1_37merge_sort_block_sort_config_selectorIlNS0_10empty_typeEEEZNS1_21merge_sort_block_sortIS3_PlS8_PS5_S9_ZN2at6native12_GLOBAL__N_124unique_dim_cuda_templateImEESt5tupleIJNSA_6TensorESF_SF_EERKSF_lbbbEUlllE_EE10hipError_tT0_T1_T2_T3_mRjT4_P12ihipStream_tbNS1_7vsmem_tEEUlT_E_NS1_11comp_targetILNS1_3genE4ELNS1_11target_archE910ELNS1_3gpuE8ELNS1_3repE0EEENS1_30default_config_static_selectorELNS0_4arch9wavefront6targetE0EEEvSM_.private_seg_size, 0
	.set _ZN7rocprim17ROCPRIM_400000_NS6detail17trampoline_kernelINS0_14default_configENS1_37merge_sort_block_sort_config_selectorIlNS0_10empty_typeEEEZNS1_21merge_sort_block_sortIS3_PlS8_PS5_S9_ZN2at6native12_GLOBAL__N_124unique_dim_cuda_templateImEESt5tupleIJNSA_6TensorESF_SF_EERKSF_lbbbEUlllE_EE10hipError_tT0_T1_T2_T3_mRjT4_P12ihipStream_tbNS1_7vsmem_tEEUlT_E_NS1_11comp_targetILNS1_3genE4ELNS1_11target_archE910ELNS1_3gpuE8ELNS1_3repE0EEENS1_30default_config_static_selectorELNS0_4arch9wavefront6targetE0EEEvSM_.uses_vcc, 0
	.set _ZN7rocprim17ROCPRIM_400000_NS6detail17trampoline_kernelINS0_14default_configENS1_37merge_sort_block_sort_config_selectorIlNS0_10empty_typeEEEZNS1_21merge_sort_block_sortIS3_PlS8_PS5_S9_ZN2at6native12_GLOBAL__N_124unique_dim_cuda_templateImEESt5tupleIJNSA_6TensorESF_SF_EERKSF_lbbbEUlllE_EE10hipError_tT0_T1_T2_T3_mRjT4_P12ihipStream_tbNS1_7vsmem_tEEUlT_E_NS1_11comp_targetILNS1_3genE4ELNS1_11target_archE910ELNS1_3gpuE8ELNS1_3repE0EEENS1_30default_config_static_selectorELNS0_4arch9wavefront6targetE0EEEvSM_.uses_flat_scratch, 0
	.set _ZN7rocprim17ROCPRIM_400000_NS6detail17trampoline_kernelINS0_14default_configENS1_37merge_sort_block_sort_config_selectorIlNS0_10empty_typeEEEZNS1_21merge_sort_block_sortIS3_PlS8_PS5_S9_ZN2at6native12_GLOBAL__N_124unique_dim_cuda_templateImEESt5tupleIJNSA_6TensorESF_SF_EERKSF_lbbbEUlllE_EE10hipError_tT0_T1_T2_T3_mRjT4_P12ihipStream_tbNS1_7vsmem_tEEUlT_E_NS1_11comp_targetILNS1_3genE4ELNS1_11target_archE910ELNS1_3gpuE8ELNS1_3repE0EEENS1_30default_config_static_selectorELNS0_4arch9wavefront6targetE0EEEvSM_.has_dyn_sized_stack, 0
	.set _ZN7rocprim17ROCPRIM_400000_NS6detail17trampoline_kernelINS0_14default_configENS1_37merge_sort_block_sort_config_selectorIlNS0_10empty_typeEEEZNS1_21merge_sort_block_sortIS3_PlS8_PS5_S9_ZN2at6native12_GLOBAL__N_124unique_dim_cuda_templateImEESt5tupleIJNSA_6TensorESF_SF_EERKSF_lbbbEUlllE_EE10hipError_tT0_T1_T2_T3_mRjT4_P12ihipStream_tbNS1_7vsmem_tEEUlT_E_NS1_11comp_targetILNS1_3genE4ELNS1_11target_archE910ELNS1_3gpuE8ELNS1_3repE0EEENS1_30default_config_static_selectorELNS0_4arch9wavefront6targetE0EEEvSM_.has_recursion, 0
	.set _ZN7rocprim17ROCPRIM_400000_NS6detail17trampoline_kernelINS0_14default_configENS1_37merge_sort_block_sort_config_selectorIlNS0_10empty_typeEEEZNS1_21merge_sort_block_sortIS3_PlS8_PS5_S9_ZN2at6native12_GLOBAL__N_124unique_dim_cuda_templateImEESt5tupleIJNSA_6TensorESF_SF_EERKSF_lbbbEUlllE_EE10hipError_tT0_T1_T2_T3_mRjT4_P12ihipStream_tbNS1_7vsmem_tEEUlT_E_NS1_11comp_targetILNS1_3genE4ELNS1_11target_archE910ELNS1_3gpuE8ELNS1_3repE0EEENS1_30default_config_static_selectorELNS0_4arch9wavefront6targetE0EEEvSM_.has_indirect_call, 0
	.section	.AMDGPU.csdata,"",@progbits
; Kernel info:
; codeLenInByte = 0
; TotalNumSgprs: 0
; NumVgprs: 0
; ScratchSize: 0
; MemoryBound: 0
; FloatMode: 240
; IeeeMode: 1
; LDSByteSize: 0 bytes/workgroup (compile time only)
; SGPRBlocks: 0
; VGPRBlocks: 0
; NumSGPRsForWavesPerEU: 1
; NumVGPRsForWavesPerEU: 1
; NamedBarCnt: 0
; Occupancy: 16
; WaveLimiterHint : 0
; COMPUTE_PGM_RSRC2:SCRATCH_EN: 0
; COMPUTE_PGM_RSRC2:USER_SGPR: 2
; COMPUTE_PGM_RSRC2:TRAP_HANDLER: 0
; COMPUTE_PGM_RSRC2:TGID_X_EN: 1
; COMPUTE_PGM_RSRC2:TGID_Y_EN: 0
; COMPUTE_PGM_RSRC2:TGID_Z_EN: 0
; COMPUTE_PGM_RSRC2:TIDIG_COMP_CNT: 0
	.section	.text._ZN7rocprim17ROCPRIM_400000_NS6detail17trampoline_kernelINS0_14default_configENS1_37merge_sort_block_sort_config_selectorIlNS0_10empty_typeEEEZNS1_21merge_sort_block_sortIS3_PlS8_PS5_S9_ZN2at6native12_GLOBAL__N_124unique_dim_cuda_templateImEESt5tupleIJNSA_6TensorESF_SF_EERKSF_lbbbEUlllE_EE10hipError_tT0_T1_T2_T3_mRjT4_P12ihipStream_tbNS1_7vsmem_tEEUlT_E_NS1_11comp_targetILNS1_3genE3ELNS1_11target_archE908ELNS1_3gpuE7ELNS1_3repE0EEENS1_30default_config_static_selectorELNS0_4arch9wavefront6targetE0EEEvSM_,"axG",@progbits,_ZN7rocprim17ROCPRIM_400000_NS6detail17trampoline_kernelINS0_14default_configENS1_37merge_sort_block_sort_config_selectorIlNS0_10empty_typeEEEZNS1_21merge_sort_block_sortIS3_PlS8_PS5_S9_ZN2at6native12_GLOBAL__N_124unique_dim_cuda_templateImEESt5tupleIJNSA_6TensorESF_SF_EERKSF_lbbbEUlllE_EE10hipError_tT0_T1_T2_T3_mRjT4_P12ihipStream_tbNS1_7vsmem_tEEUlT_E_NS1_11comp_targetILNS1_3genE3ELNS1_11target_archE908ELNS1_3gpuE7ELNS1_3repE0EEENS1_30default_config_static_selectorELNS0_4arch9wavefront6targetE0EEEvSM_,comdat
	.globl	_ZN7rocprim17ROCPRIM_400000_NS6detail17trampoline_kernelINS0_14default_configENS1_37merge_sort_block_sort_config_selectorIlNS0_10empty_typeEEEZNS1_21merge_sort_block_sortIS3_PlS8_PS5_S9_ZN2at6native12_GLOBAL__N_124unique_dim_cuda_templateImEESt5tupleIJNSA_6TensorESF_SF_EERKSF_lbbbEUlllE_EE10hipError_tT0_T1_T2_T3_mRjT4_P12ihipStream_tbNS1_7vsmem_tEEUlT_E_NS1_11comp_targetILNS1_3genE3ELNS1_11target_archE908ELNS1_3gpuE7ELNS1_3repE0EEENS1_30default_config_static_selectorELNS0_4arch9wavefront6targetE0EEEvSM_ ; -- Begin function _ZN7rocprim17ROCPRIM_400000_NS6detail17trampoline_kernelINS0_14default_configENS1_37merge_sort_block_sort_config_selectorIlNS0_10empty_typeEEEZNS1_21merge_sort_block_sortIS3_PlS8_PS5_S9_ZN2at6native12_GLOBAL__N_124unique_dim_cuda_templateImEESt5tupleIJNSA_6TensorESF_SF_EERKSF_lbbbEUlllE_EE10hipError_tT0_T1_T2_T3_mRjT4_P12ihipStream_tbNS1_7vsmem_tEEUlT_E_NS1_11comp_targetILNS1_3genE3ELNS1_11target_archE908ELNS1_3gpuE7ELNS1_3repE0EEENS1_30default_config_static_selectorELNS0_4arch9wavefront6targetE0EEEvSM_
	.p2align	8
	.type	_ZN7rocprim17ROCPRIM_400000_NS6detail17trampoline_kernelINS0_14default_configENS1_37merge_sort_block_sort_config_selectorIlNS0_10empty_typeEEEZNS1_21merge_sort_block_sortIS3_PlS8_PS5_S9_ZN2at6native12_GLOBAL__N_124unique_dim_cuda_templateImEESt5tupleIJNSA_6TensorESF_SF_EERKSF_lbbbEUlllE_EE10hipError_tT0_T1_T2_T3_mRjT4_P12ihipStream_tbNS1_7vsmem_tEEUlT_E_NS1_11comp_targetILNS1_3genE3ELNS1_11target_archE908ELNS1_3gpuE7ELNS1_3repE0EEENS1_30default_config_static_selectorELNS0_4arch9wavefront6targetE0EEEvSM_,@function
_ZN7rocprim17ROCPRIM_400000_NS6detail17trampoline_kernelINS0_14default_configENS1_37merge_sort_block_sort_config_selectorIlNS0_10empty_typeEEEZNS1_21merge_sort_block_sortIS3_PlS8_PS5_S9_ZN2at6native12_GLOBAL__N_124unique_dim_cuda_templateImEESt5tupleIJNSA_6TensorESF_SF_EERKSF_lbbbEUlllE_EE10hipError_tT0_T1_T2_T3_mRjT4_P12ihipStream_tbNS1_7vsmem_tEEUlT_E_NS1_11comp_targetILNS1_3genE3ELNS1_11target_archE908ELNS1_3gpuE7ELNS1_3repE0EEENS1_30default_config_static_selectorELNS0_4arch9wavefront6targetE0EEEvSM_: ; @_ZN7rocprim17ROCPRIM_400000_NS6detail17trampoline_kernelINS0_14default_configENS1_37merge_sort_block_sort_config_selectorIlNS0_10empty_typeEEEZNS1_21merge_sort_block_sortIS3_PlS8_PS5_S9_ZN2at6native12_GLOBAL__N_124unique_dim_cuda_templateImEESt5tupleIJNSA_6TensorESF_SF_EERKSF_lbbbEUlllE_EE10hipError_tT0_T1_T2_T3_mRjT4_P12ihipStream_tbNS1_7vsmem_tEEUlT_E_NS1_11comp_targetILNS1_3genE3ELNS1_11target_archE908ELNS1_3gpuE7ELNS1_3repE0EEENS1_30default_config_static_selectorELNS0_4arch9wavefront6targetE0EEEvSM_
; %bb.0:
	.section	.rodata,"a",@progbits
	.p2align	6, 0x0
	.amdhsa_kernel _ZN7rocprim17ROCPRIM_400000_NS6detail17trampoline_kernelINS0_14default_configENS1_37merge_sort_block_sort_config_selectorIlNS0_10empty_typeEEEZNS1_21merge_sort_block_sortIS3_PlS8_PS5_S9_ZN2at6native12_GLOBAL__N_124unique_dim_cuda_templateImEESt5tupleIJNSA_6TensorESF_SF_EERKSF_lbbbEUlllE_EE10hipError_tT0_T1_T2_T3_mRjT4_P12ihipStream_tbNS1_7vsmem_tEEUlT_E_NS1_11comp_targetILNS1_3genE3ELNS1_11target_archE908ELNS1_3gpuE7ELNS1_3repE0EEENS1_30default_config_static_selectorELNS0_4arch9wavefront6targetE0EEEvSM_
		.amdhsa_group_segment_fixed_size 0
		.amdhsa_private_segment_fixed_size 0
		.amdhsa_kernarg_size 72
		.amdhsa_user_sgpr_count 2
		.amdhsa_user_sgpr_dispatch_ptr 0
		.amdhsa_user_sgpr_queue_ptr 0
		.amdhsa_user_sgpr_kernarg_segment_ptr 1
		.amdhsa_user_sgpr_dispatch_id 0
		.amdhsa_user_sgpr_kernarg_preload_length 0
		.amdhsa_user_sgpr_kernarg_preload_offset 0
		.amdhsa_user_sgpr_private_segment_size 0
		.amdhsa_wavefront_size32 1
		.amdhsa_uses_dynamic_stack 0
		.amdhsa_enable_private_segment 0
		.amdhsa_system_sgpr_workgroup_id_x 1
		.amdhsa_system_sgpr_workgroup_id_y 0
		.amdhsa_system_sgpr_workgroup_id_z 0
		.amdhsa_system_sgpr_workgroup_info 0
		.amdhsa_system_vgpr_workitem_id 0
		.amdhsa_next_free_vgpr 1
		.amdhsa_next_free_sgpr 1
		.amdhsa_named_barrier_count 0
		.amdhsa_reserve_vcc 0
		.amdhsa_float_round_mode_32 0
		.amdhsa_float_round_mode_16_64 0
		.amdhsa_float_denorm_mode_32 3
		.amdhsa_float_denorm_mode_16_64 3
		.amdhsa_fp16_overflow 0
		.amdhsa_memory_ordered 1
		.amdhsa_forward_progress 1
		.amdhsa_inst_pref_size 0
		.amdhsa_round_robin_scheduling 0
		.amdhsa_exception_fp_ieee_invalid_op 0
		.amdhsa_exception_fp_denorm_src 0
		.amdhsa_exception_fp_ieee_div_zero 0
		.amdhsa_exception_fp_ieee_overflow 0
		.amdhsa_exception_fp_ieee_underflow 0
		.amdhsa_exception_fp_ieee_inexact 0
		.amdhsa_exception_int_div_zero 0
	.end_amdhsa_kernel
	.section	.text._ZN7rocprim17ROCPRIM_400000_NS6detail17trampoline_kernelINS0_14default_configENS1_37merge_sort_block_sort_config_selectorIlNS0_10empty_typeEEEZNS1_21merge_sort_block_sortIS3_PlS8_PS5_S9_ZN2at6native12_GLOBAL__N_124unique_dim_cuda_templateImEESt5tupleIJNSA_6TensorESF_SF_EERKSF_lbbbEUlllE_EE10hipError_tT0_T1_T2_T3_mRjT4_P12ihipStream_tbNS1_7vsmem_tEEUlT_E_NS1_11comp_targetILNS1_3genE3ELNS1_11target_archE908ELNS1_3gpuE7ELNS1_3repE0EEENS1_30default_config_static_selectorELNS0_4arch9wavefront6targetE0EEEvSM_,"axG",@progbits,_ZN7rocprim17ROCPRIM_400000_NS6detail17trampoline_kernelINS0_14default_configENS1_37merge_sort_block_sort_config_selectorIlNS0_10empty_typeEEEZNS1_21merge_sort_block_sortIS3_PlS8_PS5_S9_ZN2at6native12_GLOBAL__N_124unique_dim_cuda_templateImEESt5tupleIJNSA_6TensorESF_SF_EERKSF_lbbbEUlllE_EE10hipError_tT0_T1_T2_T3_mRjT4_P12ihipStream_tbNS1_7vsmem_tEEUlT_E_NS1_11comp_targetILNS1_3genE3ELNS1_11target_archE908ELNS1_3gpuE7ELNS1_3repE0EEENS1_30default_config_static_selectorELNS0_4arch9wavefront6targetE0EEEvSM_,comdat
.Lfunc_end1608:
	.size	_ZN7rocprim17ROCPRIM_400000_NS6detail17trampoline_kernelINS0_14default_configENS1_37merge_sort_block_sort_config_selectorIlNS0_10empty_typeEEEZNS1_21merge_sort_block_sortIS3_PlS8_PS5_S9_ZN2at6native12_GLOBAL__N_124unique_dim_cuda_templateImEESt5tupleIJNSA_6TensorESF_SF_EERKSF_lbbbEUlllE_EE10hipError_tT0_T1_T2_T3_mRjT4_P12ihipStream_tbNS1_7vsmem_tEEUlT_E_NS1_11comp_targetILNS1_3genE3ELNS1_11target_archE908ELNS1_3gpuE7ELNS1_3repE0EEENS1_30default_config_static_selectorELNS0_4arch9wavefront6targetE0EEEvSM_, .Lfunc_end1608-_ZN7rocprim17ROCPRIM_400000_NS6detail17trampoline_kernelINS0_14default_configENS1_37merge_sort_block_sort_config_selectorIlNS0_10empty_typeEEEZNS1_21merge_sort_block_sortIS3_PlS8_PS5_S9_ZN2at6native12_GLOBAL__N_124unique_dim_cuda_templateImEESt5tupleIJNSA_6TensorESF_SF_EERKSF_lbbbEUlllE_EE10hipError_tT0_T1_T2_T3_mRjT4_P12ihipStream_tbNS1_7vsmem_tEEUlT_E_NS1_11comp_targetILNS1_3genE3ELNS1_11target_archE908ELNS1_3gpuE7ELNS1_3repE0EEENS1_30default_config_static_selectorELNS0_4arch9wavefront6targetE0EEEvSM_
                                        ; -- End function
	.set _ZN7rocprim17ROCPRIM_400000_NS6detail17trampoline_kernelINS0_14default_configENS1_37merge_sort_block_sort_config_selectorIlNS0_10empty_typeEEEZNS1_21merge_sort_block_sortIS3_PlS8_PS5_S9_ZN2at6native12_GLOBAL__N_124unique_dim_cuda_templateImEESt5tupleIJNSA_6TensorESF_SF_EERKSF_lbbbEUlllE_EE10hipError_tT0_T1_T2_T3_mRjT4_P12ihipStream_tbNS1_7vsmem_tEEUlT_E_NS1_11comp_targetILNS1_3genE3ELNS1_11target_archE908ELNS1_3gpuE7ELNS1_3repE0EEENS1_30default_config_static_selectorELNS0_4arch9wavefront6targetE0EEEvSM_.num_vgpr, 0
	.set _ZN7rocprim17ROCPRIM_400000_NS6detail17trampoline_kernelINS0_14default_configENS1_37merge_sort_block_sort_config_selectorIlNS0_10empty_typeEEEZNS1_21merge_sort_block_sortIS3_PlS8_PS5_S9_ZN2at6native12_GLOBAL__N_124unique_dim_cuda_templateImEESt5tupleIJNSA_6TensorESF_SF_EERKSF_lbbbEUlllE_EE10hipError_tT0_T1_T2_T3_mRjT4_P12ihipStream_tbNS1_7vsmem_tEEUlT_E_NS1_11comp_targetILNS1_3genE3ELNS1_11target_archE908ELNS1_3gpuE7ELNS1_3repE0EEENS1_30default_config_static_selectorELNS0_4arch9wavefront6targetE0EEEvSM_.num_agpr, 0
	.set _ZN7rocprim17ROCPRIM_400000_NS6detail17trampoline_kernelINS0_14default_configENS1_37merge_sort_block_sort_config_selectorIlNS0_10empty_typeEEEZNS1_21merge_sort_block_sortIS3_PlS8_PS5_S9_ZN2at6native12_GLOBAL__N_124unique_dim_cuda_templateImEESt5tupleIJNSA_6TensorESF_SF_EERKSF_lbbbEUlllE_EE10hipError_tT0_T1_T2_T3_mRjT4_P12ihipStream_tbNS1_7vsmem_tEEUlT_E_NS1_11comp_targetILNS1_3genE3ELNS1_11target_archE908ELNS1_3gpuE7ELNS1_3repE0EEENS1_30default_config_static_selectorELNS0_4arch9wavefront6targetE0EEEvSM_.numbered_sgpr, 0
	.set _ZN7rocprim17ROCPRIM_400000_NS6detail17trampoline_kernelINS0_14default_configENS1_37merge_sort_block_sort_config_selectorIlNS0_10empty_typeEEEZNS1_21merge_sort_block_sortIS3_PlS8_PS5_S9_ZN2at6native12_GLOBAL__N_124unique_dim_cuda_templateImEESt5tupleIJNSA_6TensorESF_SF_EERKSF_lbbbEUlllE_EE10hipError_tT0_T1_T2_T3_mRjT4_P12ihipStream_tbNS1_7vsmem_tEEUlT_E_NS1_11comp_targetILNS1_3genE3ELNS1_11target_archE908ELNS1_3gpuE7ELNS1_3repE0EEENS1_30default_config_static_selectorELNS0_4arch9wavefront6targetE0EEEvSM_.num_named_barrier, 0
	.set _ZN7rocprim17ROCPRIM_400000_NS6detail17trampoline_kernelINS0_14default_configENS1_37merge_sort_block_sort_config_selectorIlNS0_10empty_typeEEEZNS1_21merge_sort_block_sortIS3_PlS8_PS5_S9_ZN2at6native12_GLOBAL__N_124unique_dim_cuda_templateImEESt5tupleIJNSA_6TensorESF_SF_EERKSF_lbbbEUlllE_EE10hipError_tT0_T1_T2_T3_mRjT4_P12ihipStream_tbNS1_7vsmem_tEEUlT_E_NS1_11comp_targetILNS1_3genE3ELNS1_11target_archE908ELNS1_3gpuE7ELNS1_3repE0EEENS1_30default_config_static_selectorELNS0_4arch9wavefront6targetE0EEEvSM_.private_seg_size, 0
	.set _ZN7rocprim17ROCPRIM_400000_NS6detail17trampoline_kernelINS0_14default_configENS1_37merge_sort_block_sort_config_selectorIlNS0_10empty_typeEEEZNS1_21merge_sort_block_sortIS3_PlS8_PS5_S9_ZN2at6native12_GLOBAL__N_124unique_dim_cuda_templateImEESt5tupleIJNSA_6TensorESF_SF_EERKSF_lbbbEUlllE_EE10hipError_tT0_T1_T2_T3_mRjT4_P12ihipStream_tbNS1_7vsmem_tEEUlT_E_NS1_11comp_targetILNS1_3genE3ELNS1_11target_archE908ELNS1_3gpuE7ELNS1_3repE0EEENS1_30default_config_static_selectorELNS0_4arch9wavefront6targetE0EEEvSM_.uses_vcc, 0
	.set _ZN7rocprim17ROCPRIM_400000_NS6detail17trampoline_kernelINS0_14default_configENS1_37merge_sort_block_sort_config_selectorIlNS0_10empty_typeEEEZNS1_21merge_sort_block_sortIS3_PlS8_PS5_S9_ZN2at6native12_GLOBAL__N_124unique_dim_cuda_templateImEESt5tupleIJNSA_6TensorESF_SF_EERKSF_lbbbEUlllE_EE10hipError_tT0_T1_T2_T3_mRjT4_P12ihipStream_tbNS1_7vsmem_tEEUlT_E_NS1_11comp_targetILNS1_3genE3ELNS1_11target_archE908ELNS1_3gpuE7ELNS1_3repE0EEENS1_30default_config_static_selectorELNS0_4arch9wavefront6targetE0EEEvSM_.uses_flat_scratch, 0
	.set _ZN7rocprim17ROCPRIM_400000_NS6detail17trampoline_kernelINS0_14default_configENS1_37merge_sort_block_sort_config_selectorIlNS0_10empty_typeEEEZNS1_21merge_sort_block_sortIS3_PlS8_PS5_S9_ZN2at6native12_GLOBAL__N_124unique_dim_cuda_templateImEESt5tupleIJNSA_6TensorESF_SF_EERKSF_lbbbEUlllE_EE10hipError_tT0_T1_T2_T3_mRjT4_P12ihipStream_tbNS1_7vsmem_tEEUlT_E_NS1_11comp_targetILNS1_3genE3ELNS1_11target_archE908ELNS1_3gpuE7ELNS1_3repE0EEENS1_30default_config_static_selectorELNS0_4arch9wavefront6targetE0EEEvSM_.has_dyn_sized_stack, 0
	.set _ZN7rocprim17ROCPRIM_400000_NS6detail17trampoline_kernelINS0_14default_configENS1_37merge_sort_block_sort_config_selectorIlNS0_10empty_typeEEEZNS1_21merge_sort_block_sortIS3_PlS8_PS5_S9_ZN2at6native12_GLOBAL__N_124unique_dim_cuda_templateImEESt5tupleIJNSA_6TensorESF_SF_EERKSF_lbbbEUlllE_EE10hipError_tT0_T1_T2_T3_mRjT4_P12ihipStream_tbNS1_7vsmem_tEEUlT_E_NS1_11comp_targetILNS1_3genE3ELNS1_11target_archE908ELNS1_3gpuE7ELNS1_3repE0EEENS1_30default_config_static_selectorELNS0_4arch9wavefront6targetE0EEEvSM_.has_recursion, 0
	.set _ZN7rocprim17ROCPRIM_400000_NS6detail17trampoline_kernelINS0_14default_configENS1_37merge_sort_block_sort_config_selectorIlNS0_10empty_typeEEEZNS1_21merge_sort_block_sortIS3_PlS8_PS5_S9_ZN2at6native12_GLOBAL__N_124unique_dim_cuda_templateImEESt5tupleIJNSA_6TensorESF_SF_EERKSF_lbbbEUlllE_EE10hipError_tT0_T1_T2_T3_mRjT4_P12ihipStream_tbNS1_7vsmem_tEEUlT_E_NS1_11comp_targetILNS1_3genE3ELNS1_11target_archE908ELNS1_3gpuE7ELNS1_3repE0EEENS1_30default_config_static_selectorELNS0_4arch9wavefront6targetE0EEEvSM_.has_indirect_call, 0
	.section	.AMDGPU.csdata,"",@progbits
; Kernel info:
; codeLenInByte = 0
; TotalNumSgprs: 0
; NumVgprs: 0
; ScratchSize: 0
; MemoryBound: 0
; FloatMode: 240
; IeeeMode: 1
; LDSByteSize: 0 bytes/workgroup (compile time only)
; SGPRBlocks: 0
; VGPRBlocks: 0
; NumSGPRsForWavesPerEU: 1
; NumVGPRsForWavesPerEU: 1
; NamedBarCnt: 0
; Occupancy: 16
; WaveLimiterHint : 0
; COMPUTE_PGM_RSRC2:SCRATCH_EN: 0
; COMPUTE_PGM_RSRC2:USER_SGPR: 2
; COMPUTE_PGM_RSRC2:TRAP_HANDLER: 0
; COMPUTE_PGM_RSRC2:TGID_X_EN: 1
; COMPUTE_PGM_RSRC2:TGID_Y_EN: 0
; COMPUTE_PGM_RSRC2:TGID_Z_EN: 0
; COMPUTE_PGM_RSRC2:TIDIG_COMP_CNT: 0
	.section	.text._ZN7rocprim17ROCPRIM_400000_NS6detail17trampoline_kernelINS0_14default_configENS1_37merge_sort_block_sort_config_selectorIlNS0_10empty_typeEEEZNS1_21merge_sort_block_sortIS3_PlS8_PS5_S9_ZN2at6native12_GLOBAL__N_124unique_dim_cuda_templateImEESt5tupleIJNSA_6TensorESF_SF_EERKSF_lbbbEUlllE_EE10hipError_tT0_T1_T2_T3_mRjT4_P12ihipStream_tbNS1_7vsmem_tEEUlT_E_NS1_11comp_targetILNS1_3genE2ELNS1_11target_archE906ELNS1_3gpuE6ELNS1_3repE0EEENS1_30default_config_static_selectorELNS0_4arch9wavefront6targetE0EEEvSM_,"axG",@progbits,_ZN7rocprim17ROCPRIM_400000_NS6detail17trampoline_kernelINS0_14default_configENS1_37merge_sort_block_sort_config_selectorIlNS0_10empty_typeEEEZNS1_21merge_sort_block_sortIS3_PlS8_PS5_S9_ZN2at6native12_GLOBAL__N_124unique_dim_cuda_templateImEESt5tupleIJNSA_6TensorESF_SF_EERKSF_lbbbEUlllE_EE10hipError_tT0_T1_T2_T3_mRjT4_P12ihipStream_tbNS1_7vsmem_tEEUlT_E_NS1_11comp_targetILNS1_3genE2ELNS1_11target_archE906ELNS1_3gpuE6ELNS1_3repE0EEENS1_30default_config_static_selectorELNS0_4arch9wavefront6targetE0EEEvSM_,comdat
	.globl	_ZN7rocprim17ROCPRIM_400000_NS6detail17trampoline_kernelINS0_14default_configENS1_37merge_sort_block_sort_config_selectorIlNS0_10empty_typeEEEZNS1_21merge_sort_block_sortIS3_PlS8_PS5_S9_ZN2at6native12_GLOBAL__N_124unique_dim_cuda_templateImEESt5tupleIJNSA_6TensorESF_SF_EERKSF_lbbbEUlllE_EE10hipError_tT0_T1_T2_T3_mRjT4_P12ihipStream_tbNS1_7vsmem_tEEUlT_E_NS1_11comp_targetILNS1_3genE2ELNS1_11target_archE906ELNS1_3gpuE6ELNS1_3repE0EEENS1_30default_config_static_selectorELNS0_4arch9wavefront6targetE0EEEvSM_ ; -- Begin function _ZN7rocprim17ROCPRIM_400000_NS6detail17trampoline_kernelINS0_14default_configENS1_37merge_sort_block_sort_config_selectorIlNS0_10empty_typeEEEZNS1_21merge_sort_block_sortIS3_PlS8_PS5_S9_ZN2at6native12_GLOBAL__N_124unique_dim_cuda_templateImEESt5tupleIJNSA_6TensorESF_SF_EERKSF_lbbbEUlllE_EE10hipError_tT0_T1_T2_T3_mRjT4_P12ihipStream_tbNS1_7vsmem_tEEUlT_E_NS1_11comp_targetILNS1_3genE2ELNS1_11target_archE906ELNS1_3gpuE6ELNS1_3repE0EEENS1_30default_config_static_selectorELNS0_4arch9wavefront6targetE0EEEvSM_
	.p2align	8
	.type	_ZN7rocprim17ROCPRIM_400000_NS6detail17trampoline_kernelINS0_14default_configENS1_37merge_sort_block_sort_config_selectorIlNS0_10empty_typeEEEZNS1_21merge_sort_block_sortIS3_PlS8_PS5_S9_ZN2at6native12_GLOBAL__N_124unique_dim_cuda_templateImEESt5tupleIJNSA_6TensorESF_SF_EERKSF_lbbbEUlllE_EE10hipError_tT0_T1_T2_T3_mRjT4_P12ihipStream_tbNS1_7vsmem_tEEUlT_E_NS1_11comp_targetILNS1_3genE2ELNS1_11target_archE906ELNS1_3gpuE6ELNS1_3repE0EEENS1_30default_config_static_selectorELNS0_4arch9wavefront6targetE0EEEvSM_,@function
_ZN7rocprim17ROCPRIM_400000_NS6detail17trampoline_kernelINS0_14default_configENS1_37merge_sort_block_sort_config_selectorIlNS0_10empty_typeEEEZNS1_21merge_sort_block_sortIS3_PlS8_PS5_S9_ZN2at6native12_GLOBAL__N_124unique_dim_cuda_templateImEESt5tupleIJNSA_6TensorESF_SF_EERKSF_lbbbEUlllE_EE10hipError_tT0_T1_T2_T3_mRjT4_P12ihipStream_tbNS1_7vsmem_tEEUlT_E_NS1_11comp_targetILNS1_3genE2ELNS1_11target_archE906ELNS1_3gpuE6ELNS1_3repE0EEENS1_30default_config_static_selectorELNS0_4arch9wavefront6targetE0EEEvSM_: ; @_ZN7rocprim17ROCPRIM_400000_NS6detail17trampoline_kernelINS0_14default_configENS1_37merge_sort_block_sort_config_selectorIlNS0_10empty_typeEEEZNS1_21merge_sort_block_sortIS3_PlS8_PS5_S9_ZN2at6native12_GLOBAL__N_124unique_dim_cuda_templateImEESt5tupleIJNSA_6TensorESF_SF_EERKSF_lbbbEUlllE_EE10hipError_tT0_T1_T2_T3_mRjT4_P12ihipStream_tbNS1_7vsmem_tEEUlT_E_NS1_11comp_targetILNS1_3genE2ELNS1_11target_archE906ELNS1_3gpuE6ELNS1_3repE0EEENS1_30default_config_static_selectorELNS0_4arch9wavefront6targetE0EEEvSM_
; %bb.0:
	.section	.rodata,"a",@progbits
	.p2align	6, 0x0
	.amdhsa_kernel _ZN7rocprim17ROCPRIM_400000_NS6detail17trampoline_kernelINS0_14default_configENS1_37merge_sort_block_sort_config_selectorIlNS0_10empty_typeEEEZNS1_21merge_sort_block_sortIS3_PlS8_PS5_S9_ZN2at6native12_GLOBAL__N_124unique_dim_cuda_templateImEESt5tupleIJNSA_6TensorESF_SF_EERKSF_lbbbEUlllE_EE10hipError_tT0_T1_T2_T3_mRjT4_P12ihipStream_tbNS1_7vsmem_tEEUlT_E_NS1_11comp_targetILNS1_3genE2ELNS1_11target_archE906ELNS1_3gpuE6ELNS1_3repE0EEENS1_30default_config_static_selectorELNS0_4arch9wavefront6targetE0EEEvSM_
		.amdhsa_group_segment_fixed_size 0
		.amdhsa_private_segment_fixed_size 0
		.amdhsa_kernarg_size 72
		.amdhsa_user_sgpr_count 2
		.amdhsa_user_sgpr_dispatch_ptr 0
		.amdhsa_user_sgpr_queue_ptr 0
		.amdhsa_user_sgpr_kernarg_segment_ptr 1
		.amdhsa_user_sgpr_dispatch_id 0
		.amdhsa_user_sgpr_kernarg_preload_length 0
		.amdhsa_user_sgpr_kernarg_preload_offset 0
		.amdhsa_user_sgpr_private_segment_size 0
		.amdhsa_wavefront_size32 1
		.amdhsa_uses_dynamic_stack 0
		.amdhsa_enable_private_segment 0
		.amdhsa_system_sgpr_workgroup_id_x 1
		.amdhsa_system_sgpr_workgroup_id_y 0
		.amdhsa_system_sgpr_workgroup_id_z 0
		.amdhsa_system_sgpr_workgroup_info 0
		.amdhsa_system_vgpr_workitem_id 0
		.amdhsa_next_free_vgpr 1
		.amdhsa_next_free_sgpr 1
		.amdhsa_named_barrier_count 0
		.amdhsa_reserve_vcc 0
		.amdhsa_float_round_mode_32 0
		.amdhsa_float_round_mode_16_64 0
		.amdhsa_float_denorm_mode_32 3
		.amdhsa_float_denorm_mode_16_64 3
		.amdhsa_fp16_overflow 0
		.amdhsa_memory_ordered 1
		.amdhsa_forward_progress 1
		.amdhsa_inst_pref_size 0
		.amdhsa_round_robin_scheduling 0
		.amdhsa_exception_fp_ieee_invalid_op 0
		.amdhsa_exception_fp_denorm_src 0
		.amdhsa_exception_fp_ieee_div_zero 0
		.amdhsa_exception_fp_ieee_overflow 0
		.amdhsa_exception_fp_ieee_underflow 0
		.amdhsa_exception_fp_ieee_inexact 0
		.amdhsa_exception_int_div_zero 0
	.end_amdhsa_kernel
	.section	.text._ZN7rocprim17ROCPRIM_400000_NS6detail17trampoline_kernelINS0_14default_configENS1_37merge_sort_block_sort_config_selectorIlNS0_10empty_typeEEEZNS1_21merge_sort_block_sortIS3_PlS8_PS5_S9_ZN2at6native12_GLOBAL__N_124unique_dim_cuda_templateImEESt5tupleIJNSA_6TensorESF_SF_EERKSF_lbbbEUlllE_EE10hipError_tT0_T1_T2_T3_mRjT4_P12ihipStream_tbNS1_7vsmem_tEEUlT_E_NS1_11comp_targetILNS1_3genE2ELNS1_11target_archE906ELNS1_3gpuE6ELNS1_3repE0EEENS1_30default_config_static_selectorELNS0_4arch9wavefront6targetE0EEEvSM_,"axG",@progbits,_ZN7rocprim17ROCPRIM_400000_NS6detail17trampoline_kernelINS0_14default_configENS1_37merge_sort_block_sort_config_selectorIlNS0_10empty_typeEEEZNS1_21merge_sort_block_sortIS3_PlS8_PS5_S9_ZN2at6native12_GLOBAL__N_124unique_dim_cuda_templateImEESt5tupleIJNSA_6TensorESF_SF_EERKSF_lbbbEUlllE_EE10hipError_tT0_T1_T2_T3_mRjT4_P12ihipStream_tbNS1_7vsmem_tEEUlT_E_NS1_11comp_targetILNS1_3genE2ELNS1_11target_archE906ELNS1_3gpuE6ELNS1_3repE0EEENS1_30default_config_static_selectorELNS0_4arch9wavefront6targetE0EEEvSM_,comdat
.Lfunc_end1609:
	.size	_ZN7rocprim17ROCPRIM_400000_NS6detail17trampoline_kernelINS0_14default_configENS1_37merge_sort_block_sort_config_selectorIlNS0_10empty_typeEEEZNS1_21merge_sort_block_sortIS3_PlS8_PS5_S9_ZN2at6native12_GLOBAL__N_124unique_dim_cuda_templateImEESt5tupleIJNSA_6TensorESF_SF_EERKSF_lbbbEUlllE_EE10hipError_tT0_T1_T2_T3_mRjT4_P12ihipStream_tbNS1_7vsmem_tEEUlT_E_NS1_11comp_targetILNS1_3genE2ELNS1_11target_archE906ELNS1_3gpuE6ELNS1_3repE0EEENS1_30default_config_static_selectorELNS0_4arch9wavefront6targetE0EEEvSM_, .Lfunc_end1609-_ZN7rocprim17ROCPRIM_400000_NS6detail17trampoline_kernelINS0_14default_configENS1_37merge_sort_block_sort_config_selectorIlNS0_10empty_typeEEEZNS1_21merge_sort_block_sortIS3_PlS8_PS5_S9_ZN2at6native12_GLOBAL__N_124unique_dim_cuda_templateImEESt5tupleIJNSA_6TensorESF_SF_EERKSF_lbbbEUlllE_EE10hipError_tT0_T1_T2_T3_mRjT4_P12ihipStream_tbNS1_7vsmem_tEEUlT_E_NS1_11comp_targetILNS1_3genE2ELNS1_11target_archE906ELNS1_3gpuE6ELNS1_3repE0EEENS1_30default_config_static_selectorELNS0_4arch9wavefront6targetE0EEEvSM_
                                        ; -- End function
	.set _ZN7rocprim17ROCPRIM_400000_NS6detail17trampoline_kernelINS0_14default_configENS1_37merge_sort_block_sort_config_selectorIlNS0_10empty_typeEEEZNS1_21merge_sort_block_sortIS3_PlS8_PS5_S9_ZN2at6native12_GLOBAL__N_124unique_dim_cuda_templateImEESt5tupleIJNSA_6TensorESF_SF_EERKSF_lbbbEUlllE_EE10hipError_tT0_T1_T2_T3_mRjT4_P12ihipStream_tbNS1_7vsmem_tEEUlT_E_NS1_11comp_targetILNS1_3genE2ELNS1_11target_archE906ELNS1_3gpuE6ELNS1_3repE0EEENS1_30default_config_static_selectorELNS0_4arch9wavefront6targetE0EEEvSM_.num_vgpr, 0
	.set _ZN7rocprim17ROCPRIM_400000_NS6detail17trampoline_kernelINS0_14default_configENS1_37merge_sort_block_sort_config_selectorIlNS0_10empty_typeEEEZNS1_21merge_sort_block_sortIS3_PlS8_PS5_S9_ZN2at6native12_GLOBAL__N_124unique_dim_cuda_templateImEESt5tupleIJNSA_6TensorESF_SF_EERKSF_lbbbEUlllE_EE10hipError_tT0_T1_T2_T3_mRjT4_P12ihipStream_tbNS1_7vsmem_tEEUlT_E_NS1_11comp_targetILNS1_3genE2ELNS1_11target_archE906ELNS1_3gpuE6ELNS1_3repE0EEENS1_30default_config_static_selectorELNS0_4arch9wavefront6targetE0EEEvSM_.num_agpr, 0
	.set _ZN7rocprim17ROCPRIM_400000_NS6detail17trampoline_kernelINS0_14default_configENS1_37merge_sort_block_sort_config_selectorIlNS0_10empty_typeEEEZNS1_21merge_sort_block_sortIS3_PlS8_PS5_S9_ZN2at6native12_GLOBAL__N_124unique_dim_cuda_templateImEESt5tupleIJNSA_6TensorESF_SF_EERKSF_lbbbEUlllE_EE10hipError_tT0_T1_T2_T3_mRjT4_P12ihipStream_tbNS1_7vsmem_tEEUlT_E_NS1_11comp_targetILNS1_3genE2ELNS1_11target_archE906ELNS1_3gpuE6ELNS1_3repE0EEENS1_30default_config_static_selectorELNS0_4arch9wavefront6targetE0EEEvSM_.numbered_sgpr, 0
	.set _ZN7rocprim17ROCPRIM_400000_NS6detail17trampoline_kernelINS0_14default_configENS1_37merge_sort_block_sort_config_selectorIlNS0_10empty_typeEEEZNS1_21merge_sort_block_sortIS3_PlS8_PS5_S9_ZN2at6native12_GLOBAL__N_124unique_dim_cuda_templateImEESt5tupleIJNSA_6TensorESF_SF_EERKSF_lbbbEUlllE_EE10hipError_tT0_T1_T2_T3_mRjT4_P12ihipStream_tbNS1_7vsmem_tEEUlT_E_NS1_11comp_targetILNS1_3genE2ELNS1_11target_archE906ELNS1_3gpuE6ELNS1_3repE0EEENS1_30default_config_static_selectorELNS0_4arch9wavefront6targetE0EEEvSM_.num_named_barrier, 0
	.set _ZN7rocprim17ROCPRIM_400000_NS6detail17trampoline_kernelINS0_14default_configENS1_37merge_sort_block_sort_config_selectorIlNS0_10empty_typeEEEZNS1_21merge_sort_block_sortIS3_PlS8_PS5_S9_ZN2at6native12_GLOBAL__N_124unique_dim_cuda_templateImEESt5tupleIJNSA_6TensorESF_SF_EERKSF_lbbbEUlllE_EE10hipError_tT0_T1_T2_T3_mRjT4_P12ihipStream_tbNS1_7vsmem_tEEUlT_E_NS1_11comp_targetILNS1_3genE2ELNS1_11target_archE906ELNS1_3gpuE6ELNS1_3repE0EEENS1_30default_config_static_selectorELNS0_4arch9wavefront6targetE0EEEvSM_.private_seg_size, 0
	.set _ZN7rocprim17ROCPRIM_400000_NS6detail17trampoline_kernelINS0_14default_configENS1_37merge_sort_block_sort_config_selectorIlNS0_10empty_typeEEEZNS1_21merge_sort_block_sortIS3_PlS8_PS5_S9_ZN2at6native12_GLOBAL__N_124unique_dim_cuda_templateImEESt5tupleIJNSA_6TensorESF_SF_EERKSF_lbbbEUlllE_EE10hipError_tT0_T1_T2_T3_mRjT4_P12ihipStream_tbNS1_7vsmem_tEEUlT_E_NS1_11comp_targetILNS1_3genE2ELNS1_11target_archE906ELNS1_3gpuE6ELNS1_3repE0EEENS1_30default_config_static_selectorELNS0_4arch9wavefront6targetE0EEEvSM_.uses_vcc, 0
	.set _ZN7rocprim17ROCPRIM_400000_NS6detail17trampoline_kernelINS0_14default_configENS1_37merge_sort_block_sort_config_selectorIlNS0_10empty_typeEEEZNS1_21merge_sort_block_sortIS3_PlS8_PS5_S9_ZN2at6native12_GLOBAL__N_124unique_dim_cuda_templateImEESt5tupleIJNSA_6TensorESF_SF_EERKSF_lbbbEUlllE_EE10hipError_tT0_T1_T2_T3_mRjT4_P12ihipStream_tbNS1_7vsmem_tEEUlT_E_NS1_11comp_targetILNS1_3genE2ELNS1_11target_archE906ELNS1_3gpuE6ELNS1_3repE0EEENS1_30default_config_static_selectorELNS0_4arch9wavefront6targetE0EEEvSM_.uses_flat_scratch, 0
	.set _ZN7rocprim17ROCPRIM_400000_NS6detail17trampoline_kernelINS0_14default_configENS1_37merge_sort_block_sort_config_selectorIlNS0_10empty_typeEEEZNS1_21merge_sort_block_sortIS3_PlS8_PS5_S9_ZN2at6native12_GLOBAL__N_124unique_dim_cuda_templateImEESt5tupleIJNSA_6TensorESF_SF_EERKSF_lbbbEUlllE_EE10hipError_tT0_T1_T2_T3_mRjT4_P12ihipStream_tbNS1_7vsmem_tEEUlT_E_NS1_11comp_targetILNS1_3genE2ELNS1_11target_archE906ELNS1_3gpuE6ELNS1_3repE0EEENS1_30default_config_static_selectorELNS0_4arch9wavefront6targetE0EEEvSM_.has_dyn_sized_stack, 0
	.set _ZN7rocprim17ROCPRIM_400000_NS6detail17trampoline_kernelINS0_14default_configENS1_37merge_sort_block_sort_config_selectorIlNS0_10empty_typeEEEZNS1_21merge_sort_block_sortIS3_PlS8_PS5_S9_ZN2at6native12_GLOBAL__N_124unique_dim_cuda_templateImEESt5tupleIJNSA_6TensorESF_SF_EERKSF_lbbbEUlllE_EE10hipError_tT0_T1_T2_T3_mRjT4_P12ihipStream_tbNS1_7vsmem_tEEUlT_E_NS1_11comp_targetILNS1_3genE2ELNS1_11target_archE906ELNS1_3gpuE6ELNS1_3repE0EEENS1_30default_config_static_selectorELNS0_4arch9wavefront6targetE0EEEvSM_.has_recursion, 0
	.set _ZN7rocprim17ROCPRIM_400000_NS6detail17trampoline_kernelINS0_14default_configENS1_37merge_sort_block_sort_config_selectorIlNS0_10empty_typeEEEZNS1_21merge_sort_block_sortIS3_PlS8_PS5_S9_ZN2at6native12_GLOBAL__N_124unique_dim_cuda_templateImEESt5tupleIJNSA_6TensorESF_SF_EERKSF_lbbbEUlllE_EE10hipError_tT0_T1_T2_T3_mRjT4_P12ihipStream_tbNS1_7vsmem_tEEUlT_E_NS1_11comp_targetILNS1_3genE2ELNS1_11target_archE906ELNS1_3gpuE6ELNS1_3repE0EEENS1_30default_config_static_selectorELNS0_4arch9wavefront6targetE0EEEvSM_.has_indirect_call, 0
	.section	.AMDGPU.csdata,"",@progbits
; Kernel info:
; codeLenInByte = 0
; TotalNumSgprs: 0
; NumVgprs: 0
; ScratchSize: 0
; MemoryBound: 0
; FloatMode: 240
; IeeeMode: 1
; LDSByteSize: 0 bytes/workgroup (compile time only)
; SGPRBlocks: 0
; VGPRBlocks: 0
; NumSGPRsForWavesPerEU: 1
; NumVGPRsForWavesPerEU: 1
; NamedBarCnt: 0
; Occupancy: 16
; WaveLimiterHint : 0
; COMPUTE_PGM_RSRC2:SCRATCH_EN: 0
; COMPUTE_PGM_RSRC2:USER_SGPR: 2
; COMPUTE_PGM_RSRC2:TRAP_HANDLER: 0
; COMPUTE_PGM_RSRC2:TGID_X_EN: 1
; COMPUTE_PGM_RSRC2:TGID_Y_EN: 0
; COMPUTE_PGM_RSRC2:TGID_Z_EN: 0
; COMPUTE_PGM_RSRC2:TIDIG_COMP_CNT: 0
	.section	.text._ZN7rocprim17ROCPRIM_400000_NS6detail17trampoline_kernelINS0_14default_configENS1_37merge_sort_block_sort_config_selectorIlNS0_10empty_typeEEEZNS1_21merge_sort_block_sortIS3_PlS8_PS5_S9_ZN2at6native12_GLOBAL__N_124unique_dim_cuda_templateImEESt5tupleIJNSA_6TensorESF_SF_EERKSF_lbbbEUlllE_EE10hipError_tT0_T1_T2_T3_mRjT4_P12ihipStream_tbNS1_7vsmem_tEEUlT_E_NS1_11comp_targetILNS1_3genE10ELNS1_11target_archE1201ELNS1_3gpuE5ELNS1_3repE0EEENS1_30default_config_static_selectorELNS0_4arch9wavefront6targetE0EEEvSM_,"axG",@progbits,_ZN7rocprim17ROCPRIM_400000_NS6detail17trampoline_kernelINS0_14default_configENS1_37merge_sort_block_sort_config_selectorIlNS0_10empty_typeEEEZNS1_21merge_sort_block_sortIS3_PlS8_PS5_S9_ZN2at6native12_GLOBAL__N_124unique_dim_cuda_templateImEESt5tupleIJNSA_6TensorESF_SF_EERKSF_lbbbEUlllE_EE10hipError_tT0_T1_T2_T3_mRjT4_P12ihipStream_tbNS1_7vsmem_tEEUlT_E_NS1_11comp_targetILNS1_3genE10ELNS1_11target_archE1201ELNS1_3gpuE5ELNS1_3repE0EEENS1_30default_config_static_selectorELNS0_4arch9wavefront6targetE0EEEvSM_,comdat
	.globl	_ZN7rocprim17ROCPRIM_400000_NS6detail17trampoline_kernelINS0_14default_configENS1_37merge_sort_block_sort_config_selectorIlNS0_10empty_typeEEEZNS1_21merge_sort_block_sortIS3_PlS8_PS5_S9_ZN2at6native12_GLOBAL__N_124unique_dim_cuda_templateImEESt5tupleIJNSA_6TensorESF_SF_EERKSF_lbbbEUlllE_EE10hipError_tT0_T1_T2_T3_mRjT4_P12ihipStream_tbNS1_7vsmem_tEEUlT_E_NS1_11comp_targetILNS1_3genE10ELNS1_11target_archE1201ELNS1_3gpuE5ELNS1_3repE0EEENS1_30default_config_static_selectorELNS0_4arch9wavefront6targetE0EEEvSM_ ; -- Begin function _ZN7rocprim17ROCPRIM_400000_NS6detail17trampoline_kernelINS0_14default_configENS1_37merge_sort_block_sort_config_selectorIlNS0_10empty_typeEEEZNS1_21merge_sort_block_sortIS3_PlS8_PS5_S9_ZN2at6native12_GLOBAL__N_124unique_dim_cuda_templateImEESt5tupleIJNSA_6TensorESF_SF_EERKSF_lbbbEUlllE_EE10hipError_tT0_T1_T2_T3_mRjT4_P12ihipStream_tbNS1_7vsmem_tEEUlT_E_NS1_11comp_targetILNS1_3genE10ELNS1_11target_archE1201ELNS1_3gpuE5ELNS1_3repE0EEENS1_30default_config_static_selectorELNS0_4arch9wavefront6targetE0EEEvSM_
	.p2align	8
	.type	_ZN7rocprim17ROCPRIM_400000_NS6detail17trampoline_kernelINS0_14default_configENS1_37merge_sort_block_sort_config_selectorIlNS0_10empty_typeEEEZNS1_21merge_sort_block_sortIS3_PlS8_PS5_S9_ZN2at6native12_GLOBAL__N_124unique_dim_cuda_templateImEESt5tupleIJNSA_6TensorESF_SF_EERKSF_lbbbEUlllE_EE10hipError_tT0_T1_T2_T3_mRjT4_P12ihipStream_tbNS1_7vsmem_tEEUlT_E_NS1_11comp_targetILNS1_3genE10ELNS1_11target_archE1201ELNS1_3gpuE5ELNS1_3repE0EEENS1_30default_config_static_selectorELNS0_4arch9wavefront6targetE0EEEvSM_,@function
_ZN7rocprim17ROCPRIM_400000_NS6detail17trampoline_kernelINS0_14default_configENS1_37merge_sort_block_sort_config_selectorIlNS0_10empty_typeEEEZNS1_21merge_sort_block_sortIS3_PlS8_PS5_S9_ZN2at6native12_GLOBAL__N_124unique_dim_cuda_templateImEESt5tupleIJNSA_6TensorESF_SF_EERKSF_lbbbEUlllE_EE10hipError_tT0_T1_T2_T3_mRjT4_P12ihipStream_tbNS1_7vsmem_tEEUlT_E_NS1_11comp_targetILNS1_3genE10ELNS1_11target_archE1201ELNS1_3gpuE5ELNS1_3repE0EEENS1_30default_config_static_selectorELNS0_4arch9wavefront6targetE0EEEvSM_: ; @_ZN7rocprim17ROCPRIM_400000_NS6detail17trampoline_kernelINS0_14default_configENS1_37merge_sort_block_sort_config_selectorIlNS0_10empty_typeEEEZNS1_21merge_sort_block_sortIS3_PlS8_PS5_S9_ZN2at6native12_GLOBAL__N_124unique_dim_cuda_templateImEESt5tupleIJNSA_6TensorESF_SF_EERKSF_lbbbEUlllE_EE10hipError_tT0_T1_T2_T3_mRjT4_P12ihipStream_tbNS1_7vsmem_tEEUlT_E_NS1_11comp_targetILNS1_3genE10ELNS1_11target_archE1201ELNS1_3gpuE5ELNS1_3repE0EEENS1_30default_config_static_selectorELNS0_4arch9wavefront6targetE0EEEvSM_
; %bb.0:
	.section	.rodata,"a",@progbits
	.p2align	6, 0x0
	.amdhsa_kernel _ZN7rocprim17ROCPRIM_400000_NS6detail17trampoline_kernelINS0_14default_configENS1_37merge_sort_block_sort_config_selectorIlNS0_10empty_typeEEEZNS1_21merge_sort_block_sortIS3_PlS8_PS5_S9_ZN2at6native12_GLOBAL__N_124unique_dim_cuda_templateImEESt5tupleIJNSA_6TensorESF_SF_EERKSF_lbbbEUlllE_EE10hipError_tT0_T1_T2_T3_mRjT4_P12ihipStream_tbNS1_7vsmem_tEEUlT_E_NS1_11comp_targetILNS1_3genE10ELNS1_11target_archE1201ELNS1_3gpuE5ELNS1_3repE0EEENS1_30default_config_static_selectorELNS0_4arch9wavefront6targetE0EEEvSM_
		.amdhsa_group_segment_fixed_size 0
		.amdhsa_private_segment_fixed_size 0
		.amdhsa_kernarg_size 72
		.amdhsa_user_sgpr_count 2
		.amdhsa_user_sgpr_dispatch_ptr 0
		.amdhsa_user_sgpr_queue_ptr 0
		.amdhsa_user_sgpr_kernarg_segment_ptr 1
		.amdhsa_user_sgpr_dispatch_id 0
		.amdhsa_user_sgpr_kernarg_preload_length 0
		.amdhsa_user_sgpr_kernarg_preload_offset 0
		.amdhsa_user_sgpr_private_segment_size 0
		.amdhsa_wavefront_size32 1
		.amdhsa_uses_dynamic_stack 0
		.amdhsa_enable_private_segment 0
		.amdhsa_system_sgpr_workgroup_id_x 1
		.amdhsa_system_sgpr_workgroup_id_y 0
		.amdhsa_system_sgpr_workgroup_id_z 0
		.amdhsa_system_sgpr_workgroup_info 0
		.amdhsa_system_vgpr_workitem_id 0
		.amdhsa_next_free_vgpr 1
		.amdhsa_next_free_sgpr 1
		.amdhsa_named_barrier_count 0
		.amdhsa_reserve_vcc 0
		.amdhsa_float_round_mode_32 0
		.amdhsa_float_round_mode_16_64 0
		.amdhsa_float_denorm_mode_32 3
		.amdhsa_float_denorm_mode_16_64 3
		.amdhsa_fp16_overflow 0
		.amdhsa_memory_ordered 1
		.amdhsa_forward_progress 1
		.amdhsa_inst_pref_size 0
		.amdhsa_round_robin_scheduling 0
		.amdhsa_exception_fp_ieee_invalid_op 0
		.amdhsa_exception_fp_denorm_src 0
		.amdhsa_exception_fp_ieee_div_zero 0
		.amdhsa_exception_fp_ieee_overflow 0
		.amdhsa_exception_fp_ieee_underflow 0
		.amdhsa_exception_fp_ieee_inexact 0
		.amdhsa_exception_int_div_zero 0
	.end_amdhsa_kernel
	.section	.text._ZN7rocprim17ROCPRIM_400000_NS6detail17trampoline_kernelINS0_14default_configENS1_37merge_sort_block_sort_config_selectorIlNS0_10empty_typeEEEZNS1_21merge_sort_block_sortIS3_PlS8_PS5_S9_ZN2at6native12_GLOBAL__N_124unique_dim_cuda_templateImEESt5tupleIJNSA_6TensorESF_SF_EERKSF_lbbbEUlllE_EE10hipError_tT0_T1_T2_T3_mRjT4_P12ihipStream_tbNS1_7vsmem_tEEUlT_E_NS1_11comp_targetILNS1_3genE10ELNS1_11target_archE1201ELNS1_3gpuE5ELNS1_3repE0EEENS1_30default_config_static_selectorELNS0_4arch9wavefront6targetE0EEEvSM_,"axG",@progbits,_ZN7rocprim17ROCPRIM_400000_NS6detail17trampoline_kernelINS0_14default_configENS1_37merge_sort_block_sort_config_selectorIlNS0_10empty_typeEEEZNS1_21merge_sort_block_sortIS3_PlS8_PS5_S9_ZN2at6native12_GLOBAL__N_124unique_dim_cuda_templateImEESt5tupleIJNSA_6TensorESF_SF_EERKSF_lbbbEUlllE_EE10hipError_tT0_T1_T2_T3_mRjT4_P12ihipStream_tbNS1_7vsmem_tEEUlT_E_NS1_11comp_targetILNS1_3genE10ELNS1_11target_archE1201ELNS1_3gpuE5ELNS1_3repE0EEENS1_30default_config_static_selectorELNS0_4arch9wavefront6targetE0EEEvSM_,comdat
.Lfunc_end1610:
	.size	_ZN7rocprim17ROCPRIM_400000_NS6detail17trampoline_kernelINS0_14default_configENS1_37merge_sort_block_sort_config_selectorIlNS0_10empty_typeEEEZNS1_21merge_sort_block_sortIS3_PlS8_PS5_S9_ZN2at6native12_GLOBAL__N_124unique_dim_cuda_templateImEESt5tupleIJNSA_6TensorESF_SF_EERKSF_lbbbEUlllE_EE10hipError_tT0_T1_T2_T3_mRjT4_P12ihipStream_tbNS1_7vsmem_tEEUlT_E_NS1_11comp_targetILNS1_3genE10ELNS1_11target_archE1201ELNS1_3gpuE5ELNS1_3repE0EEENS1_30default_config_static_selectorELNS0_4arch9wavefront6targetE0EEEvSM_, .Lfunc_end1610-_ZN7rocprim17ROCPRIM_400000_NS6detail17trampoline_kernelINS0_14default_configENS1_37merge_sort_block_sort_config_selectorIlNS0_10empty_typeEEEZNS1_21merge_sort_block_sortIS3_PlS8_PS5_S9_ZN2at6native12_GLOBAL__N_124unique_dim_cuda_templateImEESt5tupleIJNSA_6TensorESF_SF_EERKSF_lbbbEUlllE_EE10hipError_tT0_T1_T2_T3_mRjT4_P12ihipStream_tbNS1_7vsmem_tEEUlT_E_NS1_11comp_targetILNS1_3genE10ELNS1_11target_archE1201ELNS1_3gpuE5ELNS1_3repE0EEENS1_30default_config_static_selectorELNS0_4arch9wavefront6targetE0EEEvSM_
                                        ; -- End function
	.set _ZN7rocprim17ROCPRIM_400000_NS6detail17trampoline_kernelINS0_14default_configENS1_37merge_sort_block_sort_config_selectorIlNS0_10empty_typeEEEZNS1_21merge_sort_block_sortIS3_PlS8_PS5_S9_ZN2at6native12_GLOBAL__N_124unique_dim_cuda_templateImEESt5tupleIJNSA_6TensorESF_SF_EERKSF_lbbbEUlllE_EE10hipError_tT0_T1_T2_T3_mRjT4_P12ihipStream_tbNS1_7vsmem_tEEUlT_E_NS1_11comp_targetILNS1_3genE10ELNS1_11target_archE1201ELNS1_3gpuE5ELNS1_3repE0EEENS1_30default_config_static_selectorELNS0_4arch9wavefront6targetE0EEEvSM_.num_vgpr, 0
	.set _ZN7rocprim17ROCPRIM_400000_NS6detail17trampoline_kernelINS0_14default_configENS1_37merge_sort_block_sort_config_selectorIlNS0_10empty_typeEEEZNS1_21merge_sort_block_sortIS3_PlS8_PS5_S9_ZN2at6native12_GLOBAL__N_124unique_dim_cuda_templateImEESt5tupleIJNSA_6TensorESF_SF_EERKSF_lbbbEUlllE_EE10hipError_tT0_T1_T2_T3_mRjT4_P12ihipStream_tbNS1_7vsmem_tEEUlT_E_NS1_11comp_targetILNS1_3genE10ELNS1_11target_archE1201ELNS1_3gpuE5ELNS1_3repE0EEENS1_30default_config_static_selectorELNS0_4arch9wavefront6targetE0EEEvSM_.num_agpr, 0
	.set _ZN7rocprim17ROCPRIM_400000_NS6detail17trampoline_kernelINS0_14default_configENS1_37merge_sort_block_sort_config_selectorIlNS0_10empty_typeEEEZNS1_21merge_sort_block_sortIS3_PlS8_PS5_S9_ZN2at6native12_GLOBAL__N_124unique_dim_cuda_templateImEESt5tupleIJNSA_6TensorESF_SF_EERKSF_lbbbEUlllE_EE10hipError_tT0_T1_T2_T3_mRjT4_P12ihipStream_tbNS1_7vsmem_tEEUlT_E_NS1_11comp_targetILNS1_3genE10ELNS1_11target_archE1201ELNS1_3gpuE5ELNS1_3repE0EEENS1_30default_config_static_selectorELNS0_4arch9wavefront6targetE0EEEvSM_.numbered_sgpr, 0
	.set _ZN7rocprim17ROCPRIM_400000_NS6detail17trampoline_kernelINS0_14default_configENS1_37merge_sort_block_sort_config_selectorIlNS0_10empty_typeEEEZNS1_21merge_sort_block_sortIS3_PlS8_PS5_S9_ZN2at6native12_GLOBAL__N_124unique_dim_cuda_templateImEESt5tupleIJNSA_6TensorESF_SF_EERKSF_lbbbEUlllE_EE10hipError_tT0_T1_T2_T3_mRjT4_P12ihipStream_tbNS1_7vsmem_tEEUlT_E_NS1_11comp_targetILNS1_3genE10ELNS1_11target_archE1201ELNS1_3gpuE5ELNS1_3repE0EEENS1_30default_config_static_selectorELNS0_4arch9wavefront6targetE0EEEvSM_.num_named_barrier, 0
	.set _ZN7rocprim17ROCPRIM_400000_NS6detail17trampoline_kernelINS0_14default_configENS1_37merge_sort_block_sort_config_selectorIlNS0_10empty_typeEEEZNS1_21merge_sort_block_sortIS3_PlS8_PS5_S9_ZN2at6native12_GLOBAL__N_124unique_dim_cuda_templateImEESt5tupleIJNSA_6TensorESF_SF_EERKSF_lbbbEUlllE_EE10hipError_tT0_T1_T2_T3_mRjT4_P12ihipStream_tbNS1_7vsmem_tEEUlT_E_NS1_11comp_targetILNS1_3genE10ELNS1_11target_archE1201ELNS1_3gpuE5ELNS1_3repE0EEENS1_30default_config_static_selectorELNS0_4arch9wavefront6targetE0EEEvSM_.private_seg_size, 0
	.set _ZN7rocprim17ROCPRIM_400000_NS6detail17trampoline_kernelINS0_14default_configENS1_37merge_sort_block_sort_config_selectorIlNS0_10empty_typeEEEZNS1_21merge_sort_block_sortIS3_PlS8_PS5_S9_ZN2at6native12_GLOBAL__N_124unique_dim_cuda_templateImEESt5tupleIJNSA_6TensorESF_SF_EERKSF_lbbbEUlllE_EE10hipError_tT0_T1_T2_T3_mRjT4_P12ihipStream_tbNS1_7vsmem_tEEUlT_E_NS1_11comp_targetILNS1_3genE10ELNS1_11target_archE1201ELNS1_3gpuE5ELNS1_3repE0EEENS1_30default_config_static_selectorELNS0_4arch9wavefront6targetE0EEEvSM_.uses_vcc, 0
	.set _ZN7rocprim17ROCPRIM_400000_NS6detail17trampoline_kernelINS0_14default_configENS1_37merge_sort_block_sort_config_selectorIlNS0_10empty_typeEEEZNS1_21merge_sort_block_sortIS3_PlS8_PS5_S9_ZN2at6native12_GLOBAL__N_124unique_dim_cuda_templateImEESt5tupleIJNSA_6TensorESF_SF_EERKSF_lbbbEUlllE_EE10hipError_tT0_T1_T2_T3_mRjT4_P12ihipStream_tbNS1_7vsmem_tEEUlT_E_NS1_11comp_targetILNS1_3genE10ELNS1_11target_archE1201ELNS1_3gpuE5ELNS1_3repE0EEENS1_30default_config_static_selectorELNS0_4arch9wavefront6targetE0EEEvSM_.uses_flat_scratch, 0
	.set _ZN7rocprim17ROCPRIM_400000_NS6detail17trampoline_kernelINS0_14default_configENS1_37merge_sort_block_sort_config_selectorIlNS0_10empty_typeEEEZNS1_21merge_sort_block_sortIS3_PlS8_PS5_S9_ZN2at6native12_GLOBAL__N_124unique_dim_cuda_templateImEESt5tupleIJNSA_6TensorESF_SF_EERKSF_lbbbEUlllE_EE10hipError_tT0_T1_T2_T3_mRjT4_P12ihipStream_tbNS1_7vsmem_tEEUlT_E_NS1_11comp_targetILNS1_3genE10ELNS1_11target_archE1201ELNS1_3gpuE5ELNS1_3repE0EEENS1_30default_config_static_selectorELNS0_4arch9wavefront6targetE0EEEvSM_.has_dyn_sized_stack, 0
	.set _ZN7rocprim17ROCPRIM_400000_NS6detail17trampoline_kernelINS0_14default_configENS1_37merge_sort_block_sort_config_selectorIlNS0_10empty_typeEEEZNS1_21merge_sort_block_sortIS3_PlS8_PS5_S9_ZN2at6native12_GLOBAL__N_124unique_dim_cuda_templateImEESt5tupleIJNSA_6TensorESF_SF_EERKSF_lbbbEUlllE_EE10hipError_tT0_T1_T2_T3_mRjT4_P12ihipStream_tbNS1_7vsmem_tEEUlT_E_NS1_11comp_targetILNS1_3genE10ELNS1_11target_archE1201ELNS1_3gpuE5ELNS1_3repE0EEENS1_30default_config_static_selectorELNS0_4arch9wavefront6targetE0EEEvSM_.has_recursion, 0
	.set _ZN7rocprim17ROCPRIM_400000_NS6detail17trampoline_kernelINS0_14default_configENS1_37merge_sort_block_sort_config_selectorIlNS0_10empty_typeEEEZNS1_21merge_sort_block_sortIS3_PlS8_PS5_S9_ZN2at6native12_GLOBAL__N_124unique_dim_cuda_templateImEESt5tupleIJNSA_6TensorESF_SF_EERKSF_lbbbEUlllE_EE10hipError_tT0_T1_T2_T3_mRjT4_P12ihipStream_tbNS1_7vsmem_tEEUlT_E_NS1_11comp_targetILNS1_3genE10ELNS1_11target_archE1201ELNS1_3gpuE5ELNS1_3repE0EEENS1_30default_config_static_selectorELNS0_4arch9wavefront6targetE0EEEvSM_.has_indirect_call, 0
	.section	.AMDGPU.csdata,"",@progbits
; Kernel info:
; codeLenInByte = 0
; TotalNumSgprs: 0
; NumVgprs: 0
; ScratchSize: 0
; MemoryBound: 0
; FloatMode: 240
; IeeeMode: 1
; LDSByteSize: 0 bytes/workgroup (compile time only)
; SGPRBlocks: 0
; VGPRBlocks: 0
; NumSGPRsForWavesPerEU: 1
; NumVGPRsForWavesPerEU: 1
; NamedBarCnt: 0
; Occupancy: 16
; WaveLimiterHint : 0
; COMPUTE_PGM_RSRC2:SCRATCH_EN: 0
; COMPUTE_PGM_RSRC2:USER_SGPR: 2
; COMPUTE_PGM_RSRC2:TRAP_HANDLER: 0
; COMPUTE_PGM_RSRC2:TGID_X_EN: 1
; COMPUTE_PGM_RSRC2:TGID_Y_EN: 0
; COMPUTE_PGM_RSRC2:TGID_Z_EN: 0
; COMPUTE_PGM_RSRC2:TIDIG_COMP_CNT: 0
	.section	.text._ZN7rocprim17ROCPRIM_400000_NS6detail17trampoline_kernelINS0_14default_configENS1_37merge_sort_block_sort_config_selectorIlNS0_10empty_typeEEEZNS1_21merge_sort_block_sortIS3_PlS8_PS5_S9_ZN2at6native12_GLOBAL__N_124unique_dim_cuda_templateImEESt5tupleIJNSA_6TensorESF_SF_EERKSF_lbbbEUlllE_EE10hipError_tT0_T1_T2_T3_mRjT4_P12ihipStream_tbNS1_7vsmem_tEEUlT_E_NS1_11comp_targetILNS1_3genE10ELNS1_11target_archE1200ELNS1_3gpuE4ELNS1_3repE0EEENS1_30default_config_static_selectorELNS0_4arch9wavefront6targetE0EEEvSM_,"axG",@progbits,_ZN7rocprim17ROCPRIM_400000_NS6detail17trampoline_kernelINS0_14default_configENS1_37merge_sort_block_sort_config_selectorIlNS0_10empty_typeEEEZNS1_21merge_sort_block_sortIS3_PlS8_PS5_S9_ZN2at6native12_GLOBAL__N_124unique_dim_cuda_templateImEESt5tupleIJNSA_6TensorESF_SF_EERKSF_lbbbEUlllE_EE10hipError_tT0_T1_T2_T3_mRjT4_P12ihipStream_tbNS1_7vsmem_tEEUlT_E_NS1_11comp_targetILNS1_3genE10ELNS1_11target_archE1200ELNS1_3gpuE4ELNS1_3repE0EEENS1_30default_config_static_selectorELNS0_4arch9wavefront6targetE0EEEvSM_,comdat
	.globl	_ZN7rocprim17ROCPRIM_400000_NS6detail17trampoline_kernelINS0_14default_configENS1_37merge_sort_block_sort_config_selectorIlNS0_10empty_typeEEEZNS1_21merge_sort_block_sortIS3_PlS8_PS5_S9_ZN2at6native12_GLOBAL__N_124unique_dim_cuda_templateImEESt5tupleIJNSA_6TensorESF_SF_EERKSF_lbbbEUlllE_EE10hipError_tT0_T1_T2_T3_mRjT4_P12ihipStream_tbNS1_7vsmem_tEEUlT_E_NS1_11comp_targetILNS1_3genE10ELNS1_11target_archE1200ELNS1_3gpuE4ELNS1_3repE0EEENS1_30default_config_static_selectorELNS0_4arch9wavefront6targetE0EEEvSM_ ; -- Begin function _ZN7rocprim17ROCPRIM_400000_NS6detail17trampoline_kernelINS0_14default_configENS1_37merge_sort_block_sort_config_selectorIlNS0_10empty_typeEEEZNS1_21merge_sort_block_sortIS3_PlS8_PS5_S9_ZN2at6native12_GLOBAL__N_124unique_dim_cuda_templateImEESt5tupleIJNSA_6TensorESF_SF_EERKSF_lbbbEUlllE_EE10hipError_tT0_T1_T2_T3_mRjT4_P12ihipStream_tbNS1_7vsmem_tEEUlT_E_NS1_11comp_targetILNS1_3genE10ELNS1_11target_archE1200ELNS1_3gpuE4ELNS1_3repE0EEENS1_30default_config_static_selectorELNS0_4arch9wavefront6targetE0EEEvSM_
	.p2align	8
	.type	_ZN7rocprim17ROCPRIM_400000_NS6detail17trampoline_kernelINS0_14default_configENS1_37merge_sort_block_sort_config_selectorIlNS0_10empty_typeEEEZNS1_21merge_sort_block_sortIS3_PlS8_PS5_S9_ZN2at6native12_GLOBAL__N_124unique_dim_cuda_templateImEESt5tupleIJNSA_6TensorESF_SF_EERKSF_lbbbEUlllE_EE10hipError_tT0_T1_T2_T3_mRjT4_P12ihipStream_tbNS1_7vsmem_tEEUlT_E_NS1_11comp_targetILNS1_3genE10ELNS1_11target_archE1200ELNS1_3gpuE4ELNS1_3repE0EEENS1_30default_config_static_selectorELNS0_4arch9wavefront6targetE0EEEvSM_,@function
_ZN7rocprim17ROCPRIM_400000_NS6detail17trampoline_kernelINS0_14default_configENS1_37merge_sort_block_sort_config_selectorIlNS0_10empty_typeEEEZNS1_21merge_sort_block_sortIS3_PlS8_PS5_S9_ZN2at6native12_GLOBAL__N_124unique_dim_cuda_templateImEESt5tupleIJNSA_6TensorESF_SF_EERKSF_lbbbEUlllE_EE10hipError_tT0_T1_T2_T3_mRjT4_P12ihipStream_tbNS1_7vsmem_tEEUlT_E_NS1_11comp_targetILNS1_3genE10ELNS1_11target_archE1200ELNS1_3gpuE4ELNS1_3repE0EEENS1_30default_config_static_selectorELNS0_4arch9wavefront6targetE0EEEvSM_: ; @_ZN7rocprim17ROCPRIM_400000_NS6detail17trampoline_kernelINS0_14default_configENS1_37merge_sort_block_sort_config_selectorIlNS0_10empty_typeEEEZNS1_21merge_sort_block_sortIS3_PlS8_PS5_S9_ZN2at6native12_GLOBAL__N_124unique_dim_cuda_templateImEESt5tupleIJNSA_6TensorESF_SF_EERKSF_lbbbEUlllE_EE10hipError_tT0_T1_T2_T3_mRjT4_P12ihipStream_tbNS1_7vsmem_tEEUlT_E_NS1_11comp_targetILNS1_3genE10ELNS1_11target_archE1200ELNS1_3gpuE4ELNS1_3repE0EEENS1_30default_config_static_selectorELNS0_4arch9wavefront6targetE0EEEvSM_
; %bb.0:
	.section	.rodata,"a",@progbits
	.p2align	6, 0x0
	.amdhsa_kernel _ZN7rocprim17ROCPRIM_400000_NS6detail17trampoline_kernelINS0_14default_configENS1_37merge_sort_block_sort_config_selectorIlNS0_10empty_typeEEEZNS1_21merge_sort_block_sortIS3_PlS8_PS5_S9_ZN2at6native12_GLOBAL__N_124unique_dim_cuda_templateImEESt5tupleIJNSA_6TensorESF_SF_EERKSF_lbbbEUlllE_EE10hipError_tT0_T1_T2_T3_mRjT4_P12ihipStream_tbNS1_7vsmem_tEEUlT_E_NS1_11comp_targetILNS1_3genE10ELNS1_11target_archE1200ELNS1_3gpuE4ELNS1_3repE0EEENS1_30default_config_static_selectorELNS0_4arch9wavefront6targetE0EEEvSM_
		.amdhsa_group_segment_fixed_size 0
		.amdhsa_private_segment_fixed_size 0
		.amdhsa_kernarg_size 72
		.amdhsa_user_sgpr_count 2
		.amdhsa_user_sgpr_dispatch_ptr 0
		.amdhsa_user_sgpr_queue_ptr 0
		.amdhsa_user_sgpr_kernarg_segment_ptr 1
		.amdhsa_user_sgpr_dispatch_id 0
		.amdhsa_user_sgpr_kernarg_preload_length 0
		.amdhsa_user_sgpr_kernarg_preload_offset 0
		.amdhsa_user_sgpr_private_segment_size 0
		.amdhsa_wavefront_size32 1
		.amdhsa_uses_dynamic_stack 0
		.amdhsa_enable_private_segment 0
		.amdhsa_system_sgpr_workgroup_id_x 1
		.amdhsa_system_sgpr_workgroup_id_y 0
		.amdhsa_system_sgpr_workgroup_id_z 0
		.amdhsa_system_sgpr_workgroup_info 0
		.amdhsa_system_vgpr_workitem_id 0
		.amdhsa_next_free_vgpr 1
		.amdhsa_next_free_sgpr 1
		.amdhsa_named_barrier_count 0
		.amdhsa_reserve_vcc 0
		.amdhsa_float_round_mode_32 0
		.amdhsa_float_round_mode_16_64 0
		.amdhsa_float_denorm_mode_32 3
		.amdhsa_float_denorm_mode_16_64 3
		.amdhsa_fp16_overflow 0
		.amdhsa_memory_ordered 1
		.amdhsa_forward_progress 1
		.amdhsa_inst_pref_size 0
		.amdhsa_round_robin_scheduling 0
		.amdhsa_exception_fp_ieee_invalid_op 0
		.amdhsa_exception_fp_denorm_src 0
		.amdhsa_exception_fp_ieee_div_zero 0
		.amdhsa_exception_fp_ieee_overflow 0
		.amdhsa_exception_fp_ieee_underflow 0
		.amdhsa_exception_fp_ieee_inexact 0
		.amdhsa_exception_int_div_zero 0
	.end_amdhsa_kernel
	.section	.text._ZN7rocprim17ROCPRIM_400000_NS6detail17trampoline_kernelINS0_14default_configENS1_37merge_sort_block_sort_config_selectorIlNS0_10empty_typeEEEZNS1_21merge_sort_block_sortIS3_PlS8_PS5_S9_ZN2at6native12_GLOBAL__N_124unique_dim_cuda_templateImEESt5tupleIJNSA_6TensorESF_SF_EERKSF_lbbbEUlllE_EE10hipError_tT0_T1_T2_T3_mRjT4_P12ihipStream_tbNS1_7vsmem_tEEUlT_E_NS1_11comp_targetILNS1_3genE10ELNS1_11target_archE1200ELNS1_3gpuE4ELNS1_3repE0EEENS1_30default_config_static_selectorELNS0_4arch9wavefront6targetE0EEEvSM_,"axG",@progbits,_ZN7rocprim17ROCPRIM_400000_NS6detail17trampoline_kernelINS0_14default_configENS1_37merge_sort_block_sort_config_selectorIlNS0_10empty_typeEEEZNS1_21merge_sort_block_sortIS3_PlS8_PS5_S9_ZN2at6native12_GLOBAL__N_124unique_dim_cuda_templateImEESt5tupleIJNSA_6TensorESF_SF_EERKSF_lbbbEUlllE_EE10hipError_tT0_T1_T2_T3_mRjT4_P12ihipStream_tbNS1_7vsmem_tEEUlT_E_NS1_11comp_targetILNS1_3genE10ELNS1_11target_archE1200ELNS1_3gpuE4ELNS1_3repE0EEENS1_30default_config_static_selectorELNS0_4arch9wavefront6targetE0EEEvSM_,comdat
.Lfunc_end1611:
	.size	_ZN7rocprim17ROCPRIM_400000_NS6detail17trampoline_kernelINS0_14default_configENS1_37merge_sort_block_sort_config_selectorIlNS0_10empty_typeEEEZNS1_21merge_sort_block_sortIS3_PlS8_PS5_S9_ZN2at6native12_GLOBAL__N_124unique_dim_cuda_templateImEESt5tupleIJNSA_6TensorESF_SF_EERKSF_lbbbEUlllE_EE10hipError_tT0_T1_T2_T3_mRjT4_P12ihipStream_tbNS1_7vsmem_tEEUlT_E_NS1_11comp_targetILNS1_3genE10ELNS1_11target_archE1200ELNS1_3gpuE4ELNS1_3repE0EEENS1_30default_config_static_selectorELNS0_4arch9wavefront6targetE0EEEvSM_, .Lfunc_end1611-_ZN7rocprim17ROCPRIM_400000_NS6detail17trampoline_kernelINS0_14default_configENS1_37merge_sort_block_sort_config_selectorIlNS0_10empty_typeEEEZNS1_21merge_sort_block_sortIS3_PlS8_PS5_S9_ZN2at6native12_GLOBAL__N_124unique_dim_cuda_templateImEESt5tupleIJNSA_6TensorESF_SF_EERKSF_lbbbEUlllE_EE10hipError_tT0_T1_T2_T3_mRjT4_P12ihipStream_tbNS1_7vsmem_tEEUlT_E_NS1_11comp_targetILNS1_3genE10ELNS1_11target_archE1200ELNS1_3gpuE4ELNS1_3repE0EEENS1_30default_config_static_selectorELNS0_4arch9wavefront6targetE0EEEvSM_
                                        ; -- End function
	.set _ZN7rocprim17ROCPRIM_400000_NS6detail17trampoline_kernelINS0_14default_configENS1_37merge_sort_block_sort_config_selectorIlNS0_10empty_typeEEEZNS1_21merge_sort_block_sortIS3_PlS8_PS5_S9_ZN2at6native12_GLOBAL__N_124unique_dim_cuda_templateImEESt5tupleIJNSA_6TensorESF_SF_EERKSF_lbbbEUlllE_EE10hipError_tT0_T1_T2_T3_mRjT4_P12ihipStream_tbNS1_7vsmem_tEEUlT_E_NS1_11comp_targetILNS1_3genE10ELNS1_11target_archE1200ELNS1_3gpuE4ELNS1_3repE0EEENS1_30default_config_static_selectorELNS0_4arch9wavefront6targetE0EEEvSM_.num_vgpr, 0
	.set _ZN7rocprim17ROCPRIM_400000_NS6detail17trampoline_kernelINS0_14default_configENS1_37merge_sort_block_sort_config_selectorIlNS0_10empty_typeEEEZNS1_21merge_sort_block_sortIS3_PlS8_PS5_S9_ZN2at6native12_GLOBAL__N_124unique_dim_cuda_templateImEESt5tupleIJNSA_6TensorESF_SF_EERKSF_lbbbEUlllE_EE10hipError_tT0_T1_T2_T3_mRjT4_P12ihipStream_tbNS1_7vsmem_tEEUlT_E_NS1_11comp_targetILNS1_3genE10ELNS1_11target_archE1200ELNS1_3gpuE4ELNS1_3repE0EEENS1_30default_config_static_selectorELNS0_4arch9wavefront6targetE0EEEvSM_.num_agpr, 0
	.set _ZN7rocprim17ROCPRIM_400000_NS6detail17trampoline_kernelINS0_14default_configENS1_37merge_sort_block_sort_config_selectorIlNS0_10empty_typeEEEZNS1_21merge_sort_block_sortIS3_PlS8_PS5_S9_ZN2at6native12_GLOBAL__N_124unique_dim_cuda_templateImEESt5tupleIJNSA_6TensorESF_SF_EERKSF_lbbbEUlllE_EE10hipError_tT0_T1_T2_T3_mRjT4_P12ihipStream_tbNS1_7vsmem_tEEUlT_E_NS1_11comp_targetILNS1_3genE10ELNS1_11target_archE1200ELNS1_3gpuE4ELNS1_3repE0EEENS1_30default_config_static_selectorELNS0_4arch9wavefront6targetE0EEEvSM_.numbered_sgpr, 0
	.set _ZN7rocprim17ROCPRIM_400000_NS6detail17trampoline_kernelINS0_14default_configENS1_37merge_sort_block_sort_config_selectorIlNS0_10empty_typeEEEZNS1_21merge_sort_block_sortIS3_PlS8_PS5_S9_ZN2at6native12_GLOBAL__N_124unique_dim_cuda_templateImEESt5tupleIJNSA_6TensorESF_SF_EERKSF_lbbbEUlllE_EE10hipError_tT0_T1_T2_T3_mRjT4_P12ihipStream_tbNS1_7vsmem_tEEUlT_E_NS1_11comp_targetILNS1_3genE10ELNS1_11target_archE1200ELNS1_3gpuE4ELNS1_3repE0EEENS1_30default_config_static_selectorELNS0_4arch9wavefront6targetE0EEEvSM_.num_named_barrier, 0
	.set _ZN7rocprim17ROCPRIM_400000_NS6detail17trampoline_kernelINS0_14default_configENS1_37merge_sort_block_sort_config_selectorIlNS0_10empty_typeEEEZNS1_21merge_sort_block_sortIS3_PlS8_PS5_S9_ZN2at6native12_GLOBAL__N_124unique_dim_cuda_templateImEESt5tupleIJNSA_6TensorESF_SF_EERKSF_lbbbEUlllE_EE10hipError_tT0_T1_T2_T3_mRjT4_P12ihipStream_tbNS1_7vsmem_tEEUlT_E_NS1_11comp_targetILNS1_3genE10ELNS1_11target_archE1200ELNS1_3gpuE4ELNS1_3repE0EEENS1_30default_config_static_selectorELNS0_4arch9wavefront6targetE0EEEvSM_.private_seg_size, 0
	.set _ZN7rocprim17ROCPRIM_400000_NS6detail17trampoline_kernelINS0_14default_configENS1_37merge_sort_block_sort_config_selectorIlNS0_10empty_typeEEEZNS1_21merge_sort_block_sortIS3_PlS8_PS5_S9_ZN2at6native12_GLOBAL__N_124unique_dim_cuda_templateImEESt5tupleIJNSA_6TensorESF_SF_EERKSF_lbbbEUlllE_EE10hipError_tT0_T1_T2_T3_mRjT4_P12ihipStream_tbNS1_7vsmem_tEEUlT_E_NS1_11comp_targetILNS1_3genE10ELNS1_11target_archE1200ELNS1_3gpuE4ELNS1_3repE0EEENS1_30default_config_static_selectorELNS0_4arch9wavefront6targetE0EEEvSM_.uses_vcc, 0
	.set _ZN7rocprim17ROCPRIM_400000_NS6detail17trampoline_kernelINS0_14default_configENS1_37merge_sort_block_sort_config_selectorIlNS0_10empty_typeEEEZNS1_21merge_sort_block_sortIS3_PlS8_PS5_S9_ZN2at6native12_GLOBAL__N_124unique_dim_cuda_templateImEESt5tupleIJNSA_6TensorESF_SF_EERKSF_lbbbEUlllE_EE10hipError_tT0_T1_T2_T3_mRjT4_P12ihipStream_tbNS1_7vsmem_tEEUlT_E_NS1_11comp_targetILNS1_3genE10ELNS1_11target_archE1200ELNS1_3gpuE4ELNS1_3repE0EEENS1_30default_config_static_selectorELNS0_4arch9wavefront6targetE0EEEvSM_.uses_flat_scratch, 0
	.set _ZN7rocprim17ROCPRIM_400000_NS6detail17trampoline_kernelINS0_14default_configENS1_37merge_sort_block_sort_config_selectorIlNS0_10empty_typeEEEZNS1_21merge_sort_block_sortIS3_PlS8_PS5_S9_ZN2at6native12_GLOBAL__N_124unique_dim_cuda_templateImEESt5tupleIJNSA_6TensorESF_SF_EERKSF_lbbbEUlllE_EE10hipError_tT0_T1_T2_T3_mRjT4_P12ihipStream_tbNS1_7vsmem_tEEUlT_E_NS1_11comp_targetILNS1_3genE10ELNS1_11target_archE1200ELNS1_3gpuE4ELNS1_3repE0EEENS1_30default_config_static_selectorELNS0_4arch9wavefront6targetE0EEEvSM_.has_dyn_sized_stack, 0
	.set _ZN7rocprim17ROCPRIM_400000_NS6detail17trampoline_kernelINS0_14default_configENS1_37merge_sort_block_sort_config_selectorIlNS0_10empty_typeEEEZNS1_21merge_sort_block_sortIS3_PlS8_PS5_S9_ZN2at6native12_GLOBAL__N_124unique_dim_cuda_templateImEESt5tupleIJNSA_6TensorESF_SF_EERKSF_lbbbEUlllE_EE10hipError_tT0_T1_T2_T3_mRjT4_P12ihipStream_tbNS1_7vsmem_tEEUlT_E_NS1_11comp_targetILNS1_3genE10ELNS1_11target_archE1200ELNS1_3gpuE4ELNS1_3repE0EEENS1_30default_config_static_selectorELNS0_4arch9wavefront6targetE0EEEvSM_.has_recursion, 0
	.set _ZN7rocprim17ROCPRIM_400000_NS6detail17trampoline_kernelINS0_14default_configENS1_37merge_sort_block_sort_config_selectorIlNS0_10empty_typeEEEZNS1_21merge_sort_block_sortIS3_PlS8_PS5_S9_ZN2at6native12_GLOBAL__N_124unique_dim_cuda_templateImEESt5tupleIJNSA_6TensorESF_SF_EERKSF_lbbbEUlllE_EE10hipError_tT0_T1_T2_T3_mRjT4_P12ihipStream_tbNS1_7vsmem_tEEUlT_E_NS1_11comp_targetILNS1_3genE10ELNS1_11target_archE1200ELNS1_3gpuE4ELNS1_3repE0EEENS1_30default_config_static_selectorELNS0_4arch9wavefront6targetE0EEEvSM_.has_indirect_call, 0
	.section	.AMDGPU.csdata,"",@progbits
; Kernel info:
; codeLenInByte = 0
; TotalNumSgprs: 0
; NumVgprs: 0
; ScratchSize: 0
; MemoryBound: 0
; FloatMode: 240
; IeeeMode: 1
; LDSByteSize: 0 bytes/workgroup (compile time only)
; SGPRBlocks: 0
; VGPRBlocks: 0
; NumSGPRsForWavesPerEU: 1
; NumVGPRsForWavesPerEU: 1
; NamedBarCnt: 0
; Occupancy: 16
; WaveLimiterHint : 0
; COMPUTE_PGM_RSRC2:SCRATCH_EN: 0
; COMPUTE_PGM_RSRC2:USER_SGPR: 2
; COMPUTE_PGM_RSRC2:TRAP_HANDLER: 0
; COMPUTE_PGM_RSRC2:TGID_X_EN: 1
; COMPUTE_PGM_RSRC2:TGID_Y_EN: 0
; COMPUTE_PGM_RSRC2:TGID_Z_EN: 0
; COMPUTE_PGM_RSRC2:TIDIG_COMP_CNT: 0
	.section	.text._ZN7rocprim17ROCPRIM_400000_NS6detail17trampoline_kernelINS0_14default_configENS1_37merge_sort_block_sort_config_selectorIlNS0_10empty_typeEEEZNS1_21merge_sort_block_sortIS3_PlS8_PS5_S9_ZN2at6native12_GLOBAL__N_124unique_dim_cuda_templateImEESt5tupleIJNSA_6TensorESF_SF_EERKSF_lbbbEUlllE_EE10hipError_tT0_T1_T2_T3_mRjT4_P12ihipStream_tbNS1_7vsmem_tEEUlT_E_NS1_11comp_targetILNS1_3genE9ELNS1_11target_archE1100ELNS1_3gpuE3ELNS1_3repE0EEENS1_30default_config_static_selectorELNS0_4arch9wavefront6targetE0EEEvSM_,"axG",@progbits,_ZN7rocprim17ROCPRIM_400000_NS6detail17trampoline_kernelINS0_14default_configENS1_37merge_sort_block_sort_config_selectorIlNS0_10empty_typeEEEZNS1_21merge_sort_block_sortIS3_PlS8_PS5_S9_ZN2at6native12_GLOBAL__N_124unique_dim_cuda_templateImEESt5tupleIJNSA_6TensorESF_SF_EERKSF_lbbbEUlllE_EE10hipError_tT0_T1_T2_T3_mRjT4_P12ihipStream_tbNS1_7vsmem_tEEUlT_E_NS1_11comp_targetILNS1_3genE9ELNS1_11target_archE1100ELNS1_3gpuE3ELNS1_3repE0EEENS1_30default_config_static_selectorELNS0_4arch9wavefront6targetE0EEEvSM_,comdat
	.globl	_ZN7rocprim17ROCPRIM_400000_NS6detail17trampoline_kernelINS0_14default_configENS1_37merge_sort_block_sort_config_selectorIlNS0_10empty_typeEEEZNS1_21merge_sort_block_sortIS3_PlS8_PS5_S9_ZN2at6native12_GLOBAL__N_124unique_dim_cuda_templateImEESt5tupleIJNSA_6TensorESF_SF_EERKSF_lbbbEUlllE_EE10hipError_tT0_T1_T2_T3_mRjT4_P12ihipStream_tbNS1_7vsmem_tEEUlT_E_NS1_11comp_targetILNS1_3genE9ELNS1_11target_archE1100ELNS1_3gpuE3ELNS1_3repE0EEENS1_30default_config_static_selectorELNS0_4arch9wavefront6targetE0EEEvSM_ ; -- Begin function _ZN7rocprim17ROCPRIM_400000_NS6detail17trampoline_kernelINS0_14default_configENS1_37merge_sort_block_sort_config_selectorIlNS0_10empty_typeEEEZNS1_21merge_sort_block_sortIS3_PlS8_PS5_S9_ZN2at6native12_GLOBAL__N_124unique_dim_cuda_templateImEESt5tupleIJNSA_6TensorESF_SF_EERKSF_lbbbEUlllE_EE10hipError_tT0_T1_T2_T3_mRjT4_P12ihipStream_tbNS1_7vsmem_tEEUlT_E_NS1_11comp_targetILNS1_3genE9ELNS1_11target_archE1100ELNS1_3gpuE3ELNS1_3repE0EEENS1_30default_config_static_selectorELNS0_4arch9wavefront6targetE0EEEvSM_
	.p2align	8
	.type	_ZN7rocprim17ROCPRIM_400000_NS6detail17trampoline_kernelINS0_14default_configENS1_37merge_sort_block_sort_config_selectorIlNS0_10empty_typeEEEZNS1_21merge_sort_block_sortIS3_PlS8_PS5_S9_ZN2at6native12_GLOBAL__N_124unique_dim_cuda_templateImEESt5tupleIJNSA_6TensorESF_SF_EERKSF_lbbbEUlllE_EE10hipError_tT0_T1_T2_T3_mRjT4_P12ihipStream_tbNS1_7vsmem_tEEUlT_E_NS1_11comp_targetILNS1_3genE9ELNS1_11target_archE1100ELNS1_3gpuE3ELNS1_3repE0EEENS1_30default_config_static_selectorELNS0_4arch9wavefront6targetE0EEEvSM_,@function
_ZN7rocprim17ROCPRIM_400000_NS6detail17trampoline_kernelINS0_14default_configENS1_37merge_sort_block_sort_config_selectorIlNS0_10empty_typeEEEZNS1_21merge_sort_block_sortIS3_PlS8_PS5_S9_ZN2at6native12_GLOBAL__N_124unique_dim_cuda_templateImEESt5tupleIJNSA_6TensorESF_SF_EERKSF_lbbbEUlllE_EE10hipError_tT0_T1_T2_T3_mRjT4_P12ihipStream_tbNS1_7vsmem_tEEUlT_E_NS1_11comp_targetILNS1_3genE9ELNS1_11target_archE1100ELNS1_3gpuE3ELNS1_3repE0EEENS1_30default_config_static_selectorELNS0_4arch9wavefront6targetE0EEEvSM_: ; @_ZN7rocprim17ROCPRIM_400000_NS6detail17trampoline_kernelINS0_14default_configENS1_37merge_sort_block_sort_config_selectorIlNS0_10empty_typeEEEZNS1_21merge_sort_block_sortIS3_PlS8_PS5_S9_ZN2at6native12_GLOBAL__N_124unique_dim_cuda_templateImEESt5tupleIJNSA_6TensorESF_SF_EERKSF_lbbbEUlllE_EE10hipError_tT0_T1_T2_T3_mRjT4_P12ihipStream_tbNS1_7vsmem_tEEUlT_E_NS1_11comp_targetILNS1_3genE9ELNS1_11target_archE1100ELNS1_3gpuE3ELNS1_3repE0EEENS1_30default_config_static_selectorELNS0_4arch9wavefront6targetE0EEEvSM_
; %bb.0:
	.section	.rodata,"a",@progbits
	.p2align	6, 0x0
	.amdhsa_kernel _ZN7rocprim17ROCPRIM_400000_NS6detail17trampoline_kernelINS0_14default_configENS1_37merge_sort_block_sort_config_selectorIlNS0_10empty_typeEEEZNS1_21merge_sort_block_sortIS3_PlS8_PS5_S9_ZN2at6native12_GLOBAL__N_124unique_dim_cuda_templateImEESt5tupleIJNSA_6TensorESF_SF_EERKSF_lbbbEUlllE_EE10hipError_tT0_T1_T2_T3_mRjT4_P12ihipStream_tbNS1_7vsmem_tEEUlT_E_NS1_11comp_targetILNS1_3genE9ELNS1_11target_archE1100ELNS1_3gpuE3ELNS1_3repE0EEENS1_30default_config_static_selectorELNS0_4arch9wavefront6targetE0EEEvSM_
		.amdhsa_group_segment_fixed_size 0
		.amdhsa_private_segment_fixed_size 0
		.amdhsa_kernarg_size 72
		.amdhsa_user_sgpr_count 2
		.amdhsa_user_sgpr_dispatch_ptr 0
		.amdhsa_user_sgpr_queue_ptr 0
		.amdhsa_user_sgpr_kernarg_segment_ptr 1
		.amdhsa_user_sgpr_dispatch_id 0
		.amdhsa_user_sgpr_kernarg_preload_length 0
		.amdhsa_user_sgpr_kernarg_preload_offset 0
		.amdhsa_user_sgpr_private_segment_size 0
		.amdhsa_wavefront_size32 1
		.amdhsa_uses_dynamic_stack 0
		.amdhsa_enable_private_segment 0
		.amdhsa_system_sgpr_workgroup_id_x 1
		.amdhsa_system_sgpr_workgroup_id_y 0
		.amdhsa_system_sgpr_workgroup_id_z 0
		.amdhsa_system_sgpr_workgroup_info 0
		.amdhsa_system_vgpr_workitem_id 0
		.amdhsa_next_free_vgpr 1
		.amdhsa_next_free_sgpr 1
		.amdhsa_named_barrier_count 0
		.amdhsa_reserve_vcc 0
		.amdhsa_float_round_mode_32 0
		.amdhsa_float_round_mode_16_64 0
		.amdhsa_float_denorm_mode_32 3
		.amdhsa_float_denorm_mode_16_64 3
		.amdhsa_fp16_overflow 0
		.amdhsa_memory_ordered 1
		.amdhsa_forward_progress 1
		.amdhsa_inst_pref_size 0
		.amdhsa_round_robin_scheduling 0
		.amdhsa_exception_fp_ieee_invalid_op 0
		.amdhsa_exception_fp_denorm_src 0
		.amdhsa_exception_fp_ieee_div_zero 0
		.amdhsa_exception_fp_ieee_overflow 0
		.amdhsa_exception_fp_ieee_underflow 0
		.amdhsa_exception_fp_ieee_inexact 0
		.amdhsa_exception_int_div_zero 0
	.end_amdhsa_kernel
	.section	.text._ZN7rocprim17ROCPRIM_400000_NS6detail17trampoline_kernelINS0_14default_configENS1_37merge_sort_block_sort_config_selectorIlNS0_10empty_typeEEEZNS1_21merge_sort_block_sortIS3_PlS8_PS5_S9_ZN2at6native12_GLOBAL__N_124unique_dim_cuda_templateImEESt5tupleIJNSA_6TensorESF_SF_EERKSF_lbbbEUlllE_EE10hipError_tT0_T1_T2_T3_mRjT4_P12ihipStream_tbNS1_7vsmem_tEEUlT_E_NS1_11comp_targetILNS1_3genE9ELNS1_11target_archE1100ELNS1_3gpuE3ELNS1_3repE0EEENS1_30default_config_static_selectorELNS0_4arch9wavefront6targetE0EEEvSM_,"axG",@progbits,_ZN7rocprim17ROCPRIM_400000_NS6detail17trampoline_kernelINS0_14default_configENS1_37merge_sort_block_sort_config_selectorIlNS0_10empty_typeEEEZNS1_21merge_sort_block_sortIS3_PlS8_PS5_S9_ZN2at6native12_GLOBAL__N_124unique_dim_cuda_templateImEESt5tupleIJNSA_6TensorESF_SF_EERKSF_lbbbEUlllE_EE10hipError_tT0_T1_T2_T3_mRjT4_P12ihipStream_tbNS1_7vsmem_tEEUlT_E_NS1_11comp_targetILNS1_3genE9ELNS1_11target_archE1100ELNS1_3gpuE3ELNS1_3repE0EEENS1_30default_config_static_selectorELNS0_4arch9wavefront6targetE0EEEvSM_,comdat
.Lfunc_end1612:
	.size	_ZN7rocprim17ROCPRIM_400000_NS6detail17trampoline_kernelINS0_14default_configENS1_37merge_sort_block_sort_config_selectorIlNS0_10empty_typeEEEZNS1_21merge_sort_block_sortIS3_PlS8_PS5_S9_ZN2at6native12_GLOBAL__N_124unique_dim_cuda_templateImEESt5tupleIJNSA_6TensorESF_SF_EERKSF_lbbbEUlllE_EE10hipError_tT0_T1_T2_T3_mRjT4_P12ihipStream_tbNS1_7vsmem_tEEUlT_E_NS1_11comp_targetILNS1_3genE9ELNS1_11target_archE1100ELNS1_3gpuE3ELNS1_3repE0EEENS1_30default_config_static_selectorELNS0_4arch9wavefront6targetE0EEEvSM_, .Lfunc_end1612-_ZN7rocprim17ROCPRIM_400000_NS6detail17trampoline_kernelINS0_14default_configENS1_37merge_sort_block_sort_config_selectorIlNS0_10empty_typeEEEZNS1_21merge_sort_block_sortIS3_PlS8_PS5_S9_ZN2at6native12_GLOBAL__N_124unique_dim_cuda_templateImEESt5tupleIJNSA_6TensorESF_SF_EERKSF_lbbbEUlllE_EE10hipError_tT0_T1_T2_T3_mRjT4_P12ihipStream_tbNS1_7vsmem_tEEUlT_E_NS1_11comp_targetILNS1_3genE9ELNS1_11target_archE1100ELNS1_3gpuE3ELNS1_3repE0EEENS1_30default_config_static_selectorELNS0_4arch9wavefront6targetE0EEEvSM_
                                        ; -- End function
	.set _ZN7rocprim17ROCPRIM_400000_NS6detail17trampoline_kernelINS0_14default_configENS1_37merge_sort_block_sort_config_selectorIlNS0_10empty_typeEEEZNS1_21merge_sort_block_sortIS3_PlS8_PS5_S9_ZN2at6native12_GLOBAL__N_124unique_dim_cuda_templateImEESt5tupleIJNSA_6TensorESF_SF_EERKSF_lbbbEUlllE_EE10hipError_tT0_T1_T2_T3_mRjT4_P12ihipStream_tbNS1_7vsmem_tEEUlT_E_NS1_11comp_targetILNS1_3genE9ELNS1_11target_archE1100ELNS1_3gpuE3ELNS1_3repE0EEENS1_30default_config_static_selectorELNS0_4arch9wavefront6targetE0EEEvSM_.num_vgpr, 0
	.set _ZN7rocprim17ROCPRIM_400000_NS6detail17trampoline_kernelINS0_14default_configENS1_37merge_sort_block_sort_config_selectorIlNS0_10empty_typeEEEZNS1_21merge_sort_block_sortIS3_PlS8_PS5_S9_ZN2at6native12_GLOBAL__N_124unique_dim_cuda_templateImEESt5tupleIJNSA_6TensorESF_SF_EERKSF_lbbbEUlllE_EE10hipError_tT0_T1_T2_T3_mRjT4_P12ihipStream_tbNS1_7vsmem_tEEUlT_E_NS1_11comp_targetILNS1_3genE9ELNS1_11target_archE1100ELNS1_3gpuE3ELNS1_3repE0EEENS1_30default_config_static_selectorELNS0_4arch9wavefront6targetE0EEEvSM_.num_agpr, 0
	.set _ZN7rocprim17ROCPRIM_400000_NS6detail17trampoline_kernelINS0_14default_configENS1_37merge_sort_block_sort_config_selectorIlNS0_10empty_typeEEEZNS1_21merge_sort_block_sortIS3_PlS8_PS5_S9_ZN2at6native12_GLOBAL__N_124unique_dim_cuda_templateImEESt5tupleIJNSA_6TensorESF_SF_EERKSF_lbbbEUlllE_EE10hipError_tT0_T1_T2_T3_mRjT4_P12ihipStream_tbNS1_7vsmem_tEEUlT_E_NS1_11comp_targetILNS1_3genE9ELNS1_11target_archE1100ELNS1_3gpuE3ELNS1_3repE0EEENS1_30default_config_static_selectorELNS0_4arch9wavefront6targetE0EEEvSM_.numbered_sgpr, 0
	.set _ZN7rocprim17ROCPRIM_400000_NS6detail17trampoline_kernelINS0_14default_configENS1_37merge_sort_block_sort_config_selectorIlNS0_10empty_typeEEEZNS1_21merge_sort_block_sortIS3_PlS8_PS5_S9_ZN2at6native12_GLOBAL__N_124unique_dim_cuda_templateImEESt5tupleIJNSA_6TensorESF_SF_EERKSF_lbbbEUlllE_EE10hipError_tT0_T1_T2_T3_mRjT4_P12ihipStream_tbNS1_7vsmem_tEEUlT_E_NS1_11comp_targetILNS1_3genE9ELNS1_11target_archE1100ELNS1_3gpuE3ELNS1_3repE0EEENS1_30default_config_static_selectorELNS0_4arch9wavefront6targetE0EEEvSM_.num_named_barrier, 0
	.set _ZN7rocprim17ROCPRIM_400000_NS6detail17trampoline_kernelINS0_14default_configENS1_37merge_sort_block_sort_config_selectorIlNS0_10empty_typeEEEZNS1_21merge_sort_block_sortIS3_PlS8_PS5_S9_ZN2at6native12_GLOBAL__N_124unique_dim_cuda_templateImEESt5tupleIJNSA_6TensorESF_SF_EERKSF_lbbbEUlllE_EE10hipError_tT0_T1_T2_T3_mRjT4_P12ihipStream_tbNS1_7vsmem_tEEUlT_E_NS1_11comp_targetILNS1_3genE9ELNS1_11target_archE1100ELNS1_3gpuE3ELNS1_3repE0EEENS1_30default_config_static_selectorELNS0_4arch9wavefront6targetE0EEEvSM_.private_seg_size, 0
	.set _ZN7rocprim17ROCPRIM_400000_NS6detail17trampoline_kernelINS0_14default_configENS1_37merge_sort_block_sort_config_selectorIlNS0_10empty_typeEEEZNS1_21merge_sort_block_sortIS3_PlS8_PS5_S9_ZN2at6native12_GLOBAL__N_124unique_dim_cuda_templateImEESt5tupleIJNSA_6TensorESF_SF_EERKSF_lbbbEUlllE_EE10hipError_tT0_T1_T2_T3_mRjT4_P12ihipStream_tbNS1_7vsmem_tEEUlT_E_NS1_11comp_targetILNS1_3genE9ELNS1_11target_archE1100ELNS1_3gpuE3ELNS1_3repE0EEENS1_30default_config_static_selectorELNS0_4arch9wavefront6targetE0EEEvSM_.uses_vcc, 0
	.set _ZN7rocprim17ROCPRIM_400000_NS6detail17trampoline_kernelINS0_14default_configENS1_37merge_sort_block_sort_config_selectorIlNS0_10empty_typeEEEZNS1_21merge_sort_block_sortIS3_PlS8_PS5_S9_ZN2at6native12_GLOBAL__N_124unique_dim_cuda_templateImEESt5tupleIJNSA_6TensorESF_SF_EERKSF_lbbbEUlllE_EE10hipError_tT0_T1_T2_T3_mRjT4_P12ihipStream_tbNS1_7vsmem_tEEUlT_E_NS1_11comp_targetILNS1_3genE9ELNS1_11target_archE1100ELNS1_3gpuE3ELNS1_3repE0EEENS1_30default_config_static_selectorELNS0_4arch9wavefront6targetE0EEEvSM_.uses_flat_scratch, 0
	.set _ZN7rocprim17ROCPRIM_400000_NS6detail17trampoline_kernelINS0_14default_configENS1_37merge_sort_block_sort_config_selectorIlNS0_10empty_typeEEEZNS1_21merge_sort_block_sortIS3_PlS8_PS5_S9_ZN2at6native12_GLOBAL__N_124unique_dim_cuda_templateImEESt5tupleIJNSA_6TensorESF_SF_EERKSF_lbbbEUlllE_EE10hipError_tT0_T1_T2_T3_mRjT4_P12ihipStream_tbNS1_7vsmem_tEEUlT_E_NS1_11comp_targetILNS1_3genE9ELNS1_11target_archE1100ELNS1_3gpuE3ELNS1_3repE0EEENS1_30default_config_static_selectorELNS0_4arch9wavefront6targetE0EEEvSM_.has_dyn_sized_stack, 0
	.set _ZN7rocprim17ROCPRIM_400000_NS6detail17trampoline_kernelINS0_14default_configENS1_37merge_sort_block_sort_config_selectorIlNS0_10empty_typeEEEZNS1_21merge_sort_block_sortIS3_PlS8_PS5_S9_ZN2at6native12_GLOBAL__N_124unique_dim_cuda_templateImEESt5tupleIJNSA_6TensorESF_SF_EERKSF_lbbbEUlllE_EE10hipError_tT0_T1_T2_T3_mRjT4_P12ihipStream_tbNS1_7vsmem_tEEUlT_E_NS1_11comp_targetILNS1_3genE9ELNS1_11target_archE1100ELNS1_3gpuE3ELNS1_3repE0EEENS1_30default_config_static_selectorELNS0_4arch9wavefront6targetE0EEEvSM_.has_recursion, 0
	.set _ZN7rocprim17ROCPRIM_400000_NS6detail17trampoline_kernelINS0_14default_configENS1_37merge_sort_block_sort_config_selectorIlNS0_10empty_typeEEEZNS1_21merge_sort_block_sortIS3_PlS8_PS5_S9_ZN2at6native12_GLOBAL__N_124unique_dim_cuda_templateImEESt5tupleIJNSA_6TensorESF_SF_EERKSF_lbbbEUlllE_EE10hipError_tT0_T1_T2_T3_mRjT4_P12ihipStream_tbNS1_7vsmem_tEEUlT_E_NS1_11comp_targetILNS1_3genE9ELNS1_11target_archE1100ELNS1_3gpuE3ELNS1_3repE0EEENS1_30default_config_static_selectorELNS0_4arch9wavefront6targetE0EEEvSM_.has_indirect_call, 0
	.section	.AMDGPU.csdata,"",@progbits
; Kernel info:
; codeLenInByte = 0
; TotalNumSgprs: 0
; NumVgprs: 0
; ScratchSize: 0
; MemoryBound: 0
; FloatMode: 240
; IeeeMode: 1
; LDSByteSize: 0 bytes/workgroup (compile time only)
; SGPRBlocks: 0
; VGPRBlocks: 0
; NumSGPRsForWavesPerEU: 1
; NumVGPRsForWavesPerEU: 1
; NamedBarCnt: 0
; Occupancy: 16
; WaveLimiterHint : 0
; COMPUTE_PGM_RSRC2:SCRATCH_EN: 0
; COMPUTE_PGM_RSRC2:USER_SGPR: 2
; COMPUTE_PGM_RSRC2:TRAP_HANDLER: 0
; COMPUTE_PGM_RSRC2:TGID_X_EN: 1
; COMPUTE_PGM_RSRC2:TGID_Y_EN: 0
; COMPUTE_PGM_RSRC2:TGID_Z_EN: 0
; COMPUTE_PGM_RSRC2:TIDIG_COMP_CNT: 0
	.section	.text._ZN7rocprim17ROCPRIM_400000_NS6detail17trampoline_kernelINS0_14default_configENS1_37merge_sort_block_sort_config_selectorIlNS0_10empty_typeEEEZNS1_21merge_sort_block_sortIS3_PlS8_PS5_S9_ZN2at6native12_GLOBAL__N_124unique_dim_cuda_templateImEESt5tupleIJNSA_6TensorESF_SF_EERKSF_lbbbEUlllE_EE10hipError_tT0_T1_T2_T3_mRjT4_P12ihipStream_tbNS1_7vsmem_tEEUlT_E_NS1_11comp_targetILNS1_3genE8ELNS1_11target_archE1030ELNS1_3gpuE2ELNS1_3repE0EEENS1_30default_config_static_selectorELNS0_4arch9wavefront6targetE0EEEvSM_,"axG",@progbits,_ZN7rocprim17ROCPRIM_400000_NS6detail17trampoline_kernelINS0_14default_configENS1_37merge_sort_block_sort_config_selectorIlNS0_10empty_typeEEEZNS1_21merge_sort_block_sortIS3_PlS8_PS5_S9_ZN2at6native12_GLOBAL__N_124unique_dim_cuda_templateImEESt5tupleIJNSA_6TensorESF_SF_EERKSF_lbbbEUlllE_EE10hipError_tT0_T1_T2_T3_mRjT4_P12ihipStream_tbNS1_7vsmem_tEEUlT_E_NS1_11comp_targetILNS1_3genE8ELNS1_11target_archE1030ELNS1_3gpuE2ELNS1_3repE0EEENS1_30default_config_static_selectorELNS0_4arch9wavefront6targetE0EEEvSM_,comdat
	.globl	_ZN7rocprim17ROCPRIM_400000_NS6detail17trampoline_kernelINS0_14default_configENS1_37merge_sort_block_sort_config_selectorIlNS0_10empty_typeEEEZNS1_21merge_sort_block_sortIS3_PlS8_PS5_S9_ZN2at6native12_GLOBAL__N_124unique_dim_cuda_templateImEESt5tupleIJNSA_6TensorESF_SF_EERKSF_lbbbEUlllE_EE10hipError_tT0_T1_T2_T3_mRjT4_P12ihipStream_tbNS1_7vsmem_tEEUlT_E_NS1_11comp_targetILNS1_3genE8ELNS1_11target_archE1030ELNS1_3gpuE2ELNS1_3repE0EEENS1_30default_config_static_selectorELNS0_4arch9wavefront6targetE0EEEvSM_ ; -- Begin function _ZN7rocprim17ROCPRIM_400000_NS6detail17trampoline_kernelINS0_14default_configENS1_37merge_sort_block_sort_config_selectorIlNS0_10empty_typeEEEZNS1_21merge_sort_block_sortIS3_PlS8_PS5_S9_ZN2at6native12_GLOBAL__N_124unique_dim_cuda_templateImEESt5tupleIJNSA_6TensorESF_SF_EERKSF_lbbbEUlllE_EE10hipError_tT0_T1_T2_T3_mRjT4_P12ihipStream_tbNS1_7vsmem_tEEUlT_E_NS1_11comp_targetILNS1_3genE8ELNS1_11target_archE1030ELNS1_3gpuE2ELNS1_3repE0EEENS1_30default_config_static_selectorELNS0_4arch9wavefront6targetE0EEEvSM_
	.p2align	8
	.type	_ZN7rocprim17ROCPRIM_400000_NS6detail17trampoline_kernelINS0_14default_configENS1_37merge_sort_block_sort_config_selectorIlNS0_10empty_typeEEEZNS1_21merge_sort_block_sortIS3_PlS8_PS5_S9_ZN2at6native12_GLOBAL__N_124unique_dim_cuda_templateImEESt5tupleIJNSA_6TensorESF_SF_EERKSF_lbbbEUlllE_EE10hipError_tT0_T1_T2_T3_mRjT4_P12ihipStream_tbNS1_7vsmem_tEEUlT_E_NS1_11comp_targetILNS1_3genE8ELNS1_11target_archE1030ELNS1_3gpuE2ELNS1_3repE0EEENS1_30default_config_static_selectorELNS0_4arch9wavefront6targetE0EEEvSM_,@function
_ZN7rocprim17ROCPRIM_400000_NS6detail17trampoline_kernelINS0_14default_configENS1_37merge_sort_block_sort_config_selectorIlNS0_10empty_typeEEEZNS1_21merge_sort_block_sortIS3_PlS8_PS5_S9_ZN2at6native12_GLOBAL__N_124unique_dim_cuda_templateImEESt5tupleIJNSA_6TensorESF_SF_EERKSF_lbbbEUlllE_EE10hipError_tT0_T1_T2_T3_mRjT4_P12ihipStream_tbNS1_7vsmem_tEEUlT_E_NS1_11comp_targetILNS1_3genE8ELNS1_11target_archE1030ELNS1_3gpuE2ELNS1_3repE0EEENS1_30default_config_static_selectorELNS0_4arch9wavefront6targetE0EEEvSM_: ; @_ZN7rocprim17ROCPRIM_400000_NS6detail17trampoline_kernelINS0_14default_configENS1_37merge_sort_block_sort_config_selectorIlNS0_10empty_typeEEEZNS1_21merge_sort_block_sortIS3_PlS8_PS5_S9_ZN2at6native12_GLOBAL__N_124unique_dim_cuda_templateImEESt5tupleIJNSA_6TensorESF_SF_EERKSF_lbbbEUlllE_EE10hipError_tT0_T1_T2_T3_mRjT4_P12ihipStream_tbNS1_7vsmem_tEEUlT_E_NS1_11comp_targetILNS1_3genE8ELNS1_11target_archE1030ELNS1_3gpuE2ELNS1_3repE0EEENS1_30default_config_static_selectorELNS0_4arch9wavefront6targetE0EEEvSM_
; %bb.0:
	.section	.rodata,"a",@progbits
	.p2align	6, 0x0
	.amdhsa_kernel _ZN7rocprim17ROCPRIM_400000_NS6detail17trampoline_kernelINS0_14default_configENS1_37merge_sort_block_sort_config_selectorIlNS0_10empty_typeEEEZNS1_21merge_sort_block_sortIS3_PlS8_PS5_S9_ZN2at6native12_GLOBAL__N_124unique_dim_cuda_templateImEESt5tupleIJNSA_6TensorESF_SF_EERKSF_lbbbEUlllE_EE10hipError_tT0_T1_T2_T3_mRjT4_P12ihipStream_tbNS1_7vsmem_tEEUlT_E_NS1_11comp_targetILNS1_3genE8ELNS1_11target_archE1030ELNS1_3gpuE2ELNS1_3repE0EEENS1_30default_config_static_selectorELNS0_4arch9wavefront6targetE0EEEvSM_
		.amdhsa_group_segment_fixed_size 0
		.amdhsa_private_segment_fixed_size 0
		.amdhsa_kernarg_size 72
		.amdhsa_user_sgpr_count 2
		.amdhsa_user_sgpr_dispatch_ptr 0
		.amdhsa_user_sgpr_queue_ptr 0
		.amdhsa_user_sgpr_kernarg_segment_ptr 1
		.amdhsa_user_sgpr_dispatch_id 0
		.amdhsa_user_sgpr_kernarg_preload_length 0
		.amdhsa_user_sgpr_kernarg_preload_offset 0
		.amdhsa_user_sgpr_private_segment_size 0
		.amdhsa_wavefront_size32 1
		.amdhsa_uses_dynamic_stack 0
		.amdhsa_enable_private_segment 0
		.amdhsa_system_sgpr_workgroup_id_x 1
		.amdhsa_system_sgpr_workgroup_id_y 0
		.amdhsa_system_sgpr_workgroup_id_z 0
		.amdhsa_system_sgpr_workgroup_info 0
		.amdhsa_system_vgpr_workitem_id 0
		.amdhsa_next_free_vgpr 1
		.amdhsa_next_free_sgpr 1
		.amdhsa_named_barrier_count 0
		.amdhsa_reserve_vcc 0
		.amdhsa_float_round_mode_32 0
		.amdhsa_float_round_mode_16_64 0
		.amdhsa_float_denorm_mode_32 3
		.amdhsa_float_denorm_mode_16_64 3
		.amdhsa_fp16_overflow 0
		.amdhsa_memory_ordered 1
		.amdhsa_forward_progress 1
		.amdhsa_inst_pref_size 0
		.amdhsa_round_robin_scheduling 0
		.amdhsa_exception_fp_ieee_invalid_op 0
		.amdhsa_exception_fp_denorm_src 0
		.amdhsa_exception_fp_ieee_div_zero 0
		.amdhsa_exception_fp_ieee_overflow 0
		.amdhsa_exception_fp_ieee_underflow 0
		.amdhsa_exception_fp_ieee_inexact 0
		.amdhsa_exception_int_div_zero 0
	.end_amdhsa_kernel
	.section	.text._ZN7rocprim17ROCPRIM_400000_NS6detail17trampoline_kernelINS0_14default_configENS1_37merge_sort_block_sort_config_selectorIlNS0_10empty_typeEEEZNS1_21merge_sort_block_sortIS3_PlS8_PS5_S9_ZN2at6native12_GLOBAL__N_124unique_dim_cuda_templateImEESt5tupleIJNSA_6TensorESF_SF_EERKSF_lbbbEUlllE_EE10hipError_tT0_T1_T2_T3_mRjT4_P12ihipStream_tbNS1_7vsmem_tEEUlT_E_NS1_11comp_targetILNS1_3genE8ELNS1_11target_archE1030ELNS1_3gpuE2ELNS1_3repE0EEENS1_30default_config_static_selectorELNS0_4arch9wavefront6targetE0EEEvSM_,"axG",@progbits,_ZN7rocprim17ROCPRIM_400000_NS6detail17trampoline_kernelINS0_14default_configENS1_37merge_sort_block_sort_config_selectorIlNS0_10empty_typeEEEZNS1_21merge_sort_block_sortIS3_PlS8_PS5_S9_ZN2at6native12_GLOBAL__N_124unique_dim_cuda_templateImEESt5tupleIJNSA_6TensorESF_SF_EERKSF_lbbbEUlllE_EE10hipError_tT0_T1_T2_T3_mRjT4_P12ihipStream_tbNS1_7vsmem_tEEUlT_E_NS1_11comp_targetILNS1_3genE8ELNS1_11target_archE1030ELNS1_3gpuE2ELNS1_3repE0EEENS1_30default_config_static_selectorELNS0_4arch9wavefront6targetE0EEEvSM_,comdat
.Lfunc_end1613:
	.size	_ZN7rocprim17ROCPRIM_400000_NS6detail17trampoline_kernelINS0_14default_configENS1_37merge_sort_block_sort_config_selectorIlNS0_10empty_typeEEEZNS1_21merge_sort_block_sortIS3_PlS8_PS5_S9_ZN2at6native12_GLOBAL__N_124unique_dim_cuda_templateImEESt5tupleIJNSA_6TensorESF_SF_EERKSF_lbbbEUlllE_EE10hipError_tT0_T1_T2_T3_mRjT4_P12ihipStream_tbNS1_7vsmem_tEEUlT_E_NS1_11comp_targetILNS1_3genE8ELNS1_11target_archE1030ELNS1_3gpuE2ELNS1_3repE0EEENS1_30default_config_static_selectorELNS0_4arch9wavefront6targetE0EEEvSM_, .Lfunc_end1613-_ZN7rocprim17ROCPRIM_400000_NS6detail17trampoline_kernelINS0_14default_configENS1_37merge_sort_block_sort_config_selectorIlNS0_10empty_typeEEEZNS1_21merge_sort_block_sortIS3_PlS8_PS5_S9_ZN2at6native12_GLOBAL__N_124unique_dim_cuda_templateImEESt5tupleIJNSA_6TensorESF_SF_EERKSF_lbbbEUlllE_EE10hipError_tT0_T1_T2_T3_mRjT4_P12ihipStream_tbNS1_7vsmem_tEEUlT_E_NS1_11comp_targetILNS1_3genE8ELNS1_11target_archE1030ELNS1_3gpuE2ELNS1_3repE0EEENS1_30default_config_static_selectorELNS0_4arch9wavefront6targetE0EEEvSM_
                                        ; -- End function
	.set _ZN7rocprim17ROCPRIM_400000_NS6detail17trampoline_kernelINS0_14default_configENS1_37merge_sort_block_sort_config_selectorIlNS0_10empty_typeEEEZNS1_21merge_sort_block_sortIS3_PlS8_PS5_S9_ZN2at6native12_GLOBAL__N_124unique_dim_cuda_templateImEESt5tupleIJNSA_6TensorESF_SF_EERKSF_lbbbEUlllE_EE10hipError_tT0_T1_T2_T3_mRjT4_P12ihipStream_tbNS1_7vsmem_tEEUlT_E_NS1_11comp_targetILNS1_3genE8ELNS1_11target_archE1030ELNS1_3gpuE2ELNS1_3repE0EEENS1_30default_config_static_selectorELNS0_4arch9wavefront6targetE0EEEvSM_.num_vgpr, 0
	.set _ZN7rocprim17ROCPRIM_400000_NS6detail17trampoline_kernelINS0_14default_configENS1_37merge_sort_block_sort_config_selectorIlNS0_10empty_typeEEEZNS1_21merge_sort_block_sortIS3_PlS8_PS5_S9_ZN2at6native12_GLOBAL__N_124unique_dim_cuda_templateImEESt5tupleIJNSA_6TensorESF_SF_EERKSF_lbbbEUlllE_EE10hipError_tT0_T1_T2_T3_mRjT4_P12ihipStream_tbNS1_7vsmem_tEEUlT_E_NS1_11comp_targetILNS1_3genE8ELNS1_11target_archE1030ELNS1_3gpuE2ELNS1_3repE0EEENS1_30default_config_static_selectorELNS0_4arch9wavefront6targetE0EEEvSM_.num_agpr, 0
	.set _ZN7rocprim17ROCPRIM_400000_NS6detail17trampoline_kernelINS0_14default_configENS1_37merge_sort_block_sort_config_selectorIlNS0_10empty_typeEEEZNS1_21merge_sort_block_sortIS3_PlS8_PS5_S9_ZN2at6native12_GLOBAL__N_124unique_dim_cuda_templateImEESt5tupleIJNSA_6TensorESF_SF_EERKSF_lbbbEUlllE_EE10hipError_tT0_T1_T2_T3_mRjT4_P12ihipStream_tbNS1_7vsmem_tEEUlT_E_NS1_11comp_targetILNS1_3genE8ELNS1_11target_archE1030ELNS1_3gpuE2ELNS1_3repE0EEENS1_30default_config_static_selectorELNS0_4arch9wavefront6targetE0EEEvSM_.numbered_sgpr, 0
	.set _ZN7rocprim17ROCPRIM_400000_NS6detail17trampoline_kernelINS0_14default_configENS1_37merge_sort_block_sort_config_selectorIlNS0_10empty_typeEEEZNS1_21merge_sort_block_sortIS3_PlS8_PS5_S9_ZN2at6native12_GLOBAL__N_124unique_dim_cuda_templateImEESt5tupleIJNSA_6TensorESF_SF_EERKSF_lbbbEUlllE_EE10hipError_tT0_T1_T2_T3_mRjT4_P12ihipStream_tbNS1_7vsmem_tEEUlT_E_NS1_11comp_targetILNS1_3genE8ELNS1_11target_archE1030ELNS1_3gpuE2ELNS1_3repE0EEENS1_30default_config_static_selectorELNS0_4arch9wavefront6targetE0EEEvSM_.num_named_barrier, 0
	.set _ZN7rocprim17ROCPRIM_400000_NS6detail17trampoline_kernelINS0_14default_configENS1_37merge_sort_block_sort_config_selectorIlNS0_10empty_typeEEEZNS1_21merge_sort_block_sortIS3_PlS8_PS5_S9_ZN2at6native12_GLOBAL__N_124unique_dim_cuda_templateImEESt5tupleIJNSA_6TensorESF_SF_EERKSF_lbbbEUlllE_EE10hipError_tT0_T1_T2_T3_mRjT4_P12ihipStream_tbNS1_7vsmem_tEEUlT_E_NS1_11comp_targetILNS1_3genE8ELNS1_11target_archE1030ELNS1_3gpuE2ELNS1_3repE0EEENS1_30default_config_static_selectorELNS0_4arch9wavefront6targetE0EEEvSM_.private_seg_size, 0
	.set _ZN7rocprim17ROCPRIM_400000_NS6detail17trampoline_kernelINS0_14default_configENS1_37merge_sort_block_sort_config_selectorIlNS0_10empty_typeEEEZNS1_21merge_sort_block_sortIS3_PlS8_PS5_S9_ZN2at6native12_GLOBAL__N_124unique_dim_cuda_templateImEESt5tupleIJNSA_6TensorESF_SF_EERKSF_lbbbEUlllE_EE10hipError_tT0_T1_T2_T3_mRjT4_P12ihipStream_tbNS1_7vsmem_tEEUlT_E_NS1_11comp_targetILNS1_3genE8ELNS1_11target_archE1030ELNS1_3gpuE2ELNS1_3repE0EEENS1_30default_config_static_selectorELNS0_4arch9wavefront6targetE0EEEvSM_.uses_vcc, 0
	.set _ZN7rocprim17ROCPRIM_400000_NS6detail17trampoline_kernelINS0_14default_configENS1_37merge_sort_block_sort_config_selectorIlNS0_10empty_typeEEEZNS1_21merge_sort_block_sortIS3_PlS8_PS5_S9_ZN2at6native12_GLOBAL__N_124unique_dim_cuda_templateImEESt5tupleIJNSA_6TensorESF_SF_EERKSF_lbbbEUlllE_EE10hipError_tT0_T1_T2_T3_mRjT4_P12ihipStream_tbNS1_7vsmem_tEEUlT_E_NS1_11comp_targetILNS1_3genE8ELNS1_11target_archE1030ELNS1_3gpuE2ELNS1_3repE0EEENS1_30default_config_static_selectorELNS0_4arch9wavefront6targetE0EEEvSM_.uses_flat_scratch, 0
	.set _ZN7rocprim17ROCPRIM_400000_NS6detail17trampoline_kernelINS0_14default_configENS1_37merge_sort_block_sort_config_selectorIlNS0_10empty_typeEEEZNS1_21merge_sort_block_sortIS3_PlS8_PS5_S9_ZN2at6native12_GLOBAL__N_124unique_dim_cuda_templateImEESt5tupleIJNSA_6TensorESF_SF_EERKSF_lbbbEUlllE_EE10hipError_tT0_T1_T2_T3_mRjT4_P12ihipStream_tbNS1_7vsmem_tEEUlT_E_NS1_11comp_targetILNS1_3genE8ELNS1_11target_archE1030ELNS1_3gpuE2ELNS1_3repE0EEENS1_30default_config_static_selectorELNS0_4arch9wavefront6targetE0EEEvSM_.has_dyn_sized_stack, 0
	.set _ZN7rocprim17ROCPRIM_400000_NS6detail17trampoline_kernelINS0_14default_configENS1_37merge_sort_block_sort_config_selectorIlNS0_10empty_typeEEEZNS1_21merge_sort_block_sortIS3_PlS8_PS5_S9_ZN2at6native12_GLOBAL__N_124unique_dim_cuda_templateImEESt5tupleIJNSA_6TensorESF_SF_EERKSF_lbbbEUlllE_EE10hipError_tT0_T1_T2_T3_mRjT4_P12ihipStream_tbNS1_7vsmem_tEEUlT_E_NS1_11comp_targetILNS1_3genE8ELNS1_11target_archE1030ELNS1_3gpuE2ELNS1_3repE0EEENS1_30default_config_static_selectorELNS0_4arch9wavefront6targetE0EEEvSM_.has_recursion, 0
	.set _ZN7rocprim17ROCPRIM_400000_NS6detail17trampoline_kernelINS0_14default_configENS1_37merge_sort_block_sort_config_selectorIlNS0_10empty_typeEEEZNS1_21merge_sort_block_sortIS3_PlS8_PS5_S9_ZN2at6native12_GLOBAL__N_124unique_dim_cuda_templateImEESt5tupleIJNSA_6TensorESF_SF_EERKSF_lbbbEUlllE_EE10hipError_tT0_T1_T2_T3_mRjT4_P12ihipStream_tbNS1_7vsmem_tEEUlT_E_NS1_11comp_targetILNS1_3genE8ELNS1_11target_archE1030ELNS1_3gpuE2ELNS1_3repE0EEENS1_30default_config_static_selectorELNS0_4arch9wavefront6targetE0EEEvSM_.has_indirect_call, 0
	.section	.AMDGPU.csdata,"",@progbits
; Kernel info:
; codeLenInByte = 0
; TotalNumSgprs: 0
; NumVgprs: 0
; ScratchSize: 0
; MemoryBound: 0
; FloatMode: 240
; IeeeMode: 1
; LDSByteSize: 0 bytes/workgroup (compile time only)
; SGPRBlocks: 0
; VGPRBlocks: 0
; NumSGPRsForWavesPerEU: 1
; NumVGPRsForWavesPerEU: 1
; NamedBarCnt: 0
; Occupancy: 16
; WaveLimiterHint : 0
; COMPUTE_PGM_RSRC2:SCRATCH_EN: 0
; COMPUTE_PGM_RSRC2:USER_SGPR: 2
; COMPUTE_PGM_RSRC2:TRAP_HANDLER: 0
; COMPUTE_PGM_RSRC2:TGID_X_EN: 1
; COMPUTE_PGM_RSRC2:TGID_Y_EN: 0
; COMPUTE_PGM_RSRC2:TGID_Z_EN: 0
; COMPUTE_PGM_RSRC2:TIDIG_COMP_CNT: 0
	.section	.text._ZN7rocprim17ROCPRIM_400000_NS6detail17trampoline_kernelINS0_14default_configENS1_38merge_sort_block_merge_config_selectorIlNS0_10empty_typeEEEZZNS1_27merge_sort_block_merge_implIS3_PlPS5_mZN2at6native12_GLOBAL__N_124unique_dim_cuda_templateImEESt5tupleIJNSA_6TensorESF_SF_EERKSF_lbbbEUlllE_EE10hipError_tT0_T1_T2_jT3_P12ihipStream_tbPNSt15iterator_traitsISL_E10value_typeEPNSR_ISM_E10value_typeEPSN_NS1_7vsmem_tEENKUlT_SL_SM_SN_E_clIS8_S8_S9_S9_EESK_S10_SL_SM_SN_EUlS10_E_NS1_11comp_targetILNS1_3genE0ELNS1_11target_archE4294967295ELNS1_3gpuE0ELNS1_3repE0EEENS1_48merge_mergepath_partition_config_static_selectorELNS0_4arch9wavefront6targetE0EEEvSM_,"axG",@progbits,_ZN7rocprim17ROCPRIM_400000_NS6detail17trampoline_kernelINS0_14default_configENS1_38merge_sort_block_merge_config_selectorIlNS0_10empty_typeEEEZZNS1_27merge_sort_block_merge_implIS3_PlPS5_mZN2at6native12_GLOBAL__N_124unique_dim_cuda_templateImEESt5tupleIJNSA_6TensorESF_SF_EERKSF_lbbbEUlllE_EE10hipError_tT0_T1_T2_jT3_P12ihipStream_tbPNSt15iterator_traitsISL_E10value_typeEPNSR_ISM_E10value_typeEPSN_NS1_7vsmem_tEENKUlT_SL_SM_SN_E_clIS8_S8_S9_S9_EESK_S10_SL_SM_SN_EUlS10_E_NS1_11comp_targetILNS1_3genE0ELNS1_11target_archE4294967295ELNS1_3gpuE0ELNS1_3repE0EEENS1_48merge_mergepath_partition_config_static_selectorELNS0_4arch9wavefront6targetE0EEEvSM_,comdat
	.globl	_ZN7rocprim17ROCPRIM_400000_NS6detail17trampoline_kernelINS0_14default_configENS1_38merge_sort_block_merge_config_selectorIlNS0_10empty_typeEEEZZNS1_27merge_sort_block_merge_implIS3_PlPS5_mZN2at6native12_GLOBAL__N_124unique_dim_cuda_templateImEESt5tupleIJNSA_6TensorESF_SF_EERKSF_lbbbEUlllE_EE10hipError_tT0_T1_T2_jT3_P12ihipStream_tbPNSt15iterator_traitsISL_E10value_typeEPNSR_ISM_E10value_typeEPSN_NS1_7vsmem_tEENKUlT_SL_SM_SN_E_clIS8_S8_S9_S9_EESK_S10_SL_SM_SN_EUlS10_E_NS1_11comp_targetILNS1_3genE0ELNS1_11target_archE4294967295ELNS1_3gpuE0ELNS1_3repE0EEENS1_48merge_mergepath_partition_config_static_selectorELNS0_4arch9wavefront6targetE0EEEvSM_ ; -- Begin function _ZN7rocprim17ROCPRIM_400000_NS6detail17trampoline_kernelINS0_14default_configENS1_38merge_sort_block_merge_config_selectorIlNS0_10empty_typeEEEZZNS1_27merge_sort_block_merge_implIS3_PlPS5_mZN2at6native12_GLOBAL__N_124unique_dim_cuda_templateImEESt5tupleIJNSA_6TensorESF_SF_EERKSF_lbbbEUlllE_EE10hipError_tT0_T1_T2_jT3_P12ihipStream_tbPNSt15iterator_traitsISL_E10value_typeEPNSR_ISM_E10value_typeEPSN_NS1_7vsmem_tEENKUlT_SL_SM_SN_E_clIS8_S8_S9_S9_EESK_S10_SL_SM_SN_EUlS10_E_NS1_11comp_targetILNS1_3genE0ELNS1_11target_archE4294967295ELNS1_3gpuE0ELNS1_3repE0EEENS1_48merge_mergepath_partition_config_static_selectorELNS0_4arch9wavefront6targetE0EEEvSM_
	.p2align	8
	.type	_ZN7rocprim17ROCPRIM_400000_NS6detail17trampoline_kernelINS0_14default_configENS1_38merge_sort_block_merge_config_selectorIlNS0_10empty_typeEEEZZNS1_27merge_sort_block_merge_implIS3_PlPS5_mZN2at6native12_GLOBAL__N_124unique_dim_cuda_templateImEESt5tupleIJNSA_6TensorESF_SF_EERKSF_lbbbEUlllE_EE10hipError_tT0_T1_T2_jT3_P12ihipStream_tbPNSt15iterator_traitsISL_E10value_typeEPNSR_ISM_E10value_typeEPSN_NS1_7vsmem_tEENKUlT_SL_SM_SN_E_clIS8_S8_S9_S9_EESK_S10_SL_SM_SN_EUlS10_E_NS1_11comp_targetILNS1_3genE0ELNS1_11target_archE4294967295ELNS1_3gpuE0ELNS1_3repE0EEENS1_48merge_mergepath_partition_config_static_selectorELNS0_4arch9wavefront6targetE0EEEvSM_,@function
_ZN7rocprim17ROCPRIM_400000_NS6detail17trampoline_kernelINS0_14default_configENS1_38merge_sort_block_merge_config_selectorIlNS0_10empty_typeEEEZZNS1_27merge_sort_block_merge_implIS3_PlPS5_mZN2at6native12_GLOBAL__N_124unique_dim_cuda_templateImEESt5tupleIJNSA_6TensorESF_SF_EERKSF_lbbbEUlllE_EE10hipError_tT0_T1_T2_jT3_P12ihipStream_tbPNSt15iterator_traitsISL_E10value_typeEPNSR_ISM_E10value_typeEPSN_NS1_7vsmem_tEENKUlT_SL_SM_SN_E_clIS8_S8_S9_S9_EESK_S10_SL_SM_SN_EUlS10_E_NS1_11comp_targetILNS1_3genE0ELNS1_11target_archE4294967295ELNS1_3gpuE0ELNS1_3repE0EEENS1_48merge_mergepath_partition_config_static_selectorELNS0_4arch9wavefront6targetE0EEEvSM_: ; @_ZN7rocprim17ROCPRIM_400000_NS6detail17trampoline_kernelINS0_14default_configENS1_38merge_sort_block_merge_config_selectorIlNS0_10empty_typeEEEZZNS1_27merge_sort_block_merge_implIS3_PlPS5_mZN2at6native12_GLOBAL__N_124unique_dim_cuda_templateImEESt5tupleIJNSA_6TensorESF_SF_EERKSF_lbbbEUlllE_EE10hipError_tT0_T1_T2_jT3_P12ihipStream_tbPNSt15iterator_traitsISL_E10value_typeEPNSR_ISM_E10value_typeEPSN_NS1_7vsmem_tEENKUlT_SL_SM_SN_E_clIS8_S8_S9_S9_EESK_S10_SL_SM_SN_EUlS10_E_NS1_11comp_targetILNS1_3genE0ELNS1_11target_archE4294967295ELNS1_3gpuE0ELNS1_3repE0EEENS1_48merge_mergepath_partition_config_static_selectorELNS0_4arch9wavefront6targetE0EEEvSM_
; %bb.0:
	s_load_b32 s2, s[0:1], 0x0
	s_bfe_u32 s3, ttmp6, 0x4000c
	s_and_b32 s4, ttmp6, 15
	s_add_co_i32 s3, s3, 1
	s_getreg_b32 s5, hwreg(HW_REG_IB_STS2, 6, 4)
	s_mul_i32 s3, ttmp9, s3
	s_delay_alu instid0(SALU_CYCLE_1) | instskip(SKIP_2) | instid1(SALU_CYCLE_1)
	s_add_co_i32 s4, s4, s3
	s_cmp_eq_u32 s5, 0
	s_cselect_b32 s3, ttmp9, s4
	v_lshl_or_b32 v16, s3, 7, v0
	s_wait_kmcnt 0x0
	s_delay_alu instid0(VALU_DEP_1)
	v_cmp_gt_u32_e32 vcc_lo, s2, v16
	s_and_saveexec_b32 s2, vcc_lo
	s_cbranch_execz .LBB1614_12
; %bb.1:
	s_load_b128 s[4:7], s[0:1], 0x8
	s_wait_kmcnt 0x0
	s_lshr_b64 s[2:3], s[4:5], 9
	s_delay_alu instid0(SALU_CYCLE_1) | instskip(NEXT) | instid1(SALU_CYCLE_1)
	s_and_b32 s2, s2, -2
	s_sub_co_i32 s3, 0, s2
	s_delay_alu instid0(SALU_CYCLE_1) | instskip(SKIP_1) | instid1(VALU_DEP_1)
	v_dual_mov_b32 v3, 0 :: v_dual_bitop2_b32 v2, s3, v16 bitop3:0x40
	s_add_co_i32 s2, s2, -1
	v_lshlrev_b64_e32 v[0:1], 10, v[2:3]
	v_and_b32_e32 v2, s2, v16
	s_delay_alu instid0(VALU_DEP_1) | instskip(NEXT) | instid1(VALU_DEP_3)
	v_lshlrev_b64_e32 v[2:3], 10, v[2:3]
	v_add_nc_u64_e32 v[4:5], s[4:5], v[0:1]
	v_min_u64 v[0:1], s[6:7], v[0:1]
	s_delay_alu instid0(VALU_DEP_2) | instskip(NEXT) | instid1(VALU_DEP_1)
	v_min_u64 v[6:7], s[6:7], v[4:5]
	v_add_nc_u64_e32 v[4:5], s[4:5], v[6:7]
	s_delay_alu instid0(VALU_DEP_1) | instskip(SKIP_3) | instid1(VALU_DEP_1)
	v_min_u64 v[4:5], s[6:7], v[4:5]
	s_load_b256 s[4:11], s[0:1], 0x18
	s_wait_xcnt 0x0
	s_mov_b32 s1, exec_lo
	v_sub_nc_u64_e32 v[8:9], v[4:5], v[0:1]
	s_delay_alu instid0(VALU_DEP_1) | instskip(SKIP_2) | instid1(VALU_DEP_2)
	v_min_u64 v[8:9], v[8:9], v[2:3]
	v_sub_nc_u64_e32 v[2:3], v[4:5], v[6:7]
	v_sub_nc_u64_e32 v[4:5], v[6:7], v[0:1]
	v_max_u64 v[10:11], v[8:9], v[2:3]
	s_delay_alu instid0(VALU_DEP_2) | instskip(NEXT) | instid1(VALU_DEP_2)
	v_min_u64 v[4:5], v[8:9], v[4:5]
	v_sub_nc_u64_e32 v[2:3], v[10:11], v[2:3]
	s_delay_alu instid0(VALU_DEP_1)
	v_cmpx_lt_u64_e64 v[2:3], v[4:5]
	s_cbranch_execz .LBB1614_11
; %bb.2:
	s_wait_kmcnt 0x0
	v_lshl_add_u64 v[10:11], v[6:7], 3, s[4:5]
	v_cmp_gt_i64_e64 s12, s[6:7], 0
	v_lshl_add_u64 v[6:7], v[0:1], 3, s[4:5]
	s_lshl_b64 s[2:3], s[6:7], 3
	s_mov_b32 s13, 0
	v_lshl_add_u64 v[8:9], v[8:9], 3, v[10:11]
	s_branch .LBB1614_5
.LBB1614_3:                             ;   in Loop: Header=BB1614_5 Depth=1
	s_or_b32 exec_lo, exec_lo, s15
.LBB1614_4:                             ;   in Loop: Header=BB1614_5 Depth=1
	s_delay_alu instid0(VALU_DEP_1) | instskip(SKIP_1) | instid1(VALU_DEP_2)
	v_add_nc_u64_e32 v[12:13], 1, v[10:11]
	v_dual_cndmask_b32 v5, v5, v11, s14 :: v_dual_cndmask_b32 v4, v4, v10, s14
	v_dual_cndmask_b32 v3, v13, v3, s14 :: v_dual_cndmask_b32 v2, v12, v2, s14
	s_delay_alu instid0(VALU_DEP_1) | instskip(SKIP_1) | instid1(SALU_CYCLE_1)
	v_cmp_ge_u64_e32 vcc_lo, v[2:3], v[4:5]
	s_or_b32 s13, vcc_lo, s13
	s_and_not1_b32 exec_lo, exec_lo, s13
	s_cbranch_execz .LBB1614_10
.LBB1614_5:                             ; =>This Loop Header: Depth=1
                                        ;     Child Loop BB1614_8 Depth 2
	v_add_nc_u64_e32 v[10:11], v[4:5], v[2:3]
	s_and_not1_b32 vcc_lo, exec_lo, s12
	s_mov_b32 s14, 0
	s_delay_alu instid0(VALU_DEP_1)
	v_lshrrev_b64 v[10:11], 1, v[10:11]
	s_cbranch_vccnz .LBB1614_4
; %bb.6:                                ;   in Loop: Header=BB1614_5 Depth=1
	s_delay_alu instid0(VALU_DEP_1) | instskip(NEXT) | instid1(VALU_DEP_2)
	v_not_b32_e32 v13, v11
	v_not_b32_e32 v12, v10
	v_lshl_add_u64 v[14:15], v[10:11], 3, v[6:7]
	s_mov_b32 s15, 0
	s_mov_b64 s[4:5], s[6:7]
                                        ; implicit-def: $sgpr14
                                        ; implicit-def: $sgpr16
                                        ; implicit-def: $sgpr17
                                        ; implicit-def: $sgpr18
	s_delay_alu instid0(VALU_DEP_2)
	v_lshl_add_u64 v[12:13], v[12:13], 3, v[8:9]
	s_clause 0x1
	global_load_b64 v[18:19], v[12:13], off
	global_load_b64 v[20:21], v[14:15], off
	s_wait_loadcnt 0x1
	s_wait_xcnt 0x1
	v_mad_nc_u64_u32 v[12:13], s2, v18, s[8:9]
	s_wait_loadcnt 0x0
	v_mad_nc_u64_u32 v[14:15], s2, v20, s[8:9]
	s_delay_alu instid0(VALU_DEP_2) | instskip(NEXT) | instid1(VALU_DEP_2)
	v_mad_u32 v13, s3, v18, v13
	v_mad_u32 v15, s3, v20, v15
	s_delay_alu instid0(VALU_DEP_2) | instskip(NEXT) | instid1(VALU_DEP_2)
	v_mad_u32 v13, s2, v19, v13
	v_mad_u32 v15, s2, v21, v15
	s_branch .LBB1614_8
.LBB1614_7:                             ;   in Loop: Header=BB1614_8 Depth=2
	s_or_b32 exec_lo, exec_lo, s19
	s_delay_alu instid0(SALU_CYCLE_1) | instskip(NEXT) | instid1(SALU_CYCLE_1)
	s_and_b32 s19, exec_lo, s16
	s_or_b32 s15, s19, s15
	s_and_not1_b32 s18, s18, exec_lo
	s_and_b32 s0, s0, exec_lo
	s_and_not1_b32 s14, s14, exec_lo
	s_and_b32 s19, s17, exec_lo
	s_or_b32 s18, s18, s0
	s_or_b32 s14, s14, s19
	s_and_not1_b32 exec_lo, exec_lo, s15
	s_cbranch_execz .LBB1614_3
.LBB1614_8:                             ;   Parent Loop BB1614_5 Depth=1
                                        ; =>  This Inner Loop Header: Depth=2
	global_load_b64 v[18:19], v[12:13], off
	global_load_b64 v[20:21], v[14:15], off
	s_and_not1_b32 s17, s17, exec_lo
	s_or_b32 s16, s16, exec_lo
	s_wait_loadcnt 0x0
	v_cmp_le_u64_e32 vcc_lo, v[18:19], v[20:21]
	v_cmp_lt_u64_e64 s0, v[18:19], v[20:21]
	s_and_b32 s19, vcc_lo, s18
	s_delay_alu instid0(SALU_CYCLE_1) | instskip(NEXT) | instid1(SALU_CYCLE_1)
	s_or_b32 s0, s0, s19
	s_and_b32 s19, s0, exec_lo
	s_delay_alu instid0(SALU_CYCLE_1)
	s_or_b32 s17, s17, s19
	s_mov_b32 s19, exec_lo
	v_cmpx_eq_u64_e64 v[18:19], v[20:21]
	s_cbranch_execz .LBB1614_7
; %bb.9:                                ;   in Loop: Header=BB1614_8 Depth=2
	s_add_nc_u64 s[4:5], s[4:5], -1
	v_add_nc_u64_e32 v[12:13], 8, v[12:13]
	s_cmp_eq_u64 s[4:5], 0
	v_add_nc_u64_e32 v[14:15], 8, v[14:15]
	s_cselect_b32 s18, -1, 0
	s_and_not1_b32 s16, s16, exec_lo
	s_and_b32 s18, s18, exec_lo
	s_and_not1_b32 s17, s17, exec_lo
	s_or_b32 s16, s16, s18
                                        ; implicit-def: $sgpr18
	s_branch .LBB1614_7
.LBB1614_10:
	s_or_b32 exec_lo, exec_lo, s13
.LBB1614_11:
	s_delay_alu instid0(SALU_CYCLE_1)
	s_or_b32 exec_lo, exec_lo, s1
	v_add_nc_u64_e32 v[0:1], v[2:3], v[0:1]
	s_wait_kmcnt 0x0
	global_store_b64 v16, v[0:1], s[10:11] scale_offset
.LBB1614_12:
	s_endpgm
	.section	.rodata,"a",@progbits
	.p2align	6, 0x0
	.amdhsa_kernel _ZN7rocprim17ROCPRIM_400000_NS6detail17trampoline_kernelINS0_14default_configENS1_38merge_sort_block_merge_config_selectorIlNS0_10empty_typeEEEZZNS1_27merge_sort_block_merge_implIS3_PlPS5_mZN2at6native12_GLOBAL__N_124unique_dim_cuda_templateImEESt5tupleIJNSA_6TensorESF_SF_EERKSF_lbbbEUlllE_EE10hipError_tT0_T1_T2_jT3_P12ihipStream_tbPNSt15iterator_traitsISL_E10value_typeEPNSR_ISM_E10value_typeEPSN_NS1_7vsmem_tEENKUlT_SL_SM_SN_E_clIS8_S8_S9_S9_EESK_S10_SL_SM_SN_EUlS10_E_NS1_11comp_targetILNS1_3genE0ELNS1_11target_archE4294967295ELNS1_3gpuE0ELNS1_3repE0EEENS1_48merge_mergepath_partition_config_static_selectorELNS0_4arch9wavefront6targetE0EEEvSM_
		.amdhsa_group_segment_fixed_size 0
		.amdhsa_private_segment_fixed_size 0
		.amdhsa_kernarg_size 56
		.amdhsa_user_sgpr_count 2
		.amdhsa_user_sgpr_dispatch_ptr 0
		.amdhsa_user_sgpr_queue_ptr 0
		.amdhsa_user_sgpr_kernarg_segment_ptr 1
		.amdhsa_user_sgpr_dispatch_id 0
		.amdhsa_user_sgpr_kernarg_preload_length 0
		.amdhsa_user_sgpr_kernarg_preload_offset 0
		.amdhsa_user_sgpr_private_segment_size 0
		.amdhsa_wavefront_size32 1
		.amdhsa_uses_dynamic_stack 0
		.amdhsa_enable_private_segment 0
		.amdhsa_system_sgpr_workgroup_id_x 1
		.amdhsa_system_sgpr_workgroup_id_y 0
		.amdhsa_system_sgpr_workgroup_id_z 0
		.amdhsa_system_sgpr_workgroup_info 0
		.amdhsa_system_vgpr_workitem_id 0
		.amdhsa_next_free_vgpr 22
		.amdhsa_next_free_sgpr 20
		.amdhsa_named_barrier_count 0
		.amdhsa_reserve_vcc 1
		.amdhsa_float_round_mode_32 0
		.amdhsa_float_round_mode_16_64 0
		.amdhsa_float_denorm_mode_32 3
		.amdhsa_float_denorm_mode_16_64 3
		.amdhsa_fp16_overflow 0
		.amdhsa_memory_ordered 1
		.amdhsa_forward_progress 1
		.amdhsa_inst_pref_size 6
		.amdhsa_round_robin_scheduling 0
		.amdhsa_exception_fp_ieee_invalid_op 0
		.amdhsa_exception_fp_denorm_src 0
		.amdhsa_exception_fp_ieee_div_zero 0
		.amdhsa_exception_fp_ieee_overflow 0
		.amdhsa_exception_fp_ieee_underflow 0
		.amdhsa_exception_fp_ieee_inexact 0
		.amdhsa_exception_int_div_zero 0
	.end_amdhsa_kernel
	.section	.text._ZN7rocprim17ROCPRIM_400000_NS6detail17trampoline_kernelINS0_14default_configENS1_38merge_sort_block_merge_config_selectorIlNS0_10empty_typeEEEZZNS1_27merge_sort_block_merge_implIS3_PlPS5_mZN2at6native12_GLOBAL__N_124unique_dim_cuda_templateImEESt5tupleIJNSA_6TensorESF_SF_EERKSF_lbbbEUlllE_EE10hipError_tT0_T1_T2_jT3_P12ihipStream_tbPNSt15iterator_traitsISL_E10value_typeEPNSR_ISM_E10value_typeEPSN_NS1_7vsmem_tEENKUlT_SL_SM_SN_E_clIS8_S8_S9_S9_EESK_S10_SL_SM_SN_EUlS10_E_NS1_11comp_targetILNS1_3genE0ELNS1_11target_archE4294967295ELNS1_3gpuE0ELNS1_3repE0EEENS1_48merge_mergepath_partition_config_static_selectorELNS0_4arch9wavefront6targetE0EEEvSM_,"axG",@progbits,_ZN7rocprim17ROCPRIM_400000_NS6detail17trampoline_kernelINS0_14default_configENS1_38merge_sort_block_merge_config_selectorIlNS0_10empty_typeEEEZZNS1_27merge_sort_block_merge_implIS3_PlPS5_mZN2at6native12_GLOBAL__N_124unique_dim_cuda_templateImEESt5tupleIJNSA_6TensorESF_SF_EERKSF_lbbbEUlllE_EE10hipError_tT0_T1_T2_jT3_P12ihipStream_tbPNSt15iterator_traitsISL_E10value_typeEPNSR_ISM_E10value_typeEPSN_NS1_7vsmem_tEENKUlT_SL_SM_SN_E_clIS8_S8_S9_S9_EESK_S10_SL_SM_SN_EUlS10_E_NS1_11comp_targetILNS1_3genE0ELNS1_11target_archE4294967295ELNS1_3gpuE0ELNS1_3repE0EEENS1_48merge_mergepath_partition_config_static_selectorELNS0_4arch9wavefront6targetE0EEEvSM_,comdat
.Lfunc_end1614:
	.size	_ZN7rocprim17ROCPRIM_400000_NS6detail17trampoline_kernelINS0_14default_configENS1_38merge_sort_block_merge_config_selectorIlNS0_10empty_typeEEEZZNS1_27merge_sort_block_merge_implIS3_PlPS5_mZN2at6native12_GLOBAL__N_124unique_dim_cuda_templateImEESt5tupleIJNSA_6TensorESF_SF_EERKSF_lbbbEUlllE_EE10hipError_tT0_T1_T2_jT3_P12ihipStream_tbPNSt15iterator_traitsISL_E10value_typeEPNSR_ISM_E10value_typeEPSN_NS1_7vsmem_tEENKUlT_SL_SM_SN_E_clIS8_S8_S9_S9_EESK_S10_SL_SM_SN_EUlS10_E_NS1_11comp_targetILNS1_3genE0ELNS1_11target_archE4294967295ELNS1_3gpuE0ELNS1_3repE0EEENS1_48merge_mergepath_partition_config_static_selectorELNS0_4arch9wavefront6targetE0EEEvSM_, .Lfunc_end1614-_ZN7rocprim17ROCPRIM_400000_NS6detail17trampoline_kernelINS0_14default_configENS1_38merge_sort_block_merge_config_selectorIlNS0_10empty_typeEEEZZNS1_27merge_sort_block_merge_implIS3_PlPS5_mZN2at6native12_GLOBAL__N_124unique_dim_cuda_templateImEESt5tupleIJNSA_6TensorESF_SF_EERKSF_lbbbEUlllE_EE10hipError_tT0_T1_T2_jT3_P12ihipStream_tbPNSt15iterator_traitsISL_E10value_typeEPNSR_ISM_E10value_typeEPSN_NS1_7vsmem_tEENKUlT_SL_SM_SN_E_clIS8_S8_S9_S9_EESK_S10_SL_SM_SN_EUlS10_E_NS1_11comp_targetILNS1_3genE0ELNS1_11target_archE4294967295ELNS1_3gpuE0ELNS1_3repE0EEENS1_48merge_mergepath_partition_config_static_selectorELNS0_4arch9wavefront6targetE0EEEvSM_
                                        ; -- End function
	.set _ZN7rocprim17ROCPRIM_400000_NS6detail17trampoline_kernelINS0_14default_configENS1_38merge_sort_block_merge_config_selectorIlNS0_10empty_typeEEEZZNS1_27merge_sort_block_merge_implIS3_PlPS5_mZN2at6native12_GLOBAL__N_124unique_dim_cuda_templateImEESt5tupleIJNSA_6TensorESF_SF_EERKSF_lbbbEUlllE_EE10hipError_tT0_T1_T2_jT3_P12ihipStream_tbPNSt15iterator_traitsISL_E10value_typeEPNSR_ISM_E10value_typeEPSN_NS1_7vsmem_tEENKUlT_SL_SM_SN_E_clIS8_S8_S9_S9_EESK_S10_SL_SM_SN_EUlS10_E_NS1_11comp_targetILNS1_3genE0ELNS1_11target_archE4294967295ELNS1_3gpuE0ELNS1_3repE0EEENS1_48merge_mergepath_partition_config_static_selectorELNS0_4arch9wavefront6targetE0EEEvSM_.num_vgpr, 22
	.set _ZN7rocprim17ROCPRIM_400000_NS6detail17trampoline_kernelINS0_14default_configENS1_38merge_sort_block_merge_config_selectorIlNS0_10empty_typeEEEZZNS1_27merge_sort_block_merge_implIS3_PlPS5_mZN2at6native12_GLOBAL__N_124unique_dim_cuda_templateImEESt5tupleIJNSA_6TensorESF_SF_EERKSF_lbbbEUlllE_EE10hipError_tT0_T1_T2_jT3_P12ihipStream_tbPNSt15iterator_traitsISL_E10value_typeEPNSR_ISM_E10value_typeEPSN_NS1_7vsmem_tEENKUlT_SL_SM_SN_E_clIS8_S8_S9_S9_EESK_S10_SL_SM_SN_EUlS10_E_NS1_11comp_targetILNS1_3genE0ELNS1_11target_archE4294967295ELNS1_3gpuE0ELNS1_3repE0EEENS1_48merge_mergepath_partition_config_static_selectorELNS0_4arch9wavefront6targetE0EEEvSM_.num_agpr, 0
	.set _ZN7rocprim17ROCPRIM_400000_NS6detail17trampoline_kernelINS0_14default_configENS1_38merge_sort_block_merge_config_selectorIlNS0_10empty_typeEEEZZNS1_27merge_sort_block_merge_implIS3_PlPS5_mZN2at6native12_GLOBAL__N_124unique_dim_cuda_templateImEESt5tupleIJNSA_6TensorESF_SF_EERKSF_lbbbEUlllE_EE10hipError_tT0_T1_T2_jT3_P12ihipStream_tbPNSt15iterator_traitsISL_E10value_typeEPNSR_ISM_E10value_typeEPSN_NS1_7vsmem_tEENKUlT_SL_SM_SN_E_clIS8_S8_S9_S9_EESK_S10_SL_SM_SN_EUlS10_E_NS1_11comp_targetILNS1_3genE0ELNS1_11target_archE4294967295ELNS1_3gpuE0ELNS1_3repE0EEENS1_48merge_mergepath_partition_config_static_selectorELNS0_4arch9wavefront6targetE0EEEvSM_.numbered_sgpr, 20
	.set _ZN7rocprim17ROCPRIM_400000_NS6detail17trampoline_kernelINS0_14default_configENS1_38merge_sort_block_merge_config_selectorIlNS0_10empty_typeEEEZZNS1_27merge_sort_block_merge_implIS3_PlPS5_mZN2at6native12_GLOBAL__N_124unique_dim_cuda_templateImEESt5tupleIJNSA_6TensorESF_SF_EERKSF_lbbbEUlllE_EE10hipError_tT0_T1_T2_jT3_P12ihipStream_tbPNSt15iterator_traitsISL_E10value_typeEPNSR_ISM_E10value_typeEPSN_NS1_7vsmem_tEENKUlT_SL_SM_SN_E_clIS8_S8_S9_S9_EESK_S10_SL_SM_SN_EUlS10_E_NS1_11comp_targetILNS1_3genE0ELNS1_11target_archE4294967295ELNS1_3gpuE0ELNS1_3repE0EEENS1_48merge_mergepath_partition_config_static_selectorELNS0_4arch9wavefront6targetE0EEEvSM_.num_named_barrier, 0
	.set _ZN7rocprim17ROCPRIM_400000_NS6detail17trampoline_kernelINS0_14default_configENS1_38merge_sort_block_merge_config_selectorIlNS0_10empty_typeEEEZZNS1_27merge_sort_block_merge_implIS3_PlPS5_mZN2at6native12_GLOBAL__N_124unique_dim_cuda_templateImEESt5tupleIJNSA_6TensorESF_SF_EERKSF_lbbbEUlllE_EE10hipError_tT0_T1_T2_jT3_P12ihipStream_tbPNSt15iterator_traitsISL_E10value_typeEPNSR_ISM_E10value_typeEPSN_NS1_7vsmem_tEENKUlT_SL_SM_SN_E_clIS8_S8_S9_S9_EESK_S10_SL_SM_SN_EUlS10_E_NS1_11comp_targetILNS1_3genE0ELNS1_11target_archE4294967295ELNS1_3gpuE0ELNS1_3repE0EEENS1_48merge_mergepath_partition_config_static_selectorELNS0_4arch9wavefront6targetE0EEEvSM_.private_seg_size, 0
	.set _ZN7rocprim17ROCPRIM_400000_NS6detail17trampoline_kernelINS0_14default_configENS1_38merge_sort_block_merge_config_selectorIlNS0_10empty_typeEEEZZNS1_27merge_sort_block_merge_implIS3_PlPS5_mZN2at6native12_GLOBAL__N_124unique_dim_cuda_templateImEESt5tupleIJNSA_6TensorESF_SF_EERKSF_lbbbEUlllE_EE10hipError_tT0_T1_T2_jT3_P12ihipStream_tbPNSt15iterator_traitsISL_E10value_typeEPNSR_ISM_E10value_typeEPSN_NS1_7vsmem_tEENKUlT_SL_SM_SN_E_clIS8_S8_S9_S9_EESK_S10_SL_SM_SN_EUlS10_E_NS1_11comp_targetILNS1_3genE0ELNS1_11target_archE4294967295ELNS1_3gpuE0ELNS1_3repE0EEENS1_48merge_mergepath_partition_config_static_selectorELNS0_4arch9wavefront6targetE0EEEvSM_.uses_vcc, 1
	.set _ZN7rocprim17ROCPRIM_400000_NS6detail17trampoline_kernelINS0_14default_configENS1_38merge_sort_block_merge_config_selectorIlNS0_10empty_typeEEEZZNS1_27merge_sort_block_merge_implIS3_PlPS5_mZN2at6native12_GLOBAL__N_124unique_dim_cuda_templateImEESt5tupleIJNSA_6TensorESF_SF_EERKSF_lbbbEUlllE_EE10hipError_tT0_T1_T2_jT3_P12ihipStream_tbPNSt15iterator_traitsISL_E10value_typeEPNSR_ISM_E10value_typeEPSN_NS1_7vsmem_tEENKUlT_SL_SM_SN_E_clIS8_S8_S9_S9_EESK_S10_SL_SM_SN_EUlS10_E_NS1_11comp_targetILNS1_3genE0ELNS1_11target_archE4294967295ELNS1_3gpuE0ELNS1_3repE0EEENS1_48merge_mergepath_partition_config_static_selectorELNS0_4arch9wavefront6targetE0EEEvSM_.uses_flat_scratch, 0
	.set _ZN7rocprim17ROCPRIM_400000_NS6detail17trampoline_kernelINS0_14default_configENS1_38merge_sort_block_merge_config_selectorIlNS0_10empty_typeEEEZZNS1_27merge_sort_block_merge_implIS3_PlPS5_mZN2at6native12_GLOBAL__N_124unique_dim_cuda_templateImEESt5tupleIJNSA_6TensorESF_SF_EERKSF_lbbbEUlllE_EE10hipError_tT0_T1_T2_jT3_P12ihipStream_tbPNSt15iterator_traitsISL_E10value_typeEPNSR_ISM_E10value_typeEPSN_NS1_7vsmem_tEENKUlT_SL_SM_SN_E_clIS8_S8_S9_S9_EESK_S10_SL_SM_SN_EUlS10_E_NS1_11comp_targetILNS1_3genE0ELNS1_11target_archE4294967295ELNS1_3gpuE0ELNS1_3repE0EEENS1_48merge_mergepath_partition_config_static_selectorELNS0_4arch9wavefront6targetE0EEEvSM_.has_dyn_sized_stack, 0
	.set _ZN7rocprim17ROCPRIM_400000_NS6detail17trampoline_kernelINS0_14default_configENS1_38merge_sort_block_merge_config_selectorIlNS0_10empty_typeEEEZZNS1_27merge_sort_block_merge_implIS3_PlPS5_mZN2at6native12_GLOBAL__N_124unique_dim_cuda_templateImEESt5tupleIJNSA_6TensorESF_SF_EERKSF_lbbbEUlllE_EE10hipError_tT0_T1_T2_jT3_P12ihipStream_tbPNSt15iterator_traitsISL_E10value_typeEPNSR_ISM_E10value_typeEPSN_NS1_7vsmem_tEENKUlT_SL_SM_SN_E_clIS8_S8_S9_S9_EESK_S10_SL_SM_SN_EUlS10_E_NS1_11comp_targetILNS1_3genE0ELNS1_11target_archE4294967295ELNS1_3gpuE0ELNS1_3repE0EEENS1_48merge_mergepath_partition_config_static_selectorELNS0_4arch9wavefront6targetE0EEEvSM_.has_recursion, 0
	.set _ZN7rocprim17ROCPRIM_400000_NS6detail17trampoline_kernelINS0_14default_configENS1_38merge_sort_block_merge_config_selectorIlNS0_10empty_typeEEEZZNS1_27merge_sort_block_merge_implIS3_PlPS5_mZN2at6native12_GLOBAL__N_124unique_dim_cuda_templateImEESt5tupleIJNSA_6TensorESF_SF_EERKSF_lbbbEUlllE_EE10hipError_tT0_T1_T2_jT3_P12ihipStream_tbPNSt15iterator_traitsISL_E10value_typeEPNSR_ISM_E10value_typeEPSN_NS1_7vsmem_tEENKUlT_SL_SM_SN_E_clIS8_S8_S9_S9_EESK_S10_SL_SM_SN_EUlS10_E_NS1_11comp_targetILNS1_3genE0ELNS1_11target_archE4294967295ELNS1_3gpuE0ELNS1_3repE0EEENS1_48merge_mergepath_partition_config_static_selectorELNS0_4arch9wavefront6targetE0EEEvSM_.has_indirect_call, 0
	.section	.AMDGPU.csdata,"",@progbits
; Kernel info:
; codeLenInByte = 744
; TotalNumSgprs: 22
; NumVgprs: 22
; ScratchSize: 0
; MemoryBound: 0
; FloatMode: 240
; IeeeMode: 1
; LDSByteSize: 0 bytes/workgroup (compile time only)
; SGPRBlocks: 0
; VGPRBlocks: 1
; NumSGPRsForWavesPerEU: 22
; NumVGPRsForWavesPerEU: 22
; NamedBarCnt: 0
; Occupancy: 16
; WaveLimiterHint : 0
; COMPUTE_PGM_RSRC2:SCRATCH_EN: 0
; COMPUTE_PGM_RSRC2:USER_SGPR: 2
; COMPUTE_PGM_RSRC2:TRAP_HANDLER: 0
; COMPUTE_PGM_RSRC2:TGID_X_EN: 1
; COMPUTE_PGM_RSRC2:TGID_Y_EN: 0
; COMPUTE_PGM_RSRC2:TGID_Z_EN: 0
; COMPUTE_PGM_RSRC2:TIDIG_COMP_CNT: 0
	.section	.text._ZN7rocprim17ROCPRIM_400000_NS6detail17trampoline_kernelINS0_14default_configENS1_38merge_sort_block_merge_config_selectorIlNS0_10empty_typeEEEZZNS1_27merge_sort_block_merge_implIS3_PlPS5_mZN2at6native12_GLOBAL__N_124unique_dim_cuda_templateImEESt5tupleIJNSA_6TensorESF_SF_EERKSF_lbbbEUlllE_EE10hipError_tT0_T1_T2_jT3_P12ihipStream_tbPNSt15iterator_traitsISL_E10value_typeEPNSR_ISM_E10value_typeEPSN_NS1_7vsmem_tEENKUlT_SL_SM_SN_E_clIS8_S8_S9_S9_EESK_S10_SL_SM_SN_EUlS10_E_NS1_11comp_targetILNS1_3genE10ELNS1_11target_archE1201ELNS1_3gpuE5ELNS1_3repE0EEENS1_48merge_mergepath_partition_config_static_selectorELNS0_4arch9wavefront6targetE0EEEvSM_,"axG",@progbits,_ZN7rocprim17ROCPRIM_400000_NS6detail17trampoline_kernelINS0_14default_configENS1_38merge_sort_block_merge_config_selectorIlNS0_10empty_typeEEEZZNS1_27merge_sort_block_merge_implIS3_PlPS5_mZN2at6native12_GLOBAL__N_124unique_dim_cuda_templateImEESt5tupleIJNSA_6TensorESF_SF_EERKSF_lbbbEUlllE_EE10hipError_tT0_T1_T2_jT3_P12ihipStream_tbPNSt15iterator_traitsISL_E10value_typeEPNSR_ISM_E10value_typeEPSN_NS1_7vsmem_tEENKUlT_SL_SM_SN_E_clIS8_S8_S9_S9_EESK_S10_SL_SM_SN_EUlS10_E_NS1_11comp_targetILNS1_3genE10ELNS1_11target_archE1201ELNS1_3gpuE5ELNS1_3repE0EEENS1_48merge_mergepath_partition_config_static_selectorELNS0_4arch9wavefront6targetE0EEEvSM_,comdat
	.globl	_ZN7rocprim17ROCPRIM_400000_NS6detail17trampoline_kernelINS0_14default_configENS1_38merge_sort_block_merge_config_selectorIlNS0_10empty_typeEEEZZNS1_27merge_sort_block_merge_implIS3_PlPS5_mZN2at6native12_GLOBAL__N_124unique_dim_cuda_templateImEESt5tupleIJNSA_6TensorESF_SF_EERKSF_lbbbEUlllE_EE10hipError_tT0_T1_T2_jT3_P12ihipStream_tbPNSt15iterator_traitsISL_E10value_typeEPNSR_ISM_E10value_typeEPSN_NS1_7vsmem_tEENKUlT_SL_SM_SN_E_clIS8_S8_S9_S9_EESK_S10_SL_SM_SN_EUlS10_E_NS1_11comp_targetILNS1_3genE10ELNS1_11target_archE1201ELNS1_3gpuE5ELNS1_3repE0EEENS1_48merge_mergepath_partition_config_static_selectorELNS0_4arch9wavefront6targetE0EEEvSM_ ; -- Begin function _ZN7rocprim17ROCPRIM_400000_NS6detail17trampoline_kernelINS0_14default_configENS1_38merge_sort_block_merge_config_selectorIlNS0_10empty_typeEEEZZNS1_27merge_sort_block_merge_implIS3_PlPS5_mZN2at6native12_GLOBAL__N_124unique_dim_cuda_templateImEESt5tupleIJNSA_6TensorESF_SF_EERKSF_lbbbEUlllE_EE10hipError_tT0_T1_T2_jT3_P12ihipStream_tbPNSt15iterator_traitsISL_E10value_typeEPNSR_ISM_E10value_typeEPSN_NS1_7vsmem_tEENKUlT_SL_SM_SN_E_clIS8_S8_S9_S9_EESK_S10_SL_SM_SN_EUlS10_E_NS1_11comp_targetILNS1_3genE10ELNS1_11target_archE1201ELNS1_3gpuE5ELNS1_3repE0EEENS1_48merge_mergepath_partition_config_static_selectorELNS0_4arch9wavefront6targetE0EEEvSM_
	.p2align	8
	.type	_ZN7rocprim17ROCPRIM_400000_NS6detail17trampoline_kernelINS0_14default_configENS1_38merge_sort_block_merge_config_selectorIlNS0_10empty_typeEEEZZNS1_27merge_sort_block_merge_implIS3_PlPS5_mZN2at6native12_GLOBAL__N_124unique_dim_cuda_templateImEESt5tupleIJNSA_6TensorESF_SF_EERKSF_lbbbEUlllE_EE10hipError_tT0_T1_T2_jT3_P12ihipStream_tbPNSt15iterator_traitsISL_E10value_typeEPNSR_ISM_E10value_typeEPSN_NS1_7vsmem_tEENKUlT_SL_SM_SN_E_clIS8_S8_S9_S9_EESK_S10_SL_SM_SN_EUlS10_E_NS1_11comp_targetILNS1_3genE10ELNS1_11target_archE1201ELNS1_3gpuE5ELNS1_3repE0EEENS1_48merge_mergepath_partition_config_static_selectorELNS0_4arch9wavefront6targetE0EEEvSM_,@function
_ZN7rocprim17ROCPRIM_400000_NS6detail17trampoline_kernelINS0_14default_configENS1_38merge_sort_block_merge_config_selectorIlNS0_10empty_typeEEEZZNS1_27merge_sort_block_merge_implIS3_PlPS5_mZN2at6native12_GLOBAL__N_124unique_dim_cuda_templateImEESt5tupleIJNSA_6TensorESF_SF_EERKSF_lbbbEUlllE_EE10hipError_tT0_T1_T2_jT3_P12ihipStream_tbPNSt15iterator_traitsISL_E10value_typeEPNSR_ISM_E10value_typeEPSN_NS1_7vsmem_tEENKUlT_SL_SM_SN_E_clIS8_S8_S9_S9_EESK_S10_SL_SM_SN_EUlS10_E_NS1_11comp_targetILNS1_3genE10ELNS1_11target_archE1201ELNS1_3gpuE5ELNS1_3repE0EEENS1_48merge_mergepath_partition_config_static_selectorELNS0_4arch9wavefront6targetE0EEEvSM_: ; @_ZN7rocprim17ROCPRIM_400000_NS6detail17trampoline_kernelINS0_14default_configENS1_38merge_sort_block_merge_config_selectorIlNS0_10empty_typeEEEZZNS1_27merge_sort_block_merge_implIS3_PlPS5_mZN2at6native12_GLOBAL__N_124unique_dim_cuda_templateImEESt5tupleIJNSA_6TensorESF_SF_EERKSF_lbbbEUlllE_EE10hipError_tT0_T1_T2_jT3_P12ihipStream_tbPNSt15iterator_traitsISL_E10value_typeEPNSR_ISM_E10value_typeEPSN_NS1_7vsmem_tEENKUlT_SL_SM_SN_E_clIS8_S8_S9_S9_EESK_S10_SL_SM_SN_EUlS10_E_NS1_11comp_targetILNS1_3genE10ELNS1_11target_archE1201ELNS1_3gpuE5ELNS1_3repE0EEENS1_48merge_mergepath_partition_config_static_selectorELNS0_4arch9wavefront6targetE0EEEvSM_
; %bb.0:
	.section	.rodata,"a",@progbits
	.p2align	6, 0x0
	.amdhsa_kernel _ZN7rocprim17ROCPRIM_400000_NS6detail17trampoline_kernelINS0_14default_configENS1_38merge_sort_block_merge_config_selectorIlNS0_10empty_typeEEEZZNS1_27merge_sort_block_merge_implIS3_PlPS5_mZN2at6native12_GLOBAL__N_124unique_dim_cuda_templateImEESt5tupleIJNSA_6TensorESF_SF_EERKSF_lbbbEUlllE_EE10hipError_tT0_T1_T2_jT3_P12ihipStream_tbPNSt15iterator_traitsISL_E10value_typeEPNSR_ISM_E10value_typeEPSN_NS1_7vsmem_tEENKUlT_SL_SM_SN_E_clIS8_S8_S9_S9_EESK_S10_SL_SM_SN_EUlS10_E_NS1_11comp_targetILNS1_3genE10ELNS1_11target_archE1201ELNS1_3gpuE5ELNS1_3repE0EEENS1_48merge_mergepath_partition_config_static_selectorELNS0_4arch9wavefront6targetE0EEEvSM_
		.amdhsa_group_segment_fixed_size 0
		.amdhsa_private_segment_fixed_size 0
		.amdhsa_kernarg_size 56
		.amdhsa_user_sgpr_count 2
		.amdhsa_user_sgpr_dispatch_ptr 0
		.amdhsa_user_sgpr_queue_ptr 0
		.amdhsa_user_sgpr_kernarg_segment_ptr 1
		.amdhsa_user_sgpr_dispatch_id 0
		.amdhsa_user_sgpr_kernarg_preload_length 0
		.amdhsa_user_sgpr_kernarg_preload_offset 0
		.amdhsa_user_sgpr_private_segment_size 0
		.amdhsa_wavefront_size32 1
		.amdhsa_uses_dynamic_stack 0
		.amdhsa_enable_private_segment 0
		.amdhsa_system_sgpr_workgroup_id_x 1
		.amdhsa_system_sgpr_workgroup_id_y 0
		.amdhsa_system_sgpr_workgroup_id_z 0
		.amdhsa_system_sgpr_workgroup_info 0
		.amdhsa_system_vgpr_workitem_id 0
		.amdhsa_next_free_vgpr 1
		.amdhsa_next_free_sgpr 1
		.amdhsa_named_barrier_count 0
		.amdhsa_reserve_vcc 0
		.amdhsa_float_round_mode_32 0
		.amdhsa_float_round_mode_16_64 0
		.amdhsa_float_denorm_mode_32 3
		.amdhsa_float_denorm_mode_16_64 3
		.amdhsa_fp16_overflow 0
		.amdhsa_memory_ordered 1
		.amdhsa_forward_progress 1
		.amdhsa_inst_pref_size 0
		.amdhsa_round_robin_scheduling 0
		.amdhsa_exception_fp_ieee_invalid_op 0
		.amdhsa_exception_fp_denorm_src 0
		.amdhsa_exception_fp_ieee_div_zero 0
		.amdhsa_exception_fp_ieee_overflow 0
		.amdhsa_exception_fp_ieee_underflow 0
		.amdhsa_exception_fp_ieee_inexact 0
		.amdhsa_exception_int_div_zero 0
	.end_amdhsa_kernel
	.section	.text._ZN7rocprim17ROCPRIM_400000_NS6detail17trampoline_kernelINS0_14default_configENS1_38merge_sort_block_merge_config_selectorIlNS0_10empty_typeEEEZZNS1_27merge_sort_block_merge_implIS3_PlPS5_mZN2at6native12_GLOBAL__N_124unique_dim_cuda_templateImEESt5tupleIJNSA_6TensorESF_SF_EERKSF_lbbbEUlllE_EE10hipError_tT0_T1_T2_jT3_P12ihipStream_tbPNSt15iterator_traitsISL_E10value_typeEPNSR_ISM_E10value_typeEPSN_NS1_7vsmem_tEENKUlT_SL_SM_SN_E_clIS8_S8_S9_S9_EESK_S10_SL_SM_SN_EUlS10_E_NS1_11comp_targetILNS1_3genE10ELNS1_11target_archE1201ELNS1_3gpuE5ELNS1_3repE0EEENS1_48merge_mergepath_partition_config_static_selectorELNS0_4arch9wavefront6targetE0EEEvSM_,"axG",@progbits,_ZN7rocprim17ROCPRIM_400000_NS6detail17trampoline_kernelINS0_14default_configENS1_38merge_sort_block_merge_config_selectorIlNS0_10empty_typeEEEZZNS1_27merge_sort_block_merge_implIS3_PlPS5_mZN2at6native12_GLOBAL__N_124unique_dim_cuda_templateImEESt5tupleIJNSA_6TensorESF_SF_EERKSF_lbbbEUlllE_EE10hipError_tT0_T1_T2_jT3_P12ihipStream_tbPNSt15iterator_traitsISL_E10value_typeEPNSR_ISM_E10value_typeEPSN_NS1_7vsmem_tEENKUlT_SL_SM_SN_E_clIS8_S8_S9_S9_EESK_S10_SL_SM_SN_EUlS10_E_NS1_11comp_targetILNS1_3genE10ELNS1_11target_archE1201ELNS1_3gpuE5ELNS1_3repE0EEENS1_48merge_mergepath_partition_config_static_selectorELNS0_4arch9wavefront6targetE0EEEvSM_,comdat
.Lfunc_end1615:
	.size	_ZN7rocprim17ROCPRIM_400000_NS6detail17trampoline_kernelINS0_14default_configENS1_38merge_sort_block_merge_config_selectorIlNS0_10empty_typeEEEZZNS1_27merge_sort_block_merge_implIS3_PlPS5_mZN2at6native12_GLOBAL__N_124unique_dim_cuda_templateImEESt5tupleIJNSA_6TensorESF_SF_EERKSF_lbbbEUlllE_EE10hipError_tT0_T1_T2_jT3_P12ihipStream_tbPNSt15iterator_traitsISL_E10value_typeEPNSR_ISM_E10value_typeEPSN_NS1_7vsmem_tEENKUlT_SL_SM_SN_E_clIS8_S8_S9_S9_EESK_S10_SL_SM_SN_EUlS10_E_NS1_11comp_targetILNS1_3genE10ELNS1_11target_archE1201ELNS1_3gpuE5ELNS1_3repE0EEENS1_48merge_mergepath_partition_config_static_selectorELNS0_4arch9wavefront6targetE0EEEvSM_, .Lfunc_end1615-_ZN7rocprim17ROCPRIM_400000_NS6detail17trampoline_kernelINS0_14default_configENS1_38merge_sort_block_merge_config_selectorIlNS0_10empty_typeEEEZZNS1_27merge_sort_block_merge_implIS3_PlPS5_mZN2at6native12_GLOBAL__N_124unique_dim_cuda_templateImEESt5tupleIJNSA_6TensorESF_SF_EERKSF_lbbbEUlllE_EE10hipError_tT0_T1_T2_jT3_P12ihipStream_tbPNSt15iterator_traitsISL_E10value_typeEPNSR_ISM_E10value_typeEPSN_NS1_7vsmem_tEENKUlT_SL_SM_SN_E_clIS8_S8_S9_S9_EESK_S10_SL_SM_SN_EUlS10_E_NS1_11comp_targetILNS1_3genE10ELNS1_11target_archE1201ELNS1_3gpuE5ELNS1_3repE0EEENS1_48merge_mergepath_partition_config_static_selectorELNS0_4arch9wavefront6targetE0EEEvSM_
                                        ; -- End function
	.set _ZN7rocprim17ROCPRIM_400000_NS6detail17trampoline_kernelINS0_14default_configENS1_38merge_sort_block_merge_config_selectorIlNS0_10empty_typeEEEZZNS1_27merge_sort_block_merge_implIS3_PlPS5_mZN2at6native12_GLOBAL__N_124unique_dim_cuda_templateImEESt5tupleIJNSA_6TensorESF_SF_EERKSF_lbbbEUlllE_EE10hipError_tT0_T1_T2_jT3_P12ihipStream_tbPNSt15iterator_traitsISL_E10value_typeEPNSR_ISM_E10value_typeEPSN_NS1_7vsmem_tEENKUlT_SL_SM_SN_E_clIS8_S8_S9_S9_EESK_S10_SL_SM_SN_EUlS10_E_NS1_11comp_targetILNS1_3genE10ELNS1_11target_archE1201ELNS1_3gpuE5ELNS1_3repE0EEENS1_48merge_mergepath_partition_config_static_selectorELNS0_4arch9wavefront6targetE0EEEvSM_.num_vgpr, 0
	.set _ZN7rocprim17ROCPRIM_400000_NS6detail17trampoline_kernelINS0_14default_configENS1_38merge_sort_block_merge_config_selectorIlNS0_10empty_typeEEEZZNS1_27merge_sort_block_merge_implIS3_PlPS5_mZN2at6native12_GLOBAL__N_124unique_dim_cuda_templateImEESt5tupleIJNSA_6TensorESF_SF_EERKSF_lbbbEUlllE_EE10hipError_tT0_T1_T2_jT3_P12ihipStream_tbPNSt15iterator_traitsISL_E10value_typeEPNSR_ISM_E10value_typeEPSN_NS1_7vsmem_tEENKUlT_SL_SM_SN_E_clIS8_S8_S9_S9_EESK_S10_SL_SM_SN_EUlS10_E_NS1_11comp_targetILNS1_3genE10ELNS1_11target_archE1201ELNS1_3gpuE5ELNS1_3repE0EEENS1_48merge_mergepath_partition_config_static_selectorELNS0_4arch9wavefront6targetE0EEEvSM_.num_agpr, 0
	.set _ZN7rocprim17ROCPRIM_400000_NS6detail17trampoline_kernelINS0_14default_configENS1_38merge_sort_block_merge_config_selectorIlNS0_10empty_typeEEEZZNS1_27merge_sort_block_merge_implIS3_PlPS5_mZN2at6native12_GLOBAL__N_124unique_dim_cuda_templateImEESt5tupleIJNSA_6TensorESF_SF_EERKSF_lbbbEUlllE_EE10hipError_tT0_T1_T2_jT3_P12ihipStream_tbPNSt15iterator_traitsISL_E10value_typeEPNSR_ISM_E10value_typeEPSN_NS1_7vsmem_tEENKUlT_SL_SM_SN_E_clIS8_S8_S9_S9_EESK_S10_SL_SM_SN_EUlS10_E_NS1_11comp_targetILNS1_3genE10ELNS1_11target_archE1201ELNS1_3gpuE5ELNS1_3repE0EEENS1_48merge_mergepath_partition_config_static_selectorELNS0_4arch9wavefront6targetE0EEEvSM_.numbered_sgpr, 0
	.set _ZN7rocprim17ROCPRIM_400000_NS6detail17trampoline_kernelINS0_14default_configENS1_38merge_sort_block_merge_config_selectorIlNS0_10empty_typeEEEZZNS1_27merge_sort_block_merge_implIS3_PlPS5_mZN2at6native12_GLOBAL__N_124unique_dim_cuda_templateImEESt5tupleIJNSA_6TensorESF_SF_EERKSF_lbbbEUlllE_EE10hipError_tT0_T1_T2_jT3_P12ihipStream_tbPNSt15iterator_traitsISL_E10value_typeEPNSR_ISM_E10value_typeEPSN_NS1_7vsmem_tEENKUlT_SL_SM_SN_E_clIS8_S8_S9_S9_EESK_S10_SL_SM_SN_EUlS10_E_NS1_11comp_targetILNS1_3genE10ELNS1_11target_archE1201ELNS1_3gpuE5ELNS1_3repE0EEENS1_48merge_mergepath_partition_config_static_selectorELNS0_4arch9wavefront6targetE0EEEvSM_.num_named_barrier, 0
	.set _ZN7rocprim17ROCPRIM_400000_NS6detail17trampoline_kernelINS0_14default_configENS1_38merge_sort_block_merge_config_selectorIlNS0_10empty_typeEEEZZNS1_27merge_sort_block_merge_implIS3_PlPS5_mZN2at6native12_GLOBAL__N_124unique_dim_cuda_templateImEESt5tupleIJNSA_6TensorESF_SF_EERKSF_lbbbEUlllE_EE10hipError_tT0_T1_T2_jT3_P12ihipStream_tbPNSt15iterator_traitsISL_E10value_typeEPNSR_ISM_E10value_typeEPSN_NS1_7vsmem_tEENKUlT_SL_SM_SN_E_clIS8_S8_S9_S9_EESK_S10_SL_SM_SN_EUlS10_E_NS1_11comp_targetILNS1_3genE10ELNS1_11target_archE1201ELNS1_3gpuE5ELNS1_3repE0EEENS1_48merge_mergepath_partition_config_static_selectorELNS0_4arch9wavefront6targetE0EEEvSM_.private_seg_size, 0
	.set _ZN7rocprim17ROCPRIM_400000_NS6detail17trampoline_kernelINS0_14default_configENS1_38merge_sort_block_merge_config_selectorIlNS0_10empty_typeEEEZZNS1_27merge_sort_block_merge_implIS3_PlPS5_mZN2at6native12_GLOBAL__N_124unique_dim_cuda_templateImEESt5tupleIJNSA_6TensorESF_SF_EERKSF_lbbbEUlllE_EE10hipError_tT0_T1_T2_jT3_P12ihipStream_tbPNSt15iterator_traitsISL_E10value_typeEPNSR_ISM_E10value_typeEPSN_NS1_7vsmem_tEENKUlT_SL_SM_SN_E_clIS8_S8_S9_S9_EESK_S10_SL_SM_SN_EUlS10_E_NS1_11comp_targetILNS1_3genE10ELNS1_11target_archE1201ELNS1_3gpuE5ELNS1_3repE0EEENS1_48merge_mergepath_partition_config_static_selectorELNS0_4arch9wavefront6targetE0EEEvSM_.uses_vcc, 0
	.set _ZN7rocprim17ROCPRIM_400000_NS6detail17trampoline_kernelINS0_14default_configENS1_38merge_sort_block_merge_config_selectorIlNS0_10empty_typeEEEZZNS1_27merge_sort_block_merge_implIS3_PlPS5_mZN2at6native12_GLOBAL__N_124unique_dim_cuda_templateImEESt5tupleIJNSA_6TensorESF_SF_EERKSF_lbbbEUlllE_EE10hipError_tT0_T1_T2_jT3_P12ihipStream_tbPNSt15iterator_traitsISL_E10value_typeEPNSR_ISM_E10value_typeEPSN_NS1_7vsmem_tEENKUlT_SL_SM_SN_E_clIS8_S8_S9_S9_EESK_S10_SL_SM_SN_EUlS10_E_NS1_11comp_targetILNS1_3genE10ELNS1_11target_archE1201ELNS1_3gpuE5ELNS1_3repE0EEENS1_48merge_mergepath_partition_config_static_selectorELNS0_4arch9wavefront6targetE0EEEvSM_.uses_flat_scratch, 0
	.set _ZN7rocprim17ROCPRIM_400000_NS6detail17trampoline_kernelINS0_14default_configENS1_38merge_sort_block_merge_config_selectorIlNS0_10empty_typeEEEZZNS1_27merge_sort_block_merge_implIS3_PlPS5_mZN2at6native12_GLOBAL__N_124unique_dim_cuda_templateImEESt5tupleIJNSA_6TensorESF_SF_EERKSF_lbbbEUlllE_EE10hipError_tT0_T1_T2_jT3_P12ihipStream_tbPNSt15iterator_traitsISL_E10value_typeEPNSR_ISM_E10value_typeEPSN_NS1_7vsmem_tEENKUlT_SL_SM_SN_E_clIS8_S8_S9_S9_EESK_S10_SL_SM_SN_EUlS10_E_NS1_11comp_targetILNS1_3genE10ELNS1_11target_archE1201ELNS1_3gpuE5ELNS1_3repE0EEENS1_48merge_mergepath_partition_config_static_selectorELNS0_4arch9wavefront6targetE0EEEvSM_.has_dyn_sized_stack, 0
	.set _ZN7rocprim17ROCPRIM_400000_NS6detail17trampoline_kernelINS0_14default_configENS1_38merge_sort_block_merge_config_selectorIlNS0_10empty_typeEEEZZNS1_27merge_sort_block_merge_implIS3_PlPS5_mZN2at6native12_GLOBAL__N_124unique_dim_cuda_templateImEESt5tupleIJNSA_6TensorESF_SF_EERKSF_lbbbEUlllE_EE10hipError_tT0_T1_T2_jT3_P12ihipStream_tbPNSt15iterator_traitsISL_E10value_typeEPNSR_ISM_E10value_typeEPSN_NS1_7vsmem_tEENKUlT_SL_SM_SN_E_clIS8_S8_S9_S9_EESK_S10_SL_SM_SN_EUlS10_E_NS1_11comp_targetILNS1_3genE10ELNS1_11target_archE1201ELNS1_3gpuE5ELNS1_3repE0EEENS1_48merge_mergepath_partition_config_static_selectorELNS0_4arch9wavefront6targetE0EEEvSM_.has_recursion, 0
	.set _ZN7rocprim17ROCPRIM_400000_NS6detail17trampoline_kernelINS0_14default_configENS1_38merge_sort_block_merge_config_selectorIlNS0_10empty_typeEEEZZNS1_27merge_sort_block_merge_implIS3_PlPS5_mZN2at6native12_GLOBAL__N_124unique_dim_cuda_templateImEESt5tupleIJNSA_6TensorESF_SF_EERKSF_lbbbEUlllE_EE10hipError_tT0_T1_T2_jT3_P12ihipStream_tbPNSt15iterator_traitsISL_E10value_typeEPNSR_ISM_E10value_typeEPSN_NS1_7vsmem_tEENKUlT_SL_SM_SN_E_clIS8_S8_S9_S9_EESK_S10_SL_SM_SN_EUlS10_E_NS1_11comp_targetILNS1_3genE10ELNS1_11target_archE1201ELNS1_3gpuE5ELNS1_3repE0EEENS1_48merge_mergepath_partition_config_static_selectorELNS0_4arch9wavefront6targetE0EEEvSM_.has_indirect_call, 0
	.section	.AMDGPU.csdata,"",@progbits
; Kernel info:
; codeLenInByte = 0
; TotalNumSgprs: 0
; NumVgprs: 0
; ScratchSize: 0
; MemoryBound: 0
; FloatMode: 240
; IeeeMode: 1
; LDSByteSize: 0 bytes/workgroup (compile time only)
; SGPRBlocks: 0
; VGPRBlocks: 0
; NumSGPRsForWavesPerEU: 1
; NumVGPRsForWavesPerEU: 1
; NamedBarCnt: 0
; Occupancy: 16
; WaveLimiterHint : 0
; COMPUTE_PGM_RSRC2:SCRATCH_EN: 0
; COMPUTE_PGM_RSRC2:USER_SGPR: 2
; COMPUTE_PGM_RSRC2:TRAP_HANDLER: 0
; COMPUTE_PGM_RSRC2:TGID_X_EN: 1
; COMPUTE_PGM_RSRC2:TGID_Y_EN: 0
; COMPUTE_PGM_RSRC2:TGID_Z_EN: 0
; COMPUTE_PGM_RSRC2:TIDIG_COMP_CNT: 0
	.section	.text._ZN7rocprim17ROCPRIM_400000_NS6detail17trampoline_kernelINS0_14default_configENS1_38merge_sort_block_merge_config_selectorIlNS0_10empty_typeEEEZZNS1_27merge_sort_block_merge_implIS3_PlPS5_mZN2at6native12_GLOBAL__N_124unique_dim_cuda_templateImEESt5tupleIJNSA_6TensorESF_SF_EERKSF_lbbbEUlllE_EE10hipError_tT0_T1_T2_jT3_P12ihipStream_tbPNSt15iterator_traitsISL_E10value_typeEPNSR_ISM_E10value_typeEPSN_NS1_7vsmem_tEENKUlT_SL_SM_SN_E_clIS8_S8_S9_S9_EESK_S10_SL_SM_SN_EUlS10_E_NS1_11comp_targetILNS1_3genE5ELNS1_11target_archE942ELNS1_3gpuE9ELNS1_3repE0EEENS1_48merge_mergepath_partition_config_static_selectorELNS0_4arch9wavefront6targetE0EEEvSM_,"axG",@progbits,_ZN7rocprim17ROCPRIM_400000_NS6detail17trampoline_kernelINS0_14default_configENS1_38merge_sort_block_merge_config_selectorIlNS0_10empty_typeEEEZZNS1_27merge_sort_block_merge_implIS3_PlPS5_mZN2at6native12_GLOBAL__N_124unique_dim_cuda_templateImEESt5tupleIJNSA_6TensorESF_SF_EERKSF_lbbbEUlllE_EE10hipError_tT0_T1_T2_jT3_P12ihipStream_tbPNSt15iterator_traitsISL_E10value_typeEPNSR_ISM_E10value_typeEPSN_NS1_7vsmem_tEENKUlT_SL_SM_SN_E_clIS8_S8_S9_S9_EESK_S10_SL_SM_SN_EUlS10_E_NS1_11comp_targetILNS1_3genE5ELNS1_11target_archE942ELNS1_3gpuE9ELNS1_3repE0EEENS1_48merge_mergepath_partition_config_static_selectorELNS0_4arch9wavefront6targetE0EEEvSM_,comdat
	.globl	_ZN7rocprim17ROCPRIM_400000_NS6detail17trampoline_kernelINS0_14default_configENS1_38merge_sort_block_merge_config_selectorIlNS0_10empty_typeEEEZZNS1_27merge_sort_block_merge_implIS3_PlPS5_mZN2at6native12_GLOBAL__N_124unique_dim_cuda_templateImEESt5tupleIJNSA_6TensorESF_SF_EERKSF_lbbbEUlllE_EE10hipError_tT0_T1_T2_jT3_P12ihipStream_tbPNSt15iterator_traitsISL_E10value_typeEPNSR_ISM_E10value_typeEPSN_NS1_7vsmem_tEENKUlT_SL_SM_SN_E_clIS8_S8_S9_S9_EESK_S10_SL_SM_SN_EUlS10_E_NS1_11comp_targetILNS1_3genE5ELNS1_11target_archE942ELNS1_3gpuE9ELNS1_3repE0EEENS1_48merge_mergepath_partition_config_static_selectorELNS0_4arch9wavefront6targetE0EEEvSM_ ; -- Begin function _ZN7rocprim17ROCPRIM_400000_NS6detail17trampoline_kernelINS0_14default_configENS1_38merge_sort_block_merge_config_selectorIlNS0_10empty_typeEEEZZNS1_27merge_sort_block_merge_implIS3_PlPS5_mZN2at6native12_GLOBAL__N_124unique_dim_cuda_templateImEESt5tupleIJNSA_6TensorESF_SF_EERKSF_lbbbEUlllE_EE10hipError_tT0_T1_T2_jT3_P12ihipStream_tbPNSt15iterator_traitsISL_E10value_typeEPNSR_ISM_E10value_typeEPSN_NS1_7vsmem_tEENKUlT_SL_SM_SN_E_clIS8_S8_S9_S9_EESK_S10_SL_SM_SN_EUlS10_E_NS1_11comp_targetILNS1_3genE5ELNS1_11target_archE942ELNS1_3gpuE9ELNS1_3repE0EEENS1_48merge_mergepath_partition_config_static_selectorELNS0_4arch9wavefront6targetE0EEEvSM_
	.p2align	8
	.type	_ZN7rocprim17ROCPRIM_400000_NS6detail17trampoline_kernelINS0_14default_configENS1_38merge_sort_block_merge_config_selectorIlNS0_10empty_typeEEEZZNS1_27merge_sort_block_merge_implIS3_PlPS5_mZN2at6native12_GLOBAL__N_124unique_dim_cuda_templateImEESt5tupleIJNSA_6TensorESF_SF_EERKSF_lbbbEUlllE_EE10hipError_tT0_T1_T2_jT3_P12ihipStream_tbPNSt15iterator_traitsISL_E10value_typeEPNSR_ISM_E10value_typeEPSN_NS1_7vsmem_tEENKUlT_SL_SM_SN_E_clIS8_S8_S9_S9_EESK_S10_SL_SM_SN_EUlS10_E_NS1_11comp_targetILNS1_3genE5ELNS1_11target_archE942ELNS1_3gpuE9ELNS1_3repE0EEENS1_48merge_mergepath_partition_config_static_selectorELNS0_4arch9wavefront6targetE0EEEvSM_,@function
_ZN7rocprim17ROCPRIM_400000_NS6detail17trampoline_kernelINS0_14default_configENS1_38merge_sort_block_merge_config_selectorIlNS0_10empty_typeEEEZZNS1_27merge_sort_block_merge_implIS3_PlPS5_mZN2at6native12_GLOBAL__N_124unique_dim_cuda_templateImEESt5tupleIJNSA_6TensorESF_SF_EERKSF_lbbbEUlllE_EE10hipError_tT0_T1_T2_jT3_P12ihipStream_tbPNSt15iterator_traitsISL_E10value_typeEPNSR_ISM_E10value_typeEPSN_NS1_7vsmem_tEENKUlT_SL_SM_SN_E_clIS8_S8_S9_S9_EESK_S10_SL_SM_SN_EUlS10_E_NS1_11comp_targetILNS1_3genE5ELNS1_11target_archE942ELNS1_3gpuE9ELNS1_3repE0EEENS1_48merge_mergepath_partition_config_static_selectorELNS0_4arch9wavefront6targetE0EEEvSM_: ; @_ZN7rocprim17ROCPRIM_400000_NS6detail17trampoline_kernelINS0_14default_configENS1_38merge_sort_block_merge_config_selectorIlNS0_10empty_typeEEEZZNS1_27merge_sort_block_merge_implIS3_PlPS5_mZN2at6native12_GLOBAL__N_124unique_dim_cuda_templateImEESt5tupleIJNSA_6TensorESF_SF_EERKSF_lbbbEUlllE_EE10hipError_tT0_T1_T2_jT3_P12ihipStream_tbPNSt15iterator_traitsISL_E10value_typeEPNSR_ISM_E10value_typeEPSN_NS1_7vsmem_tEENKUlT_SL_SM_SN_E_clIS8_S8_S9_S9_EESK_S10_SL_SM_SN_EUlS10_E_NS1_11comp_targetILNS1_3genE5ELNS1_11target_archE942ELNS1_3gpuE9ELNS1_3repE0EEENS1_48merge_mergepath_partition_config_static_selectorELNS0_4arch9wavefront6targetE0EEEvSM_
; %bb.0:
	.section	.rodata,"a",@progbits
	.p2align	6, 0x0
	.amdhsa_kernel _ZN7rocprim17ROCPRIM_400000_NS6detail17trampoline_kernelINS0_14default_configENS1_38merge_sort_block_merge_config_selectorIlNS0_10empty_typeEEEZZNS1_27merge_sort_block_merge_implIS3_PlPS5_mZN2at6native12_GLOBAL__N_124unique_dim_cuda_templateImEESt5tupleIJNSA_6TensorESF_SF_EERKSF_lbbbEUlllE_EE10hipError_tT0_T1_T2_jT3_P12ihipStream_tbPNSt15iterator_traitsISL_E10value_typeEPNSR_ISM_E10value_typeEPSN_NS1_7vsmem_tEENKUlT_SL_SM_SN_E_clIS8_S8_S9_S9_EESK_S10_SL_SM_SN_EUlS10_E_NS1_11comp_targetILNS1_3genE5ELNS1_11target_archE942ELNS1_3gpuE9ELNS1_3repE0EEENS1_48merge_mergepath_partition_config_static_selectorELNS0_4arch9wavefront6targetE0EEEvSM_
		.amdhsa_group_segment_fixed_size 0
		.amdhsa_private_segment_fixed_size 0
		.amdhsa_kernarg_size 56
		.amdhsa_user_sgpr_count 2
		.amdhsa_user_sgpr_dispatch_ptr 0
		.amdhsa_user_sgpr_queue_ptr 0
		.amdhsa_user_sgpr_kernarg_segment_ptr 1
		.amdhsa_user_sgpr_dispatch_id 0
		.amdhsa_user_sgpr_kernarg_preload_length 0
		.amdhsa_user_sgpr_kernarg_preload_offset 0
		.amdhsa_user_sgpr_private_segment_size 0
		.amdhsa_wavefront_size32 1
		.amdhsa_uses_dynamic_stack 0
		.amdhsa_enable_private_segment 0
		.amdhsa_system_sgpr_workgroup_id_x 1
		.amdhsa_system_sgpr_workgroup_id_y 0
		.amdhsa_system_sgpr_workgroup_id_z 0
		.amdhsa_system_sgpr_workgroup_info 0
		.amdhsa_system_vgpr_workitem_id 0
		.amdhsa_next_free_vgpr 1
		.amdhsa_next_free_sgpr 1
		.amdhsa_named_barrier_count 0
		.amdhsa_reserve_vcc 0
		.amdhsa_float_round_mode_32 0
		.amdhsa_float_round_mode_16_64 0
		.amdhsa_float_denorm_mode_32 3
		.amdhsa_float_denorm_mode_16_64 3
		.amdhsa_fp16_overflow 0
		.amdhsa_memory_ordered 1
		.amdhsa_forward_progress 1
		.amdhsa_inst_pref_size 0
		.amdhsa_round_robin_scheduling 0
		.amdhsa_exception_fp_ieee_invalid_op 0
		.amdhsa_exception_fp_denorm_src 0
		.amdhsa_exception_fp_ieee_div_zero 0
		.amdhsa_exception_fp_ieee_overflow 0
		.amdhsa_exception_fp_ieee_underflow 0
		.amdhsa_exception_fp_ieee_inexact 0
		.amdhsa_exception_int_div_zero 0
	.end_amdhsa_kernel
	.section	.text._ZN7rocprim17ROCPRIM_400000_NS6detail17trampoline_kernelINS0_14default_configENS1_38merge_sort_block_merge_config_selectorIlNS0_10empty_typeEEEZZNS1_27merge_sort_block_merge_implIS3_PlPS5_mZN2at6native12_GLOBAL__N_124unique_dim_cuda_templateImEESt5tupleIJNSA_6TensorESF_SF_EERKSF_lbbbEUlllE_EE10hipError_tT0_T1_T2_jT3_P12ihipStream_tbPNSt15iterator_traitsISL_E10value_typeEPNSR_ISM_E10value_typeEPSN_NS1_7vsmem_tEENKUlT_SL_SM_SN_E_clIS8_S8_S9_S9_EESK_S10_SL_SM_SN_EUlS10_E_NS1_11comp_targetILNS1_3genE5ELNS1_11target_archE942ELNS1_3gpuE9ELNS1_3repE0EEENS1_48merge_mergepath_partition_config_static_selectorELNS0_4arch9wavefront6targetE0EEEvSM_,"axG",@progbits,_ZN7rocprim17ROCPRIM_400000_NS6detail17trampoline_kernelINS0_14default_configENS1_38merge_sort_block_merge_config_selectorIlNS0_10empty_typeEEEZZNS1_27merge_sort_block_merge_implIS3_PlPS5_mZN2at6native12_GLOBAL__N_124unique_dim_cuda_templateImEESt5tupleIJNSA_6TensorESF_SF_EERKSF_lbbbEUlllE_EE10hipError_tT0_T1_T2_jT3_P12ihipStream_tbPNSt15iterator_traitsISL_E10value_typeEPNSR_ISM_E10value_typeEPSN_NS1_7vsmem_tEENKUlT_SL_SM_SN_E_clIS8_S8_S9_S9_EESK_S10_SL_SM_SN_EUlS10_E_NS1_11comp_targetILNS1_3genE5ELNS1_11target_archE942ELNS1_3gpuE9ELNS1_3repE0EEENS1_48merge_mergepath_partition_config_static_selectorELNS0_4arch9wavefront6targetE0EEEvSM_,comdat
.Lfunc_end1616:
	.size	_ZN7rocprim17ROCPRIM_400000_NS6detail17trampoline_kernelINS0_14default_configENS1_38merge_sort_block_merge_config_selectorIlNS0_10empty_typeEEEZZNS1_27merge_sort_block_merge_implIS3_PlPS5_mZN2at6native12_GLOBAL__N_124unique_dim_cuda_templateImEESt5tupleIJNSA_6TensorESF_SF_EERKSF_lbbbEUlllE_EE10hipError_tT0_T1_T2_jT3_P12ihipStream_tbPNSt15iterator_traitsISL_E10value_typeEPNSR_ISM_E10value_typeEPSN_NS1_7vsmem_tEENKUlT_SL_SM_SN_E_clIS8_S8_S9_S9_EESK_S10_SL_SM_SN_EUlS10_E_NS1_11comp_targetILNS1_3genE5ELNS1_11target_archE942ELNS1_3gpuE9ELNS1_3repE0EEENS1_48merge_mergepath_partition_config_static_selectorELNS0_4arch9wavefront6targetE0EEEvSM_, .Lfunc_end1616-_ZN7rocprim17ROCPRIM_400000_NS6detail17trampoline_kernelINS0_14default_configENS1_38merge_sort_block_merge_config_selectorIlNS0_10empty_typeEEEZZNS1_27merge_sort_block_merge_implIS3_PlPS5_mZN2at6native12_GLOBAL__N_124unique_dim_cuda_templateImEESt5tupleIJNSA_6TensorESF_SF_EERKSF_lbbbEUlllE_EE10hipError_tT0_T1_T2_jT3_P12ihipStream_tbPNSt15iterator_traitsISL_E10value_typeEPNSR_ISM_E10value_typeEPSN_NS1_7vsmem_tEENKUlT_SL_SM_SN_E_clIS8_S8_S9_S9_EESK_S10_SL_SM_SN_EUlS10_E_NS1_11comp_targetILNS1_3genE5ELNS1_11target_archE942ELNS1_3gpuE9ELNS1_3repE0EEENS1_48merge_mergepath_partition_config_static_selectorELNS0_4arch9wavefront6targetE0EEEvSM_
                                        ; -- End function
	.set _ZN7rocprim17ROCPRIM_400000_NS6detail17trampoline_kernelINS0_14default_configENS1_38merge_sort_block_merge_config_selectorIlNS0_10empty_typeEEEZZNS1_27merge_sort_block_merge_implIS3_PlPS5_mZN2at6native12_GLOBAL__N_124unique_dim_cuda_templateImEESt5tupleIJNSA_6TensorESF_SF_EERKSF_lbbbEUlllE_EE10hipError_tT0_T1_T2_jT3_P12ihipStream_tbPNSt15iterator_traitsISL_E10value_typeEPNSR_ISM_E10value_typeEPSN_NS1_7vsmem_tEENKUlT_SL_SM_SN_E_clIS8_S8_S9_S9_EESK_S10_SL_SM_SN_EUlS10_E_NS1_11comp_targetILNS1_3genE5ELNS1_11target_archE942ELNS1_3gpuE9ELNS1_3repE0EEENS1_48merge_mergepath_partition_config_static_selectorELNS0_4arch9wavefront6targetE0EEEvSM_.num_vgpr, 0
	.set _ZN7rocprim17ROCPRIM_400000_NS6detail17trampoline_kernelINS0_14default_configENS1_38merge_sort_block_merge_config_selectorIlNS0_10empty_typeEEEZZNS1_27merge_sort_block_merge_implIS3_PlPS5_mZN2at6native12_GLOBAL__N_124unique_dim_cuda_templateImEESt5tupleIJNSA_6TensorESF_SF_EERKSF_lbbbEUlllE_EE10hipError_tT0_T1_T2_jT3_P12ihipStream_tbPNSt15iterator_traitsISL_E10value_typeEPNSR_ISM_E10value_typeEPSN_NS1_7vsmem_tEENKUlT_SL_SM_SN_E_clIS8_S8_S9_S9_EESK_S10_SL_SM_SN_EUlS10_E_NS1_11comp_targetILNS1_3genE5ELNS1_11target_archE942ELNS1_3gpuE9ELNS1_3repE0EEENS1_48merge_mergepath_partition_config_static_selectorELNS0_4arch9wavefront6targetE0EEEvSM_.num_agpr, 0
	.set _ZN7rocprim17ROCPRIM_400000_NS6detail17trampoline_kernelINS0_14default_configENS1_38merge_sort_block_merge_config_selectorIlNS0_10empty_typeEEEZZNS1_27merge_sort_block_merge_implIS3_PlPS5_mZN2at6native12_GLOBAL__N_124unique_dim_cuda_templateImEESt5tupleIJNSA_6TensorESF_SF_EERKSF_lbbbEUlllE_EE10hipError_tT0_T1_T2_jT3_P12ihipStream_tbPNSt15iterator_traitsISL_E10value_typeEPNSR_ISM_E10value_typeEPSN_NS1_7vsmem_tEENKUlT_SL_SM_SN_E_clIS8_S8_S9_S9_EESK_S10_SL_SM_SN_EUlS10_E_NS1_11comp_targetILNS1_3genE5ELNS1_11target_archE942ELNS1_3gpuE9ELNS1_3repE0EEENS1_48merge_mergepath_partition_config_static_selectorELNS0_4arch9wavefront6targetE0EEEvSM_.numbered_sgpr, 0
	.set _ZN7rocprim17ROCPRIM_400000_NS6detail17trampoline_kernelINS0_14default_configENS1_38merge_sort_block_merge_config_selectorIlNS0_10empty_typeEEEZZNS1_27merge_sort_block_merge_implIS3_PlPS5_mZN2at6native12_GLOBAL__N_124unique_dim_cuda_templateImEESt5tupleIJNSA_6TensorESF_SF_EERKSF_lbbbEUlllE_EE10hipError_tT0_T1_T2_jT3_P12ihipStream_tbPNSt15iterator_traitsISL_E10value_typeEPNSR_ISM_E10value_typeEPSN_NS1_7vsmem_tEENKUlT_SL_SM_SN_E_clIS8_S8_S9_S9_EESK_S10_SL_SM_SN_EUlS10_E_NS1_11comp_targetILNS1_3genE5ELNS1_11target_archE942ELNS1_3gpuE9ELNS1_3repE0EEENS1_48merge_mergepath_partition_config_static_selectorELNS0_4arch9wavefront6targetE0EEEvSM_.num_named_barrier, 0
	.set _ZN7rocprim17ROCPRIM_400000_NS6detail17trampoline_kernelINS0_14default_configENS1_38merge_sort_block_merge_config_selectorIlNS0_10empty_typeEEEZZNS1_27merge_sort_block_merge_implIS3_PlPS5_mZN2at6native12_GLOBAL__N_124unique_dim_cuda_templateImEESt5tupleIJNSA_6TensorESF_SF_EERKSF_lbbbEUlllE_EE10hipError_tT0_T1_T2_jT3_P12ihipStream_tbPNSt15iterator_traitsISL_E10value_typeEPNSR_ISM_E10value_typeEPSN_NS1_7vsmem_tEENKUlT_SL_SM_SN_E_clIS8_S8_S9_S9_EESK_S10_SL_SM_SN_EUlS10_E_NS1_11comp_targetILNS1_3genE5ELNS1_11target_archE942ELNS1_3gpuE9ELNS1_3repE0EEENS1_48merge_mergepath_partition_config_static_selectorELNS0_4arch9wavefront6targetE0EEEvSM_.private_seg_size, 0
	.set _ZN7rocprim17ROCPRIM_400000_NS6detail17trampoline_kernelINS0_14default_configENS1_38merge_sort_block_merge_config_selectorIlNS0_10empty_typeEEEZZNS1_27merge_sort_block_merge_implIS3_PlPS5_mZN2at6native12_GLOBAL__N_124unique_dim_cuda_templateImEESt5tupleIJNSA_6TensorESF_SF_EERKSF_lbbbEUlllE_EE10hipError_tT0_T1_T2_jT3_P12ihipStream_tbPNSt15iterator_traitsISL_E10value_typeEPNSR_ISM_E10value_typeEPSN_NS1_7vsmem_tEENKUlT_SL_SM_SN_E_clIS8_S8_S9_S9_EESK_S10_SL_SM_SN_EUlS10_E_NS1_11comp_targetILNS1_3genE5ELNS1_11target_archE942ELNS1_3gpuE9ELNS1_3repE0EEENS1_48merge_mergepath_partition_config_static_selectorELNS0_4arch9wavefront6targetE0EEEvSM_.uses_vcc, 0
	.set _ZN7rocprim17ROCPRIM_400000_NS6detail17trampoline_kernelINS0_14default_configENS1_38merge_sort_block_merge_config_selectorIlNS0_10empty_typeEEEZZNS1_27merge_sort_block_merge_implIS3_PlPS5_mZN2at6native12_GLOBAL__N_124unique_dim_cuda_templateImEESt5tupleIJNSA_6TensorESF_SF_EERKSF_lbbbEUlllE_EE10hipError_tT0_T1_T2_jT3_P12ihipStream_tbPNSt15iterator_traitsISL_E10value_typeEPNSR_ISM_E10value_typeEPSN_NS1_7vsmem_tEENKUlT_SL_SM_SN_E_clIS8_S8_S9_S9_EESK_S10_SL_SM_SN_EUlS10_E_NS1_11comp_targetILNS1_3genE5ELNS1_11target_archE942ELNS1_3gpuE9ELNS1_3repE0EEENS1_48merge_mergepath_partition_config_static_selectorELNS0_4arch9wavefront6targetE0EEEvSM_.uses_flat_scratch, 0
	.set _ZN7rocprim17ROCPRIM_400000_NS6detail17trampoline_kernelINS0_14default_configENS1_38merge_sort_block_merge_config_selectorIlNS0_10empty_typeEEEZZNS1_27merge_sort_block_merge_implIS3_PlPS5_mZN2at6native12_GLOBAL__N_124unique_dim_cuda_templateImEESt5tupleIJNSA_6TensorESF_SF_EERKSF_lbbbEUlllE_EE10hipError_tT0_T1_T2_jT3_P12ihipStream_tbPNSt15iterator_traitsISL_E10value_typeEPNSR_ISM_E10value_typeEPSN_NS1_7vsmem_tEENKUlT_SL_SM_SN_E_clIS8_S8_S9_S9_EESK_S10_SL_SM_SN_EUlS10_E_NS1_11comp_targetILNS1_3genE5ELNS1_11target_archE942ELNS1_3gpuE9ELNS1_3repE0EEENS1_48merge_mergepath_partition_config_static_selectorELNS0_4arch9wavefront6targetE0EEEvSM_.has_dyn_sized_stack, 0
	.set _ZN7rocprim17ROCPRIM_400000_NS6detail17trampoline_kernelINS0_14default_configENS1_38merge_sort_block_merge_config_selectorIlNS0_10empty_typeEEEZZNS1_27merge_sort_block_merge_implIS3_PlPS5_mZN2at6native12_GLOBAL__N_124unique_dim_cuda_templateImEESt5tupleIJNSA_6TensorESF_SF_EERKSF_lbbbEUlllE_EE10hipError_tT0_T1_T2_jT3_P12ihipStream_tbPNSt15iterator_traitsISL_E10value_typeEPNSR_ISM_E10value_typeEPSN_NS1_7vsmem_tEENKUlT_SL_SM_SN_E_clIS8_S8_S9_S9_EESK_S10_SL_SM_SN_EUlS10_E_NS1_11comp_targetILNS1_3genE5ELNS1_11target_archE942ELNS1_3gpuE9ELNS1_3repE0EEENS1_48merge_mergepath_partition_config_static_selectorELNS0_4arch9wavefront6targetE0EEEvSM_.has_recursion, 0
	.set _ZN7rocprim17ROCPRIM_400000_NS6detail17trampoline_kernelINS0_14default_configENS1_38merge_sort_block_merge_config_selectorIlNS0_10empty_typeEEEZZNS1_27merge_sort_block_merge_implIS3_PlPS5_mZN2at6native12_GLOBAL__N_124unique_dim_cuda_templateImEESt5tupleIJNSA_6TensorESF_SF_EERKSF_lbbbEUlllE_EE10hipError_tT0_T1_T2_jT3_P12ihipStream_tbPNSt15iterator_traitsISL_E10value_typeEPNSR_ISM_E10value_typeEPSN_NS1_7vsmem_tEENKUlT_SL_SM_SN_E_clIS8_S8_S9_S9_EESK_S10_SL_SM_SN_EUlS10_E_NS1_11comp_targetILNS1_3genE5ELNS1_11target_archE942ELNS1_3gpuE9ELNS1_3repE0EEENS1_48merge_mergepath_partition_config_static_selectorELNS0_4arch9wavefront6targetE0EEEvSM_.has_indirect_call, 0
	.section	.AMDGPU.csdata,"",@progbits
; Kernel info:
; codeLenInByte = 0
; TotalNumSgprs: 0
; NumVgprs: 0
; ScratchSize: 0
; MemoryBound: 0
; FloatMode: 240
; IeeeMode: 1
; LDSByteSize: 0 bytes/workgroup (compile time only)
; SGPRBlocks: 0
; VGPRBlocks: 0
; NumSGPRsForWavesPerEU: 1
; NumVGPRsForWavesPerEU: 1
; NamedBarCnt: 0
; Occupancy: 16
; WaveLimiterHint : 0
; COMPUTE_PGM_RSRC2:SCRATCH_EN: 0
; COMPUTE_PGM_RSRC2:USER_SGPR: 2
; COMPUTE_PGM_RSRC2:TRAP_HANDLER: 0
; COMPUTE_PGM_RSRC2:TGID_X_EN: 1
; COMPUTE_PGM_RSRC2:TGID_Y_EN: 0
; COMPUTE_PGM_RSRC2:TGID_Z_EN: 0
; COMPUTE_PGM_RSRC2:TIDIG_COMP_CNT: 0
	.section	.text._ZN7rocprim17ROCPRIM_400000_NS6detail17trampoline_kernelINS0_14default_configENS1_38merge_sort_block_merge_config_selectorIlNS0_10empty_typeEEEZZNS1_27merge_sort_block_merge_implIS3_PlPS5_mZN2at6native12_GLOBAL__N_124unique_dim_cuda_templateImEESt5tupleIJNSA_6TensorESF_SF_EERKSF_lbbbEUlllE_EE10hipError_tT0_T1_T2_jT3_P12ihipStream_tbPNSt15iterator_traitsISL_E10value_typeEPNSR_ISM_E10value_typeEPSN_NS1_7vsmem_tEENKUlT_SL_SM_SN_E_clIS8_S8_S9_S9_EESK_S10_SL_SM_SN_EUlS10_E_NS1_11comp_targetILNS1_3genE4ELNS1_11target_archE910ELNS1_3gpuE8ELNS1_3repE0EEENS1_48merge_mergepath_partition_config_static_selectorELNS0_4arch9wavefront6targetE0EEEvSM_,"axG",@progbits,_ZN7rocprim17ROCPRIM_400000_NS6detail17trampoline_kernelINS0_14default_configENS1_38merge_sort_block_merge_config_selectorIlNS0_10empty_typeEEEZZNS1_27merge_sort_block_merge_implIS3_PlPS5_mZN2at6native12_GLOBAL__N_124unique_dim_cuda_templateImEESt5tupleIJNSA_6TensorESF_SF_EERKSF_lbbbEUlllE_EE10hipError_tT0_T1_T2_jT3_P12ihipStream_tbPNSt15iterator_traitsISL_E10value_typeEPNSR_ISM_E10value_typeEPSN_NS1_7vsmem_tEENKUlT_SL_SM_SN_E_clIS8_S8_S9_S9_EESK_S10_SL_SM_SN_EUlS10_E_NS1_11comp_targetILNS1_3genE4ELNS1_11target_archE910ELNS1_3gpuE8ELNS1_3repE0EEENS1_48merge_mergepath_partition_config_static_selectorELNS0_4arch9wavefront6targetE0EEEvSM_,comdat
	.globl	_ZN7rocprim17ROCPRIM_400000_NS6detail17trampoline_kernelINS0_14default_configENS1_38merge_sort_block_merge_config_selectorIlNS0_10empty_typeEEEZZNS1_27merge_sort_block_merge_implIS3_PlPS5_mZN2at6native12_GLOBAL__N_124unique_dim_cuda_templateImEESt5tupleIJNSA_6TensorESF_SF_EERKSF_lbbbEUlllE_EE10hipError_tT0_T1_T2_jT3_P12ihipStream_tbPNSt15iterator_traitsISL_E10value_typeEPNSR_ISM_E10value_typeEPSN_NS1_7vsmem_tEENKUlT_SL_SM_SN_E_clIS8_S8_S9_S9_EESK_S10_SL_SM_SN_EUlS10_E_NS1_11comp_targetILNS1_3genE4ELNS1_11target_archE910ELNS1_3gpuE8ELNS1_3repE0EEENS1_48merge_mergepath_partition_config_static_selectorELNS0_4arch9wavefront6targetE0EEEvSM_ ; -- Begin function _ZN7rocprim17ROCPRIM_400000_NS6detail17trampoline_kernelINS0_14default_configENS1_38merge_sort_block_merge_config_selectorIlNS0_10empty_typeEEEZZNS1_27merge_sort_block_merge_implIS3_PlPS5_mZN2at6native12_GLOBAL__N_124unique_dim_cuda_templateImEESt5tupleIJNSA_6TensorESF_SF_EERKSF_lbbbEUlllE_EE10hipError_tT0_T1_T2_jT3_P12ihipStream_tbPNSt15iterator_traitsISL_E10value_typeEPNSR_ISM_E10value_typeEPSN_NS1_7vsmem_tEENKUlT_SL_SM_SN_E_clIS8_S8_S9_S9_EESK_S10_SL_SM_SN_EUlS10_E_NS1_11comp_targetILNS1_3genE4ELNS1_11target_archE910ELNS1_3gpuE8ELNS1_3repE0EEENS1_48merge_mergepath_partition_config_static_selectorELNS0_4arch9wavefront6targetE0EEEvSM_
	.p2align	8
	.type	_ZN7rocprim17ROCPRIM_400000_NS6detail17trampoline_kernelINS0_14default_configENS1_38merge_sort_block_merge_config_selectorIlNS0_10empty_typeEEEZZNS1_27merge_sort_block_merge_implIS3_PlPS5_mZN2at6native12_GLOBAL__N_124unique_dim_cuda_templateImEESt5tupleIJNSA_6TensorESF_SF_EERKSF_lbbbEUlllE_EE10hipError_tT0_T1_T2_jT3_P12ihipStream_tbPNSt15iterator_traitsISL_E10value_typeEPNSR_ISM_E10value_typeEPSN_NS1_7vsmem_tEENKUlT_SL_SM_SN_E_clIS8_S8_S9_S9_EESK_S10_SL_SM_SN_EUlS10_E_NS1_11comp_targetILNS1_3genE4ELNS1_11target_archE910ELNS1_3gpuE8ELNS1_3repE0EEENS1_48merge_mergepath_partition_config_static_selectorELNS0_4arch9wavefront6targetE0EEEvSM_,@function
_ZN7rocprim17ROCPRIM_400000_NS6detail17trampoline_kernelINS0_14default_configENS1_38merge_sort_block_merge_config_selectorIlNS0_10empty_typeEEEZZNS1_27merge_sort_block_merge_implIS3_PlPS5_mZN2at6native12_GLOBAL__N_124unique_dim_cuda_templateImEESt5tupleIJNSA_6TensorESF_SF_EERKSF_lbbbEUlllE_EE10hipError_tT0_T1_T2_jT3_P12ihipStream_tbPNSt15iterator_traitsISL_E10value_typeEPNSR_ISM_E10value_typeEPSN_NS1_7vsmem_tEENKUlT_SL_SM_SN_E_clIS8_S8_S9_S9_EESK_S10_SL_SM_SN_EUlS10_E_NS1_11comp_targetILNS1_3genE4ELNS1_11target_archE910ELNS1_3gpuE8ELNS1_3repE0EEENS1_48merge_mergepath_partition_config_static_selectorELNS0_4arch9wavefront6targetE0EEEvSM_: ; @_ZN7rocprim17ROCPRIM_400000_NS6detail17trampoline_kernelINS0_14default_configENS1_38merge_sort_block_merge_config_selectorIlNS0_10empty_typeEEEZZNS1_27merge_sort_block_merge_implIS3_PlPS5_mZN2at6native12_GLOBAL__N_124unique_dim_cuda_templateImEESt5tupleIJNSA_6TensorESF_SF_EERKSF_lbbbEUlllE_EE10hipError_tT0_T1_T2_jT3_P12ihipStream_tbPNSt15iterator_traitsISL_E10value_typeEPNSR_ISM_E10value_typeEPSN_NS1_7vsmem_tEENKUlT_SL_SM_SN_E_clIS8_S8_S9_S9_EESK_S10_SL_SM_SN_EUlS10_E_NS1_11comp_targetILNS1_3genE4ELNS1_11target_archE910ELNS1_3gpuE8ELNS1_3repE0EEENS1_48merge_mergepath_partition_config_static_selectorELNS0_4arch9wavefront6targetE0EEEvSM_
; %bb.0:
	.section	.rodata,"a",@progbits
	.p2align	6, 0x0
	.amdhsa_kernel _ZN7rocprim17ROCPRIM_400000_NS6detail17trampoline_kernelINS0_14default_configENS1_38merge_sort_block_merge_config_selectorIlNS0_10empty_typeEEEZZNS1_27merge_sort_block_merge_implIS3_PlPS5_mZN2at6native12_GLOBAL__N_124unique_dim_cuda_templateImEESt5tupleIJNSA_6TensorESF_SF_EERKSF_lbbbEUlllE_EE10hipError_tT0_T1_T2_jT3_P12ihipStream_tbPNSt15iterator_traitsISL_E10value_typeEPNSR_ISM_E10value_typeEPSN_NS1_7vsmem_tEENKUlT_SL_SM_SN_E_clIS8_S8_S9_S9_EESK_S10_SL_SM_SN_EUlS10_E_NS1_11comp_targetILNS1_3genE4ELNS1_11target_archE910ELNS1_3gpuE8ELNS1_3repE0EEENS1_48merge_mergepath_partition_config_static_selectorELNS0_4arch9wavefront6targetE0EEEvSM_
		.amdhsa_group_segment_fixed_size 0
		.amdhsa_private_segment_fixed_size 0
		.amdhsa_kernarg_size 56
		.amdhsa_user_sgpr_count 2
		.amdhsa_user_sgpr_dispatch_ptr 0
		.amdhsa_user_sgpr_queue_ptr 0
		.amdhsa_user_sgpr_kernarg_segment_ptr 1
		.amdhsa_user_sgpr_dispatch_id 0
		.amdhsa_user_sgpr_kernarg_preload_length 0
		.amdhsa_user_sgpr_kernarg_preload_offset 0
		.amdhsa_user_sgpr_private_segment_size 0
		.amdhsa_wavefront_size32 1
		.amdhsa_uses_dynamic_stack 0
		.amdhsa_enable_private_segment 0
		.amdhsa_system_sgpr_workgroup_id_x 1
		.amdhsa_system_sgpr_workgroup_id_y 0
		.amdhsa_system_sgpr_workgroup_id_z 0
		.amdhsa_system_sgpr_workgroup_info 0
		.amdhsa_system_vgpr_workitem_id 0
		.amdhsa_next_free_vgpr 1
		.amdhsa_next_free_sgpr 1
		.amdhsa_named_barrier_count 0
		.amdhsa_reserve_vcc 0
		.amdhsa_float_round_mode_32 0
		.amdhsa_float_round_mode_16_64 0
		.amdhsa_float_denorm_mode_32 3
		.amdhsa_float_denorm_mode_16_64 3
		.amdhsa_fp16_overflow 0
		.amdhsa_memory_ordered 1
		.amdhsa_forward_progress 1
		.amdhsa_inst_pref_size 0
		.amdhsa_round_robin_scheduling 0
		.amdhsa_exception_fp_ieee_invalid_op 0
		.amdhsa_exception_fp_denorm_src 0
		.amdhsa_exception_fp_ieee_div_zero 0
		.amdhsa_exception_fp_ieee_overflow 0
		.amdhsa_exception_fp_ieee_underflow 0
		.amdhsa_exception_fp_ieee_inexact 0
		.amdhsa_exception_int_div_zero 0
	.end_amdhsa_kernel
	.section	.text._ZN7rocprim17ROCPRIM_400000_NS6detail17trampoline_kernelINS0_14default_configENS1_38merge_sort_block_merge_config_selectorIlNS0_10empty_typeEEEZZNS1_27merge_sort_block_merge_implIS3_PlPS5_mZN2at6native12_GLOBAL__N_124unique_dim_cuda_templateImEESt5tupleIJNSA_6TensorESF_SF_EERKSF_lbbbEUlllE_EE10hipError_tT0_T1_T2_jT3_P12ihipStream_tbPNSt15iterator_traitsISL_E10value_typeEPNSR_ISM_E10value_typeEPSN_NS1_7vsmem_tEENKUlT_SL_SM_SN_E_clIS8_S8_S9_S9_EESK_S10_SL_SM_SN_EUlS10_E_NS1_11comp_targetILNS1_3genE4ELNS1_11target_archE910ELNS1_3gpuE8ELNS1_3repE0EEENS1_48merge_mergepath_partition_config_static_selectorELNS0_4arch9wavefront6targetE0EEEvSM_,"axG",@progbits,_ZN7rocprim17ROCPRIM_400000_NS6detail17trampoline_kernelINS0_14default_configENS1_38merge_sort_block_merge_config_selectorIlNS0_10empty_typeEEEZZNS1_27merge_sort_block_merge_implIS3_PlPS5_mZN2at6native12_GLOBAL__N_124unique_dim_cuda_templateImEESt5tupleIJNSA_6TensorESF_SF_EERKSF_lbbbEUlllE_EE10hipError_tT0_T1_T2_jT3_P12ihipStream_tbPNSt15iterator_traitsISL_E10value_typeEPNSR_ISM_E10value_typeEPSN_NS1_7vsmem_tEENKUlT_SL_SM_SN_E_clIS8_S8_S9_S9_EESK_S10_SL_SM_SN_EUlS10_E_NS1_11comp_targetILNS1_3genE4ELNS1_11target_archE910ELNS1_3gpuE8ELNS1_3repE0EEENS1_48merge_mergepath_partition_config_static_selectorELNS0_4arch9wavefront6targetE0EEEvSM_,comdat
.Lfunc_end1617:
	.size	_ZN7rocprim17ROCPRIM_400000_NS6detail17trampoline_kernelINS0_14default_configENS1_38merge_sort_block_merge_config_selectorIlNS0_10empty_typeEEEZZNS1_27merge_sort_block_merge_implIS3_PlPS5_mZN2at6native12_GLOBAL__N_124unique_dim_cuda_templateImEESt5tupleIJNSA_6TensorESF_SF_EERKSF_lbbbEUlllE_EE10hipError_tT0_T1_T2_jT3_P12ihipStream_tbPNSt15iterator_traitsISL_E10value_typeEPNSR_ISM_E10value_typeEPSN_NS1_7vsmem_tEENKUlT_SL_SM_SN_E_clIS8_S8_S9_S9_EESK_S10_SL_SM_SN_EUlS10_E_NS1_11comp_targetILNS1_3genE4ELNS1_11target_archE910ELNS1_3gpuE8ELNS1_3repE0EEENS1_48merge_mergepath_partition_config_static_selectorELNS0_4arch9wavefront6targetE0EEEvSM_, .Lfunc_end1617-_ZN7rocprim17ROCPRIM_400000_NS6detail17trampoline_kernelINS0_14default_configENS1_38merge_sort_block_merge_config_selectorIlNS0_10empty_typeEEEZZNS1_27merge_sort_block_merge_implIS3_PlPS5_mZN2at6native12_GLOBAL__N_124unique_dim_cuda_templateImEESt5tupleIJNSA_6TensorESF_SF_EERKSF_lbbbEUlllE_EE10hipError_tT0_T1_T2_jT3_P12ihipStream_tbPNSt15iterator_traitsISL_E10value_typeEPNSR_ISM_E10value_typeEPSN_NS1_7vsmem_tEENKUlT_SL_SM_SN_E_clIS8_S8_S9_S9_EESK_S10_SL_SM_SN_EUlS10_E_NS1_11comp_targetILNS1_3genE4ELNS1_11target_archE910ELNS1_3gpuE8ELNS1_3repE0EEENS1_48merge_mergepath_partition_config_static_selectorELNS0_4arch9wavefront6targetE0EEEvSM_
                                        ; -- End function
	.set _ZN7rocprim17ROCPRIM_400000_NS6detail17trampoline_kernelINS0_14default_configENS1_38merge_sort_block_merge_config_selectorIlNS0_10empty_typeEEEZZNS1_27merge_sort_block_merge_implIS3_PlPS5_mZN2at6native12_GLOBAL__N_124unique_dim_cuda_templateImEESt5tupleIJNSA_6TensorESF_SF_EERKSF_lbbbEUlllE_EE10hipError_tT0_T1_T2_jT3_P12ihipStream_tbPNSt15iterator_traitsISL_E10value_typeEPNSR_ISM_E10value_typeEPSN_NS1_7vsmem_tEENKUlT_SL_SM_SN_E_clIS8_S8_S9_S9_EESK_S10_SL_SM_SN_EUlS10_E_NS1_11comp_targetILNS1_3genE4ELNS1_11target_archE910ELNS1_3gpuE8ELNS1_3repE0EEENS1_48merge_mergepath_partition_config_static_selectorELNS0_4arch9wavefront6targetE0EEEvSM_.num_vgpr, 0
	.set _ZN7rocprim17ROCPRIM_400000_NS6detail17trampoline_kernelINS0_14default_configENS1_38merge_sort_block_merge_config_selectorIlNS0_10empty_typeEEEZZNS1_27merge_sort_block_merge_implIS3_PlPS5_mZN2at6native12_GLOBAL__N_124unique_dim_cuda_templateImEESt5tupleIJNSA_6TensorESF_SF_EERKSF_lbbbEUlllE_EE10hipError_tT0_T1_T2_jT3_P12ihipStream_tbPNSt15iterator_traitsISL_E10value_typeEPNSR_ISM_E10value_typeEPSN_NS1_7vsmem_tEENKUlT_SL_SM_SN_E_clIS8_S8_S9_S9_EESK_S10_SL_SM_SN_EUlS10_E_NS1_11comp_targetILNS1_3genE4ELNS1_11target_archE910ELNS1_3gpuE8ELNS1_3repE0EEENS1_48merge_mergepath_partition_config_static_selectorELNS0_4arch9wavefront6targetE0EEEvSM_.num_agpr, 0
	.set _ZN7rocprim17ROCPRIM_400000_NS6detail17trampoline_kernelINS0_14default_configENS1_38merge_sort_block_merge_config_selectorIlNS0_10empty_typeEEEZZNS1_27merge_sort_block_merge_implIS3_PlPS5_mZN2at6native12_GLOBAL__N_124unique_dim_cuda_templateImEESt5tupleIJNSA_6TensorESF_SF_EERKSF_lbbbEUlllE_EE10hipError_tT0_T1_T2_jT3_P12ihipStream_tbPNSt15iterator_traitsISL_E10value_typeEPNSR_ISM_E10value_typeEPSN_NS1_7vsmem_tEENKUlT_SL_SM_SN_E_clIS8_S8_S9_S9_EESK_S10_SL_SM_SN_EUlS10_E_NS1_11comp_targetILNS1_3genE4ELNS1_11target_archE910ELNS1_3gpuE8ELNS1_3repE0EEENS1_48merge_mergepath_partition_config_static_selectorELNS0_4arch9wavefront6targetE0EEEvSM_.numbered_sgpr, 0
	.set _ZN7rocprim17ROCPRIM_400000_NS6detail17trampoline_kernelINS0_14default_configENS1_38merge_sort_block_merge_config_selectorIlNS0_10empty_typeEEEZZNS1_27merge_sort_block_merge_implIS3_PlPS5_mZN2at6native12_GLOBAL__N_124unique_dim_cuda_templateImEESt5tupleIJNSA_6TensorESF_SF_EERKSF_lbbbEUlllE_EE10hipError_tT0_T1_T2_jT3_P12ihipStream_tbPNSt15iterator_traitsISL_E10value_typeEPNSR_ISM_E10value_typeEPSN_NS1_7vsmem_tEENKUlT_SL_SM_SN_E_clIS8_S8_S9_S9_EESK_S10_SL_SM_SN_EUlS10_E_NS1_11comp_targetILNS1_3genE4ELNS1_11target_archE910ELNS1_3gpuE8ELNS1_3repE0EEENS1_48merge_mergepath_partition_config_static_selectorELNS0_4arch9wavefront6targetE0EEEvSM_.num_named_barrier, 0
	.set _ZN7rocprim17ROCPRIM_400000_NS6detail17trampoline_kernelINS0_14default_configENS1_38merge_sort_block_merge_config_selectorIlNS0_10empty_typeEEEZZNS1_27merge_sort_block_merge_implIS3_PlPS5_mZN2at6native12_GLOBAL__N_124unique_dim_cuda_templateImEESt5tupleIJNSA_6TensorESF_SF_EERKSF_lbbbEUlllE_EE10hipError_tT0_T1_T2_jT3_P12ihipStream_tbPNSt15iterator_traitsISL_E10value_typeEPNSR_ISM_E10value_typeEPSN_NS1_7vsmem_tEENKUlT_SL_SM_SN_E_clIS8_S8_S9_S9_EESK_S10_SL_SM_SN_EUlS10_E_NS1_11comp_targetILNS1_3genE4ELNS1_11target_archE910ELNS1_3gpuE8ELNS1_3repE0EEENS1_48merge_mergepath_partition_config_static_selectorELNS0_4arch9wavefront6targetE0EEEvSM_.private_seg_size, 0
	.set _ZN7rocprim17ROCPRIM_400000_NS6detail17trampoline_kernelINS0_14default_configENS1_38merge_sort_block_merge_config_selectorIlNS0_10empty_typeEEEZZNS1_27merge_sort_block_merge_implIS3_PlPS5_mZN2at6native12_GLOBAL__N_124unique_dim_cuda_templateImEESt5tupleIJNSA_6TensorESF_SF_EERKSF_lbbbEUlllE_EE10hipError_tT0_T1_T2_jT3_P12ihipStream_tbPNSt15iterator_traitsISL_E10value_typeEPNSR_ISM_E10value_typeEPSN_NS1_7vsmem_tEENKUlT_SL_SM_SN_E_clIS8_S8_S9_S9_EESK_S10_SL_SM_SN_EUlS10_E_NS1_11comp_targetILNS1_3genE4ELNS1_11target_archE910ELNS1_3gpuE8ELNS1_3repE0EEENS1_48merge_mergepath_partition_config_static_selectorELNS0_4arch9wavefront6targetE0EEEvSM_.uses_vcc, 0
	.set _ZN7rocprim17ROCPRIM_400000_NS6detail17trampoline_kernelINS0_14default_configENS1_38merge_sort_block_merge_config_selectorIlNS0_10empty_typeEEEZZNS1_27merge_sort_block_merge_implIS3_PlPS5_mZN2at6native12_GLOBAL__N_124unique_dim_cuda_templateImEESt5tupleIJNSA_6TensorESF_SF_EERKSF_lbbbEUlllE_EE10hipError_tT0_T1_T2_jT3_P12ihipStream_tbPNSt15iterator_traitsISL_E10value_typeEPNSR_ISM_E10value_typeEPSN_NS1_7vsmem_tEENKUlT_SL_SM_SN_E_clIS8_S8_S9_S9_EESK_S10_SL_SM_SN_EUlS10_E_NS1_11comp_targetILNS1_3genE4ELNS1_11target_archE910ELNS1_3gpuE8ELNS1_3repE0EEENS1_48merge_mergepath_partition_config_static_selectorELNS0_4arch9wavefront6targetE0EEEvSM_.uses_flat_scratch, 0
	.set _ZN7rocprim17ROCPRIM_400000_NS6detail17trampoline_kernelINS0_14default_configENS1_38merge_sort_block_merge_config_selectorIlNS0_10empty_typeEEEZZNS1_27merge_sort_block_merge_implIS3_PlPS5_mZN2at6native12_GLOBAL__N_124unique_dim_cuda_templateImEESt5tupleIJNSA_6TensorESF_SF_EERKSF_lbbbEUlllE_EE10hipError_tT0_T1_T2_jT3_P12ihipStream_tbPNSt15iterator_traitsISL_E10value_typeEPNSR_ISM_E10value_typeEPSN_NS1_7vsmem_tEENKUlT_SL_SM_SN_E_clIS8_S8_S9_S9_EESK_S10_SL_SM_SN_EUlS10_E_NS1_11comp_targetILNS1_3genE4ELNS1_11target_archE910ELNS1_3gpuE8ELNS1_3repE0EEENS1_48merge_mergepath_partition_config_static_selectorELNS0_4arch9wavefront6targetE0EEEvSM_.has_dyn_sized_stack, 0
	.set _ZN7rocprim17ROCPRIM_400000_NS6detail17trampoline_kernelINS0_14default_configENS1_38merge_sort_block_merge_config_selectorIlNS0_10empty_typeEEEZZNS1_27merge_sort_block_merge_implIS3_PlPS5_mZN2at6native12_GLOBAL__N_124unique_dim_cuda_templateImEESt5tupleIJNSA_6TensorESF_SF_EERKSF_lbbbEUlllE_EE10hipError_tT0_T1_T2_jT3_P12ihipStream_tbPNSt15iterator_traitsISL_E10value_typeEPNSR_ISM_E10value_typeEPSN_NS1_7vsmem_tEENKUlT_SL_SM_SN_E_clIS8_S8_S9_S9_EESK_S10_SL_SM_SN_EUlS10_E_NS1_11comp_targetILNS1_3genE4ELNS1_11target_archE910ELNS1_3gpuE8ELNS1_3repE0EEENS1_48merge_mergepath_partition_config_static_selectorELNS0_4arch9wavefront6targetE0EEEvSM_.has_recursion, 0
	.set _ZN7rocprim17ROCPRIM_400000_NS6detail17trampoline_kernelINS0_14default_configENS1_38merge_sort_block_merge_config_selectorIlNS0_10empty_typeEEEZZNS1_27merge_sort_block_merge_implIS3_PlPS5_mZN2at6native12_GLOBAL__N_124unique_dim_cuda_templateImEESt5tupleIJNSA_6TensorESF_SF_EERKSF_lbbbEUlllE_EE10hipError_tT0_T1_T2_jT3_P12ihipStream_tbPNSt15iterator_traitsISL_E10value_typeEPNSR_ISM_E10value_typeEPSN_NS1_7vsmem_tEENKUlT_SL_SM_SN_E_clIS8_S8_S9_S9_EESK_S10_SL_SM_SN_EUlS10_E_NS1_11comp_targetILNS1_3genE4ELNS1_11target_archE910ELNS1_3gpuE8ELNS1_3repE0EEENS1_48merge_mergepath_partition_config_static_selectorELNS0_4arch9wavefront6targetE0EEEvSM_.has_indirect_call, 0
	.section	.AMDGPU.csdata,"",@progbits
; Kernel info:
; codeLenInByte = 0
; TotalNumSgprs: 0
; NumVgprs: 0
; ScratchSize: 0
; MemoryBound: 0
; FloatMode: 240
; IeeeMode: 1
; LDSByteSize: 0 bytes/workgroup (compile time only)
; SGPRBlocks: 0
; VGPRBlocks: 0
; NumSGPRsForWavesPerEU: 1
; NumVGPRsForWavesPerEU: 1
; NamedBarCnt: 0
; Occupancy: 16
; WaveLimiterHint : 0
; COMPUTE_PGM_RSRC2:SCRATCH_EN: 0
; COMPUTE_PGM_RSRC2:USER_SGPR: 2
; COMPUTE_PGM_RSRC2:TRAP_HANDLER: 0
; COMPUTE_PGM_RSRC2:TGID_X_EN: 1
; COMPUTE_PGM_RSRC2:TGID_Y_EN: 0
; COMPUTE_PGM_RSRC2:TGID_Z_EN: 0
; COMPUTE_PGM_RSRC2:TIDIG_COMP_CNT: 0
	.section	.text._ZN7rocprim17ROCPRIM_400000_NS6detail17trampoline_kernelINS0_14default_configENS1_38merge_sort_block_merge_config_selectorIlNS0_10empty_typeEEEZZNS1_27merge_sort_block_merge_implIS3_PlPS5_mZN2at6native12_GLOBAL__N_124unique_dim_cuda_templateImEESt5tupleIJNSA_6TensorESF_SF_EERKSF_lbbbEUlllE_EE10hipError_tT0_T1_T2_jT3_P12ihipStream_tbPNSt15iterator_traitsISL_E10value_typeEPNSR_ISM_E10value_typeEPSN_NS1_7vsmem_tEENKUlT_SL_SM_SN_E_clIS8_S8_S9_S9_EESK_S10_SL_SM_SN_EUlS10_E_NS1_11comp_targetILNS1_3genE3ELNS1_11target_archE908ELNS1_3gpuE7ELNS1_3repE0EEENS1_48merge_mergepath_partition_config_static_selectorELNS0_4arch9wavefront6targetE0EEEvSM_,"axG",@progbits,_ZN7rocprim17ROCPRIM_400000_NS6detail17trampoline_kernelINS0_14default_configENS1_38merge_sort_block_merge_config_selectorIlNS0_10empty_typeEEEZZNS1_27merge_sort_block_merge_implIS3_PlPS5_mZN2at6native12_GLOBAL__N_124unique_dim_cuda_templateImEESt5tupleIJNSA_6TensorESF_SF_EERKSF_lbbbEUlllE_EE10hipError_tT0_T1_T2_jT3_P12ihipStream_tbPNSt15iterator_traitsISL_E10value_typeEPNSR_ISM_E10value_typeEPSN_NS1_7vsmem_tEENKUlT_SL_SM_SN_E_clIS8_S8_S9_S9_EESK_S10_SL_SM_SN_EUlS10_E_NS1_11comp_targetILNS1_3genE3ELNS1_11target_archE908ELNS1_3gpuE7ELNS1_3repE0EEENS1_48merge_mergepath_partition_config_static_selectorELNS0_4arch9wavefront6targetE0EEEvSM_,comdat
	.globl	_ZN7rocprim17ROCPRIM_400000_NS6detail17trampoline_kernelINS0_14default_configENS1_38merge_sort_block_merge_config_selectorIlNS0_10empty_typeEEEZZNS1_27merge_sort_block_merge_implIS3_PlPS5_mZN2at6native12_GLOBAL__N_124unique_dim_cuda_templateImEESt5tupleIJNSA_6TensorESF_SF_EERKSF_lbbbEUlllE_EE10hipError_tT0_T1_T2_jT3_P12ihipStream_tbPNSt15iterator_traitsISL_E10value_typeEPNSR_ISM_E10value_typeEPSN_NS1_7vsmem_tEENKUlT_SL_SM_SN_E_clIS8_S8_S9_S9_EESK_S10_SL_SM_SN_EUlS10_E_NS1_11comp_targetILNS1_3genE3ELNS1_11target_archE908ELNS1_3gpuE7ELNS1_3repE0EEENS1_48merge_mergepath_partition_config_static_selectorELNS0_4arch9wavefront6targetE0EEEvSM_ ; -- Begin function _ZN7rocprim17ROCPRIM_400000_NS6detail17trampoline_kernelINS0_14default_configENS1_38merge_sort_block_merge_config_selectorIlNS0_10empty_typeEEEZZNS1_27merge_sort_block_merge_implIS3_PlPS5_mZN2at6native12_GLOBAL__N_124unique_dim_cuda_templateImEESt5tupleIJNSA_6TensorESF_SF_EERKSF_lbbbEUlllE_EE10hipError_tT0_T1_T2_jT3_P12ihipStream_tbPNSt15iterator_traitsISL_E10value_typeEPNSR_ISM_E10value_typeEPSN_NS1_7vsmem_tEENKUlT_SL_SM_SN_E_clIS8_S8_S9_S9_EESK_S10_SL_SM_SN_EUlS10_E_NS1_11comp_targetILNS1_3genE3ELNS1_11target_archE908ELNS1_3gpuE7ELNS1_3repE0EEENS1_48merge_mergepath_partition_config_static_selectorELNS0_4arch9wavefront6targetE0EEEvSM_
	.p2align	8
	.type	_ZN7rocprim17ROCPRIM_400000_NS6detail17trampoline_kernelINS0_14default_configENS1_38merge_sort_block_merge_config_selectorIlNS0_10empty_typeEEEZZNS1_27merge_sort_block_merge_implIS3_PlPS5_mZN2at6native12_GLOBAL__N_124unique_dim_cuda_templateImEESt5tupleIJNSA_6TensorESF_SF_EERKSF_lbbbEUlllE_EE10hipError_tT0_T1_T2_jT3_P12ihipStream_tbPNSt15iterator_traitsISL_E10value_typeEPNSR_ISM_E10value_typeEPSN_NS1_7vsmem_tEENKUlT_SL_SM_SN_E_clIS8_S8_S9_S9_EESK_S10_SL_SM_SN_EUlS10_E_NS1_11comp_targetILNS1_3genE3ELNS1_11target_archE908ELNS1_3gpuE7ELNS1_3repE0EEENS1_48merge_mergepath_partition_config_static_selectorELNS0_4arch9wavefront6targetE0EEEvSM_,@function
_ZN7rocprim17ROCPRIM_400000_NS6detail17trampoline_kernelINS0_14default_configENS1_38merge_sort_block_merge_config_selectorIlNS0_10empty_typeEEEZZNS1_27merge_sort_block_merge_implIS3_PlPS5_mZN2at6native12_GLOBAL__N_124unique_dim_cuda_templateImEESt5tupleIJNSA_6TensorESF_SF_EERKSF_lbbbEUlllE_EE10hipError_tT0_T1_T2_jT3_P12ihipStream_tbPNSt15iterator_traitsISL_E10value_typeEPNSR_ISM_E10value_typeEPSN_NS1_7vsmem_tEENKUlT_SL_SM_SN_E_clIS8_S8_S9_S9_EESK_S10_SL_SM_SN_EUlS10_E_NS1_11comp_targetILNS1_3genE3ELNS1_11target_archE908ELNS1_3gpuE7ELNS1_3repE0EEENS1_48merge_mergepath_partition_config_static_selectorELNS0_4arch9wavefront6targetE0EEEvSM_: ; @_ZN7rocprim17ROCPRIM_400000_NS6detail17trampoline_kernelINS0_14default_configENS1_38merge_sort_block_merge_config_selectorIlNS0_10empty_typeEEEZZNS1_27merge_sort_block_merge_implIS3_PlPS5_mZN2at6native12_GLOBAL__N_124unique_dim_cuda_templateImEESt5tupleIJNSA_6TensorESF_SF_EERKSF_lbbbEUlllE_EE10hipError_tT0_T1_T2_jT3_P12ihipStream_tbPNSt15iterator_traitsISL_E10value_typeEPNSR_ISM_E10value_typeEPSN_NS1_7vsmem_tEENKUlT_SL_SM_SN_E_clIS8_S8_S9_S9_EESK_S10_SL_SM_SN_EUlS10_E_NS1_11comp_targetILNS1_3genE3ELNS1_11target_archE908ELNS1_3gpuE7ELNS1_3repE0EEENS1_48merge_mergepath_partition_config_static_selectorELNS0_4arch9wavefront6targetE0EEEvSM_
; %bb.0:
	.section	.rodata,"a",@progbits
	.p2align	6, 0x0
	.amdhsa_kernel _ZN7rocprim17ROCPRIM_400000_NS6detail17trampoline_kernelINS0_14default_configENS1_38merge_sort_block_merge_config_selectorIlNS0_10empty_typeEEEZZNS1_27merge_sort_block_merge_implIS3_PlPS5_mZN2at6native12_GLOBAL__N_124unique_dim_cuda_templateImEESt5tupleIJNSA_6TensorESF_SF_EERKSF_lbbbEUlllE_EE10hipError_tT0_T1_T2_jT3_P12ihipStream_tbPNSt15iterator_traitsISL_E10value_typeEPNSR_ISM_E10value_typeEPSN_NS1_7vsmem_tEENKUlT_SL_SM_SN_E_clIS8_S8_S9_S9_EESK_S10_SL_SM_SN_EUlS10_E_NS1_11comp_targetILNS1_3genE3ELNS1_11target_archE908ELNS1_3gpuE7ELNS1_3repE0EEENS1_48merge_mergepath_partition_config_static_selectorELNS0_4arch9wavefront6targetE0EEEvSM_
		.amdhsa_group_segment_fixed_size 0
		.amdhsa_private_segment_fixed_size 0
		.amdhsa_kernarg_size 56
		.amdhsa_user_sgpr_count 2
		.amdhsa_user_sgpr_dispatch_ptr 0
		.amdhsa_user_sgpr_queue_ptr 0
		.amdhsa_user_sgpr_kernarg_segment_ptr 1
		.amdhsa_user_sgpr_dispatch_id 0
		.amdhsa_user_sgpr_kernarg_preload_length 0
		.amdhsa_user_sgpr_kernarg_preload_offset 0
		.amdhsa_user_sgpr_private_segment_size 0
		.amdhsa_wavefront_size32 1
		.amdhsa_uses_dynamic_stack 0
		.amdhsa_enable_private_segment 0
		.amdhsa_system_sgpr_workgroup_id_x 1
		.amdhsa_system_sgpr_workgroup_id_y 0
		.amdhsa_system_sgpr_workgroup_id_z 0
		.amdhsa_system_sgpr_workgroup_info 0
		.amdhsa_system_vgpr_workitem_id 0
		.amdhsa_next_free_vgpr 1
		.amdhsa_next_free_sgpr 1
		.amdhsa_named_barrier_count 0
		.amdhsa_reserve_vcc 0
		.amdhsa_float_round_mode_32 0
		.amdhsa_float_round_mode_16_64 0
		.amdhsa_float_denorm_mode_32 3
		.amdhsa_float_denorm_mode_16_64 3
		.amdhsa_fp16_overflow 0
		.amdhsa_memory_ordered 1
		.amdhsa_forward_progress 1
		.amdhsa_inst_pref_size 0
		.amdhsa_round_robin_scheduling 0
		.amdhsa_exception_fp_ieee_invalid_op 0
		.amdhsa_exception_fp_denorm_src 0
		.amdhsa_exception_fp_ieee_div_zero 0
		.amdhsa_exception_fp_ieee_overflow 0
		.amdhsa_exception_fp_ieee_underflow 0
		.amdhsa_exception_fp_ieee_inexact 0
		.amdhsa_exception_int_div_zero 0
	.end_amdhsa_kernel
	.section	.text._ZN7rocprim17ROCPRIM_400000_NS6detail17trampoline_kernelINS0_14default_configENS1_38merge_sort_block_merge_config_selectorIlNS0_10empty_typeEEEZZNS1_27merge_sort_block_merge_implIS3_PlPS5_mZN2at6native12_GLOBAL__N_124unique_dim_cuda_templateImEESt5tupleIJNSA_6TensorESF_SF_EERKSF_lbbbEUlllE_EE10hipError_tT0_T1_T2_jT3_P12ihipStream_tbPNSt15iterator_traitsISL_E10value_typeEPNSR_ISM_E10value_typeEPSN_NS1_7vsmem_tEENKUlT_SL_SM_SN_E_clIS8_S8_S9_S9_EESK_S10_SL_SM_SN_EUlS10_E_NS1_11comp_targetILNS1_3genE3ELNS1_11target_archE908ELNS1_3gpuE7ELNS1_3repE0EEENS1_48merge_mergepath_partition_config_static_selectorELNS0_4arch9wavefront6targetE0EEEvSM_,"axG",@progbits,_ZN7rocprim17ROCPRIM_400000_NS6detail17trampoline_kernelINS0_14default_configENS1_38merge_sort_block_merge_config_selectorIlNS0_10empty_typeEEEZZNS1_27merge_sort_block_merge_implIS3_PlPS5_mZN2at6native12_GLOBAL__N_124unique_dim_cuda_templateImEESt5tupleIJNSA_6TensorESF_SF_EERKSF_lbbbEUlllE_EE10hipError_tT0_T1_T2_jT3_P12ihipStream_tbPNSt15iterator_traitsISL_E10value_typeEPNSR_ISM_E10value_typeEPSN_NS1_7vsmem_tEENKUlT_SL_SM_SN_E_clIS8_S8_S9_S9_EESK_S10_SL_SM_SN_EUlS10_E_NS1_11comp_targetILNS1_3genE3ELNS1_11target_archE908ELNS1_3gpuE7ELNS1_3repE0EEENS1_48merge_mergepath_partition_config_static_selectorELNS0_4arch9wavefront6targetE0EEEvSM_,comdat
.Lfunc_end1618:
	.size	_ZN7rocprim17ROCPRIM_400000_NS6detail17trampoline_kernelINS0_14default_configENS1_38merge_sort_block_merge_config_selectorIlNS0_10empty_typeEEEZZNS1_27merge_sort_block_merge_implIS3_PlPS5_mZN2at6native12_GLOBAL__N_124unique_dim_cuda_templateImEESt5tupleIJNSA_6TensorESF_SF_EERKSF_lbbbEUlllE_EE10hipError_tT0_T1_T2_jT3_P12ihipStream_tbPNSt15iterator_traitsISL_E10value_typeEPNSR_ISM_E10value_typeEPSN_NS1_7vsmem_tEENKUlT_SL_SM_SN_E_clIS8_S8_S9_S9_EESK_S10_SL_SM_SN_EUlS10_E_NS1_11comp_targetILNS1_3genE3ELNS1_11target_archE908ELNS1_3gpuE7ELNS1_3repE0EEENS1_48merge_mergepath_partition_config_static_selectorELNS0_4arch9wavefront6targetE0EEEvSM_, .Lfunc_end1618-_ZN7rocprim17ROCPRIM_400000_NS6detail17trampoline_kernelINS0_14default_configENS1_38merge_sort_block_merge_config_selectorIlNS0_10empty_typeEEEZZNS1_27merge_sort_block_merge_implIS3_PlPS5_mZN2at6native12_GLOBAL__N_124unique_dim_cuda_templateImEESt5tupleIJNSA_6TensorESF_SF_EERKSF_lbbbEUlllE_EE10hipError_tT0_T1_T2_jT3_P12ihipStream_tbPNSt15iterator_traitsISL_E10value_typeEPNSR_ISM_E10value_typeEPSN_NS1_7vsmem_tEENKUlT_SL_SM_SN_E_clIS8_S8_S9_S9_EESK_S10_SL_SM_SN_EUlS10_E_NS1_11comp_targetILNS1_3genE3ELNS1_11target_archE908ELNS1_3gpuE7ELNS1_3repE0EEENS1_48merge_mergepath_partition_config_static_selectorELNS0_4arch9wavefront6targetE0EEEvSM_
                                        ; -- End function
	.set _ZN7rocprim17ROCPRIM_400000_NS6detail17trampoline_kernelINS0_14default_configENS1_38merge_sort_block_merge_config_selectorIlNS0_10empty_typeEEEZZNS1_27merge_sort_block_merge_implIS3_PlPS5_mZN2at6native12_GLOBAL__N_124unique_dim_cuda_templateImEESt5tupleIJNSA_6TensorESF_SF_EERKSF_lbbbEUlllE_EE10hipError_tT0_T1_T2_jT3_P12ihipStream_tbPNSt15iterator_traitsISL_E10value_typeEPNSR_ISM_E10value_typeEPSN_NS1_7vsmem_tEENKUlT_SL_SM_SN_E_clIS8_S8_S9_S9_EESK_S10_SL_SM_SN_EUlS10_E_NS1_11comp_targetILNS1_3genE3ELNS1_11target_archE908ELNS1_3gpuE7ELNS1_3repE0EEENS1_48merge_mergepath_partition_config_static_selectorELNS0_4arch9wavefront6targetE0EEEvSM_.num_vgpr, 0
	.set _ZN7rocprim17ROCPRIM_400000_NS6detail17trampoline_kernelINS0_14default_configENS1_38merge_sort_block_merge_config_selectorIlNS0_10empty_typeEEEZZNS1_27merge_sort_block_merge_implIS3_PlPS5_mZN2at6native12_GLOBAL__N_124unique_dim_cuda_templateImEESt5tupleIJNSA_6TensorESF_SF_EERKSF_lbbbEUlllE_EE10hipError_tT0_T1_T2_jT3_P12ihipStream_tbPNSt15iterator_traitsISL_E10value_typeEPNSR_ISM_E10value_typeEPSN_NS1_7vsmem_tEENKUlT_SL_SM_SN_E_clIS8_S8_S9_S9_EESK_S10_SL_SM_SN_EUlS10_E_NS1_11comp_targetILNS1_3genE3ELNS1_11target_archE908ELNS1_3gpuE7ELNS1_3repE0EEENS1_48merge_mergepath_partition_config_static_selectorELNS0_4arch9wavefront6targetE0EEEvSM_.num_agpr, 0
	.set _ZN7rocprim17ROCPRIM_400000_NS6detail17trampoline_kernelINS0_14default_configENS1_38merge_sort_block_merge_config_selectorIlNS0_10empty_typeEEEZZNS1_27merge_sort_block_merge_implIS3_PlPS5_mZN2at6native12_GLOBAL__N_124unique_dim_cuda_templateImEESt5tupleIJNSA_6TensorESF_SF_EERKSF_lbbbEUlllE_EE10hipError_tT0_T1_T2_jT3_P12ihipStream_tbPNSt15iterator_traitsISL_E10value_typeEPNSR_ISM_E10value_typeEPSN_NS1_7vsmem_tEENKUlT_SL_SM_SN_E_clIS8_S8_S9_S9_EESK_S10_SL_SM_SN_EUlS10_E_NS1_11comp_targetILNS1_3genE3ELNS1_11target_archE908ELNS1_3gpuE7ELNS1_3repE0EEENS1_48merge_mergepath_partition_config_static_selectorELNS0_4arch9wavefront6targetE0EEEvSM_.numbered_sgpr, 0
	.set _ZN7rocprim17ROCPRIM_400000_NS6detail17trampoline_kernelINS0_14default_configENS1_38merge_sort_block_merge_config_selectorIlNS0_10empty_typeEEEZZNS1_27merge_sort_block_merge_implIS3_PlPS5_mZN2at6native12_GLOBAL__N_124unique_dim_cuda_templateImEESt5tupleIJNSA_6TensorESF_SF_EERKSF_lbbbEUlllE_EE10hipError_tT0_T1_T2_jT3_P12ihipStream_tbPNSt15iterator_traitsISL_E10value_typeEPNSR_ISM_E10value_typeEPSN_NS1_7vsmem_tEENKUlT_SL_SM_SN_E_clIS8_S8_S9_S9_EESK_S10_SL_SM_SN_EUlS10_E_NS1_11comp_targetILNS1_3genE3ELNS1_11target_archE908ELNS1_3gpuE7ELNS1_3repE0EEENS1_48merge_mergepath_partition_config_static_selectorELNS0_4arch9wavefront6targetE0EEEvSM_.num_named_barrier, 0
	.set _ZN7rocprim17ROCPRIM_400000_NS6detail17trampoline_kernelINS0_14default_configENS1_38merge_sort_block_merge_config_selectorIlNS0_10empty_typeEEEZZNS1_27merge_sort_block_merge_implIS3_PlPS5_mZN2at6native12_GLOBAL__N_124unique_dim_cuda_templateImEESt5tupleIJNSA_6TensorESF_SF_EERKSF_lbbbEUlllE_EE10hipError_tT0_T1_T2_jT3_P12ihipStream_tbPNSt15iterator_traitsISL_E10value_typeEPNSR_ISM_E10value_typeEPSN_NS1_7vsmem_tEENKUlT_SL_SM_SN_E_clIS8_S8_S9_S9_EESK_S10_SL_SM_SN_EUlS10_E_NS1_11comp_targetILNS1_3genE3ELNS1_11target_archE908ELNS1_3gpuE7ELNS1_3repE0EEENS1_48merge_mergepath_partition_config_static_selectorELNS0_4arch9wavefront6targetE0EEEvSM_.private_seg_size, 0
	.set _ZN7rocprim17ROCPRIM_400000_NS6detail17trampoline_kernelINS0_14default_configENS1_38merge_sort_block_merge_config_selectorIlNS0_10empty_typeEEEZZNS1_27merge_sort_block_merge_implIS3_PlPS5_mZN2at6native12_GLOBAL__N_124unique_dim_cuda_templateImEESt5tupleIJNSA_6TensorESF_SF_EERKSF_lbbbEUlllE_EE10hipError_tT0_T1_T2_jT3_P12ihipStream_tbPNSt15iterator_traitsISL_E10value_typeEPNSR_ISM_E10value_typeEPSN_NS1_7vsmem_tEENKUlT_SL_SM_SN_E_clIS8_S8_S9_S9_EESK_S10_SL_SM_SN_EUlS10_E_NS1_11comp_targetILNS1_3genE3ELNS1_11target_archE908ELNS1_3gpuE7ELNS1_3repE0EEENS1_48merge_mergepath_partition_config_static_selectorELNS0_4arch9wavefront6targetE0EEEvSM_.uses_vcc, 0
	.set _ZN7rocprim17ROCPRIM_400000_NS6detail17trampoline_kernelINS0_14default_configENS1_38merge_sort_block_merge_config_selectorIlNS0_10empty_typeEEEZZNS1_27merge_sort_block_merge_implIS3_PlPS5_mZN2at6native12_GLOBAL__N_124unique_dim_cuda_templateImEESt5tupleIJNSA_6TensorESF_SF_EERKSF_lbbbEUlllE_EE10hipError_tT0_T1_T2_jT3_P12ihipStream_tbPNSt15iterator_traitsISL_E10value_typeEPNSR_ISM_E10value_typeEPSN_NS1_7vsmem_tEENKUlT_SL_SM_SN_E_clIS8_S8_S9_S9_EESK_S10_SL_SM_SN_EUlS10_E_NS1_11comp_targetILNS1_3genE3ELNS1_11target_archE908ELNS1_3gpuE7ELNS1_3repE0EEENS1_48merge_mergepath_partition_config_static_selectorELNS0_4arch9wavefront6targetE0EEEvSM_.uses_flat_scratch, 0
	.set _ZN7rocprim17ROCPRIM_400000_NS6detail17trampoline_kernelINS0_14default_configENS1_38merge_sort_block_merge_config_selectorIlNS0_10empty_typeEEEZZNS1_27merge_sort_block_merge_implIS3_PlPS5_mZN2at6native12_GLOBAL__N_124unique_dim_cuda_templateImEESt5tupleIJNSA_6TensorESF_SF_EERKSF_lbbbEUlllE_EE10hipError_tT0_T1_T2_jT3_P12ihipStream_tbPNSt15iterator_traitsISL_E10value_typeEPNSR_ISM_E10value_typeEPSN_NS1_7vsmem_tEENKUlT_SL_SM_SN_E_clIS8_S8_S9_S9_EESK_S10_SL_SM_SN_EUlS10_E_NS1_11comp_targetILNS1_3genE3ELNS1_11target_archE908ELNS1_3gpuE7ELNS1_3repE0EEENS1_48merge_mergepath_partition_config_static_selectorELNS0_4arch9wavefront6targetE0EEEvSM_.has_dyn_sized_stack, 0
	.set _ZN7rocprim17ROCPRIM_400000_NS6detail17trampoline_kernelINS0_14default_configENS1_38merge_sort_block_merge_config_selectorIlNS0_10empty_typeEEEZZNS1_27merge_sort_block_merge_implIS3_PlPS5_mZN2at6native12_GLOBAL__N_124unique_dim_cuda_templateImEESt5tupleIJNSA_6TensorESF_SF_EERKSF_lbbbEUlllE_EE10hipError_tT0_T1_T2_jT3_P12ihipStream_tbPNSt15iterator_traitsISL_E10value_typeEPNSR_ISM_E10value_typeEPSN_NS1_7vsmem_tEENKUlT_SL_SM_SN_E_clIS8_S8_S9_S9_EESK_S10_SL_SM_SN_EUlS10_E_NS1_11comp_targetILNS1_3genE3ELNS1_11target_archE908ELNS1_3gpuE7ELNS1_3repE0EEENS1_48merge_mergepath_partition_config_static_selectorELNS0_4arch9wavefront6targetE0EEEvSM_.has_recursion, 0
	.set _ZN7rocprim17ROCPRIM_400000_NS6detail17trampoline_kernelINS0_14default_configENS1_38merge_sort_block_merge_config_selectorIlNS0_10empty_typeEEEZZNS1_27merge_sort_block_merge_implIS3_PlPS5_mZN2at6native12_GLOBAL__N_124unique_dim_cuda_templateImEESt5tupleIJNSA_6TensorESF_SF_EERKSF_lbbbEUlllE_EE10hipError_tT0_T1_T2_jT3_P12ihipStream_tbPNSt15iterator_traitsISL_E10value_typeEPNSR_ISM_E10value_typeEPSN_NS1_7vsmem_tEENKUlT_SL_SM_SN_E_clIS8_S8_S9_S9_EESK_S10_SL_SM_SN_EUlS10_E_NS1_11comp_targetILNS1_3genE3ELNS1_11target_archE908ELNS1_3gpuE7ELNS1_3repE0EEENS1_48merge_mergepath_partition_config_static_selectorELNS0_4arch9wavefront6targetE0EEEvSM_.has_indirect_call, 0
	.section	.AMDGPU.csdata,"",@progbits
; Kernel info:
; codeLenInByte = 0
; TotalNumSgprs: 0
; NumVgprs: 0
; ScratchSize: 0
; MemoryBound: 0
; FloatMode: 240
; IeeeMode: 1
; LDSByteSize: 0 bytes/workgroup (compile time only)
; SGPRBlocks: 0
; VGPRBlocks: 0
; NumSGPRsForWavesPerEU: 1
; NumVGPRsForWavesPerEU: 1
; NamedBarCnt: 0
; Occupancy: 16
; WaveLimiterHint : 0
; COMPUTE_PGM_RSRC2:SCRATCH_EN: 0
; COMPUTE_PGM_RSRC2:USER_SGPR: 2
; COMPUTE_PGM_RSRC2:TRAP_HANDLER: 0
; COMPUTE_PGM_RSRC2:TGID_X_EN: 1
; COMPUTE_PGM_RSRC2:TGID_Y_EN: 0
; COMPUTE_PGM_RSRC2:TGID_Z_EN: 0
; COMPUTE_PGM_RSRC2:TIDIG_COMP_CNT: 0
	.section	.text._ZN7rocprim17ROCPRIM_400000_NS6detail17trampoline_kernelINS0_14default_configENS1_38merge_sort_block_merge_config_selectorIlNS0_10empty_typeEEEZZNS1_27merge_sort_block_merge_implIS3_PlPS5_mZN2at6native12_GLOBAL__N_124unique_dim_cuda_templateImEESt5tupleIJNSA_6TensorESF_SF_EERKSF_lbbbEUlllE_EE10hipError_tT0_T1_T2_jT3_P12ihipStream_tbPNSt15iterator_traitsISL_E10value_typeEPNSR_ISM_E10value_typeEPSN_NS1_7vsmem_tEENKUlT_SL_SM_SN_E_clIS8_S8_S9_S9_EESK_S10_SL_SM_SN_EUlS10_E_NS1_11comp_targetILNS1_3genE2ELNS1_11target_archE906ELNS1_3gpuE6ELNS1_3repE0EEENS1_48merge_mergepath_partition_config_static_selectorELNS0_4arch9wavefront6targetE0EEEvSM_,"axG",@progbits,_ZN7rocprim17ROCPRIM_400000_NS6detail17trampoline_kernelINS0_14default_configENS1_38merge_sort_block_merge_config_selectorIlNS0_10empty_typeEEEZZNS1_27merge_sort_block_merge_implIS3_PlPS5_mZN2at6native12_GLOBAL__N_124unique_dim_cuda_templateImEESt5tupleIJNSA_6TensorESF_SF_EERKSF_lbbbEUlllE_EE10hipError_tT0_T1_T2_jT3_P12ihipStream_tbPNSt15iterator_traitsISL_E10value_typeEPNSR_ISM_E10value_typeEPSN_NS1_7vsmem_tEENKUlT_SL_SM_SN_E_clIS8_S8_S9_S9_EESK_S10_SL_SM_SN_EUlS10_E_NS1_11comp_targetILNS1_3genE2ELNS1_11target_archE906ELNS1_3gpuE6ELNS1_3repE0EEENS1_48merge_mergepath_partition_config_static_selectorELNS0_4arch9wavefront6targetE0EEEvSM_,comdat
	.globl	_ZN7rocprim17ROCPRIM_400000_NS6detail17trampoline_kernelINS0_14default_configENS1_38merge_sort_block_merge_config_selectorIlNS0_10empty_typeEEEZZNS1_27merge_sort_block_merge_implIS3_PlPS5_mZN2at6native12_GLOBAL__N_124unique_dim_cuda_templateImEESt5tupleIJNSA_6TensorESF_SF_EERKSF_lbbbEUlllE_EE10hipError_tT0_T1_T2_jT3_P12ihipStream_tbPNSt15iterator_traitsISL_E10value_typeEPNSR_ISM_E10value_typeEPSN_NS1_7vsmem_tEENKUlT_SL_SM_SN_E_clIS8_S8_S9_S9_EESK_S10_SL_SM_SN_EUlS10_E_NS1_11comp_targetILNS1_3genE2ELNS1_11target_archE906ELNS1_3gpuE6ELNS1_3repE0EEENS1_48merge_mergepath_partition_config_static_selectorELNS0_4arch9wavefront6targetE0EEEvSM_ ; -- Begin function _ZN7rocprim17ROCPRIM_400000_NS6detail17trampoline_kernelINS0_14default_configENS1_38merge_sort_block_merge_config_selectorIlNS0_10empty_typeEEEZZNS1_27merge_sort_block_merge_implIS3_PlPS5_mZN2at6native12_GLOBAL__N_124unique_dim_cuda_templateImEESt5tupleIJNSA_6TensorESF_SF_EERKSF_lbbbEUlllE_EE10hipError_tT0_T1_T2_jT3_P12ihipStream_tbPNSt15iterator_traitsISL_E10value_typeEPNSR_ISM_E10value_typeEPSN_NS1_7vsmem_tEENKUlT_SL_SM_SN_E_clIS8_S8_S9_S9_EESK_S10_SL_SM_SN_EUlS10_E_NS1_11comp_targetILNS1_3genE2ELNS1_11target_archE906ELNS1_3gpuE6ELNS1_3repE0EEENS1_48merge_mergepath_partition_config_static_selectorELNS0_4arch9wavefront6targetE0EEEvSM_
	.p2align	8
	.type	_ZN7rocprim17ROCPRIM_400000_NS6detail17trampoline_kernelINS0_14default_configENS1_38merge_sort_block_merge_config_selectorIlNS0_10empty_typeEEEZZNS1_27merge_sort_block_merge_implIS3_PlPS5_mZN2at6native12_GLOBAL__N_124unique_dim_cuda_templateImEESt5tupleIJNSA_6TensorESF_SF_EERKSF_lbbbEUlllE_EE10hipError_tT0_T1_T2_jT3_P12ihipStream_tbPNSt15iterator_traitsISL_E10value_typeEPNSR_ISM_E10value_typeEPSN_NS1_7vsmem_tEENKUlT_SL_SM_SN_E_clIS8_S8_S9_S9_EESK_S10_SL_SM_SN_EUlS10_E_NS1_11comp_targetILNS1_3genE2ELNS1_11target_archE906ELNS1_3gpuE6ELNS1_3repE0EEENS1_48merge_mergepath_partition_config_static_selectorELNS0_4arch9wavefront6targetE0EEEvSM_,@function
_ZN7rocprim17ROCPRIM_400000_NS6detail17trampoline_kernelINS0_14default_configENS1_38merge_sort_block_merge_config_selectorIlNS0_10empty_typeEEEZZNS1_27merge_sort_block_merge_implIS3_PlPS5_mZN2at6native12_GLOBAL__N_124unique_dim_cuda_templateImEESt5tupleIJNSA_6TensorESF_SF_EERKSF_lbbbEUlllE_EE10hipError_tT0_T1_T2_jT3_P12ihipStream_tbPNSt15iterator_traitsISL_E10value_typeEPNSR_ISM_E10value_typeEPSN_NS1_7vsmem_tEENKUlT_SL_SM_SN_E_clIS8_S8_S9_S9_EESK_S10_SL_SM_SN_EUlS10_E_NS1_11comp_targetILNS1_3genE2ELNS1_11target_archE906ELNS1_3gpuE6ELNS1_3repE0EEENS1_48merge_mergepath_partition_config_static_selectorELNS0_4arch9wavefront6targetE0EEEvSM_: ; @_ZN7rocprim17ROCPRIM_400000_NS6detail17trampoline_kernelINS0_14default_configENS1_38merge_sort_block_merge_config_selectorIlNS0_10empty_typeEEEZZNS1_27merge_sort_block_merge_implIS3_PlPS5_mZN2at6native12_GLOBAL__N_124unique_dim_cuda_templateImEESt5tupleIJNSA_6TensorESF_SF_EERKSF_lbbbEUlllE_EE10hipError_tT0_T1_T2_jT3_P12ihipStream_tbPNSt15iterator_traitsISL_E10value_typeEPNSR_ISM_E10value_typeEPSN_NS1_7vsmem_tEENKUlT_SL_SM_SN_E_clIS8_S8_S9_S9_EESK_S10_SL_SM_SN_EUlS10_E_NS1_11comp_targetILNS1_3genE2ELNS1_11target_archE906ELNS1_3gpuE6ELNS1_3repE0EEENS1_48merge_mergepath_partition_config_static_selectorELNS0_4arch9wavefront6targetE0EEEvSM_
; %bb.0:
	.section	.rodata,"a",@progbits
	.p2align	6, 0x0
	.amdhsa_kernel _ZN7rocprim17ROCPRIM_400000_NS6detail17trampoline_kernelINS0_14default_configENS1_38merge_sort_block_merge_config_selectorIlNS0_10empty_typeEEEZZNS1_27merge_sort_block_merge_implIS3_PlPS5_mZN2at6native12_GLOBAL__N_124unique_dim_cuda_templateImEESt5tupleIJNSA_6TensorESF_SF_EERKSF_lbbbEUlllE_EE10hipError_tT0_T1_T2_jT3_P12ihipStream_tbPNSt15iterator_traitsISL_E10value_typeEPNSR_ISM_E10value_typeEPSN_NS1_7vsmem_tEENKUlT_SL_SM_SN_E_clIS8_S8_S9_S9_EESK_S10_SL_SM_SN_EUlS10_E_NS1_11comp_targetILNS1_3genE2ELNS1_11target_archE906ELNS1_3gpuE6ELNS1_3repE0EEENS1_48merge_mergepath_partition_config_static_selectorELNS0_4arch9wavefront6targetE0EEEvSM_
		.amdhsa_group_segment_fixed_size 0
		.amdhsa_private_segment_fixed_size 0
		.amdhsa_kernarg_size 56
		.amdhsa_user_sgpr_count 2
		.amdhsa_user_sgpr_dispatch_ptr 0
		.amdhsa_user_sgpr_queue_ptr 0
		.amdhsa_user_sgpr_kernarg_segment_ptr 1
		.amdhsa_user_sgpr_dispatch_id 0
		.amdhsa_user_sgpr_kernarg_preload_length 0
		.amdhsa_user_sgpr_kernarg_preload_offset 0
		.amdhsa_user_sgpr_private_segment_size 0
		.amdhsa_wavefront_size32 1
		.amdhsa_uses_dynamic_stack 0
		.amdhsa_enable_private_segment 0
		.amdhsa_system_sgpr_workgroup_id_x 1
		.amdhsa_system_sgpr_workgroup_id_y 0
		.amdhsa_system_sgpr_workgroup_id_z 0
		.amdhsa_system_sgpr_workgroup_info 0
		.amdhsa_system_vgpr_workitem_id 0
		.amdhsa_next_free_vgpr 1
		.amdhsa_next_free_sgpr 1
		.amdhsa_named_barrier_count 0
		.amdhsa_reserve_vcc 0
		.amdhsa_float_round_mode_32 0
		.amdhsa_float_round_mode_16_64 0
		.amdhsa_float_denorm_mode_32 3
		.amdhsa_float_denorm_mode_16_64 3
		.amdhsa_fp16_overflow 0
		.amdhsa_memory_ordered 1
		.amdhsa_forward_progress 1
		.amdhsa_inst_pref_size 0
		.amdhsa_round_robin_scheduling 0
		.amdhsa_exception_fp_ieee_invalid_op 0
		.amdhsa_exception_fp_denorm_src 0
		.amdhsa_exception_fp_ieee_div_zero 0
		.amdhsa_exception_fp_ieee_overflow 0
		.amdhsa_exception_fp_ieee_underflow 0
		.amdhsa_exception_fp_ieee_inexact 0
		.amdhsa_exception_int_div_zero 0
	.end_amdhsa_kernel
	.section	.text._ZN7rocprim17ROCPRIM_400000_NS6detail17trampoline_kernelINS0_14default_configENS1_38merge_sort_block_merge_config_selectorIlNS0_10empty_typeEEEZZNS1_27merge_sort_block_merge_implIS3_PlPS5_mZN2at6native12_GLOBAL__N_124unique_dim_cuda_templateImEESt5tupleIJNSA_6TensorESF_SF_EERKSF_lbbbEUlllE_EE10hipError_tT0_T1_T2_jT3_P12ihipStream_tbPNSt15iterator_traitsISL_E10value_typeEPNSR_ISM_E10value_typeEPSN_NS1_7vsmem_tEENKUlT_SL_SM_SN_E_clIS8_S8_S9_S9_EESK_S10_SL_SM_SN_EUlS10_E_NS1_11comp_targetILNS1_3genE2ELNS1_11target_archE906ELNS1_3gpuE6ELNS1_3repE0EEENS1_48merge_mergepath_partition_config_static_selectorELNS0_4arch9wavefront6targetE0EEEvSM_,"axG",@progbits,_ZN7rocprim17ROCPRIM_400000_NS6detail17trampoline_kernelINS0_14default_configENS1_38merge_sort_block_merge_config_selectorIlNS0_10empty_typeEEEZZNS1_27merge_sort_block_merge_implIS3_PlPS5_mZN2at6native12_GLOBAL__N_124unique_dim_cuda_templateImEESt5tupleIJNSA_6TensorESF_SF_EERKSF_lbbbEUlllE_EE10hipError_tT0_T1_T2_jT3_P12ihipStream_tbPNSt15iterator_traitsISL_E10value_typeEPNSR_ISM_E10value_typeEPSN_NS1_7vsmem_tEENKUlT_SL_SM_SN_E_clIS8_S8_S9_S9_EESK_S10_SL_SM_SN_EUlS10_E_NS1_11comp_targetILNS1_3genE2ELNS1_11target_archE906ELNS1_3gpuE6ELNS1_3repE0EEENS1_48merge_mergepath_partition_config_static_selectorELNS0_4arch9wavefront6targetE0EEEvSM_,comdat
.Lfunc_end1619:
	.size	_ZN7rocprim17ROCPRIM_400000_NS6detail17trampoline_kernelINS0_14default_configENS1_38merge_sort_block_merge_config_selectorIlNS0_10empty_typeEEEZZNS1_27merge_sort_block_merge_implIS3_PlPS5_mZN2at6native12_GLOBAL__N_124unique_dim_cuda_templateImEESt5tupleIJNSA_6TensorESF_SF_EERKSF_lbbbEUlllE_EE10hipError_tT0_T1_T2_jT3_P12ihipStream_tbPNSt15iterator_traitsISL_E10value_typeEPNSR_ISM_E10value_typeEPSN_NS1_7vsmem_tEENKUlT_SL_SM_SN_E_clIS8_S8_S9_S9_EESK_S10_SL_SM_SN_EUlS10_E_NS1_11comp_targetILNS1_3genE2ELNS1_11target_archE906ELNS1_3gpuE6ELNS1_3repE0EEENS1_48merge_mergepath_partition_config_static_selectorELNS0_4arch9wavefront6targetE0EEEvSM_, .Lfunc_end1619-_ZN7rocprim17ROCPRIM_400000_NS6detail17trampoline_kernelINS0_14default_configENS1_38merge_sort_block_merge_config_selectorIlNS0_10empty_typeEEEZZNS1_27merge_sort_block_merge_implIS3_PlPS5_mZN2at6native12_GLOBAL__N_124unique_dim_cuda_templateImEESt5tupleIJNSA_6TensorESF_SF_EERKSF_lbbbEUlllE_EE10hipError_tT0_T1_T2_jT3_P12ihipStream_tbPNSt15iterator_traitsISL_E10value_typeEPNSR_ISM_E10value_typeEPSN_NS1_7vsmem_tEENKUlT_SL_SM_SN_E_clIS8_S8_S9_S9_EESK_S10_SL_SM_SN_EUlS10_E_NS1_11comp_targetILNS1_3genE2ELNS1_11target_archE906ELNS1_3gpuE6ELNS1_3repE0EEENS1_48merge_mergepath_partition_config_static_selectorELNS0_4arch9wavefront6targetE0EEEvSM_
                                        ; -- End function
	.set _ZN7rocprim17ROCPRIM_400000_NS6detail17trampoline_kernelINS0_14default_configENS1_38merge_sort_block_merge_config_selectorIlNS0_10empty_typeEEEZZNS1_27merge_sort_block_merge_implIS3_PlPS5_mZN2at6native12_GLOBAL__N_124unique_dim_cuda_templateImEESt5tupleIJNSA_6TensorESF_SF_EERKSF_lbbbEUlllE_EE10hipError_tT0_T1_T2_jT3_P12ihipStream_tbPNSt15iterator_traitsISL_E10value_typeEPNSR_ISM_E10value_typeEPSN_NS1_7vsmem_tEENKUlT_SL_SM_SN_E_clIS8_S8_S9_S9_EESK_S10_SL_SM_SN_EUlS10_E_NS1_11comp_targetILNS1_3genE2ELNS1_11target_archE906ELNS1_3gpuE6ELNS1_3repE0EEENS1_48merge_mergepath_partition_config_static_selectorELNS0_4arch9wavefront6targetE0EEEvSM_.num_vgpr, 0
	.set _ZN7rocprim17ROCPRIM_400000_NS6detail17trampoline_kernelINS0_14default_configENS1_38merge_sort_block_merge_config_selectorIlNS0_10empty_typeEEEZZNS1_27merge_sort_block_merge_implIS3_PlPS5_mZN2at6native12_GLOBAL__N_124unique_dim_cuda_templateImEESt5tupleIJNSA_6TensorESF_SF_EERKSF_lbbbEUlllE_EE10hipError_tT0_T1_T2_jT3_P12ihipStream_tbPNSt15iterator_traitsISL_E10value_typeEPNSR_ISM_E10value_typeEPSN_NS1_7vsmem_tEENKUlT_SL_SM_SN_E_clIS8_S8_S9_S9_EESK_S10_SL_SM_SN_EUlS10_E_NS1_11comp_targetILNS1_3genE2ELNS1_11target_archE906ELNS1_3gpuE6ELNS1_3repE0EEENS1_48merge_mergepath_partition_config_static_selectorELNS0_4arch9wavefront6targetE0EEEvSM_.num_agpr, 0
	.set _ZN7rocprim17ROCPRIM_400000_NS6detail17trampoline_kernelINS0_14default_configENS1_38merge_sort_block_merge_config_selectorIlNS0_10empty_typeEEEZZNS1_27merge_sort_block_merge_implIS3_PlPS5_mZN2at6native12_GLOBAL__N_124unique_dim_cuda_templateImEESt5tupleIJNSA_6TensorESF_SF_EERKSF_lbbbEUlllE_EE10hipError_tT0_T1_T2_jT3_P12ihipStream_tbPNSt15iterator_traitsISL_E10value_typeEPNSR_ISM_E10value_typeEPSN_NS1_7vsmem_tEENKUlT_SL_SM_SN_E_clIS8_S8_S9_S9_EESK_S10_SL_SM_SN_EUlS10_E_NS1_11comp_targetILNS1_3genE2ELNS1_11target_archE906ELNS1_3gpuE6ELNS1_3repE0EEENS1_48merge_mergepath_partition_config_static_selectorELNS0_4arch9wavefront6targetE0EEEvSM_.numbered_sgpr, 0
	.set _ZN7rocprim17ROCPRIM_400000_NS6detail17trampoline_kernelINS0_14default_configENS1_38merge_sort_block_merge_config_selectorIlNS0_10empty_typeEEEZZNS1_27merge_sort_block_merge_implIS3_PlPS5_mZN2at6native12_GLOBAL__N_124unique_dim_cuda_templateImEESt5tupleIJNSA_6TensorESF_SF_EERKSF_lbbbEUlllE_EE10hipError_tT0_T1_T2_jT3_P12ihipStream_tbPNSt15iterator_traitsISL_E10value_typeEPNSR_ISM_E10value_typeEPSN_NS1_7vsmem_tEENKUlT_SL_SM_SN_E_clIS8_S8_S9_S9_EESK_S10_SL_SM_SN_EUlS10_E_NS1_11comp_targetILNS1_3genE2ELNS1_11target_archE906ELNS1_3gpuE6ELNS1_3repE0EEENS1_48merge_mergepath_partition_config_static_selectorELNS0_4arch9wavefront6targetE0EEEvSM_.num_named_barrier, 0
	.set _ZN7rocprim17ROCPRIM_400000_NS6detail17trampoline_kernelINS0_14default_configENS1_38merge_sort_block_merge_config_selectorIlNS0_10empty_typeEEEZZNS1_27merge_sort_block_merge_implIS3_PlPS5_mZN2at6native12_GLOBAL__N_124unique_dim_cuda_templateImEESt5tupleIJNSA_6TensorESF_SF_EERKSF_lbbbEUlllE_EE10hipError_tT0_T1_T2_jT3_P12ihipStream_tbPNSt15iterator_traitsISL_E10value_typeEPNSR_ISM_E10value_typeEPSN_NS1_7vsmem_tEENKUlT_SL_SM_SN_E_clIS8_S8_S9_S9_EESK_S10_SL_SM_SN_EUlS10_E_NS1_11comp_targetILNS1_3genE2ELNS1_11target_archE906ELNS1_3gpuE6ELNS1_3repE0EEENS1_48merge_mergepath_partition_config_static_selectorELNS0_4arch9wavefront6targetE0EEEvSM_.private_seg_size, 0
	.set _ZN7rocprim17ROCPRIM_400000_NS6detail17trampoline_kernelINS0_14default_configENS1_38merge_sort_block_merge_config_selectorIlNS0_10empty_typeEEEZZNS1_27merge_sort_block_merge_implIS3_PlPS5_mZN2at6native12_GLOBAL__N_124unique_dim_cuda_templateImEESt5tupleIJNSA_6TensorESF_SF_EERKSF_lbbbEUlllE_EE10hipError_tT0_T1_T2_jT3_P12ihipStream_tbPNSt15iterator_traitsISL_E10value_typeEPNSR_ISM_E10value_typeEPSN_NS1_7vsmem_tEENKUlT_SL_SM_SN_E_clIS8_S8_S9_S9_EESK_S10_SL_SM_SN_EUlS10_E_NS1_11comp_targetILNS1_3genE2ELNS1_11target_archE906ELNS1_3gpuE6ELNS1_3repE0EEENS1_48merge_mergepath_partition_config_static_selectorELNS0_4arch9wavefront6targetE0EEEvSM_.uses_vcc, 0
	.set _ZN7rocprim17ROCPRIM_400000_NS6detail17trampoline_kernelINS0_14default_configENS1_38merge_sort_block_merge_config_selectorIlNS0_10empty_typeEEEZZNS1_27merge_sort_block_merge_implIS3_PlPS5_mZN2at6native12_GLOBAL__N_124unique_dim_cuda_templateImEESt5tupleIJNSA_6TensorESF_SF_EERKSF_lbbbEUlllE_EE10hipError_tT0_T1_T2_jT3_P12ihipStream_tbPNSt15iterator_traitsISL_E10value_typeEPNSR_ISM_E10value_typeEPSN_NS1_7vsmem_tEENKUlT_SL_SM_SN_E_clIS8_S8_S9_S9_EESK_S10_SL_SM_SN_EUlS10_E_NS1_11comp_targetILNS1_3genE2ELNS1_11target_archE906ELNS1_3gpuE6ELNS1_3repE0EEENS1_48merge_mergepath_partition_config_static_selectorELNS0_4arch9wavefront6targetE0EEEvSM_.uses_flat_scratch, 0
	.set _ZN7rocprim17ROCPRIM_400000_NS6detail17trampoline_kernelINS0_14default_configENS1_38merge_sort_block_merge_config_selectorIlNS0_10empty_typeEEEZZNS1_27merge_sort_block_merge_implIS3_PlPS5_mZN2at6native12_GLOBAL__N_124unique_dim_cuda_templateImEESt5tupleIJNSA_6TensorESF_SF_EERKSF_lbbbEUlllE_EE10hipError_tT0_T1_T2_jT3_P12ihipStream_tbPNSt15iterator_traitsISL_E10value_typeEPNSR_ISM_E10value_typeEPSN_NS1_7vsmem_tEENKUlT_SL_SM_SN_E_clIS8_S8_S9_S9_EESK_S10_SL_SM_SN_EUlS10_E_NS1_11comp_targetILNS1_3genE2ELNS1_11target_archE906ELNS1_3gpuE6ELNS1_3repE0EEENS1_48merge_mergepath_partition_config_static_selectorELNS0_4arch9wavefront6targetE0EEEvSM_.has_dyn_sized_stack, 0
	.set _ZN7rocprim17ROCPRIM_400000_NS6detail17trampoline_kernelINS0_14default_configENS1_38merge_sort_block_merge_config_selectorIlNS0_10empty_typeEEEZZNS1_27merge_sort_block_merge_implIS3_PlPS5_mZN2at6native12_GLOBAL__N_124unique_dim_cuda_templateImEESt5tupleIJNSA_6TensorESF_SF_EERKSF_lbbbEUlllE_EE10hipError_tT0_T1_T2_jT3_P12ihipStream_tbPNSt15iterator_traitsISL_E10value_typeEPNSR_ISM_E10value_typeEPSN_NS1_7vsmem_tEENKUlT_SL_SM_SN_E_clIS8_S8_S9_S9_EESK_S10_SL_SM_SN_EUlS10_E_NS1_11comp_targetILNS1_3genE2ELNS1_11target_archE906ELNS1_3gpuE6ELNS1_3repE0EEENS1_48merge_mergepath_partition_config_static_selectorELNS0_4arch9wavefront6targetE0EEEvSM_.has_recursion, 0
	.set _ZN7rocprim17ROCPRIM_400000_NS6detail17trampoline_kernelINS0_14default_configENS1_38merge_sort_block_merge_config_selectorIlNS0_10empty_typeEEEZZNS1_27merge_sort_block_merge_implIS3_PlPS5_mZN2at6native12_GLOBAL__N_124unique_dim_cuda_templateImEESt5tupleIJNSA_6TensorESF_SF_EERKSF_lbbbEUlllE_EE10hipError_tT0_T1_T2_jT3_P12ihipStream_tbPNSt15iterator_traitsISL_E10value_typeEPNSR_ISM_E10value_typeEPSN_NS1_7vsmem_tEENKUlT_SL_SM_SN_E_clIS8_S8_S9_S9_EESK_S10_SL_SM_SN_EUlS10_E_NS1_11comp_targetILNS1_3genE2ELNS1_11target_archE906ELNS1_3gpuE6ELNS1_3repE0EEENS1_48merge_mergepath_partition_config_static_selectorELNS0_4arch9wavefront6targetE0EEEvSM_.has_indirect_call, 0
	.section	.AMDGPU.csdata,"",@progbits
; Kernel info:
; codeLenInByte = 0
; TotalNumSgprs: 0
; NumVgprs: 0
; ScratchSize: 0
; MemoryBound: 0
; FloatMode: 240
; IeeeMode: 1
; LDSByteSize: 0 bytes/workgroup (compile time only)
; SGPRBlocks: 0
; VGPRBlocks: 0
; NumSGPRsForWavesPerEU: 1
; NumVGPRsForWavesPerEU: 1
; NamedBarCnt: 0
; Occupancy: 16
; WaveLimiterHint : 0
; COMPUTE_PGM_RSRC2:SCRATCH_EN: 0
; COMPUTE_PGM_RSRC2:USER_SGPR: 2
; COMPUTE_PGM_RSRC2:TRAP_HANDLER: 0
; COMPUTE_PGM_RSRC2:TGID_X_EN: 1
; COMPUTE_PGM_RSRC2:TGID_Y_EN: 0
; COMPUTE_PGM_RSRC2:TGID_Z_EN: 0
; COMPUTE_PGM_RSRC2:TIDIG_COMP_CNT: 0
	.section	.text._ZN7rocprim17ROCPRIM_400000_NS6detail17trampoline_kernelINS0_14default_configENS1_38merge_sort_block_merge_config_selectorIlNS0_10empty_typeEEEZZNS1_27merge_sort_block_merge_implIS3_PlPS5_mZN2at6native12_GLOBAL__N_124unique_dim_cuda_templateImEESt5tupleIJNSA_6TensorESF_SF_EERKSF_lbbbEUlllE_EE10hipError_tT0_T1_T2_jT3_P12ihipStream_tbPNSt15iterator_traitsISL_E10value_typeEPNSR_ISM_E10value_typeEPSN_NS1_7vsmem_tEENKUlT_SL_SM_SN_E_clIS8_S8_S9_S9_EESK_S10_SL_SM_SN_EUlS10_E_NS1_11comp_targetILNS1_3genE9ELNS1_11target_archE1100ELNS1_3gpuE3ELNS1_3repE0EEENS1_48merge_mergepath_partition_config_static_selectorELNS0_4arch9wavefront6targetE0EEEvSM_,"axG",@progbits,_ZN7rocprim17ROCPRIM_400000_NS6detail17trampoline_kernelINS0_14default_configENS1_38merge_sort_block_merge_config_selectorIlNS0_10empty_typeEEEZZNS1_27merge_sort_block_merge_implIS3_PlPS5_mZN2at6native12_GLOBAL__N_124unique_dim_cuda_templateImEESt5tupleIJNSA_6TensorESF_SF_EERKSF_lbbbEUlllE_EE10hipError_tT0_T1_T2_jT3_P12ihipStream_tbPNSt15iterator_traitsISL_E10value_typeEPNSR_ISM_E10value_typeEPSN_NS1_7vsmem_tEENKUlT_SL_SM_SN_E_clIS8_S8_S9_S9_EESK_S10_SL_SM_SN_EUlS10_E_NS1_11comp_targetILNS1_3genE9ELNS1_11target_archE1100ELNS1_3gpuE3ELNS1_3repE0EEENS1_48merge_mergepath_partition_config_static_selectorELNS0_4arch9wavefront6targetE0EEEvSM_,comdat
	.globl	_ZN7rocprim17ROCPRIM_400000_NS6detail17trampoline_kernelINS0_14default_configENS1_38merge_sort_block_merge_config_selectorIlNS0_10empty_typeEEEZZNS1_27merge_sort_block_merge_implIS3_PlPS5_mZN2at6native12_GLOBAL__N_124unique_dim_cuda_templateImEESt5tupleIJNSA_6TensorESF_SF_EERKSF_lbbbEUlllE_EE10hipError_tT0_T1_T2_jT3_P12ihipStream_tbPNSt15iterator_traitsISL_E10value_typeEPNSR_ISM_E10value_typeEPSN_NS1_7vsmem_tEENKUlT_SL_SM_SN_E_clIS8_S8_S9_S9_EESK_S10_SL_SM_SN_EUlS10_E_NS1_11comp_targetILNS1_3genE9ELNS1_11target_archE1100ELNS1_3gpuE3ELNS1_3repE0EEENS1_48merge_mergepath_partition_config_static_selectorELNS0_4arch9wavefront6targetE0EEEvSM_ ; -- Begin function _ZN7rocprim17ROCPRIM_400000_NS6detail17trampoline_kernelINS0_14default_configENS1_38merge_sort_block_merge_config_selectorIlNS0_10empty_typeEEEZZNS1_27merge_sort_block_merge_implIS3_PlPS5_mZN2at6native12_GLOBAL__N_124unique_dim_cuda_templateImEESt5tupleIJNSA_6TensorESF_SF_EERKSF_lbbbEUlllE_EE10hipError_tT0_T1_T2_jT3_P12ihipStream_tbPNSt15iterator_traitsISL_E10value_typeEPNSR_ISM_E10value_typeEPSN_NS1_7vsmem_tEENKUlT_SL_SM_SN_E_clIS8_S8_S9_S9_EESK_S10_SL_SM_SN_EUlS10_E_NS1_11comp_targetILNS1_3genE9ELNS1_11target_archE1100ELNS1_3gpuE3ELNS1_3repE0EEENS1_48merge_mergepath_partition_config_static_selectorELNS0_4arch9wavefront6targetE0EEEvSM_
	.p2align	8
	.type	_ZN7rocprim17ROCPRIM_400000_NS6detail17trampoline_kernelINS0_14default_configENS1_38merge_sort_block_merge_config_selectorIlNS0_10empty_typeEEEZZNS1_27merge_sort_block_merge_implIS3_PlPS5_mZN2at6native12_GLOBAL__N_124unique_dim_cuda_templateImEESt5tupleIJNSA_6TensorESF_SF_EERKSF_lbbbEUlllE_EE10hipError_tT0_T1_T2_jT3_P12ihipStream_tbPNSt15iterator_traitsISL_E10value_typeEPNSR_ISM_E10value_typeEPSN_NS1_7vsmem_tEENKUlT_SL_SM_SN_E_clIS8_S8_S9_S9_EESK_S10_SL_SM_SN_EUlS10_E_NS1_11comp_targetILNS1_3genE9ELNS1_11target_archE1100ELNS1_3gpuE3ELNS1_3repE0EEENS1_48merge_mergepath_partition_config_static_selectorELNS0_4arch9wavefront6targetE0EEEvSM_,@function
_ZN7rocprim17ROCPRIM_400000_NS6detail17trampoline_kernelINS0_14default_configENS1_38merge_sort_block_merge_config_selectorIlNS0_10empty_typeEEEZZNS1_27merge_sort_block_merge_implIS3_PlPS5_mZN2at6native12_GLOBAL__N_124unique_dim_cuda_templateImEESt5tupleIJNSA_6TensorESF_SF_EERKSF_lbbbEUlllE_EE10hipError_tT0_T1_T2_jT3_P12ihipStream_tbPNSt15iterator_traitsISL_E10value_typeEPNSR_ISM_E10value_typeEPSN_NS1_7vsmem_tEENKUlT_SL_SM_SN_E_clIS8_S8_S9_S9_EESK_S10_SL_SM_SN_EUlS10_E_NS1_11comp_targetILNS1_3genE9ELNS1_11target_archE1100ELNS1_3gpuE3ELNS1_3repE0EEENS1_48merge_mergepath_partition_config_static_selectorELNS0_4arch9wavefront6targetE0EEEvSM_: ; @_ZN7rocprim17ROCPRIM_400000_NS6detail17trampoline_kernelINS0_14default_configENS1_38merge_sort_block_merge_config_selectorIlNS0_10empty_typeEEEZZNS1_27merge_sort_block_merge_implIS3_PlPS5_mZN2at6native12_GLOBAL__N_124unique_dim_cuda_templateImEESt5tupleIJNSA_6TensorESF_SF_EERKSF_lbbbEUlllE_EE10hipError_tT0_T1_T2_jT3_P12ihipStream_tbPNSt15iterator_traitsISL_E10value_typeEPNSR_ISM_E10value_typeEPSN_NS1_7vsmem_tEENKUlT_SL_SM_SN_E_clIS8_S8_S9_S9_EESK_S10_SL_SM_SN_EUlS10_E_NS1_11comp_targetILNS1_3genE9ELNS1_11target_archE1100ELNS1_3gpuE3ELNS1_3repE0EEENS1_48merge_mergepath_partition_config_static_selectorELNS0_4arch9wavefront6targetE0EEEvSM_
; %bb.0:
	.section	.rodata,"a",@progbits
	.p2align	6, 0x0
	.amdhsa_kernel _ZN7rocprim17ROCPRIM_400000_NS6detail17trampoline_kernelINS0_14default_configENS1_38merge_sort_block_merge_config_selectorIlNS0_10empty_typeEEEZZNS1_27merge_sort_block_merge_implIS3_PlPS5_mZN2at6native12_GLOBAL__N_124unique_dim_cuda_templateImEESt5tupleIJNSA_6TensorESF_SF_EERKSF_lbbbEUlllE_EE10hipError_tT0_T1_T2_jT3_P12ihipStream_tbPNSt15iterator_traitsISL_E10value_typeEPNSR_ISM_E10value_typeEPSN_NS1_7vsmem_tEENKUlT_SL_SM_SN_E_clIS8_S8_S9_S9_EESK_S10_SL_SM_SN_EUlS10_E_NS1_11comp_targetILNS1_3genE9ELNS1_11target_archE1100ELNS1_3gpuE3ELNS1_3repE0EEENS1_48merge_mergepath_partition_config_static_selectorELNS0_4arch9wavefront6targetE0EEEvSM_
		.amdhsa_group_segment_fixed_size 0
		.amdhsa_private_segment_fixed_size 0
		.amdhsa_kernarg_size 56
		.amdhsa_user_sgpr_count 2
		.amdhsa_user_sgpr_dispatch_ptr 0
		.amdhsa_user_sgpr_queue_ptr 0
		.amdhsa_user_sgpr_kernarg_segment_ptr 1
		.amdhsa_user_sgpr_dispatch_id 0
		.amdhsa_user_sgpr_kernarg_preload_length 0
		.amdhsa_user_sgpr_kernarg_preload_offset 0
		.amdhsa_user_sgpr_private_segment_size 0
		.amdhsa_wavefront_size32 1
		.amdhsa_uses_dynamic_stack 0
		.amdhsa_enable_private_segment 0
		.amdhsa_system_sgpr_workgroup_id_x 1
		.amdhsa_system_sgpr_workgroup_id_y 0
		.amdhsa_system_sgpr_workgroup_id_z 0
		.amdhsa_system_sgpr_workgroup_info 0
		.amdhsa_system_vgpr_workitem_id 0
		.amdhsa_next_free_vgpr 1
		.amdhsa_next_free_sgpr 1
		.amdhsa_named_barrier_count 0
		.amdhsa_reserve_vcc 0
		.amdhsa_float_round_mode_32 0
		.amdhsa_float_round_mode_16_64 0
		.amdhsa_float_denorm_mode_32 3
		.amdhsa_float_denorm_mode_16_64 3
		.amdhsa_fp16_overflow 0
		.amdhsa_memory_ordered 1
		.amdhsa_forward_progress 1
		.amdhsa_inst_pref_size 0
		.amdhsa_round_robin_scheduling 0
		.amdhsa_exception_fp_ieee_invalid_op 0
		.amdhsa_exception_fp_denorm_src 0
		.amdhsa_exception_fp_ieee_div_zero 0
		.amdhsa_exception_fp_ieee_overflow 0
		.amdhsa_exception_fp_ieee_underflow 0
		.amdhsa_exception_fp_ieee_inexact 0
		.amdhsa_exception_int_div_zero 0
	.end_amdhsa_kernel
	.section	.text._ZN7rocprim17ROCPRIM_400000_NS6detail17trampoline_kernelINS0_14default_configENS1_38merge_sort_block_merge_config_selectorIlNS0_10empty_typeEEEZZNS1_27merge_sort_block_merge_implIS3_PlPS5_mZN2at6native12_GLOBAL__N_124unique_dim_cuda_templateImEESt5tupleIJNSA_6TensorESF_SF_EERKSF_lbbbEUlllE_EE10hipError_tT0_T1_T2_jT3_P12ihipStream_tbPNSt15iterator_traitsISL_E10value_typeEPNSR_ISM_E10value_typeEPSN_NS1_7vsmem_tEENKUlT_SL_SM_SN_E_clIS8_S8_S9_S9_EESK_S10_SL_SM_SN_EUlS10_E_NS1_11comp_targetILNS1_3genE9ELNS1_11target_archE1100ELNS1_3gpuE3ELNS1_3repE0EEENS1_48merge_mergepath_partition_config_static_selectorELNS0_4arch9wavefront6targetE0EEEvSM_,"axG",@progbits,_ZN7rocprim17ROCPRIM_400000_NS6detail17trampoline_kernelINS0_14default_configENS1_38merge_sort_block_merge_config_selectorIlNS0_10empty_typeEEEZZNS1_27merge_sort_block_merge_implIS3_PlPS5_mZN2at6native12_GLOBAL__N_124unique_dim_cuda_templateImEESt5tupleIJNSA_6TensorESF_SF_EERKSF_lbbbEUlllE_EE10hipError_tT0_T1_T2_jT3_P12ihipStream_tbPNSt15iterator_traitsISL_E10value_typeEPNSR_ISM_E10value_typeEPSN_NS1_7vsmem_tEENKUlT_SL_SM_SN_E_clIS8_S8_S9_S9_EESK_S10_SL_SM_SN_EUlS10_E_NS1_11comp_targetILNS1_3genE9ELNS1_11target_archE1100ELNS1_3gpuE3ELNS1_3repE0EEENS1_48merge_mergepath_partition_config_static_selectorELNS0_4arch9wavefront6targetE0EEEvSM_,comdat
.Lfunc_end1620:
	.size	_ZN7rocprim17ROCPRIM_400000_NS6detail17trampoline_kernelINS0_14default_configENS1_38merge_sort_block_merge_config_selectorIlNS0_10empty_typeEEEZZNS1_27merge_sort_block_merge_implIS3_PlPS5_mZN2at6native12_GLOBAL__N_124unique_dim_cuda_templateImEESt5tupleIJNSA_6TensorESF_SF_EERKSF_lbbbEUlllE_EE10hipError_tT0_T1_T2_jT3_P12ihipStream_tbPNSt15iterator_traitsISL_E10value_typeEPNSR_ISM_E10value_typeEPSN_NS1_7vsmem_tEENKUlT_SL_SM_SN_E_clIS8_S8_S9_S9_EESK_S10_SL_SM_SN_EUlS10_E_NS1_11comp_targetILNS1_3genE9ELNS1_11target_archE1100ELNS1_3gpuE3ELNS1_3repE0EEENS1_48merge_mergepath_partition_config_static_selectorELNS0_4arch9wavefront6targetE0EEEvSM_, .Lfunc_end1620-_ZN7rocprim17ROCPRIM_400000_NS6detail17trampoline_kernelINS0_14default_configENS1_38merge_sort_block_merge_config_selectorIlNS0_10empty_typeEEEZZNS1_27merge_sort_block_merge_implIS3_PlPS5_mZN2at6native12_GLOBAL__N_124unique_dim_cuda_templateImEESt5tupleIJNSA_6TensorESF_SF_EERKSF_lbbbEUlllE_EE10hipError_tT0_T1_T2_jT3_P12ihipStream_tbPNSt15iterator_traitsISL_E10value_typeEPNSR_ISM_E10value_typeEPSN_NS1_7vsmem_tEENKUlT_SL_SM_SN_E_clIS8_S8_S9_S9_EESK_S10_SL_SM_SN_EUlS10_E_NS1_11comp_targetILNS1_3genE9ELNS1_11target_archE1100ELNS1_3gpuE3ELNS1_3repE0EEENS1_48merge_mergepath_partition_config_static_selectorELNS0_4arch9wavefront6targetE0EEEvSM_
                                        ; -- End function
	.set _ZN7rocprim17ROCPRIM_400000_NS6detail17trampoline_kernelINS0_14default_configENS1_38merge_sort_block_merge_config_selectorIlNS0_10empty_typeEEEZZNS1_27merge_sort_block_merge_implIS3_PlPS5_mZN2at6native12_GLOBAL__N_124unique_dim_cuda_templateImEESt5tupleIJNSA_6TensorESF_SF_EERKSF_lbbbEUlllE_EE10hipError_tT0_T1_T2_jT3_P12ihipStream_tbPNSt15iterator_traitsISL_E10value_typeEPNSR_ISM_E10value_typeEPSN_NS1_7vsmem_tEENKUlT_SL_SM_SN_E_clIS8_S8_S9_S9_EESK_S10_SL_SM_SN_EUlS10_E_NS1_11comp_targetILNS1_3genE9ELNS1_11target_archE1100ELNS1_3gpuE3ELNS1_3repE0EEENS1_48merge_mergepath_partition_config_static_selectorELNS0_4arch9wavefront6targetE0EEEvSM_.num_vgpr, 0
	.set _ZN7rocprim17ROCPRIM_400000_NS6detail17trampoline_kernelINS0_14default_configENS1_38merge_sort_block_merge_config_selectorIlNS0_10empty_typeEEEZZNS1_27merge_sort_block_merge_implIS3_PlPS5_mZN2at6native12_GLOBAL__N_124unique_dim_cuda_templateImEESt5tupleIJNSA_6TensorESF_SF_EERKSF_lbbbEUlllE_EE10hipError_tT0_T1_T2_jT3_P12ihipStream_tbPNSt15iterator_traitsISL_E10value_typeEPNSR_ISM_E10value_typeEPSN_NS1_7vsmem_tEENKUlT_SL_SM_SN_E_clIS8_S8_S9_S9_EESK_S10_SL_SM_SN_EUlS10_E_NS1_11comp_targetILNS1_3genE9ELNS1_11target_archE1100ELNS1_3gpuE3ELNS1_3repE0EEENS1_48merge_mergepath_partition_config_static_selectorELNS0_4arch9wavefront6targetE0EEEvSM_.num_agpr, 0
	.set _ZN7rocprim17ROCPRIM_400000_NS6detail17trampoline_kernelINS0_14default_configENS1_38merge_sort_block_merge_config_selectorIlNS0_10empty_typeEEEZZNS1_27merge_sort_block_merge_implIS3_PlPS5_mZN2at6native12_GLOBAL__N_124unique_dim_cuda_templateImEESt5tupleIJNSA_6TensorESF_SF_EERKSF_lbbbEUlllE_EE10hipError_tT0_T1_T2_jT3_P12ihipStream_tbPNSt15iterator_traitsISL_E10value_typeEPNSR_ISM_E10value_typeEPSN_NS1_7vsmem_tEENKUlT_SL_SM_SN_E_clIS8_S8_S9_S9_EESK_S10_SL_SM_SN_EUlS10_E_NS1_11comp_targetILNS1_3genE9ELNS1_11target_archE1100ELNS1_3gpuE3ELNS1_3repE0EEENS1_48merge_mergepath_partition_config_static_selectorELNS0_4arch9wavefront6targetE0EEEvSM_.numbered_sgpr, 0
	.set _ZN7rocprim17ROCPRIM_400000_NS6detail17trampoline_kernelINS0_14default_configENS1_38merge_sort_block_merge_config_selectorIlNS0_10empty_typeEEEZZNS1_27merge_sort_block_merge_implIS3_PlPS5_mZN2at6native12_GLOBAL__N_124unique_dim_cuda_templateImEESt5tupleIJNSA_6TensorESF_SF_EERKSF_lbbbEUlllE_EE10hipError_tT0_T1_T2_jT3_P12ihipStream_tbPNSt15iterator_traitsISL_E10value_typeEPNSR_ISM_E10value_typeEPSN_NS1_7vsmem_tEENKUlT_SL_SM_SN_E_clIS8_S8_S9_S9_EESK_S10_SL_SM_SN_EUlS10_E_NS1_11comp_targetILNS1_3genE9ELNS1_11target_archE1100ELNS1_3gpuE3ELNS1_3repE0EEENS1_48merge_mergepath_partition_config_static_selectorELNS0_4arch9wavefront6targetE0EEEvSM_.num_named_barrier, 0
	.set _ZN7rocprim17ROCPRIM_400000_NS6detail17trampoline_kernelINS0_14default_configENS1_38merge_sort_block_merge_config_selectorIlNS0_10empty_typeEEEZZNS1_27merge_sort_block_merge_implIS3_PlPS5_mZN2at6native12_GLOBAL__N_124unique_dim_cuda_templateImEESt5tupleIJNSA_6TensorESF_SF_EERKSF_lbbbEUlllE_EE10hipError_tT0_T1_T2_jT3_P12ihipStream_tbPNSt15iterator_traitsISL_E10value_typeEPNSR_ISM_E10value_typeEPSN_NS1_7vsmem_tEENKUlT_SL_SM_SN_E_clIS8_S8_S9_S9_EESK_S10_SL_SM_SN_EUlS10_E_NS1_11comp_targetILNS1_3genE9ELNS1_11target_archE1100ELNS1_3gpuE3ELNS1_3repE0EEENS1_48merge_mergepath_partition_config_static_selectorELNS0_4arch9wavefront6targetE0EEEvSM_.private_seg_size, 0
	.set _ZN7rocprim17ROCPRIM_400000_NS6detail17trampoline_kernelINS0_14default_configENS1_38merge_sort_block_merge_config_selectorIlNS0_10empty_typeEEEZZNS1_27merge_sort_block_merge_implIS3_PlPS5_mZN2at6native12_GLOBAL__N_124unique_dim_cuda_templateImEESt5tupleIJNSA_6TensorESF_SF_EERKSF_lbbbEUlllE_EE10hipError_tT0_T1_T2_jT3_P12ihipStream_tbPNSt15iterator_traitsISL_E10value_typeEPNSR_ISM_E10value_typeEPSN_NS1_7vsmem_tEENKUlT_SL_SM_SN_E_clIS8_S8_S9_S9_EESK_S10_SL_SM_SN_EUlS10_E_NS1_11comp_targetILNS1_3genE9ELNS1_11target_archE1100ELNS1_3gpuE3ELNS1_3repE0EEENS1_48merge_mergepath_partition_config_static_selectorELNS0_4arch9wavefront6targetE0EEEvSM_.uses_vcc, 0
	.set _ZN7rocprim17ROCPRIM_400000_NS6detail17trampoline_kernelINS0_14default_configENS1_38merge_sort_block_merge_config_selectorIlNS0_10empty_typeEEEZZNS1_27merge_sort_block_merge_implIS3_PlPS5_mZN2at6native12_GLOBAL__N_124unique_dim_cuda_templateImEESt5tupleIJNSA_6TensorESF_SF_EERKSF_lbbbEUlllE_EE10hipError_tT0_T1_T2_jT3_P12ihipStream_tbPNSt15iterator_traitsISL_E10value_typeEPNSR_ISM_E10value_typeEPSN_NS1_7vsmem_tEENKUlT_SL_SM_SN_E_clIS8_S8_S9_S9_EESK_S10_SL_SM_SN_EUlS10_E_NS1_11comp_targetILNS1_3genE9ELNS1_11target_archE1100ELNS1_3gpuE3ELNS1_3repE0EEENS1_48merge_mergepath_partition_config_static_selectorELNS0_4arch9wavefront6targetE0EEEvSM_.uses_flat_scratch, 0
	.set _ZN7rocprim17ROCPRIM_400000_NS6detail17trampoline_kernelINS0_14default_configENS1_38merge_sort_block_merge_config_selectorIlNS0_10empty_typeEEEZZNS1_27merge_sort_block_merge_implIS3_PlPS5_mZN2at6native12_GLOBAL__N_124unique_dim_cuda_templateImEESt5tupleIJNSA_6TensorESF_SF_EERKSF_lbbbEUlllE_EE10hipError_tT0_T1_T2_jT3_P12ihipStream_tbPNSt15iterator_traitsISL_E10value_typeEPNSR_ISM_E10value_typeEPSN_NS1_7vsmem_tEENKUlT_SL_SM_SN_E_clIS8_S8_S9_S9_EESK_S10_SL_SM_SN_EUlS10_E_NS1_11comp_targetILNS1_3genE9ELNS1_11target_archE1100ELNS1_3gpuE3ELNS1_3repE0EEENS1_48merge_mergepath_partition_config_static_selectorELNS0_4arch9wavefront6targetE0EEEvSM_.has_dyn_sized_stack, 0
	.set _ZN7rocprim17ROCPRIM_400000_NS6detail17trampoline_kernelINS0_14default_configENS1_38merge_sort_block_merge_config_selectorIlNS0_10empty_typeEEEZZNS1_27merge_sort_block_merge_implIS3_PlPS5_mZN2at6native12_GLOBAL__N_124unique_dim_cuda_templateImEESt5tupleIJNSA_6TensorESF_SF_EERKSF_lbbbEUlllE_EE10hipError_tT0_T1_T2_jT3_P12ihipStream_tbPNSt15iterator_traitsISL_E10value_typeEPNSR_ISM_E10value_typeEPSN_NS1_7vsmem_tEENKUlT_SL_SM_SN_E_clIS8_S8_S9_S9_EESK_S10_SL_SM_SN_EUlS10_E_NS1_11comp_targetILNS1_3genE9ELNS1_11target_archE1100ELNS1_3gpuE3ELNS1_3repE0EEENS1_48merge_mergepath_partition_config_static_selectorELNS0_4arch9wavefront6targetE0EEEvSM_.has_recursion, 0
	.set _ZN7rocprim17ROCPRIM_400000_NS6detail17trampoline_kernelINS0_14default_configENS1_38merge_sort_block_merge_config_selectorIlNS0_10empty_typeEEEZZNS1_27merge_sort_block_merge_implIS3_PlPS5_mZN2at6native12_GLOBAL__N_124unique_dim_cuda_templateImEESt5tupleIJNSA_6TensorESF_SF_EERKSF_lbbbEUlllE_EE10hipError_tT0_T1_T2_jT3_P12ihipStream_tbPNSt15iterator_traitsISL_E10value_typeEPNSR_ISM_E10value_typeEPSN_NS1_7vsmem_tEENKUlT_SL_SM_SN_E_clIS8_S8_S9_S9_EESK_S10_SL_SM_SN_EUlS10_E_NS1_11comp_targetILNS1_3genE9ELNS1_11target_archE1100ELNS1_3gpuE3ELNS1_3repE0EEENS1_48merge_mergepath_partition_config_static_selectorELNS0_4arch9wavefront6targetE0EEEvSM_.has_indirect_call, 0
	.section	.AMDGPU.csdata,"",@progbits
; Kernel info:
; codeLenInByte = 0
; TotalNumSgprs: 0
; NumVgprs: 0
; ScratchSize: 0
; MemoryBound: 0
; FloatMode: 240
; IeeeMode: 1
; LDSByteSize: 0 bytes/workgroup (compile time only)
; SGPRBlocks: 0
; VGPRBlocks: 0
; NumSGPRsForWavesPerEU: 1
; NumVGPRsForWavesPerEU: 1
; NamedBarCnt: 0
; Occupancy: 16
; WaveLimiterHint : 0
; COMPUTE_PGM_RSRC2:SCRATCH_EN: 0
; COMPUTE_PGM_RSRC2:USER_SGPR: 2
; COMPUTE_PGM_RSRC2:TRAP_HANDLER: 0
; COMPUTE_PGM_RSRC2:TGID_X_EN: 1
; COMPUTE_PGM_RSRC2:TGID_Y_EN: 0
; COMPUTE_PGM_RSRC2:TGID_Z_EN: 0
; COMPUTE_PGM_RSRC2:TIDIG_COMP_CNT: 0
	.section	.text._ZN7rocprim17ROCPRIM_400000_NS6detail17trampoline_kernelINS0_14default_configENS1_38merge_sort_block_merge_config_selectorIlNS0_10empty_typeEEEZZNS1_27merge_sort_block_merge_implIS3_PlPS5_mZN2at6native12_GLOBAL__N_124unique_dim_cuda_templateImEESt5tupleIJNSA_6TensorESF_SF_EERKSF_lbbbEUlllE_EE10hipError_tT0_T1_T2_jT3_P12ihipStream_tbPNSt15iterator_traitsISL_E10value_typeEPNSR_ISM_E10value_typeEPSN_NS1_7vsmem_tEENKUlT_SL_SM_SN_E_clIS8_S8_S9_S9_EESK_S10_SL_SM_SN_EUlS10_E_NS1_11comp_targetILNS1_3genE8ELNS1_11target_archE1030ELNS1_3gpuE2ELNS1_3repE0EEENS1_48merge_mergepath_partition_config_static_selectorELNS0_4arch9wavefront6targetE0EEEvSM_,"axG",@progbits,_ZN7rocprim17ROCPRIM_400000_NS6detail17trampoline_kernelINS0_14default_configENS1_38merge_sort_block_merge_config_selectorIlNS0_10empty_typeEEEZZNS1_27merge_sort_block_merge_implIS3_PlPS5_mZN2at6native12_GLOBAL__N_124unique_dim_cuda_templateImEESt5tupleIJNSA_6TensorESF_SF_EERKSF_lbbbEUlllE_EE10hipError_tT0_T1_T2_jT3_P12ihipStream_tbPNSt15iterator_traitsISL_E10value_typeEPNSR_ISM_E10value_typeEPSN_NS1_7vsmem_tEENKUlT_SL_SM_SN_E_clIS8_S8_S9_S9_EESK_S10_SL_SM_SN_EUlS10_E_NS1_11comp_targetILNS1_3genE8ELNS1_11target_archE1030ELNS1_3gpuE2ELNS1_3repE0EEENS1_48merge_mergepath_partition_config_static_selectorELNS0_4arch9wavefront6targetE0EEEvSM_,comdat
	.globl	_ZN7rocprim17ROCPRIM_400000_NS6detail17trampoline_kernelINS0_14default_configENS1_38merge_sort_block_merge_config_selectorIlNS0_10empty_typeEEEZZNS1_27merge_sort_block_merge_implIS3_PlPS5_mZN2at6native12_GLOBAL__N_124unique_dim_cuda_templateImEESt5tupleIJNSA_6TensorESF_SF_EERKSF_lbbbEUlllE_EE10hipError_tT0_T1_T2_jT3_P12ihipStream_tbPNSt15iterator_traitsISL_E10value_typeEPNSR_ISM_E10value_typeEPSN_NS1_7vsmem_tEENKUlT_SL_SM_SN_E_clIS8_S8_S9_S9_EESK_S10_SL_SM_SN_EUlS10_E_NS1_11comp_targetILNS1_3genE8ELNS1_11target_archE1030ELNS1_3gpuE2ELNS1_3repE0EEENS1_48merge_mergepath_partition_config_static_selectorELNS0_4arch9wavefront6targetE0EEEvSM_ ; -- Begin function _ZN7rocprim17ROCPRIM_400000_NS6detail17trampoline_kernelINS0_14default_configENS1_38merge_sort_block_merge_config_selectorIlNS0_10empty_typeEEEZZNS1_27merge_sort_block_merge_implIS3_PlPS5_mZN2at6native12_GLOBAL__N_124unique_dim_cuda_templateImEESt5tupleIJNSA_6TensorESF_SF_EERKSF_lbbbEUlllE_EE10hipError_tT0_T1_T2_jT3_P12ihipStream_tbPNSt15iterator_traitsISL_E10value_typeEPNSR_ISM_E10value_typeEPSN_NS1_7vsmem_tEENKUlT_SL_SM_SN_E_clIS8_S8_S9_S9_EESK_S10_SL_SM_SN_EUlS10_E_NS1_11comp_targetILNS1_3genE8ELNS1_11target_archE1030ELNS1_3gpuE2ELNS1_3repE0EEENS1_48merge_mergepath_partition_config_static_selectorELNS0_4arch9wavefront6targetE0EEEvSM_
	.p2align	8
	.type	_ZN7rocprim17ROCPRIM_400000_NS6detail17trampoline_kernelINS0_14default_configENS1_38merge_sort_block_merge_config_selectorIlNS0_10empty_typeEEEZZNS1_27merge_sort_block_merge_implIS3_PlPS5_mZN2at6native12_GLOBAL__N_124unique_dim_cuda_templateImEESt5tupleIJNSA_6TensorESF_SF_EERKSF_lbbbEUlllE_EE10hipError_tT0_T1_T2_jT3_P12ihipStream_tbPNSt15iterator_traitsISL_E10value_typeEPNSR_ISM_E10value_typeEPSN_NS1_7vsmem_tEENKUlT_SL_SM_SN_E_clIS8_S8_S9_S9_EESK_S10_SL_SM_SN_EUlS10_E_NS1_11comp_targetILNS1_3genE8ELNS1_11target_archE1030ELNS1_3gpuE2ELNS1_3repE0EEENS1_48merge_mergepath_partition_config_static_selectorELNS0_4arch9wavefront6targetE0EEEvSM_,@function
_ZN7rocprim17ROCPRIM_400000_NS6detail17trampoline_kernelINS0_14default_configENS1_38merge_sort_block_merge_config_selectorIlNS0_10empty_typeEEEZZNS1_27merge_sort_block_merge_implIS3_PlPS5_mZN2at6native12_GLOBAL__N_124unique_dim_cuda_templateImEESt5tupleIJNSA_6TensorESF_SF_EERKSF_lbbbEUlllE_EE10hipError_tT0_T1_T2_jT3_P12ihipStream_tbPNSt15iterator_traitsISL_E10value_typeEPNSR_ISM_E10value_typeEPSN_NS1_7vsmem_tEENKUlT_SL_SM_SN_E_clIS8_S8_S9_S9_EESK_S10_SL_SM_SN_EUlS10_E_NS1_11comp_targetILNS1_3genE8ELNS1_11target_archE1030ELNS1_3gpuE2ELNS1_3repE0EEENS1_48merge_mergepath_partition_config_static_selectorELNS0_4arch9wavefront6targetE0EEEvSM_: ; @_ZN7rocprim17ROCPRIM_400000_NS6detail17trampoline_kernelINS0_14default_configENS1_38merge_sort_block_merge_config_selectorIlNS0_10empty_typeEEEZZNS1_27merge_sort_block_merge_implIS3_PlPS5_mZN2at6native12_GLOBAL__N_124unique_dim_cuda_templateImEESt5tupleIJNSA_6TensorESF_SF_EERKSF_lbbbEUlllE_EE10hipError_tT0_T1_T2_jT3_P12ihipStream_tbPNSt15iterator_traitsISL_E10value_typeEPNSR_ISM_E10value_typeEPSN_NS1_7vsmem_tEENKUlT_SL_SM_SN_E_clIS8_S8_S9_S9_EESK_S10_SL_SM_SN_EUlS10_E_NS1_11comp_targetILNS1_3genE8ELNS1_11target_archE1030ELNS1_3gpuE2ELNS1_3repE0EEENS1_48merge_mergepath_partition_config_static_selectorELNS0_4arch9wavefront6targetE0EEEvSM_
; %bb.0:
	.section	.rodata,"a",@progbits
	.p2align	6, 0x0
	.amdhsa_kernel _ZN7rocprim17ROCPRIM_400000_NS6detail17trampoline_kernelINS0_14default_configENS1_38merge_sort_block_merge_config_selectorIlNS0_10empty_typeEEEZZNS1_27merge_sort_block_merge_implIS3_PlPS5_mZN2at6native12_GLOBAL__N_124unique_dim_cuda_templateImEESt5tupleIJNSA_6TensorESF_SF_EERKSF_lbbbEUlllE_EE10hipError_tT0_T1_T2_jT3_P12ihipStream_tbPNSt15iterator_traitsISL_E10value_typeEPNSR_ISM_E10value_typeEPSN_NS1_7vsmem_tEENKUlT_SL_SM_SN_E_clIS8_S8_S9_S9_EESK_S10_SL_SM_SN_EUlS10_E_NS1_11comp_targetILNS1_3genE8ELNS1_11target_archE1030ELNS1_3gpuE2ELNS1_3repE0EEENS1_48merge_mergepath_partition_config_static_selectorELNS0_4arch9wavefront6targetE0EEEvSM_
		.amdhsa_group_segment_fixed_size 0
		.amdhsa_private_segment_fixed_size 0
		.amdhsa_kernarg_size 56
		.amdhsa_user_sgpr_count 2
		.amdhsa_user_sgpr_dispatch_ptr 0
		.amdhsa_user_sgpr_queue_ptr 0
		.amdhsa_user_sgpr_kernarg_segment_ptr 1
		.amdhsa_user_sgpr_dispatch_id 0
		.amdhsa_user_sgpr_kernarg_preload_length 0
		.amdhsa_user_sgpr_kernarg_preload_offset 0
		.amdhsa_user_sgpr_private_segment_size 0
		.amdhsa_wavefront_size32 1
		.amdhsa_uses_dynamic_stack 0
		.amdhsa_enable_private_segment 0
		.amdhsa_system_sgpr_workgroup_id_x 1
		.amdhsa_system_sgpr_workgroup_id_y 0
		.amdhsa_system_sgpr_workgroup_id_z 0
		.amdhsa_system_sgpr_workgroup_info 0
		.amdhsa_system_vgpr_workitem_id 0
		.amdhsa_next_free_vgpr 1
		.amdhsa_next_free_sgpr 1
		.amdhsa_named_barrier_count 0
		.amdhsa_reserve_vcc 0
		.amdhsa_float_round_mode_32 0
		.amdhsa_float_round_mode_16_64 0
		.amdhsa_float_denorm_mode_32 3
		.amdhsa_float_denorm_mode_16_64 3
		.amdhsa_fp16_overflow 0
		.amdhsa_memory_ordered 1
		.amdhsa_forward_progress 1
		.amdhsa_inst_pref_size 0
		.amdhsa_round_robin_scheduling 0
		.amdhsa_exception_fp_ieee_invalid_op 0
		.amdhsa_exception_fp_denorm_src 0
		.amdhsa_exception_fp_ieee_div_zero 0
		.amdhsa_exception_fp_ieee_overflow 0
		.amdhsa_exception_fp_ieee_underflow 0
		.amdhsa_exception_fp_ieee_inexact 0
		.amdhsa_exception_int_div_zero 0
	.end_amdhsa_kernel
	.section	.text._ZN7rocprim17ROCPRIM_400000_NS6detail17trampoline_kernelINS0_14default_configENS1_38merge_sort_block_merge_config_selectorIlNS0_10empty_typeEEEZZNS1_27merge_sort_block_merge_implIS3_PlPS5_mZN2at6native12_GLOBAL__N_124unique_dim_cuda_templateImEESt5tupleIJNSA_6TensorESF_SF_EERKSF_lbbbEUlllE_EE10hipError_tT0_T1_T2_jT3_P12ihipStream_tbPNSt15iterator_traitsISL_E10value_typeEPNSR_ISM_E10value_typeEPSN_NS1_7vsmem_tEENKUlT_SL_SM_SN_E_clIS8_S8_S9_S9_EESK_S10_SL_SM_SN_EUlS10_E_NS1_11comp_targetILNS1_3genE8ELNS1_11target_archE1030ELNS1_3gpuE2ELNS1_3repE0EEENS1_48merge_mergepath_partition_config_static_selectorELNS0_4arch9wavefront6targetE0EEEvSM_,"axG",@progbits,_ZN7rocprim17ROCPRIM_400000_NS6detail17trampoline_kernelINS0_14default_configENS1_38merge_sort_block_merge_config_selectorIlNS0_10empty_typeEEEZZNS1_27merge_sort_block_merge_implIS3_PlPS5_mZN2at6native12_GLOBAL__N_124unique_dim_cuda_templateImEESt5tupleIJNSA_6TensorESF_SF_EERKSF_lbbbEUlllE_EE10hipError_tT0_T1_T2_jT3_P12ihipStream_tbPNSt15iterator_traitsISL_E10value_typeEPNSR_ISM_E10value_typeEPSN_NS1_7vsmem_tEENKUlT_SL_SM_SN_E_clIS8_S8_S9_S9_EESK_S10_SL_SM_SN_EUlS10_E_NS1_11comp_targetILNS1_3genE8ELNS1_11target_archE1030ELNS1_3gpuE2ELNS1_3repE0EEENS1_48merge_mergepath_partition_config_static_selectorELNS0_4arch9wavefront6targetE0EEEvSM_,comdat
.Lfunc_end1621:
	.size	_ZN7rocprim17ROCPRIM_400000_NS6detail17trampoline_kernelINS0_14default_configENS1_38merge_sort_block_merge_config_selectorIlNS0_10empty_typeEEEZZNS1_27merge_sort_block_merge_implIS3_PlPS5_mZN2at6native12_GLOBAL__N_124unique_dim_cuda_templateImEESt5tupleIJNSA_6TensorESF_SF_EERKSF_lbbbEUlllE_EE10hipError_tT0_T1_T2_jT3_P12ihipStream_tbPNSt15iterator_traitsISL_E10value_typeEPNSR_ISM_E10value_typeEPSN_NS1_7vsmem_tEENKUlT_SL_SM_SN_E_clIS8_S8_S9_S9_EESK_S10_SL_SM_SN_EUlS10_E_NS1_11comp_targetILNS1_3genE8ELNS1_11target_archE1030ELNS1_3gpuE2ELNS1_3repE0EEENS1_48merge_mergepath_partition_config_static_selectorELNS0_4arch9wavefront6targetE0EEEvSM_, .Lfunc_end1621-_ZN7rocprim17ROCPRIM_400000_NS6detail17trampoline_kernelINS0_14default_configENS1_38merge_sort_block_merge_config_selectorIlNS0_10empty_typeEEEZZNS1_27merge_sort_block_merge_implIS3_PlPS5_mZN2at6native12_GLOBAL__N_124unique_dim_cuda_templateImEESt5tupleIJNSA_6TensorESF_SF_EERKSF_lbbbEUlllE_EE10hipError_tT0_T1_T2_jT3_P12ihipStream_tbPNSt15iterator_traitsISL_E10value_typeEPNSR_ISM_E10value_typeEPSN_NS1_7vsmem_tEENKUlT_SL_SM_SN_E_clIS8_S8_S9_S9_EESK_S10_SL_SM_SN_EUlS10_E_NS1_11comp_targetILNS1_3genE8ELNS1_11target_archE1030ELNS1_3gpuE2ELNS1_3repE0EEENS1_48merge_mergepath_partition_config_static_selectorELNS0_4arch9wavefront6targetE0EEEvSM_
                                        ; -- End function
	.set _ZN7rocprim17ROCPRIM_400000_NS6detail17trampoline_kernelINS0_14default_configENS1_38merge_sort_block_merge_config_selectorIlNS0_10empty_typeEEEZZNS1_27merge_sort_block_merge_implIS3_PlPS5_mZN2at6native12_GLOBAL__N_124unique_dim_cuda_templateImEESt5tupleIJNSA_6TensorESF_SF_EERKSF_lbbbEUlllE_EE10hipError_tT0_T1_T2_jT3_P12ihipStream_tbPNSt15iterator_traitsISL_E10value_typeEPNSR_ISM_E10value_typeEPSN_NS1_7vsmem_tEENKUlT_SL_SM_SN_E_clIS8_S8_S9_S9_EESK_S10_SL_SM_SN_EUlS10_E_NS1_11comp_targetILNS1_3genE8ELNS1_11target_archE1030ELNS1_3gpuE2ELNS1_3repE0EEENS1_48merge_mergepath_partition_config_static_selectorELNS0_4arch9wavefront6targetE0EEEvSM_.num_vgpr, 0
	.set _ZN7rocprim17ROCPRIM_400000_NS6detail17trampoline_kernelINS0_14default_configENS1_38merge_sort_block_merge_config_selectorIlNS0_10empty_typeEEEZZNS1_27merge_sort_block_merge_implIS3_PlPS5_mZN2at6native12_GLOBAL__N_124unique_dim_cuda_templateImEESt5tupleIJNSA_6TensorESF_SF_EERKSF_lbbbEUlllE_EE10hipError_tT0_T1_T2_jT3_P12ihipStream_tbPNSt15iterator_traitsISL_E10value_typeEPNSR_ISM_E10value_typeEPSN_NS1_7vsmem_tEENKUlT_SL_SM_SN_E_clIS8_S8_S9_S9_EESK_S10_SL_SM_SN_EUlS10_E_NS1_11comp_targetILNS1_3genE8ELNS1_11target_archE1030ELNS1_3gpuE2ELNS1_3repE0EEENS1_48merge_mergepath_partition_config_static_selectorELNS0_4arch9wavefront6targetE0EEEvSM_.num_agpr, 0
	.set _ZN7rocprim17ROCPRIM_400000_NS6detail17trampoline_kernelINS0_14default_configENS1_38merge_sort_block_merge_config_selectorIlNS0_10empty_typeEEEZZNS1_27merge_sort_block_merge_implIS3_PlPS5_mZN2at6native12_GLOBAL__N_124unique_dim_cuda_templateImEESt5tupleIJNSA_6TensorESF_SF_EERKSF_lbbbEUlllE_EE10hipError_tT0_T1_T2_jT3_P12ihipStream_tbPNSt15iterator_traitsISL_E10value_typeEPNSR_ISM_E10value_typeEPSN_NS1_7vsmem_tEENKUlT_SL_SM_SN_E_clIS8_S8_S9_S9_EESK_S10_SL_SM_SN_EUlS10_E_NS1_11comp_targetILNS1_3genE8ELNS1_11target_archE1030ELNS1_3gpuE2ELNS1_3repE0EEENS1_48merge_mergepath_partition_config_static_selectorELNS0_4arch9wavefront6targetE0EEEvSM_.numbered_sgpr, 0
	.set _ZN7rocprim17ROCPRIM_400000_NS6detail17trampoline_kernelINS0_14default_configENS1_38merge_sort_block_merge_config_selectorIlNS0_10empty_typeEEEZZNS1_27merge_sort_block_merge_implIS3_PlPS5_mZN2at6native12_GLOBAL__N_124unique_dim_cuda_templateImEESt5tupleIJNSA_6TensorESF_SF_EERKSF_lbbbEUlllE_EE10hipError_tT0_T1_T2_jT3_P12ihipStream_tbPNSt15iterator_traitsISL_E10value_typeEPNSR_ISM_E10value_typeEPSN_NS1_7vsmem_tEENKUlT_SL_SM_SN_E_clIS8_S8_S9_S9_EESK_S10_SL_SM_SN_EUlS10_E_NS1_11comp_targetILNS1_3genE8ELNS1_11target_archE1030ELNS1_3gpuE2ELNS1_3repE0EEENS1_48merge_mergepath_partition_config_static_selectorELNS0_4arch9wavefront6targetE0EEEvSM_.num_named_barrier, 0
	.set _ZN7rocprim17ROCPRIM_400000_NS6detail17trampoline_kernelINS0_14default_configENS1_38merge_sort_block_merge_config_selectorIlNS0_10empty_typeEEEZZNS1_27merge_sort_block_merge_implIS3_PlPS5_mZN2at6native12_GLOBAL__N_124unique_dim_cuda_templateImEESt5tupleIJNSA_6TensorESF_SF_EERKSF_lbbbEUlllE_EE10hipError_tT0_T1_T2_jT3_P12ihipStream_tbPNSt15iterator_traitsISL_E10value_typeEPNSR_ISM_E10value_typeEPSN_NS1_7vsmem_tEENKUlT_SL_SM_SN_E_clIS8_S8_S9_S9_EESK_S10_SL_SM_SN_EUlS10_E_NS1_11comp_targetILNS1_3genE8ELNS1_11target_archE1030ELNS1_3gpuE2ELNS1_3repE0EEENS1_48merge_mergepath_partition_config_static_selectorELNS0_4arch9wavefront6targetE0EEEvSM_.private_seg_size, 0
	.set _ZN7rocprim17ROCPRIM_400000_NS6detail17trampoline_kernelINS0_14default_configENS1_38merge_sort_block_merge_config_selectorIlNS0_10empty_typeEEEZZNS1_27merge_sort_block_merge_implIS3_PlPS5_mZN2at6native12_GLOBAL__N_124unique_dim_cuda_templateImEESt5tupleIJNSA_6TensorESF_SF_EERKSF_lbbbEUlllE_EE10hipError_tT0_T1_T2_jT3_P12ihipStream_tbPNSt15iterator_traitsISL_E10value_typeEPNSR_ISM_E10value_typeEPSN_NS1_7vsmem_tEENKUlT_SL_SM_SN_E_clIS8_S8_S9_S9_EESK_S10_SL_SM_SN_EUlS10_E_NS1_11comp_targetILNS1_3genE8ELNS1_11target_archE1030ELNS1_3gpuE2ELNS1_3repE0EEENS1_48merge_mergepath_partition_config_static_selectorELNS0_4arch9wavefront6targetE0EEEvSM_.uses_vcc, 0
	.set _ZN7rocprim17ROCPRIM_400000_NS6detail17trampoline_kernelINS0_14default_configENS1_38merge_sort_block_merge_config_selectorIlNS0_10empty_typeEEEZZNS1_27merge_sort_block_merge_implIS3_PlPS5_mZN2at6native12_GLOBAL__N_124unique_dim_cuda_templateImEESt5tupleIJNSA_6TensorESF_SF_EERKSF_lbbbEUlllE_EE10hipError_tT0_T1_T2_jT3_P12ihipStream_tbPNSt15iterator_traitsISL_E10value_typeEPNSR_ISM_E10value_typeEPSN_NS1_7vsmem_tEENKUlT_SL_SM_SN_E_clIS8_S8_S9_S9_EESK_S10_SL_SM_SN_EUlS10_E_NS1_11comp_targetILNS1_3genE8ELNS1_11target_archE1030ELNS1_3gpuE2ELNS1_3repE0EEENS1_48merge_mergepath_partition_config_static_selectorELNS0_4arch9wavefront6targetE0EEEvSM_.uses_flat_scratch, 0
	.set _ZN7rocprim17ROCPRIM_400000_NS6detail17trampoline_kernelINS0_14default_configENS1_38merge_sort_block_merge_config_selectorIlNS0_10empty_typeEEEZZNS1_27merge_sort_block_merge_implIS3_PlPS5_mZN2at6native12_GLOBAL__N_124unique_dim_cuda_templateImEESt5tupleIJNSA_6TensorESF_SF_EERKSF_lbbbEUlllE_EE10hipError_tT0_T1_T2_jT3_P12ihipStream_tbPNSt15iterator_traitsISL_E10value_typeEPNSR_ISM_E10value_typeEPSN_NS1_7vsmem_tEENKUlT_SL_SM_SN_E_clIS8_S8_S9_S9_EESK_S10_SL_SM_SN_EUlS10_E_NS1_11comp_targetILNS1_3genE8ELNS1_11target_archE1030ELNS1_3gpuE2ELNS1_3repE0EEENS1_48merge_mergepath_partition_config_static_selectorELNS0_4arch9wavefront6targetE0EEEvSM_.has_dyn_sized_stack, 0
	.set _ZN7rocprim17ROCPRIM_400000_NS6detail17trampoline_kernelINS0_14default_configENS1_38merge_sort_block_merge_config_selectorIlNS0_10empty_typeEEEZZNS1_27merge_sort_block_merge_implIS3_PlPS5_mZN2at6native12_GLOBAL__N_124unique_dim_cuda_templateImEESt5tupleIJNSA_6TensorESF_SF_EERKSF_lbbbEUlllE_EE10hipError_tT0_T1_T2_jT3_P12ihipStream_tbPNSt15iterator_traitsISL_E10value_typeEPNSR_ISM_E10value_typeEPSN_NS1_7vsmem_tEENKUlT_SL_SM_SN_E_clIS8_S8_S9_S9_EESK_S10_SL_SM_SN_EUlS10_E_NS1_11comp_targetILNS1_3genE8ELNS1_11target_archE1030ELNS1_3gpuE2ELNS1_3repE0EEENS1_48merge_mergepath_partition_config_static_selectorELNS0_4arch9wavefront6targetE0EEEvSM_.has_recursion, 0
	.set _ZN7rocprim17ROCPRIM_400000_NS6detail17trampoline_kernelINS0_14default_configENS1_38merge_sort_block_merge_config_selectorIlNS0_10empty_typeEEEZZNS1_27merge_sort_block_merge_implIS3_PlPS5_mZN2at6native12_GLOBAL__N_124unique_dim_cuda_templateImEESt5tupleIJNSA_6TensorESF_SF_EERKSF_lbbbEUlllE_EE10hipError_tT0_T1_T2_jT3_P12ihipStream_tbPNSt15iterator_traitsISL_E10value_typeEPNSR_ISM_E10value_typeEPSN_NS1_7vsmem_tEENKUlT_SL_SM_SN_E_clIS8_S8_S9_S9_EESK_S10_SL_SM_SN_EUlS10_E_NS1_11comp_targetILNS1_3genE8ELNS1_11target_archE1030ELNS1_3gpuE2ELNS1_3repE0EEENS1_48merge_mergepath_partition_config_static_selectorELNS0_4arch9wavefront6targetE0EEEvSM_.has_indirect_call, 0
	.section	.AMDGPU.csdata,"",@progbits
; Kernel info:
; codeLenInByte = 0
; TotalNumSgprs: 0
; NumVgprs: 0
; ScratchSize: 0
; MemoryBound: 0
; FloatMode: 240
; IeeeMode: 1
; LDSByteSize: 0 bytes/workgroup (compile time only)
; SGPRBlocks: 0
; VGPRBlocks: 0
; NumSGPRsForWavesPerEU: 1
; NumVGPRsForWavesPerEU: 1
; NamedBarCnt: 0
; Occupancy: 16
; WaveLimiterHint : 0
; COMPUTE_PGM_RSRC2:SCRATCH_EN: 0
; COMPUTE_PGM_RSRC2:USER_SGPR: 2
; COMPUTE_PGM_RSRC2:TRAP_HANDLER: 0
; COMPUTE_PGM_RSRC2:TGID_X_EN: 1
; COMPUTE_PGM_RSRC2:TGID_Y_EN: 0
; COMPUTE_PGM_RSRC2:TGID_Z_EN: 0
; COMPUTE_PGM_RSRC2:TIDIG_COMP_CNT: 0
	.section	.text._ZN7rocprim17ROCPRIM_400000_NS6detail17trampoline_kernelINS0_14default_configENS1_38merge_sort_block_merge_config_selectorIlNS0_10empty_typeEEEZZNS1_27merge_sort_block_merge_implIS3_PlPS5_mZN2at6native12_GLOBAL__N_124unique_dim_cuda_templateImEESt5tupleIJNSA_6TensorESF_SF_EERKSF_lbbbEUlllE_EE10hipError_tT0_T1_T2_jT3_P12ihipStream_tbPNSt15iterator_traitsISL_E10value_typeEPNSR_ISM_E10value_typeEPSN_NS1_7vsmem_tEENKUlT_SL_SM_SN_E_clIS8_S8_S9_S9_EESK_S10_SL_SM_SN_EUlS10_E0_NS1_11comp_targetILNS1_3genE0ELNS1_11target_archE4294967295ELNS1_3gpuE0ELNS1_3repE0EEENS1_38merge_mergepath_config_static_selectorELNS0_4arch9wavefront6targetE0EEEvSM_,"axG",@progbits,_ZN7rocprim17ROCPRIM_400000_NS6detail17trampoline_kernelINS0_14default_configENS1_38merge_sort_block_merge_config_selectorIlNS0_10empty_typeEEEZZNS1_27merge_sort_block_merge_implIS3_PlPS5_mZN2at6native12_GLOBAL__N_124unique_dim_cuda_templateImEESt5tupleIJNSA_6TensorESF_SF_EERKSF_lbbbEUlllE_EE10hipError_tT0_T1_T2_jT3_P12ihipStream_tbPNSt15iterator_traitsISL_E10value_typeEPNSR_ISM_E10value_typeEPSN_NS1_7vsmem_tEENKUlT_SL_SM_SN_E_clIS8_S8_S9_S9_EESK_S10_SL_SM_SN_EUlS10_E0_NS1_11comp_targetILNS1_3genE0ELNS1_11target_archE4294967295ELNS1_3gpuE0ELNS1_3repE0EEENS1_38merge_mergepath_config_static_selectorELNS0_4arch9wavefront6targetE0EEEvSM_,comdat
	.globl	_ZN7rocprim17ROCPRIM_400000_NS6detail17trampoline_kernelINS0_14default_configENS1_38merge_sort_block_merge_config_selectorIlNS0_10empty_typeEEEZZNS1_27merge_sort_block_merge_implIS3_PlPS5_mZN2at6native12_GLOBAL__N_124unique_dim_cuda_templateImEESt5tupleIJNSA_6TensorESF_SF_EERKSF_lbbbEUlllE_EE10hipError_tT0_T1_T2_jT3_P12ihipStream_tbPNSt15iterator_traitsISL_E10value_typeEPNSR_ISM_E10value_typeEPSN_NS1_7vsmem_tEENKUlT_SL_SM_SN_E_clIS8_S8_S9_S9_EESK_S10_SL_SM_SN_EUlS10_E0_NS1_11comp_targetILNS1_3genE0ELNS1_11target_archE4294967295ELNS1_3gpuE0ELNS1_3repE0EEENS1_38merge_mergepath_config_static_selectorELNS0_4arch9wavefront6targetE0EEEvSM_ ; -- Begin function _ZN7rocprim17ROCPRIM_400000_NS6detail17trampoline_kernelINS0_14default_configENS1_38merge_sort_block_merge_config_selectorIlNS0_10empty_typeEEEZZNS1_27merge_sort_block_merge_implIS3_PlPS5_mZN2at6native12_GLOBAL__N_124unique_dim_cuda_templateImEESt5tupleIJNSA_6TensorESF_SF_EERKSF_lbbbEUlllE_EE10hipError_tT0_T1_T2_jT3_P12ihipStream_tbPNSt15iterator_traitsISL_E10value_typeEPNSR_ISM_E10value_typeEPSN_NS1_7vsmem_tEENKUlT_SL_SM_SN_E_clIS8_S8_S9_S9_EESK_S10_SL_SM_SN_EUlS10_E0_NS1_11comp_targetILNS1_3genE0ELNS1_11target_archE4294967295ELNS1_3gpuE0ELNS1_3repE0EEENS1_38merge_mergepath_config_static_selectorELNS0_4arch9wavefront6targetE0EEEvSM_
	.p2align	8
	.type	_ZN7rocprim17ROCPRIM_400000_NS6detail17trampoline_kernelINS0_14default_configENS1_38merge_sort_block_merge_config_selectorIlNS0_10empty_typeEEEZZNS1_27merge_sort_block_merge_implIS3_PlPS5_mZN2at6native12_GLOBAL__N_124unique_dim_cuda_templateImEESt5tupleIJNSA_6TensorESF_SF_EERKSF_lbbbEUlllE_EE10hipError_tT0_T1_T2_jT3_P12ihipStream_tbPNSt15iterator_traitsISL_E10value_typeEPNSR_ISM_E10value_typeEPSN_NS1_7vsmem_tEENKUlT_SL_SM_SN_E_clIS8_S8_S9_S9_EESK_S10_SL_SM_SN_EUlS10_E0_NS1_11comp_targetILNS1_3genE0ELNS1_11target_archE4294967295ELNS1_3gpuE0ELNS1_3repE0EEENS1_38merge_mergepath_config_static_selectorELNS0_4arch9wavefront6targetE0EEEvSM_,@function
_ZN7rocprim17ROCPRIM_400000_NS6detail17trampoline_kernelINS0_14default_configENS1_38merge_sort_block_merge_config_selectorIlNS0_10empty_typeEEEZZNS1_27merge_sort_block_merge_implIS3_PlPS5_mZN2at6native12_GLOBAL__N_124unique_dim_cuda_templateImEESt5tupleIJNSA_6TensorESF_SF_EERKSF_lbbbEUlllE_EE10hipError_tT0_T1_T2_jT3_P12ihipStream_tbPNSt15iterator_traitsISL_E10value_typeEPNSR_ISM_E10value_typeEPSN_NS1_7vsmem_tEENKUlT_SL_SM_SN_E_clIS8_S8_S9_S9_EESK_S10_SL_SM_SN_EUlS10_E0_NS1_11comp_targetILNS1_3genE0ELNS1_11target_archE4294967295ELNS1_3gpuE0ELNS1_3repE0EEENS1_38merge_mergepath_config_static_selectorELNS0_4arch9wavefront6targetE0EEEvSM_: ; @_ZN7rocprim17ROCPRIM_400000_NS6detail17trampoline_kernelINS0_14default_configENS1_38merge_sort_block_merge_config_selectorIlNS0_10empty_typeEEEZZNS1_27merge_sort_block_merge_implIS3_PlPS5_mZN2at6native12_GLOBAL__N_124unique_dim_cuda_templateImEESt5tupleIJNSA_6TensorESF_SF_EERKSF_lbbbEUlllE_EE10hipError_tT0_T1_T2_jT3_P12ihipStream_tbPNSt15iterator_traitsISL_E10value_typeEPNSR_ISM_E10value_typeEPSN_NS1_7vsmem_tEENKUlT_SL_SM_SN_E_clIS8_S8_S9_S9_EESK_S10_SL_SM_SN_EUlS10_E0_NS1_11comp_targetILNS1_3genE0ELNS1_11target_archE4294967295ELNS1_3gpuE0ELNS1_3repE0EEENS1_38merge_mergepath_config_static_selectorELNS0_4arch9wavefront6targetE0EEEvSM_
; %bb.0:
	s_bfe_u32 s2, ttmp6, 0x40010
	s_and_b32 s4, ttmp7, 0xffff
	s_add_co_i32 s5, s2, 1
	s_clause 0x1
	s_load_b32 s6, s[0:1], 0x38
	s_load_b64 s[2:3], s[0:1], 0x58
	s_bfe_u32 s8, ttmp6, 0x4000c
	s_mul_i32 s5, s4, s5
	s_bfe_u32 s7, ttmp6, 0x40004
	s_add_co_i32 s8, s8, 1
	s_bfe_u32 s9, ttmp6, 0x40014
	s_add_co_i32 s7, s7, s5
	s_and_b32 s5, ttmp6, 15
	s_mul_i32 s8, ttmp9, s8
	s_lshr_b32 s10, ttmp7, 16
	s_add_co_i32 s9, s9, 1
	s_add_co_i32 s5, s5, s8
	s_mul_i32 s8, s10, s9
	s_bfe_u32 s9, ttmp6, 0x40008
	s_getreg_b32 s11, hwreg(HW_REG_IB_STS2, 6, 4)
	s_add_co_i32 s9, s9, s8
	s_cmp_eq_u32 s11, 0
	s_mov_b32 s19, 0
	s_cselect_b32 s8, s10, s9
	s_cselect_b32 s4, s4, s7
	s_wait_kmcnt 0x0
	s_mul_i32 s8, s3, s8
	s_cselect_b32 s3, ttmp9, s5
	s_add_co_i32 s4, s8, s4
	s_delay_alu instid0(SALU_CYCLE_1) | instskip(NEXT) | instid1(SALU_CYCLE_1)
	s_mul_i32 s4, s4, s2
	s_add_co_i32 s18, s4, s3
	s_delay_alu instid0(SALU_CYCLE_1)
	s_cmp_ge_u32 s18, s6
	s_cbranch_scc1 .LBB1622_139
; %bb.1:
	s_clause 0x1
	s_load_b64 s[4:5], s[0:1], 0x50
	s_load_b128 s[8:11], s[0:1], 0x28
	s_lshl_b64 s[6:7], s[18:19], 3
	s_mov_b32 s23, s19
	s_add_nc_u64 s[20:21], s[0:1], 0x58
	s_wait_kmcnt 0x0
	s_add_nc_u64 s[16:17], s[4:5], s[6:7]
	s_load_b128 s[12:15], s[16:17], 0x0
	s_load_b128 s[4:7], s[0:1], 0x8
	s_wait_xcnt 0x0
	s_lshr_b64 s[16:17], s[10:11], 9
	s_delay_alu instid0(SALU_CYCLE_1) | instskip(NEXT) | instid1(SALU_CYCLE_1)
	s_and_b32 s16, s16, -2
	s_sub_co_i32 s30, 0, s16
	s_lshl_b64 s[16:17], s[18:19], 10
	s_and_b32 s22, s18, s30
	s_or_b32 s30, s18, s30
	s_lshl_b64 s[24:25], s[22:23], 10
	s_lshl_b64 s[22:23], s[22:23], 11
	s_sub_nc_u64 s[28:29], s[16:17], s[24:25]
	s_add_nc_u64 s[26:27], s[22:23], s[10:11]
	s_cmp_lg_u32 s30, -1
	s_add_nc_u64 s[22:23], s[26:27], s[28:29]
	s_mov_b32 s28, -1
	s_cbranch_scc0 .LBB1622_3
; %bb.2:
	s_wait_kmcnt 0x0
	s_sub_nc_u64 s[10:11], s[22:23], s[14:15]
	v_mov_b64_e32 v[2:3], s[14:15]
	s_add_nc_u64 s[10:11], s[10:11], 0x400
	s_branch .LBB1622_4
.LBB1622_3:
	s_wait_kmcnt 0x0
	s_sub_nc_u64 s[14:15], s[26:27], s[24:25]
	s_delay_alu instid0(SALU_CYCLE_1)
	v_min_u64 v[2:3], s[8:9], s[14:15]
	s_add_nc_u64 s[10:11], s[14:15], s[10:11]
.LBB1622_4:
	v_mov_b32_e32 v21, 0
	v_min_u64 v[4:5], s[8:9], s[10:11]
	s_sub_nc_u64 s[10:11], s[22:23], s[12:13]
	v_lshlrev_b32_e32 v20, 3, v0
	v_min_u64 v[6:7], s[8:9], s[10:11]
	global_load_b32 v1, v21, s[20:21] offset:14
	s_lshr_b64 s[10:11], s[8:9], 10
	s_delay_alu instid0(SALU_CYCLE_1)
	s_cmp_lg_u64 s[10:11], s[18:19]
	s_cselect_b32 s9, -1, 0
	s_lshl_b64 s[14:15], s[12:13], 3
	s_cmp_lt_u32 s3, s2
	s_mov_b32 s3, 0
	s_cselect_b32 s2, 12, 18
	s_cmp_eq_u64 s[10:11], s[18:19]
	s_add_nc_u64 s[2:3], s[20:21], s[2:3]
	s_add_nc_u64 s[10:11], s[4:5], s[14:15]
	s_load_u16 s2, s[2:3], 0x0
	v_lshlrev_b64_e32 v[8:9], 3, v[6:7]
	v_sub_nc_u32_e32 v24, v4, v6
	s_delay_alu instid0(VALU_DEP_2) | instskip(SKIP_3) | instid1(VALU_DEP_1)
	v_add_nc_u64_e32 v[22:23], s[4:5], v[8:9]
	s_wait_loadcnt 0x0
	v_lshrrev_b32_e32 v3, 16, v1
	v_and_b32_e32 v1, 0xffff, v1
	v_mul_lo_u32 v1, v1, v3
	s_wait_kmcnt 0x0
	s_delay_alu instid0(VALU_DEP_1)
	v_mul_lo_u32 v25, v1, s2
	v_subrev_nc_u32_e32 v1, s12, v2
	s_cbranch_scc1 .LBB1622_6
; %bb.5:
	s_delay_alu instid0(VALU_DEP_1) | instskip(SKIP_3) | instid1(VALU_DEP_3)
	v_sub_co_u32 v4, vcc_lo, v0, v1
	v_dual_mov_b32 v5, v21 :: v_dual_mov_b32 v7, v21
	v_add_nc_u64_e32 v[2:3], s[10:11], v[20:21]
	v_dual_mov_b32 v17, v21 :: v_dual_mov_b32 v19, v21
	v_lshl_add_u64 v[4:5], v[4:5], 3, v[22:23]
	v_add_nc_u32_e32 v6, v25, v0
	s_delay_alu instid0(VALU_DEP_2) | instskip(NEXT) | instid1(VALU_DEP_2)
	v_dual_add_nc_u32 v36, v1, v24 :: v_dual_cndmask_b32 v2, v4, v2, vcc_lo
	v_lshl_add_u64 v[8:9], v[6:7], 3, s[10:11]
	v_sub_co_u32 v10, s2, v6, v1
	v_dual_mov_b32 v11, v21 :: v_dual_add_nc_u32 v6, v6, v25
	v_cndmask_b32_e32 v3, v5, v3, vcc_lo
	s_delay_alu instid0(VALU_DEP_2) | instskip(NEXT) | instid1(VALU_DEP_3)
	v_lshl_add_u64 v[4:5], v[10:11], 3, v[22:23]
	v_lshl_add_u64 v[10:11], v[6:7], 3, s[10:11]
	v_sub_co_u32 v12, vcc_lo, v6, v1
	s_delay_alu instid0(VALU_DEP_3) | instskip(SKIP_3) | instid1(VALU_DEP_4)
	v_dual_mov_b32 v13, v21 :: v_dual_cndmask_b32 v4, v4, v8, s2
	v_add_nc_u32_e32 v6, v6, v25
	v_cndmask_b32_e64 v5, v5, v9, s2
	v_mov_b32_e32 v15, v21
	v_lshl_add_u64 v[8:9], v[12:13], 3, v[22:23]
	global_load_b64 v[2:3], v[2:3], off
	v_lshl_add_u64 v[12:13], v[6:7], 3, s[10:11]
	v_sub_co_u32 v14, s2, v6, v1
	v_dual_cndmask_b32 v9, v9, v11 :: v_dual_add_nc_u32 v6, v6, v25
	v_cndmask_b32_e32 v8, v8, v10, vcc_lo
	s_delay_alu instid0(VALU_DEP_3) | instskip(SKIP_4) | instid1(VALU_DEP_3)
	v_lshl_add_u64 v[10:11], v[14:15], 3, v[22:23]
	global_load_b64 v[4:5], v[4:5], off
	v_add_nc_u32_e32 v18, v6, v25
	v_sub_co_u32 v16, vcc_lo, v6, v1
	v_dual_cndmask_b32 v27, v11, v13, s2 :: v_dual_cndmask_b32 v26, v10, v12, s2
	v_dual_mov_b32 v13, v21 :: v_dual_add_nc_u32 v12, v18, v25
	v_lshl_add_u64 v[14:15], v[6:7], 3, s[10:11]
	global_load_b64 v[6:7], v[8:9], off
	s_wait_xcnt 0x0
	v_lshl_add_u64 v[8:9], v[16:17], 3, v[22:23]
	v_lshl_add_u64 v[10:11], v[18:19], 3, s[10:11]
	v_sub_co_u32 v16, s2, v18, v1
	s_delay_alu instid0(VALU_DEP_3) | instskip(SKIP_2) | instid1(VALU_DEP_3)
	v_dual_cndmask_b32 v33, v9, v15 :: v_dual_add_nc_u32 v18, v12, v25
	v_lshl_add_u64 v[28:29], v[12:13], 3, s[10:11]
	v_sub_co_u32 v12, s3, v12, v1
	v_lshl_add_u64 v[30:31], v[18:19], 3, s[10:11]
	v_sub_co_u32 v18, s4, v18, v1
	v_lshl_add_u64 v[16:17], v[16:17], 3, v[22:23]
	s_delay_alu instid0(VALU_DEP_4) | instskip(SKIP_1) | instid1(VALU_DEP_4)
	v_lshl_add_u64 v[12:13], v[12:13], 3, v[22:23]
	v_cndmask_b32_e32 v32, v8, v14, vcc_lo
	v_lshl_add_u64 v[8:9], v[18:19], 3, v[22:23]
	s_delay_alu instid0(VALU_DEP_4) | instskip(NEXT) | instid1(VALU_DEP_4)
	v_dual_cndmask_b32 v19, v17, v11, s2 :: v_dual_cndmask_b32 v18, v16, v10, s2
	v_dual_cndmask_b32 v29, v13, v29, s3 :: v_dual_cndmask_b32 v28, v12, v28, s3
	s_delay_alu instid0(VALU_DEP_3)
	v_dual_cndmask_b32 v31, v9, v31, s4 :: v_dual_cndmask_b32 v30, v8, v30, s4
	global_load_b64 v[8:9], v[26:27], off
	global_load_b64 v[10:11], v[32:33], off
	;; [unrolled: 1-line block ×5, first 2 shown]
	s_cbranch_execz .LBB1622_7
	s_branch .LBB1622_24
.LBB1622_6:
                                        ; implicit-def: $vgpr2_vgpr3_vgpr4_vgpr5_vgpr6_vgpr7_vgpr8_vgpr9_vgpr10_vgpr11_vgpr12_vgpr13_vgpr14_vgpr15_vgpr16_vgpr17
                                        ; implicit-def: $vgpr36
	s_and_not1_b32 vcc_lo, exec_lo, s28
	s_cbranch_vccnz .LBB1622_24
.LBB1622_7:
	s_wait_loadcnt 0x7
	v_dual_add_nc_u32 v36, v1, v24 :: v_dual_mov_b32 v2, 0
	s_mov_b32 s2, exec_lo
	s_wait_loadcnt 0x6
	s_delay_alu instid0(VALU_DEP_1)
	v_dual_mov_b32 v3, v2 :: v_dual_mov_b32 v4, v2
	s_wait_loadcnt 0x5
	v_dual_mov_b32 v5, v2 :: v_dual_mov_b32 v6, v2
	s_wait_loadcnt 0x4
	;; [unrolled: 2-line block ×6, first 2 shown]
	v_dual_mov_b32 v15, v2 :: v_dual_mov_b32 v16, v2
	v_mov_b32_e32 v17, v2
	v_cmpx_lt_u32_e64 v0, v36
	s_cbranch_execz .LBB1622_9
; %bb.8:
	v_dual_mov_b32 v21, v2 :: v_dual_mov_b32 v5, v2
	v_sub_co_u32 v4, vcc_lo, v0, v1
	v_dual_mov_b32 v18, v2 :: v_dual_mov_b32 v19, v2
	s_delay_alu instid0(VALU_DEP_3) | instskip(NEXT) | instid1(VALU_DEP_3)
	v_add_nc_u64_e32 v[6:7], s[10:11], v[20:21]
	v_lshl_add_u64 v[4:5], v[4:5], 3, v[22:23]
	v_dual_mov_b32 v8, v2 :: v_dual_mov_b32 v9, v2
	v_dual_mov_b32 v10, v2 :: v_dual_mov_b32 v11, v2
	;; [unrolled: 1-line block ×3, first 2 shown]
	s_delay_alu instid0(VALU_DEP_4)
	v_dual_cndmask_b32 v5, v5, v7 :: v_dual_cndmask_b32 v4, v4, v6
	v_dual_mov_b32 v6, v2 :: v_dual_mov_b32 v7, v2
	v_dual_mov_b32 v14, v2 :: v_dual_mov_b32 v15, v2
	global_load_b64 v[4:5], v[4:5], off
	v_dual_mov_b32 v16, v2 :: v_dual_mov_b32 v17, v2
	s_wait_loadcnt 0x0
	v_mov_b64_e32 v[2:3], v[4:5]
	v_mov_b64_e32 v[4:5], v[6:7]
	;; [unrolled: 1-line block ×8, first 2 shown]
.LBB1622_9:
	s_or_b32 exec_lo, exec_lo, s2
	v_add_nc_u32_e32 v18, v25, v0
	s_mov_b32 s2, exec_lo
	s_delay_alu instid0(VALU_DEP_1)
	v_cmpx_lt_u32_e64 v18, v36
	s_cbranch_execz .LBB1622_11
; %bb.10:
	v_sub_co_u32 v26, vcc_lo, v18, v1
	v_mov_b32_e32 v19, 0
	s_delay_alu instid0(VALU_DEP_1) | instskip(SKIP_1) | instid1(VALU_DEP_1)
	v_lshl_add_u64 v[4:5], v[18:19], 3, s[10:11]
	v_mov_b32_e32 v27, v19
	v_lshl_add_u64 v[26:27], v[26:27], 3, v[22:23]
	s_delay_alu instid0(VALU_DEP_1)
	v_dual_cndmask_b32 v5, v27, v5 :: v_dual_cndmask_b32 v4, v26, v4
	global_load_b64 v[4:5], v[4:5], off
.LBB1622_11:
	s_wait_xcnt 0x0
	s_or_b32 exec_lo, exec_lo, s2
	v_add_nc_u32_e32 v18, v18, v25
	s_mov_b32 s2, exec_lo
	s_delay_alu instid0(VALU_DEP_1)
	v_cmpx_lt_u32_e64 v18, v36
	s_cbranch_execz .LBB1622_13
; %bb.12:
	v_sub_co_u32 v26, vcc_lo, v18, v1
	v_mov_b32_e32 v19, 0
	s_delay_alu instid0(VALU_DEP_1) | instskip(SKIP_1) | instid1(VALU_DEP_1)
	v_lshl_add_u64 v[6:7], v[18:19], 3, s[10:11]
	v_mov_b32_e32 v27, v19
	v_lshl_add_u64 v[26:27], v[26:27], 3, v[22:23]
	s_delay_alu instid0(VALU_DEP_1)
	v_dual_cndmask_b32 v7, v27, v7 :: v_dual_cndmask_b32 v6, v26, v6
	global_load_b64 v[6:7], v[6:7], off
.LBB1622_13:
	s_wait_xcnt 0x0
	s_or_b32 exec_lo, exec_lo, s2
	v_add_nc_u32_e32 v18, v18, v25
	s_mov_b32 s2, exec_lo
	s_delay_alu instid0(VALU_DEP_1)
	v_cmpx_lt_u32_e64 v18, v36
	s_cbranch_execz .LBB1622_15
; %bb.14:
	v_sub_co_u32 v26, vcc_lo, v18, v1
	v_mov_b32_e32 v19, 0
	s_delay_alu instid0(VALU_DEP_1) | instskip(SKIP_1) | instid1(VALU_DEP_1)
	v_lshl_add_u64 v[8:9], v[18:19], 3, s[10:11]
	v_mov_b32_e32 v27, v19
	v_lshl_add_u64 v[26:27], v[26:27], 3, v[22:23]
	s_delay_alu instid0(VALU_DEP_1)
	v_dual_cndmask_b32 v9, v27, v9 :: v_dual_cndmask_b32 v8, v26, v8
	global_load_b64 v[8:9], v[8:9], off
.LBB1622_15:
	s_wait_xcnt 0x0
	s_or_b32 exec_lo, exec_lo, s2
	v_add_nc_u32_e32 v18, v18, v25
	s_mov_b32 s2, exec_lo
	s_delay_alu instid0(VALU_DEP_1)
	v_cmpx_lt_u32_e64 v18, v36
	s_cbranch_execz .LBB1622_17
; %bb.16:
	v_sub_co_u32 v26, vcc_lo, v18, v1
	v_mov_b32_e32 v19, 0
	s_delay_alu instid0(VALU_DEP_1) | instskip(SKIP_1) | instid1(VALU_DEP_1)
	v_lshl_add_u64 v[10:11], v[18:19], 3, s[10:11]
	v_mov_b32_e32 v27, v19
	v_lshl_add_u64 v[26:27], v[26:27], 3, v[22:23]
	s_delay_alu instid0(VALU_DEP_1)
	v_dual_cndmask_b32 v11, v27, v11 :: v_dual_cndmask_b32 v10, v26, v10
	global_load_b64 v[10:11], v[10:11], off
.LBB1622_17:
	s_wait_xcnt 0x0
	s_or_b32 exec_lo, exec_lo, s2
	v_add_nc_u32_e32 v18, v18, v25
	s_mov_b32 s2, exec_lo
	s_delay_alu instid0(VALU_DEP_1)
	v_cmpx_lt_u32_e64 v18, v36
	s_cbranch_execz .LBB1622_19
; %bb.18:
	v_sub_co_u32 v26, vcc_lo, v18, v1
	v_mov_b32_e32 v19, 0
	s_delay_alu instid0(VALU_DEP_1) | instskip(SKIP_1) | instid1(VALU_DEP_1)
	v_lshl_add_u64 v[12:13], v[18:19], 3, s[10:11]
	v_mov_b32_e32 v27, v19
	v_lshl_add_u64 v[26:27], v[26:27], 3, v[22:23]
	s_delay_alu instid0(VALU_DEP_1)
	v_dual_cndmask_b32 v13, v27, v13 :: v_dual_cndmask_b32 v12, v26, v12
	global_load_b64 v[12:13], v[12:13], off
.LBB1622_19:
	s_wait_xcnt 0x0
	s_or_b32 exec_lo, exec_lo, s2
	v_add_nc_u32_e32 v18, v18, v25
	s_mov_b32 s2, exec_lo
	s_delay_alu instid0(VALU_DEP_1)
	v_cmpx_lt_u32_e64 v18, v36
	s_cbranch_execz .LBB1622_21
; %bb.20:
	v_sub_co_u32 v26, vcc_lo, v18, v1
	v_mov_b32_e32 v19, 0
	s_delay_alu instid0(VALU_DEP_1) | instskip(SKIP_1) | instid1(VALU_DEP_1)
	v_lshl_add_u64 v[14:15], v[18:19], 3, s[10:11]
	v_mov_b32_e32 v27, v19
	v_lshl_add_u64 v[26:27], v[26:27], 3, v[22:23]
	s_delay_alu instid0(VALU_DEP_1)
	v_dual_cndmask_b32 v15, v27, v15 :: v_dual_cndmask_b32 v14, v26, v14
	global_load_b64 v[14:15], v[14:15], off
.LBB1622_21:
	s_wait_xcnt 0x0
	s_or_b32 exec_lo, exec_lo, s2
	v_add_nc_u32_e32 v18, v18, v25
	s_mov_b32 s2, exec_lo
	s_delay_alu instid0(VALU_DEP_1)
	v_cmpx_lt_u32_e64 v18, v36
	s_cbranch_execz .LBB1622_23
; %bb.22:
	v_mov_b32_e32 v19, 0
	s_delay_alu instid0(VALU_DEP_1) | instskip(SKIP_1) | instid1(VALU_DEP_1)
	v_lshl_add_u64 v[16:17], v[18:19], 3, s[10:11]
	v_sub_co_u32 v18, vcc_lo, v18, v1
	v_lshl_add_u64 v[18:19], v[18:19], 3, v[22:23]
	s_delay_alu instid0(VALU_DEP_1)
	v_dual_cndmask_b32 v17, v19, v17 :: v_dual_cndmask_b32 v16, v18, v16
	global_load_b64 v[16:17], v[16:17], off
.LBB1622_23:
	s_wait_xcnt 0x0
	s_or_b32 exec_lo, exec_lo, s2
.LBB1622_24:
	s_load_b128 s[12:15], s[0:1], 0x40
	v_min_u32_e32 v25, v36, v20
	s_wait_xcnt 0x0
	s_mov_b32 s1, exec_lo
	s_wait_loadcnt 0x0
	ds_store_2addr_stride64_b64 v20, v[2:3], v[4:5] offset1:2
	ds_store_2addr_stride64_b64 v20, v[6:7], v[8:9] offset0:4 offset1:6
	ds_store_2addr_stride64_b64 v20, v[10:11], v[12:13] offset0:8 offset1:10
	;; [unrolled: 1-line block ×3, first 2 shown]
	s_wait_dscnt 0x0
	s_barrier_signal -1
	v_sub_nc_u32_e64 v21, v25, v24 clamp
	v_min_u32_e32 v24, v25, v1
	s_barrier_wait -1
	s_delay_alu instid0(VALU_DEP_1)
	v_cmpx_lt_u32_e64 v21, v24
	s_cbranch_execz .LBB1622_34
; %bb.25:
	v_lshlrev_b32_e32 v18, 3, v25
	s_wait_kmcnt 0x0
	v_cmp_gt_i64_e64 s10, s[12:13], 0
	s_lshl_b64 s[2:3], s[12:13], 3
	s_mov_b32 s11, 0
	v_lshl_add_u32 v26, v1, 3, v18
	s_branch .LBB1622_28
.LBB1622_26:                            ;   in Loop: Header=BB1622_28 Depth=1
	s_or_b32 exec_lo, exec_lo, s19
.LBB1622_27:                            ;   in Loop: Header=BB1622_28 Depth=1
	s_delay_alu instid0(VALU_DEP_1) | instskip(NEXT) | instid1(VALU_DEP_1)
	v_dual_add_nc_u32 v18, 1, v27 :: v_dual_cndmask_b32 v24, v24, v27, s18
	v_cndmask_b32_e64 v21, v18, v21, s18
	s_delay_alu instid0(VALU_DEP_1) | instskip(SKIP_1) | instid1(SALU_CYCLE_1)
	v_cmp_ge_u32_e32 vcc_lo, v21, v24
	s_or_b32 s11, vcc_lo, s11
	s_and_not1_b32 exec_lo, exec_lo, s11
	s_cbranch_execz .LBB1622_33
.LBB1622_28:                            ; =>This Loop Header: Depth=1
                                        ;     Child Loop BB1622_31 Depth 2
	v_add_nc_u32_e32 v18, v24, v21
	s_and_not1_b32 vcc_lo, exec_lo, s10
	s_mov_b32 s18, 0
	s_delay_alu instid0(VALU_DEP_1)
	v_lshrrev_b32_e32 v27, 1, v18
	s_cbranch_vccnz .LBB1622_27
; %bb.29:                               ;   in Loop: Header=BB1622_28 Depth=1
	s_delay_alu instid0(VALU_DEP_1) | instskip(SKIP_3) | instid1(VALU_DEP_2)
	v_not_b32_e32 v18, v27
	v_lshlrev_b32_e32 v19, 3, v27
	s_mov_b32 s19, 0
	s_mov_b64 s[4:5], s[12:13]
                                        ; implicit-def: $sgpr18
                                        ; implicit-def: $sgpr20
                                        ; implicit-def: $sgpr21
                                        ; implicit-def: $sgpr22
	v_lshl_add_u32 v18, v18, 3, v26
	ds_load_b64 v[28:29], v18
	ds_load_b64 v[30:31], v19
	s_wait_dscnt 0x1
	v_mad_nc_u64_u32 v[18:19], s2, v28, s[14:15]
	s_wait_dscnt 0x0
	v_mad_nc_u64_u32 v[22:23], s2, v30, s[14:15]
	s_delay_alu instid0(VALU_DEP_2) | instskip(NEXT) | instid1(VALU_DEP_2)
	v_mad_u32 v19, s3, v28, v19
	v_mad_u32 v23, s3, v30, v23
	s_delay_alu instid0(VALU_DEP_2) | instskip(NEXT) | instid1(VALU_DEP_2)
	v_mad_u32 v19, s2, v29, v19
	v_mad_u32 v23, s2, v31, v23
	s_branch .LBB1622_31
.LBB1622_30:                            ;   in Loop: Header=BB1622_31 Depth=2
	s_or_b32 exec_lo, exec_lo, s23
	s_delay_alu instid0(SALU_CYCLE_1) | instskip(NEXT) | instid1(SALU_CYCLE_1)
	s_and_b32 s23, exec_lo, s20
	s_or_b32 s19, s23, s19
	s_and_not1_b32 s22, s22, exec_lo
	s_and_b32 s0, s0, exec_lo
	s_and_not1_b32 s18, s18, exec_lo
	s_and_b32 s23, s21, exec_lo
	s_or_b32 s22, s22, s0
	s_or_b32 s18, s18, s23
	s_and_not1_b32 exec_lo, exec_lo, s19
	s_cbranch_execz .LBB1622_26
.LBB1622_31:                            ;   Parent Loop BB1622_28 Depth=1
                                        ; =>  This Inner Loop Header: Depth=2
	global_load_b64 v[28:29], v[18:19], off
	global_load_b64 v[30:31], v[22:23], off
	s_and_not1_b32 s21, s21, exec_lo
	s_or_b32 s20, s20, exec_lo
	s_wait_loadcnt 0x0
	v_cmp_le_u64_e32 vcc_lo, v[28:29], v[30:31]
	v_cmp_lt_u64_e64 s0, v[28:29], v[30:31]
	s_and_b32 s23, vcc_lo, s22
	s_delay_alu instid0(SALU_CYCLE_1) | instskip(NEXT) | instid1(SALU_CYCLE_1)
	s_or_b32 s0, s0, s23
	s_and_b32 s23, s0, exec_lo
	s_delay_alu instid0(SALU_CYCLE_1)
	s_or_b32 s21, s21, s23
	s_mov_b32 s23, exec_lo
	v_cmpx_eq_u64_e64 v[28:29], v[30:31]
	s_cbranch_execz .LBB1622_30
; %bb.32:                               ;   in Loop: Header=BB1622_31 Depth=2
	s_add_nc_u64 s[4:5], s[4:5], -1
	v_add_nc_u64_e32 v[18:19], 8, v[18:19]
	s_cmp_eq_u64 s[4:5], 0
	v_add_nc_u64_e32 v[22:23], 8, v[22:23]
	s_cselect_b32 s22, -1, 0
	s_and_not1_b32 s20, s20, exec_lo
	s_and_b32 s22, s22, exec_lo
	s_and_not1_b32 s21, s21, exec_lo
	s_or_b32 s20, s20, s22
                                        ; implicit-def: $sgpr22
	s_branch .LBB1622_30
.LBB1622_33:
	s_or_b32 exec_lo, exec_lo, s11
.LBB1622_34:
	s_delay_alu instid0(SALU_CYCLE_1) | instskip(SKIP_2) | instid1(VALU_DEP_2)
	s_or_b32 exec_lo, exec_lo, s1
	v_sub_nc_u32_e32 v18, v25, v21
	v_cmp_le_u32_e32 vcc_lo, v21, v1
	v_add_nc_u32_e32 v18, v18, v1
	s_delay_alu instid0(VALU_DEP_1) | instskip(SKIP_1) | instid1(SALU_CYCLE_1)
	v_cmp_le_u32_e64 s0, v18, v36
	s_or_b32 s0, vcc_lo, s0
	s_and_saveexec_b32 s1, s0
	s_cbranch_execz .LBB1622_125
; %bb.35:
	s_mov_b32 s2, exec_lo
	v_cmp_ge_u32_e32 vcc_lo, v21, v1
                                        ; implicit-def: $vgpr2_vgpr3
	v_cmpx_lt_u32_e64 v21, v1
; %bb.36:
	v_lshlrev_b32_e32 v2, 3, v21
	ds_load_b64 v[2:3], v2
; %bb.37:
	s_or_b32 exec_lo, exec_lo, s2
	v_cmp_ge_u32_e64 s5, v18, v36
	s_mov_b32 s2, exec_lo
                                        ; implicit-def: $vgpr14_vgpr15
	v_cmpx_lt_u32_e64 v18, v36
; %bb.38:
	v_lshlrev_b32_e32 v4, 3, v18
	ds_load_b64 v[14:15], v4
; %bb.39:
	s_or_b32 exec_lo, exec_lo, s2
	s_wait_kmcnt 0x0
	v_cmp_gt_i64_e64 s4, s[12:13], 0
	s_nor_b32 s0, vcc_lo, s5
	s_delay_alu instid0(SALU_CYCLE_1)
	s_and_saveexec_b32 s10, s0
	s_cbranch_execz .LBB1622_48
; %bb.40:
	s_and_not1_b32 vcc_lo, exec_lo, s4
	s_cbranch_vccnz .LBB1622_46
; %bb.41:
	s_wait_dscnt 0x0
	v_mul_u64_e32 v[4:5], s[12:13], v[14:15]
	v_mul_u64_e32 v[6:7], s[12:13], v[2:3]
	s_mov_b32 s11, 0
	s_mov_b64 s[2:3], s[12:13]
                                        ; implicit-def: $sgpr18
                                        ; implicit-def: $sgpr19
                                        ; implicit-def: $sgpr20
                                        ; implicit-def: $sgpr21
	s_delay_alu instid0(VALU_DEP_2) | instskip(NEXT) | instid1(VALU_DEP_2)
	v_lshl_add_u64 v[4:5], v[4:5], 3, s[14:15]
	v_lshl_add_u64 v[6:7], v[6:7], 3, s[14:15]
	s_branch .LBB1622_43
.LBB1622_42:                            ;   in Loop: Header=BB1622_43 Depth=1
	s_or_b32 exec_lo, exec_lo, s22
	s_delay_alu instid0(SALU_CYCLE_1) | instskip(NEXT) | instid1(SALU_CYCLE_1)
	s_and_b32 s22, exec_lo, s19
	s_or_b32 s11, s22, s11
	s_and_not1_b32 s21, s21, exec_lo
	s_and_b32 s0, s0, exec_lo
	s_and_not1_b32 s18, s18, exec_lo
	s_and_b32 s22, s20, exec_lo
	s_or_b32 s21, s21, s0
	s_or_b32 s18, s18, s22
	s_and_not1_b32 exec_lo, exec_lo, s11
	s_cbranch_execz .LBB1622_45
.LBB1622_43:                            ; =>This Inner Loop Header: Depth=1
	global_load_b64 v[8:9], v[4:5], off
	global_load_b64 v[10:11], v[6:7], off
	s_and_not1_b32 s20, s20, exec_lo
	s_or_b32 s19, s19, exec_lo
	s_wait_loadcnt 0x0
	v_cmp_le_u64_e32 vcc_lo, v[8:9], v[10:11]
	v_cmp_lt_u64_e64 s0, v[8:9], v[10:11]
	s_and_b32 s22, vcc_lo, s21
	s_delay_alu instid0(SALU_CYCLE_1) | instskip(NEXT) | instid1(SALU_CYCLE_1)
	s_or_b32 s0, s0, s22
	s_and_b32 s22, s0, exec_lo
	s_delay_alu instid0(SALU_CYCLE_1)
	s_or_b32 s20, s20, s22
	s_mov_b32 s22, exec_lo
	v_cmpx_eq_u64_e64 v[8:9], v[10:11]
	s_cbranch_execz .LBB1622_42
; %bb.44:                               ;   in Loop: Header=BB1622_43 Depth=1
	s_add_nc_u64 s[2:3], s[2:3], -1
	v_add_nc_u64_e32 v[4:5], 8, v[4:5]
	s_cmp_eq_u64 s[2:3], 0
	v_add_nc_u64_e32 v[6:7], 8, v[6:7]
	s_cselect_b32 s21, -1, 0
	s_and_not1_b32 s19, s19, exec_lo
	s_and_b32 s21, s21, exec_lo
	s_and_not1_b32 s20, s20, exec_lo
	s_or_b32 s19, s19, s21
                                        ; implicit-def: $sgpr21
	s_branch .LBB1622_42
.LBB1622_45:
	s_or_b32 exec_lo, exec_lo, s11
	s_xor_b32 s0, s18, -1
	s_branch .LBB1622_47
.LBB1622_46:
	s_mov_b32 s0, -1
.LBB1622_47:
	s_and_not1_b32 s2, s5, exec_lo
	s_and_b32 s0, s0, exec_lo
	s_delay_alu instid0(SALU_CYCLE_1)
	s_or_b32 s5, s2, s0
.LBB1622_48:
	s_or_b32 exec_lo, exec_lo, s10
	v_cndmask_b32_e64 v4, v18, v21, s5
	v_cndmask_b32_e64 v5, v36, v1, s5
	s_mov_b32 s11, -1
	s_mov_b32 s10, -1
	s_mov_b32 s18, exec_lo
	v_add_nc_u32_e32 v4, 1, v4
	s_delay_alu instid0(VALU_DEP_1) | instskip(NEXT) | instid1(VALU_DEP_1)
	v_add_min_u32_e64 v5, v5, -1, v4
	v_dual_cndmask_b32 v10, v4, v18, s5 :: v_dual_lshlrev_b32 v5, 3, v5
	ds_load_b64 v[6:7], v5
	s_wait_dscnt 0x0
	v_dual_cndmask_b32 v11, v21, v4, s5 :: v_dual_cndmask_b32 v4, v6, v14, s5
	v_cndmask_b32_e64 v5, v7, v15, s5
	v_dual_cndmask_b32 v17, v3, v7, s5 :: v_dual_cndmask_b32 v16, v2, v6, s5
	v_cmpx_lt_u32_e64 v10, v36
	s_cbranch_execz .LBB1622_59
; %bb.49:
	s_mov_b32 s0, 0
	s_mov_b32 s10, exec_lo
	v_cmpx_lt_u32_e64 v11, v1
	s_cbranch_execz .LBB1622_58
; %bb.50:
	s_and_not1_b32 vcc_lo, exec_lo, s4
	s_cbranch_vccnz .LBB1622_56
; %bb.51:
	v_mul_u64_e32 v[6:7], s[12:13], v[4:5]
	v_mul_u64_e32 v[8:9], s[12:13], v[16:17]
	s_mov_b32 s19, 0
	s_mov_b64 s[2:3], s[12:13]
                                        ; implicit-def: $sgpr20
                                        ; implicit-def: $sgpr21
                                        ; implicit-def: $sgpr22
                                        ; implicit-def: $sgpr23
	s_delay_alu instid0(VALU_DEP_2) | instskip(NEXT) | instid1(VALU_DEP_2)
	v_lshl_add_u64 v[6:7], v[6:7], 3, s[14:15]
	v_lshl_add_u64 v[8:9], v[8:9], 3, s[14:15]
	s_branch .LBB1622_53
.LBB1622_52:                            ;   in Loop: Header=BB1622_53 Depth=1
	s_or_b32 exec_lo, exec_lo, s24
	s_delay_alu instid0(SALU_CYCLE_1) | instskip(NEXT) | instid1(SALU_CYCLE_1)
	s_and_b32 s24, exec_lo, s21
	s_or_b32 s19, s24, s19
	s_and_not1_b32 s23, s23, exec_lo
	s_and_b32 s0, s0, exec_lo
	s_and_not1_b32 s20, s20, exec_lo
	s_and_b32 s24, s22, exec_lo
	s_or_b32 s23, s23, s0
	s_or_b32 s20, s20, s24
	s_and_not1_b32 exec_lo, exec_lo, s19
	s_cbranch_execz .LBB1622_55
.LBB1622_53:                            ; =>This Inner Loop Header: Depth=1
	global_load_b64 v[12:13], v[6:7], off
	global_load_b64 v[18:19], v[8:9], off
	s_and_not1_b32 s22, s22, exec_lo
	s_or_b32 s21, s21, exec_lo
	s_wait_loadcnt 0x0
	v_cmp_le_u64_e32 vcc_lo, v[12:13], v[18:19]
	v_cmp_lt_u64_e64 s0, v[12:13], v[18:19]
	s_and_b32 s24, vcc_lo, s23
	s_delay_alu instid0(SALU_CYCLE_1) | instskip(NEXT) | instid1(SALU_CYCLE_1)
	s_or_b32 s0, s0, s24
	s_and_b32 s24, s0, exec_lo
	s_delay_alu instid0(SALU_CYCLE_1)
	s_or_b32 s22, s22, s24
	s_mov_b32 s24, exec_lo
	v_cmpx_eq_u64_e64 v[12:13], v[18:19]
	s_cbranch_execz .LBB1622_52
; %bb.54:                               ;   in Loop: Header=BB1622_53 Depth=1
	s_add_nc_u64 s[2:3], s[2:3], -1
	v_add_nc_u64_e32 v[6:7], 8, v[6:7]
	s_cmp_eq_u64 s[2:3], 0
	v_add_nc_u64_e32 v[8:9], 8, v[8:9]
	s_cselect_b32 s23, -1, 0
	s_and_not1_b32 s21, s21, exec_lo
	s_and_b32 s23, s23, exec_lo
	s_and_not1_b32 s22, s22, exec_lo
	s_or_b32 s21, s21, s23
                                        ; implicit-def: $sgpr23
	s_branch .LBB1622_52
.LBB1622_55:
	s_or_b32 exec_lo, exec_lo, s19
	s_xor_b32 s0, s20, -1
	s_branch .LBB1622_57
.LBB1622_56:
	s_mov_b32 s0, -1
.LBB1622_57:
	s_delay_alu instid0(SALU_CYCLE_1)
	s_and_b32 s0, s0, exec_lo
.LBB1622_58:
	s_or_b32 exec_lo, exec_lo, s10
	s_delay_alu instid0(SALU_CYCLE_1)
	s_or_not1_b32 s10, s0, exec_lo
.LBB1622_59:
	s_or_b32 exec_lo, exec_lo, s18
	v_dual_cndmask_b32 v6, v10, v11, s10 :: v_dual_cndmask_b32 v7, v36, v1, s10
	s_mov_b32 s18, exec_lo
	s_delay_alu instid0(VALU_DEP_1) | instskip(NEXT) | instid1(VALU_DEP_1)
	v_add_nc_u32_e32 v6, 1, v6
	v_add_min_u32_e64 v7, v7, -1, v6
	s_delay_alu instid0(VALU_DEP_1)
	v_lshlrev_b32_e32 v7, 3, v7
	ds_load_b64 v[8:9], v7
	v_cndmask_b32_e64 v12, v6, v10, s10
	s_wait_dscnt 0x0
	v_dual_cndmask_b32 v13, v11, v6, s10 :: v_dual_cndmask_b32 v6, v8, v4, s10
	v_cndmask_b32_e64 v7, v9, v5, s10
	v_dual_cndmask_b32 v19, v17, v9, s10 :: v_dual_cndmask_b32 v18, v16, v8, s10
	v_cmpx_lt_u32_e64 v12, v36
	s_cbranch_execz .LBB1622_70
; %bb.60:
	s_mov_b32 s0, 0
	s_mov_b32 s11, exec_lo
	v_cmpx_lt_u32_e64 v13, v1
	s_cbranch_execz .LBB1622_69
; %bb.61:
	s_and_not1_b32 vcc_lo, exec_lo, s4
	s_cbranch_vccnz .LBB1622_67
; %bb.62:
	v_mul_u64_e32 v[8:9], s[12:13], v[6:7]
	v_mul_u64_e32 v[10:11], s[12:13], v[18:19]
	s_mov_b32 s19, 0
	s_mov_b64 s[2:3], s[12:13]
                                        ; implicit-def: $sgpr20
                                        ; implicit-def: $sgpr21
                                        ; implicit-def: $sgpr22
                                        ; implicit-def: $sgpr23
	s_delay_alu instid0(VALU_DEP_2) | instskip(NEXT) | instid1(VALU_DEP_2)
	v_lshl_add_u64 v[8:9], v[8:9], 3, s[14:15]
	v_lshl_add_u64 v[10:11], v[10:11], 3, s[14:15]
	s_branch .LBB1622_64
.LBB1622_63:                            ;   in Loop: Header=BB1622_64 Depth=1
	s_or_b32 exec_lo, exec_lo, s24
	s_delay_alu instid0(SALU_CYCLE_1) | instskip(NEXT) | instid1(SALU_CYCLE_1)
	s_and_b32 s24, exec_lo, s21
	s_or_b32 s19, s24, s19
	s_and_not1_b32 s23, s23, exec_lo
	s_and_b32 s0, s0, exec_lo
	s_and_not1_b32 s20, s20, exec_lo
	s_and_b32 s24, s22, exec_lo
	s_or_b32 s23, s23, s0
	s_or_b32 s20, s20, s24
	s_and_not1_b32 exec_lo, exec_lo, s19
	s_cbranch_execz .LBB1622_66
.LBB1622_64:                            ; =>This Inner Loop Header: Depth=1
	global_load_b64 v[22:23], v[8:9], off
	global_load_b64 v[24:25], v[10:11], off
	s_and_not1_b32 s22, s22, exec_lo
	s_or_b32 s21, s21, exec_lo
	s_wait_loadcnt 0x0
	v_cmp_le_u64_e32 vcc_lo, v[22:23], v[24:25]
	v_cmp_lt_u64_e64 s0, v[22:23], v[24:25]
	s_and_b32 s24, vcc_lo, s23
	s_delay_alu instid0(SALU_CYCLE_1) | instskip(NEXT) | instid1(SALU_CYCLE_1)
	s_or_b32 s0, s0, s24
	s_and_b32 s24, s0, exec_lo
	s_delay_alu instid0(SALU_CYCLE_1)
	s_or_b32 s22, s22, s24
	s_mov_b32 s24, exec_lo
	v_cmpx_eq_u64_e64 v[22:23], v[24:25]
	s_cbranch_execz .LBB1622_63
; %bb.65:                               ;   in Loop: Header=BB1622_64 Depth=1
	s_add_nc_u64 s[2:3], s[2:3], -1
	v_add_nc_u64_e32 v[8:9], 8, v[8:9]
	s_cmp_eq_u64 s[2:3], 0
	v_add_nc_u64_e32 v[10:11], 8, v[10:11]
	s_cselect_b32 s23, -1, 0
	s_and_not1_b32 s21, s21, exec_lo
	s_and_b32 s23, s23, exec_lo
	s_and_not1_b32 s22, s22, exec_lo
	s_or_b32 s21, s21, s23
                                        ; implicit-def: $sgpr23
	s_branch .LBB1622_63
.LBB1622_66:
	s_or_b32 exec_lo, exec_lo, s19
	s_xor_b32 s0, s20, -1
	s_branch .LBB1622_68
.LBB1622_67:
	s_mov_b32 s0, -1
.LBB1622_68:
	s_delay_alu instid0(SALU_CYCLE_1)
	s_and_b32 s0, s0, exec_lo
.LBB1622_69:
	s_or_b32 exec_lo, exec_lo, s11
	s_delay_alu instid0(SALU_CYCLE_1)
	s_or_not1_b32 s11, s0, exec_lo
.LBB1622_70:
	s_or_b32 exec_lo, exec_lo, s18
	v_cndmask_b32_e64 v8, v12, v13, s11
	v_cndmask_b32_e64 v9, v36, v1, s11
	s_mov_b32 s19, -1
	s_mov_b32 s18, -1
	s_mov_b32 s20, exec_lo
	v_add_nc_u32_e32 v8, 1, v8
	s_delay_alu instid0(VALU_DEP_1) | instskip(NEXT) | instid1(VALU_DEP_1)
	v_add_min_u32_e64 v9, v9, -1, v8
	v_dual_cndmask_b32 v21, v8, v12, s11 :: v_dual_lshlrev_b32 v9, 3, v9
	ds_load_b64 v[10:11], v9
	s_wait_dscnt 0x0
	v_dual_cndmask_b32 v24, v13, v8, s11 :: v_dual_cndmask_b32 v8, v10, v6, s11
	v_cndmask_b32_e64 v9, v11, v7, s11
	v_dual_cndmask_b32 v23, v19, v11, s11 :: v_dual_cndmask_b32 v22, v18, v10, s11
	v_cmpx_lt_u32_e64 v21, v36
	s_cbranch_execz .LBB1622_81
; %bb.71:
	s_mov_b32 s0, 0
	s_mov_b32 s18, exec_lo
	v_cmpx_lt_u32_e64 v24, v1
	s_cbranch_execz .LBB1622_80
; %bb.72:
	s_and_not1_b32 vcc_lo, exec_lo, s4
	s_cbranch_vccnz .LBB1622_78
; %bb.73:
	v_mul_u64_e32 v[10:11], s[12:13], v[8:9]
	v_mul_u64_e32 v[12:13], s[12:13], v[22:23]
	s_mov_b32 s21, 0
	s_mov_b64 s[2:3], s[12:13]
                                        ; implicit-def: $sgpr22
                                        ; implicit-def: $sgpr23
                                        ; implicit-def: $sgpr24
                                        ; implicit-def: $sgpr25
	s_delay_alu instid0(VALU_DEP_2) | instskip(NEXT) | instid1(VALU_DEP_2)
	v_lshl_add_u64 v[10:11], v[10:11], 3, s[14:15]
	v_lshl_add_u64 v[12:13], v[12:13], 3, s[14:15]
	s_branch .LBB1622_75
.LBB1622_74:                            ;   in Loop: Header=BB1622_75 Depth=1
	s_or_b32 exec_lo, exec_lo, s26
	s_delay_alu instid0(SALU_CYCLE_1) | instskip(NEXT) | instid1(SALU_CYCLE_1)
	s_and_b32 s26, exec_lo, s23
	s_or_b32 s21, s26, s21
	s_and_not1_b32 s25, s25, exec_lo
	s_and_b32 s0, s0, exec_lo
	s_and_not1_b32 s22, s22, exec_lo
	s_and_b32 s26, s24, exec_lo
	s_or_b32 s25, s25, s0
	s_or_b32 s22, s22, s26
	s_and_not1_b32 exec_lo, exec_lo, s21
	s_cbranch_execz .LBB1622_77
.LBB1622_75:                            ; =>This Inner Loop Header: Depth=1
	global_load_b64 v[26:27], v[10:11], off
	global_load_b64 v[28:29], v[12:13], off
	s_and_not1_b32 s24, s24, exec_lo
	s_or_b32 s23, s23, exec_lo
	s_wait_loadcnt 0x0
	v_cmp_le_u64_e32 vcc_lo, v[26:27], v[28:29]
	v_cmp_lt_u64_e64 s0, v[26:27], v[28:29]
	s_and_b32 s26, vcc_lo, s25
	s_delay_alu instid0(SALU_CYCLE_1) | instskip(NEXT) | instid1(SALU_CYCLE_1)
	s_or_b32 s0, s0, s26
	s_and_b32 s26, s0, exec_lo
	s_delay_alu instid0(SALU_CYCLE_1)
	s_or_b32 s24, s24, s26
	s_mov_b32 s26, exec_lo
	v_cmpx_eq_u64_e64 v[26:27], v[28:29]
	s_cbranch_execz .LBB1622_74
; %bb.76:                               ;   in Loop: Header=BB1622_75 Depth=1
	s_add_nc_u64 s[2:3], s[2:3], -1
	v_add_nc_u64_e32 v[10:11], 8, v[10:11]
	s_cmp_eq_u64 s[2:3], 0
	v_add_nc_u64_e32 v[12:13], 8, v[12:13]
	s_cselect_b32 s25, -1, 0
	s_and_not1_b32 s23, s23, exec_lo
	s_and_b32 s25, s25, exec_lo
	s_and_not1_b32 s24, s24, exec_lo
	s_or_b32 s23, s23, s25
                                        ; implicit-def: $sgpr25
	s_branch .LBB1622_74
.LBB1622_77:
	s_or_b32 exec_lo, exec_lo, s21
	s_xor_b32 s0, s22, -1
	s_branch .LBB1622_79
.LBB1622_78:
	s_mov_b32 s0, -1
.LBB1622_79:
	s_delay_alu instid0(SALU_CYCLE_1)
	s_and_b32 s0, s0, exec_lo
.LBB1622_80:
	s_or_b32 exec_lo, exec_lo, s18
	s_delay_alu instid0(SALU_CYCLE_1)
	s_or_not1_b32 s18, s0, exec_lo
.LBB1622_81:
	s_or_b32 exec_lo, exec_lo, s20
	v_dual_cndmask_b32 v10, v21, v24, s18 :: v_dual_cndmask_b32 v11, v36, v1, s18
	s_mov_b32 s20, exec_lo
	s_delay_alu instid0(VALU_DEP_1) | instskip(NEXT) | instid1(VALU_DEP_1)
	v_add_nc_u32_e32 v10, 1, v10
	v_add_min_u32_e64 v11, v11, -1, v10
	s_delay_alu instid0(VALU_DEP_1)
	v_dual_lshlrev_b32 v11, 3, v11 :: v_dual_cndmask_b32 v21, v10, v21, s18
	v_cndmask_b32_e64 v28, v24, v10, s18
	ds_load_b64 v[12:13], v11
	s_wait_dscnt 0x0
	v_dual_cndmask_b32 v11, v13, v9, s18 :: v_dual_cndmask_b32 v10, v12, v8, s18
	v_dual_cndmask_b32 v25, v23, v13, s18 :: v_dual_cndmask_b32 v24, v22, v12, s18
	v_cmpx_lt_u32_e64 v21, v36
	s_cbranch_execz .LBB1622_92
; %bb.82:
	s_mov_b32 s0, 0
	s_mov_b32 s19, exec_lo
	v_cmpx_lt_u32_e64 v28, v1
	s_cbranch_execz .LBB1622_91
; %bb.83:
	s_and_not1_b32 vcc_lo, exec_lo, s4
	s_cbranch_vccnz .LBB1622_89
; %bb.84:
	v_mul_u64_e32 v[12:13], s[12:13], v[10:11]
	v_mul_u64_e32 v[26:27], s[12:13], v[24:25]
	s_mov_b32 s21, 0
	s_mov_b64 s[2:3], s[12:13]
                                        ; implicit-def: $sgpr22
                                        ; implicit-def: $sgpr23
                                        ; implicit-def: $sgpr24
                                        ; implicit-def: $sgpr25
	s_delay_alu instid0(VALU_DEP_2) | instskip(NEXT) | instid1(VALU_DEP_2)
	v_lshl_add_u64 v[12:13], v[12:13], 3, s[14:15]
	v_lshl_add_u64 v[26:27], v[26:27], 3, s[14:15]
	s_branch .LBB1622_86
.LBB1622_85:                            ;   in Loop: Header=BB1622_86 Depth=1
	s_or_b32 exec_lo, exec_lo, s26
	s_delay_alu instid0(SALU_CYCLE_1) | instskip(NEXT) | instid1(SALU_CYCLE_1)
	s_and_b32 s26, exec_lo, s23
	s_or_b32 s21, s26, s21
	s_and_not1_b32 s25, s25, exec_lo
	s_and_b32 s0, s0, exec_lo
	s_and_not1_b32 s22, s22, exec_lo
	s_and_b32 s26, s24, exec_lo
	s_or_b32 s25, s25, s0
	s_or_b32 s22, s22, s26
	s_and_not1_b32 exec_lo, exec_lo, s21
	s_cbranch_execz .LBB1622_88
.LBB1622_86:                            ; =>This Inner Loop Header: Depth=1
	global_load_b64 v[30:31], v[12:13], off
	global_load_b64 v[32:33], v[26:27], off
	s_and_not1_b32 s24, s24, exec_lo
	s_or_b32 s23, s23, exec_lo
	s_wait_loadcnt 0x0
	v_cmp_le_u64_e32 vcc_lo, v[30:31], v[32:33]
	v_cmp_lt_u64_e64 s0, v[30:31], v[32:33]
	s_and_b32 s26, vcc_lo, s25
	s_delay_alu instid0(SALU_CYCLE_1) | instskip(NEXT) | instid1(SALU_CYCLE_1)
	s_or_b32 s0, s0, s26
	s_and_b32 s26, s0, exec_lo
	s_delay_alu instid0(SALU_CYCLE_1)
	s_or_b32 s24, s24, s26
	s_mov_b32 s26, exec_lo
	v_cmpx_eq_u64_e64 v[30:31], v[32:33]
	s_cbranch_execz .LBB1622_85
; %bb.87:                               ;   in Loop: Header=BB1622_86 Depth=1
	s_add_nc_u64 s[2:3], s[2:3], -1
	v_add_nc_u64_e32 v[12:13], 8, v[12:13]
	s_cmp_eq_u64 s[2:3], 0
	v_add_nc_u64_e32 v[26:27], 8, v[26:27]
	s_cselect_b32 s25, -1, 0
	s_and_not1_b32 s23, s23, exec_lo
	s_and_b32 s25, s25, exec_lo
	s_and_not1_b32 s24, s24, exec_lo
	s_or_b32 s23, s23, s25
                                        ; implicit-def: $sgpr25
	s_branch .LBB1622_85
.LBB1622_88:
	s_or_b32 exec_lo, exec_lo, s21
	s_xor_b32 s0, s22, -1
	s_branch .LBB1622_90
.LBB1622_89:
	s_mov_b32 s0, -1
.LBB1622_90:
	s_delay_alu instid0(SALU_CYCLE_1)
	s_and_b32 s0, s0, exec_lo
.LBB1622_91:
	s_or_b32 exec_lo, exec_lo, s19
	s_delay_alu instid0(SALU_CYCLE_1)
	s_or_not1_b32 s19, s0, exec_lo
.LBB1622_92:
	s_or_b32 exec_lo, exec_lo, s20
	v_dual_cndmask_b32 v12, v21, v28, s19 :: v_dual_cndmask_b32 v13, v36, v1, s19
	s_mov_b32 s20, -1
	s_mov_b32 s21, -1
	s_mov_b32 s22, exec_lo
	s_delay_alu instid0(VALU_DEP_1) | instskip(NEXT) | instid1(VALU_DEP_1)
	v_add_nc_u32_e32 v12, 1, v12
	v_add_min_u32_e64 v13, v13, -1, v12
	s_delay_alu instid0(VALU_DEP_1)
	v_lshlrev_b32_e32 v13, 3, v13
	ds_load_b64 v[26:27], v13
	v_cndmask_b32_e64 v21, v12, v21, s19
	s_wait_dscnt 0x0
	v_dual_cndmask_b32 v32, v28, v12, s19 :: v_dual_cndmask_b32 v12, v26, v10, s19
	v_cndmask_b32_e64 v13, v27, v11, s19
	v_dual_cndmask_b32 v27, v25, v27, s19 :: v_dual_cndmask_b32 v26, v24, v26, s19
	v_cmpx_lt_u32_e64 v21, v36
	s_cbranch_execz .LBB1622_103
; %bb.93:
	s_mov_b32 s0, 0
	s_mov_b32 s21, exec_lo
	v_cmpx_lt_u32_e64 v32, v1
	s_cbranch_execz .LBB1622_102
; %bb.94:
	s_and_not1_b32 vcc_lo, exec_lo, s4
	s_cbranch_vccnz .LBB1622_100
; %bb.95:
	v_mul_u64_e32 v[28:29], s[12:13], v[12:13]
	v_mul_u64_e32 v[30:31], s[12:13], v[26:27]
	s_mov_b32 s23, 0
	s_mov_b64 s[2:3], s[12:13]
                                        ; implicit-def: $sgpr24
                                        ; implicit-def: $sgpr25
                                        ; implicit-def: $sgpr26
                                        ; implicit-def: $sgpr27
	s_delay_alu instid0(VALU_DEP_2) | instskip(NEXT) | instid1(VALU_DEP_2)
	v_lshl_add_u64 v[28:29], v[28:29], 3, s[14:15]
	v_lshl_add_u64 v[30:31], v[30:31], 3, s[14:15]
	s_branch .LBB1622_97
.LBB1622_96:                            ;   in Loop: Header=BB1622_97 Depth=1
	s_or_b32 exec_lo, exec_lo, s28
	s_delay_alu instid0(SALU_CYCLE_1) | instskip(NEXT) | instid1(SALU_CYCLE_1)
	s_and_b32 s28, exec_lo, s25
	s_or_b32 s23, s28, s23
	s_and_not1_b32 s27, s27, exec_lo
	s_and_b32 s0, s0, exec_lo
	s_and_not1_b32 s24, s24, exec_lo
	s_and_b32 s28, s26, exec_lo
	s_or_b32 s27, s27, s0
	s_or_b32 s24, s24, s28
	s_and_not1_b32 exec_lo, exec_lo, s23
	s_cbranch_execz .LBB1622_99
.LBB1622_97:                            ; =>This Inner Loop Header: Depth=1
	global_load_b64 v[34:35], v[28:29], off
	global_load_b64 v[38:39], v[30:31], off
	s_and_not1_b32 s26, s26, exec_lo
	s_or_b32 s25, s25, exec_lo
	s_wait_loadcnt 0x0
	v_cmp_le_u64_e32 vcc_lo, v[34:35], v[38:39]
	v_cmp_lt_u64_e64 s0, v[34:35], v[38:39]
	s_and_b32 s28, vcc_lo, s27
	s_delay_alu instid0(SALU_CYCLE_1) | instskip(NEXT) | instid1(SALU_CYCLE_1)
	s_or_b32 s0, s0, s28
	s_and_b32 s28, s0, exec_lo
	s_delay_alu instid0(SALU_CYCLE_1)
	s_or_b32 s26, s26, s28
	s_mov_b32 s28, exec_lo
	v_cmpx_eq_u64_e64 v[34:35], v[38:39]
	s_cbranch_execz .LBB1622_96
; %bb.98:                               ;   in Loop: Header=BB1622_97 Depth=1
	s_add_nc_u64 s[2:3], s[2:3], -1
	v_add_nc_u64_e32 v[28:29], 8, v[28:29]
	s_cmp_eq_u64 s[2:3], 0
	v_add_nc_u64_e32 v[30:31], 8, v[30:31]
	s_cselect_b32 s27, -1, 0
	s_and_not1_b32 s25, s25, exec_lo
	s_and_b32 s27, s27, exec_lo
	s_and_not1_b32 s26, s26, exec_lo
	s_or_b32 s25, s25, s27
                                        ; implicit-def: $sgpr27
	s_branch .LBB1622_96
.LBB1622_99:
	s_or_b32 exec_lo, exec_lo, s23
	s_xor_b32 s0, s24, -1
	s_branch .LBB1622_101
.LBB1622_100:
	s_mov_b32 s0, -1
.LBB1622_101:
	s_delay_alu instid0(SALU_CYCLE_1)
	s_and_b32 s0, s0, exec_lo
.LBB1622_102:
	s_or_b32 exec_lo, exec_lo, s21
	s_delay_alu instid0(SALU_CYCLE_1)
	s_or_not1_b32 s21, s0, exec_lo
.LBB1622_103:
	s_or_b32 exec_lo, exec_lo, s22
	v_dual_cndmask_b32 v28, v21, v32, s21 :: v_dual_cndmask_b32 v29, v36, v1, s21
	s_mov_b32 s22, exec_lo
	s_delay_alu instid0(VALU_DEP_1) | instskip(NEXT) | instid1(VALU_DEP_1)
	v_add_nc_u32_e32 v28, 1, v28
	v_add_min_u32_e64 v29, v29, -1, v28
	s_delay_alu instid0(VALU_DEP_1)
	v_lshlrev_b32_e32 v29, 3, v29
	ds_load_b64 v[30:31], v29
	v_cndmask_b32_e64 v37, v28, v21, s21
	s_wait_dscnt 0x0
	v_dual_cndmask_b32 v21, v32, v28, s21 :: v_dual_cndmask_b32 v29, v31, v13, s21
	v_dual_cndmask_b32 v28, v30, v12, s21 :: v_dual_cndmask_b32 v31, v27, v31, s21
	v_cndmask_b32_e64 v30, v26, v30, s21
	v_cmpx_lt_u32_e64 v37, v36
	s_cbranch_execz .LBB1622_114
; %bb.104:
	s_mov_b32 s0, 0
	s_mov_b32 s20, exec_lo
	v_cmpx_lt_u32_e64 v21, v1
	s_cbranch_execz .LBB1622_113
; %bb.105:
	s_and_not1_b32 vcc_lo, exec_lo, s4
	s_cbranch_vccnz .LBB1622_111
; %bb.106:
	v_mul_u64_e32 v[32:33], s[12:13], v[28:29]
	v_mul_u64_e32 v[34:35], s[12:13], v[30:31]
	s_mov_b32 s23, 0
	s_mov_b64 s[2:3], s[12:13]
                                        ; implicit-def: $sgpr24
                                        ; implicit-def: $sgpr25
                                        ; implicit-def: $sgpr26
                                        ; implicit-def: $sgpr27
	s_delay_alu instid0(VALU_DEP_2) | instskip(NEXT) | instid1(VALU_DEP_2)
	v_lshl_add_u64 v[32:33], v[32:33], 3, s[14:15]
	v_lshl_add_u64 v[34:35], v[34:35], 3, s[14:15]
	s_branch .LBB1622_108
.LBB1622_107:                           ;   in Loop: Header=BB1622_108 Depth=1
	s_or_b32 exec_lo, exec_lo, s28
	s_delay_alu instid0(SALU_CYCLE_1) | instskip(NEXT) | instid1(SALU_CYCLE_1)
	s_and_b32 s28, exec_lo, s25
	s_or_b32 s23, s28, s23
	s_and_not1_b32 s27, s27, exec_lo
	s_and_b32 s0, s0, exec_lo
	s_and_not1_b32 s24, s24, exec_lo
	s_and_b32 s28, s26, exec_lo
	s_or_b32 s27, s27, s0
	s_or_b32 s24, s24, s28
	s_and_not1_b32 exec_lo, exec_lo, s23
	s_cbranch_execz .LBB1622_110
.LBB1622_108:                           ; =>This Inner Loop Header: Depth=1
	global_load_b64 v[38:39], v[32:33], off
	global_load_b64 v[40:41], v[34:35], off
	s_and_not1_b32 s26, s26, exec_lo
	s_or_b32 s25, s25, exec_lo
	s_wait_loadcnt 0x0
	v_cmp_le_u64_e32 vcc_lo, v[38:39], v[40:41]
	v_cmp_lt_u64_e64 s0, v[38:39], v[40:41]
	s_and_b32 s28, vcc_lo, s27
	s_delay_alu instid0(SALU_CYCLE_1) | instskip(NEXT) | instid1(SALU_CYCLE_1)
	s_or_b32 s0, s0, s28
	s_and_b32 s28, s0, exec_lo
	s_delay_alu instid0(SALU_CYCLE_1)
	s_or_b32 s26, s26, s28
	s_mov_b32 s28, exec_lo
	v_cmpx_eq_u64_e64 v[38:39], v[40:41]
	s_cbranch_execz .LBB1622_107
; %bb.109:                              ;   in Loop: Header=BB1622_108 Depth=1
	s_add_nc_u64 s[2:3], s[2:3], -1
	v_add_nc_u64_e32 v[32:33], 8, v[32:33]
	s_cmp_eq_u64 s[2:3], 0
	v_add_nc_u64_e32 v[34:35], 8, v[34:35]
	s_cselect_b32 s27, -1, 0
	s_and_not1_b32 s25, s25, exec_lo
	s_and_b32 s27, s27, exec_lo
	s_and_not1_b32 s26, s26, exec_lo
	s_or_b32 s25, s25, s27
                                        ; implicit-def: $sgpr27
	s_branch .LBB1622_107
.LBB1622_110:
	s_or_b32 exec_lo, exec_lo, s23
	s_xor_b32 s0, s24, -1
	s_branch .LBB1622_112
.LBB1622_111:
	s_mov_b32 s0, -1
.LBB1622_112:
	s_delay_alu instid0(SALU_CYCLE_1)
	s_and_b32 s0, s0, exec_lo
.LBB1622_113:
	s_or_b32 exec_lo, exec_lo, s20
	s_delay_alu instid0(SALU_CYCLE_1)
	s_or_not1_b32 s20, s0, exec_lo
.LBB1622_114:
	s_or_b32 exec_lo, exec_lo, s22
	v_dual_cndmask_b32 v32, v37, v21, s20 :: v_dual_cndmask_b32 v12, v12, v26, s21
	v_cndmask_b32_e64 v33, v36, v1, s20
	v_dual_cndmask_b32 v11, v11, v25, s19 :: v_dual_cndmask_b32 v10, v10, v24, s19
	s_delay_alu instid0(VALU_DEP_3) | instskip(SKIP_2) | instid1(VALU_DEP_3)
	v_dual_add_nc_u32 v34, 1, v32 :: v_dual_cndmask_b32 v9, v9, v23, s18
	v_dual_cndmask_b32 v8, v8, v22, s18 :: v_dual_cndmask_b32 v7, v7, v19, s11
	v_cndmask_b32_e64 v6, v6, v18, s11
	v_add_min_u32_e64 v32, v33, -1, v34
	v_dual_cndmask_b32 v5, v5, v17, s10 :: v_dual_cndmask_b32 v4, v4, v16, s10
	v_dual_cndmask_b32 v3, v15, v3, s5 :: v_dual_cndmask_b32 v2, v14, v2, s5
	s_delay_alu instid0(VALU_DEP_3)
	v_dual_lshlrev_b32 v32, 3, v32 :: v_dual_cndmask_b32 v13, v13, v27, s21
	v_dual_cndmask_b32 v18, v34, v37, s20 :: v_dual_cndmask_b32 v15, v29, v31, s20
	s_mov_b32 s2, exec_lo
	ds_load_b64 v[32:33], v32
	s_wait_dscnt 0x0
	v_dual_cndmask_b32 v14, v28, v30, s20 :: v_dual_cndmask_b32 v17, v31, v33, s20
	v_cndmask_b32_e64 v16, v30, v32, s20
	v_cmpx_lt_u32_e64 v18, v36
	s_cbranch_execz .LBB1622_124
; %bb.115:
	v_dual_cndmask_b32 v21, v21, v34, s20 :: v_dual_cndmask_b32 v18, v32, v28, s20
	v_cndmask_b32_e64 v19, v33, v29, s20
	s_mov_b32 s3, exec_lo
	s_delay_alu instid0(VALU_DEP_2)
	v_cmpx_lt_u32_e64 v21, v1
	s_cbranch_execz .LBB1622_123
; %bb.116:
	s_and_not1_b32 vcc_lo, exec_lo, s4
	s_cbranch_vccnz .LBB1622_122
; %bb.117:
	v_mul_u64_e32 v[22:23], s[12:13], v[18:19]
	v_mul_u64_e32 v[24:25], s[12:13], v[16:17]
	s_mov_b32 s4, 0
                                        ; implicit-def: $sgpr5
                                        ; implicit-def: $sgpr10
                                        ; implicit-def: $sgpr11
	s_delay_alu instid0(VALU_DEP_2) | instskip(NEXT) | instid1(VALU_DEP_2)
	v_lshl_add_u64 v[22:23], v[22:23], 3, s[14:15]
	v_lshl_add_u64 v[24:25], v[24:25], 3, s[14:15]
                                        ; implicit-def: $sgpr14
	s_branch .LBB1622_119
.LBB1622_118:                           ;   in Loop: Header=BB1622_119 Depth=1
	s_or_b32 exec_lo, exec_lo, s15
	s_delay_alu instid0(SALU_CYCLE_1) | instskip(NEXT) | instid1(SALU_CYCLE_1)
	s_and_b32 s15, exec_lo, s10
	s_or_b32 s4, s15, s4
	s_and_not1_b32 s14, s14, exec_lo
	s_and_b32 s0, s0, exec_lo
	s_and_not1_b32 s5, s5, exec_lo
	s_and_b32 s15, s11, exec_lo
	s_or_b32 s14, s14, s0
	s_or_b32 s5, s5, s15
	s_and_not1_b32 exec_lo, exec_lo, s4
	s_cbranch_execz .LBB1622_121
.LBB1622_119:                           ; =>This Inner Loop Header: Depth=1
	global_load_b64 v[26:27], v[22:23], off
	global_load_b64 v[28:29], v[24:25], off
	s_and_not1_b32 s11, s11, exec_lo
	s_or_b32 s10, s10, exec_lo
	s_wait_loadcnt 0x0
	v_cmp_le_u64_e32 vcc_lo, v[26:27], v[28:29]
	v_cmp_lt_u64_e64 s0, v[26:27], v[28:29]
	s_and_b32 s15, vcc_lo, s14
	s_delay_alu instid0(SALU_CYCLE_1) | instskip(NEXT) | instid1(SALU_CYCLE_1)
	s_or_b32 s0, s0, s15
	s_and_b32 s15, s0, exec_lo
	s_delay_alu instid0(SALU_CYCLE_1)
	s_or_b32 s11, s11, s15
	s_mov_b32 s15, exec_lo
	v_cmpx_eq_u64_e64 v[26:27], v[28:29]
	s_cbranch_execz .LBB1622_118
; %bb.120:                              ;   in Loop: Header=BB1622_119 Depth=1
	s_add_nc_u64 s[12:13], s[12:13], -1
	v_add_nc_u64_e32 v[22:23], 8, v[22:23]
	s_cmp_eq_u64 s[12:13], 0
	v_add_nc_u64_e32 v[24:25], 8, v[24:25]
	s_cselect_b32 s14, -1, 0
	s_and_not1_b32 s10, s10, exec_lo
	s_and_b32 s14, s14, exec_lo
	s_and_not1_b32 s11, s11, exec_lo
	s_or_b32 s10, s10, s14
                                        ; implicit-def: $sgpr14
	s_branch .LBB1622_118
.LBB1622_121:
	s_or_b32 exec_lo, exec_lo, s4
	v_dual_cndmask_b32 v17, v17, v19, s5 :: v_dual_cndmask_b32 v16, v16, v18, s5
.LBB1622_122:
	s_delay_alu instid0(VALU_DEP_1)
	v_mov_b64_e32 v[18:19], v[16:17]
.LBB1622_123:
	s_or_b32 exec_lo, exec_lo, s3
	s_delay_alu instid0(VALU_DEP_1)
	v_mov_b64_e32 v[16:17], v[18:19]
.LBB1622_124:
	s_or_b32 exec_lo, exec_lo, s2
.LBB1622_125:
	s_delay_alu instid0(SALU_CYCLE_1) | instskip(SKIP_4) | instid1(VALU_DEP_4)
	s_or_b32 exec_lo, exec_lo, s1
	v_or_b32_e32 v25, 0x80, v0
	v_lshrrev_b32_e32 v1, 2, v0
	v_or_b32_e32 v22, 0x100, v0
	v_lshlrev_b32_e32 v18, 3, v20
	v_lshrrev_b32_e32 v19, 2, v25
	s_barrier_signal -1
	s_delay_alu instid0(VALU_DEP_3) | instskip(NEXT) | instid1(VALU_DEP_3)
	v_lshrrev_b32_e32 v21, 2, v22
	v_lshl_add_u32 v18, v1, 3, v18
	s_barrier_wait -1
	s_barrier_signal -1
	s_barrier_wait -1
	ds_store_2addr_b64 v18, v[2:3], v[4:5] offset1:1
	ds_store_2addr_b64 v18, v[6:7], v[8:9] offset0:2 offset1:3
	v_and_b32_e32 v2, 56, v19
	v_and_b32_e32 v1, 24, v1
	v_or_b32_e32 v24, 0x180, v0
	v_and_b32_e32 v3, 0x58, v21
	v_or_b32_e32 v23, 0x200, v0
	s_delay_alu instid0(VALU_DEP_4) | instskip(NEXT) | instid1(VALU_DEP_4)
	v_dual_add_nc_u32 v6, v2, v20 :: v_dual_add_nc_u32 v26, v1, v20
	v_lshrrev_b32_e32 v1, 2, v24
	ds_store_2addr_b64 v18, v[10:11], v[12:13] offset0:4 offset1:5
	ds_store_2addr_b64 v18, v[14:15], v[16:17] offset0:6 offset1:7
	v_or_b32_e32 v19, 0x280, v0
	v_add_nc_u32_e32 v7, v3, v20
	v_or_b32_e32 v18, 0x300, v0
	v_lshrrev_b32_e32 v3, 2, v23
	v_and_b32_e32 v2, 0x78, v1
	v_or_b32_e32 v1, 0x380, v0
	s_delay_alu instid0(VALU_DEP_4) | instskip(NEXT) | instid1(VALU_DEP_4)
	v_dual_lshrrev_b32 v4, 2, v19 :: v_dual_lshrrev_b32 v5, 2, v18
	v_and_b32_e32 v3, 0x98, v3
	s_delay_alu instid0(VALU_DEP_3)
	v_dual_add_nc_u32 v8, v2, v20 :: v_dual_lshrrev_b32 v2, 2, v1
	v_mov_b32_e32 v21, 0
	s_lshl_b64 s[0:1], s[16:17], 3
	v_and_b32_e32 v4, 0xb8, v4
	v_and_b32_e32 v5, 0xd8, v5
	v_and_b32_e32 v10, 0xf8, v2
	s_add_nc_u64 s[0:1], s[6:7], s[0:1]
	s_delay_alu instid0(VALU_DEP_3) | instskip(SKIP_1) | instid1(VALU_DEP_3)
	v_dual_add_nc_u32 v9, v3, v20 :: v_dual_add_nc_u32 v27, v4, v20
	v_add_nc_u64_e32 v[2:3], s[0:1], v[20:21]
	v_dual_add_nc_u32 v28, v5, v20 :: v_dual_add_nc_u32 v20, v10, v20
	s_and_b32 vcc_lo, exec_lo, s9
	s_wait_dscnt 0x0
	s_cbranch_vccz .LBB1622_127
; %bb.126:
	s_barrier_signal -1
	s_barrier_wait -1
	ds_load_b64 v[10:11], v26
	ds_load_b64 v[12:13], v6 offset:1024
	ds_load_b64 v[14:15], v7 offset:2048
	;; [unrolled: 1-line block ×7, first 2 shown]
	s_mov_b32 s0, -1
	s_wait_dscnt 0x7
	global_store_b64 v[2:3], v[10:11], off
	s_wait_dscnt 0x6
	global_store_b64 v[2:3], v[12:13], off offset:1024
	s_wait_dscnt 0x5
	global_store_b64 v[2:3], v[14:15], off offset:2048
	;; [unrolled: 2-line block ×6, first 2 shown]
	s_cbranch_execz .LBB1622_128
	s_branch .LBB1622_137
.LBB1622_127:
	s_mov_b32 s0, 0
                                        ; implicit-def: $vgpr4_vgpr5
.LBB1622_128:
	s_barrier_signal -1
	s_barrier_wait -1
	s_wait_storecnt_dscnt 0x0
	s_wait_xcnt 0x3
	ds_load_b64 v[16:17], v6 offset:1024
	ds_load_b64 v[14:15], v7 offset:2048
	ds_load_b64 v[12:13], v8 offset:3072
	ds_load_b64 v[10:11], v9 offset:4096
	ds_load_b64 v[8:9], v27 offset:5120
	ds_load_b64 v[6:7], v28 offset:6144
	ds_load_b64 v[4:5], v20 offset:7168
	s_sub_co_i32 s0, s8, s16
	s_mov_b32 s1, exec_lo
	s_wait_xcnt 0x0
	v_cmpx_gt_u32_e64 s0, v0
	s_cbranch_execnz .LBB1622_140
; %bb.129:
	s_or_b32 exec_lo, exec_lo, s1
	s_delay_alu instid0(SALU_CYCLE_1)
	s_mov_b32 s1, exec_lo
	v_cmpx_gt_u32_e64 s0, v25
	s_cbranch_execnz .LBB1622_141
.LBB1622_130:
	s_or_b32 exec_lo, exec_lo, s1
	s_delay_alu instid0(SALU_CYCLE_1)
	s_mov_b32 s1, exec_lo
	v_cmpx_gt_u32_e64 s0, v22
	s_cbranch_execnz .LBB1622_142
.LBB1622_131:
	s_or_b32 exec_lo, exec_lo, s1
	s_delay_alu instid0(SALU_CYCLE_1)
	s_mov_b32 s1, exec_lo
	v_cmpx_gt_u32_e64 s0, v24
	s_cbranch_execnz .LBB1622_143
.LBB1622_132:
	s_or_b32 exec_lo, exec_lo, s1
	s_delay_alu instid0(SALU_CYCLE_1)
	s_mov_b32 s1, exec_lo
	v_cmpx_gt_u32_e64 s0, v23
	s_cbranch_execnz .LBB1622_144
.LBB1622_133:
	s_or_b32 exec_lo, exec_lo, s1
	s_delay_alu instid0(SALU_CYCLE_1)
	s_mov_b32 s1, exec_lo
	v_cmpx_gt_u32_e64 s0, v19
	s_cbranch_execnz .LBB1622_145
.LBB1622_134:
	s_or_b32 exec_lo, exec_lo, s1
	s_delay_alu instid0(SALU_CYCLE_1)
	s_mov_b32 s1, exec_lo
	v_cmpx_gt_u32_e64 s0, v18
	s_cbranch_execz .LBB1622_136
.LBB1622_135:
	s_wait_dscnt 0x1
	global_store_b64 v[2:3], v[6:7], off offset:6144
.LBB1622_136:
	s_wait_xcnt 0x0
	s_or_b32 exec_lo, exec_lo, s1
	v_cmp_gt_u32_e64 s0, s0, v1
.LBB1622_137:
	s_wait_xcnt 0x0
	s_delay_alu instid0(VALU_DEP_1)
	s_and_saveexec_b32 s1, s0
	s_cbranch_execz .LBB1622_139
; %bb.138:
	s_wait_dscnt 0x0
	global_store_b64 v[2:3], v[4:5], off offset:7168
.LBB1622_139:
	s_endpgm
.LBB1622_140:
	ds_load_b64 v[20:21], v26
	s_wait_dscnt 0x0
	global_store_b64 v[2:3], v[20:21], off
	s_wait_xcnt 0x0
	s_or_b32 exec_lo, exec_lo, s1
	s_delay_alu instid0(SALU_CYCLE_1)
	s_mov_b32 s1, exec_lo
	v_cmpx_gt_u32_e64 s0, v25
	s_cbranch_execz .LBB1622_130
.LBB1622_141:
	s_wait_dscnt 0x6
	global_store_b64 v[2:3], v[16:17], off offset:1024
	s_wait_xcnt 0x0
	s_or_b32 exec_lo, exec_lo, s1
	s_delay_alu instid0(SALU_CYCLE_1)
	s_mov_b32 s1, exec_lo
	v_cmpx_gt_u32_e64 s0, v22
	s_cbranch_execz .LBB1622_131
.LBB1622_142:
	s_wait_dscnt 0x5
	global_store_b64 v[2:3], v[14:15], off offset:2048
	s_wait_xcnt 0x0
	s_or_b32 exec_lo, exec_lo, s1
	s_delay_alu instid0(SALU_CYCLE_1)
	s_mov_b32 s1, exec_lo
	v_cmpx_gt_u32_e64 s0, v24
	s_cbranch_execz .LBB1622_132
.LBB1622_143:
	s_wait_dscnt 0x4
	global_store_b64 v[2:3], v[12:13], off offset:3072
	s_wait_xcnt 0x0
	s_or_b32 exec_lo, exec_lo, s1
	s_delay_alu instid0(SALU_CYCLE_1)
	s_mov_b32 s1, exec_lo
	v_cmpx_gt_u32_e64 s0, v23
	s_cbranch_execz .LBB1622_133
.LBB1622_144:
	s_wait_dscnt 0x3
	global_store_b64 v[2:3], v[10:11], off offset:4096
	s_wait_xcnt 0x0
	s_or_b32 exec_lo, exec_lo, s1
	s_delay_alu instid0(SALU_CYCLE_1)
	s_mov_b32 s1, exec_lo
	v_cmpx_gt_u32_e64 s0, v19
	s_cbranch_execz .LBB1622_134
.LBB1622_145:
	s_wait_dscnt 0x2
	global_store_b64 v[2:3], v[8:9], off offset:5120
	s_wait_xcnt 0x0
	s_or_b32 exec_lo, exec_lo, s1
	s_delay_alu instid0(SALU_CYCLE_1)
	s_mov_b32 s1, exec_lo
	v_cmpx_gt_u32_e64 s0, v18
	s_cbranch_execnz .LBB1622_135
	s_branch .LBB1622_136
	.section	.rodata,"a",@progbits
	.p2align	6, 0x0
	.amdhsa_kernel _ZN7rocprim17ROCPRIM_400000_NS6detail17trampoline_kernelINS0_14default_configENS1_38merge_sort_block_merge_config_selectorIlNS0_10empty_typeEEEZZNS1_27merge_sort_block_merge_implIS3_PlPS5_mZN2at6native12_GLOBAL__N_124unique_dim_cuda_templateImEESt5tupleIJNSA_6TensorESF_SF_EERKSF_lbbbEUlllE_EE10hipError_tT0_T1_T2_jT3_P12ihipStream_tbPNSt15iterator_traitsISL_E10value_typeEPNSR_ISM_E10value_typeEPSN_NS1_7vsmem_tEENKUlT_SL_SM_SN_E_clIS8_S8_S9_S9_EESK_S10_SL_SM_SN_EUlS10_E0_NS1_11comp_targetILNS1_3genE0ELNS1_11target_archE4294967295ELNS1_3gpuE0ELNS1_3repE0EEENS1_38merge_mergepath_config_static_selectorELNS0_4arch9wavefront6targetE0EEEvSM_
		.amdhsa_group_segment_fixed_size 8448
		.amdhsa_private_segment_fixed_size 0
		.amdhsa_kernarg_size 344
		.amdhsa_user_sgpr_count 2
		.amdhsa_user_sgpr_dispatch_ptr 0
		.amdhsa_user_sgpr_queue_ptr 0
		.amdhsa_user_sgpr_kernarg_segment_ptr 1
		.amdhsa_user_sgpr_dispatch_id 0
		.amdhsa_user_sgpr_kernarg_preload_length 0
		.amdhsa_user_sgpr_kernarg_preload_offset 0
		.amdhsa_user_sgpr_private_segment_size 0
		.amdhsa_wavefront_size32 1
		.amdhsa_uses_dynamic_stack 0
		.amdhsa_enable_private_segment 0
		.amdhsa_system_sgpr_workgroup_id_x 1
		.amdhsa_system_sgpr_workgroup_id_y 1
		.amdhsa_system_sgpr_workgroup_id_z 1
		.amdhsa_system_sgpr_workgroup_info 0
		.amdhsa_system_vgpr_workitem_id 0
		.amdhsa_next_free_vgpr 42
		.amdhsa_next_free_sgpr 31
		.amdhsa_named_barrier_count 0
		.amdhsa_reserve_vcc 1
		.amdhsa_float_round_mode_32 0
		.amdhsa_float_round_mode_16_64 0
		.amdhsa_float_denorm_mode_32 3
		.amdhsa_float_denorm_mode_16_64 3
		.amdhsa_fp16_overflow 0
		.amdhsa_memory_ordered 1
		.amdhsa_forward_progress 1
		.amdhsa_inst_pref_size 53
		.amdhsa_round_robin_scheduling 0
		.amdhsa_exception_fp_ieee_invalid_op 0
		.amdhsa_exception_fp_denorm_src 0
		.amdhsa_exception_fp_ieee_div_zero 0
		.amdhsa_exception_fp_ieee_overflow 0
		.amdhsa_exception_fp_ieee_underflow 0
		.amdhsa_exception_fp_ieee_inexact 0
		.amdhsa_exception_int_div_zero 0
	.end_amdhsa_kernel
	.section	.text._ZN7rocprim17ROCPRIM_400000_NS6detail17trampoline_kernelINS0_14default_configENS1_38merge_sort_block_merge_config_selectorIlNS0_10empty_typeEEEZZNS1_27merge_sort_block_merge_implIS3_PlPS5_mZN2at6native12_GLOBAL__N_124unique_dim_cuda_templateImEESt5tupleIJNSA_6TensorESF_SF_EERKSF_lbbbEUlllE_EE10hipError_tT0_T1_T2_jT3_P12ihipStream_tbPNSt15iterator_traitsISL_E10value_typeEPNSR_ISM_E10value_typeEPSN_NS1_7vsmem_tEENKUlT_SL_SM_SN_E_clIS8_S8_S9_S9_EESK_S10_SL_SM_SN_EUlS10_E0_NS1_11comp_targetILNS1_3genE0ELNS1_11target_archE4294967295ELNS1_3gpuE0ELNS1_3repE0EEENS1_38merge_mergepath_config_static_selectorELNS0_4arch9wavefront6targetE0EEEvSM_,"axG",@progbits,_ZN7rocprim17ROCPRIM_400000_NS6detail17trampoline_kernelINS0_14default_configENS1_38merge_sort_block_merge_config_selectorIlNS0_10empty_typeEEEZZNS1_27merge_sort_block_merge_implIS3_PlPS5_mZN2at6native12_GLOBAL__N_124unique_dim_cuda_templateImEESt5tupleIJNSA_6TensorESF_SF_EERKSF_lbbbEUlllE_EE10hipError_tT0_T1_T2_jT3_P12ihipStream_tbPNSt15iterator_traitsISL_E10value_typeEPNSR_ISM_E10value_typeEPSN_NS1_7vsmem_tEENKUlT_SL_SM_SN_E_clIS8_S8_S9_S9_EESK_S10_SL_SM_SN_EUlS10_E0_NS1_11comp_targetILNS1_3genE0ELNS1_11target_archE4294967295ELNS1_3gpuE0ELNS1_3repE0EEENS1_38merge_mergepath_config_static_selectorELNS0_4arch9wavefront6targetE0EEEvSM_,comdat
.Lfunc_end1622:
	.size	_ZN7rocprim17ROCPRIM_400000_NS6detail17trampoline_kernelINS0_14default_configENS1_38merge_sort_block_merge_config_selectorIlNS0_10empty_typeEEEZZNS1_27merge_sort_block_merge_implIS3_PlPS5_mZN2at6native12_GLOBAL__N_124unique_dim_cuda_templateImEESt5tupleIJNSA_6TensorESF_SF_EERKSF_lbbbEUlllE_EE10hipError_tT0_T1_T2_jT3_P12ihipStream_tbPNSt15iterator_traitsISL_E10value_typeEPNSR_ISM_E10value_typeEPSN_NS1_7vsmem_tEENKUlT_SL_SM_SN_E_clIS8_S8_S9_S9_EESK_S10_SL_SM_SN_EUlS10_E0_NS1_11comp_targetILNS1_3genE0ELNS1_11target_archE4294967295ELNS1_3gpuE0ELNS1_3repE0EEENS1_38merge_mergepath_config_static_selectorELNS0_4arch9wavefront6targetE0EEEvSM_, .Lfunc_end1622-_ZN7rocprim17ROCPRIM_400000_NS6detail17trampoline_kernelINS0_14default_configENS1_38merge_sort_block_merge_config_selectorIlNS0_10empty_typeEEEZZNS1_27merge_sort_block_merge_implIS3_PlPS5_mZN2at6native12_GLOBAL__N_124unique_dim_cuda_templateImEESt5tupleIJNSA_6TensorESF_SF_EERKSF_lbbbEUlllE_EE10hipError_tT0_T1_T2_jT3_P12ihipStream_tbPNSt15iterator_traitsISL_E10value_typeEPNSR_ISM_E10value_typeEPSN_NS1_7vsmem_tEENKUlT_SL_SM_SN_E_clIS8_S8_S9_S9_EESK_S10_SL_SM_SN_EUlS10_E0_NS1_11comp_targetILNS1_3genE0ELNS1_11target_archE4294967295ELNS1_3gpuE0ELNS1_3repE0EEENS1_38merge_mergepath_config_static_selectorELNS0_4arch9wavefront6targetE0EEEvSM_
                                        ; -- End function
	.set _ZN7rocprim17ROCPRIM_400000_NS6detail17trampoline_kernelINS0_14default_configENS1_38merge_sort_block_merge_config_selectorIlNS0_10empty_typeEEEZZNS1_27merge_sort_block_merge_implIS3_PlPS5_mZN2at6native12_GLOBAL__N_124unique_dim_cuda_templateImEESt5tupleIJNSA_6TensorESF_SF_EERKSF_lbbbEUlllE_EE10hipError_tT0_T1_T2_jT3_P12ihipStream_tbPNSt15iterator_traitsISL_E10value_typeEPNSR_ISM_E10value_typeEPSN_NS1_7vsmem_tEENKUlT_SL_SM_SN_E_clIS8_S8_S9_S9_EESK_S10_SL_SM_SN_EUlS10_E0_NS1_11comp_targetILNS1_3genE0ELNS1_11target_archE4294967295ELNS1_3gpuE0ELNS1_3repE0EEENS1_38merge_mergepath_config_static_selectorELNS0_4arch9wavefront6targetE0EEEvSM_.num_vgpr, 42
	.set _ZN7rocprim17ROCPRIM_400000_NS6detail17trampoline_kernelINS0_14default_configENS1_38merge_sort_block_merge_config_selectorIlNS0_10empty_typeEEEZZNS1_27merge_sort_block_merge_implIS3_PlPS5_mZN2at6native12_GLOBAL__N_124unique_dim_cuda_templateImEESt5tupleIJNSA_6TensorESF_SF_EERKSF_lbbbEUlllE_EE10hipError_tT0_T1_T2_jT3_P12ihipStream_tbPNSt15iterator_traitsISL_E10value_typeEPNSR_ISM_E10value_typeEPSN_NS1_7vsmem_tEENKUlT_SL_SM_SN_E_clIS8_S8_S9_S9_EESK_S10_SL_SM_SN_EUlS10_E0_NS1_11comp_targetILNS1_3genE0ELNS1_11target_archE4294967295ELNS1_3gpuE0ELNS1_3repE0EEENS1_38merge_mergepath_config_static_selectorELNS0_4arch9wavefront6targetE0EEEvSM_.num_agpr, 0
	.set _ZN7rocprim17ROCPRIM_400000_NS6detail17trampoline_kernelINS0_14default_configENS1_38merge_sort_block_merge_config_selectorIlNS0_10empty_typeEEEZZNS1_27merge_sort_block_merge_implIS3_PlPS5_mZN2at6native12_GLOBAL__N_124unique_dim_cuda_templateImEESt5tupleIJNSA_6TensorESF_SF_EERKSF_lbbbEUlllE_EE10hipError_tT0_T1_T2_jT3_P12ihipStream_tbPNSt15iterator_traitsISL_E10value_typeEPNSR_ISM_E10value_typeEPSN_NS1_7vsmem_tEENKUlT_SL_SM_SN_E_clIS8_S8_S9_S9_EESK_S10_SL_SM_SN_EUlS10_E0_NS1_11comp_targetILNS1_3genE0ELNS1_11target_archE4294967295ELNS1_3gpuE0ELNS1_3repE0EEENS1_38merge_mergepath_config_static_selectorELNS0_4arch9wavefront6targetE0EEEvSM_.numbered_sgpr, 31
	.set _ZN7rocprim17ROCPRIM_400000_NS6detail17trampoline_kernelINS0_14default_configENS1_38merge_sort_block_merge_config_selectorIlNS0_10empty_typeEEEZZNS1_27merge_sort_block_merge_implIS3_PlPS5_mZN2at6native12_GLOBAL__N_124unique_dim_cuda_templateImEESt5tupleIJNSA_6TensorESF_SF_EERKSF_lbbbEUlllE_EE10hipError_tT0_T1_T2_jT3_P12ihipStream_tbPNSt15iterator_traitsISL_E10value_typeEPNSR_ISM_E10value_typeEPSN_NS1_7vsmem_tEENKUlT_SL_SM_SN_E_clIS8_S8_S9_S9_EESK_S10_SL_SM_SN_EUlS10_E0_NS1_11comp_targetILNS1_3genE0ELNS1_11target_archE4294967295ELNS1_3gpuE0ELNS1_3repE0EEENS1_38merge_mergepath_config_static_selectorELNS0_4arch9wavefront6targetE0EEEvSM_.num_named_barrier, 0
	.set _ZN7rocprim17ROCPRIM_400000_NS6detail17trampoline_kernelINS0_14default_configENS1_38merge_sort_block_merge_config_selectorIlNS0_10empty_typeEEEZZNS1_27merge_sort_block_merge_implIS3_PlPS5_mZN2at6native12_GLOBAL__N_124unique_dim_cuda_templateImEESt5tupleIJNSA_6TensorESF_SF_EERKSF_lbbbEUlllE_EE10hipError_tT0_T1_T2_jT3_P12ihipStream_tbPNSt15iterator_traitsISL_E10value_typeEPNSR_ISM_E10value_typeEPSN_NS1_7vsmem_tEENKUlT_SL_SM_SN_E_clIS8_S8_S9_S9_EESK_S10_SL_SM_SN_EUlS10_E0_NS1_11comp_targetILNS1_3genE0ELNS1_11target_archE4294967295ELNS1_3gpuE0ELNS1_3repE0EEENS1_38merge_mergepath_config_static_selectorELNS0_4arch9wavefront6targetE0EEEvSM_.private_seg_size, 0
	.set _ZN7rocprim17ROCPRIM_400000_NS6detail17trampoline_kernelINS0_14default_configENS1_38merge_sort_block_merge_config_selectorIlNS0_10empty_typeEEEZZNS1_27merge_sort_block_merge_implIS3_PlPS5_mZN2at6native12_GLOBAL__N_124unique_dim_cuda_templateImEESt5tupleIJNSA_6TensorESF_SF_EERKSF_lbbbEUlllE_EE10hipError_tT0_T1_T2_jT3_P12ihipStream_tbPNSt15iterator_traitsISL_E10value_typeEPNSR_ISM_E10value_typeEPSN_NS1_7vsmem_tEENKUlT_SL_SM_SN_E_clIS8_S8_S9_S9_EESK_S10_SL_SM_SN_EUlS10_E0_NS1_11comp_targetILNS1_3genE0ELNS1_11target_archE4294967295ELNS1_3gpuE0ELNS1_3repE0EEENS1_38merge_mergepath_config_static_selectorELNS0_4arch9wavefront6targetE0EEEvSM_.uses_vcc, 1
	.set _ZN7rocprim17ROCPRIM_400000_NS6detail17trampoline_kernelINS0_14default_configENS1_38merge_sort_block_merge_config_selectorIlNS0_10empty_typeEEEZZNS1_27merge_sort_block_merge_implIS3_PlPS5_mZN2at6native12_GLOBAL__N_124unique_dim_cuda_templateImEESt5tupleIJNSA_6TensorESF_SF_EERKSF_lbbbEUlllE_EE10hipError_tT0_T1_T2_jT3_P12ihipStream_tbPNSt15iterator_traitsISL_E10value_typeEPNSR_ISM_E10value_typeEPSN_NS1_7vsmem_tEENKUlT_SL_SM_SN_E_clIS8_S8_S9_S9_EESK_S10_SL_SM_SN_EUlS10_E0_NS1_11comp_targetILNS1_3genE0ELNS1_11target_archE4294967295ELNS1_3gpuE0ELNS1_3repE0EEENS1_38merge_mergepath_config_static_selectorELNS0_4arch9wavefront6targetE0EEEvSM_.uses_flat_scratch, 0
	.set _ZN7rocprim17ROCPRIM_400000_NS6detail17trampoline_kernelINS0_14default_configENS1_38merge_sort_block_merge_config_selectorIlNS0_10empty_typeEEEZZNS1_27merge_sort_block_merge_implIS3_PlPS5_mZN2at6native12_GLOBAL__N_124unique_dim_cuda_templateImEESt5tupleIJNSA_6TensorESF_SF_EERKSF_lbbbEUlllE_EE10hipError_tT0_T1_T2_jT3_P12ihipStream_tbPNSt15iterator_traitsISL_E10value_typeEPNSR_ISM_E10value_typeEPSN_NS1_7vsmem_tEENKUlT_SL_SM_SN_E_clIS8_S8_S9_S9_EESK_S10_SL_SM_SN_EUlS10_E0_NS1_11comp_targetILNS1_3genE0ELNS1_11target_archE4294967295ELNS1_3gpuE0ELNS1_3repE0EEENS1_38merge_mergepath_config_static_selectorELNS0_4arch9wavefront6targetE0EEEvSM_.has_dyn_sized_stack, 0
	.set _ZN7rocprim17ROCPRIM_400000_NS6detail17trampoline_kernelINS0_14default_configENS1_38merge_sort_block_merge_config_selectorIlNS0_10empty_typeEEEZZNS1_27merge_sort_block_merge_implIS3_PlPS5_mZN2at6native12_GLOBAL__N_124unique_dim_cuda_templateImEESt5tupleIJNSA_6TensorESF_SF_EERKSF_lbbbEUlllE_EE10hipError_tT0_T1_T2_jT3_P12ihipStream_tbPNSt15iterator_traitsISL_E10value_typeEPNSR_ISM_E10value_typeEPSN_NS1_7vsmem_tEENKUlT_SL_SM_SN_E_clIS8_S8_S9_S9_EESK_S10_SL_SM_SN_EUlS10_E0_NS1_11comp_targetILNS1_3genE0ELNS1_11target_archE4294967295ELNS1_3gpuE0ELNS1_3repE0EEENS1_38merge_mergepath_config_static_selectorELNS0_4arch9wavefront6targetE0EEEvSM_.has_recursion, 0
	.set _ZN7rocprim17ROCPRIM_400000_NS6detail17trampoline_kernelINS0_14default_configENS1_38merge_sort_block_merge_config_selectorIlNS0_10empty_typeEEEZZNS1_27merge_sort_block_merge_implIS3_PlPS5_mZN2at6native12_GLOBAL__N_124unique_dim_cuda_templateImEESt5tupleIJNSA_6TensorESF_SF_EERKSF_lbbbEUlllE_EE10hipError_tT0_T1_T2_jT3_P12ihipStream_tbPNSt15iterator_traitsISL_E10value_typeEPNSR_ISM_E10value_typeEPSN_NS1_7vsmem_tEENKUlT_SL_SM_SN_E_clIS8_S8_S9_S9_EESK_S10_SL_SM_SN_EUlS10_E0_NS1_11comp_targetILNS1_3genE0ELNS1_11target_archE4294967295ELNS1_3gpuE0ELNS1_3repE0EEENS1_38merge_mergepath_config_static_selectorELNS0_4arch9wavefront6targetE0EEEvSM_.has_indirect_call, 0
	.section	.AMDGPU.csdata,"",@progbits
; Kernel info:
; codeLenInByte = 6748
; TotalNumSgprs: 33
; NumVgprs: 42
; ScratchSize: 0
; MemoryBound: 0
; FloatMode: 240
; IeeeMode: 1
; LDSByteSize: 8448 bytes/workgroup (compile time only)
; SGPRBlocks: 0
; VGPRBlocks: 2
; NumSGPRsForWavesPerEU: 33
; NumVGPRsForWavesPerEU: 42
; NamedBarCnt: 0
; Occupancy: 16
; WaveLimiterHint : 1
; COMPUTE_PGM_RSRC2:SCRATCH_EN: 0
; COMPUTE_PGM_RSRC2:USER_SGPR: 2
; COMPUTE_PGM_RSRC2:TRAP_HANDLER: 0
; COMPUTE_PGM_RSRC2:TGID_X_EN: 1
; COMPUTE_PGM_RSRC2:TGID_Y_EN: 1
; COMPUTE_PGM_RSRC2:TGID_Z_EN: 1
; COMPUTE_PGM_RSRC2:TIDIG_COMP_CNT: 0
	.section	.text._ZN7rocprim17ROCPRIM_400000_NS6detail17trampoline_kernelINS0_14default_configENS1_38merge_sort_block_merge_config_selectorIlNS0_10empty_typeEEEZZNS1_27merge_sort_block_merge_implIS3_PlPS5_mZN2at6native12_GLOBAL__N_124unique_dim_cuda_templateImEESt5tupleIJNSA_6TensorESF_SF_EERKSF_lbbbEUlllE_EE10hipError_tT0_T1_T2_jT3_P12ihipStream_tbPNSt15iterator_traitsISL_E10value_typeEPNSR_ISM_E10value_typeEPSN_NS1_7vsmem_tEENKUlT_SL_SM_SN_E_clIS8_S8_S9_S9_EESK_S10_SL_SM_SN_EUlS10_E0_NS1_11comp_targetILNS1_3genE10ELNS1_11target_archE1201ELNS1_3gpuE5ELNS1_3repE0EEENS1_38merge_mergepath_config_static_selectorELNS0_4arch9wavefront6targetE0EEEvSM_,"axG",@progbits,_ZN7rocprim17ROCPRIM_400000_NS6detail17trampoline_kernelINS0_14default_configENS1_38merge_sort_block_merge_config_selectorIlNS0_10empty_typeEEEZZNS1_27merge_sort_block_merge_implIS3_PlPS5_mZN2at6native12_GLOBAL__N_124unique_dim_cuda_templateImEESt5tupleIJNSA_6TensorESF_SF_EERKSF_lbbbEUlllE_EE10hipError_tT0_T1_T2_jT3_P12ihipStream_tbPNSt15iterator_traitsISL_E10value_typeEPNSR_ISM_E10value_typeEPSN_NS1_7vsmem_tEENKUlT_SL_SM_SN_E_clIS8_S8_S9_S9_EESK_S10_SL_SM_SN_EUlS10_E0_NS1_11comp_targetILNS1_3genE10ELNS1_11target_archE1201ELNS1_3gpuE5ELNS1_3repE0EEENS1_38merge_mergepath_config_static_selectorELNS0_4arch9wavefront6targetE0EEEvSM_,comdat
	.globl	_ZN7rocprim17ROCPRIM_400000_NS6detail17trampoline_kernelINS0_14default_configENS1_38merge_sort_block_merge_config_selectorIlNS0_10empty_typeEEEZZNS1_27merge_sort_block_merge_implIS3_PlPS5_mZN2at6native12_GLOBAL__N_124unique_dim_cuda_templateImEESt5tupleIJNSA_6TensorESF_SF_EERKSF_lbbbEUlllE_EE10hipError_tT0_T1_T2_jT3_P12ihipStream_tbPNSt15iterator_traitsISL_E10value_typeEPNSR_ISM_E10value_typeEPSN_NS1_7vsmem_tEENKUlT_SL_SM_SN_E_clIS8_S8_S9_S9_EESK_S10_SL_SM_SN_EUlS10_E0_NS1_11comp_targetILNS1_3genE10ELNS1_11target_archE1201ELNS1_3gpuE5ELNS1_3repE0EEENS1_38merge_mergepath_config_static_selectorELNS0_4arch9wavefront6targetE0EEEvSM_ ; -- Begin function _ZN7rocprim17ROCPRIM_400000_NS6detail17trampoline_kernelINS0_14default_configENS1_38merge_sort_block_merge_config_selectorIlNS0_10empty_typeEEEZZNS1_27merge_sort_block_merge_implIS3_PlPS5_mZN2at6native12_GLOBAL__N_124unique_dim_cuda_templateImEESt5tupleIJNSA_6TensorESF_SF_EERKSF_lbbbEUlllE_EE10hipError_tT0_T1_T2_jT3_P12ihipStream_tbPNSt15iterator_traitsISL_E10value_typeEPNSR_ISM_E10value_typeEPSN_NS1_7vsmem_tEENKUlT_SL_SM_SN_E_clIS8_S8_S9_S9_EESK_S10_SL_SM_SN_EUlS10_E0_NS1_11comp_targetILNS1_3genE10ELNS1_11target_archE1201ELNS1_3gpuE5ELNS1_3repE0EEENS1_38merge_mergepath_config_static_selectorELNS0_4arch9wavefront6targetE0EEEvSM_
	.p2align	8
	.type	_ZN7rocprim17ROCPRIM_400000_NS6detail17trampoline_kernelINS0_14default_configENS1_38merge_sort_block_merge_config_selectorIlNS0_10empty_typeEEEZZNS1_27merge_sort_block_merge_implIS3_PlPS5_mZN2at6native12_GLOBAL__N_124unique_dim_cuda_templateImEESt5tupleIJNSA_6TensorESF_SF_EERKSF_lbbbEUlllE_EE10hipError_tT0_T1_T2_jT3_P12ihipStream_tbPNSt15iterator_traitsISL_E10value_typeEPNSR_ISM_E10value_typeEPSN_NS1_7vsmem_tEENKUlT_SL_SM_SN_E_clIS8_S8_S9_S9_EESK_S10_SL_SM_SN_EUlS10_E0_NS1_11comp_targetILNS1_3genE10ELNS1_11target_archE1201ELNS1_3gpuE5ELNS1_3repE0EEENS1_38merge_mergepath_config_static_selectorELNS0_4arch9wavefront6targetE0EEEvSM_,@function
_ZN7rocprim17ROCPRIM_400000_NS6detail17trampoline_kernelINS0_14default_configENS1_38merge_sort_block_merge_config_selectorIlNS0_10empty_typeEEEZZNS1_27merge_sort_block_merge_implIS3_PlPS5_mZN2at6native12_GLOBAL__N_124unique_dim_cuda_templateImEESt5tupleIJNSA_6TensorESF_SF_EERKSF_lbbbEUlllE_EE10hipError_tT0_T1_T2_jT3_P12ihipStream_tbPNSt15iterator_traitsISL_E10value_typeEPNSR_ISM_E10value_typeEPSN_NS1_7vsmem_tEENKUlT_SL_SM_SN_E_clIS8_S8_S9_S9_EESK_S10_SL_SM_SN_EUlS10_E0_NS1_11comp_targetILNS1_3genE10ELNS1_11target_archE1201ELNS1_3gpuE5ELNS1_3repE0EEENS1_38merge_mergepath_config_static_selectorELNS0_4arch9wavefront6targetE0EEEvSM_: ; @_ZN7rocprim17ROCPRIM_400000_NS6detail17trampoline_kernelINS0_14default_configENS1_38merge_sort_block_merge_config_selectorIlNS0_10empty_typeEEEZZNS1_27merge_sort_block_merge_implIS3_PlPS5_mZN2at6native12_GLOBAL__N_124unique_dim_cuda_templateImEESt5tupleIJNSA_6TensorESF_SF_EERKSF_lbbbEUlllE_EE10hipError_tT0_T1_T2_jT3_P12ihipStream_tbPNSt15iterator_traitsISL_E10value_typeEPNSR_ISM_E10value_typeEPSN_NS1_7vsmem_tEENKUlT_SL_SM_SN_E_clIS8_S8_S9_S9_EESK_S10_SL_SM_SN_EUlS10_E0_NS1_11comp_targetILNS1_3genE10ELNS1_11target_archE1201ELNS1_3gpuE5ELNS1_3repE0EEENS1_38merge_mergepath_config_static_selectorELNS0_4arch9wavefront6targetE0EEEvSM_
; %bb.0:
	.section	.rodata,"a",@progbits
	.p2align	6, 0x0
	.amdhsa_kernel _ZN7rocprim17ROCPRIM_400000_NS6detail17trampoline_kernelINS0_14default_configENS1_38merge_sort_block_merge_config_selectorIlNS0_10empty_typeEEEZZNS1_27merge_sort_block_merge_implIS3_PlPS5_mZN2at6native12_GLOBAL__N_124unique_dim_cuda_templateImEESt5tupleIJNSA_6TensorESF_SF_EERKSF_lbbbEUlllE_EE10hipError_tT0_T1_T2_jT3_P12ihipStream_tbPNSt15iterator_traitsISL_E10value_typeEPNSR_ISM_E10value_typeEPSN_NS1_7vsmem_tEENKUlT_SL_SM_SN_E_clIS8_S8_S9_S9_EESK_S10_SL_SM_SN_EUlS10_E0_NS1_11comp_targetILNS1_3genE10ELNS1_11target_archE1201ELNS1_3gpuE5ELNS1_3repE0EEENS1_38merge_mergepath_config_static_selectorELNS0_4arch9wavefront6targetE0EEEvSM_
		.amdhsa_group_segment_fixed_size 0
		.amdhsa_private_segment_fixed_size 0
		.amdhsa_kernarg_size 88
		.amdhsa_user_sgpr_count 2
		.amdhsa_user_sgpr_dispatch_ptr 0
		.amdhsa_user_sgpr_queue_ptr 0
		.amdhsa_user_sgpr_kernarg_segment_ptr 1
		.amdhsa_user_sgpr_dispatch_id 0
		.amdhsa_user_sgpr_kernarg_preload_length 0
		.amdhsa_user_sgpr_kernarg_preload_offset 0
		.amdhsa_user_sgpr_private_segment_size 0
		.amdhsa_wavefront_size32 1
		.amdhsa_uses_dynamic_stack 0
		.amdhsa_enable_private_segment 0
		.amdhsa_system_sgpr_workgroup_id_x 1
		.amdhsa_system_sgpr_workgroup_id_y 0
		.amdhsa_system_sgpr_workgroup_id_z 0
		.amdhsa_system_sgpr_workgroup_info 0
		.amdhsa_system_vgpr_workitem_id 0
		.amdhsa_next_free_vgpr 1
		.amdhsa_next_free_sgpr 1
		.amdhsa_named_barrier_count 0
		.amdhsa_reserve_vcc 0
		.amdhsa_float_round_mode_32 0
		.amdhsa_float_round_mode_16_64 0
		.amdhsa_float_denorm_mode_32 3
		.amdhsa_float_denorm_mode_16_64 3
		.amdhsa_fp16_overflow 0
		.amdhsa_memory_ordered 1
		.amdhsa_forward_progress 1
		.amdhsa_inst_pref_size 0
		.amdhsa_round_robin_scheduling 0
		.amdhsa_exception_fp_ieee_invalid_op 0
		.amdhsa_exception_fp_denorm_src 0
		.amdhsa_exception_fp_ieee_div_zero 0
		.amdhsa_exception_fp_ieee_overflow 0
		.amdhsa_exception_fp_ieee_underflow 0
		.amdhsa_exception_fp_ieee_inexact 0
		.amdhsa_exception_int_div_zero 0
	.end_amdhsa_kernel
	.section	.text._ZN7rocprim17ROCPRIM_400000_NS6detail17trampoline_kernelINS0_14default_configENS1_38merge_sort_block_merge_config_selectorIlNS0_10empty_typeEEEZZNS1_27merge_sort_block_merge_implIS3_PlPS5_mZN2at6native12_GLOBAL__N_124unique_dim_cuda_templateImEESt5tupleIJNSA_6TensorESF_SF_EERKSF_lbbbEUlllE_EE10hipError_tT0_T1_T2_jT3_P12ihipStream_tbPNSt15iterator_traitsISL_E10value_typeEPNSR_ISM_E10value_typeEPSN_NS1_7vsmem_tEENKUlT_SL_SM_SN_E_clIS8_S8_S9_S9_EESK_S10_SL_SM_SN_EUlS10_E0_NS1_11comp_targetILNS1_3genE10ELNS1_11target_archE1201ELNS1_3gpuE5ELNS1_3repE0EEENS1_38merge_mergepath_config_static_selectorELNS0_4arch9wavefront6targetE0EEEvSM_,"axG",@progbits,_ZN7rocprim17ROCPRIM_400000_NS6detail17trampoline_kernelINS0_14default_configENS1_38merge_sort_block_merge_config_selectorIlNS0_10empty_typeEEEZZNS1_27merge_sort_block_merge_implIS3_PlPS5_mZN2at6native12_GLOBAL__N_124unique_dim_cuda_templateImEESt5tupleIJNSA_6TensorESF_SF_EERKSF_lbbbEUlllE_EE10hipError_tT0_T1_T2_jT3_P12ihipStream_tbPNSt15iterator_traitsISL_E10value_typeEPNSR_ISM_E10value_typeEPSN_NS1_7vsmem_tEENKUlT_SL_SM_SN_E_clIS8_S8_S9_S9_EESK_S10_SL_SM_SN_EUlS10_E0_NS1_11comp_targetILNS1_3genE10ELNS1_11target_archE1201ELNS1_3gpuE5ELNS1_3repE0EEENS1_38merge_mergepath_config_static_selectorELNS0_4arch9wavefront6targetE0EEEvSM_,comdat
.Lfunc_end1623:
	.size	_ZN7rocprim17ROCPRIM_400000_NS6detail17trampoline_kernelINS0_14default_configENS1_38merge_sort_block_merge_config_selectorIlNS0_10empty_typeEEEZZNS1_27merge_sort_block_merge_implIS3_PlPS5_mZN2at6native12_GLOBAL__N_124unique_dim_cuda_templateImEESt5tupleIJNSA_6TensorESF_SF_EERKSF_lbbbEUlllE_EE10hipError_tT0_T1_T2_jT3_P12ihipStream_tbPNSt15iterator_traitsISL_E10value_typeEPNSR_ISM_E10value_typeEPSN_NS1_7vsmem_tEENKUlT_SL_SM_SN_E_clIS8_S8_S9_S9_EESK_S10_SL_SM_SN_EUlS10_E0_NS1_11comp_targetILNS1_3genE10ELNS1_11target_archE1201ELNS1_3gpuE5ELNS1_3repE0EEENS1_38merge_mergepath_config_static_selectorELNS0_4arch9wavefront6targetE0EEEvSM_, .Lfunc_end1623-_ZN7rocprim17ROCPRIM_400000_NS6detail17trampoline_kernelINS0_14default_configENS1_38merge_sort_block_merge_config_selectorIlNS0_10empty_typeEEEZZNS1_27merge_sort_block_merge_implIS3_PlPS5_mZN2at6native12_GLOBAL__N_124unique_dim_cuda_templateImEESt5tupleIJNSA_6TensorESF_SF_EERKSF_lbbbEUlllE_EE10hipError_tT0_T1_T2_jT3_P12ihipStream_tbPNSt15iterator_traitsISL_E10value_typeEPNSR_ISM_E10value_typeEPSN_NS1_7vsmem_tEENKUlT_SL_SM_SN_E_clIS8_S8_S9_S9_EESK_S10_SL_SM_SN_EUlS10_E0_NS1_11comp_targetILNS1_3genE10ELNS1_11target_archE1201ELNS1_3gpuE5ELNS1_3repE0EEENS1_38merge_mergepath_config_static_selectorELNS0_4arch9wavefront6targetE0EEEvSM_
                                        ; -- End function
	.set _ZN7rocprim17ROCPRIM_400000_NS6detail17trampoline_kernelINS0_14default_configENS1_38merge_sort_block_merge_config_selectorIlNS0_10empty_typeEEEZZNS1_27merge_sort_block_merge_implIS3_PlPS5_mZN2at6native12_GLOBAL__N_124unique_dim_cuda_templateImEESt5tupleIJNSA_6TensorESF_SF_EERKSF_lbbbEUlllE_EE10hipError_tT0_T1_T2_jT3_P12ihipStream_tbPNSt15iterator_traitsISL_E10value_typeEPNSR_ISM_E10value_typeEPSN_NS1_7vsmem_tEENKUlT_SL_SM_SN_E_clIS8_S8_S9_S9_EESK_S10_SL_SM_SN_EUlS10_E0_NS1_11comp_targetILNS1_3genE10ELNS1_11target_archE1201ELNS1_3gpuE5ELNS1_3repE0EEENS1_38merge_mergepath_config_static_selectorELNS0_4arch9wavefront6targetE0EEEvSM_.num_vgpr, 0
	.set _ZN7rocprim17ROCPRIM_400000_NS6detail17trampoline_kernelINS0_14default_configENS1_38merge_sort_block_merge_config_selectorIlNS0_10empty_typeEEEZZNS1_27merge_sort_block_merge_implIS3_PlPS5_mZN2at6native12_GLOBAL__N_124unique_dim_cuda_templateImEESt5tupleIJNSA_6TensorESF_SF_EERKSF_lbbbEUlllE_EE10hipError_tT0_T1_T2_jT3_P12ihipStream_tbPNSt15iterator_traitsISL_E10value_typeEPNSR_ISM_E10value_typeEPSN_NS1_7vsmem_tEENKUlT_SL_SM_SN_E_clIS8_S8_S9_S9_EESK_S10_SL_SM_SN_EUlS10_E0_NS1_11comp_targetILNS1_3genE10ELNS1_11target_archE1201ELNS1_3gpuE5ELNS1_3repE0EEENS1_38merge_mergepath_config_static_selectorELNS0_4arch9wavefront6targetE0EEEvSM_.num_agpr, 0
	.set _ZN7rocprim17ROCPRIM_400000_NS6detail17trampoline_kernelINS0_14default_configENS1_38merge_sort_block_merge_config_selectorIlNS0_10empty_typeEEEZZNS1_27merge_sort_block_merge_implIS3_PlPS5_mZN2at6native12_GLOBAL__N_124unique_dim_cuda_templateImEESt5tupleIJNSA_6TensorESF_SF_EERKSF_lbbbEUlllE_EE10hipError_tT0_T1_T2_jT3_P12ihipStream_tbPNSt15iterator_traitsISL_E10value_typeEPNSR_ISM_E10value_typeEPSN_NS1_7vsmem_tEENKUlT_SL_SM_SN_E_clIS8_S8_S9_S9_EESK_S10_SL_SM_SN_EUlS10_E0_NS1_11comp_targetILNS1_3genE10ELNS1_11target_archE1201ELNS1_3gpuE5ELNS1_3repE0EEENS1_38merge_mergepath_config_static_selectorELNS0_4arch9wavefront6targetE0EEEvSM_.numbered_sgpr, 0
	.set _ZN7rocprim17ROCPRIM_400000_NS6detail17trampoline_kernelINS0_14default_configENS1_38merge_sort_block_merge_config_selectorIlNS0_10empty_typeEEEZZNS1_27merge_sort_block_merge_implIS3_PlPS5_mZN2at6native12_GLOBAL__N_124unique_dim_cuda_templateImEESt5tupleIJNSA_6TensorESF_SF_EERKSF_lbbbEUlllE_EE10hipError_tT0_T1_T2_jT3_P12ihipStream_tbPNSt15iterator_traitsISL_E10value_typeEPNSR_ISM_E10value_typeEPSN_NS1_7vsmem_tEENKUlT_SL_SM_SN_E_clIS8_S8_S9_S9_EESK_S10_SL_SM_SN_EUlS10_E0_NS1_11comp_targetILNS1_3genE10ELNS1_11target_archE1201ELNS1_3gpuE5ELNS1_3repE0EEENS1_38merge_mergepath_config_static_selectorELNS0_4arch9wavefront6targetE0EEEvSM_.num_named_barrier, 0
	.set _ZN7rocprim17ROCPRIM_400000_NS6detail17trampoline_kernelINS0_14default_configENS1_38merge_sort_block_merge_config_selectorIlNS0_10empty_typeEEEZZNS1_27merge_sort_block_merge_implIS3_PlPS5_mZN2at6native12_GLOBAL__N_124unique_dim_cuda_templateImEESt5tupleIJNSA_6TensorESF_SF_EERKSF_lbbbEUlllE_EE10hipError_tT0_T1_T2_jT3_P12ihipStream_tbPNSt15iterator_traitsISL_E10value_typeEPNSR_ISM_E10value_typeEPSN_NS1_7vsmem_tEENKUlT_SL_SM_SN_E_clIS8_S8_S9_S9_EESK_S10_SL_SM_SN_EUlS10_E0_NS1_11comp_targetILNS1_3genE10ELNS1_11target_archE1201ELNS1_3gpuE5ELNS1_3repE0EEENS1_38merge_mergepath_config_static_selectorELNS0_4arch9wavefront6targetE0EEEvSM_.private_seg_size, 0
	.set _ZN7rocprim17ROCPRIM_400000_NS6detail17trampoline_kernelINS0_14default_configENS1_38merge_sort_block_merge_config_selectorIlNS0_10empty_typeEEEZZNS1_27merge_sort_block_merge_implIS3_PlPS5_mZN2at6native12_GLOBAL__N_124unique_dim_cuda_templateImEESt5tupleIJNSA_6TensorESF_SF_EERKSF_lbbbEUlllE_EE10hipError_tT0_T1_T2_jT3_P12ihipStream_tbPNSt15iterator_traitsISL_E10value_typeEPNSR_ISM_E10value_typeEPSN_NS1_7vsmem_tEENKUlT_SL_SM_SN_E_clIS8_S8_S9_S9_EESK_S10_SL_SM_SN_EUlS10_E0_NS1_11comp_targetILNS1_3genE10ELNS1_11target_archE1201ELNS1_3gpuE5ELNS1_3repE0EEENS1_38merge_mergepath_config_static_selectorELNS0_4arch9wavefront6targetE0EEEvSM_.uses_vcc, 0
	.set _ZN7rocprim17ROCPRIM_400000_NS6detail17trampoline_kernelINS0_14default_configENS1_38merge_sort_block_merge_config_selectorIlNS0_10empty_typeEEEZZNS1_27merge_sort_block_merge_implIS3_PlPS5_mZN2at6native12_GLOBAL__N_124unique_dim_cuda_templateImEESt5tupleIJNSA_6TensorESF_SF_EERKSF_lbbbEUlllE_EE10hipError_tT0_T1_T2_jT3_P12ihipStream_tbPNSt15iterator_traitsISL_E10value_typeEPNSR_ISM_E10value_typeEPSN_NS1_7vsmem_tEENKUlT_SL_SM_SN_E_clIS8_S8_S9_S9_EESK_S10_SL_SM_SN_EUlS10_E0_NS1_11comp_targetILNS1_3genE10ELNS1_11target_archE1201ELNS1_3gpuE5ELNS1_3repE0EEENS1_38merge_mergepath_config_static_selectorELNS0_4arch9wavefront6targetE0EEEvSM_.uses_flat_scratch, 0
	.set _ZN7rocprim17ROCPRIM_400000_NS6detail17trampoline_kernelINS0_14default_configENS1_38merge_sort_block_merge_config_selectorIlNS0_10empty_typeEEEZZNS1_27merge_sort_block_merge_implIS3_PlPS5_mZN2at6native12_GLOBAL__N_124unique_dim_cuda_templateImEESt5tupleIJNSA_6TensorESF_SF_EERKSF_lbbbEUlllE_EE10hipError_tT0_T1_T2_jT3_P12ihipStream_tbPNSt15iterator_traitsISL_E10value_typeEPNSR_ISM_E10value_typeEPSN_NS1_7vsmem_tEENKUlT_SL_SM_SN_E_clIS8_S8_S9_S9_EESK_S10_SL_SM_SN_EUlS10_E0_NS1_11comp_targetILNS1_3genE10ELNS1_11target_archE1201ELNS1_3gpuE5ELNS1_3repE0EEENS1_38merge_mergepath_config_static_selectorELNS0_4arch9wavefront6targetE0EEEvSM_.has_dyn_sized_stack, 0
	.set _ZN7rocprim17ROCPRIM_400000_NS6detail17trampoline_kernelINS0_14default_configENS1_38merge_sort_block_merge_config_selectorIlNS0_10empty_typeEEEZZNS1_27merge_sort_block_merge_implIS3_PlPS5_mZN2at6native12_GLOBAL__N_124unique_dim_cuda_templateImEESt5tupleIJNSA_6TensorESF_SF_EERKSF_lbbbEUlllE_EE10hipError_tT0_T1_T2_jT3_P12ihipStream_tbPNSt15iterator_traitsISL_E10value_typeEPNSR_ISM_E10value_typeEPSN_NS1_7vsmem_tEENKUlT_SL_SM_SN_E_clIS8_S8_S9_S9_EESK_S10_SL_SM_SN_EUlS10_E0_NS1_11comp_targetILNS1_3genE10ELNS1_11target_archE1201ELNS1_3gpuE5ELNS1_3repE0EEENS1_38merge_mergepath_config_static_selectorELNS0_4arch9wavefront6targetE0EEEvSM_.has_recursion, 0
	.set _ZN7rocprim17ROCPRIM_400000_NS6detail17trampoline_kernelINS0_14default_configENS1_38merge_sort_block_merge_config_selectorIlNS0_10empty_typeEEEZZNS1_27merge_sort_block_merge_implIS3_PlPS5_mZN2at6native12_GLOBAL__N_124unique_dim_cuda_templateImEESt5tupleIJNSA_6TensorESF_SF_EERKSF_lbbbEUlllE_EE10hipError_tT0_T1_T2_jT3_P12ihipStream_tbPNSt15iterator_traitsISL_E10value_typeEPNSR_ISM_E10value_typeEPSN_NS1_7vsmem_tEENKUlT_SL_SM_SN_E_clIS8_S8_S9_S9_EESK_S10_SL_SM_SN_EUlS10_E0_NS1_11comp_targetILNS1_3genE10ELNS1_11target_archE1201ELNS1_3gpuE5ELNS1_3repE0EEENS1_38merge_mergepath_config_static_selectorELNS0_4arch9wavefront6targetE0EEEvSM_.has_indirect_call, 0
	.section	.AMDGPU.csdata,"",@progbits
; Kernel info:
; codeLenInByte = 0
; TotalNumSgprs: 0
; NumVgprs: 0
; ScratchSize: 0
; MemoryBound: 0
; FloatMode: 240
; IeeeMode: 1
; LDSByteSize: 0 bytes/workgroup (compile time only)
; SGPRBlocks: 0
; VGPRBlocks: 0
; NumSGPRsForWavesPerEU: 1
; NumVGPRsForWavesPerEU: 1
; NamedBarCnt: 0
; Occupancy: 16
; WaveLimiterHint : 0
; COMPUTE_PGM_RSRC2:SCRATCH_EN: 0
; COMPUTE_PGM_RSRC2:USER_SGPR: 2
; COMPUTE_PGM_RSRC2:TRAP_HANDLER: 0
; COMPUTE_PGM_RSRC2:TGID_X_EN: 1
; COMPUTE_PGM_RSRC2:TGID_Y_EN: 0
; COMPUTE_PGM_RSRC2:TGID_Z_EN: 0
; COMPUTE_PGM_RSRC2:TIDIG_COMP_CNT: 0
	.section	.text._ZN7rocprim17ROCPRIM_400000_NS6detail17trampoline_kernelINS0_14default_configENS1_38merge_sort_block_merge_config_selectorIlNS0_10empty_typeEEEZZNS1_27merge_sort_block_merge_implIS3_PlPS5_mZN2at6native12_GLOBAL__N_124unique_dim_cuda_templateImEESt5tupleIJNSA_6TensorESF_SF_EERKSF_lbbbEUlllE_EE10hipError_tT0_T1_T2_jT3_P12ihipStream_tbPNSt15iterator_traitsISL_E10value_typeEPNSR_ISM_E10value_typeEPSN_NS1_7vsmem_tEENKUlT_SL_SM_SN_E_clIS8_S8_S9_S9_EESK_S10_SL_SM_SN_EUlS10_E0_NS1_11comp_targetILNS1_3genE5ELNS1_11target_archE942ELNS1_3gpuE9ELNS1_3repE0EEENS1_38merge_mergepath_config_static_selectorELNS0_4arch9wavefront6targetE0EEEvSM_,"axG",@progbits,_ZN7rocprim17ROCPRIM_400000_NS6detail17trampoline_kernelINS0_14default_configENS1_38merge_sort_block_merge_config_selectorIlNS0_10empty_typeEEEZZNS1_27merge_sort_block_merge_implIS3_PlPS5_mZN2at6native12_GLOBAL__N_124unique_dim_cuda_templateImEESt5tupleIJNSA_6TensorESF_SF_EERKSF_lbbbEUlllE_EE10hipError_tT0_T1_T2_jT3_P12ihipStream_tbPNSt15iterator_traitsISL_E10value_typeEPNSR_ISM_E10value_typeEPSN_NS1_7vsmem_tEENKUlT_SL_SM_SN_E_clIS8_S8_S9_S9_EESK_S10_SL_SM_SN_EUlS10_E0_NS1_11comp_targetILNS1_3genE5ELNS1_11target_archE942ELNS1_3gpuE9ELNS1_3repE0EEENS1_38merge_mergepath_config_static_selectorELNS0_4arch9wavefront6targetE0EEEvSM_,comdat
	.globl	_ZN7rocprim17ROCPRIM_400000_NS6detail17trampoline_kernelINS0_14default_configENS1_38merge_sort_block_merge_config_selectorIlNS0_10empty_typeEEEZZNS1_27merge_sort_block_merge_implIS3_PlPS5_mZN2at6native12_GLOBAL__N_124unique_dim_cuda_templateImEESt5tupleIJNSA_6TensorESF_SF_EERKSF_lbbbEUlllE_EE10hipError_tT0_T1_T2_jT3_P12ihipStream_tbPNSt15iterator_traitsISL_E10value_typeEPNSR_ISM_E10value_typeEPSN_NS1_7vsmem_tEENKUlT_SL_SM_SN_E_clIS8_S8_S9_S9_EESK_S10_SL_SM_SN_EUlS10_E0_NS1_11comp_targetILNS1_3genE5ELNS1_11target_archE942ELNS1_3gpuE9ELNS1_3repE0EEENS1_38merge_mergepath_config_static_selectorELNS0_4arch9wavefront6targetE0EEEvSM_ ; -- Begin function _ZN7rocprim17ROCPRIM_400000_NS6detail17trampoline_kernelINS0_14default_configENS1_38merge_sort_block_merge_config_selectorIlNS0_10empty_typeEEEZZNS1_27merge_sort_block_merge_implIS3_PlPS5_mZN2at6native12_GLOBAL__N_124unique_dim_cuda_templateImEESt5tupleIJNSA_6TensorESF_SF_EERKSF_lbbbEUlllE_EE10hipError_tT0_T1_T2_jT3_P12ihipStream_tbPNSt15iterator_traitsISL_E10value_typeEPNSR_ISM_E10value_typeEPSN_NS1_7vsmem_tEENKUlT_SL_SM_SN_E_clIS8_S8_S9_S9_EESK_S10_SL_SM_SN_EUlS10_E0_NS1_11comp_targetILNS1_3genE5ELNS1_11target_archE942ELNS1_3gpuE9ELNS1_3repE0EEENS1_38merge_mergepath_config_static_selectorELNS0_4arch9wavefront6targetE0EEEvSM_
	.p2align	8
	.type	_ZN7rocprim17ROCPRIM_400000_NS6detail17trampoline_kernelINS0_14default_configENS1_38merge_sort_block_merge_config_selectorIlNS0_10empty_typeEEEZZNS1_27merge_sort_block_merge_implIS3_PlPS5_mZN2at6native12_GLOBAL__N_124unique_dim_cuda_templateImEESt5tupleIJNSA_6TensorESF_SF_EERKSF_lbbbEUlllE_EE10hipError_tT0_T1_T2_jT3_P12ihipStream_tbPNSt15iterator_traitsISL_E10value_typeEPNSR_ISM_E10value_typeEPSN_NS1_7vsmem_tEENKUlT_SL_SM_SN_E_clIS8_S8_S9_S9_EESK_S10_SL_SM_SN_EUlS10_E0_NS1_11comp_targetILNS1_3genE5ELNS1_11target_archE942ELNS1_3gpuE9ELNS1_3repE0EEENS1_38merge_mergepath_config_static_selectorELNS0_4arch9wavefront6targetE0EEEvSM_,@function
_ZN7rocprim17ROCPRIM_400000_NS6detail17trampoline_kernelINS0_14default_configENS1_38merge_sort_block_merge_config_selectorIlNS0_10empty_typeEEEZZNS1_27merge_sort_block_merge_implIS3_PlPS5_mZN2at6native12_GLOBAL__N_124unique_dim_cuda_templateImEESt5tupleIJNSA_6TensorESF_SF_EERKSF_lbbbEUlllE_EE10hipError_tT0_T1_T2_jT3_P12ihipStream_tbPNSt15iterator_traitsISL_E10value_typeEPNSR_ISM_E10value_typeEPSN_NS1_7vsmem_tEENKUlT_SL_SM_SN_E_clIS8_S8_S9_S9_EESK_S10_SL_SM_SN_EUlS10_E0_NS1_11comp_targetILNS1_3genE5ELNS1_11target_archE942ELNS1_3gpuE9ELNS1_3repE0EEENS1_38merge_mergepath_config_static_selectorELNS0_4arch9wavefront6targetE0EEEvSM_: ; @_ZN7rocprim17ROCPRIM_400000_NS6detail17trampoline_kernelINS0_14default_configENS1_38merge_sort_block_merge_config_selectorIlNS0_10empty_typeEEEZZNS1_27merge_sort_block_merge_implIS3_PlPS5_mZN2at6native12_GLOBAL__N_124unique_dim_cuda_templateImEESt5tupleIJNSA_6TensorESF_SF_EERKSF_lbbbEUlllE_EE10hipError_tT0_T1_T2_jT3_P12ihipStream_tbPNSt15iterator_traitsISL_E10value_typeEPNSR_ISM_E10value_typeEPSN_NS1_7vsmem_tEENKUlT_SL_SM_SN_E_clIS8_S8_S9_S9_EESK_S10_SL_SM_SN_EUlS10_E0_NS1_11comp_targetILNS1_3genE5ELNS1_11target_archE942ELNS1_3gpuE9ELNS1_3repE0EEENS1_38merge_mergepath_config_static_selectorELNS0_4arch9wavefront6targetE0EEEvSM_
; %bb.0:
	.section	.rodata,"a",@progbits
	.p2align	6, 0x0
	.amdhsa_kernel _ZN7rocprim17ROCPRIM_400000_NS6detail17trampoline_kernelINS0_14default_configENS1_38merge_sort_block_merge_config_selectorIlNS0_10empty_typeEEEZZNS1_27merge_sort_block_merge_implIS3_PlPS5_mZN2at6native12_GLOBAL__N_124unique_dim_cuda_templateImEESt5tupleIJNSA_6TensorESF_SF_EERKSF_lbbbEUlllE_EE10hipError_tT0_T1_T2_jT3_P12ihipStream_tbPNSt15iterator_traitsISL_E10value_typeEPNSR_ISM_E10value_typeEPSN_NS1_7vsmem_tEENKUlT_SL_SM_SN_E_clIS8_S8_S9_S9_EESK_S10_SL_SM_SN_EUlS10_E0_NS1_11comp_targetILNS1_3genE5ELNS1_11target_archE942ELNS1_3gpuE9ELNS1_3repE0EEENS1_38merge_mergepath_config_static_selectorELNS0_4arch9wavefront6targetE0EEEvSM_
		.amdhsa_group_segment_fixed_size 0
		.amdhsa_private_segment_fixed_size 0
		.amdhsa_kernarg_size 88
		.amdhsa_user_sgpr_count 2
		.amdhsa_user_sgpr_dispatch_ptr 0
		.amdhsa_user_sgpr_queue_ptr 0
		.amdhsa_user_sgpr_kernarg_segment_ptr 1
		.amdhsa_user_sgpr_dispatch_id 0
		.amdhsa_user_sgpr_kernarg_preload_length 0
		.amdhsa_user_sgpr_kernarg_preload_offset 0
		.amdhsa_user_sgpr_private_segment_size 0
		.amdhsa_wavefront_size32 1
		.amdhsa_uses_dynamic_stack 0
		.amdhsa_enable_private_segment 0
		.amdhsa_system_sgpr_workgroup_id_x 1
		.amdhsa_system_sgpr_workgroup_id_y 0
		.amdhsa_system_sgpr_workgroup_id_z 0
		.amdhsa_system_sgpr_workgroup_info 0
		.amdhsa_system_vgpr_workitem_id 0
		.amdhsa_next_free_vgpr 1
		.amdhsa_next_free_sgpr 1
		.amdhsa_named_barrier_count 0
		.amdhsa_reserve_vcc 0
		.amdhsa_float_round_mode_32 0
		.amdhsa_float_round_mode_16_64 0
		.amdhsa_float_denorm_mode_32 3
		.amdhsa_float_denorm_mode_16_64 3
		.amdhsa_fp16_overflow 0
		.amdhsa_memory_ordered 1
		.amdhsa_forward_progress 1
		.amdhsa_inst_pref_size 0
		.amdhsa_round_robin_scheduling 0
		.amdhsa_exception_fp_ieee_invalid_op 0
		.amdhsa_exception_fp_denorm_src 0
		.amdhsa_exception_fp_ieee_div_zero 0
		.amdhsa_exception_fp_ieee_overflow 0
		.amdhsa_exception_fp_ieee_underflow 0
		.amdhsa_exception_fp_ieee_inexact 0
		.amdhsa_exception_int_div_zero 0
	.end_amdhsa_kernel
	.section	.text._ZN7rocprim17ROCPRIM_400000_NS6detail17trampoline_kernelINS0_14default_configENS1_38merge_sort_block_merge_config_selectorIlNS0_10empty_typeEEEZZNS1_27merge_sort_block_merge_implIS3_PlPS5_mZN2at6native12_GLOBAL__N_124unique_dim_cuda_templateImEESt5tupleIJNSA_6TensorESF_SF_EERKSF_lbbbEUlllE_EE10hipError_tT0_T1_T2_jT3_P12ihipStream_tbPNSt15iterator_traitsISL_E10value_typeEPNSR_ISM_E10value_typeEPSN_NS1_7vsmem_tEENKUlT_SL_SM_SN_E_clIS8_S8_S9_S9_EESK_S10_SL_SM_SN_EUlS10_E0_NS1_11comp_targetILNS1_3genE5ELNS1_11target_archE942ELNS1_3gpuE9ELNS1_3repE0EEENS1_38merge_mergepath_config_static_selectorELNS0_4arch9wavefront6targetE0EEEvSM_,"axG",@progbits,_ZN7rocprim17ROCPRIM_400000_NS6detail17trampoline_kernelINS0_14default_configENS1_38merge_sort_block_merge_config_selectorIlNS0_10empty_typeEEEZZNS1_27merge_sort_block_merge_implIS3_PlPS5_mZN2at6native12_GLOBAL__N_124unique_dim_cuda_templateImEESt5tupleIJNSA_6TensorESF_SF_EERKSF_lbbbEUlllE_EE10hipError_tT0_T1_T2_jT3_P12ihipStream_tbPNSt15iterator_traitsISL_E10value_typeEPNSR_ISM_E10value_typeEPSN_NS1_7vsmem_tEENKUlT_SL_SM_SN_E_clIS8_S8_S9_S9_EESK_S10_SL_SM_SN_EUlS10_E0_NS1_11comp_targetILNS1_3genE5ELNS1_11target_archE942ELNS1_3gpuE9ELNS1_3repE0EEENS1_38merge_mergepath_config_static_selectorELNS0_4arch9wavefront6targetE0EEEvSM_,comdat
.Lfunc_end1624:
	.size	_ZN7rocprim17ROCPRIM_400000_NS6detail17trampoline_kernelINS0_14default_configENS1_38merge_sort_block_merge_config_selectorIlNS0_10empty_typeEEEZZNS1_27merge_sort_block_merge_implIS3_PlPS5_mZN2at6native12_GLOBAL__N_124unique_dim_cuda_templateImEESt5tupleIJNSA_6TensorESF_SF_EERKSF_lbbbEUlllE_EE10hipError_tT0_T1_T2_jT3_P12ihipStream_tbPNSt15iterator_traitsISL_E10value_typeEPNSR_ISM_E10value_typeEPSN_NS1_7vsmem_tEENKUlT_SL_SM_SN_E_clIS8_S8_S9_S9_EESK_S10_SL_SM_SN_EUlS10_E0_NS1_11comp_targetILNS1_3genE5ELNS1_11target_archE942ELNS1_3gpuE9ELNS1_3repE0EEENS1_38merge_mergepath_config_static_selectorELNS0_4arch9wavefront6targetE0EEEvSM_, .Lfunc_end1624-_ZN7rocprim17ROCPRIM_400000_NS6detail17trampoline_kernelINS0_14default_configENS1_38merge_sort_block_merge_config_selectorIlNS0_10empty_typeEEEZZNS1_27merge_sort_block_merge_implIS3_PlPS5_mZN2at6native12_GLOBAL__N_124unique_dim_cuda_templateImEESt5tupleIJNSA_6TensorESF_SF_EERKSF_lbbbEUlllE_EE10hipError_tT0_T1_T2_jT3_P12ihipStream_tbPNSt15iterator_traitsISL_E10value_typeEPNSR_ISM_E10value_typeEPSN_NS1_7vsmem_tEENKUlT_SL_SM_SN_E_clIS8_S8_S9_S9_EESK_S10_SL_SM_SN_EUlS10_E0_NS1_11comp_targetILNS1_3genE5ELNS1_11target_archE942ELNS1_3gpuE9ELNS1_3repE0EEENS1_38merge_mergepath_config_static_selectorELNS0_4arch9wavefront6targetE0EEEvSM_
                                        ; -- End function
	.set _ZN7rocprim17ROCPRIM_400000_NS6detail17trampoline_kernelINS0_14default_configENS1_38merge_sort_block_merge_config_selectorIlNS0_10empty_typeEEEZZNS1_27merge_sort_block_merge_implIS3_PlPS5_mZN2at6native12_GLOBAL__N_124unique_dim_cuda_templateImEESt5tupleIJNSA_6TensorESF_SF_EERKSF_lbbbEUlllE_EE10hipError_tT0_T1_T2_jT3_P12ihipStream_tbPNSt15iterator_traitsISL_E10value_typeEPNSR_ISM_E10value_typeEPSN_NS1_7vsmem_tEENKUlT_SL_SM_SN_E_clIS8_S8_S9_S9_EESK_S10_SL_SM_SN_EUlS10_E0_NS1_11comp_targetILNS1_3genE5ELNS1_11target_archE942ELNS1_3gpuE9ELNS1_3repE0EEENS1_38merge_mergepath_config_static_selectorELNS0_4arch9wavefront6targetE0EEEvSM_.num_vgpr, 0
	.set _ZN7rocprim17ROCPRIM_400000_NS6detail17trampoline_kernelINS0_14default_configENS1_38merge_sort_block_merge_config_selectorIlNS0_10empty_typeEEEZZNS1_27merge_sort_block_merge_implIS3_PlPS5_mZN2at6native12_GLOBAL__N_124unique_dim_cuda_templateImEESt5tupleIJNSA_6TensorESF_SF_EERKSF_lbbbEUlllE_EE10hipError_tT0_T1_T2_jT3_P12ihipStream_tbPNSt15iterator_traitsISL_E10value_typeEPNSR_ISM_E10value_typeEPSN_NS1_7vsmem_tEENKUlT_SL_SM_SN_E_clIS8_S8_S9_S9_EESK_S10_SL_SM_SN_EUlS10_E0_NS1_11comp_targetILNS1_3genE5ELNS1_11target_archE942ELNS1_3gpuE9ELNS1_3repE0EEENS1_38merge_mergepath_config_static_selectorELNS0_4arch9wavefront6targetE0EEEvSM_.num_agpr, 0
	.set _ZN7rocprim17ROCPRIM_400000_NS6detail17trampoline_kernelINS0_14default_configENS1_38merge_sort_block_merge_config_selectorIlNS0_10empty_typeEEEZZNS1_27merge_sort_block_merge_implIS3_PlPS5_mZN2at6native12_GLOBAL__N_124unique_dim_cuda_templateImEESt5tupleIJNSA_6TensorESF_SF_EERKSF_lbbbEUlllE_EE10hipError_tT0_T1_T2_jT3_P12ihipStream_tbPNSt15iterator_traitsISL_E10value_typeEPNSR_ISM_E10value_typeEPSN_NS1_7vsmem_tEENKUlT_SL_SM_SN_E_clIS8_S8_S9_S9_EESK_S10_SL_SM_SN_EUlS10_E0_NS1_11comp_targetILNS1_3genE5ELNS1_11target_archE942ELNS1_3gpuE9ELNS1_3repE0EEENS1_38merge_mergepath_config_static_selectorELNS0_4arch9wavefront6targetE0EEEvSM_.numbered_sgpr, 0
	.set _ZN7rocprim17ROCPRIM_400000_NS6detail17trampoline_kernelINS0_14default_configENS1_38merge_sort_block_merge_config_selectorIlNS0_10empty_typeEEEZZNS1_27merge_sort_block_merge_implIS3_PlPS5_mZN2at6native12_GLOBAL__N_124unique_dim_cuda_templateImEESt5tupleIJNSA_6TensorESF_SF_EERKSF_lbbbEUlllE_EE10hipError_tT0_T1_T2_jT3_P12ihipStream_tbPNSt15iterator_traitsISL_E10value_typeEPNSR_ISM_E10value_typeEPSN_NS1_7vsmem_tEENKUlT_SL_SM_SN_E_clIS8_S8_S9_S9_EESK_S10_SL_SM_SN_EUlS10_E0_NS1_11comp_targetILNS1_3genE5ELNS1_11target_archE942ELNS1_3gpuE9ELNS1_3repE0EEENS1_38merge_mergepath_config_static_selectorELNS0_4arch9wavefront6targetE0EEEvSM_.num_named_barrier, 0
	.set _ZN7rocprim17ROCPRIM_400000_NS6detail17trampoline_kernelINS0_14default_configENS1_38merge_sort_block_merge_config_selectorIlNS0_10empty_typeEEEZZNS1_27merge_sort_block_merge_implIS3_PlPS5_mZN2at6native12_GLOBAL__N_124unique_dim_cuda_templateImEESt5tupleIJNSA_6TensorESF_SF_EERKSF_lbbbEUlllE_EE10hipError_tT0_T1_T2_jT3_P12ihipStream_tbPNSt15iterator_traitsISL_E10value_typeEPNSR_ISM_E10value_typeEPSN_NS1_7vsmem_tEENKUlT_SL_SM_SN_E_clIS8_S8_S9_S9_EESK_S10_SL_SM_SN_EUlS10_E0_NS1_11comp_targetILNS1_3genE5ELNS1_11target_archE942ELNS1_3gpuE9ELNS1_3repE0EEENS1_38merge_mergepath_config_static_selectorELNS0_4arch9wavefront6targetE0EEEvSM_.private_seg_size, 0
	.set _ZN7rocprim17ROCPRIM_400000_NS6detail17trampoline_kernelINS0_14default_configENS1_38merge_sort_block_merge_config_selectorIlNS0_10empty_typeEEEZZNS1_27merge_sort_block_merge_implIS3_PlPS5_mZN2at6native12_GLOBAL__N_124unique_dim_cuda_templateImEESt5tupleIJNSA_6TensorESF_SF_EERKSF_lbbbEUlllE_EE10hipError_tT0_T1_T2_jT3_P12ihipStream_tbPNSt15iterator_traitsISL_E10value_typeEPNSR_ISM_E10value_typeEPSN_NS1_7vsmem_tEENKUlT_SL_SM_SN_E_clIS8_S8_S9_S9_EESK_S10_SL_SM_SN_EUlS10_E0_NS1_11comp_targetILNS1_3genE5ELNS1_11target_archE942ELNS1_3gpuE9ELNS1_3repE0EEENS1_38merge_mergepath_config_static_selectorELNS0_4arch9wavefront6targetE0EEEvSM_.uses_vcc, 0
	.set _ZN7rocprim17ROCPRIM_400000_NS6detail17trampoline_kernelINS0_14default_configENS1_38merge_sort_block_merge_config_selectorIlNS0_10empty_typeEEEZZNS1_27merge_sort_block_merge_implIS3_PlPS5_mZN2at6native12_GLOBAL__N_124unique_dim_cuda_templateImEESt5tupleIJNSA_6TensorESF_SF_EERKSF_lbbbEUlllE_EE10hipError_tT0_T1_T2_jT3_P12ihipStream_tbPNSt15iterator_traitsISL_E10value_typeEPNSR_ISM_E10value_typeEPSN_NS1_7vsmem_tEENKUlT_SL_SM_SN_E_clIS8_S8_S9_S9_EESK_S10_SL_SM_SN_EUlS10_E0_NS1_11comp_targetILNS1_3genE5ELNS1_11target_archE942ELNS1_3gpuE9ELNS1_3repE0EEENS1_38merge_mergepath_config_static_selectorELNS0_4arch9wavefront6targetE0EEEvSM_.uses_flat_scratch, 0
	.set _ZN7rocprim17ROCPRIM_400000_NS6detail17trampoline_kernelINS0_14default_configENS1_38merge_sort_block_merge_config_selectorIlNS0_10empty_typeEEEZZNS1_27merge_sort_block_merge_implIS3_PlPS5_mZN2at6native12_GLOBAL__N_124unique_dim_cuda_templateImEESt5tupleIJNSA_6TensorESF_SF_EERKSF_lbbbEUlllE_EE10hipError_tT0_T1_T2_jT3_P12ihipStream_tbPNSt15iterator_traitsISL_E10value_typeEPNSR_ISM_E10value_typeEPSN_NS1_7vsmem_tEENKUlT_SL_SM_SN_E_clIS8_S8_S9_S9_EESK_S10_SL_SM_SN_EUlS10_E0_NS1_11comp_targetILNS1_3genE5ELNS1_11target_archE942ELNS1_3gpuE9ELNS1_3repE0EEENS1_38merge_mergepath_config_static_selectorELNS0_4arch9wavefront6targetE0EEEvSM_.has_dyn_sized_stack, 0
	.set _ZN7rocprim17ROCPRIM_400000_NS6detail17trampoline_kernelINS0_14default_configENS1_38merge_sort_block_merge_config_selectorIlNS0_10empty_typeEEEZZNS1_27merge_sort_block_merge_implIS3_PlPS5_mZN2at6native12_GLOBAL__N_124unique_dim_cuda_templateImEESt5tupleIJNSA_6TensorESF_SF_EERKSF_lbbbEUlllE_EE10hipError_tT0_T1_T2_jT3_P12ihipStream_tbPNSt15iterator_traitsISL_E10value_typeEPNSR_ISM_E10value_typeEPSN_NS1_7vsmem_tEENKUlT_SL_SM_SN_E_clIS8_S8_S9_S9_EESK_S10_SL_SM_SN_EUlS10_E0_NS1_11comp_targetILNS1_3genE5ELNS1_11target_archE942ELNS1_3gpuE9ELNS1_3repE0EEENS1_38merge_mergepath_config_static_selectorELNS0_4arch9wavefront6targetE0EEEvSM_.has_recursion, 0
	.set _ZN7rocprim17ROCPRIM_400000_NS6detail17trampoline_kernelINS0_14default_configENS1_38merge_sort_block_merge_config_selectorIlNS0_10empty_typeEEEZZNS1_27merge_sort_block_merge_implIS3_PlPS5_mZN2at6native12_GLOBAL__N_124unique_dim_cuda_templateImEESt5tupleIJNSA_6TensorESF_SF_EERKSF_lbbbEUlllE_EE10hipError_tT0_T1_T2_jT3_P12ihipStream_tbPNSt15iterator_traitsISL_E10value_typeEPNSR_ISM_E10value_typeEPSN_NS1_7vsmem_tEENKUlT_SL_SM_SN_E_clIS8_S8_S9_S9_EESK_S10_SL_SM_SN_EUlS10_E0_NS1_11comp_targetILNS1_3genE5ELNS1_11target_archE942ELNS1_3gpuE9ELNS1_3repE0EEENS1_38merge_mergepath_config_static_selectorELNS0_4arch9wavefront6targetE0EEEvSM_.has_indirect_call, 0
	.section	.AMDGPU.csdata,"",@progbits
; Kernel info:
; codeLenInByte = 0
; TotalNumSgprs: 0
; NumVgprs: 0
; ScratchSize: 0
; MemoryBound: 0
; FloatMode: 240
; IeeeMode: 1
; LDSByteSize: 0 bytes/workgroup (compile time only)
; SGPRBlocks: 0
; VGPRBlocks: 0
; NumSGPRsForWavesPerEU: 1
; NumVGPRsForWavesPerEU: 1
; NamedBarCnt: 0
; Occupancy: 16
; WaveLimiterHint : 0
; COMPUTE_PGM_RSRC2:SCRATCH_EN: 0
; COMPUTE_PGM_RSRC2:USER_SGPR: 2
; COMPUTE_PGM_RSRC2:TRAP_HANDLER: 0
; COMPUTE_PGM_RSRC2:TGID_X_EN: 1
; COMPUTE_PGM_RSRC2:TGID_Y_EN: 0
; COMPUTE_PGM_RSRC2:TGID_Z_EN: 0
; COMPUTE_PGM_RSRC2:TIDIG_COMP_CNT: 0
	.section	.text._ZN7rocprim17ROCPRIM_400000_NS6detail17trampoline_kernelINS0_14default_configENS1_38merge_sort_block_merge_config_selectorIlNS0_10empty_typeEEEZZNS1_27merge_sort_block_merge_implIS3_PlPS5_mZN2at6native12_GLOBAL__N_124unique_dim_cuda_templateImEESt5tupleIJNSA_6TensorESF_SF_EERKSF_lbbbEUlllE_EE10hipError_tT0_T1_T2_jT3_P12ihipStream_tbPNSt15iterator_traitsISL_E10value_typeEPNSR_ISM_E10value_typeEPSN_NS1_7vsmem_tEENKUlT_SL_SM_SN_E_clIS8_S8_S9_S9_EESK_S10_SL_SM_SN_EUlS10_E0_NS1_11comp_targetILNS1_3genE4ELNS1_11target_archE910ELNS1_3gpuE8ELNS1_3repE0EEENS1_38merge_mergepath_config_static_selectorELNS0_4arch9wavefront6targetE0EEEvSM_,"axG",@progbits,_ZN7rocprim17ROCPRIM_400000_NS6detail17trampoline_kernelINS0_14default_configENS1_38merge_sort_block_merge_config_selectorIlNS0_10empty_typeEEEZZNS1_27merge_sort_block_merge_implIS3_PlPS5_mZN2at6native12_GLOBAL__N_124unique_dim_cuda_templateImEESt5tupleIJNSA_6TensorESF_SF_EERKSF_lbbbEUlllE_EE10hipError_tT0_T1_T2_jT3_P12ihipStream_tbPNSt15iterator_traitsISL_E10value_typeEPNSR_ISM_E10value_typeEPSN_NS1_7vsmem_tEENKUlT_SL_SM_SN_E_clIS8_S8_S9_S9_EESK_S10_SL_SM_SN_EUlS10_E0_NS1_11comp_targetILNS1_3genE4ELNS1_11target_archE910ELNS1_3gpuE8ELNS1_3repE0EEENS1_38merge_mergepath_config_static_selectorELNS0_4arch9wavefront6targetE0EEEvSM_,comdat
	.globl	_ZN7rocprim17ROCPRIM_400000_NS6detail17trampoline_kernelINS0_14default_configENS1_38merge_sort_block_merge_config_selectorIlNS0_10empty_typeEEEZZNS1_27merge_sort_block_merge_implIS3_PlPS5_mZN2at6native12_GLOBAL__N_124unique_dim_cuda_templateImEESt5tupleIJNSA_6TensorESF_SF_EERKSF_lbbbEUlllE_EE10hipError_tT0_T1_T2_jT3_P12ihipStream_tbPNSt15iterator_traitsISL_E10value_typeEPNSR_ISM_E10value_typeEPSN_NS1_7vsmem_tEENKUlT_SL_SM_SN_E_clIS8_S8_S9_S9_EESK_S10_SL_SM_SN_EUlS10_E0_NS1_11comp_targetILNS1_3genE4ELNS1_11target_archE910ELNS1_3gpuE8ELNS1_3repE0EEENS1_38merge_mergepath_config_static_selectorELNS0_4arch9wavefront6targetE0EEEvSM_ ; -- Begin function _ZN7rocprim17ROCPRIM_400000_NS6detail17trampoline_kernelINS0_14default_configENS1_38merge_sort_block_merge_config_selectorIlNS0_10empty_typeEEEZZNS1_27merge_sort_block_merge_implIS3_PlPS5_mZN2at6native12_GLOBAL__N_124unique_dim_cuda_templateImEESt5tupleIJNSA_6TensorESF_SF_EERKSF_lbbbEUlllE_EE10hipError_tT0_T1_T2_jT3_P12ihipStream_tbPNSt15iterator_traitsISL_E10value_typeEPNSR_ISM_E10value_typeEPSN_NS1_7vsmem_tEENKUlT_SL_SM_SN_E_clIS8_S8_S9_S9_EESK_S10_SL_SM_SN_EUlS10_E0_NS1_11comp_targetILNS1_3genE4ELNS1_11target_archE910ELNS1_3gpuE8ELNS1_3repE0EEENS1_38merge_mergepath_config_static_selectorELNS0_4arch9wavefront6targetE0EEEvSM_
	.p2align	8
	.type	_ZN7rocprim17ROCPRIM_400000_NS6detail17trampoline_kernelINS0_14default_configENS1_38merge_sort_block_merge_config_selectorIlNS0_10empty_typeEEEZZNS1_27merge_sort_block_merge_implIS3_PlPS5_mZN2at6native12_GLOBAL__N_124unique_dim_cuda_templateImEESt5tupleIJNSA_6TensorESF_SF_EERKSF_lbbbEUlllE_EE10hipError_tT0_T1_T2_jT3_P12ihipStream_tbPNSt15iterator_traitsISL_E10value_typeEPNSR_ISM_E10value_typeEPSN_NS1_7vsmem_tEENKUlT_SL_SM_SN_E_clIS8_S8_S9_S9_EESK_S10_SL_SM_SN_EUlS10_E0_NS1_11comp_targetILNS1_3genE4ELNS1_11target_archE910ELNS1_3gpuE8ELNS1_3repE0EEENS1_38merge_mergepath_config_static_selectorELNS0_4arch9wavefront6targetE0EEEvSM_,@function
_ZN7rocprim17ROCPRIM_400000_NS6detail17trampoline_kernelINS0_14default_configENS1_38merge_sort_block_merge_config_selectorIlNS0_10empty_typeEEEZZNS1_27merge_sort_block_merge_implIS3_PlPS5_mZN2at6native12_GLOBAL__N_124unique_dim_cuda_templateImEESt5tupleIJNSA_6TensorESF_SF_EERKSF_lbbbEUlllE_EE10hipError_tT0_T1_T2_jT3_P12ihipStream_tbPNSt15iterator_traitsISL_E10value_typeEPNSR_ISM_E10value_typeEPSN_NS1_7vsmem_tEENKUlT_SL_SM_SN_E_clIS8_S8_S9_S9_EESK_S10_SL_SM_SN_EUlS10_E0_NS1_11comp_targetILNS1_3genE4ELNS1_11target_archE910ELNS1_3gpuE8ELNS1_3repE0EEENS1_38merge_mergepath_config_static_selectorELNS0_4arch9wavefront6targetE0EEEvSM_: ; @_ZN7rocprim17ROCPRIM_400000_NS6detail17trampoline_kernelINS0_14default_configENS1_38merge_sort_block_merge_config_selectorIlNS0_10empty_typeEEEZZNS1_27merge_sort_block_merge_implIS3_PlPS5_mZN2at6native12_GLOBAL__N_124unique_dim_cuda_templateImEESt5tupleIJNSA_6TensorESF_SF_EERKSF_lbbbEUlllE_EE10hipError_tT0_T1_T2_jT3_P12ihipStream_tbPNSt15iterator_traitsISL_E10value_typeEPNSR_ISM_E10value_typeEPSN_NS1_7vsmem_tEENKUlT_SL_SM_SN_E_clIS8_S8_S9_S9_EESK_S10_SL_SM_SN_EUlS10_E0_NS1_11comp_targetILNS1_3genE4ELNS1_11target_archE910ELNS1_3gpuE8ELNS1_3repE0EEENS1_38merge_mergepath_config_static_selectorELNS0_4arch9wavefront6targetE0EEEvSM_
; %bb.0:
	.section	.rodata,"a",@progbits
	.p2align	6, 0x0
	.amdhsa_kernel _ZN7rocprim17ROCPRIM_400000_NS6detail17trampoline_kernelINS0_14default_configENS1_38merge_sort_block_merge_config_selectorIlNS0_10empty_typeEEEZZNS1_27merge_sort_block_merge_implIS3_PlPS5_mZN2at6native12_GLOBAL__N_124unique_dim_cuda_templateImEESt5tupleIJNSA_6TensorESF_SF_EERKSF_lbbbEUlllE_EE10hipError_tT0_T1_T2_jT3_P12ihipStream_tbPNSt15iterator_traitsISL_E10value_typeEPNSR_ISM_E10value_typeEPSN_NS1_7vsmem_tEENKUlT_SL_SM_SN_E_clIS8_S8_S9_S9_EESK_S10_SL_SM_SN_EUlS10_E0_NS1_11comp_targetILNS1_3genE4ELNS1_11target_archE910ELNS1_3gpuE8ELNS1_3repE0EEENS1_38merge_mergepath_config_static_selectorELNS0_4arch9wavefront6targetE0EEEvSM_
		.amdhsa_group_segment_fixed_size 0
		.amdhsa_private_segment_fixed_size 0
		.amdhsa_kernarg_size 88
		.amdhsa_user_sgpr_count 2
		.amdhsa_user_sgpr_dispatch_ptr 0
		.amdhsa_user_sgpr_queue_ptr 0
		.amdhsa_user_sgpr_kernarg_segment_ptr 1
		.amdhsa_user_sgpr_dispatch_id 0
		.amdhsa_user_sgpr_kernarg_preload_length 0
		.amdhsa_user_sgpr_kernarg_preload_offset 0
		.amdhsa_user_sgpr_private_segment_size 0
		.amdhsa_wavefront_size32 1
		.amdhsa_uses_dynamic_stack 0
		.amdhsa_enable_private_segment 0
		.amdhsa_system_sgpr_workgroup_id_x 1
		.amdhsa_system_sgpr_workgroup_id_y 0
		.amdhsa_system_sgpr_workgroup_id_z 0
		.amdhsa_system_sgpr_workgroup_info 0
		.amdhsa_system_vgpr_workitem_id 0
		.amdhsa_next_free_vgpr 1
		.amdhsa_next_free_sgpr 1
		.amdhsa_named_barrier_count 0
		.amdhsa_reserve_vcc 0
		.amdhsa_float_round_mode_32 0
		.amdhsa_float_round_mode_16_64 0
		.amdhsa_float_denorm_mode_32 3
		.amdhsa_float_denorm_mode_16_64 3
		.amdhsa_fp16_overflow 0
		.amdhsa_memory_ordered 1
		.amdhsa_forward_progress 1
		.amdhsa_inst_pref_size 0
		.amdhsa_round_robin_scheduling 0
		.amdhsa_exception_fp_ieee_invalid_op 0
		.amdhsa_exception_fp_denorm_src 0
		.amdhsa_exception_fp_ieee_div_zero 0
		.amdhsa_exception_fp_ieee_overflow 0
		.amdhsa_exception_fp_ieee_underflow 0
		.amdhsa_exception_fp_ieee_inexact 0
		.amdhsa_exception_int_div_zero 0
	.end_amdhsa_kernel
	.section	.text._ZN7rocprim17ROCPRIM_400000_NS6detail17trampoline_kernelINS0_14default_configENS1_38merge_sort_block_merge_config_selectorIlNS0_10empty_typeEEEZZNS1_27merge_sort_block_merge_implIS3_PlPS5_mZN2at6native12_GLOBAL__N_124unique_dim_cuda_templateImEESt5tupleIJNSA_6TensorESF_SF_EERKSF_lbbbEUlllE_EE10hipError_tT0_T1_T2_jT3_P12ihipStream_tbPNSt15iterator_traitsISL_E10value_typeEPNSR_ISM_E10value_typeEPSN_NS1_7vsmem_tEENKUlT_SL_SM_SN_E_clIS8_S8_S9_S9_EESK_S10_SL_SM_SN_EUlS10_E0_NS1_11comp_targetILNS1_3genE4ELNS1_11target_archE910ELNS1_3gpuE8ELNS1_3repE0EEENS1_38merge_mergepath_config_static_selectorELNS0_4arch9wavefront6targetE0EEEvSM_,"axG",@progbits,_ZN7rocprim17ROCPRIM_400000_NS6detail17trampoline_kernelINS0_14default_configENS1_38merge_sort_block_merge_config_selectorIlNS0_10empty_typeEEEZZNS1_27merge_sort_block_merge_implIS3_PlPS5_mZN2at6native12_GLOBAL__N_124unique_dim_cuda_templateImEESt5tupleIJNSA_6TensorESF_SF_EERKSF_lbbbEUlllE_EE10hipError_tT0_T1_T2_jT3_P12ihipStream_tbPNSt15iterator_traitsISL_E10value_typeEPNSR_ISM_E10value_typeEPSN_NS1_7vsmem_tEENKUlT_SL_SM_SN_E_clIS8_S8_S9_S9_EESK_S10_SL_SM_SN_EUlS10_E0_NS1_11comp_targetILNS1_3genE4ELNS1_11target_archE910ELNS1_3gpuE8ELNS1_3repE0EEENS1_38merge_mergepath_config_static_selectorELNS0_4arch9wavefront6targetE0EEEvSM_,comdat
.Lfunc_end1625:
	.size	_ZN7rocprim17ROCPRIM_400000_NS6detail17trampoline_kernelINS0_14default_configENS1_38merge_sort_block_merge_config_selectorIlNS0_10empty_typeEEEZZNS1_27merge_sort_block_merge_implIS3_PlPS5_mZN2at6native12_GLOBAL__N_124unique_dim_cuda_templateImEESt5tupleIJNSA_6TensorESF_SF_EERKSF_lbbbEUlllE_EE10hipError_tT0_T1_T2_jT3_P12ihipStream_tbPNSt15iterator_traitsISL_E10value_typeEPNSR_ISM_E10value_typeEPSN_NS1_7vsmem_tEENKUlT_SL_SM_SN_E_clIS8_S8_S9_S9_EESK_S10_SL_SM_SN_EUlS10_E0_NS1_11comp_targetILNS1_3genE4ELNS1_11target_archE910ELNS1_3gpuE8ELNS1_3repE0EEENS1_38merge_mergepath_config_static_selectorELNS0_4arch9wavefront6targetE0EEEvSM_, .Lfunc_end1625-_ZN7rocprim17ROCPRIM_400000_NS6detail17trampoline_kernelINS0_14default_configENS1_38merge_sort_block_merge_config_selectorIlNS0_10empty_typeEEEZZNS1_27merge_sort_block_merge_implIS3_PlPS5_mZN2at6native12_GLOBAL__N_124unique_dim_cuda_templateImEESt5tupleIJNSA_6TensorESF_SF_EERKSF_lbbbEUlllE_EE10hipError_tT0_T1_T2_jT3_P12ihipStream_tbPNSt15iterator_traitsISL_E10value_typeEPNSR_ISM_E10value_typeEPSN_NS1_7vsmem_tEENKUlT_SL_SM_SN_E_clIS8_S8_S9_S9_EESK_S10_SL_SM_SN_EUlS10_E0_NS1_11comp_targetILNS1_3genE4ELNS1_11target_archE910ELNS1_3gpuE8ELNS1_3repE0EEENS1_38merge_mergepath_config_static_selectorELNS0_4arch9wavefront6targetE0EEEvSM_
                                        ; -- End function
	.set _ZN7rocprim17ROCPRIM_400000_NS6detail17trampoline_kernelINS0_14default_configENS1_38merge_sort_block_merge_config_selectorIlNS0_10empty_typeEEEZZNS1_27merge_sort_block_merge_implIS3_PlPS5_mZN2at6native12_GLOBAL__N_124unique_dim_cuda_templateImEESt5tupleIJNSA_6TensorESF_SF_EERKSF_lbbbEUlllE_EE10hipError_tT0_T1_T2_jT3_P12ihipStream_tbPNSt15iterator_traitsISL_E10value_typeEPNSR_ISM_E10value_typeEPSN_NS1_7vsmem_tEENKUlT_SL_SM_SN_E_clIS8_S8_S9_S9_EESK_S10_SL_SM_SN_EUlS10_E0_NS1_11comp_targetILNS1_3genE4ELNS1_11target_archE910ELNS1_3gpuE8ELNS1_3repE0EEENS1_38merge_mergepath_config_static_selectorELNS0_4arch9wavefront6targetE0EEEvSM_.num_vgpr, 0
	.set _ZN7rocprim17ROCPRIM_400000_NS6detail17trampoline_kernelINS0_14default_configENS1_38merge_sort_block_merge_config_selectorIlNS0_10empty_typeEEEZZNS1_27merge_sort_block_merge_implIS3_PlPS5_mZN2at6native12_GLOBAL__N_124unique_dim_cuda_templateImEESt5tupleIJNSA_6TensorESF_SF_EERKSF_lbbbEUlllE_EE10hipError_tT0_T1_T2_jT3_P12ihipStream_tbPNSt15iterator_traitsISL_E10value_typeEPNSR_ISM_E10value_typeEPSN_NS1_7vsmem_tEENKUlT_SL_SM_SN_E_clIS8_S8_S9_S9_EESK_S10_SL_SM_SN_EUlS10_E0_NS1_11comp_targetILNS1_3genE4ELNS1_11target_archE910ELNS1_3gpuE8ELNS1_3repE0EEENS1_38merge_mergepath_config_static_selectorELNS0_4arch9wavefront6targetE0EEEvSM_.num_agpr, 0
	.set _ZN7rocprim17ROCPRIM_400000_NS6detail17trampoline_kernelINS0_14default_configENS1_38merge_sort_block_merge_config_selectorIlNS0_10empty_typeEEEZZNS1_27merge_sort_block_merge_implIS3_PlPS5_mZN2at6native12_GLOBAL__N_124unique_dim_cuda_templateImEESt5tupleIJNSA_6TensorESF_SF_EERKSF_lbbbEUlllE_EE10hipError_tT0_T1_T2_jT3_P12ihipStream_tbPNSt15iterator_traitsISL_E10value_typeEPNSR_ISM_E10value_typeEPSN_NS1_7vsmem_tEENKUlT_SL_SM_SN_E_clIS8_S8_S9_S9_EESK_S10_SL_SM_SN_EUlS10_E0_NS1_11comp_targetILNS1_3genE4ELNS1_11target_archE910ELNS1_3gpuE8ELNS1_3repE0EEENS1_38merge_mergepath_config_static_selectorELNS0_4arch9wavefront6targetE0EEEvSM_.numbered_sgpr, 0
	.set _ZN7rocprim17ROCPRIM_400000_NS6detail17trampoline_kernelINS0_14default_configENS1_38merge_sort_block_merge_config_selectorIlNS0_10empty_typeEEEZZNS1_27merge_sort_block_merge_implIS3_PlPS5_mZN2at6native12_GLOBAL__N_124unique_dim_cuda_templateImEESt5tupleIJNSA_6TensorESF_SF_EERKSF_lbbbEUlllE_EE10hipError_tT0_T1_T2_jT3_P12ihipStream_tbPNSt15iterator_traitsISL_E10value_typeEPNSR_ISM_E10value_typeEPSN_NS1_7vsmem_tEENKUlT_SL_SM_SN_E_clIS8_S8_S9_S9_EESK_S10_SL_SM_SN_EUlS10_E0_NS1_11comp_targetILNS1_3genE4ELNS1_11target_archE910ELNS1_3gpuE8ELNS1_3repE0EEENS1_38merge_mergepath_config_static_selectorELNS0_4arch9wavefront6targetE0EEEvSM_.num_named_barrier, 0
	.set _ZN7rocprim17ROCPRIM_400000_NS6detail17trampoline_kernelINS0_14default_configENS1_38merge_sort_block_merge_config_selectorIlNS0_10empty_typeEEEZZNS1_27merge_sort_block_merge_implIS3_PlPS5_mZN2at6native12_GLOBAL__N_124unique_dim_cuda_templateImEESt5tupleIJNSA_6TensorESF_SF_EERKSF_lbbbEUlllE_EE10hipError_tT0_T1_T2_jT3_P12ihipStream_tbPNSt15iterator_traitsISL_E10value_typeEPNSR_ISM_E10value_typeEPSN_NS1_7vsmem_tEENKUlT_SL_SM_SN_E_clIS8_S8_S9_S9_EESK_S10_SL_SM_SN_EUlS10_E0_NS1_11comp_targetILNS1_3genE4ELNS1_11target_archE910ELNS1_3gpuE8ELNS1_3repE0EEENS1_38merge_mergepath_config_static_selectorELNS0_4arch9wavefront6targetE0EEEvSM_.private_seg_size, 0
	.set _ZN7rocprim17ROCPRIM_400000_NS6detail17trampoline_kernelINS0_14default_configENS1_38merge_sort_block_merge_config_selectorIlNS0_10empty_typeEEEZZNS1_27merge_sort_block_merge_implIS3_PlPS5_mZN2at6native12_GLOBAL__N_124unique_dim_cuda_templateImEESt5tupleIJNSA_6TensorESF_SF_EERKSF_lbbbEUlllE_EE10hipError_tT0_T1_T2_jT3_P12ihipStream_tbPNSt15iterator_traitsISL_E10value_typeEPNSR_ISM_E10value_typeEPSN_NS1_7vsmem_tEENKUlT_SL_SM_SN_E_clIS8_S8_S9_S9_EESK_S10_SL_SM_SN_EUlS10_E0_NS1_11comp_targetILNS1_3genE4ELNS1_11target_archE910ELNS1_3gpuE8ELNS1_3repE0EEENS1_38merge_mergepath_config_static_selectorELNS0_4arch9wavefront6targetE0EEEvSM_.uses_vcc, 0
	.set _ZN7rocprim17ROCPRIM_400000_NS6detail17trampoline_kernelINS0_14default_configENS1_38merge_sort_block_merge_config_selectorIlNS0_10empty_typeEEEZZNS1_27merge_sort_block_merge_implIS3_PlPS5_mZN2at6native12_GLOBAL__N_124unique_dim_cuda_templateImEESt5tupleIJNSA_6TensorESF_SF_EERKSF_lbbbEUlllE_EE10hipError_tT0_T1_T2_jT3_P12ihipStream_tbPNSt15iterator_traitsISL_E10value_typeEPNSR_ISM_E10value_typeEPSN_NS1_7vsmem_tEENKUlT_SL_SM_SN_E_clIS8_S8_S9_S9_EESK_S10_SL_SM_SN_EUlS10_E0_NS1_11comp_targetILNS1_3genE4ELNS1_11target_archE910ELNS1_3gpuE8ELNS1_3repE0EEENS1_38merge_mergepath_config_static_selectorELNS0_4arch9wavefront6targetE0EEEvSM_.uses_flat_scratch, 0
	.set _ZN7rocprim17ROCPRIM_400000_NS6detail17trampoline_kernelINS0_14default_configENS1_38merge_sort_block_merge_config_selectorIlNS0_10empty_typeEEEZZNS1_27merge_sort_block_merge_implIS3_PlPS5_mZN2at6native12_GLOBAL__N_124unique_dim_cuda_templateImEESt5tupleIJNSA_6TensorESF_SF_EERKSF_lbbbEUlllE_EE10hipError_tT0_T1_T2_jT3_P12ihipStream_tbPNSt15iterator_traitsISL_E10value_typeEPNSR_ISM_E10value_typeEPSN_NS1_7vsmem_tEENKUlT_SL_SM_SN_E_clIS8_S8_S9_S9_EESK_S10_SL_SM_SN_EUlS10_E0_NS1_11comp_targetILNS1_3genE4ELNS1_11target_archE910ELNS1_3gpuE8ELNS1_3repE0EEENS1_38merge_mergepath_config_static_selectorELNS0_4arch9wavefront6targetE0EEEvSM_.has_dyn_sized_stack, 0
	.set _ZN7rocprim17ROCPRIM_400000_NS6detail17trampoline_kernelINS0_14default_configENS1_38merge_sort_block_merge_config_selectorIlNS0_10empty_typeEEEZZNS1_27merge_sort_block_merge_implIS3_PlPS5_mZN2at6native12_GLOBAL__N_124unique_dim_cuda_templateImEESt5tupleIJNSA_6TensorESF_SF_EERKSF_lbbbEUlllE_EE10hipError_tT0_T1_T2_jT3_P12ihipStream_tbPNSt15iterator_traitsISL_E10value_typeEPNSR_ISM_E10value_typeEPSN_NS1_7vsmem_tEENKUlT_SL_SM_SN_E_clIS8_S8_S9_S9_EESK_S10_SL_SM_SN_EUlS10_E0_NS1_11comp_targetILNS1_3genE4ELNS1_11target_archE910ELNS1_3gpuE8ELNS1_3repE0EEENS1_38merge_mergepath_config_static_selectorELNS0_4arch9wavefront6targetE0EEEvSM_.has_recursion, 0
	.set _ZN7rocprim17ROCPRIM_400000_NS6detail17trampoline_kernelINS0_14default_configENS1_38merge_sort_block_merge_config_selectorIlNS0_10empty_typeEEEZZNS1_27merge_sort_block_merge_implIS3_PlPS5_mZN2at6native12_GLOBAL__N_124unique_dim_cuda_templateImEESt5tupleIJNSA_6TensorESF_SF_EERKSF_lbbbEUlllE_EE10hipError_tT0_T1_T2_jT3_P12ihipStream_tbPNSt15iterator_traitsISL_E10value_typeEPNSR_ISM_E10value_typeEPSN_NS1_7vsmem_tEENKUlT_SL_SM_SN_E_clIS8_S8_S9_S9_EESK_S10_SL_SM_SN_EUlS10_E0_NS1_11comp_targetILNS1_3genE4ELNS1_11target_archE910ELNS1_3gpuE8ELNS1_3repE0EEENS1_38merge_mergepath_config_static_selectorELNS0_4arch9wavefront6targetE0EEEvSM_.has_indirect_call, 0
	.section	.AMDGPU.csdata,"",@progbits
; Kernel info:
; codeLenInByte = 0
; TotalNumSgprs: 0
; NumVgprs: 0
; ScratchSize: 0
; MemoryBound: 0
; FloatMode: 240
; IeeeMode: 1
; LDSByteSize: 0 bytes/workgroup (compile time only)
; SGPRBlocks: 0
; VGPRBlocks: 0
; NumSGPRsForWavesPerEU: 1
; NumVGPRsForWavesPerEU: 1
; NamedBarCnt: 0
; Occupancy: 16
; WaveLimiterHint : 0
; COMPUTE_PGM_RSRC2:SCRATCH_EN: 0
; COMPUTE_PGM_RSRC2:USER_SGPR: 2
; COMPUTE_PGM_RSRC2:TRAP_HANDLER: 0
; COMPUTE_PGM_RSRC2:TGID_X_EN: 1
; COMPUTE_PGM_RSRC2:TGID_Y_EN: 0
; COMPUTE_PGM_RSRC2:TGID_Z_EN: 0
; COMPUTE_PGM_RSRC2:TIDIG_COMP_CNT: 0
	.section	.text._ZN7rocprim17ROCPRIM_400000_NS6detail17trampoline_kernelINS0_14default_configENS1_38merge_sort_block_merge_config_selectorIlNS0_10empty_typeEEEZZNS1_27merge_sort_block_merge_implIS3_PlPS5_mZN2at6native12_GLOBAL__N_124unique_dim_cuda_templateImEESt5tupleIJNSA_6TensorESF_SF_EERKSF_lbbbEUlllE_EE10hipError_tT0_T1_T2_jT3_P12ihipStream_tbPNSt15iterator_traitsISL_E10value_typeEPNSR_ISM_E10value_typeEPSN_NS1_7vsmem_tEENKUlT_SL_SM_SN_E_clIS8_S8_S9_S9_EESK_S10_SL_SM_SN_EUlS10_E0_NS1_11comp_targetILNS1_3genE3ELNS1_11target_archE908ELNS1_3gpuE7ELNS1_3repE0EEENS1_38merge_mergepath_config_static_selectorELNS0_4arch9wavefront6targetE0EEEvSM_,"axG",@progbits,_ZN7rocprim17ROCPRIM_400000_NS6detail17trampoline_kernelINS0_14default_configENS1_38merge_sort_block_merge_config_selectorIlNS0_10empty_typeEEEZZNS1_27merge_sort_block_merge_implIS3_PlPS5_mZN2at6native12_GLOBAL__N_124unique_dim_cuda_templateImEESt5tupleIJNSA_6TensorESF_SF_EERKSF_lbbbEUlllE_EE10hipError_tT0_T1_T2_jT3_P12ihipStream_tbPNSt15iterator_traitsISL_E10value_typeEPNSR_ISM_E10value_typeEPSN_NS1_7vsmem_tEENKUlT_SL_SM_SN_E_clIS8_S8_S9_S9_EESK_S10_SL_SM_SN_EUlS10_E0_NS1_11comp_targetILNS1_3genE3ELNS1_11target_archE908ELNS1_3gpuE7ELNS1_3repE0EEENS1_38merge_mergepath_config_static_selectorELNS0_4arch9wavefront6targetE0EEEvSM_,comdat
	.globl	_ZN7rocprim17ROCPRIM_400000_NS6detail17trampoline_kernelINS0_14default_configENS1_38merge_sort_block_merge_config_selectorIlNS0_10empty_typeEEEZZNS1_27merge_sort_block_merge_implIS3_PlPS5_mZN2at6native12_GLOBAL__N_124unique_dim_cuda_templateImEESt5tupleIJNSA_6TensorESF_SF_EERKSF_lbbbEUlllE_EE10hipError_tT0_T1_T2_jT3_P12ihipStream_tbPNSt15iterator_traitsISL_E10value_typeEPNSR_ISM_E10value_typeEPSN_NS1_7vsmem_tEENKUlT_SL_SM_SN_E_clIS8_S8_S9_S9_EESK_S10_SL_SM_SN_EUlS10_E0_NS1_11comp_targetILNS1_3genE3ELNS1_11target_archE908ELNS1_3gpuE7ELNS1_3repE0EEENS1_38merge_mergepath_config_static_selectorELNS0_4arch9wavefront6targetE0EEEvSM_ ; -- Begin function _ZN7rocprim17ROCPRIM_400000_NS6detail17trampoline_kernelINS0_14default_configENS1_38merge_sort_block_merge_config_selectorIlNS0_10empty_typeEEEZZNS1_27merge_sort_block_merge_implIS3_PlPS5_mZN2at6native12_GLOBAL__N_124unique_dim_cuda_templateImEESt5tupleIJNSA_6TensorESF_SF_EERKSF_lbbbEUlllE_EE10hipError_tT0_T1_T2_jT3_P12ihipStream_tbPNSt15iterator_traitsISL_E10value_typeEPNSR_ISM_E10value_typeEPSN_NS1_7vsmem_tEENKUlT_SL_SM_SN_E_clIS8_S8_S9_S9_EESK_S10_SL_SM_SN_EUlS10_E0_NS1_11comp_targetILNS1_3genE3ELNS1_11target_archE908ELNS1_3gpuE7ELNS1_3repE0EEENS1_38merge_mergepath_config_static_selectorELNS0_4arch9wavefront6targetE0EEEvSM_
	.p2align	8
	.type	_ZN7rocprim17ROCPRIM_400000_NS6detail17trampoline_kernelINS0_14default_configENS1_38merge_sort_block_merge_config_selectorIlNS0_10empty_typeEEEZZNS1_27merge_sort_block_merge_implIS3_PlPS5_mZN2at6native12_GLOBAL__N_124unique_dim_cuda_templateImEESt5tupleIJNSA_6TensorESF_SF_EERKSF_lbbbEUlllE_EE10hipError_tT0_T1_T2_jT3_P12ihipStream_tbPNSt15iterator_traitsISL_E10value_typeEPNSR_ISM_E10value_typeEPSN_NS1_7vsmem_tEENKUlT_SL_SM_SN_E_clIS8_S8_S9_S9_EESK_S10_SL_SM_SN_EUlS10_E0_NS1_11comp_targetILNS1_3genE3ELNS1_11target_archE908ELNS1_3gpuE7ELNS1_3repE0EEENS1_38merge_mergepath_config_static_selectorELNS0_4arch9wavefront6targetE0EEEvSM_,@function
_ZN7rocprim17ROCPRIM_400000_NS6detail17trampoline_kernelINS0_14default_configENS1_38merge_sort_block_merge_config_selectorIlNS0_10empty_typeEEEZZNS1_27merge_sort_block_merge_implIS3_PlPS5_mZN2at6native12_GLOBAL__N_124unique_dim_cuda_templateImEESt5tupleIJNSA_6TensorESF_SF_EERKSF_lbbbEUlllE_EE10hipError_tT0_T1_T2_jT3_P12ihipStream_tbPNSt15iterator_traitsISL_E10value_typeEPNSR_ISM_E10value_typeEPSN_NS1_7vsmem_tEENKUlT_SL_SM_SN_E_clIS8_S8_S9_S9_EESK_S10_SL_SM_SN_EUlS10_E0_NS1_11comp_targetILNS1_3genE3ELNS1_11target_archE908ELNS1_3gpuE7ELNS1_3repE0EEENS1_38merge_mergepath_config_static_selectorELNS0_4arch9wavefront6targetE0EEEvSM_: ; @_ZN7rocprim17ROCPRIM_400000_NS6detail17trampoline_kernelINS0_14default_configENS1_38merge_sort_block_merge_config_selectorIlNS0_10empty_typeEEEZZNS1_27merge_sort_block_merge_implIS3_PlPS5_mZN2at6native12_GLOBAL__N_124unique_dim_cuda_templateImEESt5tupleIJNSA_6TensorESF_SF_EERKSF_lbbbEUlllE_EE10hipError_tT0_T1_T2_jT3_P12ihipStream_tbPNSt15iterator_traitsISL_E10value_typeEPNSR_ISM_E10value_typeEPSN_NS1_7vsmem_tEENKUlT_SL_SM_SN_E_clIS8_S8_S9_S9_EESK_S10_SL_SM_SN_EUlS10_E0_NS1_11comp_targetILNS1_3genE3ELNS1_11target_archE908ELNS1_3gpuE7ELNS1_3repE0EEENS1_38merge_mergepath_config_static_selectorELNS0_4arch9wavefront6targetE0EEEvSM_
; %bb.0:
	.section	.rodata,"a",@progbits
	.p2align	6, 0x0
	.amdhsa_kernel _ZN7rocprim17ROCPRIM_400000_NS6detail17trampoline_kernelINS0_14default_configENS1_38merge_sort_block_merge_config_selectorIlNS0_10empty_typeEEEZZNS1_27merge_sort_block_merge_implIS3_PlPS5_mZN2at6native12_GLOBAL__N_124unique_dim_cuda_templateImEESt5tupleIJNSA_6TensorESF_SF_EERKSF_lbbbEUlllE_EE10hipError_tT0_T1_T2_jT3_P12ihipStream_tbPNSt15iterator_traitsISL_E10value_typeEPNSR_ISM_E10value_typeEPSN_NS1_7vsmem_tEENKUlT_SL_SM_SN_E_clIS8_S8_S9_S9_EESK_S10_SL_SM_SN_EUlS10_E0_NS1_11comp_targetILNS1_3genE3ELNS1_11target_archE908ELNS1_3gpuE7ELNS1_3repE0EEENS1_38merge_mergepath_config_static_selectorELNS0_4arch9wavefront6targetE0EEEvSM_
		.amdhsa_group_segment_fixed_size 0
		.amdhsa_private_segment_fixed_size 0
		.amdhsa_kernarg_size 88
		.amdhsa_user_sgpr_count 2
		.amdhsa_user_sgpr_dispatch_ptr 0
		.amdhsa_user_sgpr_queue_ptr 0
		.amdhsa_user_sgpr_kernarg_segment_ptr 1
		.amdhsa_user_sgpr_dispatch_id 0
		.amdhsa_user_sgpr_kernarg_preload_length 0
		.amdhsa_user_sgpr_kernarg_preload_offset 0
		.amdhsa_user_sgpr_private_segment_size 0
		.amdhsa_wavefront_size32 1
		.amdhsa_uses_dynamic_stack 0
		.amdhsa_enable_private_segment 0
		.amdhsa_system_sgpr_workgroup_id_x 1
		.amdhsa_system_sgpr_workgroup_id_y 0
		.amdhsa_system_sgpr_workgroup_id_z 0
		.amdhsa_system_sgpr_workgroup_info 0
		.amdhsa_system_vgpr_workitem_id 0
		.amdhsa_next_free_vgpr 1
		.amdhsa_next_free_sgpr 1
		.amdhsa_named_barrier_count 0
		.amdhsa_reserve_vcc 0
		.amdhsa_float_round_mode_32 0
		.amdhsa_float_round_mode_16_64 0
		.amdhsa_float_denorm_mode_32 3
		.amdhsa_float_denorm_mode_16_64 3
		.amdhsa_fp16_overflow 0
		.amdhsa_memory_ordered 1
		.amdhsa_forward_progress 1
		.amdhsa_inst_pref_size 0
		.amdhsa_round_robin_scheduling 0
		.amdhsa_exception_fp_ieee_invalid_op 0
		.amdhsa_exception_fp_denorm_src 0
		.amdhsa_exception_fp_ieee_div_zero 0
		.amdhsa_exception_fp_ieee_overflow 0
		.amdhsa_exception_fp_ieee_underflow 0
		.amdhsa_exception_fp_ieee_inexact 0
		.amdhsa_exception_int_div_zero 0
	.end_amdhsa_kernel
	.section	.text._ZN7rocprim17ROCPRIM_400000_NS6detail17trampoline_kernelINS0_14default_configENS1_38merge_sort_block_merge_config_selectorIlNS0_10empty_typeEEEZZNS1_27merge_sort_block_merge_implIS3_PlPS5_mZN2at6native12_GLOBAL__N_124unique_dim_cuda_templateImEESt5tupleIJNSA_6TensorESF_SF_EERKSF_lbbbEUlllE_EE10hipError_tT0_T1_T2_jT3_P12ihipStream_tbPNSt15iterator_traitsISL_E10value_typeEPNSR_ISM_E10value_typeEPSN_NS1_7vsmem_tEENKUlT_SL_SM_SN_E_clIS8_S8_S9_S9_EESK_S10_SL_SM_SN_EUlS10_E0_NS1_11comp_targetILNS1_3genE3ELNS1_11target_archE908ELNS1_3gpuE7ELNS1_3repE0EEENS1_38merge_mergepath_config_static_selectorELNS0_4arch9wavefront6targetE0EEEvSM_,"axG",@progbits,_ZN7rocprim17ROCPRIM_400000_NS6detail17trampoline_kernelINS0_14default_configENS1_38merge_sort_block_merge_config_selectorIlNS0_10empty_typeEEEZZNS1_27merge_sort_block_merge_implIS3_PlPS5_mZN2at6native12_GLOBAL__N_124unique_dim_cuda_templateImEESt5tupleIJNSA_6TensorESF_SF_EERKSF_lbbbEUlllE_EE10hipError_tT0_T1_T2_jT3_P12ihipStream_tbPNSt15iterator_traitsISL_E10value_typeEPNSR_ISM_E10value_typeEPSN_NS1_7vsmem_tEENKUlT_SL_SM_SN_E_clIS8_S8_S9_S9_EESK_S10_SL_SM_SN_EUlS10_E0_NS1_11comp_targetILNS1_3genE3ELNS1_11target_archE908ELNS1_3gpuE7ELNS1_3repE0EEENS1_38merge_mergepath_config_static_selectorELNS0_4arch9wavefront6targetE0EEEvSM_,comdat
.Lfunc_end1626:
	.size	_ZN7rocprim17ROCPRIM_400000_NS6detail17trampoline_kernelINS0_14default_configENS1_38merge_sort_block_merge_config_selectorIlNS0_10empty_typeEEEZZNS1_27merge_sort_block_merge_implIS3_PlPS5_mZN2at6native12_GLOBAL__N_124unique_dim_cuda_templateImEESt5tupleIJNSA_6TensorESF_SF_EERKSF_lbbbEUlllE_EE10hipError_tT0_T1_T2_jT3_P12ihipStream_tbPNSt15iterator_traitsISL_E10value_typeEPNSR_ISM_E10value_typeEPSN_NS1_7vsmem_tEENKUlT_SL_SM_SN_E_clIS8_S8_S9_S9_EESK_S10_SL_SM_SN_EUlS10_E0_NS1_11comp_targetILNS1_3genE3ELNS1_11target_archE908ELNS1_3gpuE7ELNS1_3repE0EEENS1_38merge_mergepath_config_static_selectorELNS0_4arch9wavefront6targetE0EEEvSM_, .Lfunc_end1626-_ZN7rocprim17ROCPRIM_400000_NS6detail17trampoline_kernelINS0_14default_configENS1_38merge_sort_block_merge_config_selectorIlNS0_10empty_typeEEEZZNS1_27merge_sort_block_merge_implIS3_PlPS5_mZN2at6native12_GLOBAL__N_124unique_dim_cuda_templateImEESt5tupleIJNSA_6TensorESF_SF_EERKSF_lbbbEUlllE_EE10hipError_tT0_T1_T2_jT3_P12ihipStream_tbPNSt15iterator_traitsISL_E10value_typeEPNSR_ISM_E10value_typeEPSN_NS1_7vsmem_tEENKUlT_SL_SM_SN_E_clIS8_S8_S9_S9_EESK_S10_SL_SM_SN_EUlS10_E0_NS1_11comp_targetILNS1_3genE3ELNS1_11target_archE908ELNS1_3gpuE7ELNS1_3repE0EEENS1_38merge_mergepath_config_static_selectorELNS0_4arch9wavefront6targetE0EEEvSM_
                                        ; -- End function
	.set _ZN7rocprim17ROCPRIM_400000_NS6detail17trampoline_kernelINS0_14default_configENS1_38merge_sort_block_merge_config_selectorIlNS0_10empty_typeEEEZZNS1_27merge_sort_block_merge_implIS3_PlPS5_mZN2at6native12_GLOBAL__N_124unique_dim_cuda_templateImEESt5tupleIJNSA_6TensorESF_SF_EERKSF_lbbbEUlllE_EE10hipError_tT0_T1_T2_jT3_P12ihipStream_tbPNSt15iterator_traitsISL_E10value_typeEPNSR_ISM_E10value_typeEPSN_NS1_7vsmem_tEENKUlT_SL_SM_SN_E_clIS8_S8_S9_S9_EESK_S10_SL_SM_SN_EUlS10_E0_NS1_11comp_targetILNS1_3genE3ELNS1_11target_archE908ELNS1_3gpuE7ELNS1_3repE0EEENS1_38merge_mergepath_config_static_selectorELNS0_4arch9wavefront6targetE0EEEvSM_.num_vgpr, 0
	.set _ZN7rocprim17ROCPRIM_400000_NS6detail17trampoline_kernelINS0_14default_configENS1_38merge_sort_block_merge_config_selectorIlNS0_10empty_typeEEEZZNS1_27merge_sort_block_merge_implIS3_PlPS5_mZN2at6native12_GLOBAL__N_124unique_dim_cuda_templateImEESt5tupleIJNSA_6TensorESF_SF_EERKSF_lbbbEUlllE_EE10hipError_tT0_T1_T2_jT3_P12ihipStream_tbPNSt15iterator_traitsISL_E10value_typeEPNSR_ISM_E10value_typeEPSN_NS1_7vsmem_tEENKUlT_SL_SM_SN_E_clIS8_S8_S9_S9_EESK_S10_SL_SM_SN_EUlS10_E0_NS1_11comp_targetILNS1_3genE3ELNS1_11target_archE908ELNS1_3gpuE7ELNS1_3repE0EEENS1_38merge_mergepath_config_static_selectorELNS0_4arch9wavefront6targetE0EEEvSM_.num_agpr, 0
	.set _ZN7rocprim17ROCPRIM_400000_NS6detail17trampoline_kernelINS0_14default_configENS1_38merge_sort_block_merge_config_selectorIlNS0_10empty_typeEEEZZNS1_27merge_sort_block_merge_implIS3_PlPS5_mZN2at6native12_GLOBAL__N_124unique_dim_cuda_templateImEESt5tupleIJNSA_6TensorESF_SF_EERKSF_lbbbEUlllE_EE10hipError_tT0_T1_T2_jT3_P12ihipStream_tbPNSt15iterator_traitsISL_E10value_typeEPNSR_ISM_E10value_typeEPSN_NS1_7vsmem_tEENKUlT_SL_SM_SN_E_clIS8_S8_S9_S9_EESK_S10_SL_SM_SN_EUlS10_E0_NS1_11comp_targetILNS1_3genE3ELNS1_11target_archE908ELNS1_3gpuE7ELNS1_3repE0EEENS1_38merge_mergepath_config_static_selectorELNS0_4arch9wavefront6targetE0EEEvSM_.numbered_sgpr, 0
	.set _ZN7rocprim17ROCPRIM_400000_NS6detail17trampoline_kernelINS0_14default_configENS1_38merge_sort_block_merge_config_selectorIlNS0_10empty_typeEEEZZNS1_27merge_sort_block_merge_implIS3_PlPS5_mZN2at6native12_GLOBAL__N_124unique_dim_cuda_templateImEESt5tupleIJNSA_6TensorESF_SF_EERKSF_lbbbEUlllE_EE10hipError_tT0_T1_T2_jT3_P12ihipStream_tbPNSt15iterator_traitsISL_E10value_typeEPNSR_ISM_E10value_typeEPSN_NS1_7vsmem_tEENKUlT_SL_SM_SN_E_clIS8_S8_S9_S9_EESK_S10_SL_SM_SN_EUlS10_E0_NS1_11comp_targetILNS1_3genE3ELNS1_11target_archE908ELNS1_3gpuE7ELNS1_3repE0EEENS1_38merge_mergepath_config_static_selectorELNS0_4arch9wavefront6targetE0EEEvSM_.num_named_barrier, 0
	.set _ZN7rocprim17ROCPRIM_400000_NS6detail17trampoline_kernelINS0_14default_configENS1_38merge_sort_block_merge_config_selectorIlNS0_10empty_typeEEEZZNS1_27merge_sort_block_merge_implIS3_PlPS5_mZN2at6native12_GLOBAL__N_124unique_dim_cuda_templateImEESt5tupleIJNSA_6TensorESF_SF_EERKSF_lbbbEUlllE_EE10hipError_tT0_T1_T2_jT3_P12ihipStream_tbPNSt15iterator_traitsISL_E10value_typeEPNSR_ISM_E10value_typeEPSN_NS1_7vsmem_tEENKUlT_SL_SM_SN_E_clIS8_S8_S9_S9_EESK_S10_SL_SM_SN_EUlS10_E0_NS1_11comp_targetILNS1_3genE3ELNS1_11target_archE908ELNS1_3gpuE7ELNS1_3repE0EEENS1_38merge_mergepath_config_static_selectorELNS0_4arch9wavefront6targetE0EEEvSM_.private_seg_size, 0
	.set _ZN7rocprim17ROCPRIM_400000_NS6detail17trampoline_kernelINS0_14default_configENS1_38merge_sort_block_merge_config_selectorIlNS0_10empty_typeEEEZZNS1_27merge_sort_block_merge_implIS3_PlPS5_mZN2at6native12_GLOBAL__N_124unique_dim_cuda_templateImEESt5tupleIJNSA_6TensorESF_SF_EERKSF_lbbbEUlllE_EE10hipError_tT0_T1_T2_jT3_P12ihipStream_tbPNSt15iterator_traitsISL_E10value_typeEPNSR_ISM_E10value_typeEPSN_NS1_7vsmem_tEENKUlT_SL_SM_SN_E_clIS8_S8_S9_S9_EESK_S10_SL_SM_SN_EUlS10_E0_NS1_11comp_targetILNS1_3genE3ELNS1_11target_archE908ELNS1_3gpuE7ELNS1_3repE0EEENS1_38merge_mergepath_config_static_selectorELNS0_4arch9wavefront6targetE0EEEvSM_.uses_vcc, 0
	.set _ZN7rocprim17ROCPRIM_400000_NS6detail17trampoline_kernelINS0_14default_configENS1_38merge_sort_block_merge_config_selectorIlNS0_10empty_typeEEEZZNS1_27merge_sort_block_merge_implIS3_PlPS5_mZN2at6native12_GLOBAL__N_124unique_dim_cuda_templateImEESt5tupleIJNSA_6TensorESF_SF_EERKSF_lbbbEUlllE_EE10hipError_tT0_T1_T2_jT3_P12ihipStream_tbPNSt15iterator_traitsISL_E10value_typeEPNSR_ISM_E10value_typeEPSN_NS1_7vsmem_tEENKUlT_SL_SM_SN_E_clIS8_S8_S9_S9_EESK_S10_SL_SM_SN_EUlS10_E0_NS1_11comp_targetILNS1_3genE3ELNS1_11target_archE908ELNS1_3gpuE7ELNS1_3repE0EEENS1_38merge_mergepath_config_static_selectorELNS0_4arch9wavefront6targetE0EEEvSM_.uses_flat_scratch, 0
	.set _ZN7rocprim17ROCPRIM_400000_NS6detail17trampoline_kernelINS0_14default_configENS1_38merge_sort_block_merge_config_selectorIlNS0_10empty_typeEEEZZNS1_27merge_sort_block_merge_implIS3_PlPS5_mZN2at6native12_GLOBAL__N_124unique_dim_cuda_templateImEESt5tupleIJNSA_6TensorESF_SF_EERKSF_lbbbEUlllE_EE10hipError_tT0_T1_T2_jT3_P12ihipStream_tbPNSt15iterator_traitsISL_E10value_typeEPNSR_ISM_E10value_typeEPSN_NS1_7vsmem_tEENKUlT_SL_SM_SN_E_clIS8_S8_S9_S9_EESK_S10_SL_SM_SN_EUlS10_E0_NS1_11comp_targetILNS1_3genE3ELNS1_11target_archE908ELNS1_3gpuE7ELNS1_3repE0EEENS1_38merge_mergepath_config_static_selectorELNS0_4arch9wavefront6targetE0EEEvSM_.has_dyn_sized_stack, 0
	.set _ZN7rocprim17ROCPRIM_400000_NS6detail17trampoline_kernelINS0_14default_configENS1_38merge_sort_block_merge_config_selectorIlNS0_10empty_typeEEEZZNS1_27merge_sort_block_merge_implIS3_PlPS5_mZN2at6native12_GLOBAL__N_124unique_dim_cuda_templateImEESt5tupleIJNSA_6TensorESF_SF_EERKSF_lbbbEUlllE_EE10hipError_tT0_T1_T2_jT3_P12ihipStream_tbPNSt15iterator_traitsISL_E10value_typeEPNSR_ISM_E10value_typeEPSN_NS1_7vsmem_tEENKUlT_SL_SM_SN_E_clIS8_S8_S9_S9_EESK_S10_SL_SM_SN_EUlS10_E0_NS1_11comp_targetILNS1_3genE3ELNS1_11target_archE908ELNS1_3gpuE7ELNS1_3repE0EEENS1_38merge_mergepath_config_static_selectorELNS0_4arch9wavefront6targetE0EEEvSM_.has_recursion, 0
	.set _ZN7rocprim17ROCPRIM_400000_NS6detail17trampoline_kernelINS0_14default_configENS1_38merge_sort_block_merge_config_selectorIlNS0_10empty_typeEEEZZNS1_27merge_sort_block_merge_implIS3_PlPS5_mZN2at6native12_GLOBAL__N_124unique_dim_cuda_templateImEESt5tupleIJNSA_6TensorESF_SF_EERKSF_lbbbEUlllE_EE10hipError_tT0_T1_T2_jT3_P12ihipStream_tbPNSt15iterator_traitsISL_E10value_typeEPNSR_ISM_E10value_typeEPSN_NS1_7vsmem_tEENKUlT_SL_SM_SN_E_clIS8_S8_S9_S9_EESK_S10_SL_SM_SN_EUlS10_E0_NS1_11comp_targetILNS1_3genE3ELNS1_11target_archE908ELNS1_3gpuE7ELNS1_3repE0EEENS1_38merge_mergepath_config_static_selectorELNS0_4arch9wavefront6targetE0EEEvSM_.has_indirect_call, 0
	.section	.AMDGPU.csdata,"",@progbits
; Kernel info:
; codeLenInByte = 0
; TotalNumSgprs: 0
; NumVgprs: 0
; ScratchSize: 0
; MemoryBound: 0
; FloatMode: 240
; IeeeMode: 1
; LDSByteSize: 0 bytes/workgroup (compile time only)
; SGPRBlocks: 0
; VGPRBlocks: 0
; NumSGPRsForWavesPerEU: 1
; NumVGPRsForWavesPerEU: 1
; NamedBarCnt: 0
; Occupancy: 16
; WaveLimiterHint : 0
; COMPUTE_PGM_RSRC2:SCRATCH_EN: 0
; COMPUTE_PGM_RSRC2:USER_SGPR: 2
; COMPUTE_PGM_RSRC2:TRAP_HANDLER: 0
; COMPUTE_PGM_RSRC2:TGID_X_EN: 1
; COMPUTE_PGM_RSRC2:TGID_Y_EN: 0
; COMPUTE_PGM_RSRC2:TGID_Z_EN: 0
; COMPUTE_PGM_RSRC2:TIDIG_COMP_CNT: 0
	.section	.text._ZN7rocprim17ROCPRIM_400000_NS6detail17trampoline_kernelINS0_14default_configENS1_38merge_sort_block_merge_config_selectorIlNS0_10empty_typeEEEZZNS1_27merge_sort_block_merge_implIS3_PlPS5_mZN2at6native12_GLOBAL__N_124unique_dim_cuda_templateImEESt5tupleIJNSA_6TensorESF_SF_EERKSF_lbbbEUlllE_EE10hipError_tT0_T1_T2_jT3_P12ihipStream_tbPNSt15iterator_traitsISL_E10value_typeEPNSR_ISM_E10value_typeEPSN_NS1_7vsmem_tEENKUlT_SL_SM_SN_E_clIS8_S8_S9_S9_EESK_S10_SL_SM_SN_EUlS10_E0_NS1_11comp_targetILNS1_3genE2ELNS1_11target_archE906ELNS1_3gpuE6ELNS1_3repE0EEENS1_38merge_mergepath_config_static_selectorELNS0_4arch9wavefront6targetE0EEEvSM_,"axG",@progbits,_ZN7rocprim17ROCPRIM_400000_NS6detail17trampoline_kernelINS0_14default_configENS1_38merge_sort_block_merge_config_selectorIlNS0_10empty_typeEEEZZNS1_27merge_sort_block_merge_implIS3_PlPS5_mZN2at6native12_GLOBAL__N_124unique_dim_cuda_templateImEESt5tupleIJNSA_6TensorESF_SF_EERKSF_lbbbEUlllE_EE10hipError_tT0_T1_T2_jT3_P12ihipStream_tbPNSt15iterator_traitsISL_E10value_typeEPNSR_ISM_E10value_typeEPSN_NS1_7vsmem_tEENKUlT_SL_SM_SN_E_clIS8_S8_S9_S9_EESK_S10_SL_SM_SN_EUlS10_E0_NS1_11comp_targetILNS1_3genE2ELNS1_11target_archE906ELNS1_3gpuE6ELNS1_3repE0EEENS1_38merge_mergepath_config_static_selectorELNS0_4arch9wavefront6targetE0EEEvSM_,comdat
	.globl	_ZN7rocprim17ROCPRIM_400000_NS6detail17trampoline_kernelINS0_14default_configENS1_38merge_sort_block_merge_config_selectorIlNS0_10empty_typeEEEZZNS1_27merge_sort_block_merge_implIS3_PlPS5_mZN2at6native12_GLOBAL__N_124unique_dim_cuda_templateImEESt5tupleIJNSA_6TensorESF_SF_EERKSF_lbbbEUlllE_EE10hipError_tT0_T1_T2_jT3_P12ihipStream_tbPNSt15iterator_traitsISL_E10value_typeEPNSR_ISM_E10value_typeEPSN_NS1_7vsmem_tEENKUlT_SL_SM_SN_E_clIS8_S8_S9_S9_EESK_S10_SL_SM_SN_EUlS10_E0_NS1_11comp_targetILNS1_3genE2ELNS1_11target_archE906ELNS1_3gpuE6ELNS1_3repE0EEENS1_38merge_mergepath_config_static_selectorELNS0_4arch9wavefront6targetE0EEEvSM_ ; -- Begin function _ZN7rocprim17ROCPRIM_400000_NS6detail17trampoline_kernelINS0_14default_configENS1_38merge_sort_block_merge_config_selectorIlNS0_10empty_typeEEEZZNS1_27merge_sort_block_merge_implIS3_PlPS5_mZN2at6native12_GLOBAL__N_124unique_dim_cuda_templateImEESt5tupleIJNSA_6TensorESF_SF_EERKSF_lbbbEUlllE_EE10hipError_tT0_T1_T2_jT3_P12ihipStream_tbPNSt15iterator_traitsISL_E10value_typeEPNSR_ISM_E10value_typeEPSN_NS1_7vsmem_tEENKUlT_SL_SM_SN_E_clIS8_S8_S9_S9_EESK_S10_SL_SM_SN_EUlS10_E0_NS1_11comp_targetILNS1_3genE2ELNS1_11target_archE906ELNS1_3gpuE6ELNS1_3repE0EEENS1_38merge_mergepath_config_static_selectorELNS0_4arch9wavefront6targetE0EEEvSM_
	.p2align	8
	.type	_ZN7rocprim17ROCPRIM_400000_NS6detail17trampoline_kernelINS0_14default_configENS1_38merge_sort_block_merge_config_selectorIlNS0_10empty_typeEEEZZNS1_27merge_sort_block_merge_implIS3_PlPS5_mZN2at6native12_GLOBAL__N_124unique_dim_cuda_templateImEESt5tupleIJNSA_6TensorESF_SF_EERKSF_lbbbEUlllE_EE10hipError_tT0_T1_T2_jT3_P12ihipStream_tbPNSt15iterator_traitsISL_E10value_typeEPNSR_ISM_E10value_typeEPSN_NS1_7vsmem_tEENKUlT_SL_SM_SN_E_clIS8_S8_S9_S9_EESK_S10_SL_SM_SN_EUlS10_E0_NS1_11comp_targetILNS1_3genE2ELNS1_11target_archE906ELNS1_3gpuE6ELNS1_3repE0EEENS1_38merge_mergepath_config_static_selectorELNS0_4arch9wavefront6targetE0EEEvSM_,@function
_ZN7rocprim17ROCPRIM_400000_NS6detail17trampoline_kernelINS0_14default_configENS1_38merge_sort_block_merge_config_selectorIlNS0_10empty_typeEEEZZNS1_27merge_sort_block_merge_implIS3_PlPS5_mZN2at6native12_GLOBAL__N_124unique_dim_cuda_templateImEESt5tupleIJNSA_6TensorESF_SF_EERKSF_lbbbEUlllE_EE10hipError_tT0_T1_T2_jT3_P12ihipStream_tbPNSt15iterator_traitsISL_E10value_typeEPNSR_ISM_E10value_typeEPSN_NS1_7vsmem_tEENKUlT_SL_SM_SN_E_clIS8_S8_S9_S9_EESK_S10_SL_SM_SN_EUlS10_E0_NS1_11comp_targetILNS1_3genE2ELNS1_11target_archE906ELNS1_3gpuE6ELNS1_3repE0EEENS1_38merge_mergepath_config_static_selectorELNS0_4arch9wavefront6targetE0EEEvSM_: ; @_ZN7rocprim17ROCPRIM_400000_NS6detail17trampoline_kernelINS0_14default_configENS1_38merge_sort_block_merge_config_selectorIlNS0_10empty_typeEEEZZNS1_27merge_sort_block_merge_implIS3_PlPS5_mZN2at6native12_GLOBAL__N_124unique_dim_cuda_templateImEESt5tupleIJNSA_6TensorESF_SF_EERKSF_lbbbEUlllE_EE10hipError_tT0_T1_T2_jT3_P12ihipStream_tbPNSt15iterator_traitsISL_E10value_typeEPNSR_ISM_E10value_typeEPSN_NS1_7vsmem_tEENKUlT_SL_SM_SN_E_clIS8_S8_S9_S9_EESK_S10_SL_SM_SN_EUlS10_E0_NS1_11comp_targetILNS1_3genE2ELNS1_11target_archE906ELNS1_3gpuE6ELNS1_3repE0EEENS1_38merge_mergepath_config_static_selectorELNS0_4arch9wavefront6targetE0EEEvSM_
; %bb.0:
	.section	.rodata,"a",@progbits
	.p2align	6, 0x0
	.amdhsa_kernel _ZN7rocprim17ROCPRIM_400000_NS6detail17trampoline_kernelINS0_14default_configENS1_38merge_sort_block_merge_config_selectorIlNS0_10empty_typeEEEZZNS1_27merge_sort_block_merge_implIS3_PlPS5_mZN2at6native12_GLOBAL__N_124unique_dim_cuda_templateImEESt5tupleIJNSA_6TensorESF_SF_EERKSF_lbbbEUlllE_EE10hipError_tT0_T1_T2_jT3_P12ihipStream_tbPNSt15iterator_traitsISL_E10value_typeEPNSR_ISM_E10value_typeEPSN_NS1_7vsmem_tEENKUlT_SL_SM_SN_E_clIS8_S8_S9_S9_EESK_S10_SL_SM_SN_EUlS10_E0_NS1_11comp_targetILNS1_3genE2ELNS1_11target_archE906ELNS1_3gpuE6ELNS1_3repE0EEENS1_38merge_mergepath_config_static_selectorELNS0_4arch9wavefront6targetE0EEEvSM_
		.amdhsa_group_segment_fixed_size 0
		.amdhsa_private_segment_fixed_size 0
		.amdhsa_kernarg_size 88
		.amdhsa_user_sgpr_count 2
		.amdhsa_user_sgpr_dispatch_ptr 0
		.amdhsa_user_sgpr_queue_ptr 0
		.amdhsa_user_sgpr_kernarg_segment_ptr 1
		.amdhsa_user_sgpr_dispatch_id 0
		.amdhsa_user_sgpr_kernarg_preload_length 0
		.amdhsa_user_sgpr_kernarg_preload_offset 0
		.amdhsa_user_sgpr_private_segment_size 0
		.amdhsa_wavefront_size32 1
		.amdhsa_uses_dynamic_stack 0
		.amdhsa_enable_private_segment 0
		.amdhsa_system_sgpr_workgroup_id_x 1
		.amdhsa_system_sgpr_workgroup_id_y 0
		.amdhsa_system_sgpr_workgroup_id_z 0
		.amdhsa_system_sgpr_workgroup_info 0
		.amdhsa_system_vgpr_workitem_id 0
		.amdhsa_next_free_vgpr 1
		.amdhsa_next_free_sgpr 1
		.amdhsa_named_barrier_count 0
		.amdhsa_reserve_vcc 0
		.amdhsa_float_round_mode_32 0
		.amdhsa_float_round_mode_16_64 0
		.amdhsa_float_denorm_mode_32 3
		.amdhsa_float_denorm_mode_16_64 3
		.amdhsa_fp16_overflow 0
		.amdhsa_memory_ordered 1
		.amdhsa_forward_progress 1
		.amdhsa_inst_pref_size 0
		.amdhsa_round_robin_scheduling 0
		.amdhsa_exception_fp_ieee_invalid_op 0
		.amdhsa_exception_fp_denorm_src 0
		.amdhsa_exception_fp_ieee_div_zero 0
		.amdhsa_exception_fp_ieee_overflow 0
		.amdhsa_exception_fp_ieee_underflow 0
		.amdhsa_exception_fp_ieee_inexact 0
		.amdhsa_exception_int_div_zero 0
	.end_amdhsa_kernel
	.section	.text._ZN7rocprim17ROCPRIM_400000_NS6detail17trampoline_kernelINS0_14default_configENS1_38merge_sort_block_merge_config_selectorIlNS0_10empty_typeEEEZZNS1_27merge_sort_block_merge_implIS3_PlPS5_mZN2at6native12_GLOBAL__N_124unique_dim_cuda_templateImEESt5tupleIJNSA_6TensorESF_SF_EERKSF_lbbbEUlllE_EE10hipError_tT0_T1_T2_jT3_P12ihipStream_tbPNSt15iterator_traitsISL_E10value_typeEPNSR_ISM_E10value_typeEPSN_NS1_7vsmem_tEENKUlT_SL_SM_SN_E_clIS8_S8_S9_S9_EESK_S10_SL_SM_SN_EUlS10_E0_NS1_11comp_targetILNS1_3genE2ELNS1_11target_archE906ELNS1_3gpuE6ELNS1_3repE0EEENS1_38merge_mergepath_config_static_selectorELNS0_4arch9wavefront6targetE0EEEvSM_,"axG",@progbits,_ZN7rocprim17ROCPRIM_400000_NS6detail17trampoline_kernelINS0_14default_configENS1_38merge_sort_block_merge_config_selectorIlNS0_10empty_typeEEEZZNS1_27merge_sort_block_merge_implIS3_PlPS5_mZN2at6native12_GLOBAL__N_124unique_dim_cuda_templateImEESt5tupleIJNSA_6TensorESF_SF_EERKSF_lbbbEUlllE_EE10hipError_tT0_T1_T2_jT3_P12ihipStream_tbPNSt15iterator_traitsISL_E10value_typeEPNSR_ISM_E10value_typeEPSN_NS1_7vsmem_tEENKUlT_SL_SM_SN_E_clIS8_S8_S9_S9_EESK_S10_SL_SM_SN_EUlS10_E0_NS1_11comp_targetILNS1_3genE2ELNS1_11target_archE906ELNS1_3gpuE6ELNS1_3repE0EEENS1_38merge_mergepath_config_static_selectorELNS0_4arch9wavefront6targetE0EEEvSM_,comdat
.Lfunc_end1627:
	.size	_ZN7rocprim17ROCPRIM_400000_NS6detail17trampoline_kernelINS0_14default_configENS1_38merge_sort_block_merge_config_selectorIlNS0_10empty_typeEEEZZNS1_27merge_sort_block_merge_implIS3_PlPS5_mZN2at6native12_GLOBAL__N_124unique_dim_cuda_templateImEESt5tupleIJNSA_6TensorESF_SF_EERKSF_lbbbEUlllE_EE10hipError_tT0_T1_T2_jT3_P12ihipStream_tbPNSt15iterator_traitsISL_E10value_typeEPNSR_ISM_E10value_typeEPSN_NS1_7vsmem_tEENKUlT_SL_SM_SN_E_clIS8_S8_S9_S9_EESK_S10_SL_SM_SN_EUlS10_E0_NS1_11comp_targetILNS1_3genE2ELNS1_11target_archE906ELNS1_3gpuE6ELNS1_3repE0EEENS1_38merge_mergepath_config_static_selectorELNS0_4arch9wavefront6targetE0EEEvSM_, .Lfunc_end1627-_ZN7rocprim17ROCPRIM_400000_NS6detail17trampoline_kernelINS0_14default_configENS1_38merge_sort_block_merge_config_selectorIlNS0_10empty_typeEEEZZNS1_27merge_sort_block_merge_implIS3_PlPS5_mZN2at6native12_GLOBAL__N_124unique_dim_cuda_templateImEESt5tupleIJNSA_6TensorESF_SF_EERKSF_lbbbEUlllE_EE10hipError_tT0_T1_T2_jT3_P12ihipStream_tbPNSt15iterator_traitsISL_E10value_typeEPNSR_ISM_E10value_typeEPSN_NS1_7vsmem_tEENKUlT_SL_SM_SN_E_clIS8_S8_S9_S9_EESK_S10_SL_SM_SN_EUlS10_E0_NS1_11comp_targetILNS1_3genE2ELNS1_11target_archE906ELNS1_3gpuE6ELNS1_3repE0EEENS1_38merge_mergepath_config_static_selectorELNS0_4arch9wavefront6targetE0EEEvSM_
                                        ; -- End function
	.set _ZN7rocprim17ROCPRIM_400000_NS6detail17trampoline_kernelINS0_14default_configENS1_38merge_sort_block_merge_config_selectorIlNS0_10empty_typeEEEZZNS1_27merge_sort_block_merge_implIS3_PlPS5_mZN2at6native12_GLOBAL__N_124unique_dim_cuda_templateImEESt5tupleIJNSA_6TensorESF_SF_EERKSF_lbbbEUlllE_EE10hipError_tT0_T1_T2_jT3_P12ihipStream_tbPNSt15iterator_traitsISL_E10value_typeEPNSR_ISM_E10value_typeEPSN_NS1_7vsmem_tEENKUlT_SL_SM_SN_E_clIS8_S8_S9_S9_EESK_S10_SL_SM_SN_EUlS10_E0_NS1_11comp_targetILNS1_3genE2ELNS1_11target_archE906ELNS1_3gpuE6ELNS1_3repE0EEENS1_38merge_mergepath_config_static_selectorELNS0_4arch9wavefront6targetE0EEEvSM_.num_vgpr, 0
	.set _ZN7rocprim17ROCPRIM_400000_NS6detail17trampoline_kernelINS0_14default_configENS1_38merge_sort_block_merge_config_selectorIlNS0_10empty_typeEEEZZNS1_27merge_sort_block_merge_implIS3_PlPS5_mZN2at6native12_GLOBAL__N_124unique_dim_cuda_templateImEESt5tupleIJNSA_6TensorESF_SF_EERKSF_lbbbEUlllE_EE10hipError_tT0_T1_T2_jT3_P12ihipStream_tbPNSt15iterator_traitsISL_E10value_typeEPNSR_ISM_E10value_typeEPSN_NS1_7vsmem_tEENKUlT_SL_SM_SN_E_clIS8_S8_S9_S9_EESK_S10_SL_SM_SN_EUlS10_E0_NS1_11comp_targetILNS1_3genE2ELNS1_11target_archE906ELNS1_3gpuE6ELNS1_3repE0EEENS1_38merge_mergepath_config_static_selectorELNS0_4arch9wavefront6targetE0EEEvSM_.num_agpr, 0
	.set _ZN7rocprim17ROCPRIM_400000_NS6detail17trampoline_kernelINS0_14default_configENS1_38merge_sort_block_merge_config_selectorIlNS0_10empty_typeEEEZZNS1_27merge_sort_block_merge_implIS3_PlPS5_mZN2at6native12_GLOBAL__N_124unique_dim_cuda_templateImEESt5tupleIJNSA_6TensorESF_SF_EERKSF_lbbbEUlllE_EE10hipError_tT0_T1_T2_jT3_P12ihipStream_tbPNSt15iterator_traitsISL_E10value_typeEPNSR_ISM_E10value_typeEPSN_NS1_7vsmem_tEENKUlT_SL_SM_SN_E_clIS8_S8_S9_S9_EESK_S10_SL_SM_SN_EUlS10_E0_NS1_11comp_targetILNS1_3genE2ELNS1_11target_archE906ELNS1_3gpuE6ELNS1_3repE0EEENS1_38merge_mergepath_config_static_selectorELNS0_4arch9wavefront6targetE0EEEvSM_.numbered_sgpr, 0
	.set _ZN7rocprim17ROCPRIM_400000_NS6detail17trampoline_kernelINS0_14default_configENS1_38merge_sort_block_merge_config_selectorIlNS0_10empty_typeEEEZZNS1_27merge_sort_block_merge_implIS3_PlPS5_mZN2at6native12_GLOBAL__N_124unique_dim_cuda_templateImEESt5tupleIJNSA_6TensorESF_SF_EERKSF_lbbbEUlllE_EE10hipError_tT0_T1_T2_jT3_P12ihipStream_tbPNSt15iterator_traitsISL_E10value_typeEPNSR_ISM_E10value_typeEPSN_NS1_7vsmem_tEENKUlT_SL_SM_SN_E_clIS8_S8_S9_S9_EESK_S10_SL_SM_SN_EUlS10_E0_NS1_11comp_targetILNS1_3genE2ELNS1_11target_archE906ELNS1_3gpuE6ELNS1_3repE0EEENS1_38merge_mergepath_config_static_selectorELNS0_4arch9wavefront6targetE0EEEvSM_.num_named_barrier, 0
	.set _ZN7rocprim17ROCPRIM_400000_NS6detail17trampoline_kernelINS0_14default_configENS1_38merge_sort_block_merge_config_selectorIlNS0_10empty_typeEEEZZNS1_27merge_sort_block_merge_implIS3_PlPS5_mZN2at6native12_GLOBAL__N_124unique_dim_cuda_templateImEESt5tupleIJNSA_6TensorESF_SF_EERKSF_lbbbEUlllE_EE10hipError_tT0_T1_T2_jT3_P12ihipStream_tbPNSt15iterator_traitsISL_E10value_typeEPNSR_ISM_E10value_typeEPSN_NS1_7vsmem_tEENKUlT_SL_SM_SN_E_clIS8_S8_S9_S9_EESK_S10_SL_SM_SN_EUlS10_E0_NS1_11comp_targetILNS1_3genE2ELNS1_11target_archE906ELNS1_3gpuE6ELNS1_3repE0EEENS1_38merge_mergepath_config_static_selectorELNS0_4arch9wavefront6targetE0EEEvSM_.private_seg_size, 0
	.set _ZN7rocprim17ROCPRIM_400000_NS6detail17trampoline_kernelINS0_14default_configENS1_38merge_sort_block_merge_config_selectorIlNS0_10empty_typeEEEZZNS1_27merge_sort_block_merge_implIS3_PlPS5_mZN2at6native12_GLOBAL__N_124unique_dim_cuda_templateImEESt5tupleIJNSA_6TensorESF_SF_EERKSF_lbbbEUlllE_EE10hipError_tT0_T1_T2_jT3_P12ihipStream_tbPNSt15iterator_traitsISL_E10value_typeEPNSR_ISM_E10value_typeEPSN_NS1_7vsmem_tEENKUlT_SL_SM_SN_E_clIS8_S8_S9_S9_EESK_S10_SL_SM_SN_EUlS10_E0_NS1_11comp_targetILNS1_3genE2ELNS1_11target_archE906ELNS1_3gpuE6ELNS1_3repE0EEENS1_38merge_mergepath_config_static_selectorELNS0_4arch9wavefront6targetE0EEEvSM_.uses_vcc, 0
	.set _ZN7rocprim17ROCPRIM_400000_NS6detail17trampoline_kernelINS0_14default_configENS1_38merge_sort_block_merge_config_selectorIlNS0_10empty_typeEEEZZNS1_27merge_sort_block_merge_implIS3_PlPS5_mZN2at6native12_GLOBAL__N_124unique_dim_cuda_templateImEESt5tupleIJNSA_6TensorESF_SF_EERKSF_lbbbEUlllE_EE10hipError_tT0_T1_T2_jT3_P12ihipStream_tbPNSt15iterator_traitsISL_E10value_typeEPNSR_ISM_E10value_typeEPSN_NS1_7vsmem_tEENKUlT_SL_SM_SN_E_clIS8_S8_S9_S9_EESK_S10_SL_SM_SN_EUlS10_E0_NS1_11comp_targetILNS1_3genE2ELNS1_11target_archE906ELNS1_3gpuE6ELNS1_3repE0EEENS1_38merge_mergepath_config_static_selectorELNS0_4arch9wavefront6targetE0EEEvSM_.uses_flat_scratch, 0
	.set _ZN7rocprim17ROCPRIM_400000_NS6detail17trampoline_kernelINS0_14default_configENS1_38merge_sort_block_merge_config_selectorIlNS0_10empty_typeEEEZZNS1_27merge_sort_block_merge_implIS3_PlPS5_mZN2at6native12_GLOBAL__N_124unique_dim_cuda_templateImEESt5tupleIJNSA_6TensorESF_SF_EERKSF_lbbbEUlllE_EE10hipError_tT0_T1_T2_jT3_P12ihipStream_tbPNSt15iterator_traitsISL_E10value_typeEPNSR_ISM_E10value_typeEPSN_NS1_7vsmem_tEENKUlT_SL_SM_SN_E_clIS8_S8_S9_S9_EESK_S10_SL_SM_SN_EUlS10_E0_NS1_11comp_targetILNS1_3genE2ELNS1_11target_archE906ELNS1_3gpuE6ELNS1_3repE0EEENS1_38merge_mergepath_config_static_selectorELNS0_4arch9wavefront6targetE0EEEvSM_.has_dyn_sized_stack, 0
	.set _ZN7rocprim17ROCPRIM_400000_NS6detail17trampoline_kernelINS0_14default_configENS1_38merge_sort_block_merge_config_selectorIlNS0_10empty_typeEEEZZNS1_27merge_sort_block_merge_implIS3_PlPS5_mZN2at6native12_GLOBAL__N_124unique_dim_cuda_templateImEESt5tupleIJNSA_6TensorESF_SF_EERKSF_lbbbEUlllE_EE10hipError_tT0_T1_T2_jT3_P12ihipStream_tbPNSt15iterator_traitsISL_E10value_typeEPNSR_ISM_E10value_typeEPSN_NS1_7vsmem_tEENKUlT_SL_SM_SN_E_clIS8_S8_S9_S9_EESK_S10_SL_SM_SN_EUlS10_E0_NS1_11comp_targetILNS1_3genE2ELNS1_11target_archE906ELNS1_3gpuE6ELNS1_3repE0EEENS1_38merge_mergepath_config_static_selectorELNS0_4arch9wavefront6targetE0EEEvSM_.has_recursion, 0
	.set _ZN7rocprim17ROCPRIM_400000_NS6detail17trampoline_kernelINS0_14default_configENS1_38merge_sort_block_merge_config_selectorIlNS0_10empty_typeEEEZZNS1_27merge_sort_block_merge_implIS3_PlPS5_mZN2at6native12_GLOBAL__N_124unique_dim_cuda_templateImEESt5tupleIJNSA_6TensorESF_SF_EERKSF_lbbbEUlllE_EE10hipError_tT0_T1_T2_jT3_P12ihipStream_tbPNSt15iterator_traitsISL_E10value_typeEPNSR_ISM_E10value_typeEPSN_NS1_7vsmem_tEENKUlT_SL_SM_SN_E_clIS8_S8_S9_S9_EESK_S10_SL_SM_SN_EUlS10_E0_NS1_11comp_targetILNS1_3genE2ELNS1_11target_archE906ELNS1_3gpuE6ELNS1_3repE0EEENS1_38merge_mergepath_config_static_selectorELNS0_4arch9wavefront6targetE0EEEvSM_.has_indirect_call, 0
	.section	.AMDGPU.csdata,"",@progbits
; Kernel info:
; codeLenInByte = 0
; TotalNumSgprs: 0
; NumVgprs: 0
; ScratchSize: 0
; MemoryBound: 0
; FloatMode: 240
; IeeeMode: 1
; LDSByteSize: 0 bytes/workgroup (compile time only)
; SGPRBlocks: 0
; VGPRBlocks: 0
; NumSGPRsForWavesPerEU: 1
; NumVGPRsForWavesPerEU: 1
; NamedBarCnt: 0
; Occupancy: 16
; WaveLimiterHint : 0
; COMPUTE_PGM_RSRC2:SCRATCH_EN: 0
; COMPUTE_PGM_RSRC2:USER_SGPR: 2
; COMPUTE_PGM_RSRC2:TRAP_HANDLER: 0
; COMPUTE_PGM_RSRC2:TGID_X_EN: 1
; COMPUTE_PGM_RSRC2:TGID_Y_EN: 0
; COMPUTE_PGM_RSRC2:TGID_Z_EN: 0
; COMPUTE_PGM_RSRC2:TIDIG_COMP_CNT: 0
	.section	.text._ZN7rocprim17ROCPRIM_400000_NS6detail17trampoline_kernelINS0_14default_configENS1_38merge_sort_block_merge_config_selectorIlNS0_10empty_typeEEEZZNS1_27merge_sort_block_merge_implIS3_PlPS5_mZN2at6native12_GLOBAL__N_124unique_dim_cuda_templateImEESt5tupleIJNSA_6TensorESF_SF_EERKSF_lbbbEUlllE_EE10hipError_tT0_T1_T2_jT3_P12ihipStream_tbPNSt15iterator_traitsISL_E10value_typeEPNSR_ISM_E10value_typeEPSN_NS1_7vsmem_tEENKUlT_SL_SM_SN_E_clIS8_S8_S9_S9_EESK_S10_SL_SM_SN_EUlS10_E0_NS1_11comp_targetILNS1_3genE9ELNS1_11target_archE1100ELNS1_3gpuE3ELNS1_3repE0EEENS1_38merge_mergepath_config_static_selectorELNS0_4arch9wavefront6targetE0EEEvSM_,"axG",@progbits,_ZN7rocprim17ROCPRIM_400000_NS6detail17trampoline_kernelINS0_14default_configENS1_38merge_sort_block_merge_config_selectorIlNS0_10empty_typeEEEZZNS1_27merge_sort_block_merge_implIS3_PlPS5_mZN2at6native12_GLOBAL__N_124unique_dim_cuda_templateImEESt5tupleIJNSA_6TensorESF_SF_EERKSF_lbbbEUlllE_EE10hipError_tT0_T1_T2_jT3_P12ihipStream_tbPNSt15iterator_traitsISL_E10value_typeEPNSR_ISM_E10value_typeEPSN_NS1_7vsmem_tEENKUlT_SL_SM_SN_E_clIS8_S8_S9_S9_EESK_S10_SL_SM_SN_EUlS10_E0_NS1_11comp_targetILNS1_3genE9ELNS1_11target_archE1100ELNS1_3gpuE3ELNS1_3repE0EEENS1_38merge_mergepath_config_static_selectorELNS0_4arch9wavefront6targetE0EEEvSM_,comdat
	.globl	_ZN7rocprim17ROCPRIM_400000_NS6detail17trampoline_kernelINS0_14default_configENS1_38merge_sort_block_merge_config_selectorIlNS0_10empty_typeEEEZZNS1_27merge_sort_block_merge_implIS3_PlPS5_mZN2at6native12_GLOBAL__N_124unique_dim_cuda_templateImEESt5tupleIJNSA_6TensorESF_SF_EERKSF_lbbbEUlllE_EE10hipError_tT0_T1_T2_jT3_P12ihipStream_tbPNSt15iterator_traitsISL_E10value_typeEPNSR_ISM_E10value_typeEPSN_NS1_7vsmem_tEENKUlT_SL_SM_SN_E_clIS8_S8_S9_S9_EESK_S10_SL_SM_SN_EUlS10_E0_NS1_11comp_targetILNS1_3genE9ELNS1_11target_archE1100ELNS1_3gpuE3ELNS1_3repE0EEENS1_38merge_mergepath_config_static_selectorELNS0_4arch9wavefront6targetE0EEEvSM_ ; -- Begin function _ZN7rocprim17ROCPRIM_400000_NS6detail17trampoline_kernelINS0_14default_configENS1_38merge_sort_block_merge_config_selectorIlNS0_10empty_typeEEEZZNS1_27merge_sort_block_merge_implIS3_PlPS5_mZN2at6native12_GLOBAL__N_124unique_dim_cuda_templateImEESt5tupleIJNSA_6TensorESF_SF_EERKSF_lbbbEUlllE_EE10hipError_tT0_T1_T2_jT3_P12ihipStream_tbPNSt15iterator_traitsISL_E10value_typeEPNSR_ISM_E10value_typeEPSN_NS1_7vsmem_tEENKUlT_SL_SM_SN_E_clIS8_S8_S9_S9_EESK_S10_SL_SM_SN_EUlS10_E0_NS1_11comp_targetILNS1_3genE9ELNS1_11target_archE1100ELNS1_3gpuE3ELNS1_3repE0EEENS1_38merge_mergepath_config_static_selectorELNS0_4arch9wavefront6targetE0EEEvSM_
	.p2align	8
	.type	_ZN7rocprim17ROCPRIM_400000_NS6detail17trampoline_kernelINS0_14default_configENS1_38merge_sort_block_merge_config_selectorIlNS0_10empty_typeEEEZZNS1_27merge_sort_block_merge_implIS3_PlPS5_mZN2at6native12_GLOBAL__N_124unique_dim_cuda_templateImEESt5tupleIJNSA_6TensorESF_SF_EERKSF_lbbbEUlllE_EE10hipError_tT0_T1_T2_jT3_P12ihipStream_tbPNSt15iterator_traitsISL_E10value_typeEPNSR_ISM_E10value_typeEPSN_NS1_7vsmem_tEENKUlT_SL_SM_SN_E_clIS8_S8_S9_S9_EESK_S10_SL_SM_SN_EUlS10_E0_NS1_11comp_targetILNS1_3genE9ELNS1_11target_archE1100ELNS1_3gpuE3ELNS1_3repE0EEENS1_38merge_mergepath_config_static_selectorELNS0_4arch9wavefront6targetE0EEEvSM_,@function
_ZN7rocprim17ROCPRIM_400000_NS6detail17trampoline_kernelINS0_14default_configENS1_38merge_sort_block_merge_config_selectorIlNS0_10empty_typeEEEZZNS1_27merge_sort_block_merge_implIS3_PlPS5_mZN2at6native12_GLOBAL__N_124unique_dim_cuda_templateImEESt5tupleIJNSA_6TensorESF_SF_EERKSF_lbbbEUlllE_EE10hipError_tT0_T1_T2_jT3_P12ihipStream_tbPNSt15iterator_traitsISL_E10value_typeEPNSR_ISM_E10value_typeEPSN_NS1_7vsmem_tEENKUlT_SL_SM_SN_E_clIS8_S8_S9_S9_EESK_S10_SL_SM_SN_EUlS10_E0_NS1_11comp_targetILNS1_3genE9ELNS1_11target_archE1100ELNS1_3gpuE3ELNS1_3repE0EEENS1_38merge_mergepath_config_static_selectorELNS0_4arch9wavefront6targetE0EEEvSM_: ; @_ZN7rocprim17ROCPRIM_400000_NS6detail17trampoline_kernelINS0_14default_configENS1_38merge_sort_block_merge_config_selectorIlNS0_10empty_typeEEEZZNS1_27merge_sort_block_merge_implIS3_PlPS5_mZN2at6native12_GLOBAL__N_124unique_dim_cuda_templateImEESt5tupleIJNSA_6TensorESF_SF_EERKSF_lbbbEUlllE_EE10hipError_tT0_T1_T2_jT3_P12ihipStream_tbPNSt15iterator_traitsISL_E10value_typeEPNSR_ISM_E10value_typeEPSN_NS1_7vsmem_tEENKUlT_SL_SM_SN_E_clIS8_S8_S9_S9_EESK_S10_SL_SM_SN_EUlS10_E0_NS1_11comp_targetILNS1_3genE9ELNS1_11target_archE1100ELNS1_3gpuE3ELNS1_3repE0EEENS1_38merge_mergepath_config_static_selectorELNS0_4arch9wavefront6targetE0EEEvSM_
; %bb.0:
	.section	.rodata,"a",@progbits
	.p2align	6, 0x0
	.amdhsa_kernel _ZN7rocprim17ROCPRIM_400000_NS6detail17trampoline_kernelINS0_14default_configENS1_38merge_sort_block_merge_config_selectorIlNS0_10empty_typeEEEZZNS1_27merge_sort_block_merge_implIS3_PlPS5_mZN2at6native12_GLOBAL__N_124unique_dim_cuda_templateImEESt5tupleIJNSA_6TensorESF_SF_EERKSF_lbbbEUlllE_EE10hipError_tT0_T1_T2_jT3_P12ihipStream_tbPNSt15iterator_traitsISL_E10value_typeEPNSR_ISM_E10value_typeEPSN_NS1_7vsmem_tEENKUlT_SL_SM_SN_E_clIS8_S8_S9_S9_EESK_S10_SL_SM_SN_EUlS10_E0_NS1_11comp_targetILNS1_3genE9ELNS1_11target_archE1100ELNS1_3gpuE3ELNS1_3repE0EEENS1_38merge_mergepath_config_static_selectorELNS0_4arch9wavefront6targetE0EEEvSM_
		.amdhsa_group_segment_fixed_size 0
		.amdhsa_private_segment_fixed_size 0
		.amdhsa_kernarg_size 88
		.amdhsa_user_sgpr_count 2
		.amdhsa_user_sgpr_dispatch_ptr 0
		.amdhsa_user_sgpr_queue_ptr 0
		.amdhsa_user_sgpr_kernarg_segment_ptr 1
		.amdhsa_user_sgpr_dispatch_id 0
		.amdhsa_user_sgpr_kernarg_preload_length 0
		.amdhsa_user_sgpr_kernarg_preload_offset 0
		.amdhsa_user_sgpr_private_segment_size 0
		.amdhsa_wavefront_size32 1
		.amdhsa_uses_dynamic_stack 0
		.amdhsa_enable_private_segment 0
		.amdhsa_system_sgpr_workgroup_id_x 1
		.amdhsa_system_sgpr_workgroup_id_y 0
		.amdhsa_system_sgpr_workgroup_id_z 0
		.amdhsa_system_sgpr_workgroup_info 0
		.amdhsa_system_vgpr_workitem_id 0
		.amdhsa_next_free_vgpr 1
		.amdhsa_next_free_sgpr 1
		.amdhsa_named_barrier_count 0
		.amdhsa_reserve_vcc 0
		.amdhsa_float_round_mode_32 0
		.amdhsa_float_round_mode_16_64 0
		.amdhsa_float_denorm_mode_32 3
		.amdhsa_float_denorm_mode_16_64 3
		.amdhsa_fp16_overflow 0
		.amdhsa_memory_ordered 1
		.amdhsa_forward_progress 1
		.amdhsa_inst_pref_size 0
		.amdhsa_round_robin_scheduling 0
		.amdhsa_exception_fp_ieee_invalid_op 0
		.amdhsa_exception_fp_denorm_src 0
		.amdhsa_exception_fp_ieee_div_zero 0
		.amdhsa_exception_fp_ieee_overflow 0
		.amdhsa_exception_fp_ieee_underflow 0
		.amdhsa_exception_fp_ieee_inexact 0
		.amdhsa_exception_int_div_zero 0
	.end_amdhsa_kernel
	.section	.text._ZN7rocprim17ROCPRIM_400000_NS6detail17trampoline_kernelINS0_14default_configENS1_38merge_sort_block_merge_config_selectorIlNS0_10empty_typeEEEZZNS1_27merge_sort_block_merge_implIS3_PlPS5_mZN2at6native12_GLOBAL__N_124unique_dim_cuda_templateImEESt5tupleIJNSA_6TensorESF_SF_EERKSF_lbbbEUlllE_EE10hipError_tT0_T1_T2_jT3_P12ihipStream_tbPNSt15iterator_traitsISL_E10value_typeEPNSR_ISM_E10value_typeEPSN_NS1_7vsmem_tEENKUlT_SL_SM_SN_E_clIS8_S8_S9_S9_EESK_S10_SL_SM_SN_EUlS10_E0_NS1_11comp_targetILNS1_3genE9ELNS1_11target_archE1100ELNS1_3gpuE3ELNS1_3repE0EEENS1_38merge_mergepath_config_static_selectorELNS0_4arch9wavefront6targetE0EEEvSM_,"axG",@progbits,_ZN7rocprim17ROCPRIM_400000_NS6detail17trampoline_kernelINS0_14default_configENS1_38merge_sort_block_merge_config_selectorIlNS0_10empty_typeEEEZZNS1_27merge_sort_block_merge_implIS3_PlPS5_mZN2at6native12_GLOBAL__N_124unique_dim_cuda_templateImEESt5tupleIJNSA_6TensorESF_SF_EERKSF_lbbbEUlllE_EE10hipError_tT0_T1_T2_jT3_P12ihipStream_tbPNSt15iterator_traitsISL_E10value_typeEPNSR_ISM_E10value_typeEPSN_NS1_7vsmem_tEENKUlT_SL_SM_SN_E_clIS8_S8_S9_S9_EESK_S10_SL_SM_SN_EUlS10_E0_NS1_11comp_targetILNS1_3genE9ELNS1_11target_archE1100ELNS1_3gpuE3ELNS1_3repE0EEENS1_38merge_mergepath_config_static_selectorELNS0_4arch9wavefront6targetE0EEEvSM_,comdat
.Lfunc_end1628:
	.size	_ZN7rocprim17ROCPRIM_400000_NS6detail17trampoline_kernelINS0_14default_configENS1_38merge_sort_block_merge_config_selectorIlNS0_10empty_typeEEEZZNS1_27merge_sort_block_merge_implIS3_PlPS5_mZN2at6native12_GLOBAL__N_124unique_dim_cuda_templateImEESt5tupleIJNSA_6TensorESF_SF_EERKSF_lbbbEUlllE_EE10hipError_tT0_T1_T2_jT3_P12ihipStream_tbPNSt15iterator_traitsISL_E10value_typeEPNSR_ISM_E10value_typeEPSN_NS1_7vsmem_tEENKUlT_SL_SM_SN_E_clIS8_S8_S9_S9_EESK_S10_SL_SM_SN_EUlS10_E0_NS1_11comp_targetILNS1_3genE9ELNS1_11target_archE1100ELNS1_3gpuE3ELNS1_3repE0EEENS1_38merge_mergepath_config_static_selectorELNS0_4arch9wavefront6targetE0EEEvSM_, .Lfunc_end1628-_ZN7rocprim17ROCPRIM_400000_NS6detail17trampoline_kernelINS0_14default_configENS1_38merge_sort_block_merge_config_selectorIlNS0_10empty_typeEEEZZNS1_27merge_sort_block_merge_implIS3_PlPS5_mZN2at6native12_GLOBAL__N_124unique_dim_cuda_templateImEESt5tupleIJNSA_6TensorESF_SF_EERKSF_lbbbEUlllE_EE10hipError_tT0_T1_T2_jT3_P12ihipStream_tbPNSt15iterator_traitsISL_E10value_typeEPNSR_ISM_E10value_typeEPSN_NS1_7vsmem_tEENKUlT_SL_SM_SN_E_clIS8_S8_S9_S9_EESK_S10_SL_SM_SN_EUlS10_E0_NS1_11comp_targetILNS1_3genE9ELNS1_11target_archE1100ELNS1_3gpuE3ELNS1_3repE0EEENS1_38merge_mergepath_config_static_selectorELNS0_4arch9wavefront6targetE0EEEvSM_
                                        ; -- End function
	.set _ZN7rocprim17ROCPRIM_400000_NS6detail17trampoline_kernelINS0_14default_configENS1_38merge_sort_block_merge_config_selectorIlNS0_10empty_typeEEEZZNS1_27merge_sort_block_merge_implIS3_PlPS5_mZN2at6native12_GLOBAL__N_124unique_dim_cuda_templateImEESt5tupleIJNSA_6TensorESF_SF_EERKSF_lbbbEUlllE_EE10hipError_tT0_T1_T2_jT3_P12ihipStream_tbPNSt15iterator_traitsISL_E10value_typeEPNSR_ISM_E10value_typeEPSN_NS1_7vsmem_tEENKUlT_SL_SM_SN_E_clIS8_S8_S9_S9_EESK_S10_SL_SM_SN_EUlS10_E0_NS1_11comp_targetILNS1_3genE9ELNS1_11target_archE1100ELNS1_3gpuE3ELNS1_3repE0EEENS1_38merge_mergepath_config_static_selectorELNS0_4arch9wavefront6targetE0EEEvSM_.num_vgpr, 0
	.set _ZN7rocprim17ROCPRIM_400000_NS6detail17trampoline_kernelINS0_14default_configENS1_38merge_sort_block_merge_config_selectorIlNS0_10empty_typeEEEZZNS1_27merge_sort_block_merge_implIS3_PlPS5_mZN2at6native12_GLOBAL__N_124unique_dim_cuda_templateImEESt5tupleIJNSA_6TensorESF_SF_EERKSF_lbbbEUlllE_EE10hipError_tT0_T1_T2_jT3_P12ihipStream_tbPNSt15iterator_traitsISL_E10value_typeEPNSR_ISM_E10value_typeEPSN_NS1_7vsmem_tEENKUlT_SL_SM_SN_E_clIS8_S8_S9_S9_EESK_S10_SL_SM_SN_EUlS10_E0_NS1_11comp_targetILNS1_3genE9ELNS1_11target_archE1100ELNS1_3gpuE3ELNS1_3repE0EEENS1_38merge_mergepath_config_static_selectorELNS0_4arch9wavefront6targetE0EEEvSM_.num_agpr, 0
	.set _ZN7rocprim17ROCPRIM_400000_NS6detail17trampoline_kernelINS0_14default_configENS1_38merge_sort_block_merge_config_selectorIlNS0_10empty_typeEEEZZNS1_27merge_sort_block_merge_implIS3_PlPS5_mZN2at6native12_GLOBAL__N_124unique_dim_cuda_templateImEESt5tupleIJNSA_6TensorESF_SF_EERKSF_lbbbEUlllE_EE10hipError_tT0_T1_T2_jT3_P12ihipStream_tbPNSt15iterator_traitsISL_E10value_typeEPNSR_ISM_E10value_typeEPSN_NS1_7vsmem_tEENKUlT_SL_SM_SN_E_clIS8_S8_S9_S9_EESK_S10_SL_SM_SN_EUlS10_E0_NS1_11comp_targetILNS1_3genE9ELNS1_11target_archE1100ELNS1_3gpuE3ELNS1_3repE0EEENS1_38merge_mergepath_config_static_selectorELNS0_4arch9wavefront6targetE0EEEvSM_.numbered_sgpr, 0
	.set _ZN7rocprim17ROCPRIM_400000_NS6detail17trampoline_kernelINS0_14default_configENS1_38merge_sort_block_merge_config_selectorIlNS0_10empty_typeEEEZZNS1_27merge_sort_block_merge_implIS3_PlPS5_mZN2at6native12_GLOBAL__N_124unique_dim_cuda_templateImEESt5tupleIJNSA_6TensorESF_SF_EERKSF_lbbbEUlllE_EE10hipError_tT0_T1_T2_jT3_P12ihipStream_tbPNSt15iterator_traitsISL_E10value_typeEPNSR_ISM_E10value_typeEPSN_NS1_7vsmem_tEENKUlT_SL_SM_SN_E_clIS8_S8_S9_S9_EESK_S10_SL_SM_SN_EUlS10_E0_NS1_11comp_targetILNS1_3genE9ELNS1_11target_archE1100ELNS1_3gpuE3ELNS1_3repE0EEENS1_38merge_mergepath_config_static_selectorELNS0_4arch9wavefront6targetE0EEEvSM_.num_named_barrier, 0
	.set _ZN7rocprim17ROCPRIM_400000_NS6detail17trampoline_kernelINS0_14default_configENS1_38merge_sort_block_merge_config_selectorIlNS0_10empty_typeEEEZZNS1_27merge_sort_block_merge_implIS3_PlPS5_mZN2at6native12_GLOBAL__N_124unique_dim_cuda_templateImEESt5tupleIJNSA_6TensorESF_SF_EERKSF_lbbbEUlllE_EE10hipError_tT0_T1_T2_jT3_P12ihipStream_tbPNSt15iterator_traitsISL_E10value_typeEPNSR_ISM_E10value_typeEPSN_NS1_7vsmem_tEENKUlT_SL_SM_SN_E_clIS8_S8_S9_S9_EESK_S10_SL_SM_SN_EUlS10_E0_NS1_11comp_targetILNS1_3genE9ELNS1_11target_archE1100ELNS1_3gpuE3ELNS1_3repE0EEENS1_38merge_mergepath_config_static_selectorELNS0_4arch9wavefront6targetE0EEEvSM_.private_seg_size, 0
	.set _ZN7rocprim17ROCPRIM_400000_NS6detail17trampoline_kernelINS0_14default_configENS1_38merge_sort_block_merge_config_selectorIlNS0_10empty_typeEEEZZNS1_27merge_sort_block_merge_implIS3_PlPS5_mZN2at6native12_GLOBAL__N_124unique_dim_cuda_templateImEESt5tupleIJNSA_6TensorESF_SF_EERKSF_lbbbEUlllE_EE10hipError_tT0_T1_T2_jT3_P12ihipStream_tbPNSt15iterator_traitsISL_E10value_typeEPNSR_ISM_E10value_typeEPSN_NS1_7vsmem_tEENKUlT_SL_SM_SN_E_clIS8_S8_S9_S9_EESK_S10_SL_SM_SN_EUlS10_E0_NS1_11comp_targetILNS1_3genE9ELNS1_11target_archE1100ELNS1_3gpuE3ELNS1_3repE0EEENS1_38merge_mergepath_config_static_selectorELNS0_4arch9wavefront6targetE0EEEvSM_.uses_vcc, 0
	.set _ZN7rocprim17ROCPRIM_400000_NS6detail17trampoline_kernelINS0_14default_configENS1_38merge_sort_block_merge_config_selectorIlNS0_10empty_typeEEEZZNS1_27merge_sort_block_merge_implIS3_PlPS5_mZN2at6native12_GLOBAL__N_124unique_dim_cuda_templateImEESt5tupleIJNSA_6TensorESF_SF_EERKSF_lbbbEUlllE_EE10hipError_tT0_T1_T2_jT3_P12ihipStream_tbPNSt15iterator_traitsISL_E10value_typeEPNSR_ISM_E10value_typeEPSN_NS1_7vsmem_tEENKUlT_SL_SM_SN_E_clIS8_S8_S9_S9_EESK_S10_SL_SM_SN_EUlS10_E0_NS1_11comp_targetILNS1_3genE9ELNS1_11target_archE1100ELNS1_3gpuE3ELNS1_3repE0EEENS1_38merge_mergepath_config_static_selectorELNS0_4arch9wavefront6targetE0EEEvSM_.uses_flat_scratch, 0
	.set _ZN7rocprim17ROCPRIM_400000_NS6detail17trampoline_kernelINS0_14default_configENS1_38merge_sort_block_merge_config_selectorIlNS0_10empty_typeEEEZZNS1_27merge_sort_block_merge_implIS3_PlPS5_mZN2at6native12_GLOBAL__N_124unique_dim_cuda_templateImEESt5tupleIJNSA_6TensorESF_SF_EERKSF_lbbbEUlllE_EE10hipError_tT0_T1_T2_jT3_P12ihipStream_tbPNSt15iterator_traitsISL_E10value_typeEPNSR_ISM_E10value_typeEPSN_NS1_7vsmem_tEENKUlT_SL_SM_SN_E_clIS8_S8_S9_S9_EESK_S10_SL_SM_SN_EUlS10_E0_NS1_11comp_targetILNS1_3genE9ELNS1_11target_archE1100ELNS1_3gpuE3ELNS1_3repE0EEENS1_38merge_mergepath_config_static_selectorELNS0_4arch9wavefront6targetE0EEEvSM_.has_dyn_sized_stack, 0
	.set _ZN7rocprim17ROCPRIM_400000_NS6detail17trampoline_kernelINS0_14default_configENS1_38merge_sort_block_merge_config_selectorIlNS0_10empty_typeEEEZZNS1_27merge_sort_block_merge_implIS3_PlPS5_mZN2at6native12_GLOBAL__N_124unique_dim_cuda_templateImEESt5tupleIJNSA_6TensorESF_SF_EERKSF_lbbbEUlllE_EE10hipError_tT0_T1_T2_jT3_P12ihipStream_tbPNSt15iterator_traitsISL_E10value_typeEPNSR_ISM_E10value_typeEPSN_NS1_7vsmem_tEENKUlT_SL_SM_SN_E_clIS8_S8_S9_S9_EESK_S10_SL_SM_SN_EUlS10_E0_NS1_11comp_targetILNS1_3genE9ELNS1_11target_archE1100ELNS1_3gpuE3ELNS1_3repE0EEENS1_38merge_mergepath_config_static_selectorELNS0_4arch9wavefront6targetE0EEEvSM_.has_recursion, 0
	.set _ZN7rocprim17ROCPRIM_400000_NS6detail17trampoline_kernelINS0_14default_configENS1_38merge_sort_block_merge_config_selectorIlNS0_10empty_typeEEEZZNS1_27merge_sort_block_merge_implIS3_PlPS5_mZN2at6native12_GLOBAL__N_124unique_dim_cuda_templateImEESt5tupleIJNSA_6TensorESF_SF_EERKSF_lbbbEUlllE_EE10hipError_tT0_T1_T2_jT3_P12ihipStream_tbPNSt15iterator_traitsISL_E10value_typeEPNSR_ISM_E10value_typeEPSN_NS1_7vsmem_tEENKUlT_SL_SM_SN_E_clIS8_S8_S9_S9_EESK_S10_SL_SM_SN_EUlS10_E0_NS1_11comp_targetILNS1_3genE9ELNS1_11target_archE1100ELNS1_3gpuE3ELNS1_3repE0EEENS1_38merge_mergepath_config_static_selectorELNS0_4arch9wavefront6targetE0EEEvSM_.has_indirect_call, 0
	.section	.AMDGPU.csdata,"",@progbits
; Kernel info:
; codeLenInByte = 0
; TotalNumSgprs: 0
; NumVgprs: 0
; ScratchSize: 0
; MemoryBound: 0
; FloatMode: 240
; IeeeMode: 1
; LDSByteSize: 0 bytes/workgroup (compile time only)
; SGPRBlocks: 0
; VGPRBlocks: 0
; NumSGPRsForWavesPerEU: 1
; NumVGPRsForWavesPerEU: 1
; NamedBarCnt: 0
; Occupancy: 16
; WaveLimiterHint : 0
; COMPUTE_PGM_RSRC2:SCRATCH_EN: 0
; COMPUTE_PGM_RSRC2:USER_SGPR: 2
; COMPUTE_PGM_RSRC2:TRAP_HANDLER: 0
; COMPUTE_PGM_RSRC2:TGID_X_EN: 1
; COMPUTE_PGM_RSRC2:TGID_Y_EN: 0
; COMPUTE_PGM_RSRC2:TGID_Z_EN: 0
; COMPUTE_PGM_RSRC2:TIDIG_COMP_CNT: 0
	.section	.text._ZN7rocprim17ROCPRIM_400000_NS6detail17trampoline_kernelINS0_14default_configENS1_38merge_sort_block_merge_config_selectorIlNS0_10empty_typeEEEZZNS1_27merge_sort_block_merge_implIS3_PlPS5_mZN2at6native12_GLOBAL__N_124unique_dim_cuda_templateImEESt5tupleIJNSA_6TensorESF_SF_EERKSF_lbbbEUlllE_EE10hipError_tT0_T1_T2_jT3_P12ihipStream_tbPNSt15iterator_traitsISL_E10value_typeEPNSR_ISM_E10value_typeEPSN_NS1_7vsmem_tEENKUlT_SL_SM_SN_E_clIS8_S8_S9_S9_EESK_S10_SL_SM_SN_EUlS10_E0_NS1_11comp_targetILNS1_3genE8ELNS1_11target_archE1030ELNS1_3gpuE2ELNS1_3repE0EEENS1_38merge_mergepath_config_static_selectorELNS0_4arch9wavefront6targetE0EEEvSM_,"axG",@progbits,_ZN7rocprim17ROCPRIM_400000_NS6detail17trampoline_kernelINS0_14default_configENS1_38merge_sort_block_merge_config_selectorIlNS0_10empty_typeEEEZZNS1_27merge_sort_block_merge_implIS3_PlPS5_mZN2at6native12_GLOBAL__N_124unique_dim_cuda_templateImEESt5tupleIJNSA_6TensorESF_SF_EERKSF_lbbbEUlllE_EE10hipError_tT0_T1_T2_jT3_P12ihipStream_tbPNSt15iterator_traitsISL_E10value_typeEPNSR_ISM_E10value_typeEPSN_NS1_7vsmem_tEENKUlT_SL_SM_SN_E_clIS8_S8_S9_S9_EESK_S10_SL_SM_SN_EUlS10_E0_NS1_11comp_targetILNS1_3genE8ELNS1_11target_archE1030ELNS1_3gpuE2ELNS1_3repE0EEENS1_38merge_mergepath_config_static_selectorELNS0_4arch9wavefront6targetE0EEEvSM_,comdat
	.globl	_ZN7rocprim17ROCPRIM_400000_NS6detail17trampoline_kernelINS0_14default_configENS1_38merge_sort_block_merge_config_selectorIlNS0_10empty_typeEEEZZNS1_27merge_sort_block_merge_implIS3_PlPS5_mZN2at6native12_GLOBAL__N_124unique_dim_cuda_templateImEESt5tupleIJNSA_6TensorESF_SF_EERKSF_lbbbEUlllE_EE10hipError_tT0_T1_T2_jT3_P12ihipStream_tbPNSt15iterator_traitsISL_E10value_typeEPNSR_ISM_E10value_typeEPSN_NS1_7vsmem_tEENKUlT_SL_SM_SN_E_clIS8_S8_S9_S9_EESK_S10_SL_SM_SN_EUlS10_E0_NS1_11comp_targetILNS1_3genE8ELNS1_11target_archE1030ELNS1_3gpuE2ELNS1_3repE0EEENS1_38merge_mergepath_config_static_selectorELNS0_4arch9wavefront6targetE0EEEvSM_ ; -- Begin function _ZN7rocprim17ROCPRIM_400000_NS6detail17trampoline_kernelINS0_14default_configENS1_38merge_sort_block_merge_config_selectorIlNS0_10empty_typeEEEZZNS1_27merge_sort_block_merge_implIS3_PlPS5_mZN2at6native12_GLOBAL__N_124unique_dim_cuda_templateImEESt5tupleIJNSA_6TensorESF_SF_EERKSF_lbbbEUlllE_EE10hipError_tT0_T1_T2_jT3_P12ihipStream_tbPNSt15iterator_traitsISL_E10value_typeEPNSR_ISM_E10value_typeEPSN_NS1_7vsmem_tEENKUlT_SL_SM_SN_E_clIS8_S8_S9_S9_EESK_S10_SL_SM_SN_EUlS10_E0_NS1_11comp_targetILNS1_3genE8ELNS1_11target_archE1030ELNS1_3gpuE2ELNS1_3repE0EEENS1_38merge_mergepath_config_static_selectorELNS0_4arch9wavefront6targetE0EEEvSM_
	.p2align	8
	.type	_ZN7rocprim17ROCPRIM_400000_NS6detail17trampoline_kernelINS0_14default_configENS1_38merge_sort_block_merge_config_selectorIlNS0_10empty_typeEEEZZNS1_27merge_sort_block_merge_implIS3_PlPS5_mZN2at6native12_GLOBAL__N_124unique_dim_cuda_templateImEESt5tupleIJNSA_6TensorESF_SF_EERKSF_lbbbEUlllE_EE10hipError_tT0_T1_T2_jT3_P12ihipStream_tbPNSt15iterator_traitsISL_E10value_typeEPNSR_ISM_E10value_typeEPSN_NS1_7vsmem_tEENKUlT_SL_SM_SN_E_clIS8_S8_S9_S9_EESK_S10_SL_SM_SN_EUlS10_E0_NS1_11comp_targetILNS1_3genE8ELNS1_11target_archE1030ELNS1_3gpuE2ELNS1_3repE0EEENS1_38merge_mergepath_config_static_selectorELNS0_4arch9wavefront6targetE0EEEvSM_,@function
_ZN7rocprim17ROCPRIM_400000_NS6detail17trampoline_kernelINS0_14default_configENS1_38merge_sort_block_merge_config_selectorIlNS0_10empty_typeEEEZZNS1_27merge_sort_block_merge_implIS3_PlPS5_mZN2at6native12_GLOBAL__N_124unique_dim_cuda_templateImEESt5tupleIJNSA_6TensorESF_SF_EERKSF_lbbbEUlllE_EE10hipError_tT0_T1_T2_jT3_P12ihipStream_tbPNSt15iterator_traitsISL_E10value_typeEPNSR_ISM_E10value_typeEPSN_NS1_7vsmem_tEENKUlT_SL_SM_SN_E_clIS8_S8_S9_S9_EESK_S10_SL_SM_SN_EUlS10_E0_NS1_11comp_targetILNS1_3genE8ELNS1_11target_archE1030ELNS1_3gpuE2ELNS1_3repE0EEENS1_38merge_mergepath_config_static_selectorELNS0_4arch9wavefront6targetE0EEEvSM_: ; @_ZN7rocprim17ROCPRIM_400000_NS6detail17trampoline_kernelINS0_14default_configENS1_38merge_sort_block_merge_config_selectorIlNS0_10empty_typeEEEZZNS1_27merge_sort_block_merge_implIS3_PlPS5_mZN2at6native12_GLOBAL__N_124unique_dim_cuda_templateImEESt5tupleIJNSA_6TensorESF_SF_EERKSF_lbbbEUlllE_EE10hipError_tT0_T1_T2_jT3_P12ihipStream_tbPNSt15iterator_traitsISL_E10value_typeEPNSR_ISM_E10value_typeEPSN_NS1_7vsmem_tEENKUlT_SL_SM_SN_E_clIS8_S8_S9_S9_EESK_S10_SL_SM_SN_EUlS10_E0_NS1_11comp_targetILNS1_3genE8ELNS1_11target_archE1030ELNS1_3gpuE2ELNS1_3repE0EEENS1_38merge_mergepath_config_static_selectorELNS0_4arch9wavefront6targetE0EEEvSM_
; %bb.0:
	.section	.rodata,"a",@progbits
	.p2align	6, 0x0
	.amdhsa_kernel _ZN7rocprim17ROCPRIM_400000_NS6detail17trampoline_kernelINS0_14default_configENS1_38merge_sort_block_merge_config_selectorIlNS0_10empty_typeEEEZZNS1_27merge_sort_block_merge_implIS3_PlPS5_mZN2at6native12_GLOBAL__N_124unique_dim_cuda_templateImEESt5tupleIJNSA_6TensorESF_SF_EERKSF_lbbbEUlllE_EE10hipError_tT0_T1_T2_jT3_P12ihipStream_tbPNSt15iterator_traitsISL_E10value_typeEPNSR_ISM_E10value_typeEPSN_NS1_7vsmem_tEENKUlT_SL_SM_SN_E_clIS8_S8_S9_S9_EESK_S10_SL_SM_SN_EUlS10_E0_NS1_11comp_targetILNS1_3genE8ELNS1_11target_archE1030ELNS1_3gpuE2ELNS1_3repE0EEENS1_38merge_mergepath_config_static_selectorELNS0_4arch9wavefront6targetE0EEEvSM_
		.amdhsa_group_segment_fixed_size 0
		.amdhsa_private_segment_fixed_size 0
		.amdhsa_kernarg_size 88
		.amdhsa_user_sgpr_count 2
		.amdhsa_user_sgpr_dispatch_ptr 0
		.amdhsa_user_sgpr_queue_ptr 0
		.amdhsa_user_sgpr_kernarg_segment_ptr 1
		.amdhsa_user_sgpr_dispatch_id 0
		.amdhsa_user_sgpr_kernarg_preload_length 0
		.amdhsa_user_sgpr_kernarg_preload_offset 0
		.amdhsa_user_sgpr_private_segment_size 0
		.amdhsa_wavefront_size32 1
		.amdhsa_uses_dynamic_stack 0
		.amdhsa_enable_private_segment 0
		.amdhsa_system_sgpr_workgroup_id_x 1
		.amdhsa_system_sgpr_workgroup_id_y 0
		.amdhsa_system_sgpr_workgroup_id_z 0
		.amdhsa_system_sgpr_workgroup_info 0
		.amdhsa_system_vgpr_workitem_id 0
		.amdhsa_next_free_vgpr 1
		.amdhsa_next_free_sgpr 1
		.amdhsa_named_barrier_count 0
		.amdhsa_reserve_vcc 0
		.amdhsa_float_round_mode_32 0
		.amdhsa_float_round_mode_16_64 0
		.amdhsa_float_denorm_mode_32 3
		.amdhsa_float_denorm_mode_16_64 3
		.amdhsa_fp16_overflow 0
		.amdhsa_memory_ordered 1
		.amdhsa_forward_progress 1
		.amdhsa_inst_pref_size 0
		.amdhsa_round_robin_scheduling 0
		.amdhsa_exception_fp_ieee_invalid_op 0
		.amdhsa_exception_fp_denorm_src 0
		.amdhsa_exception_fp_ieee_div_zero 0
		.amdhsa_exception_fp_ieee_overflow 0
		.amdhsa_exception_fp_ieee_underflow 0
		.amdhsa_exception_fp_ieee_inexact 0
		.amdhsa_exception_int_div_zero 0
	.end_amdhsa_kernel
	.section	.text._ZN7rocprim17ROCPRIM_400000_NS6detail17trampoline_kernelINS0_14default_configENS1_38merge_sort_block_merge_config_selectorIlNS0_10empty_typeEEEZZNS1_27merge_sort_block_merge_implIS3_PlPS5_mZN2at6native12_GLOBAL__N_124unique_dim_cuda_templateImEESt5tupleIJNSA_6TensorESF_SF_EERKSF_lbbbEUlllE_EE10hipError_tT0_T1_T2_jT3_P12ihipStream_tbPNSt15iterator_traitsISL_E10value_typeEPNSR_ISM_E10value_typeEPSN_NS1_7vsmem_tEENKUlT_SL_SM_SN_E_clIS8_S8_S9_S9_EESK_S10_SL_SM_SN_EUlS10_E0_NS1_11comp_targetILNS1_3genE8ELNS1_11target_archE1030ELNS1_3gpuE2ELNS1_3repE0EEENS1_38merge_mergepath_config_static_selectorELNS0_4arch9wavefront6targetE0EEEvSM_,"axG",@progbits,_ZN7rocprim17ROCPRIM_400000_NS6detail17trampoline_kernelINS0_14default_configENS1_38merge_sort_block_merge_config_selectorIlNS0_10empty_typeEEEZZNS1_27merge_sort_block_merge_implIS3_PlPS5_mZN2at6native12_GLOBAL__N_124unique_dim_cuda_templateImEESt5tupleIJNSA_6TensorESF_SF_EERKSF_lbbbEUlllE_EE10hipError_tT0_T1_T2_jT3_P12ihipStream_tbPNSt15iterator_traitsISL_E10value_typeEPNSR_ISM_E10value_typeEPSN_NS1_7vsmem_tEENKUlT_SL_SM_SN_E_clIS8_S8_S9_S9_EESK_S10_SL_SM_SN_EUlS10_E0_NS1_11comp_targetILNS1_3genE8ELNS1_11target_archE1030ELNS1_3gpuE2ELNS1_3repE0EEENS1_38merge_mergepath_config_static_selectorELNS0_4arch9wavefront6targetE0EEEvSM_,comdat
.Lfunc_end1629:
	.size	_ZN7rocprim17ROCPRIM_400000_NS6detail17trampoline_kernelINS0_14default_configENS1_38merge_sort_block_merge_config_selectorIlNS0_10empty_typeEEEZZNS1_27merge_sort_block_merge_implIS3_PlPS5_mZN2at6native12_GLOBAL__N_124unique_dim_cuda_templateImEESt5tupleIJNSA_6TensorESF_SF_EERKSF_lbbbEUlllE_EE10hipError_tT0_T1_T2_jT3_P12ihipStream_tbPNSt15iterator_traitsISL_E10value_typeEPNSR_ISM_E10value_typeEPSN_NS1_7vsmem_tEENKUlT_SL_SM_SN_E_clIS8_S8_S9_S9_EESK_S10_SL_SM_SN_EUlS10_E0_NS1_11comp_targetILNS1_3genE8ELNS1_11target_archE1030ELNS1_3gpuE2ELNS1_3repE0EEENS1_38merge_mergepath_config_static_selectorELNS0_4arch9wavefront6targetE0EEEvSM_, .Lfunc_end1629-_ZN7rocprim17ROCPRIM_400000_NS6detail17trampoline_kernelINS0_14default_configENS1_38merge_sort_block_merge_config_selectorIlNS0_10empty_typeEEEZZNS1_27merge_sort_block_merge_implIS3_PlPS5_mZN2at6native12_GLOBAL__N_124unique_dim_cuda_templateImEESt5tupleIJNSA_6TensorESF_SF_EERKSF_lbbbEUlllE_EE10hipError_tT0_T1_T2_jT3_P12ihipStream_tbPNSt15iterator_traitsISL_E10value_typeEPNSR_ISM_E10value_typeEPSN_NS1_7vsmem_tEENKUlT_SL_SM_SN_E_clIS8_S8_S9_S9_EESK_S10_SL_SM_SN_EUlS10_E0_NS1_11comp_targetILNS1_3genE8ELNS1_11target_archE1030ELNS1_3gpuE2ELNS1_3repE0EEENS1_38merge_mergepath_config_static_selectorELNS0_4arch9wavefront6targetE0EEEvSM_
                                        ; -- End function
	.set _ZN7rocprim17ROCPRIM_400000_NS6detail17trampoline_kernelINS0_14default_configENS1_38merge_sort_block_merge_config_selectorIlNS0_10empty_typeEEEZZNS1_27merge_sort_block_merge_implIS3_PlPS5_mZN2at6native12_GLOBAL__N_124unique_dim_cuda_templateImEESt5tupleIJNSA_6TensorESF_SF_EERKSF_lbbbEUlllE_EE10hipError_tT0_T1_T2_jT3_P12ihipStream_tbPNSt15iterator_traitsISL_E10value_typeEPNSR_ISM_E10value_typeEPSN_NS1_7vsmem_tEENKUlT_SL_SM_SN_E_clIS8_S8_S9_S9_EESK_S10_SL_SM_SN_EUlS10_E0_NS1_11comp_targetILNS1_3genE8ELNS1_11target_archE1030ELNS1_3gpuE2ELNS1_3repE0EEENS1_38merge_mergepath_config_static_selectorELNS0_4arch9wavefront6targetE0EEEvSM_.num_vgpr, 0
	.set _ZN7rocprim17ROCPRIM_400000_NS6detail17trampoline_kernelINS0_14default_configENS1_38merge_sort_block_merge_config_selectorIlNS0_10empty_typeEEEZZNS1_27merge_sort_block_merge_implIS3_PlPS5_mZN2at6native12_GLOBAL__N_124unique_dim_cuda_templateImEESt5tupleIJNSA_6TensorESF_SF_EERKSF_lbbbEUlllE_EE10hipError_tT0_T1_T2_jT3_P12ihipStream_tbPNSt15iterator_traitsISL_E10value_typeEPNSR_ISM_E10value_typeEPSN_NS1_7vsmem_tEENKUlT_SL_SM_SN_E_clIS8_S8_S9_S9_EESK_S10_SL_SM_SN_EUlS10_E0_NS1_11comp_targetILNS1_3genE8ELNS1_11target_archE1030ELNS1_3gpuE2ELNS1_3repE0EEENS1_38merge_mergepath_config_static_selectorELNS0_4arch9wavefront6targetE0EEEvSM_.num_agpr, 0
	.set _ZN7rocprim17ROCPRIM_400000_NS6detail17trampoline_kernelINS0_14default_configENS1_38merge_sort_block_merge_config_selectorIlNS0_10empty_typeEEEZZNS1_27merge_sort_block_merge_implIS3_PlPS5_mZN2at6native12_GLOBAL__N_124unique_dim_cuda_templateImEESt5tupleIJNSA_6TensorESF_SF_EERKSF_lbbbEUlllE_EE10hipError_tT0_T1_T2_jT3_P12ihipStream_tbPNSt15iterator_traitsISL_E10value_typeEPNSR_ISM_E10value_typeEPSN_NS1_7vsmem_tEENKUlT_SL_SM_SN_E_clIS8_S8_S9_S9_EESK_S10_SL_SM_SN_EUlS10_E0_NS1_11comp_targetILNS1_3genE8ELNS1_11target_archE1030ELNS1_3gpuE2ELNS1_3repE0EEENS1_38merge_mergepath_config_static_selectorELNS0_4arch9wavefront6targetE0EEEvSM_.numbered_sgpr, 0
	.set _ZN7rocprim17ROCPRIM_400000_NS6detail17trampoline_kernelINS0_14default_configENS1_38merge_sort_block_merge_config_selectorIlNS0_10empty_typeEEEZZNS1_27merge_sort_block_merge_implIS3_PlPS5_mZN2at6native12_GLOBAL__N_124unique_dim_cuda_templateImEESt5tupleIJNSA_6TensorESF_SF_EERKSF_lbbbEUlllE_EE10hipError_tT0_T1_T2_jT3_P12ihipStream_tbPNSt15iterator_traitsISL_E10value_typeEPNSR_ISM_E10value_typeEPSN_NS1_7vsmem_tEENKUlT_SL_SM_SN_E_clIS8_S8_S9_S9_EESK_S10_SL_SM_SN_EUlS10_E0_NS1_11comp_targetILNS1_3genE8ELNS1_11target_archE1030ELNS1_3gpuE2ELNS1_3repE0EEENS1_38merge_mergepath_config_static_selectorELNS0_4arch9wavefront6targetE0EEEvSM_.num_named_barrier, 0
	.set _ZN7rocprim17ROCPRIM_400000_NS6detail17trampoline_kernelINS0_14default_configENS1_38merge_sort_block_merge_config_selectorIlNS0_10empty_typeEEEZZNS1_27merge_sort_block_merge_implIS3_PlPS5_mZN2at6native12_GLOBAL__N_124unique_dim_cuda_templateImEESt5tupleIJNSA_6TensorESF_SF_EERKSF_lbbbEUlllE_EE10hipError_tT0_T1_T2_jT3_P12ihipStream_tbPNSt15iterator_traitsISL_E10value_typeEPNSR_ISM_E10value_typeEPSN_NS1_7vsmem_tEENKUlT_SL_SM_SN_E_clIS8_S8_S9_S9_EESK_S10_SL_SM_SN_EUlS10_E0_NS1_11comp_targetILNS1_3genE8ELNS1_11target_archE1030ELNS1_3gpuE2ELNS1_3repE0EEENS1_38merge_mergepath_config_static_selectorELNS0_4arch9wavefront6targetE0EEEvSM_.private_seg_size, 0
	.set _ZN7rocprim17ROCPRIM_400000_NS6detail17trampoline_kernelINS0_14default_configENS1_38merge_sort_block_merge_config_selectorIlNS0_10empty_typeEEEZZNS1_27merge_sort_block_merge_implIS3_PlPS5_mZN2at6native12_GLOBAL__N_124unique_dim_cuda_templateImEESt5tupleIJNSA_6TensorESF_SF_EERKSF_lbbbEUlllE_EE10hipError_tT0_T1_T2_jT3_P12ihipStream_tbPNSt15iterator_traitsISL_E10value_typeEPNSR_ISM_E10value_typeEPSN_NS1_7vsmem_tEENKUlT_SL_SM_SN_E_clIS8_S8_S9_S9_EESK_S10_SL_SM_SN_EUlS10_E0_NS1_11comp_targetILNS1_3genE8ELNS1_11target_archE1030ELNS1_3gpuE2ELNS1_3repE0EEENS1_38merge_mergepath_config_static_selectorELNS0_4arch9wavefront6targetE0EEEvSM_.uses_vcc, 0
	.set _ZN7rocprim17ROCPRIM_400000_NS6detail17trampoline_kernelINS0_14default_configENS1_38merge_sort_block_merge_config_selectorIlNS0_10empty_typeEEEZZNS1_27merge_sort_block_merge_implIS3_PlPS5_mZN2at6native12_GLOBAL__N_124unique_dim_cuda_templateImEESt5tupleIJNSA_6TensorESF_SF_EERKSF_lbbbEUlllE_EE10hipError_tT0_T1_T2_jT3_P12ihipStream_tbPNSt15iterator_traitsISL_E10value_typeEPNSR_ISM_E10value_typeEPSN_NS1_7vsmem_tEENKUlT_SL_SM_SN_E_clIS8_S8_S9_S9_EESK_S10_SL_SM_SN_EUlS10_E0_NS1_11comp_targetILNS1_3genE8ELNS1_11target_archE1030ELNS1_3gpuE2ELNS1_3repE0EEENS1_38merge_mergepath_config_static_selectorELNS0_4arch9wavefront6targetE0EEEvSM_.uses_flat_scratch, 0
	.set _ZN7rocprim17ROCPRIM_400000_NS6detail17trampoline_kernelINS0_14default_configENS1_38merge_sort_block_merge_config_selectorIlNS0_10empty_typeEEEZZNS1_27merge_sort_block_merge_implIS3_PlPS5_mZN2at6native12_GLOBAL__N_124unique_dim_cuda_templateImEESt5tupleIJNSA_6TensorESF_SF_EERKSF_lbbbEUlllE_EE10hipError_tT0_T1_T2_jT3_P12ihipStream_tbPNSt15iterator_traitsISL_E10value_typeEPNSR_ISM_E10value_typeEPSN_NS1_7vsmem_tEENKUlT_SL_SM_SN_E_clIS8_S8_S9_S9_EESK_S10_SL_SM_SN_EUlS10_E0_NS1_11comp_targetILNS1_3genE8ELNS1_11target_archE1030ELNS1_3gpuE2ELNS1_3repE0EEENS1_38merge_mergepath_config_static_selectorELNS0_4arch9wavefront6targetE0EEEvSM_.has_dyn_sized_stack, 0
	.set _ZN7rocprim17ROCPRIM_400000_NS6detail17trampoline_kernelINS0_14default_configENS1_38merge_sort_block_merge_config_selectorIlNS0_10empty_typeEEEZZNS1_27merge_sort_block_merge_implIS3_PlPS5_mZN2at6native12_GLOBAL__N_124unique_dim_cuda_templateImEESt5tupleIJNSA_6TensorESF_SF_EERKSF_lbbbEUlllE_EE10hipError_tT0_T1_T2_jT3_P12ihipStream_tbPNSt15iterator_traitsISL_E10value_typeEPNSR_ISM_E10value_typeEPSN_NS1_7vsmem_tEENKUlT_SL_SM_SN_E_clIS8_S8_S9_S9_EESK_S10_SL_SM_SN_EUlS10_E0_NS1_11comp_targetILNS1_3genE8ELNS1_11target_archE1030ELNS1_3gpuE2ELNS1_3repE0EEENS1_38merge_mergepath_config_static_selectorELNS0_4arch9wavefront6targetE0EEEvSM_.has_recursion, 0
	.set _ZN7rocprim17ROCPRIM_400000_NS6detail17trampoline_kernelINS0_14default_configENS1_38merge_sort_block_merge_config_selectorIlNS0_10empty_typeEEEZZNS1_27merge_sort_block_merge_implIS3_PlPS5_mZN2at6native12_GLOBAL__N_124unique_dim_cuda_templateImEESt5tupleIJNSA_6TensorESF_SF_EERKSF_lbbbEUlllE_EE10hipError_tT0_T1_T2_jT3_P12ihipStream_tbPNSt15iterator_traitsISL_E10value_typeEPNSR_ISM_E10value_typeEPSN_NS1_7vsmem_tEENKUlT_SL_SM_SN_E_clIS8_S8_S9_S9_EESK_S10_SL_SM_SN_EUlS10_E0_NS1_11comp_targetILNS1_3genE8ELNS1_11target_archE1030ELNS1_3gpuE2ELNS1_3repE0EEENS1_38merge_mergepath_config_static_selectorELNS0_4arch9wavefront6targetE0EEEvSM_.has_indirect_call, 0
	.section	.AMDGPU.csdata,"",@progbits
; Kernel info:
; codeLenInByte = 0
; TotalNumSgprs: 0
; NumVgprs: 0
; ScratchSize: 0
; MemoryBound: 0
; FloatMode: 240
; IeeeMode: 1
; LDSByteSize: 0 bytes/workgroup (compile time only)
; SGPRBlocks: 0
; VGPRBlocks: 0
; NumSGPRsForWavesPerEU: 1
; NumVGPRsForWavesPerEU: 1
; NamedBarCnt: 0
; Occupancy: 16
; WaveLimiterHint : 0
; COMPUTE_PGM_RSRC2:SCRATCH_EN: 0
; COMPUTE_PGM_RSRC2:USER_SGPR: 2
; COMPUTE_PGM_RSRC2:TRAP_HANDLER: 0
; COMPUTE_PGM_RSRC2:TGID_X_EN: 1
; COMPUTE_PGM_RSRC2:TGID_Y_EN: 0
; COMPUTE_PGM_RSRC2:TGID_Z_EN: 0
; COMPUTE_PGM_RSRC2:TIDIG_COMP_CNT: 0
	.section	.text._ZN7rocprim17ROCPRIM_400000_NS6detail17trampoline_kernelINS0_14default_configENS1_38merge_sort_block_merge_config_selectorIlNS0_10empty_typeEEEZZNS1_27merge_sort_block_merge_implIS3_PlPS5_mZN2at6native12_GLOBAL__N_124unique_dim_cuda_templateImEESt5tupleIJNSA_6TensorESF_SF_EERKSF_lbbbEUlllE_EE10hipError_tT0_T1_T2_jT3_P12ihipStream_tbPNSt15iterator_traitsISL_E10value_typeEPNSR_ISM_E10value_typeEPSN_NS1_7vsmem_tEENKUlT_SL_SM_SN_E_clIS8_S8_S9_S9_EESK_S10_SL_SM_SN_EUlS10_E1_NS1_11comp_targetILNS1_3genE0ELNS1_11target_archE4294967295ELNS1_3gpuE0ELNS1_3repE0EEENS1_36merge_oddeven_config_static_selectorELNS0_4arch9wavefront6targetE0EEEvSM_,"axG",@progbits,_ZN7rocprim17ROCPRIM_400000_NS6detail17trampoline_kernelINS0_14default_configENS1_38merge_sort_block_merge_config_selectorIlNS0_10empty_typeEEEZZNS1_27merge_sort_block_merge_implIS3_PlPS5_mZN2at6native12_GLOBAL__N_124unique_dim_cuda_templateImEESt5tupleIJNSA_6TensorESF_SF_EERKSF_lbbbEUlllE_EE10hipError_tT0_T1_T2_jT3_P12ihipStream_tbPNSt15iterator_traitsISL_E10value_typeEPNSR_ISM_E10value_typeEPSN_NS1_7vsmem_tEENKUlT_SL_SM_SN_E_clIS8_S8_S9_S9_EESK_S10_SL_SM_SN_EUlS10_E1_NS1_11comp_targetILNS1_3genE0ELNS1_11target_archE4294967295ELNS1_3gpuE0ELNS1_3repE0EEENS1_36merge_oddeven_config_static_selectorELNS0_4arch9wavefront6targetE0EEEvSM_,comdat
	.globl	_ZN7rocprim17ROCPRIM_400000_NS6detail17trampoline_kernelINS0_14default_configENS1_38merge_sort_block_merge_config_selectorIlNS0_10empty_typeEEEZZNS1_27merge_sort_block_merge_implIS3_PlPS5_mZN2at6native12_GLOBAL__N_124unique_dim_cuda_templateImEESt5tupleIJNSA_6TensorESF_SF_EERKSF_lbbbEUlllE_EE10hipError_tT0_T1_T2_jT3_P12ihipStream_tbPNSt15iterator_traitsISL_E10value_typeEPNSR_ISM_E10value_typeEPSN_NS1_7vsmem_tEENKUlT_SL_SM_SN_E_clIS8_S8_S9_S9_EESK_S10_SL_SM_SN_EUlS10_E1_NS1_11comp_targetILNS1_3genE0ELNS1_11target_archE4294967295ELNS1_3gpuE0ELNS1_3repE0EEENS1_36merge_oddeven_config_static_selectorELNS0_4arch9wavefront6targetE0EEEvSM_ ; -- Begin function _ZN7rocprim17ROCPRIM_400000_NS6detail17trampoline_kernelINS0_14default_configENS1_38merge_sort_block_merge_config_selectorIlNS0_10empty_typeEEEZZNS1_27merge_sort_block_merge_implIS3_PlPS5_mZN2at6native12_GLOBAL__N_124unique_dim_cuda_templateImEESt5tupleIJNSA_6TensorESF_SF_EERKSF_lbbbEUlllE_EE10hipError_tT0_T1_T2_jT3_P12ihipStream_tbPNSt15iterator_traitsISL_E10value_typeEPNSR_ISM_E10value_typeEPSN_NS1_7vsmem_tEENKUlT_SL_SM_SN_E_clIS8_S8_S9_S9_EESK_S10_SL_SM_SN_EUlS10_E1_NS1_11comp_targetILNS1_3genE0ELNS1_11target_archE4294967295ELNS1_3gpuE0ELNS1_3repE0EEENS1_36merge_oddeven_config_static_selectorELNS0_4arch9wavefront6targetE0EEEvSM_
	.p2align	8
	.type	_ZN7rocprim17ROCPRIM_400000_NS6detail17trampoline_kernelINS0_14default_configENS1_38merge_sort_block_merge_config_selectorIlNS0_10empty_typeEEEZZNS1_27merge_sort_block_merge_implIS3_PlPS5_mZN2at6native12_GLOBAL__N_124unique_dim_cuda_templateImEESt5tupleIJNSA_6TensorESF_SF_EERKSF_lbbbEUlllE_EE10hipError_tT0_T1_T2_jT3_P12ihipStream_tbPNSt15iterator_traitsISL_E10value_typeEPNSR_ISM_E10value_typeEPSN_NS1_7vsmem_tEENKUlT_SL_SM_SN_E_clIS8_S8_S9_S9_EESK_S10_SL_SM_SN_EUlS10_E1_NS1_11comp_targetILNS1_3genE0ELNS1_11target_archE4294967295ELNS1_3gpuE0ELNS1_3repE0EEENS1_36merge_oddeven_config_static_selectorELNS0_4arch9wavefront6targetE0EEEvSM_,@function
_ZN7rocprim17ROCPRIM_400000_NS6detail17trampoline_kernelINS0_14default_configENS1_38merge_sort_block_merge_config_selectorIlNS0_10empty_typeEEEZZNS1_27merge_sort_block_merge_implIS3_PlPS5_mZN2at6native12_GLOBAL__N_124unique_dim_cuda_templateImEESt5tupleIJNSA_6TensorESF_SF_EERKSF_lbbbEUlllE_EE10hipError_tT0_T1_T2_jT3_P12ihipStream_tbPNSt15iterator_traitsISL_E10value_typeEPNSR_ISM_E10value_typeEPSN_NS1_7vsmem_tEENKUlT_SL_SM_SN_E_clIS8_S8_S9_S9_EESK_S10_SL_SM_SN_EUlS10_E1_NS1_11comp_targetILNS1_3genE0ELNS1_11target_archE4294967295ELNS1_3gpuE0ELNS1_3repE0EEENS1_36merge_oddeven_config_static_selectorELNS0_4arch9wavefront6targetE0EEEvSM_: ; @_ZN7rocprim17ROCPRIM_400000_NS6detail17trampoline_kernelINS0_14default_configENS1_38merge_sort_block_merge_config_selectorIlNS0_10empty_typeEEEZZNS1_27merge_sort_block_merge_implIS3_PlPS5_mZN2at6native12_GLOBAL__N_124unique_dim_cuda_templateImEESt5tupleIJNSA_6TensorESF_SF_EERKSF_lbbbEUlllE_EE10hipError_tT0_T1_T2_jT3_P12ihipStream_tbPNSt15iterator_traitsISL_E10value_typeEPNSR_ISM_E10value_typeEPSN_NS1_7vsmem_tEENKUlT_SL_SM_SN_E_clIS8_S8_S9_S9_EESK_S10_SL_SM_SN_EUlS10_E1_NS1_11comp_targetILNS1_3genE0ELNS1_11target_archE4294967295ELNS1_3gpuE0ELNS1_3repE0EEENS1_36merge_oddeven_config_static_selectorELNS0_4arch9wavefront6targetE0EEEvSM_
; %bb.0:
	s_load_b32 s3, s[0:1], 0x20
	s_bfe_u32 s2, ttmp6, 0x4000c
	s_and_b32 s4, ttmp6, 15
	s_add_co_i32 s2, s2, 1
	s_getreg_b32 s5, hwreg(HW_REG_IB_STS2, 6, 4)
	s_mul_i32 s2, ttmp9, s2
	s_mov_b32 s13, 0
	s_add_co_i32 s4, s4, s2
	s_cmp_eq_u32 s5, 0
	s_cselect_b32 s9, ttmp9, s4
	s_wait_kmcnt 0x0
	s_lshr_b32 s2, s3, 8
	s_delay_alu instid0(SALU_CYCLE_1) | instskip(SKIP_4) | instid1(SALU_CYCLE_1)
	s_cmp_lg_u32 s9, s2
	s_cselect_b32 s8, -1, 0
	s_cmp_eq_u32 s9, s2
	s_cselect_b32 s14, -1, 0
	s_lshl_b32 s12, s9, 8
	s_sub_co_i32 s2, s3, s12
	s_delay_alu instid0(SALU_CYCLE_1) | instskip(SKIP_1) | instid1(SALU_CYCLE_1)
	v_cmp_gt_u32_e64 s2, s2, v0
	s_or_b32 s4, s8, s2
	s_and_saveexec_b32 s5, s4
	s_cbranch_execz .LBB1630_54
; %bb.1:
	s_clause 0x1
	s_load_b128 s[4:7], s[0:1], 0x0
	s_load_b32 s15, s[0:1], 0x28
	s_lshl_b64 s[10:11], s[12:13], 3
	s_wait_kmcnt 0x0
	s_add_nc_u64 s[10:11], s[4:5], s[10:11]
	global_load_b64 v[2:3], v0, s[10:11] scale_offset
	s_wait_xcnt 0x0
	s_lshr_b32 s10, s15, 8
	s_delay_alu instid0(SALU_CYCLE_1) | instskip(NEXT) | instid1(SALU_CYCLE_1)
	s_sub_co_i32 s11, 0, s10
	s_and_b32 s9, s9, s11
	s_delay_alu instid0(SALU_CYCLE_1) | instskip(NEXT) | instid1(SALU_CYCLE_1)
	s_and_b32 s10, s9, s10
	s_cmp_lg_u32 s10, 0
	s_cselect_b32 s16, -1, 0
	s_lshl_b32 s18, s9, 8
	s_sub_co_i32 s9, 0, s15
	s_cmp_eq_u32 s10, 0
	s_cselect_b32 s17, s15, s9
	s_delay_alu instid0(SALU_CYCLE_1) | instskip(NEXT) | instid1(SALU_CYCLE_1)
	s_add_co_i32 s17, s17, s18
	s_cmp_lt_u32 s17, s3
	s_cbranch_scc1 .LBB1630_3
; %bb.2:
	v_add_nc_u32_e32 v1, s12, v0
	s_delay_alu instid0(VALU_DEP_1) | instskip(SKIP_1) | instid1(SALU_CYCLE_1)
	v_cmp_gt_u32_e32 vcc_lo, s3, v1
	s_or_b32 s9, vcc_lo, s8
	s_and_b32 s13, s9, exec_lo
	s_cbranch_execz .LBB1630_4
	s_branch .LBB1630_52
.LBB1630_3:
                                        ; implicit-def: $vgpr1
.LBB1630_4:
	s_load_b128 s[8:11], s[0:1], 0x30
	v_add_nc_u32_e32 v0, s12, v0
	s_min_u32 s12, s17, s3
	s_and_b32 vcc_lo, exec_lo, s14
	s_wait_xcnt 0x0
	s_add_co_i32 s0, s18, s12
	s_delay_alu instid0(SALU_CYCLE_1) | instskip(SKIP_3) | instid1(VALU_DEP_1)
	v_subrev_nc_u32_e32 v0, s0, v0
	s_add_co_i32 s0, s12, s15
	s_min_u32 s15, s18, s12
	s_min_u32 s18, s0, s3
	v_add_nc_u32_e32 v10, s15, v0
	s_wait_kmcnt 0x0
	v_cmp_gt_i64_e64 s1, s[8:9], 0
	s_cbranch_vccz .LBB1630_26
; %bb.5:
                                        ; implicit-def: $vgpr1
	s_and_saveexec_b32 s19, s2
	s_cbranch_execz .LBB1630_29
; %bb.6:
	v_mov_b32_e32 v11, s12
	s_cmp_ge_u32 s17, s18
	s_cbranch_scc1 .LBB1630_28
; %bb.7:
	s_wait_loadcnt 0x0
	v_mul_u64_e32 v[0:1], s[8:9], v[2:3]
	v_dual_mov_b32 v12, s18 :: v_dual_mov_b32 v11, s12
	s_lshl_b64 s[2:3], s[8:9], 3
	s_mov_b32 s20, 0
	s_delay_alu instid0(VALU_DEP_2)
	v_lshl_add_u64 v[0:1], v[0:1], 3, s[10:11]
	s_branch .LBB1630_10
.LBB1630_8:                             ;   in Loop: Header=BB1630_10 Depth=1
	s_or_b32 exec_lo, exec_lo, s22
.LBB1630_9:                             ;   in Loop: Header=BB1630_10 Depth=1
	s_wait_loadcnt 0x0
	v_dual_add_nc_u32 v4, 1, v13 :: v_dual_cndmask_b32 v12, v13, v12, s21
	s_delay_alu instid0(VALU_DEP_1) | instskip(NEXT) | instid1(VALU_DEP_1)
	v_cndmask_b32_e64 v11, v11, v4, s21
	v_cmp_ge_u32_e32 vcc_lo, v11, v12
	s_or_b32 s20, vcc_lo, s20
	s_delay_alu instid0(SALU_CYCLE_1)
	s_and_not1_b32 exec_lo, exec_lo, s20
	s_cbranch_execz .LBB1630_27
.LBB1630_10:                            ; =>This Loop Header: Depth=1
                                        ;     Child Loop BB1630_14 Depth 2
                                        ;     Child Loop BB1630_23 Depth 2
	v_add_nc_u32_e32 v4, v11, v12
	s_and_not1_b32 vcc_lo, exec_lo, s16
	s_mov_b32 s0, -1
                                        ; implicit-def: $sgpr21
	s_delay_alu instid0(VALU_DEP_1)
	v_lshrrev_b32_e32 v13, 1, v4
	global_load_b64 v[4:5], v13, s[4:5] scale_offset
	s_cbranch_vccnz .LBB1630_19
; %bb.11:                               ;   in Loop: Header=BB1630_10 Depth=1
	s_and_not1_b32 vcc_lo, exec_lo, s1
	s_cbranch_vccnz .LBB1630_17
; %bb.12:                               ;   in Loop: Header=BB1630_10 Depth=1
	s_wait_loadcnt 0x0
	v_mad_nc_u64_u32 v[6:7], s2, v4, s[10:11]
	v_mov_b64_e32 v[8:9], v[0:1]
	s_mov_b32 s21, 0
	s_mov_b64 s[14:15], s[8:9]
                                        ; implicit-def: $sgpr22
                                        ; implicit-def: $sgpr23
                                        ; implicit-def: $sgpr24
                                        ; implicit-def: $sgpr25
	s_delay_alu instid0(VALU_DEP_2) | instskip(NEXT) | instid1(VALU_DEP_1)
	v_mad_u32 v7, s3, v4, v7
	v_mad_u32 v7, s2, v5, v7
	s_branch .LBB1630_14
.LBB1630_13:                            ;   in Loop: Header=BB1630_14 Depth=2
	s_or_b32 exec_lo, exec_lo, s26
	s_delay_alu instid0(SALU_CYCLE_1) | instskip(NEXT) | instid1(SALU_CYCLE_1)
	s_and_b32 s26, exec_lo, s23
	s_or_b32 s21, s26, s21
	s_and_not1_b32 s25, s25, exec_lo
	s_and_b32 s0, s0, exec_lo
	s_and_not1_b32 s22, s22, exec_lo
	s_and_b32 s26, s24, exec_lo
	s_or_b32 s25, s25, s0
	s_or_b32 s22, s22, s26
	s_and_not1_b32 exec_lo, exec_lo, s21
	s_cbranch_execz .LBB1630_16
.LBB1630_14:                            ;   Parent Loop BB1630_10 Depth=1
                                        ; =>  This Inner Loop Header: Depth=2
	global_load_b64 v[14:15], v[8:9], off
	global_load_b64 v[16:17], v[6:7], off
	s_and_not1_b32 s24, s24, exec_lo
	s_or_b32 s23, s23, exec_lo
	s_wait_loadcnt 0x0
	v_cmp_le_u64_e32 vcc_lo, v[14:15], v[16:17]
	v_cmp_lt_u64_e64 s0, v[14:15], v[16:17]
	s_and_b32 s26, vcc_lo, s25
	s_delay_alu instid0(SALU_CYCLE_1) | instskip(NEXT) | instid1(SALU_CYCLE_1)
	s_or_b32 s0, s0, s26
	s_and_b32 s26, s0, exec_lo
	s_delay_alu instid0(SALU_CYCLE_1)
	s_or_b32 s24, s24, s26
	s_mov_b32 s26, exec_lo
	v_cmpx_eq_u64_e64 v[14:15], v[16:17]
	s_cbranch_execz .LBB1630_13
; %bb.15:                               ;   in Loop: Header=BB1630_14 Depth=2
	s_add_nc_u64 s[14:15], s[14:15], -1
	v_add_nc_u64_e32 v[8:9], 8, v[8:9]
	s_cmp_eq_u64 s[14:15], 0
	v_add_nc_u64_e32 v[6:7], 8, v[6:7]
	s_cselect_b32 s25, -1, 0
	s_and_not1_b32 s23, s23, exec_lo
	s_and_b32 s25, s25, exec_lo
	s_and_not1_b32 s24, s24, exec_lo
	s_or_b32 s23, s23, s25
                                        ; implicit-def: $sgpr25
	s_branch .LBB1630_13
.LBB1630_16:                            ;   in Loop: Header=BB1630_10 Depth=1
	s_or_b32 exec_lo, exec_lo, s21
	s_xor_b32 s21, s22, -1
	s_branch .LBB1630_18
.LBB1630_17:                            ;   in Loop: Header=BB1630_10 Depth=1
	s_mov_b32 s21, -1
.LBB1630_18:                            ;   in Loop: Header=BB1630_10 Depth=1
	s_mov_b32 s0, 0
.LBB1630_19:                            ;   in Loop: Header=BB1630_10 Depth=1
	s_delay_alu instid0(SALU_CYCLE_1)
	s_and_not1_b32 vcc_lo, exec_lo, s0
	s_cbranch_vccnz .LBB1630_9
; %bb.20:                               ;   in Loop: Header=BB1630_10 Depth=1
	s_and_not1_b32 vcc_lo, exec_lo, s1
	s_cbranch_vccnz .LBB1630_25
; %bb.21:                               ;   in Loop: Header=BB1630_10 Depth=1
	s_wait_loadcnt 0x0
	v_mad_nc_u64_u32 v[6:7], s2, v4, s[10:11]
	s_mov_b32 s22, 0
	s_mov_b64 s[14:15], s[8:9]
                                        ; implicit-def: $sgpr21
                                        ; implicit-def: $sgpr23
                                        ; implicit-def: $sgpr24
                                        ; implicit-def: $sgpr25
	s_delay_alu instid0(VALU_DEP_1) | instskip(NEXT) | instid1(VALU_DEP_1)
	v_mad_u32 v4, s3, v4, v7
	v_mad_u32 v7, s2, v5, v4
	v_mov_b64_e32 v[4:5], v[0:1]
	s_branch .LBB1630_23
.LBB1630_22:                            ;   in Loop: Header=BB1630_23 Depth=2
	s_or_b32 exec_lo, exec_lo, s26
	s_delay_alu instid0(SALU_CYCLE_1) | instskip(NEXT) | instid1(SALU_CYCLE_1)
	s_and_b32 s26, exec_lo, s23
	s_or_b32 s22, s26, s22
	s_and_not1_b32 s25, s25, exec_lo
	s_and_b32 s0, s0, exec_lo
	s_and_not1_b32 s21, s21, exec_lo
	s_and_b32 s26, s24, exec_lo
	s_or_b32 s25, s25, s0
	s_or_b32 s21, s21, s26
	s_and_not1_b32 exec_lo, exec_lo, s22
	s_cbranch_execz .LBB1630_8
.LBB1630_23:                            ;   Parent Loop BB1630_10 Depth=1
                                        ; =>  This Inner Loop Header: Depth=2
	global_load_b64 v[8:9], v[6:7], off
	global_load_b64 v[14:15], v[4:5], off
	s_and_not1_b32 s24, s24, exec_lo
	s_or_b32 s23, s23, exec_lo
	s_wait_loadcnt 0x0
	v_cmp_le_u64_e32 vcc_lo, v[8:9], v[14:15]
	v_cmp_lt_u64_e64 s0, v[8:9], v[14:15]
	s_and_b32 s26, vcc_lo, s25
	s_delay_alu instid0(SALU_CYCLE_1) | instskip(NEXT) | instid1(SALU_CYCLE_1)
	s_or_b32 s0, s0, s26
	s_and_b32 s26, s0, exec_lo
	s_delay_alu instid0(SALU_CYCLE_1)
	s_or_b32 s24, s24, s26
	s_mov_b32 s26, exec_lo
	v_cmpx_eq_u64_e64 v[8:9], v[14:15]
	s_cbranch_execz .LBB1630_22
; %bb.24:                               ;   in Loop: Header=BB1630_23 Depth=2
	s_add_nc_u64 s[14:15], s[14:15], -1
	v_add_nc_u64_e32 v[6:7], 8, v[6:7]
	s_cmp_eq_u64 s[14:15], 0
	v_add_nc_u64_e32 v[4:5], 8, v[4:5]
	s_cselect_b32 s25, -1, 0
	s_and_not1_b32 s23, s23, exec_lo
	s_and_b32 s25, s25, exec_lo
	s_and_not1_b32 s24, s24, exec_lo
	s_or_b32 s23, s23, s25
                                        ; implicit-def: $sgpr25
	s_branch .LBB1630_22
.LBB1630_25:                            ;   in Loop: Header=BB1630_10 Depth=1
	s_mov_b32 s21, 0
	s_branch .LBB1630_9
.LBB1630_26:
                                        ; implicit-def: $vgpr1
	s_cbranch_execnz .LBB1630_30
	s_branch .LBB1630_52
.LBB1630_27:
	s_or_b32 exec_lo, exec_lo, s20
.LBB1630_28:
	s_delay_alu instid0(VALU_DEP_1)
	v_add_nc_u32_e32 v1, v11, v10
	s_or_b32 s13, s13, exec_lo
.LBB1630_29:
	s_or_b32 exec_lo, exec_lo, s19
	s_branch .LBB1630_52
.LBB1630_30:
	v_mov_b32_e32 v11, s12
	s_cmp_ge_u32 s17, s18
	s_cbranch_scc1 .LBB1630_51
; %bb.31:
	s_wait_loadcnt 0x0
	v_mul_u64_e32 v[0:1], s[8:9], v[2:3]
	v_dual_mov_b32 v12, s18 :: v_dual_mov_b32 v11, s12
	v_cndmask_b32_e64 v13, 0, 1, s1
	s_lshl_b64 s[2:3], s[8:9], 3
	s_mov_b32 s14, 0
	s_delay_alu instid0(VALU_DEP_3)
	v_lshl_add_u64 v[0:1], v[0:1], 3, s[10:11]
	s_branch .LBB1630_34
.LBB1630_32:                            ;   in Loop: Header=BB1630_34 Depth=1
	s_or_b32 exec_lo, exec_lo, s17
.LBB1630_33:                            ;   in Loop: Header=BB1630_34 Depth=1
	s_wait_loadcnt 0x0
	v_dual_add_nc_u32 v4, 1, v14 :: v_dual_cndmask_b32 v12, v14, v12, s15
	s_delay_alu instid0(VALU_DEP_1) | instskip(NEXT) | instid1(VALU_DEP_1)
	v_cndmask_b32_e64 v11, v11, v4, s15
	v_cmp_ge_u32_e32 vcc_lo, v11, v12
	s_or_b32 s14, vcc_lo, s14
	s_delay_alu instid0(SALU_CYCLE_1)
	s_and_not1_b32 exec_lo, exec_lo, s14
	s_cbranch_execz .LBB1630_50
.LBB1630_34:                            ; =>This Loop Header: Depth=1
                                        ;     Child Loop BB1630_38 Depth 2
                                        ;     Child Loop BB1630_47 Depth 2
	v_add_nc_u32_e32 v4, v11, v12
	v_cmp_ne_u32_e64 s0, 1, v13
	s_and_not1_b32 vcc_lo, exec_lo, s16
	s_mov_b32 s12, -1
                                        ; implicit-def: $sgpr15
	v_lshrrev_b32_e32 v14, 1, v4
	global_load_b64 v[4:5], v14, s[4:5] scale_offset
	s_cbranch_vccnz .LBB1630_43
; %bb.35:                               ;   in Loop: Header=BB1630_34 Depth=1
	s_and_b32 vcc_lo, exec_lo, s0
	s_cbranch_vccnz .LBB1630_41
; %bb.36:                               ;   in Loop: Header=BB1630_34 Depth=1
	s_wait_loadcnt 0x0
	v_mad_nc_u64_u32 v[6:7], s2, v4, s[10:11]
	v_mov_b64_e32 v[8:9], v[0:1]
	s_mov_b32 s15, 0
	s_mov_b64 s[12:13], s[8:9]
                                        ; implicit-def: $sgpr17
                                        ; implicit-def: $sgpr18
                                        ; implicit-def: $sgpr19
                                        ; implicit-def: $sgpr20
	s_delay_alu instid0(VALU_DEP_2) | instskip(NEXT) | instid1(VALU_DEP_1)
	v_mad_u32 v7, s3, v4, v7
	v_mad_u32 v7, s2, v5, v7
	s_branch .LBB1630_38
.LBB1630_37:                            ;   in Loop: Header=BB1630_38 Depth=2
	s_or_b32 exec_lo, exec_lo, s21
	s_delay_alu instid0(SALU_CYCLE_1) | instskip(NEXT) | instid1(SALU_CYCLE_1)
	s_and_b32 s21, exec_lo, s18
	s_or_b32 s15, s21, s15
	s_and_not1_b32 s20, s20, exec_lo
	s_and_b32 s0, s0, exec_lo
	s_and_not1_b32 s17, s17, exec_lo
	s_and_b32 s21, s19, exec_lo
	s_or_b32 s20, s20, s0
	s_or_b32 s17, s17, s21
	s_and_not1_b32 exec_lo, exec_lo, s15
	s_cbranch_execz .LBB1630_40
.LBB1630_38:                            ;   Parent Loop BB1630_34 Depth=1
                                        ; =>  This Inner Loop Header: Depth=2
	global_load_b64 v[16:17], v[8:9], off
	global_load_b64 v[18:19], v[6:7], off
	s_and_not1_b32 s19, s19, exec_lo
	s_or_b32 s18, s18, exec_lo
	s_wait_loadcnt 0x0
	v_cmp_le_u64_e32 vcc_lo, v[16:17], v[18:19]
	v_cmp_lt_u64_e64 s0, v[16:17], v[18:19]
	s_and_b32 s21, vcc_lo, s20
	s_delay_alu instid0(SALU_CYCLE_1) | instskip(NEXT) | instid1(SALU_CYCLE_1)
	s_or_b32 s0, s0, s21
	s_and_b32 s21, s0, exec_lo
	s_delay_alu instid0(SALU_CYCLE_1)
	s_or_b32 s19, s19, s21
	s_mov_b32 s21, exec_lo
	v_cmpx_eq_u64_e64 v[16:17], v[18:19]
	s_cbranch_execz .LBB1630_37
; %bb.39:                               ;   in Loop: Header=BB1630_38 Depth=2
	s_add_nc_u64 s[12:13], s[12:13], -1
	v_add_nc_u64_e32 v[8:9], 8, v[8:9]
	s_cmp_eq_u64 s[12:13], 0
	v_add_nc_u64_e32 v[6:7], 8, v[6:7]
	s_cselect_b32 s20, -1, 0
	s_and_not1_b32 s18, s18, exec_lo
	s_and_b32 s20, s20, exec_lo
	s_and_not1_b32 s19, s19, exec_lo
	s_or_b32 s18, s18, s20
                                        ; implicit-def: $sgpr20
	s_branch .LBB1630_37
.LBB1630_40:                            ;   in Loop: Header=BB1630_34 Depth=1
	s_or_b32 exec_lo, exec_lo, s15
	s_xor_b32 s15, s17, -1
	s_branch .LBB1630_42
.LBB1630_41:                            ;   in Loop: Header=BB1630_34 Depth=1
	s_mov_b32 s15, -1
.LBB1630_42:                            ;   in Loop: Header=BB1630_34 Depth=1
	s_mov_b32 s12, 0
.LBB1630_43:                            ;   in Loop: Header=BB1630_34 Depth=1
	s_delay_alu instid0(SALU_CYCLE_1)
	s_and_not1_b32 vcc_lo, exec_lo, s12
	s_cbranch_vccnz .LBB1630_33
; %bb.44:                               ;   in Loop: Header=BB1630_34 Depth=1
	s_and_not1_b32 vcc_lo, exec_lo, s1
	s_cbranch_vccnz .LBB1630_49
; %bb.45:                               ;   in Loop: Header=BB1630_34 Depth=1
	s_wait_loadcnt 0x0
	v_mad_nc_u64_u32 v[6:7], s2, v4, s[10:11]
	s_mov_b32 s17, 0
	s_mov_b64 s[12:13], s[8:9]
                                        ; implicit-def: $sgpr15
                                        ; implicit-def: $sgpr18
                                        ; implicit-def: $sgpr19
                                        ; implicit-def: $sgpr20
	s_delay_alu instid0(VALU_DEP_1) | instskip(NEXT) | instid1(VALU_DEP_1)
	v_mad_u32 v4, s3, v4, v7
	v_mad_u32 v7, s2, v5, v4
	v_mov_b64_e32 v[4:5], v[0:1]
	s_branch .LBB1630_47
.LBB1630_46:                            ;   in Loop: Header=BB1630_47 Depth=2
	s_or_b32 exec_lo, exec_lo, s21
	s_delay_alu instid0(SALU_CYCLE_1) | instskip(NEXT) | instid1(SALU_CYCLE_1)
	s_and_b32 s21, exec_lo, s18
	s_or_b32 s17, s21, s17
	s_and_not1_b32 s20, s20, exec_lo
	s_and_b32 s0, s0, exec_lo
	s_and_not1_b32 s15, s15, exec_lo
	s_and_b32 s21, s19, exec_lo
	s_or_b32 s20, s20, s0
	s_or_b32 s15, s15, s21
	s_and_not1_b32 exec_lo, exec_lo, s17
	s_cbranch_execz .LBB1630_32
.LBB1630_47:                            ;   Parent Loop BB1630_34 Depth=1
                                        ; =>  This Inner Loop Header: Depth=2
	global_load_b64 v[8:9], v[6:7], off
	global_load_b64 v[16:17], v[4:5], off
	s_and_not1_b32 s19, s19, exec_lo
	s_or_b32 s18, s18, exec_lo
	s_wait_loadcnt 0x0
	v_cmp_le_u64_e32 vcc_lo, v[8:9], v[16:17]
	v_cmp_lt_u64_e64 s0, v[8:9], v[16:17]
	s_and_b32 s21, vcc_lo, s20
	s_delay_alu instid0(SALU_CYCLE_1) | instskip(NEXT) | instid1(SALU_CYCLE_1)
	s_or_b32 s0, s0, s21
	s_and_b32 s21, s0, exec_lo
	s_delay_alu instid0(SALU_CYCLE_1)
	s_or_b32 s19, s19, s21
	s_mov_b32 s21, exec_lo
	v_cmpx_eq_u64_e64 v[8:9], v[16:17]
	s_cbranch_execz .LBB1630_46
; %bb.48:                               ;   in Loop: Header=BB1630_47 Depth=2
	s_add_nc_u64 s[12:13], s[12:13], -1
	v_add_nc_u64_e32 v[6:7], 8, v[6:7]
	s_cmp_eq_u64 s[12:13], 0
	v_add_nc_u64_e32 v[4:5], 8, v[4:5]
	s_cselect_b32 s20, -1, 0
	s_and_not1_b32 s18, s18, exec_lo
	s_and_b32 s20, s20, exec_lo
	s_and_not1_b32 s19, s19, exec_lo
	s_or_b32 s18, s18, s20
                                        ; implicit-def: $sgpr20
	s_branch .LBB1630_46
.LBB1630_49:                            ;   in Loop: Header=BB1630_34 Depth=1
	s_mov_b32 s15, 0
	s_branch .LBB1630_33
.LBB1630_50:
	s_or_b32 exec_lo, exec_lo, s14
.LBB1630_51:
	s_delay_alu instid0(VALU_DEP_1)
	v_add_nc_u32_e32 v1, v11, v10
	s_mov_b32 s13, -1
.LBB1630_52:
	s_delay_alu instid0(SALU_CYCLE_1)
	s_and_b32 exec_lo, exec_lo, s13
	s_cbranch_execz .LBB1630_54
; %bb.53:
	s_wait_loadcnt 0x0
	global_store_b64 v1, v[2:3], s[6:7] scale_offset
.LBB1630_54:
	s_endpgm
	.section	.rodata,"a",@progbits
	.p2align	6, 0x0
	.amdhsa_kernel _ZN7rocprim17ROCPRIM_400000_NS6detail17trampoline_kernelINS0_14default_configENS1_38merge_sort_block_merge_config_selectorIlNS0_10empty_typeEEEZZNS1_27merge_sort_block_merge_implIS3_PlPS5_mZN2at6native12_GLOBAL__N_124unique_dim_cuda_templateImEESt5tupleIJNSA_6TensorESF_SF_EERKSF_lbbbEUlllE_EE10hipError_tT0_T1_T2_jT3_P12ihipStream_tbPNSt15iterator_traitsISL_E10value_typeEPNSR_ISM_E10value_typeEPSN_NS1_7vsmem_tEENKUlT_SL_SM_SN_E_clIS8_S8_S9_S9_EESK_S10_SL_SM_SN_EUlS10_E1_NS1_11comp_targetILNS1_3genE0ELNS1_11target_archE4294967295ELNS1_3gpuE0ELNS1_3repE0EEENS1_36merge_oddeven_config_static_selectorELNS0_4arch9wavefront6targetE0EEEvSM_
		.amdhsa_group_segment_fixed_size 0
		.amdhsa_private_segment_fixed_size 0
		.amdhsa_kernarg_size 64
		.amdhsa_user_sgpr_count 2
		.amdhsa_user_sgpr_dispatch_ptr 0
		.amdhsa_user_sgpr_queue_ptr 0
		.amdhsa_user_sgpr_kernarg_segment_ptr 1
		.amdhsa_user_sgpr_dispatch_id 0
		.amdhsa_user_sgpr_kernarg_preload_length 0
		.amdhsa_user_sgpr_kernarg_preload_offset 0
		.amdhsa_user_sgpr_private_segment_size 0
		.amdhsa_wavefront_size32 1
		.amdhsa_uses_dynamic_stack 0
		.amdhsa_enable_private_segment 0
		.amdhsa_system_sgpr_workgroup_id_x 1
		.amdhsa_system_sgpr_workgroup_id_y 0
		.amdhsa_system_sgpr_workgroup_id_z 0
		.amdhsa_system_sgpr_workgroup_info 0
		.amdhsa_system_vgpr_workitem_id 0
		.amdhsa_next_free_vgpr 20
		.amdhsa_next_free_sgpr 27
		.amdhsa_named_barrier_count 0
		.amdhsa_reserve_vcc 1
		.amdhsa_float_round_mode_32 0
		.amdhsa_float_round_mode_16_64 0
		.amdhsa_float_denorm_mode_32 3
		.amdhsa_float_denorm_mode_16_64 3
		.amdhsa_fp16_overflow 0
		.amdhsa_memory_ordered 1
		.amdhsa_forward_progress 1
		.amdhsa_inst_pref_size 14
		.amdhsa_round_robin_scheduling 0
		.amdhsa_exception_fp_ieee_invalid_op 0
		.amdhsa_exception_fp_denorm_src 0
		.amdhsa_exception_fp_ieee_div_zero 0
		.amdhsa_exception_fp_ieee_overflow 0
		.amdhsa_exception_fp_ieee_underflow 0
		.amdhsa_exception_fp_ieee_inexact 0
		.amdhsa_exception_int_div_zero 0
	.end_amdhsa_kernel
	.section	.text._ZN7rocprim17ROCPRIM_400000_NS6detail17trampoline_kernelINS0_14default_configENS1_38merge_sort_block_merge_config_selectorIlNS0_10empty_typeEEEZZNS1_27merge_sort_block_merge_implIS3_PlPS5_mZN2at6native12_GLOBAL__N_124unique_dim_cuda_templateImEESt5tupleIJNSA_6TensorESF_SF_EERKSF_lbbbEUlllE_EE10hipError_tT0_T1_T2_jT3_P12ihipStream_tbPNSt15iterator_traitsISL_E10value_typeEPNSR_ISM_E10value_typeEPSN_NS1_7vsmem_tEENKUlT_SL_SM_SN_E_clIS8_S8_S9_S9_EESK_S10_SL_SM_SN_EUlS10_E1_NS1_11comp_targetILNS1_3genE0ELNS1_11target_archE4294967295ELNS1_3gpuE0ELNS1_3repE0EEENS1_36merge_oddeven_config_static_selectorELNS0_4arch9wavefront6targetE0EEEvSM_,"axG",@progbits,_ZN7rocprim17ROCPRIM_400000_NS6detail17trampoline_kernelINS0_14default_configENS1_38merge_sort_block_merge_config_selectorIlNS0_10empty_typeEEEZZNS1_27merge_sort_block_merge_implIS3_PlPS5_mZN2at6native12_GLOBAL__N_124unique_dim_cuda_templateImEESt5tupleIJNSA_6TensorESF_SF_EERKSF_lbbbEUlllE_EE10hipError_tT0_T1_T2_jT3_P12ihipStream_tbPNSt15iterator_traitsISL_E10value_typeEPNSR_ISM_E10value_typeEPSN_NS1_7vsmem_tEENKUlT_SL_SM_SN_E_clIS8_S8_S9_S9_EESK_S10_SL_SM_SN_EUlS10_E1_NS1_11comp_targetILNS1_3genE0ELNS1_11target_archE4294967295ELNS1_3gpuE0ELNS1_3repE0EEENS1_36merge_oddeven_config_static_selectorELNS0_4arch9wavefront6targetE0EEEvSM_,comdat
.Lfunc_end1630:
	.size	_ZN7rocprim17ROCPRIM_400000_NS6detail17trampoline_kernelINS0_14default_configENS1_38merge_sort_block_merge_config_selectorIlNS0_10empty_typeEEEZZNS1_27merge_sort_block_merge_implIS3_PlPS5_mZN2at6native12_GLOBAL__N_124unique_dim_cuda_templateImEESt5tupleIJNSA_6TensorESF_SF_EERKSF_lbbbEUlllE_EE10hipError_tT0_T1_T2_jT3_P12ihipStream_tbPNSt15iterator_traitsISL_E10value_typeEPNSR_ISM_E10value_typeEPSN_NS1_7vsmem_tEENKUlT_SL_SM_SN_E_clIS8_S8_S9_S9_EESK_S10_SL_SM_SN_EUlS10_E1_NS1_11comp_targetILNS1_3genE0ELNS1_11target_archE4294967295ELNS1_3gpuE0ELNS1_3repE0EEENS1_36merge_oddeven_config_static_selectorELNS0_4arch9wavefront6targetE0EEEvSM_, .Lfunc_end1630-_ZN7rocprim17ROCPRIM_400000_NS6detail17trampoline_kernelINS0_14default_configENS1_38merge_sort_block_merge_config_selectorIlNS0_10empty_typeEEEZZNS1_27merge_sort_block_merge_implIS3_PlPS5_mZN2at6native12_GLOBAL__N_124unique_dim_cuda_templateImEESt5tupleIJNSA_6TensorESF_SF_EERKSF_lbbbEUlllE_EE10hipError_tT0_T1_T2_jT3_P12ihipStream_tbPNSt15iterator_traitsISL_E10value_typeEPNSR_ISM_E10value_typeEPSN_NS1_7vsmem_tEENKUlT_SL_SM_SN_E_clIS8_S8_S9_S9_EESK_S10_SL_SM_SN_EUlS10_E1_NS1_11comp_targetILNS1_3genE0ELNS1_11target_archE4294967295ELNS1_3gpuE0ELNS1_3repE0EEENS1_36merge_oddeven_config_static_selectorELNS0_4arch9wavefront6targetE0EEEvSM_
                                        ; -- End function
	.set _ZN7rocprim17ROCPRIM_400000_NS6detail17trampoline_kernelINS0_14default_configENS1_38merge_sort_block_merge_config_selectorIlNS0_10empty_typeEEEZZNS1_27merge_sort_block_merge_implIS3_PlPS5_mZN2at6native12_GLOBAL__N_124unique_dim_cuda_templateImEESt5tupleIJNSA_6TensorESF_SF_EERKSF_lbbbEUlllE_EE10hipError_tT0_T1_T2_jT3_P12ihipStream_tbPNSt15iterator_traitsISL_E10value_typeEPNSR_ISM_E10value_typeEPSN_NS1_7vsmem_tEENKUlT_SL_SM_SN_E_clIS8_S8_S9_S9_EESK_S10_SL_SM_SN_EUlS10_E1_NS1_11comp_targetILNS1_3genE0ELNS1_11target_archE4294967295ELNS1_3gpuE0ELNS1_3repE0EEENS1_36merge_oddeven_config_static_selectorELNS0_4arch9wavefront6targetE0EEEvSM_.num_vgpr, 20
	.set _ZN7rocprim17ROCPRIM_400000_NS6detail17trampoline_kernelINS0_14default_configENS1_38merge_sort_block_merge_config_selectorIlNS0_10empty_typeEEEZZNS1_27merge_sort_block_merge_implIS3_PlPS5_mZN2at6native12_GLOBAL__N_124unique_dim_cuda_templateImEESt5tupleIJNSA_6TensorESF_SF_EERKSF_lbbbEUlllE_EE10hipError_tT0_T1_T2_jT3_P12ihipStream_tbPNSt15iterator_traitsISL_E10value_typeEPNSR_ISM_E10value_typeEPSN_NS1_7vsmem_tEENKUlT_SL_SM_SN_E_clIS8_S8_S9_S9_EESK_S10_SL_SM_SN_EUlS10_E1_NS1_11comp_targetILNS1_3genE0ELNS1_11target_archE4294967295ELNS1_3gpuE0ELNS1_3repE0EEENS1_36merge_oddeven_config_static_selectorELNS0_4arch9wavefront6targetE0EEEvSM_.num_agpr, 0
	.set _ZN7rocprim17ROCPRIM_400000_NS6detail17trampoline_kernelINS0_14default_configENS1_38merge_sort_block_merge_config_selectorIlNS0_10empty_typeEEEZZNS1_27merge_sort_block_merge_implIS3_PlPS5_mZN2at6native12_GLOBAL__N_124unique_dim_cuda_templateImEESt5tupleIJNSA_6TensorESF_SF_EERKSF_lbbbEUlllE_EE10hipError_tT0_T1_T2_jT3_P12ihipStream_tbPNSt15iterator_traitsISL_E10value_typeEPNSR_ISM_E10value_typeEPSN_NS1_7vsmem_tEENKUlT_SL_SM_SN_E_clIS8_S8_S9_S9_EESK_S10_SL_SM_SN_EUlS10_E1_NS1_11comp_targetILNS1_3genE0ELNS1_11target_archE4294967295ELNS1_3gpuE0ELNS1_3repE0EEENS1_36merge_oddeven_config_static_selectorELNS0_4arch9wavefront6targetE0EEEvSM_.numbered_sgpr, 27
	.set _ZN7rocprim17ROCPRIM_400000_NS6detail17trampoline_kernelINS0_14default_configENS1_38merge_sort_block_merge_config_selectorIlNS0_10empty_typeEEEZZNS1_27merge_sort_block_merge_implIS3_PlPS5_mZN2at6native12_GLOBAL__N_124unique_dim_cuda_templateImEESt5tupleIJNSA_6TensorESF_SF_EERKSF_lbbbEUlllE_EE10hipError_tT0_T1_T2_jT3_P12ihipStream_tbPNSt15iterator_traitsISL_E10value_typeEPNSR_ISM_E10value_typeEPSN_NS1_7vsmem_tEENKUlT_SL_SM_SN_E_clIS8_S8_S9_S9_EESK_S10_SL_SM_SN_EUlS10_E1_NS1_11comp_targetILNS1_3genE0ELNS1_11target_archE4294967295ELNS1_3gpuE0ELNS1_3repE0EEENS1_36merge_oddeven_config_static_selectorELNS0_4arch9wavefront6targetE0EEEvSM_.num_named_barrier, 0
	.set _ZN7rocprim17ROCPRIM_400000_NS6detail17trampoline_kernelINS0_14default_configENS1_38merge_sort_block_merge_config_selectorIlNS0_10empty_typeEEEZZNS1_27merge_sort_block_merge_implIS3_PlPS5_mZN2at6native12_GLOBAL__N_124unique_dim_cuda_templateImEESt5tupleIJNSA_6TensorESF_SF_EERKSF_lbbbEUlllE_EE10hipError_tT0_T1_T2_jT3_P12ihipStream_tbPNSt15iterator_traitsISL_E10value_typeEPNSR_ISM_E10value_typeEPSN_NS1_7vsmem_tEENKUlT_SL_SM_SN_E_clIS8_S8_S9_S9_EESK_S10_SL_SM_SN_EUlS10_E1_NS1_11comp_targetILNS1_3genE0ELNS1_11target_archE4294967295ELNS1_3gpuE0ELNS1_3repE0EEENS1_36merge_oddeven_config_static_selectorELNS0_4arch9wavefront6targetE0EEEvSM_.private_seg_size, 0
	.set _ZN7rocprim17ROCPRIM_400000_NS6detail17trampoline_kernelINS0_14default_configENS1_38merge_sort_block_merge_config_selectorIlNS0_10empty_typeEEEZZNS1_27merge_sort_block_merge_implIS3_PlPS5_mZN2at6native12_GLOBAL__N_124unique_dim_cuda_templateImEESt5tupleIJNSA_6TensorESF_SF_EERKSF_lbbbEUlllE_EE10hipError_tT0_T1_T2_jT3_P12ihipStream_tbPNSt15iterator_traitsISL_E10value_typeEPNSR_ISM_E10value_typeEPSN_NS1_7vsmem_tEENKUlT_SL_SM_SN_E_clIS8_S8_S9_S9_EESK_S10_SL_SM_SN_EUlS10_E1_NS1_11comp_targetILNS1_3genE0ELNS1_11target_archE4294967295ELNS1_3gpuE0ELNS1_3repE0EEENS1_36merge_oddeven_config_static_selectorELNS0_4arch9wavefront6targetE0EEEvSM_.uses_vcc, 1
	.set _ZN7rocprim17ROCPRIM_400000_NS6detail17trampoline_kernelINS0_14default_configENS1_38merge_sort_block_merge_config_selectorIlNS0_10empty_typeEEEZZNS1_27merge_sort_block_merge_implIS3_PlPS5_mZN2at6native12_GLOBAL__N_124unique_dim_cuda_templateImEESt5tupleIJNSA_6TensorESF_SF_EERKSF_lbbbEUlllE_EE10hipError_tT0_T1_T2_jT3_P12ihipStream_tbPNSt15iterator_traitsISL_E10value_typeEPNSR_ISM_E10value_typeEPSN_NS1_7vsmem_tEENKUlT_SL_SM_SN_E_clIS8_S8_S9_S9_EESK_S10_SL_SM_SN_EUlS10_E1_NS1_11comp_targetILNS1_3genE0ELNS1_11target_archE4294967295ELNS1_3gpuE0ELNS1_3repE0EEENS1_36merge_oddeven_config_static_selectorELNS0_4arch9wavefront6targetE0EEEvSM_.uses_flat_scratch, 0
	.set _ZN7rocprim17ROCPRIM_400000_NS6detail17trampoline_kernelINS0_14default_configENS1_38merge_sort_block_merge_config_selectorIlNS0_10empty_typeEEEZZNS1_27merge_sort_block_merge_implIS3_PlPS5_mZN2at6native12_GLOBAL__N_124unique_dim_cuda_templateImEESt5tupleIJNSA_6TensorESF_SF_EERKSF_lbbbEUlllE_EE10hipError_tT0_T1_T2_jT3_P12ihipStream_tbPNSt15iterator_traitsISL_E10value_typeEPNSR_ISM_E10value_typeEPSN_NS1_7vsmem_tEENKUlT_SL_SM_SN_E_clIS8_S8_S9_S9_EESK_S10_SL_SM_SN_EUlS10_E1_NS1_11comp_targetILNS1_3genE0ELNS1_11target_archE4294967295ELNS1_3gpuE0ELNS1_3repE0EEENS1_36merge_oddeven_config_static_selectorELNS0_4arch9wavefront6targetE0EEEvSM_.has_dyn_sized_stack, 0
	.set _ZN7rocprim17ROCPRIM_400000_NS6detail17trampoline_kernelINS0_14default_configENS1_38merge_sort_block_merge_config_selectorIlNS0_10empty_typeEEEZZNS1_27merge_sort_block_merge_implIS3_PlPS5_mZN2at6native12_GLOBAL__N_124unique_dim_cuda_templateImEESt5tupleIJNSA_6TensorESF_SF_EERKSF_lbbbEUlllE_EE10hipError_tT0_T1_T2_jT3_P12ihipStream_tbPNSt15iterator_traitsISL_E10value_typeEPNSR_ISM_E10value_typeEPSN_NS1_7vsmem_tEENKUlT_SL_SM_SN_E_clIS8_S8_S9_S9_EESK_S10_SL_SM_SN_EUlS10_E1_NS1_11comp_targetILNS1_3genE0ELNS1_11target_archE4294967295ELNS1_3gpuE0ELNS1_3repE0EEENS1_36merge_oddeven_config_static_selectorELNS0_4arch9wavefront6targetE0EEEvSM_.has_recursion, 0
	.set _ZN7rocprim17ROCPRIM_400000_NS6detail17trampoline_kernelINS0_14default_configENS1_38merge_sort_block_merge_config_selectorIlNS0_10empty_typeEEEZZNS1_27merge_sort_block_merge_implIS3_PlPS5_mZN2at6native12_GLOBAL__N_124unique_dim_cuda_templateImEESt5tupleIJNSA_6TensorESF_SF_EERKSF_lbbbEUlllE_EE10hipError_tT0_T1_T2_jT3_P12ihipStream_tbPNSt15iterator_traitsISL_E10value_typeEPNSR_ISM_E10value_typeEPSN_NS1_7vsmem_tEENKUlT_SL_SM_SN_E_clIS8_S8_S9_S9_EESK_S10_SL_SM_SN_EUlS10_E1_NS1_11comp_targetILNS1_3genE0ELNS1_11target_archE4294967295ELNS1_3gpuE0ELNS1_3repE0EEENS1_36merge_oddeven_config_static_selectorELNS0_4arch9wavefront6targetE0EEEvSM_.has_indirect_call, 0
	.section	.AMDGPU.csdata,"",@progbits
; Kernel info:
; codeLenInByte = 1704
; TotalNumSgprs: 29
; NumVgprs: 20
; ScratchSize: 0
; MemoryBound: 0
; FloatMode: 240
; IeeeMode: 1
; LDSByteSize: 0 bytes/workgroup (compile time only)
; SGPRBlocks: 0
; VGPRBlocks: 1
; NumSGPRsForWavesPerEU: 29
; NumVGPRsForWavesPerEU: 20
; NamedBarCnt: 0
; Occupancy: 16
; WaveLimiterHint : 0
; COMPUTE_PGM_RSRC2:SCRATCH_EN: 0
; COMPUTE_PGM_RSRC2:USER_SGPR: 2
; COMPUTE_PGM_RSRC2:TRAP_HANDLER: 0
; COMPUTE_PGM_RSRC2:TGID_X_EN: 1
; COMPUTE_PGM_RSRC2:TGID_Y_EN: 0
; COMPUTE_PGM_RSRC2:TGID_Z_EN: 0
; COMPUTE_PGM_RSRC2:TIDIG_COMP_CNT: 0
	.section	.text._ZN7rocprim17ROCPRIM_400000_NS6detail17trampoline_kernelINS0_14default_configENS1_38merge_sort_block_merge_config_selectorIlNS0_10empty_typeEEEZZNS1_27merge_sort_block_merge_implIS3_PlPS5_mZN2at6native12_GLOBAL__N_124unique_dim_cuda_templateImEESt5tupleIJNSA_6TensorESF_SF_EERKSF_lbbbEUlllE_EE10hipError_tT0_T1_T2_jT3_P12ihipStream_tbPNSt15iterator_traitsISL_E10value_typeEPNSR_ISM_E10value_typeEPSN_NS1_7vsmem_tEENKUlT_SL_SM_SN_E_clIS8_S8_S9_S9_EESK_S10_SL_SM_SN_EUlS10_E1_NS1_11comp_targetILNS1_3genE10ELNS1_11target_archE1201ELNS1_3gpuE5ELNS1_3repE0EEENS1_36merge_oddeven_config_static_selectorELNS0_4arch9wavefront6targetE0EEEvSM_,"axG",@progbits,_ZN7rocprim17ROCPRIM_400000_NS6detail17trampoline_kernelINS0_14default_configENS1_38merge_sort_block_merge_config_selectorIlNS0_10empty_typeEEEZZNS1_27merge_sort_block_merge_implIS3_PlPS5_mZN2at6native12_GLOBAL__N_124unique_dim_cuda_templateImEESt5tupleIJNSA_6TensorESF_SF_EERKSF_lbbbEUlllE_EE10hipError_tT0_T1_T2_jT3_P12ihipStream_tbPNSt15iterator_traitsISL_E10value_typeEPNSR_ISM_E10value_typeEPSN_NS1_7vsmem_tEENKUlT_SL_SM_SN_E_clIS8_S8_S9_S9_EESK_S10_SL_SM_SN_EUlS10_E1_NS1_11comp_targetILNS1_3genE10ELNS1_11target_archE1201ELNS1_3gpuE5ELNS1_3repE0EEENS1_36merge_oddeven_config_static_selectorELNS0_4arch9wavefront6targetE0EEEvSM_,comdat
	.globl	_ZN7rocprim17ROCPRIM_400000_NS6detail17trampoline_kernelINS0_14default_configENS1_38merge_sort_block_merge_config_selectorIlNS0_10empty_typeEEEZZNS1_27merge_sort_block_merge_implIS3_PlPS5_mZN2at6native12_GLOBAL__N_124unique_dim_cuda_templateImEESt5tupleIJNSA_6TensorESF_SF_EERKSF_lbbbEUlllE_EE10hipError_tT0_T1_T2_jT3_P12ihipStream_tbPNSt15iterator_traitsISL_E10value_typeEPNSR_ISM_E10value_typeEPSN_NS1_7vsmem_tEENKUlT_SL_SM_SN_E_clIS8_S8_S9_S9_EESK_S10_SL_SM_SN_EUlS10_E1_NS1_11comp_targetILNS1_3genE10ELNS1_11target_archE1201ELNS1_3gpuE5ELNS1_3repE0EEENS1_36merge_oddeven_config_static_selectorELNS0_4arch9wavefront6targetE0EEEvSM_ ; -- Begin function _ZN7rocprim17ROCPRIM_400000_NS6detail17trampoline_kernelINS0_14default_configENS1_38merge_sort_block_merge_config_selectorIlNS0_10empty_typeEEEZZNS1_27merge_sort_block_merge_implIS3_PlPS5_mZN2at6native12_GLOBAL__N_124unique_dim_cuda_templateImEESt5tupleIJNSA_6TensorESF_SF_EERKSF_lbbbEUlllE_EE10hipError_tT0_T1_T2_jT3_P12ihipStream_tbPNSt15iterator_traitsISL_E10value_typeEPNSR_ISM_E10value_typeEPSN_NS1_7vsmem_tEENKUlT_SL_SM_SN_E_clIS8_S8_S9_S9_EESK_S10_SL_SM_SN_EUlS10_E1_NS1_11comp_targetILNS1_3genE10ELNS1_11target_archE1201ELNS1_3gpuE5ELNS1_3repE0EEENS1_36merge_oddeven_config_static_selectorELNS0_4arch9wavefront6targetE0EEEvSM_
	.p2align	8
	.type	_ZN7rocprim17ROCPRIM_400000_NS6detail17trampoline_kernelINS0_14default_configENS1_38merge_sort_block_merge_config_selectorIlNS0_10empty_typeEEEZZNS1_27merge_sort_block_merge_implIS3_PlPS5_mZN2at6native12_GLOBAL__N_124unique_dim_cuda_templateImEESt5tupleIJNSA_6TensorESF_SF_EERKSF_lbbbEUlllE_EE10hipError_tT0_T1_T2_jT3_P12ihipStream_tbPNSt15iterator_traitsISL_E10value_typeEPNSR_ISM_E10value_typeEPSN_NS1_7vsmem_tEENKUlT_SL_SM_SN_E_clIS8_S8_S9_S9_EESK_S10_SL_SM_SN_EUlS10_E1_NS1_11comp_targetILNS1_3genE10ELNS1_11target_archE1201ELNS1_3gpuE5ELNS1_3repE0EEENS1_36merge_oddeven_config_static_selectorELNS0_4arch9wavefront6targetE0EEEvSM_,@function
_ZN7rocprim17ROCPRIM_400000_NS6detail17trampoline_kernelINS0_14default_configENS1_38merge_sort_block_merge_config_selectorIlNS0_10empty_typeEEEZZNS1_27merge_sort_block_merge_implIS3_PlPS5_mZN2at6native12_GLOBAL__N_124unique_dim_cuda_templateImEESt5tupleIJNSA_6TensorESF_SF_EERKSF_lbbbEUlllE_EE10hipError_tT0_T1_T2_jT3_P12ihipStream_tbPNSt15iterator_traitsISL_E10value_typeEPNSR_ISM_E10value_typeEPSN_NS1_7vsmem_tEENKUlT_SL_SM_SN_E_clIS8_S8_S9_S9_EESK_S10_SL_SM_SN_EUlS10_E1_NS1_11comp_targetILNS1_3genE10ELNS1_11target_archE1201ELNS1_3gpuE5ELNS1_3repE0EEENS1_36merge_oddeven_config_static_selectorELNS0_4arch9wavefront6targetE0EEEvSM_: ; @_ZN7rocprim17ROCPRIM_400000_NS6detail17trampoline_kernelINS0_14default_configENS1_38merge_sort_block_merge_config_selectorIlNS0_10empty_typeEEEZZNS1_27merge_sort_block_merge_implIS3_PlPS5_mZN2at6native12_GLOBAL__N_124unique_dim_cuda_templateImEESt5tupleIJNSA_6TensorESF_SF_EERKSF_lbbbEUlllE_EE10hipError_tT0_T1_T2_jT3_P12ihipStream_tbPNSt15iterator_traitsISL_E10value_typeEPNSR_ISM_E10value_typeEPSN_NS1_7vsmem_tEENKUlT_SL_SM_SN_E_clIS8_S8_S9_S9_EESK_S10_SL_SM_SN_EUlS10_E1_NS1_11comp_targetILNS1_3genE10ELNS1_11target_archE1201ELNS1_3gpuE5ELNS1_3repE0EEENS1_36merge_oddeven_config_static_selectorELNS0_4arch9wavefront6targetE0EEEvSM_
; %bb.0:
	.section	.rodata,"a",@progbits
	.p2align	6, 0x0
	.amdhsa_kernel _ZN7rocprim17ROCPRIM_400000_NS6detail17trampoline_kernelINS0_14default_configENS1_38merge_sort_block_merge_config_selectorIlNS0_10empty_typeEEEZZNS1_27merge_sort_block_merge_implIS3_PlPS5_mZN2at6native12_GLOBAL__N_124unique_dim_cuda_templateImEESt5tupleIJNSA_6TensorESF_SF_EERKSF_lbbbEUlllE_EE10hipError_tT0_T1_T2_jT3_P12ihipStream_tbPNSt15iterator_traitsISL_E10value_typeEPNSR_ISM_E10value_typeEPSN_NS1_7vsmem_tEENKUlT_SL_SM_SN_E_clIS8_S8_S9_S9_EESK_S10_SL_SM_SN_EUlS10_E1_NS1_11comp_targetILNS1_3genE10ELNS1_11target_archE1201ELNS1_3gpuE5ELNS1_3repE0EEENS1_36merge_oddeven_config_static_selectorELNS0_4arch9wavefront6targetE0EEEvSM_
		.amdhsa_group_segment_fixed_size 0
		.amdhsa_private_segment_fixed_size 0
		.amdhsa_kernarg_size 64
		.amdhsa_user_sgpr_count 2
		.amdhsa_user_sgpr_dispatch_ptr 0
		.amdhsa_user_sgpr_queue_ptr 0
		.amdhsa_user_sgpr_kernarg_segment_ptr 1
		.amdhsa_user_sgpr_dispatch_id 0
		.amdhsa_user_sgpr_kernarg_preload_length 0
		.amdhsa_user_sgpr_kernarg_preload_offset 0
		.amdhsa_user_sgpr_private_segment_size 0
		.amdhsa_wavefront_size32 1
		.amdhsa_uses_dynamic_stack 0
		.amdhsa_enable_private_segment 0
		.amdhsa_system_sgpr_workgroup_id_x 1
		.amdhsa_system_sgpr_workgroup_id_y 0
		.amdhsa_system_sgpr_workgroup_id_z 0
		.amdhsa_system_sgpr_workgroup_info 0
		.amdhsa_system_vgpr_workitem_id 0
		.amdhsa_next_free_vgpr 1
		.amdhsa_next_free_sgpr 1
		.amdhsa_named_barrier_count 0
		.amdhsa_reserve_vcc 0
		.amdhsa_float_round_mode_32 0
		.amdhsa_float_round_mode_16_64 0
		.amdhsa_float_denorm_mode_32 3
		.amdhsa_float_denorm_mode_16_64 3
		.amdhsa_fp16_overflow 0
		.amdhsa_memory_ordered 1
		.amdhsa_forward_progress 1
		.amdhsa_inst_pref_size 0
		.amdhsa_round_robin_scheduling 0
		.amdhsa_exception_fp_ieee_invalid_op 0
		.amdhsa_exception_fp_denorm_src 0
		.amdhsa_exception_fp_ieee_div_zero 0
		.amdhsa_exception_fp_ieee_overflow 0
		.amdhsa_exception_fp_ieee_underflow 0
		.amdhsa_exception_fp_ieee_inexact 0
		.amdhsa_exception_int_div_zero 0
	.end_amdhsa_kernel
	.section	.text._ZN7rocprim17ROCPRIM_400000_NS6detail17trampoline_kernelINS0_14default_configENS1_38merge_sort_block_merge_config_selectorIlNS0_10empty_typeEEEZZNS1_27merge_sort_block_merge_implIS3_PlPS5_mZN2at6native12_GLOBAL__N_124unique_dim_cuda_templateImEESt5tupleIJNSA_6TensorESF_SF_EERKSF_lbbbEUlllE_EE10hipError_tT0_T1_T2_jT3_P12ihipStream_tbPNSt15iterator_traitsISL_E10value_typeEPNSR_ISM_E10value_typeEPSN_NS1_7vsmem_tEENKUlT_SL_SM_SN_E_clIS8_S8_S9_S9_EESK_S10_SL_SM_SN_EUlS10_E1_NS1_11comp_targetILNS1_3genE10ELNS1_11target_archE1201ELNS1_3gpuE5ELNS1_3repE0EEENS1_36merge_oddeven_config_static_selectorELNS0_4arch9wavefront6targetE0EEEvSM_,"axG",@progbits,_ZN7rocprim17ROCPRIM_400000_NS6detail17trampoline_kernelINS0_14default_configENS1_38merge_sort_block_merge_config_selectorIlNS0_10empty_typeEEEZZNS1_27merge_sort_block_merge_implIS3_PlPS5_mZN2at6native12_GLOBAL__N_124unique_dim_cuda_templateImEESt5tupleIJNSA_6TensorESF_SF_EERKSF_lbbbEUlllE_EE10hipError_tT0_T1_T2_jT3_P12ihipStream_tbPNSt15iterator_traitsISL_E10value_typeEPNSR_ISM_E10value_typeEPSN_NS1_7vsmem_tEENKUlT_SL_SM_SN_E_clIS8_S8_S9_S9_EESK_S10_SL_SM_SN_EUlS10_E1_NS1_11comp_targetILNS1_3genE10ELNS1_11target_archE1201ELNS1_3gpuE5ELNS1_3repE0EEENS1_36merge_oddeven_config_static_selectorELNS0_4arch9wavefront6targetE0EEEvSM_,comdat
.Lfunc_end1631:
	.size	_ZN7rocprim17ROCPRIM_400000_NS6detail17trampoline_kernelINS0_14default_configENS1_38merge_sort_block_merge_config_selectorIlNS0_10empty_typeEEEZZNS1_27merge_sort_block_merge_implIS3_PlPS5_mZN2at6native12_GLOBAL__N_124unique_dim_cuda_templateImEESt5tupleIJNSA_6TensorESF_SF_EERKSF_lbbbEUlllE_EE10hipError_tT0_T1_T2_jT3_P12ihipStream_tbPNSt15iterator_traitsISL_E10value_typeEPNSR_ISM_E10value_typeEPSN_NS1_7vsmem_tEENKUlT_SL_SM_SN_E_clIS8_S8_S9_S9_EESK_S10_SL_SM_SN_EUlS10_E1_NS1_11comp_targetILNS1_3genE10ELNS1_11target_archE1201ELNS1_3gpuE5ELNS1_3repE0EEENS1_36merge_oddeven_config_static_selectorELNS0_4arch9wavefront6targetE0EEEvSM_, .Lfunc_end1631-_ZN7rocprim17ROCPRIM_400000_NS6detail17trampoline_kernelINS0_14default_configENS1_38merge_sort_block_merge_config_selectorIlNS0_10empty_typeEEEZZNS1_27merge_sort_block_merge_implIS3_PlPS5_mZN2at6native12_GLOBAL__N_124unique_dim_cuda_templateImEESt5tupleIJNSA_6TensorESF_SF_EERKSF_lbbbEUlllE_EE10hipError_tT0_T1_T2_jT3_P12ihipStream_tbPNSt15iterator_traitsISL_E10value_typeEPNSR_ISM_E10value_typeEPSN_NS1_7vsmem_tEENKUlT_SL_SM_SN_E_clIS8_S8_S9_S9_EESK_S10_SL_SM_SN_EUlS10_E1_NS1_11comp_targetILNS1_3genE10ELNS1_11target_archE1201ELNS1_3gpuE5ELNS1_3repE0EEENS1_36merge_oddeven_config_static_selectorELNS0_4arch9wavefront6targetE0EEEvSM_
                                        ; -- End function
	.set _ZN7rocprim17ROCPRIM_400000_NS6detail17trampoline_kernelINS0_14default_configENS1_38merge_sort_block_merge_config_selectorIlNS0_10empty_typeEEEZZNS1_27merge_sort_block_merge_implIS3_PlPS5_mZN2at6native12_GLOBAL__N_124unique_dim_cuda_templateImEESt5tupleIJNSA_6TensorESF_SF_EERKSF_lbbbEUlllE_EE10hipError_tT0_T1_T2_jT3_P12ihipStream_tbPNSt15iterator_traitsISL_E10value_typeEPNSR_ISM_E10value_typeEPSN_NS1_7vsmem_tEENKUlT_SL_SM_SN_E_clIS8_S8_S9_S9_EESK_S10_SL_SM_SN_EUlS10_E1_NS1_11comp_targetILNS1_3genE10ELNS1_11target_archE1201ELNS1_3gpuE5ELNS1_3repE0EEENS1_36merge_oddeven_config_static_selectorELNS0_4arch9wavefront6targetE0EEEvSM_.num_vgpr, 0
	.set _ZN7rocprim17ROCPRIM_400000_NS6detail17trampoline_kernelINS0_14default_configENS1_38merge_sort_block_merge_config_selectorIlNS0_10empty_typeEEEZZNS1_27merge_sort_block_merge_implIS3_PlPS5_mZN2at6native12_GLOBAL__N_124unique_dim_cuda_templateImEESt5tupleIJNSA_6TensorESF_SF_EERKSF_lbbbEUlllE_EE10hipError_tT0_T1_T2_jT3_P12ihipStream_tbPNSt15iterator_traitsISL_E10value_typeEPNSR_ISM_E10value_typeEPSN_NS1_7vsmem_tEENKUlT_SL_SM_SN_E_clIS8_S8_S9_S9_EESK_S10_SL_SM_SN_EUlS10_E1_NS1_11comp_targetILNS1_3genE10ELNS1_11target_archE1201ELNS1_3gpuE5ELNS1_3repE0EEENS1_36merge_oddeven_config_static_selectorELNS0_4arch9wavefront6targetE0EEEvSM_.num_agpr, 0
	.set _ZN7rocprim17ROCPRIM_400000_NS6detail17trampoline_kernelINS0_14default_configENS1_38merge_sort_block_merge_config_selectorIlNS0_10empty_typeEEEZZNS1_27merge_sort_block_merge_implIS3_PlPS5_mZN2at6native12_GLOBAL__N_124unique_dim_cuda_templateImEESt5tupleIJNSA_6TensorESF_SF_EERKSF_lbbbEUlllE_EE10hipError_tT0_T1_T2_jT3_P12ihipStream_tbPNSt15iterator_traitsISL_E10value_typeEPNSR_ISM_E10value_typeEPSN_NS1_7vsmem_tEENKUlT_SL_SM_SN_E_clIS8_S8_S9_S9_EESK_S10_SL_SM_SN_EUlS10_E1_NS1_11comp_targetILNS1_3genE10ELNS1_11target_archE1201ELNS1_3gpuE5ELNS1_3repE0EEENS1_36merge_oddeven_config_static_selectorELNS0_4arch9wavefront6targetE0EEEvSM_.numbered_sgpr, 0
	.set _ZN7rocprim17ROCPRIM_400000_NS6detail17trampoline_kernelINS0_14default_configENS1_38merge_sort_block_merge_config_selectorIlNS0_10empty_typeEEEZZNS1_27merge_sort_block_merge_implIS3_PlPS5_mZN2at6native12_GLOBAL__N_124unique_dim_cuda_templateImEESt5tupleIJNSA_6TensorESF_SF_EERKSF_lbbbEUlllE_EE10hipError_tT0_T1_T2_jT3_P12ihipStream_tbPNSt15iterator_traitsISL_E10value_typeEPNSR_ISM_E10value_typeEPSN_NS1_7vsmem_tEENKUlT_SL_SM_SN_E_clIS8_S8_S9_S9_EESK_S10_SL_SM_SN_EUlS10_E1_NS1_11comp_targetILNS1_3genE10ELNS1_11target_archE1201ELNS1_3gpuE5ELNS1_3repE0EEENS1_36merge_oddeven_config_static_selectorELNS0_4arch9wavefront6targetE0EEEvSM_.num_named_barrier, 0
	.set _ZN7rocprim17ROCPRIM_400000_NS6detail17trampoline_kernelINS0_14default_configENS1_38merge_sort_block_merge_config_selectorIlNS0_10empty_typeEEEZZNS1_27merge_sort_block_merge_implIS3_PlPS5_mZN2at6native12_GLOBAL__N_124unique_dim_cuda_templateImEESt5tupleIJNSA_6TensorESF_SF_EERKSF_lbbbEUlllE_EE10hipError_tT0_T1_T2_jT3_P12ihipStream_tbPNSt15iterator_traitsISL_E10value_typeEPNSR_ISM_E10value_typeEPSN_NS1_7vsmem_tEENKUlT_SL_SM_SN_E_clIS8_S8_S9_S9_EESK_S10_SL_SM_SN_EUlS10_E1_NS1_11comp_targetILNS1_3genE10ELNS1_11target_archE1201ELNS1_3gpuE5ELNS1_3repE0EEENS1_36merge_oddeven_config_static_selectorELNS0_4arch9wavefront6targetE0EEEvSM_.private_seg_size, 0
	.set _ZN7rocprim17ROCPRIM_400000_NS6detail17trampoline_kernelINS0_14default_configENS1_38merge_sort_block_merge_config_selectorIlNS0_10empty_typeEEEZZNS1_27merge_sort_block_merge_implIS3_PlPS5_mZN2at6native12_GLOBAL__N_124unique_dim_cuda_templateImEESt5tupleIJNSA_6TensorESF_SF_EERKSF_lbbbEUlllE_EE10hipError_tT0_T1_T2_jT3_P12ihipStream_tbPNSt15iterator_traitsISL_E10value_typeEPNSR_ISM_E10value_typeEPSN_NS1_7vsmem_tEENKUlT_SL_SM_SN_E_clIS8_S8_S9_S9_EESK_S10_SL_SM_SN_EUlS10_E1_NS1_11comp_targetILNS1_3genE10ELNS1_11target_archE1201ELNS1_3gpuE5ELNS1_3repE0EEENS1_36merge_oddeven_config_static_selectorELNS0_4arch9wavefront6targetE0EEEvSM_.uses_vcc, 0
	.set _ZN7rocprim17ROCPRIM_400000_NS6detail17trampoline_kernelINS0_14default_configENS1_38merge_sort_block_merge_config_selectorIlNS0_10empty_typeEEEZZNS1_27merge_sort_block_merge_implIS3_PlPS5_mZN2at6native12_GLOBAL__N_124unique_dim_cuda_templateImEESt5tupleIJNSA_6TensorESF_SF_EERKSF_lbbbEUlllE_EE10hipError_tT0_T1_T2_jT3_P12ihipStream_tbPNSt15iterator_traitsISL_E10value_typeEPNSR_ISM_E10value_typeEPSN_NS1_7vsmem_tEENKUlT_SL_SM_SN_E_clIS8_S8_S9_S9_EESK_S10_SL_SM_SN_EUlS10_E1_NS1_11comp_targetILNS1_3genE10ELNS1_11target_archE1201ELNS1_3gpuE5ELNS1_3repE0EEENS1_36merge_oddeven_config_static_selectorELNS0_4arch9wavefront6targetE0EEEvSM_.uses_flat_scratch, 0
	.set _ZN7rocprim17ROCPRIM_400000_NS6detail17trampoline_kernelINS0_14default_configENS1_38merge_sort_block_merge_config_selectorIlNS0_10empty_typeEEEZZNS1_27merge_sort_block_merge_implIS3_PlPS5_mZN2at6native12_GLOBAL__N_124unique_dim_cuda_templateImEESt5tupleIJNSA_6TensorESF_SF_EERKSF_lbbbEUlllE_EE10hipError_tT0_T1_T2_jT3_P12ihipStream_tbPNSt15iterator_traitsISL_E10value_typeEPNSR_ISM_E10value_typeEPSN_NS1_7vsmem_tEENKUlT_SL_SM_SN_E_clIS8_S8_S9_S9_EESK_S10_SL_SM_SN_EUlS10_E1_NS1_11comp_targetILNS1_3genE10ELNS1_11target_archE1201ELNS1_3gpuE5ELNS1_3repE0EEENS1_36merge_oddeven_config_static_selectorELNS0_4arch9wavefront6targetE0EEEvSM_.has_dyn_sized_stack, 0
	.set _ZN7rocprim17ROCPRIM_400000_NS6detail17trampoline_kernelINS0_14default_configENS1_38merge_sort_block_merge_config_selectorIlNS0_10empty_typeEEEZZNS1_27merge_sort_block_merge_implIS3_PlPS5_mZN2at6native12_GLOBAL__N_124unique_dim_cuda_templateImEESt5tupleIJNSA_6TensorESF_SF_EERKSF_lbbbEUlllE_EE10hipError_tT0_T1_T2_jT3_P12ihipStream_tbPNSt15iterator_traitsISL_E10value_typeEPNSR_ISM_E10value_typeEPSN_NS1_7vsmem_tEENKUlT_SL_SM_SN_E_clIS8_S8_S9_S9_EESK_S10_SL_SM_SN_EUlS10_E1_NS1_11comp_targetILNS1_3genE10ELNS1_11target_archE1201ELNS1_3gpuE5ELNS1_3repE0EEENS1_36merge_oddeven_config_static_selectorELNS0_4arch9wavefront6targetE0EEEvSM_.has_recursion, 0
	.set _ZN7rocprim17ROCPRIM_400000_NS6detail17trampoline_kernelINS0_14default_configENS1_38merge_sort_block_merge_config_selectorIlNS0_10empty_typeEEEZZNS1_27merge_sort_block_merge_implIS3_PlPS5_mZN2at6native12_GLOBAL__N_124unique_dim_cuda_templateImEESt5tupleIJNSA_6TensorESF_SF_EERKSF_lbbbEUlllE_EE10hipError_tT0_T1_T2_jT3_P12ihipStream_tbPNSt15iterator_traitsISL_E10value_typeEPNSR_ISM_E10value_typeEPSN_NS1_7vsmem_tEENKUlT_SL_SM_SN_E_clIS8_S8_S9_S9_EESK_S10_SL_SM_SN_EUlS10_E1_NS1_11comp_targetILNS1_3genE10ELNS1_11target_archE1201ELNS1_3gpuE5ELNS1_3repE0EEENS1_36merge_oddeven_config_static_selectorELNS0_4arch9wavefront6targetE0EEEvSM_.has_indirect_call, 0
	.section	.AMDGPU.csdata,"",@progbits
; Kernel info:
; codeLenInByte = 0
; TotalNumSgprs: 0
; NumVgprs: 0
; ScratchSize: 0
; MemoryBound: 0
; FloatMode: 240
; IeeeMode: 1
; LDSByteSize: 0 bytes/workgroup (compile time only)
; SGPRBlocks: 0
; VGPRBlocks: 0
; NumSGPRsForWavesPerEU: 1
; NumVGPRsForWavesPerEU: 1
; NamedBarCnt: 0
; Occupancy: 16
; WaveLimiterHint : 0
; COMPUTE_PGM_RSRC2:SCRATCH_EN: 0
; COMPUTE_PGM_RSRC2:USER_SGPR: 2
; COMPUTE_PGM_RSRC2:TRAP_HANDLER: 0
; COMPUTE_PGM_RSRC2:TGID_X_EN: 1
; COMPUTE_PGM_RSRC2:TGID_Y_EN: 0
; COMPUTE_PGM_RSRC2:TGID_Z_EN: 0
; COMPUTE_PGM_RSRC2:TIDIG_COMP_CNT: 0
	.section	.text._ZN7rocprim17ROCPRIM_400000_NS6detail17trampoline_kernelINS0_14default_configENS1_38merge_sort_block_merge_config_selectorIlNS0_10empty_typeEEEZZNS1_27merge_sort_block_merge_implIS3_PlPS5_mZN2at6native12_GLOBAL__N_124unique_dim_cuda_templateImEESt5tupleIJNSA_6TensorESF_SF_EERKSF_lbbbEUlllE_EE10hipError_tT0_T1_T2_jT3_P12ihipStream_tbPNSt15iterator_traitsISL_E10value_typeEPNSR_ISM_E10value_typeEPSN_NS1_7vsmem_tEENKUlT_SL_SM_SN_E_clIS8_S8_S9_S9_EESK_S10_SL_SM_SN_EUlS10_E1_NS1_11comp_targetILNS1_3genE5ELNS1_11target_archE942ELNS1_3gpuE9ELNS1_3repE0EEENS1_36merge_oddeven_config_static_selectorELNS0_4arch9wavefront6targetE0EEEvSM_,"axG",@progbits,_ZN7rocprim17ROCPRIM_400000_NS6detail17trampoline_kernelINS0_14default_configENS1_38merge_sort_block_merge_config_selectorIlNS0_10empty_typeEEEZZNS1_27merge_sort_block_merge_implIS3_PlPS5_mZN2at6native12_GLOBAL__N_124unique_dim_cuda_templateImEESt5tupleIJNSA_6TensorESF_SF_EERKSF_lbbbEUlllE_EE10hipError_tT0_T1_T2_jT3_P12ihipStream_tbPNSt15iterator_traitsISL_E10value_typeEPNSR_ISM_E10value_typeEPSN_NS1_7vsmem_tEENKUlT_SL_SM_SN_E_clIS8_S8_S9_S9_EESK_S10_SL_SM_SN_EUlS10_E1_NS1_11comp_targetILNS1_3genE5ELNS1_11target_archE942ELNS1_3gpuE9ELNS1_3repE0EEENS1_36merge_oddeven_config_static_selectorELNS0_4arch9wavefront6targetE0EEEvSM_,comdat
	.globl	_ZN7rocprim17ROCPRIM_400000_NS6detail17trampoline_kernelINS0_14default_configENS1_38merge_sort_block_merge_config_selectorIlNS0_10empty_typeEEEZZNS1_27merge_sort_block_merge_implIS3_PlPS5_mZN2at6native12_GLOBAL__N_124unique_dim_cuda_templateImEESt5tupleIJNSA_6TensorESF_SF_EERKSF_lbbbEUlllE_EE10hipError_tT0_T1_T2_jT3_P12ihipStream_tbPNSt15iterator_traitsISL_E10value_typeEPNSR_ISM_E10value_typeEPSN_NS1_7vsmem_tEENKUlT_SL_SM_SN_E_clIS8_S8_S9_S9_EESK_S10_SL_SM_SN_EUlS10_E1_NS1_11comp_targetILNS1_3genE5ELNS1_11target_archE942ELNS1_3gpuE9ELNS1_3repE0EEENS1_36merge_oddeven_config_static_selectorELNS0_4arch9wavefront6targetE0EEEvSM_ ; -- Begin function _ZN7rocprim17ROCPRIM_400000_NS6detail17trampoline_kernelINS0_14default_configENS1_38merge_sort_block_merge_config_selectorIlNS0_10empty_typeEEEZZNS1_27merge_sort_block_merge_implIS3_PlPS5_mZN2at6native12_GLOBAL__N_124unique_dim_cuda_templateImEESt5tupleIJNSA_6TensorESF_SF_EERKSF_lbbbEUlllE_EE10hipError_tT0_T1_T2_jT3_P12ihipStream_tbPNSt15iterator_traitsISL_E10value_typeEPNSR_ISM_E10value_typeEPSN_NS1_7vsmem_tEENKUlT_SL_SM_SN_E_clIS8_S8_S9_S9_EESK_S10_SL_SM_SN_EUlS10_E1_NS1_11comp_targetILNS1_3genE5ELNS1_11target_archE942ELNS1_3gpuE9ELNS1_3repE0EEENS1_36merge_oddeven_config_static_selectorELNS0_4arch9wavefront6targetE0EEEvSM_
	.p2align	8
	.type	_ZN7rocprim17ROCPRIM_400000_NS6detail17trampoline_kernelINS0_14default_configENS1_38merge_sort_block_merge_config_selectorIlNS0_10empty_typeEEEZZNS1_27merge_sort_block_merge_implIS3_PlPS5_mZN2at6native12_GLOBAL__N_124unique_dim_cuda_templateImEESt5tupleIJNSA_6TensorESF_SF_EERKSF_lbbbEUlllE_EE10hipError_tT0_T1_T2_jT3_P12ihipStream_tbPNSt15iterator_traitsISL_E10value_typeEPNSR_ISM_E10value_typeEPSN_NS1_7vsmem_tEENKUlT_SL_SM_SN_E_clIS8_S8_S9_S9_EESK_S10_SL_SM_SN_EUlS10_E1_NS1_11comp_targetILNS1_3genE5ELNS1_11target_archE942ELNS1_3gpuE9ELNS1_3repE0EEENS1_36merge_oddeven_config_static_selectorELNS0_4arch9wavefront6targetE0EEEvSM_,@function
_ZN7rocprim17ROCPRIM_400000_NS6detail17trampoline_kernelINS0_14default_configENS1_38merge_sort_block_merge_config_selectorIlNS0_10empty_typeEEEZZNS1_27merge_sort_block_merge_implIS3_PlPS5_mZN2at6native12_GLOBAL__N_124unique_dim_cuda_templateImEESt5tupleIJNSA_6TensorESF_SF_EERKSF_lbbbEUlllE_EE10hipError_tT0_T1_T2_jT3_P12ihipStream_tbPNSt15iterator_traitsISL_E10value_typeEPNSR_ISM_E10value_typeEPSN_NS1_7vsmem_tEENKUlT_SL_SM_SN_E_clIS8_S8_S9_S9_EESK_S10_SL_SM_SN_EUlS10_E1_NS1_11comp_targetILNS1_3genE5ELNS1_11target_archE942ELNS1_3gpuE9ELNS1_3repE0EEENS1_36merge_oddeven_config_static_selectorELNS0_4arch9wavefront6targetE0EEEvSM_: ; @_ZN7rocprim17ROCPRIM_400000_NS6detail17trampoline_kernelINS0_14default_configENS1_38merge_sort_block_merge_config_selectorIlNS0_10empty_typeEEEZZNS1_27merge_sort_block_merge_implIS3_PlPS5_mZN2at6native12_GLOBAL__N_124unique_dim_cuda_templateImEESt5tupleIJNSA_6TensorESF_SF_EERKSF_lbbbEUlllE_EE10hipError_tT0_T1_T2_jT3_P12ihipStream_tbPNSt15iterator_traitsISL_E10value_typeEPNSR_ISM_E10value_typeEPSN_NS1_7vsmem_tEENKUlT_SL_SM_SN_E_clIS8_S8_S9_S9_EESK_S10_SL_SM_SN_EUlS10_E1_NS1_11comp_targetILNS1_3genE5ELNS1_11target_archE942ELNS1_3gpuE9ELNS1_3repE0EEENS1_36merge_oddeven_config_static_selectorELNS0_4arch9wavefront6targetE0EEEvSM_
; %bb.0:
	.section	.rodata,"a",@progbits
	.p2align	6, 0x0
	.amdhsa_kernel _ZN7rocprim17ROCPRIM_400000_NS6detail17trampoline_kernelINS0_14default_configENS1_38merge_sort_block_merge_config_selectorIlNS0_10empty_typeEEEZZNS1_27merge_sort_block_merge_implIS3_PlPS5_mZN2at6native12_GLOBAL__N_124unique_dim_cuda_templateImEESt5tupleIJNSA_6TensorESF_SF_EERKSF_lbbbEUlllE_EE10hipError_tT0_T1_T2_jT3_P12ihipStream_tbPNSt15iterator_traitsISL_E10value_typeEPNSR_ISM_E10value_typeEPSN_NS1_7vsmem_tEENKUlT_SL_SM_SN_E_clIS8_S8_S9_S9_EESK_S10_SL_SM_SN_EUlS10_E1_NS1_11comp_targetILNS1_3genE5ELNS1_11target_archE942ELNS1_3gpuE9ELNS1_3repE0EEENS1_36merge_oddeven_config_static_selectorELNS0_4arch9wavefront6targetE0EEEvSM_
		.amdhsa_group_segment_fixed_size 0
		.amdhsa_private_segment_fixed_size 0
		.amdhsa_kernarg_size 64
		.amdhsa_user_sgpr_count 2
		.amdhsa_user_sgpr_dispatch_ptr 0
		.amdhsa_user_sgpr_queue_ptr 0
		.amdhsa_user_sgpr_kernarg_segment_ptr 1
		.amdhsa_user_sgpr_dispatch_id 0
		.amdhsa_user_sgpr_kernarg_preload_length 0
		.amdhsa_user_sgpr_kernarg_preload_offset 0
		.amdhsa_user_sgpr_private_segment_size 0
		.amdhsa_wavefront_size32 1
		.amdhsa_uses_dynamic_stack 0
		.amdhsa_enable_private_segment 0
		.amdhsa_system_sgpr_workgroup_id_x 1
		.amdhsa_system_sgpr_workgroup_id_y 0
		.amdhsa_system_sgpr_workgroup_id_z 0
		.amdhsa_system_sgpr_workgroup_info 0
		.amdhsa_system_vgpr_workitem_id 0
		.amdhsa_next_free_vgpr 1
		.amdhsa_next_free_sgpr 1
		.amdhsa_named_barrier_count 0
		.amdhsa_reserve_vcc 0
		.amdhsa_float_round_mode_32 0
		.amdhsa_float_round_mode_16_64 0
		.amdhsa_float_denorm_mode_32 3
		.amdhsa_float_denorm_mode_16_64 3
		.amdhsa_fp16_overflow 0
		.amdhsa_memory_ordered 1
		.amdhsa_forward_progress 1
		.amdhsa_inst_pref_size 0
		.amdhsa_round_robin_scheduling 0
		.amdhsa_exception_fp_ieee_invalid_op 0
		.amdhsa_exception_fp_denorm_src 0
		.amdhsa_exception_fp_ieee_div_zero 0
		.amdhsa_exception_fp_ieee_overflow 0
		.amdhsa_exception_fp_ieee_underflow 0
		.amdhsa_exception_fp_ieee_inexact 0
		.amdhsa_exception_int_div_zero 0
	.end_amdhsa_kernel
	.section	.text._ZN7rocprim17ROCPRIM_400000_NS6detail17trampoline_kernelINS0_14default_configENS1_38merge_sort_block_merge_config_selectorIlNS0_10empty_typeEEEZZNS1_27merge_sort_block_merge_implIS3_PlPS5_mZN2at6native12_GLOBAL__N_124unique_dim_cuda_templateImEESt5tupleIJNSA_6TensorESF_SF_EERKSF_lbbbEUlllE_EE10hipError_tT0_T1_T2_jT3_P12ihipStream_tbPNSt15iterator_traitsISL_E10value_typeEPNSR_ISM_E10value_typeEPSN_NS1_7vsmem_tEENKUlT_SL_SM_SN_E_clIS8_S8_S9_S9_EESK_S10_SL_SM_SN_EUlS10_E1_NS1_11comp_targetILNS1_3genE5ELNS1_11target_archE942ELNS1_3gpuE9ELNS1_3repE0EEENS1_36merge_oddeven_config_static_selectorELNS0_4arch9wavefront6targetE0EEEvSM_,"axG",@progbits,_ZN7rocprim17ROCPRIM_400000_NS6detail17trampoline_kernelINS0_14default_configENS1_38merge_sort_block_merge_config_selectorIlNS0_10empty_typeEEEZZNS1_27merge_sort_block_merge_implIS3_PlPS5_mZN2at6native12_GLOBAL__N_124unique_dim_cuda_templateImEESt5tupleIJNSA_6TensorESF_SF_EERKSF_lbbbEUlllE_EE10hipError_tT0_T1_T2_jT3_P12ihipStream_tbPNSt15iterator_traitsISL_E10value_typeEPNSR_ISM_E10value_typeEPSN_NS1_7vsmem_tEENKUlT_SL_SM_SN_E_clIS8_S8_S9_S9_EESK_S10_SL_SM_SN_EUlS10_E1_NS1_11comp_targetILNS1_3genE5ELNS1_11target_archE942ELNS1_3gpuE9ELNS1_3repE0EEENS1_36merge_oddeven_config_static_selectorELNS0_4arch9wavefront6targetE0EEEvSM_,comdat
.Lfunc_end1632:
	.size	_ZN7rocprim17ROCPRIM_400000_NS6detail17trampoline_kernelINS0_14default_configENS1_38merge_sort_block_merge_config_selectorIlNS0_10empty_typeEEEZZNS1_27merge_sort_block_merge_implIS3_PlPS5_mZN2at6native12_GLOBAL__N_124unique_dim_cuda_templateImEESt5tupleIJNSA_6TensorESF_SF_EERKSF_lbbbEUlllE_EE10hipError_tT0_T1_T2_jT3_P12ihipStream_tbPNSt15iterator_traitsISL_E10value_typeEPNSR_ISM_E10value_typeEPSN_NS1_7vsmem_tEENKUlT_SL_SM_SN_E_clIS8_S8_S9_S9_EESK_S10_SL_SM_SN_EUlS10_E1_NS1_11comp_targetILNS1_3genE5ELNS1_11target_archE942ELNS1_3gpuE9ELNS1_3repE0EEENS1_36merge_oddeven_config_static_selectorELNS0_4arch9wavefront6targetE0EEEvSM_, .Lfunc_end1632-_ZN7rocprim17ROCPRIM_400000_NS6detail17trampoline_kernelINS0_14default_configENS1_38merge_sort_block_merge_config_selectorIlNS0_10empty_typeEEEZZNS1_27merge_sort_block_merge_implIS3_PlPS5_mZN2at6native12_GLOBAL__N_124unique_dim_cuda_templateImEESt5tupleIJNSA_6TensorESF_SF_EERKSF_lbbbEUlllE_EE10hipError_tT0_T1_T2_jT3_P12ihipStream_tbPNSt15iterator_traitsISL_E10value_typeEPNSR_ISM_E10value_typeEPSN_NS1_7vsmem_tEENKUlT_SL_SM_SN_E_clIS8_S8_S9_S9_EESK_S10_SL_SM_SN_EUlS10_E1_NS1_11comp_targetILNS1_3genE5ELNS1_11target_archE942ELNS1_3gpuE9ELNS1_3repE0EEENS1_36merge_oddeven_config_static_selectorELNS0_4arch9wavefront6targetE0EEEvSM_
                                        ; -- End function
	.set _ZN7rocprim17ROCPRIM_400000_NS6detail17trampoline_kernelINS0_14default_configENS1_38merge_sort_block_merge_config_selectorIlNS0_10empty_typeEEEZZNS1_27merge_sort_block_merge_implIS3_PlPS5_mZN2at6native12_GLOBAL__N_124unique_dim_cuda_templateImEESt5tupleIJNSA_6TensorESF_SF_EERKSF_lbbbEUlllE_EE10hipError_tT0_T1_T2_jT3_P12ihipStream_tbPNSt15iterator_traitsISL_E10value_typeEPNSR_ISM_E10value_typeEPSN_NS1_7vsmem_tEENKUlT_SL_SM_SN_E_clIS8_S8_S9_S9_EESK_S10_SL_SM_SN_EUlS10_E1_NS1_11comp_targetILNS1_3genE5ELNS1_11target_archE942ELNS1_3gpuE9ELNS1_3repE0EEENS1_36merge_oddeven_config_static_selectorELNS0_4arch9wavefront6targetE0EEEvSM_.num_vgpr, 0
	.set _ZN7rocprim17ROCPRIM_400000_NS6detail17trampoline_kernelINS0_14default_configENS1_38merge_sort_block_merge_config_selectorIlNS0_10empty_typeEEEZZNS1_27merge_sort_block_merge_implIS3_PlPS5_mZN2at6native12_GLOBAL__N_124unique_dim_cuda_templateImEESt5tupleIJNSA_6TensorESF_SF_EERKSF_lbbbEUlllE_EE10hipError_tT0_T1_T2_jT3_P12ihipStream_tbPNSt15iterator_traitsISL_E10value_typeEPNSR_ISM_E10value_typeEPSN_NS1_7vsmem_tEENKUlT_SL_SM_SN_E_clIS8_S8_S9_S9_EESK_S10_SL_SM_SN_EUlS10_E1_NS1_11comp_targetILNS1_3genE5ELNS1_11target_archE942ELNS1_3gpuE9ELNS1_3repE0EEENS1_36merge_oddeven_config_static_selectorELNS0_4arch9wavefront6targetE0EEEvSM_.num_agpr, 0
	.set _ZN7rocprim17ROCPRIM_400000_NS6detail17trampoline_kernelINS0_14default_configENS1_38merge_sort_block_merge_config_selectorIlNS0_10empty_typeEEEZZNS1_27merge_sort_block_merge_implIS3_PlPS5_mZN2at6native12_GLOBAL__N_124unique_dim_cuda_templateImEESt5tupleIJNSA_6TensorESF_SF_EERKSF_lbbbEUlllE_EE10hipError_tT0_T1_T2_jT3_P12ihipStream_tbPNSt15iterator_traitsISL_E10value_typeEPNSR_ISM_E10value_typeEPSN_NS1_7vsmem_tEENKUlT_SL_SM_SN_E_clIS8_S8_S9_S9_EESK_S10_SL_SM_SN_EUlS10_E1_NS1_11comp_targetILNS1_3genE5ELNS1_11target_archE942ELNS1_3gpuE9ELNS1_3repE0EEENS1_36merge_oddeven_config_static_selectorELNS0_4arch9wavefront6targetE0EEEvSM_.numbered_sgpr, 0
	.set _ZN7rocprim17ROCPRIM_400000_NS6detail17trampoline_kernelINS0_14default_configENS1_38merge_sort_block_merge_config_selectorIlNS0_10empty_typeEEEZZNS1_27merge_sort_block_merge_implIS3_PlPS5_mZN2at6native12_GLOBAL__N_124unique_dim_cuda_templateImEESt5tupleIJNSA_6TensorESF_SF_EERKSF_lbbbEUlllE_EE10hipError_tT0_T1_T2_jT3_P12ihipStream_tbPNSt15iterator_traitsISL_E10value_typeEPNSR_ISM_E10value_typeEPSN_NS1_7vsmem_tEENKUlT_SL_SM_SN_E_clIS8_S8_S9_S9_EESK_S10_SL_SM_SN_EUlS10_E1_NS1_11comp_targetILNS1_3genE5ELNS1_11target_archE942ELNS1_3gpuE9ELNS1_3repE0EEENS1_36merge_oddeven_config_static_selectorELNS0_4arch9wavefront6targetE0EEEvSM_.num_named_barrier, 0
	.set _ZN7rocprim17ROCPRIM_400000_NS6detail17trampoline_kernelINS0_14default_configENS1_38merge_sort_block_merge_config_selectorIlNS0_10empty_typeEEEZZNS1_27merge_sort_block_merge_implIS3_PlPS5_mZN2at6native12_GLOBAL__N_124unique_dim_cuda_templateImEESt5tupleIJNSA_6TensorESF_SF_EERKSF_lbbbEUlllE_EE10hipError_tT0_T1_T2_jT3_P12ihipStream_tbPNSt15iterator_traitsISL_E10value_typeEPNSR_ISM_E10value_typeEPSN_NS1_7vsmem_tEENKUlT_SL_SM_SN_E_clIS8_S8_S9_S9_EESK_S10_SL_SM_SN_EUlS10_E1_NS1_11comp_targetILNS1_3genE5ELNS1_11target_archE942ELNS1_3gpuE9ELNS1_3repE0EEENS1_36merge_oddeven_config_static_selectorELNS0_4arch9wavefront6targetE0EEEvSM_.private_seg_size, 0
	.set _ZN7rocprim17ROCPRIM_400000_NS6detail17trampoline_kernelINS0_14default_configENS1_38merge_sort_block_merge_config_selectorIlNS0_10empty_typeEEEZZNS1_27merge_sort_block_merge_implIS3_PlPS5_mZN2at6native12_GLOBAL__N_124unique_dim_cuda_templateImEESt5tupleIJNSA_6TensorESF_SF_EERKSF_lbbbEUlllE_EE10hipError_tT0_T1_T2_jT3_P12ihipStream_tbPNSt15iterator_traitsISL_E10value_typeEPNSR_ISM_E10value_typeEPSN_NS1_7vsmem_tEENKUlT_SL_SM_SN_E_clIS8_S8_S9_S9_EESK_S10_SL_SM_SN_EUlS10_E1_NS1_11comp_targetILNS1_3genE5ELNS1_11target_archE942ELNS1_3gpuE9ELNS1_3repE0EEENS1_36merge_oddeven_config_static_selectorELNS0_4arch9wavefront6targetE0EEEvSM_.uses_vcc, 0
	.set _ZN7rocprim17ROCPRIM_400000_NS6detail17trampoline_kernelINS0_14default_configENS1_38merge_sort_block_merge_config_selectorIlNS0_10empty_typeEEEZZNS1_27merge_sort_block_merge_implIS3_PlPS5_mZN2at6native12_GLOBAL__N_124unique_dim_cuda_templateImEESt5tupleIJNSA_6TensorESF_SF_EERKSF_lbbbEUlllE_EE10hipError_tT0_T1_T2_jT3_P12ihipStream_tbPNSt15iterator_traitsISL_E10value_typeEPNSR_ISM_E10value_typeEPSN_NS1_7vsmem_tEENKUlT_SL_SM_SN_E_clIS8_S8_S9_S9_EESK_S10_SL_SM_SN_EUlS10_E1_NS1_11comp_targetILNS1_3genE5ELNS1_11target_archE942ELNS1_3gpuE9ELNS1_3repE0EEENS1_36merge_oddeven_config_static_selectorELNS0_4arch9wavefront6targetE0EEEvSM_.uses_flat_scratch, 0
	.set _ZN7rocprim17ROCPRIM_400000_NS6detail17trampoline_kernelINS0_14default_configENS1_38merge_sort_block_merge_config_selectorIlNS0_10empty_typeEEEZZNS1_27merge_sort_block_merge_implIS3_PlPS5_mZN2at6native12_GLOBAL__N_124unique_dim_cuda_templateImEESt5tupleIJNSA_6TensorESF_SF_EERKSF_lbbbEUlllE_EE10hipError_tT0_T1_T2_jT3_P12ihipStream_tbPNSt15iterator_traitsISL_E10value_typeEPNSR_ISM_E10value_typeEPSN_NS1_7vsmem_tEENKUlT_SL_SM_SN_E_clIS8_S8_S9_S9_EESK_S10_SL_SM_SN_EUlS10_E1_NS1_11comp_targetILNS1_3genE5ELNS1_11target_archE942ELNS1_3gpuE9ELNS1_3repE0EEENS1_36merge_oddeven_config_static_selectorELNS0_4arch9wavefront6targetE0EEEvSM_.has_dyn_sized_stack, 0
	.set _ZN7rocprim17ROCPRIM_400000_NS6detail17trampoline_kernelINS0_14default_configENS1_38merge_sort_block_merge_config_selectorIlNS0_10empty_typeEEEZZNS1_27merge_sort_block_merge_implIS3_PlPS5_mZN2at6native12_GLOBAL__N_124unique_dim_cuda_templateImEESt5tupleIJNSA_6TensorESF_SF_EERKSF_lbbbEUlllE_EE10hipError_tT0_T1_T2_jT3_P12ihipStream_tbPNSt15iterator_traitsISL_E10value_typeEPNSR_ISM_E10value_typeEPSN_NS1_7vsmem_tEENKUlT_SL_SM_SN_E_clIS8_S8_S9_S9_EESK_S10_SL_SM_SN_EUlS10_E1_NS1_11comp_targetILNS1_3genE5ELNS1_11target_archE942ELNS1_3gpuE9ELNS1_3repE0EEENS1_36merge_oddeven_config_static_selectorELNS0_4arch9wavefront6targetE0EEEvSM_.has_recursion, 0
	.set _ZN7rocprim17ROCPRIM_400000_NS6detail17trampoline_kernelINS0_14default_configENS1_38merge_sort_block_merge_config_selectorIlNS0_10empty_typeEEEZZNS1_27merge_sort_block_merge_implIS3_PlPS5_mZN2at6native12_GLOBAL__N_124unique_dim_cuda_templateImEESt5tupleIJNSA_6TensorESF_SF_EERKSF_lbbbEUlllE_EE10hipError_tT0_T1_T2_jT3_P12ihipStream_tbPNSt15iterator_traitsISL_E10value_typeEPNSR_ISM_E10value_typeEPSN_NS1_7vsmem_tEENKUlT_SL_SM_SN_E_clIS8_S8_S9_S9_EESK_S10_SL_SM_SN_EUlS10_E1_NS1_11comp_targetILNS1_3genE5ELNS1_11target_archE942ELNS1_3gpuE9ELNS1_3repE0EEENS1_36merge_oddeven_config_static_selectorELNS0_4arch9wavefront6targetE0EEEvSM_.has_indirect_call, 0
	.section	.AMDGPU.csdata,"",@progbits
; Kernel info:
; codeLenInByte = 0
; TotalNumSgprs: 0
; NumVgprs: 0
; ScratchSize: 0
; MemoryBound: 0
; FloatMode: 240
; IeeeMode: 1
; LDSByteSize: 0 bytes/workgroup (compile time only)
; SGPRBlocks: 0
; VGPRBlocks: 0
; NumSGPRsForWavesPerEU: 1
; NumVGPRsForWavesPerEU: 1
; NamedBarCnt: 0
; Occupancy: 16
; WaveLimiterHint : 0
; COMPUTE_PGM_RSRC2:SCRATCH_EN: 0
; COMPUTE_PGM_RSRC2:USER_SGPR: 2
; COMPUTE_PGM_RSRC2:TRAP_HANDLER: 0
; COMPUTE_PGM_RSRC2:TGID_X_EN: 1
; COMPUTE_PGM_RSRC2:TGID_Y_EN: 0
; COMPUTE_PGM_RSRC2:TGID_Z_EN: 0
; COMPUTE_PGM_RSRC2:TIDIG_COMP_CNT: 0
	.section	.text._ZN7rocprim17ROCPRIM_400000_NS6detail17trampoline_kernelINS0_14default_configENS1_38merge_sort_block_merge_config_selectorIlNS0_10empty_typeEEEZZNS1_27merge_sort_block_merge_implIS3_PlPS5_mZN2at6native12_GLOBAL__N_124unique_dim_cuda_templateImEESt5tupleIJNSA_6TensorESF_SF_EERKSF_lbbbEUlllE_EE10hipError_tT0_T1_T2_jT3_P12ihipStream_tbPNSt15iterator_traitsISL_E10value_typeEPNSR_ISM_E10value_typeEPSN_NS1_7vsmem_tEENKUlT_SL_SM_SN_E_clIS8_S8_S9_S9_EESK_S10_SL_SM_SN_EUlS10_E1_NS1_11comp_targetILNS1_3genE4ELNS1_11target_archE910ELNS1_3gpuE8ELNS1_3repE0EEENS1_36merge_oddeven_config_static_selectorELNS0_4arch9wavefront6targetE0EEEvSM_,"axG",@progbits,_ZN7rocprim17ROCPRIM_400000_NS6detail17trampoline_kernelINS0_14default_configENS1_38merge_sort_block_merge_config_selectorIlNS0_10empty_typeEEEZZNS1_27merge_sort_block_merge_implIS3_PlPS5_mZN2at6native12_GLOBAL__N_124unique_dim_cuda_templateImEESt5tupleIJNSA_6TensorESF_SF_EERKSF_lbbbEUlllE_EE10hipError_tT0_T1_T2_jT3_P12ihipStream_tbPNSt15iterator_traitsISL_E10value_typeEPNSR_ISM_E10value_typeEPSN_NS1_7vsmem_tEENKUlT_SL_SM_SN_E_clIS8_S8_S9_S9_EESK_S10_SL_SM_SN_EUlS10_E1_NS1_11comp_targetILNS1_3genE4ELNS1_11target_archE910ELNS1_3gpuE8ELNS1_3repE0EEENS1_36merge_oddeven_config_static_selectorELNS0_4arch9wavefront6targetE0EEEvSM_,comdat
	.globl	_ZN7rocprim17ROCPRIM_400000_NS6detail17trampoline_kernelINS0_14default_configENS1_38merge_sort_block_merge_config_selectorIlNS0_10empty_typeEEEZZNS1_27merge_sort_block_merge_implIS3_PlPS5_mZN2at6native12_GLOBAL__N_124unique_dim_cuda_templateImEESt5tupleIJNSA_6TensorESF_SF_EERKSF_lbbbEUlllE_EE10hipError_tT0_T1_T2_jT3_P12ihipStream_tbPNSt15iterator_traitsISL_E10value_typeEPNSR_ISM_E10value_typeEPSN_NS1_7vsmem_tEENKUlT_SL_SM_SN_E_clIS8_S8_S9_S9_EESK_S10_SL_SM_SN_EUlS10_E1_NS1_11comp_targetILNS1_3genE4ELNS1_11target_archE910ELNS1_3gpuE8ELNS1_3repE0EEENS1_36merge_oddeven_config_static_selectorELNS0_4arch9wavefront6targetE0EEEvSM_ ; -- Begin function _ZN7rocprim17ROCPRIM_400000_NS6detail17trampoline_kernelINS0_14default_configENS1_38merge_sort_block_merge_config_selectorIlNS0_10empty_typeEEEZZNS1_27merge_sort_block_merge_implIS3_PlPS5_mZN2at6native12_GLOBAL__N_124unique_dim_cuda_templateImEESt5tupleIJNSA_6TensorESF_SF_EERKSF_lbbbEUlllE_EE10hipError_tT0_T1_T2_jT3_P12ihipStream_tbPNSt15iterator_traitsISL_E10value_typeEPNSR_ISM_E10value_typeEPSN_NS1_7vsmem_tEENKUlT_SL_SM_SN_E_clIS8_S8_S9_S9_EESK_S10_SL_SM_SN_EUlS10_E1_NS1_11comp_targetILNS1_3genE4ELNS1_11target_archE910ELNS1_3gpuE8ELNS1_3repE0EEENS1_36merge_oddeven_config_static_selectorELNS0_4arch9wavefront6targetE0EEEvSM_
	.p2align	8
	.type	_ZN7rocprim17ROCPRIM_400000_NS6detail17trampoline_kernelINS0_14default_configENS1_38merge_sort_block_merge_config_selectorIlNS0_10empty_typeEEEZZNS1_27merge_sort_block_merge_implIS3_PlPS5_mZN2at6native12_GLOBAL__N_124unique_dim_cuda_templateImEESt5tupleIJNSA_6TensorESF_SF_EERKSF_lbbbEUlllE_EE10hipError_tT0_T1_T2_jT3_P12ihipStream_tbPNSt15iterator_traitsISL_E10value_typeEPNSR_ISM_E10value_typeEPSN_NS1_7vsmem_tEENKUlT_SL_SM_SN_E_clIS8_S8_S9_S9_EESK_S10_SL_SM_SN_EUlS10_E1_NS1_11comp_targetILNS1_3genE4ELNS1_11target_archE910ELNS1_3gpuE8ELNS1_3repE0EEENS1_36merge_oddeven_config_static_selectorELNS0_4arch9wavefront6targetE0EEEvSM_,@function
_ZN7rocprim17ROCPRIM_400000_NS6detail17trampoline_kernelINS0_14default_configENS1_38merge_sort_block_merge_config_selectorIlNS0_10empty_typeEEEZZNS1_27merge_sort_block_merge_implIS3_PlPS5_mZN2at6native12_GLOBAL__N_124unique_dim_cuda_templateImEESt5tupleIJNSA_6TensorESF_SF_EERKSF_lbbbEUlllE_EE10hipError_tT0_T1_T2_jT3_P12ihipStream_tbPNSt15iterator_traitsISL_E10value_typeEPNSR_ISM_E10value_typeEPSN_NS1_7vsmem_tEENKUlT_SL_SM_SN_E_clIS8_S8_S9_S9_EESK_S10_SL_SM_SN_EUlS10_E1_NS1_11comp_targetILNS1_3genE4ELNS1_11target_archE910ELNS1_3gpuE8ELNS1_3repE0EEENS1_36merge_oddeven_config_static_selectorELNS0_4arch9wavefront6targetE0EEEvSM_: ; @_ZN7rocprim17ROCPRIM_400000_NS6detail17trampoline_kernelINS0_14default_configENS1_38merge_sort_block_merge_config_selectorIlNS0_10empty_typeEEEZZNS1_27merge_sort_block_merge_implIS3_PlPS5_mZN2at6native12_GLOBAL__N_124unique_dim_cuda_templateImEESt5tupleIJNSA_6TensorESF_SF_EERKSF_lbbbEUlllE_EE10hipError_tT0_T1_T2_jT3_P12ihipStream_tbPNSt15iterator_traitsISL_E10value_typeEPNSR_ISM_E10value_typeEPSN_NS1_7vsmem_tEENKUlT_SL_SM_SN_E_clIS8_S8_S9_S9_EESK_S10_SL_SM_SN_EUlS10_E1_NS1_11comp_targetILNS1_3genE4ELNS1_11target_archE910ELNS1_3gpuE8ELNS1_3repE0EEENS1_36merge_oddeven_config_static_selectorELNS0_4arch9wavefront6targetE0EEEvSM_
; %bb.0:
	.section	.rodata,"a",@progbits
	.p2align	6, 0x0
	.amdhsa_kernel _ZN7rocprim17ROCPRIM_400000_NS6detail17trampoline_kernelINS0_14default_configENS1_38merge_sort_block_merge_config_selectorIlNS0_10empty_typeEEEZZNS1_27merge_sort_block_merge_implIS3_PlPS5_mZN2at6native12_GLOBAL__N_124unique_dim_cuda_templateImEESt5tupleIJNSA_6TensorESF_SF_EERKSF_lbbbEUlllE_EE10hipError_tT0_T1_T2_jT3_P12ihipStream_tbPNSt15iterator_traitsISL_E10value_typeEPNSR_ISM_E10value_typeEPSN_NS1_7vsmem_tEENKUlT_SL_SM_SN_E_clIS8_S8_S9_S9_EESK_S10_SL_SM_SN_EUlS10_E1_NS1_11comp_targetILNS1_3genE4ELNS1_11target_archE910ELNS1_3gpuE8ELNS1_3repE0EEENS1_36merge_oddeven_config_static_selectorELNS0_4arch9wavefront6targetE0EEEvSM_
		.amdhsa_group_segment_fixed_size 0
		.amdhsa_private_segment_fixed_size 0
		.amdhsa_kernarg_size 64
		.amdhsa_user_sgpr_count 2
		.amdhsa_user_sgpr_dispatch_ptr 0
		.amdhsa_user_sgpr_queue_ptr 0
		.amdhsa_user_sgpr_kernarg_segment_ptr 1
		.amdhsa_user_sgpr_dispatch_id 0
		.amdhsa_user_sgpr_kernarg_preload_length 0
		.amdhsa_user_sgpr_kernarg_preload_offset 0
		.amdhsa_user_sgpr_private_segment_size 0
		.amdhsa_wavefront_size32 1
		.amdhsa_uses_dynamic_stack 0
		.amdhsa_enable_private_segment 0
		.amdhsa_system_sgpr_workgroup_id_x 1
		.amdhsa_system_sgpr_workgroup_id_y 0
		.amdhsa_system_sgpr_workgroup_id_z 0
		.amdhsa_system_sgpr_workgroup_info 0
		.amdhsa_system_vgpr_workitem_id 0
		.amdhsa_next_free_vgpr 1
		.amdhsa_next_free_sgpr 1
		.amdhsa_named_barrier_count 0
		.amdhsa_reserve_vcc 0
		.amdhsa_float_round_mode_32 0
		.amdhsa_float_round_mode_16_64 0
		.amdhsa_float_denorm_mode_32 3
		.amdhsa_float_denorm_mode_16_64 3
		.amdhsa_fp16_overflow 0
		.amdhsa_memory_ordered 1
		.amdhsa_forward_progress 1
		.amdhsa_inst_pref_size 0
		.amdhsa_round_robin_scheduling 0
		.amdhsa_exception_fp_ieee_invalid_op 0
		.amdhsa_exception_fp_denorm_src 0
		.amdhsa_exception_fp_ieee_div_zero 0
		.amdhsa_exception_fp_ieee_overflow 0
		.amdhsa_exception_fp_ieee_underflow 0
		.amdhsa_exception_fp_ieee_inexact 0
		.amdhsa_exception_int_div_zero 0
	.end_amdhsa_kernel
	.section	.text._ZN7rocprim17ROCPRIM_400000_NS6detail17trampoline_kernelINS0_14default_configENS1_38merge_sort_block_merge_config_selectorIlNS0_10empty_typeEEEZZNS1_27merge_sort_block_merge_implIS3_PlPS5_mZN2at6native12_GLOBAL__N_124unique_dim_cuda_templateImEESt5tupleIJNSA_6TensorESF_SF_EERKSF_lbbbEUlllE_EE10hipError_tT0_T1_T2_jT3_P12ihipStream_tbPNSt15iterator_traitsISL_E10value_typeEPNSR_ISM_E10value_typeEPSN_NS1_7vsmem_tEENKUlT_SL_SM_SN_E_clIS8_S8_S9_S9_EESK_S10_SL_SM_SN_EUlS10_E1_NS1_11comp_targetILNS1_3genE4ELNS1_11target_archE910ELNS1_3gpuE8ELNS1_3repE0EEENS1_36merge_oddeven_config_static_selectorELNS0_4arch9wavefront6targetE0EEEvSM_,"axG",@progbits,_ZN7rocprim17ROCPRIM_400000_NS6detail17trampoline_kernelINS0_14default_configENS1_38merge_sort_block_merge_config_selectorIlNS0_10empty_typeEEEZZNS1_27merge_sort_block_merge_implIS3_PlPS5_mZN2at6native12_GLOBAL__N_124unique_dim_cuda_templateImEESt5tupleIJNSA_6TensorESF_SF_EERKSF_lbbbEUlllE_EE10hipError_tT0_T1_T2_jT3_P12ihipStream_tbPNSt15iterator_traitsISL_E10value_typeEPNSR_ISM_E10value_typeEPSN_NS1_7vsmem_tEENKUlT_SL_SM_SN_E_clIS8_S8_S9_S9_EESK_S10_SL_SM_SN_EUlS10_E1_NS1_11comp_targetILNS1_3genE4ELNS1_11target_archE910ELNS1_3gpuE8ELNS1_3repE0EEENS1_36merge_oddeven_config_static_selectorELNS0_4arch9wavefront6targetE0EEEvSM_,comdat
.Lfunc_end1633:
	.size	_ZN7rocprim17ROCPRIM_400000_NS6detail17trampoline_kernelINS0_14default_configENS1_38merge_sort_block_merge_config_selectorIlNS0_10empty_typeEEEZZNS1_27merge_sort_block_merge_implIS3_PlPS5_mZN2at6native12_GLOBAL__N_124unique_dim_cuda_templateImEESt5tupleIJNSA_6TensorESF_SF_EERKSF_lbbbEUlllE_EE10hipError_tT0_T1_T2_jT3_P12ihipStream_tbPNSt15iterator_traitsISL_E10value_typeEPNSR_ISM_E10value_typeEPSN_NS1_7vsmem_tEENKUlT_SL_SM_SN_E_clIS8_S8_S9_S9_EESK_S10_SL_SM_SN_EUlS10_E1_NS1_11comp_targetILNS1_3genE4ELNS1_11target_archE910ELNS1_3gpuE8ELNS1_3repE0EEENS1_36merge_oddeven_config_static_selectorELNS0_4arch9wavefront6targetE0EEEvSM_, .Lfunc_end1633-_ZN7rocprim17ROCPRIM_400000_NS6detail17trampoline_kernelINS0_14default_configENS1_38merge_sort_block_merge_config_selectorIlNS0_10empty_typeEEEZZNS1_27merge_sort_block_merge_implIS3_PlPS5_mZN2at6native12_GLOBAL__N_124unique_dim_cuda_templateImEESt5tupleIJNSA_6TensorESF_SF_EERKSF_lbbbEUlllE_EE10hipError_tT0_T1_T2_jT3_P12ihipStream_tbPNSt15iterator_traitsISL_E10value_typeEPNSR_ISM_E10value_typeEPSN_NS1_7vsmem_tEENKUlT_SL_SM_SN_E_clIS8_S8_S9_S9_EESK_S10_SL_SM_SN_EUlS10_E1_NS1_11comp_targetILNS1_3genE4ELNS1_11target_archE910ELNS1_3gpuE8ELNS1_3repE0EEENS1_36merge_oddeven_config_static_selectorELNS0_4arch9wavefront6targetE0EEEvSM_
                                        ; -- End function
	.set _ZN7rocprim17ROCPRIM_400000_NS6detail17trampoline_kernelINS0_14default_configENS1_38merge_sort_block_merge_config_selectorIlNS0_10empty_typeEEEZZNS1_27merge_sort_block_merge_implIS3_PlPS5_mZN2at6native12_GLOBAL__N_124unique_dim_cuda_templateImEESt5tupleIJNSA_6TensorESF_SF_EERKSF_lbbbEUlllE_EE10hipError_tT0_T1_T2_jT3_P12ihipStream_tbPNSt15iterator_traitsISL_E10value_typeEPNSR_ISM_E10value_typeEPSN_NS1_7vsmem_tEENKUlT_SL_SM_SN_E_clIS8_S8_S9_S9_EESK_S10_SL_SM_SN_EUlS10_E1_NS1_11comp_targetILNS1_3genE4ELNS1_11target_archE910ELNS1_3gpuE8ELNS1_3repE0EEENS1_36merge_oddeven_config_static_selectorELNS0_4arch9wavefront6targetE0EEEvSM_.num_vgpr, 0
	.set _ZN7rocprim17ROCPRIM_400000_NS6detail17trampoline_kernelINS0_14default_configENS1_38merge_sort_block_merge_config_selectorIlNS0_10empty_typeEEEZZNS1_27merge_sort_block_merge_implIS3_PlPS5_mZN2at6native12_GLOBAL__N_124unique_dim_cuda_templateImEESt5tupleIJNSA_6TensorESF_SF_EERKSF_lbbbEUlllE_EE10hipError_tT0_T1_T2_jT3_P12ihipStream_tbPNSt15iterator_traitsISL_E10value_typeEPNSR_ISM_E10value_typeEPSN_NS1_7vsmem_tEENKUlT_SL_SM_SN_E_clIS8_S8_S9_S9_EESK_S10_SL_SM_SN_EUlS10_E1_NS1_11comp_targetILNS1_3genE4ELNS1_11target_archE910ELNS1_3gpuE8ELNS1_3repE0EEENS1_36merge_oddeven_config_static_selectorELNS0_4arch9wavefront6targetE0EEEvSM_.num_agpr, 0
	.set _ZN7rocprim17ROCPRIM_400000_NS6detail17trampoline_kernelINS0_14default_configENS1_38merge_sort_block_merge_config_selectorIlNS0_10empty_typeEEEZZNS1_27merge_sort_block_merge_implIS3_PlPS5_mZN2at6native12_GLOBAL__N_124unique_dim_cuda_templateImEESt5tupleIJNSA_6TensorESF_SF_EERKSF_lbbbEUlllE_EE10hipError_tT0_T1_T2_jT3_P12ihipStream_tbPNSt15iterator_traitsISL_E10value_typeEPNSR_ISM_E10value_typeEPSN_NS1_7vsmem_tEENKUlT_SL_SM_SN_E_clIS8_S8_S9_S9_EESK_S10_SL_SM_SN_EUlS10_E1_NS1_11comp_targetILNS1_3genE4ELNS1_11target_archE910ELNS1_3gpuE8ELNS1_3repE0EEENS1_36merge_oddeven_config_static_selectorELNS0_4arch9wavefront6targetE0EEEvSM_.numbered_sgpr, 0
	.set _ZN7rocprim17ROCPRIM_400000_NS6detail17trampoline_kernelINS0_14default_configENS1_38merge_sort_block_merge_config_selectorIlNS0_10empty_typeEEEZZNS1_27merge_sort_block_merge_implIS3_PlPS5_mZN2at6native12_GLOBAL__N_124unique_dim_cuda_templateImEESt5tupleIJNSA_6TensorESF_SF_EERKSF_lbbbEUlllE_EE10hipError_tT0_T1_T2_jT3_P12ihipStream_tbPNSt15iterator_traitsISL_E10value_typeEPNSR_ISM_E10value_typeEPSN_NS1_7vsmem_tEENKUlT_SL_SM_SN_E_clIS8_S8_S9_S9_EESK_S10_SL_SM_SN_EUlS10_E1_NS1_11comp_targetILNS1_3genE4ELNS1_11target_archE910ELNS1_3gpuE8ELNS1_3repE0EEENS1_36merge_oddeven_config_static_selectorELNS0_4arch9wavefront6targetE0EEEvSM_.num_named_barrier, 0
	.set _ZN7rocprim17ROCPRIM_400000_NS6detail17trampoline_kernelINS0_14default_configENS1_38merge_sort_block_merge_config_selectorIlNS0_10empty_typeEEEZZNS1_27merge_sort_block_merge_implIS3_PlPS5_mZN2at6native12_GLOBAL__N_124unique_dim_cuda_templateImEESt5tupleIJNSA_6TensorESF_SF_EERKSF_lbbbEUlllE_EE10hipError_tT0_T1_T2_jT3_P12ihipStream_tbPNSt15iterator_traitsISL_E10value_typeEPNSR_ISM_E10value_typeEPSN_NS1_7vsmem_tEENKUlT_SL_SM_SN_E_clIS8_S8_S9_S9_EESK_S10_SL_SM_SN_EUlS10_E1_NS1_11comp_targetILNS1_3genE4ELNS1_11target_archE910ELNS1_3gpuE8ELNS1_3repE0EEENS1_36merge_oddeven_config_static_selectorELNS0_4arch9wavefront6targetE0EEEvSM_.private_seg_size, 0
	.set _ZN7rocprim17ROCPRIM_400000_NS6detail17trampoline_kernelINS0_14default_configENS1_38merge_sort_block_merge_config_selectorIlNS0_10empty_typeEEEZZNS1_27merge_sort_block_merge_implIS3_PlPS5_mZN2at6native12_GLOBAL__N_124unique_dim_cuda_templateImEESt5tupleIJNSA_6TensorESF_SF_EERKSF_lbbbEUlllE_EE10hipError_tT0_T1_T2_jT3_P12ihipStream_tbPNSt15iterator_traitsISL_E10value_typeEPNSR_ISM_E10value_typeEPSN_NS1_7vsmem_tEENKUlT_SL_SM_SN_E_clIS8_S8_S9_S9_EESK_S10_SL_SM_SN_EUlS10_E1_NS1_11comp_targetILNS1_3genE4ELNS1_11target_archE910ELNS1_3gpuE8ELNS1_3repE0EEENS1_36merge_oddeven_config_static_selectorELNS0_4arch9wavefront6targetE0EEEvSM_.uses_vcc, 0
	.set _ZN7rocprim17ROCPRIM_400000_NS6detail17trampoline_kernelINS0_14default_configENS1_38merge_sort_block_merge_config_selectorIlNS0_10empty_typeEEEZZNS1_27merge_sort_block_merge_implIS3_PlPS5_mZN2at6native12_GLOBAL__N_124unique_dim_cuda_templateImEESt5tupleIJNSA_6TensorESF_SF_EERKSF_lbbbEUlllE_EE10hipError_tT0_T1_T2_jT3_P12ihipStream_tbPNSt15iterator_traitsISL_E10value_typeEPNSR_ISM_E10value_typeEPSN_NS1_7vsmem_tEENKUlT_SL_SM_SN_E_clIS8_S8_S9_S9_EESK_S10_SL_SM_SN_EUlS10_E1_NS1_11comp_targetILNS1_3genE4ELNS1_11target_archE910ELNS1_3gpuE8ELNS1_3repE0EEENS1_36merge_oddeven_config_static_selectorELNS0_4arch9wavefront6targetE0EEEvSM_.uses_flat_scratch, 0
	.set _ZN7rocprim17ROCPRIM_400000_NS6detail17trampoline_kernelINS0_14default_configENS1_38merge_sort_block_merge_config_selectorIlNS0_10empty_typeEEEZZNS1_27merge_sort_block_merge_implIS3_PlPS5_mZN2at6native12_GLOBAL__N_124unique_dim_cuda_templateImEESt5tupleIJNSA_6TensorESF_SF_EERKSF_lbbbEUlllE_EE10hipError_tT0_T1_T2_jT3_P12ihipStream_tbPNSt15iterator_traitsISL_E10value_typeEPNSR_ISM_E10value_typeEPSN_NS1_7vsmem_tEENKUlT_SL_SM_SN_E_clIS8_S8_S9_S9_EESK_S10_SL_SM_SN_EUlS10_E1_NS1_11comp_targetILNS1_3genE4ELNS1_11target_archE910ELNS1_3gpuE8ELNS1_3repE0EEENS1_36merge_oddeven_config_static_selectorELNS0_4arch9wavefront6targetE0EEEvSM_.has_dyn_sized_stack, 0
	.set _ZN7rocprim17ROCPRIM_400000_NS6detail17trampoline_kernelINS0_14default_configENS1_38merge_sort_block_merge_config_selectorIlNS0_10empty_typeEEEZZNS1_27merge_sort_block_merge_implIS3_PlPS5_mZN2at6native12_GLOBAL__N_124unique_dim_cuda_templateImEESt5tupleIJNSA_6TensorESF_SF_EERKSF_lbbbEUlllE_EE10hipError_tT0_T1_T2_jT3_P12ihipStream_tbPNSt15iterator_traitsISL_E10value_typeEPNSR_ISM_E10value_typeEPSN_NS1_7vsmem_tEENKUlT_SL_SM_SN_E_clIS8_S8_S9_S9_EESK_S10_SL_SM_SN_EUlS10_E1_NS1_11comp_targetILNS1_3genE4ELNS1_11target_archE910ELNS1_3gpuE8ELNS1_3repE0EEENS1_36merge_oddeven_config_static_selectorELNS0_4arch9wavefront6targetE0EEEvSM_.has_recursion, 0
	.set _ZN7rocprim17ROCPRIM_400000_NS6detail17trampoline_kernelINS0_14default_configENS1_38merge_sort_block_merge_config_selectorIlNS0_10empty_typeEEEZZNS1_27merge_sort_block_merge_implIS3_PlPS5_mZN2at6native12_GLOBAL__N_124unique_dim_cuda_templateImEESt5tupleIJNSA_6TensorESF_SF_EERKSF_lbbbEUlllE_EE10hipError_tT0_T1_T2_jT3_P12ihipStream_tbPNSt15iterator_traitsISL_E10value_typeEPNSR_ISM_E10value_typeEPSN_NS1_7vsmem_tEENKUlT_SL_SM_SN_E_clIS8_S8_S9_S9_EESK_S10_SL_SM_SN_EUlS10_E1_NS1_11comp_targetILNS1_3genE4ELNS1_11target_archE910ELNS1_3gpuE8ELNS1_3repE0EEENS1_36merge_oddeven_config_static_selectorELNS0_4arch9wavefront6targetE0EEEvSM_.has_indirect_call, 0
	.section	.AMDGPU.csdata,"",@progbits
; Kernel info:
; codeLenInByte = 0
; TotalNumSgprs: 0
; NumVgprs: 0
; ScratchSize: 0
; MemoryBound: 0
; FloatMode: 240
; IeeeMode: 1
; LDSByteSize: 0 bytes/workgroup (compile time only)
; SGPRBlocks: 0
; VGPRBlocks: 0
; NumSGPRsForWavesPerEU: 1
; NumVGPRsForWavesPerEU: 1
; NamedBarCnt: 0
; Occupancy: 16
; WaveLimiterHint : 0
; COMPUTE_PGM_RSRC2:SCRATCH_EN: 0
; COMPUTE_PGM_RSRC2:USER_SGPR: 2
; COMPUTE_PGM_RSRC2:TRAP_HANDLER: 0
; COMPUTE_PGM_RSRC2:TGID_X_EN: 1
; COMPUTE_PGM_RSRC2:TGID_Y_EN: 0
; COMPUTE_PGM_RSRC2:TGID_Z_EN: 0
; COMPUTE_PGM_RSRC2:TIDIG_COMP_CNT: 0
	.section	.text._ZN7rocprim17ROCPRIM_400000_NS6detail17trampoline_kernelINS0_14default_configENS1_38merge_sort_block_merge_config_selectorIlNS0_10empty_typeEEEZZNS1_27merge_sort_block_merge_implIS3_PlPS5_mZN2at6native12_GLOBAL__N_124unique_dim_cuda_templateImEESt5tupleIJNSA_6TensorESF_SF_EERKSF_lbbbEUlllE_EE10hipError_tT0_T1_T2_jT3_P12ihipStream_tbPNSt15iterator_traitsISL_E10value_typeEPNSR_ISM_E10value_typeEPSN_NS1_7vsmem_tEENKUlT_SL_SM_SN_E_clIS8_S8_S9_S9_EESK_S10_SL_SM_SN_EUlS10_E1_NS1_11comp_targetILNS1_3genE3ELNS1_11target_archE908ELNS1_3gpuE7ELNS1_3repE0EEENS1_36merge_oddeven_config_static_selectorELNS0_4arch9wavefront6targetE0EEEvSM_,"axG",@progbits,_ZN7rocprim17ROCPRIM_400000_NS6detail17trampoline_kernelINS0_14default_configENS1_38merge_sort_block_merge_config_selectorIlNS0_10empty_typeEEEZZNS1_27merge_sort_block_merge_implIS3_PlPS5_mZN2at6native12_GLOBAL__N_124unique_dim_cuda_templateImEESt5tupleIJNSA_6TensorESF_SF_EERKSF_lbbbEUlllE_EE10hipError_tT0_T1_T2_jT3_P12ihipStream_tbPNSt15iterator_traitsISL_E10value_typeEPNSR_ISM_E10value_typeEPSN_NS1_7vsmem_tEENKUlT_SL_SM_SN_E_clIS8_S8_S9_S9_EESK_S10_SL_SM_SN_EUlS10_E1_NS1_11comp_targetILNS1_3genE3ELNS1_11target_archE908ELNS1_3gpuE7ELNS1_3repE0EEENS1_36merge_oddeven_config_static_selectorELNS0_4arch9wavefront6targetE0EEEvSM_,comdat
	.globl	_ZN7rocprim17ROCPRIM_400000_NS6detail17trampoline_kernelINS0_14default_configENS1_38merge_sort_block_merge_config_selectorIlNS0_10empty_typeEEEZZNS1_27merge_sort_block_merge_implIS3_PlPS5_mZN2at6native12_GLOBAL__N_124unique_dim_cuda_templateImEESt5tupleIJNSA_6TensorESF_SF_EERKSF_lbbbEUlllE_EE10hipError_tT0_T1_T2_jT3_P12ihipStream_tbPNSt15iterator_traitsISL_E10value_typeEPNSR_ISM_E10value_typeEPSN_NS1_7vsmem_tEENKUlT_SL_SM_SN_E_clIS8_S8_S9_S9_EESK_S10_SL_SM_SN_EUlS10_E1_NS1_11comp_targetILNS1_3genE3ELNS1_11target_archE908ELNS1_3gpuE7ELNS1_3repE0EEENS1_36merge_oddeven_config_static_selectorELNS0_4arch9wavefront6targetE0EEEvSM_ ; -- Begin function _ZN7rocprim17ROCPRIM_400000_NS6detail17trampoline_kernelINS0_14default_configENS1_38merge_sort_block_merge_config_selectorIlNS0_10empty_typeEEEZZNS1_27merge_sort_block_merge_implIS3_PlPS5_mZN2at6native12_GLOBAL__N_124unique_dim_cuda_templateImEESt5tupleIJNSA_6TensorESF_SF_EERKSF_lbbbEUlllE_EE10hipError_tT0_T1_T2_jT3_P12ihipStream_tbPNSt15iterator_traitsISL_E10value_typeEPNSR_ISM_E10value_typeEPSN_NS1_7vsmem_tEENKUlT_SL_SM_SN_E_clIS8_S8_S9_S9_EESK_S10_SL_SM_SN_EUlS10_E1_NS1_11comp_targetILNS1_3genE3ELNS1_11target_archE908ELNS1_3gpuE7ELNS1_3repE0EEENS1_36merge_oddeven_config_static_selectorELNS0_4arch9wavefront6targetE0EEEvSM_
	.p2align	8
	.type	_ZN7rocprim17ROCPRIM_400000_NS6detail17trampoline_kernelINS0_14default_configENS1_38merge_sort_block_merge_config_selectorIlNS0_10empty_typeEEEZZNS1_27merge_sort_block_merge_implIS3_PlPS5_mZN2at6native12_GLOBAL__N_124unique_dim_cuda_templateImEESt5tupleIJNSA_6TensorESF_SF_EERKSF_lbbbEUlllE_EE10hipError_tT0_T1_T2_jT3_P12ihipStream_tbPNSt15iterator_traitsISL_E10value_typeEPNSR_ISM_E10value_typeEPSN_NS1_7vsmem_tEENKUlT_SL_SM_SN_E_clIS8_S8_S9_S9_EESK_S10_SL_SM_SN_EUlS10_E1_NS1_11comp_targetILNS1_3genE3ELNS1_11target_archE908ELNS1_3gpuE7ELNS1_3repE0EEENS1_36merge_oddeven_config_static_selectorELNS0_4arch9wavefront6targetE0EEEvSM_,@function
_ZN7rocprim17ROCPRIM_400000_NS6detail17trampoline_kernelINS0_14default_configENS1_38merge_sort_block_merge_config_selectorIlNS0_10empty_typeEEEZZNS1_27merge_sort_block_merge_implIS3_PlPS5_mZN2at6native12_GLOBAL__N_124unique_dim_cuda_templateImEESt5tupleIJNSA_6TensorESF_SF_EERKSF_lbbbEUlllE_EE10hipError_tT0_T1_T2_jT3_P12ihipStream_tbPNSt15iterator_traitsISL_E10value_typeEPNSR_ISM_E10value_typeEPSN_NS1_7vsmem_tEENKUlT_SL_SM_SN_E_clIS8_S8_S9_S9_EESK_S10_SL_SM_SN_EUlS10_E1_NS1_11comp_targetILNS1_3genE3ELNS1_11target_archE908ELNS1_3gpuE7ELNS1_3repE0EEENS1_36merge_oddeven_config_static_selectorELNS0_4arch9wavefront6targetE0EEEvSM_: ; @_ZN7rocprim17ROCPRIM_400000_NS6detail17trampoline_kernelINS0_14default_configENS1_38merge_sort_block_merge_config_selectorIlNS0_10empty_typeEEEZZNS1_27merge_sort_block_merge_implIS3_PlPS5_mZN2at6native12_GLOBAL__N_124unique_dim_cuda_templateImEESt5tupleIJNSA_6TensorESF_SF_EERKSF_lbbbEUlllE_EE10hipError_tT0_T1_T2_jT3_P12ihipStream_tbPNSt15iterator_traitsISL_E10value_typeEPNSR_ISM_E10value_typeEPSN_NS1_7vsmem_tEENKUlT_SL_SM_SN_E_clIS8_S8_S9_S9_EESK_S10_SL_SM_SN_EUlS10_E1_NS1_11comp_targetILNS1_3genE3ELNS1_11target_archE908ELNS1_3gpuE7ELNS1_3repE0EEENS1_36merge_oddeven_config_static_selectorELNS0_4arch9wavefront6targetE0EEEvSM_
; %bb.0:
	.section	.rodata,"a",@progbits
	.p2align	6, 0x0
	.amdhsa_kernel _ZN7rocprim17ROCPRIM_400000_NS6detail17trampoline_kernelINS0_14default_configENS1_38merge_sort_block_merge_config_selectorIlNS0_10empty_typeEEEZZNS1_27merge_sort_block_merge_implIS3_PlPS5_mZN2at6native12_GLOBAL__N_124unique_dim_cuda_templateImEESt5tupleIJNSA_6TensorESF_SF_EERKSF_lbbbEUlllE_EE10hipError_tT0_T1_T2_jT3_P12ihipStream_tbPNSt15iterator_traitsISL_E10value_typeEPNSR_ISM_E10value_typeEPSN_NS1_7vsmem_tEENKUlT_SL_SM_SN_E_clIS8_S8_S9_S9_EESK_S10_SL_SM_SN_EUlS10_E1_NS1_11comp_targetILNS1_3genE3ELNS1_11target_archE908ELNS1_3gpuE7ELNS1_3repE0EEENS1_36merge_oddeven_config_static_selectorELNS0_4arch9wavefront6targetE0EEEvSM_
		.amdhsa_group_segment_fixed_size 0
		.amdhsa_private_segment_fixed_size 0
		.amdhsa_kernarg_size 64
		.amdhsa_user_sgpr_count 2
		.amdhsa_user_sgpr_dispatch_ptr 0
		.amdhsa_user_sgpr_queue_ptr 0
		.amdhsa_user_sgpr_kernarg_segment_ptr 1
		.amdhsa_user_sgpr_dispatch_id 0
		.amdhsa_user_sgpr_kernarg_preload_length 0
		.amdhsa_user_sgpr_kernarg_preload_offset 0
		.amdhsa_user_sgpr_private_segment_size 0
		.amdhsa_wavefront_size32 1
		.amdhsa_uses_dynamic_stack 0
		.amdhsa_enable_private_segment 0
		.amdhsa_system_sgpr_workgroup_id_x 1
		.amdhsa_system_sgpr_workgroup_id_y 0
		.amdhsa_system_sgpr_workgroup_id_z 0
		.amdhsa_system_sgpr_workgroup_info 0
		.amdhsa_system_vgpr_workitem_id 0
		.amdhsa_next_free_vgpr 1
		.amdhsa_next_free_sgpr 1
		.amdhsa_named_barrier_count 0
		.amdhsa_reserve_vcc 0
		.amdhsa_float_round_mode_32 0
		.amdhsa_float_round_mode_16_64 0
		.amdhsa_float_denorm_mode_32 3
		.amdhsa_float_denorm_mode_16_64 3
		.amdhsa_fp16_overflow 0
		.amdhsa_memory_ordered 1
		.amdhsa_forward_progress 1
		.amdhsa_inst_pref_size 0
		.amdhsa_round_robin_scheduling 0
		.amdhsa_exception_fp_ieee_invalid_op 0
		.amdhsa_exception_fp_denorm_src 0
		.amdhsa_exception_fp_ieee_div_zero 0
		.amdhsa_exception_fp_ieee_overflow 0
		.amdhsa_exception_fp_ieee_underflow 0
		.amdhsa_exception_fp_ieee_inexact 0
		.amdhsa_exception_int_div_zero 0
	.end_amdhsa_kernel
	.section	.text._ZN7rocprim17ROCPRIM_400000_NS6detail17trampoline_kernelINS0_14default_configENS1_38merge_sort_block_merge_config_selectorIlNS0_10empty_typeEEEZZNS1_27merge_sort_block_merge_implIS3_PlPS5_mZN2at6native12_GLOBAL__N_124unique_dim_cuda_templateImEESt5tupleIJNSA_6TensorESF_SF_EERKSF_lbbbEUlllE_EE10hipError_tT0_T1_T2_jT3_P12ihipStream_tbPNSt15iterator_traitsISL_E10value_typeEPNSR_ISM_E10value_typeEPSN_NS1_7vsmem_tEENKUlT_SL_SM_SN_E_clIS8_S8_S9_S9_EESK_S10_SL_SM_SN_EUlS10_E1_NS1_11comp_targetILNS1_3genE3ELNS1_11target_archE908ELNS1_3gpuE7ELNS1_3repE0EEENS1_36merge_oddeven_config_static_selectorELNS0_4arch9wavefront6targetE0EEEvSM_,"axG",@progbits,_ZN7rocprim17ROCPRIM_400000_NS6detail17trampoline_kernelINS0_14default_configENS1_38merge_sort_block_merge_config_selectorIlNS0_10empty_typeEEEZZNS1_27merge_sort_block_merge_implIS3_PlPS5_mZN2at6native12_GLOBAL__N_124unique_dim_cuda_templateImEESt5tupleIJNSA_6TensorESF_SF_EERKSF_lbbbEUlllE_EE10hipError_tT0_T1_T2_jT3_P12ihipStream_tbPNSt15iterator_traitsISL_E10value_typeEPNSR_ISM_E10value_typeEPSN_NS1_7vsmem_tEENKUlT_SL_SM_SN_E_clIS8_S8_S9_S9_EESK_S10_SL_SM_SN_EUlS10_E1_NS1_11comp_targetILNS1_3genE3ELNS1_11target_archE908ELNS1_3gpuE7ELNS1_3repE0EEENS1_36merge_oddeven_config_static_selectorELNS0_4arch9wavefront6targetE0EEEvSM_,comdat
.Lfunc_end1634:
	.size	_ZN7rocprim17ROCPRIM_400000_NS6detail17trampoline_kernelINS0_14default_configENS1_38merge_sort_block_merge_config_selectorIlNS0_10empty_typeEEEZZNS1_27merge_sort_block_merge_implIS3_PlPS5_mZN2at6native12_GLOBAL__N_124unique_dim_cuda_templateImEESt5tupleIJNSA_6TensorESF_SF_EERKSF_lbbbEUlllE_EE10hipError_tT0_T1_T2_jT3_P12ihipStream_tbPNSt15iterator_traitsISL_E10value_typeEPNSR_ISM_E10value_typeEPSN_NS1_7vsmem_tEENKUlT_SL_SM_SN_E_clIS8_S8_S9_S9_EESK_S10_SL_SM_SN_EUlS10_E1_NS1_11comp_targetILNS1_3genE3ELNS1_11target_archE908ELNS1_3gpuE7ELNS1_3repE0EEENS1_36merge_oddeven_config_static_selectorELNS0_4arch9wavefront6targetE0EEEvSM_, .Lfunc_end1634-_ZN7rocprim17ROCPRIM_400000_NS6detail17trampoline_kernelINS0_14default_configENS1_38merge_sort_block_merge_config_selectorIlNS0_10empty_typeEEEZZNS1_27merge_sort_block_merge_implIS3_PlPS5_mZN2at6native12_GLOBAL__N_124unique_dim_cuda_templateImEESt5tupleIJNSA_6TensorESF_SF_EERKSF_lbbbEUlllE_EE10hipError_tT0_T1_T2_jT3_P12ihipStream_tbPNSt15iterator_traitsISL_E10value_typeEPNSR_ISM_E10value_typeEPSN_NS1_7vsmem_tEENKUlT_SL_SM_SN_E_clIS8_S8_S9_S9_EESK_S10_SL_SM_SN_EUlS10_E1_NS1_11comp_targetILNS1_3genE3ELNS1_11target_archE908ELNS1_3gpuE7ELNS1_3repE0EEENS1_36merge_oddeven_config_static_selectorELNS0_4arch9wavefront6targetE0EEEvSM_
                                        ; -- End function
	.set _ZN7rocprim17ROCPRIM_400000_NS6detail17trampoline_kernelINS0_14default_configENS1_38merge_sort_block_merge_config_selectorIlNS0_10empty_typeEEEZZNS1_27merge_sort_block_merge_implIS3_PlPS5_mZN2at6native12_GLOBAL__N_124unique_dim_cuda_templateImEESt5tupleIJNSA_6TensorESF_SF_EERKSF_lbbbEUlllE_EE10hipError_tT0_T1_T2_jT3_P12ihipStream_tbPNSt15iterator_traitsISL_E10value_typeEPNSR_ISM_E10value_typeEPSN_NS1_7vsmem_tEENKUlT_SL_SM_SN_E_clIS8_S8_S9_S9_EESK_S10_SL_SM_SN_EUlS10_E1_NS1_11comp_targetILNS1_3genE3ELNS1_11target_archE908ELNS1_3gpuE7ELNS1_3repE0EEENS1_36merge_oddeven_config_static_selectorELNS0_4arch9wavefront6targetE0EEEvSM_.num_vgpr, 0
	.set _ZN7rocprim17ROCPRIM_400000_NS6detail17trampoline_kernelINS0_14default_configENS1_38merge_sort_block_merge_config_selectorIlNS0_10empty_typeEEEZZNS1_27merge_sort_block_merge_implIS3_PlPS5_mZN2at6native12_GLOBAL__N_124unique_dim_cuda_templateImEESt5tupleIJNSA_6TensorESF_SF_EERKSF_lbbbEUlllE_EE10hipError_tT0_T1_T2_jT3_P12ihipStream_tbPNSt15iterator_traitsISL_E10value_typeEPNSR_ISM_E10value_typeEPSN_NS1_7vsmem_tEENKUlT_SL_SM_SN_E_clIS8_S8_S9_S9_EESK_S10_SL_SM_SN_EUlS10_E1_NS1_11comp_targetILNS1_3genE3ELNS1_11target_archE908ELNS1_3gpuE7ELNS1_3repE0EEENS1_36merge_oddeven_config_static_selectorELNS0_4arch9wavefront6targetE0EEEvSM_.num_agpr, 0
	.set _ZN7rocprim17ROCPRIM_400000_NS6detail17trampoline_kernelINS0_14default_configENS1_38merge_sort_block_merge_config_selectorIlNS0_10empty_typeEEEZZNS1_27merge_sort_block_merge_implIS3_PlPS5_mZN2at6native12_GLOBAL__N_124unique_dim_cuda_templateImEESt5tupleIJNSA_6TensorESF_SF_EERKSF_lbbbEUlllE_EE10hipError_tT0_T1_T2_jT3_P12ihipStream_tbPNSt15iterator_traitsISL_E10value_typeEPNSR_ISM_E10value_typeEPSN_NS1_7vsmem_tEENKUlT_SL_SM_SN_E_clIS8_S8_S9_S9_EESK_S10_SL_SM_SN_EUlS10_E1_NS1_11comp_targetILNS1_3genE3ELNS1_11target_archE908ELNS1_3gpuE7ELNS1_3repE0EEENS1_36merge_oddeven_config_static_selectorELNS0_4arch9wavefront6targetE0EEEvSM_.numbered_sgpr, 0
	.set _ZN7rocprim17ROCPRIM_400000_NS6detail17trampoline_kernelINS0_14default_configENS1_38merge_sort_block_merge_config_selectorIlNS0_10empty_typeEEEZZNS1_27merge_sort_block_merge_implIS3_PlPS5_mZN2at6native12_GLOBAL__N_124unique_dim_cuda_templateImEESt5tupleIJNSA_6TensorESF_SF_EERKSF_lbbbEUlllE_EE10hipError_tT0_T1_T2_jT3_P12ihipStream_tbPNSt15iterator_traitsISL_E10value_typeEPNSR_ISM_E10value_typeEPSN_NS1_7vsmem_tEENKUlT_SL_SM_SN_E_clIS8_S8_S9_S9_EESK_S10_SL_SM_SN_EUlS10_E1_NS1_11comp_targetILNS1_3genE3ELNS1_11target_archE908ELNS1_3gpuE7ELNS1_3repE0EEENS1_36merge_oddeven_config_static_selectorELNS0_4arch9wavefront6targetE0EEEvSM_.num_named_barrier, 0
	.set _ZN7rocprim17ROCPRIM_400000_NS6detail17trampoline_kernelINS0_14default_configENS1_38merge_sort_block_merge_config_selectorIlNS0_10empty_typeEEEZZNS1_27merge_sort_block_merge_implIS3_PlPS5_mZN2at6native12_GLOBAL__N_124unique_dim_cuda_templateImEESt5tupleIJNSA_6TensorESF_SF_EERKSF_lbbbEUlllE_EE10hipError_tT0_T1_T2_jT3_P12ihipStream_tbPNSt15iterator_traitsISL_E10value_typeEPNSR_ISM_E10value_typeEPSN_NS1_7vsmem_tEENKUlT_SL_SM_SN_E_clIS8_S8_S9_S9_EESK_S10_SL_SM_SN_EUlS10_E1_NS1_11comp_targetILNS1_3genE3ELNS1_11target_archE908ELNS1_3gpuE7ELNS1_3repE0EEENS1_36merge_oddeven_config_static_selectorELNS0_4arch9wavefront6targetE0EEEvSM_.private_seg_size, 0
	.set _ZN7rocprim17ROCPRIM_400000_NS6detail17trampoline_kernelINS0_14default_configENS1_38merge_sort_block_merge_config_selectorIlNS0_10empty_typeEEEZZNS1_27merge_sort_block_merge_implIS3_PlPS5_mZN2at6native12_GLOBAL__N_124unique_dim_cuda_templateImEESt5tupleIJNSA_6TensorESF_SF_EERKSF_lbbbEUlllE_EE10hipError_tT0_T1_T2_jT3_P12ihipStream_tbPNSt15iterator_traitsISL_E10value_typeEPNSR_ISM_E10value_typeEPSN_NS1_7vsmem_tEENKUlT_SL_SM_SN_E_clIS8_S8_S9_S9_EESK_S10_SL_SM_SN_EUlS10_E1_NS1_11comp_targetILNS1_3genE3ELNS1_11target_archE908ELNS1_3gpuE7ELNS1_3repE0EEENS1_36merge_oddeven_config_static_selectorELNS0_4arch9wavefront6targetE0EEEvSM_.uses_vcc, 0
	.set _ZN7rocprim17ROCPRIM_400000_NS6detail17trampoline_kernelINS0_14default_configENS1_38merge_sort_block_merge_config_selectorIlNS0_10empty_typeEEEZZNS1_27merge_sort_block_merge_implIS3_PlPS5_mZN2at6native12_GLOBAL__N_124unique_dim_cuda_templateImEESt5tupleIJNSA_6TensorESF_SF_EERKSF_lbbbEUlllE_EE10hipError_tT0_T1_T2_jT3_P12ihipStream_tbPNSt15iterator_traitsISL_E10value_typeEPNSR_ISM_E10value_typeEPSN_NS1_7vsmem_tEENKUlT_SL_SM_SN_E_clIS8_S8_S9_S9_EESK_S10_SL_SM_SN_EUlS10_E1_NS1_11comp_targetILNS1_3genE3ELNS1_11target_archE908ELNS1_3gpuE7ELNS1_3repE0EEENS1_36merge_oddeven_config_static_selectorELNS0_4arch9wavefront6targetE0EEEvSM_.uses_flat_scratch, 0
	.set _ZN7rocprim17ROCPRIM_400000_NS6detail17trampoline_kernelINS0_14default_configENS1_38merge_sort_block_merge_config_selectorIlNS0_10empty_typeEEEZZNS1_27merge_sort_block_merge_implIS3_PlPS5_mZN2at6native12_GLOBAL__N_124unique_dim_cuda_templateImEESt5tupleIJNSA_6TensorESF_SF_EERKSF_lbbbEUlllE_EE10hipError_tT0_T1_T2_jT3_P12ihipStream_tbPNSt15iterator_traitsISL_E10value_typeEPNSR_ISM_E10value_typeEPSN_NS1_7vsmem_tEENKUlT_SL_SM_SN_E_clIS8_S8_S9_S9_EESK_S10_SL_SM_SN_EUlS10_E1_NS1_11comp_targetILNS1_3genE3ELNS1_11target_archE908ELNS1_3gpuE7ELNS1_3repE0EEENS1_36merge_oddeven_config_static_selectorELNS0_4arch9wavefront6targetE0EEEvSM_.has_dyn_sized_stack, 0
	.set _ZN7rocprim17ROCPRIM_400000_NS6detail17trampoline_kernelINS0_14default_configENS1_38merge_sort_block_merge_config_selectorIlNS0_10empty_typeEEEZZNS1_27merge_sort_block_merge_implIS3_PlPS5_mZN2at6native12_GLOBAL__N_124unique_dim_cuda_templateImEESt5tupleIJNSA_6TensorESF_SF_EERKSF_lbbbEUlllE_EE10hipError_tT0_T1_T2_jT3_P12ihipStream_tbPNSt15iterator_traitsISL_E10value_typeEPNSR_ISM_E10value_typeEPSN_NS1_7vsmem_tEENKUlT_SL_SM_SN_E_clIS8_S8_S9_S9_EESK_S10_SL_SM_SN_EUlS10_E1_NS1_11comp_targetILNS1_3genE3ELNS1_11target_archE908ELNS1_3gpuE7ELNS1_3repE0EEENS1_36merge_oddeven_config_static_selectorELNS0_4arch9wavefront6targetE0EEEvSM_.has_recursion, 0
	.set _ZN7rocprim17ROCPRIM_400000_NS6detail17trampoline_kernelINS0_14default_configENS1_38merge_sort_block_merge_config_selectorIlNS0_10empty_typeEEEZZNS1_27merge_sort_block_merge_implIS3_PlPS5_mZN2at6native12_GLOBAL__N_124unique_dim_cuda_templateImEESt5tupleIJNSA_6TensorESF_SF_EERKSF_lbbbEUlllE_EE10hipError_tT0_T1_T2_jT3_P12ihipStream_tbPNSt15iterator_traitsISL_E10value_typeEPNSR_ISM_E10value_typeEPSN_NS1_7vsmem_tEENKUlT_SL_SM_SN_E_clIS8_S8_S9_S9_EESK_S10_SL_SM_SN_EUlS10_E1_NS1_11comp_targetILNS1_3genE3ELNS1_11target_archE908ELNS1_3gpuE7ELNS1_3repE0EEENS1_36merge_oddeven_config_static_selectorELNS0_4arch9wavefront6targetE0EEEvSM_.has_indirect_call, 0
	.section	.AMDGPU.csdata,"",@progbits
; Kernel info:
; codeLenInByte = 0
; TotalNumSgprs: 0
; NumVgprs: 0
; ScratchSize: 0
; MemoryBound: 0
; FloatMode: 240
; IeeeMode: 1
; LDSByteSize: 0 bytes/workgroup (compile time only)
; SGPRBlocks: 0
; VGPRBlocks: 0
; NumSGPRsForWavesPerEU: 1
; NumVGPRsForWavesPerEU: 1
; NamedBarCnt: 0
; Occupancy: 16
; WaveLimiterHint : 0
; COMPUTE_PGM_RSRC2:SCRATCH_EN: 0
; COMPUTE_PGM_RSRC2:USER_SGPR: 2
; COMPUTE_PGM_RSRC2:TRAP_HANDLER: 0
; COMPUTE_PGM_RSRC2:TGID_X_EN: 1
; COMPUTE_PGM_RSRC2:TGID_Y_EN: 0
; COMPUTE_PGM_RSRC2:TGID_Z_EN: 0
; COMPUTE_PGM_RSRC2:TIDIG_COMP_CNT: 0
	.section	.text._ZN7rocprim17ROCPRIM_400000_NS6detail17trampoline_kernelINS0_14default_configENS1_38merge_sort_block_merge_config_selectorIlNS0_10empty_typeEEEZZNS1_27merge_sort_block_merge_implIS3_PlPS5_mZN2at6native12_GLOBAL__N_124unique_dim_cuda_templateImEESt5tupleIJNSA_6TensorESF_SF_EERKSF_lbbbEUlllE_EE10hipError_tT0_T1_T2_jT3_P12ihipStream_tbPNSt15iterator_traitsISL_E10value_typeEPNSR_ISM_E10value_typeEPSN_NS1_7vsmem_tEENKUlT_SL_SM_SN_E_clIS8_S8_S9_S9_EESK_S10_SL_SM_SN_EUlS10_E1_NS1_11comp_targetILNS1_3genE2ELNS1_11target_archE906ELNS1_3gpuE6ELNS1_3repE0EEENS1_36merge_oddeven_config_static_selectorELNS0_4arch9wavefront6targetE0EEEvSM_,"axG",@progbits,_ZN7rocprim17ROCPRIM_400000_NS6detail17trampoline_kernelINS0_14default_configENS1_38merge_sort_block_merge_config_selectorIlNS0_10empty_typeEEEZZNS1_27merge_sort_block_merge_implIS3_PlPS5_mZN2at6native12_GLOBAL__N_124unique_dim_cuda_templateImEESt5tupleIJNSA_6TensorESF_SF_EERKSF_lbbbEUlllE_EE10hipError_tT0_T1_T2_jT3_P12ihipStream_tbPNSt15iterator_traitsISL_E10value_typeEPNSR_ISM_E10value_typeEPSN_NS1_7vsmem_tEENKUlT_SL_SM_SN_E_clIS8_S8_S9_S9_EESK_S10_SL_SM_SN_EUlS10_E1_NS1_11comp_targetILNS1_3genE2ELNS1_11target_archE906ELNS1_3gpuE6ELNS1_3repE0EEENS1_36merge_oddeven_config_static_selectorELNS0_4arch9wavefront6targetE0EEEvSM_,comdat
	.globl	_ZN7rocprim17ROCPRIM_400000_NS6detail17trampoline_kernelINS0_14default_configENS1_38merge_sort_block_merge_config_selectorIlNS0_10empty_typeEEEZZNS1_27merge_sort_block_merge_implIS3_PlPS5_mZN2at6native12_GLOBAL__N_124unique_dim_cuda_templateImEESt5tupleIJNSA_6TensorESF_SF_EERKSF_lbbbEUlllE_EE10hipError_tT0_T1_T2_jT3_P12ihipStream_tbPNSt15iterator_traitsISL_E10value_typeEPNSR_ISM_E10value_typeEPSN_NS1_7vsmem_tEENKUlT_SL_SM_SN_E_clIS8_S8_S9_S9_EESK_S10_SL_SM_SN_EUlS10_E1_NS1_11comp_targetILNS1_3genE2ELNS1_11target_archE906ELNS1_3gpuE6ELNS1_3repE0EEENS1_36merge_oddeven_config_static_selectorELNS0_4arch9wavefront6targetE0EEEvSM_ ; -- Begin function _ZN7rocprim17ROCPRIM_400000_NS6detail17trampoline_kernelINS0_14default_configENS1_38merge_sort_block_merge_config_selectorIlNS0_10empty_typeEEEZZNS1_27merge_sort_block_merge_implIS3_PlPS5_mZN2at6native12_GLOBAL__N_124unique_dim_cuda_templateImEESt5tupleIJNSA_6TensorESF_SF_EERKSF_lbbbEUlllE_EE10hipError_tT0_T1_T2_jT3_P12ihipStream_tbPNSt15iterator_traitsISL_E10value_typeEPNSR_ISM_E10value_typeEPSN_NS1_7vsmem_tEENKUlT_SL_SM_SN_E_clIS8_S8_S9_S9_EESK_S10_SL_SM_SN_EUlS10_E1_NS1_11comp_targetILNS1_3genE2ELNS1_11target_archE906ELNS1_3gpuE6ELNS1_3repE0EEENS1_36merge_oddeven_config_static_selectorELNS0_4arch9wavefront6targetE0EEEvSM_
	.p2align	8
	.type	_ZN7rocprim17ROCPRIM_400000_NS6detail17trampoline_kernelINS0_14default_configENS1_38merge_sort_block_merge_config_selectorIlNS0_10empty_typeEEEZZNS1_27merge_sort_block_merge_implIS3_PlPS5_mZN2at6native12_GLOBAL__N_124unique_dim_cuda_templateImEESt5tupleIJNSA_6TensorESF_SF_EERKSF_lbbbEUlllE_EE10hipError_tT0_T1_T2_jT3_P12ihipStream_tbPNSt15iterator_traitsISL_E10value_typeEPNSR_ISM_E10value_typeEPSN_NS1_7vsmem_tEENKUlT_SL_SM_SN_E_clIS8_S8_S9_S9_EESK_S10_SL_SM_SN_EUlS10_E1_NS1_11comp_targetILNS1_3genE2ELNS1_11target_archE906ELNS1_3gpuE6ELNS1_3repE0EEENS1_36merge_oddeven_config_static_selectorELNS0_4arch9wavefront6targetE0EEEvSM_,@function
_ZN7rocprim17ROCPRIM_400000_NS6detail17trampoline_kernelINS0_14default_configENS1_38merge_sort_block_merge_config_selectorIlNS0_10empty_typeEEEZZNS1_27merge_sort_block_merge_implIS3_PlPS5_mZN2at6native12_GLOBAL__N_124unique_dim_cuda_templateImEESt5tupleIJNSA_6TensorESF_SF_EERKSF_lbbbEUlllE_EE10hipError_tT0_T1_T2_jT3_P12ihipStream_tbPNSt15iterator_traitsISL_E10value_typeEPNSR_ISM_E10value_typeEPSN_NS1_7vsmem_tEENKUlT_SL_SM_SN_E_clIS8_S8_S9_S9_EESK_S10_SL_SM_SN_EUlS10_E1_NS1_11comp_targetILNS1_3genE2ELNS1_11target_archE906ELNS1_3gpuE6ELNS1_3repE0EEENS1_36merge_oddeven_config_static_selectorELNS0_4arch9wavefront6targetE0EEEvSM_: ; @_ZN7rocprim17ROCPRIM_400000_NS6detail17trampoline_kernelINS0_14default_configENS1_38merge_sort_block_merge_config_selectorIlNS0_10empty_typeEEEZZNS1_27merge_sort_block_merge_implIS3_PlPS5_mZN2at6native12_GLOBAL__N_124unique_dim_cuda_templateImEESt5tupleIJNSA_6TensorESF_SF_EERKSF_lbbbEUlllE_EE10hipError_tT0_T1_T2_jT3_P12ihipStream_tbPNSt15iterator_traitsISL_E10value_typeEPNSR_ISM_E10value_typeEPSN_NS1_7vsmem_tEENKUlT_SL_SM_SN_E_clIS8_S8_S9_S9_EESK_S10_SL_SM_SN_EUlS10_E1_NS1_11comp_targetILNS1_3genE2ELNS1_11target_archE906ELNS1_3gpuE6ELNS1_3repE0EEENS1_36merge_oddeven_config_static_selectorELNS0_4arch9wavefront6targetE0EEEvSM_
; %bb.0:
	.section	.rodata,"a",@progbits
	.p2align	6, 0x0
	.amdhsa_kernel _ZN7rocprim17ROCPRIM_400000_NS6detail17trampoline_kernelINS0_14default_configENS1_38merge_sort_block_merge_config_selectorIlNS0_10empty_typeEEEZZNS1_27merge_sort_block_merge_implIS3_PlPS5_mZN2at6native12_GLOBAL__N_124unique_dim_cuda_templateImEESt5tupleIJNSA_6TensorESF_SF_EERKSF_lbbbEUlllE_EE10hipError_tT0_T1_T2_jT3_P12ihipStream_tbPNSt15iterator_traitsISL_E10value_typeEPNSR_ISM_E10value_typeEPSN_NS1_7vsmem_tEENKUlT_SL_SM_SN_E_clIS8_S8_S9_S9_EESK_S10_SL_SM_SN_EUlS10_E1_NS1_11comp_targetILNS1_3genE2ELNS1_11target_archE906ELNS1_3gpuE6ELNS1_3repE0EEENS1_36merge_oddeven_config_static_selectorELNS0_4arch9wavefront6targetE0EEEvSM_
		.amdhsa_group_segment_fixed_size 0
		.amdhsa_private_segment_fixed_size 0
		.amdhsa_kernarg_size 64
		.amdhsa_user_sgpr_count 2
		.amdhsa_user_sgpr_dispatch_ptr 0
		.amdhsa_user_sgpr_queue_ptr 0
		.amdhsa_user_sgpr_kernarg_segment_ptr 1
		.amdhsa_user_sgpr_dispatch_id 0
		.amdhsa_user_sgpr_kernarg_preload_length 0
		.amdhsa_user_sgpr_kernarg_preload_offset 0
		.amdhsa_user_sgpr_private_segment_size 0
		.amdhsa_wavefront_size32 1
		.amdhsa_uses_dynamic_stack 0
		.amdhsa_enable_private_segment 0
		.amdhsa_system_sgpr_workgroup_id_x 1
		.amdhsa_system_sgpr_workgroup_id_y 0
		.amdhsa_system_sgpr_workgroup_id_z 0
		.amdhsa_system_sgpr_workgroup_info 0
		.amdhsa_system_vgpr_workitem_id 0
		.amdhsa_next_free_vgpr 1
		.amdhsa_next_free_sgpr 1
		.amdhsa_named_barrier_count 0
		.amdhsa_reserve_vcc 0
		.amdhsa_float_round_mode_32 0
		.amdhsa_float_round_mode_16_64 0
		.amdhsa_float_denorm_mode_32 3
		.amdhsa_float_denorm_mode_16_64 3
		.amdhsa_fp16_overflow 0
		.amdhsa_memory_ordered 1
		.amdhsa_forward_progress 1
		.amdhsa_inst_pref_size 0
		.amdhsa_round_robin_scheduling 0
		.amdhsa_exception_fp_ieee_invalid_op 0
		.amdhsa_exception_fp_denorm_src 0
		.amdhsa_exception_fp_ieee_div_zero 0
		.amdhsa_exception_fp_ieee_overflow 0
		.amdhsa_exception_fp_ieee_underflow 0
		.amdhsa_exception_fp_ieee_inexact 0
		.amdhsa_exception_int_div_zero 0
	.end_amdhsa_kernel
	.section	.text._ZN7rocprim17ROCPRIM_400000_NS6detail17trampoline_kernelINS0_14default_configENS1_38merge_sort_block_merge_config_selectorIlNS0_10empty_typeEEEZZNS1_27merge_sort_block_merge_implIS3_PlPS5_mZN2at6native12_GLOBAL__N_124unique_dim_cuda_templateImEESt5tupleIJNSA_6TensorESF_SF_EERKSF_lbbbEUlllE_EE10hipError_tT0_T1_T2_jT3_P12ihipStream_tbPNSt15iterator_traitsISL_E10value_typeEPNSR_ISM_E10value_typeEPSN_NS1_7vsmem_tEENKUlT_SL_SM_SN_E_clIS8_S8_S9_S9_EESK_S10_SL_SM_SN_EUlS10_E1_NS1_11comp_targetILNS1_3genE2ELNS1_11target_archE906ELNS1_3gpuE6ELNS1_3repE0EEENS1_36merge_oddeven_config_static_selectorELNS0_4arch9wavefront6targetE0EEEvSM_,"axG",@progbits,_ZN7rocprim17ROCPRIM_400000_NS6detail17trampoline_kernelINS0_14default_configENS1_38merge_sort_block_merge_config_selectorIlNS0_10empty_typeEEEZZNS1_27merge_sort_block_merge_implIS3_PlPS5_mZN2at6native12_GLOBAL__N_124unique_dim_cuda_templateImEESt5tupleIJNSA_6TensorESF_SF_EERKSF_lbbbEUlllE_EE10hipError_tT0_T1_T2_jT3_P12ihipStream_tbPNSt15iterator_traitsISL_E10value_typeEPNSR_ISM_E10value_typeEPSN_NS1_7vsmem_tEENKUlT_SL_SM_SN_E_clIS8_S8_S9_S9_EESK_S10_SL_SM_SN_EUlS10_E1_NS1_11comp_targetILNS1_3genE2ELNS1_11target_archE906ELNS1_3gpuE6ELNS1_3repE0EEENS1_36merge_oddeven_config_static_selectorELNS0_4arch9wavefront6targetE0EEEvSM_,comdat
.Lfunc_end1635:
	.size	_ZN7rocprim17ROCPRIM_400000_NS6detail17trampoline_kernelINS0_14default_configENS1_38merge_sort_block_merge_config_selectorIlNS0_10empty_typeEEEZZNS1_27merge_sort_block_merge_implIS3_PlPS5_mZN2at6native12_GLOBAL__N_124unique_dim_cuda_templateImEESt5tupleIJNSA_6TensorESF_SF_EERKSF_lbbbEUlllE_EE10hipError_tT0_T1_T2_jT3_P12ihipStream_tbPNSt15iterator_traitsISL_E10value_typeEPNSR_ISM_E10value_typeEPSN_NS1_7vsmem_tEENKUlT_SL_SM_SN_E_clIS8_S8_S9_S9_EESK_S10_SL_SM_SN_EUlS10_E1_NS1_11comp_targetILNS1_3genE2ELNS1_11target_archE906ELNS1_3gpuE6ELNS1_3repE0EEENS1_36merge_oddeven_config_static_selectorELNS0_4arch9wavefront6targetE0EEEvSM_, .Lfunc_end1635-_ZN7rocprim17ROCPRIM_400000_NS6detail17trampoline_kernelINS0_14default_configENS1_38merge_sort_block_merge_config_selectorIlNS0_10empty_typeEEEZZNS1_27merge_sort_block_merge_implIS3_PlPS5_mZN2at6native12_GLOBAL__N_124unique_dim_cuda_templateImEESt5tupleIJNSA_6TensorESF_SF_EERKSF_lbbbEUlllE_EE10hipError_tT0_T1_T2_jT3_P12ihipStream_tbPNSt15iterator_traitsISL_E10value_typeEPNSR_ISM_E10value_typeEPSN_NS1_7vsmem_tEENKUlT_SL_SM_SN_E_clIS8_S8_S9_S9_EESK_S10_SL_SM_SN_EUlS10_E1_NS1_11comp_targetILNS1_3genE2ELNS1_11target_archE906ELNS1_3gpuE6ELNS1_3repE0EEENS1_36merge_oddeven_config_static_selectorELNS0_4arch9wavefront6targetE0EEEvSM_
                                        ; -- End function
	.set _ZN7rocprim17ROCPRIM_400000_NS6detail17trampoline_kernelINS0_14default_configENS1_38merge_sort_block_merge_config_selectorIlNS0_10empty_typeEEEZZNS1_27merge_sort_block_merge_implIS3_PlPS5_mZN2at6native12_GLOBAL__N_124unique_dim_cuda_templateImEESt5tupleIJNSA_6TensorESF_SF_EERKSF_lbbbEUlllE_EE10hipError_tT0_T1_T2_jT3_P12ihipStream_tbPNSt15iterator_traitsISL_E10value_typeEPNSR_ISM_E10value_typeEPSN_NS1_7vsmem_tEENKUlT_SL_SM_SN_E_clIS8_S8_S9_S9_EESK_S10_SL_SM_SN_EUlS10_E1_NS1_11comp_targetILNS1_3genE2ELNS1_11target_archE906ELNS1_3gpuE6ELNS1_3repE0EEENS1_36merge_oddeven_config_static_selectorELNS0_4arch9wavefront6targetE0EEEvSM_.num_vgpr, 0
	.set _ZN7rocprim17ROCPRIM_400000_NS6detail17trampoline_kernelINS0_14default_configENS1_38merge_sort_block_merge_config_selectorIlNS0_10empty_typeEEEZZNS1_27merge_sort_block_merge_implIS3_PlPS5_mZN2at6native12_GLOBAL__N_124unique_dim_cuda_templateImEESt5tupleIJNSA_6TensorESF_SF_EERKSF_lbbbEUlllE_EE10hipError_tT0_T1_T2_jT3_P12ihipStream_tbPNSt15iterator_traitsISL_E10value_typeEPNSR_ISM_E10value_typeEPSN_NS1_7vsmem_tEENKUlT_SL_SM_SN_E_clIS8_S8_S9_S9_EESK_S10_SL_SM_SN_EUlS10_E1_NS1_11comp_targetILNS1_3genE2ELNS1_11target_archE906ELNS1_3gpuE6ELNS1_3repE0EEENS1_36merge_oddeven_config_static_selectorELNS0_4arch9wavefront6targetE0EEEvSM_.num_agpr, 0
	.set _ZN7rocprim17ROCPRIM_400000_NS6detail17trampoline_kernelINS0_14default_configENS1_38merge_sort_block_merge_config_selectorIlNS0_10empty_typeEEEZZNS1_27merge_sort_block_merge_implIS3_PlPS5_mZN2at6native12_GLOBAL__N_124unique_dim_cuda_templateImEESt5tupleIJNSA_6TensorESF_SF_EERKSF_lbbbEUlllE_EE10hipError_tT0_T1_T2_jT3_P12ihipStream_tbPNSt15iterator_traitsISL_E10value_typeEPNSR_ISM_E10value_typeEPSN_NS1_7vsmem_tEENKUlT_SL_SM_SN_E_clIS8_S8_S9_S9_EESK_S10_SL_SM_SN_EUlS10_E1_NS1_11comp_targetILNS1_3genE2ELNS1_11target_archE906ELNS1_3gpuE6ELNS1_3repE0EEENS1_36merge_oddeven_config_static_selectorELNS0_4arch9wavefront6targetE0EEEvSM_.numbered_sgpr, 0
	.set _ZN7rocprim17ROCPRIM_400000_NS6detail17trampoline_kernelINS0_14default_configENS1_38merge_sort_block_merge_config_selectorIlNS0_10empty_typeEEEZZNS1_27merge_sort_block_merge_implIS3_PlPS5_mZN2at6native12_GLOBAL__N_124unique_dim_cuda_templateImEESt5tupleIJNSA_6TensorESF_SF_EERKSF_lbbbEUlllE_EE10hipError_tT0_T1_T2_jT3_P12ihipStream_tbPNSt15iterator_traitsISL_E10value_typeEPNSR_ISM_E10value_typeEPSN_NS1_7vsmem_tEENKUlT_SL_SM_SN_E_clIS8_S8_S9_S9_EESK_S10_SL_SM_SN_EUlS10_E1_NS1_11comp_targetILNS1_3genE2ELNS1_11target_archE906ELNS1_3gpuE6ELNS1_3repE0EEENS1_36merge_oddeven_config_static_selectorELNS0_4arch9wavefront6targetE0EEEvSM_.num_named_barrier, 0
	.set _ZN7rocprim17ROCPRIM_400000_NS6detail17trampoline_kernelINS0_14default_configENS1_38merge_sort_block_merge_config_selectorIlNS0_10empty_typeEEEZZNS1_27merge_sort_block_merge_implIS3_PlPS5_mZN2at6native12_GLOBAL__N_124unique_dim_cuda_templateImEESt5tupleIJNSA_6TensorESF_SF_EERKSF_lbbbEUlllE_EE10hipError_tT0_T1_T2_jT3_P12ihipStream_tbPNSt15iterator_traitsISL_E10value_typeEPNSR_ISM_E10value_typeEPSN_NS1_7vsmem_tEENKUlT_SL_SM_SN_E_clIS8_S8_S9_S9_EESK_S10_SL_SM_SN_EUlS10_E1_NS1_11comp_targetILNS1_3genE2ELNS1_11target_archE906ELNS1_3gpuE6ELNS1_3repE0EEENS1_36merge_oddeven_config_static_selectorELNS0_4arch9wavefront6targetE0EEEvSM_.private_seg_size, 0
	.set _ZN7rocprim17ROCPRIM_400000_NS6detail17trampoline_kernelINS0_14default_configENS1_38merge_sort_block_merge_config_selectorIlNS0_10empty_typeEEEZZNS1_27merge_sort_block_merge_implIS3_PlPS5_mZN2at6native12_GLOBAL__N_124unique_dim_cuda_templateImEESt5tupleIJNSA_6TensorESF_SF_EERKSF_lbbbEUlllE_EE10hipError_tT0_T1_T2_jT3_P12ihipStream_tbPNSt15iterator_traitsISL_E10value_typeEPNSR_ISM_E10value_typeEPSN_NS1_7vsmem_tEENKUlT_SL_SM_SN_E_clIS8_S8_S9_S9_EESK_S10_SL_SM_SN_EUlS10_E1_NS1_11comp_targetILNS1_3genE2ELNS1_11target_archE906ELNS1_3gpuE6ELNS1_3repE0EEENS1_36merge_oddeven_config_static_selectorELNS0_4arch9wavefront6targetE0EEEvSM_.uses_vcc, 0
	.set _ZN7rocprim17ROCPRIM_400000_NS6detail17trampoline_kernelINS0_14default_configENS1_38merge_sort_block_merge_config_selectorIlNS0_10empty_typeEEEZZNS1_27merge_sort_block_merge_implIS3_PlPS5_mZN2at6native12_GLOBAL__N_124unique_dim_cuda_templateImEESt5tupleIJNSA_6TensorESF_SF_EERKSF_lbbbEUlllE_EE10hipError_tT0_T1_T2_jT3_P12ihipStream_tbPNSt15iterator_traitsISL_E10value_typeEPNSR_ISM_E10value_typeEPSN_NS1_7vsmem_tEENKUlT_SL_SM_SN_E_clIS8_S8_S9_S9_EESK_S10_SL_SM_SN_EUlS10_E1_NS1_11comp_targetILNS1_3genE2ELNS1_11target_archE906ELNS1_3gpuE6ELNS1_3repE0EEENS1_36merge_oddeven_config_static_selectorELNS0_4arch9wavefront6targetE0EEEvSM_.uses_flat_scratch, 0
	.set _ZN7rocprim17ROCPRIM_400000_NS6detail17trampoline_kernelINS0_14default_configENS1_38merge_sort_block_merge_config_selectorIlNS0_10empty_typeEEEZZNS1_27merge_sort_block_merge_implIS3_PlPS5_mZN2at6native12_GLOBAL__N_124unique_dim_cuda_templateImEESt5tupleIJNSA_6TensorESF_SF_EERKSF_lbbbEUlllE_EE10hipError_tT0_T1_T2_jT3_P12ihipStream_tbPNSt15iterator_traitsISL_E10value_typeEPNSR_ISM_E10value_typeEPSN_NS1_7vsmem_tEENKUlT_SL_SM_SN_E_clIS8_S8_S9_S9_EESK_S10_SL_SM_SN_EUlS10_E1_NS1_11comp_targetILNS1_3genE2ELNS1_11target_archE906ELNS1_3gpuE6ELNS1_3repE0EEENS1_36merge_oddeven_config_static_selectorELNS0_4arch9wavefront6targetE0EEEvSM_.has_dyn_sized_stack, 0
	.set _ZN7rocprim17ROCPRIM_400000_NS6detail17trampoline_kernelINS0_14default_configENS1_38merge_sort_block_merge_config_selectorIlNS0_10empty_typeEEEZZNS1_27merge_sort_block_merge_implIS3_PlPS5_mZN2at6native12_GLOBAL__N_124unique_dim_cuda_templateImEESt5tupleIJNSA_6TensorESF_SF_EERKSF_lbbbEUlllE_EE10hipError_tT0_T1_T2_jT3_P12ihipStream_tbPNSt15iterator_traitsISL_E10value_typeEPNSR_ISM_E10value_typeEPSN_NS1_7vsmem_tEENKUlT_SL_SM_SN_E_clIS8_S8_S9_S9_EESK_S10_SL_SM_SN_EUlS10_E1_NS1_11comp_targetILNS1_3genE2ELNS1_11target_archE906ELNS1_3gpuE6ELNS1_3repE0EEENS1_36merge_oddeven_config_static_selectorELNS0_4arch9wavefront6targetE0EEEvSM_.has_recursion, 0
	.set _ZN7rocprim17ROCPRIM_400000_NS6detail17trampoline_kernelINS0_14default_configENS1_38merge_sort_block_merge_config_selectorIlNS0_10empty_typeEEEZZNS1_27merge_sort_block_merge_implIS3_PlPS5_mZN2at6native12_GLOBAL__N_124unique_dim_cuda_templateImEESt5tupleIJNSA_6TensorESF_SF_EERKSF_lbbbEUlllE_EE10hipError_tT0_T1_T2_jT3_P12ihipStream_tbPNSt15iterator_traitsISL_E10value_typeEPNSR_ISM_E10value_typeEPSN_NS1_7vsmem_tEENKUlT_SL_SM_SN_E_clIS8_S8_S9_S9_EESK_S10_SL_SM_SN_EUlS10_E1_NS1_11comp_targetILNS1_3genE2ELNS1_11target_archE906ELNS1_3gpuE6ELNS1_3repE0EEENS1_36merge_oddeven_config_static_selectorELNS0_4arch9wavefront6targetE0EEEvSM_.has_indirect_call, 0
	.section	.AMDGPU.csdata,"",@progbits
; Kernel info:
; codeLenInByte = 0
; TotalNumSgprs: 0
; NumVgprs: 0
; ScratchSize: 0
; MemoryBound: 0
; FloatMode: 240
; IeeeMode: 1
; LDSByteSize: 0 bytes/workgroup (compile time only)
; SGPRBlocks: 0
; VGPRBlocks: 0
; NumSGPRsForWavesPerEU: 1
; NumVGPRsForWavesPerEU: 1
; NamedBarCnt: 0
; Occupancy: 16
; WaveLimiterHint : 0
; COMPUTE_PGM_RSRC2:SCRATCH_EN: 0
; COMPUTE_PGM_RSRC2:USER_SGPR: 2
; COMPUTE_PGM_RSRC2:TRAP_HANDLER: 0
; COMPUTE_PGM_RSRC2:TGID_X_EN: 1
; COMPUTE_PGM_RSRC2:TGID_Y_EN: 0
; COMPUTE_PGM_RSRC2:TGID_Z_EN: 0
; COMPUTE_PGM_RSRC2:TIDIG_COMP_CNT: 0
	.section	.text._ZN7rocprim17ROCPRIM_400000_NS6detail17trampoline_kernelINS0_14default_configENS1_38merge_sort_block_merge_config_selectorIlNS0_10empty_typeEEEZZNS1_27merge_sort_block_merge_implIS3_PlPS5_mZN2at6native12_GLOBAL__N_124unique_dim_cuda_templateImEESt5tupleIJNSA_6TensorESF_SF_EERKSF_lbbbEUlllE_EE10hipError_tT0_T1_T2_jT3_P12ihipStream_tbPNSt15iterator_traitsISL_E10value_typeEPNSR_ISM_E10value_typeEPSN_NS1_7vsmem_tEENKUlT_SL_SM_SN_E_clIS8_S8_S9_S9_EESK_S10_SL_SM_SN_EUlS10_E1_NS1_11comp_targetILNS1_3genE9ELNS1_11target_archE1100ELNS1_3gpuE3ELNS1_3repE0EEENS1_36merge_oddeven_config_static_selectorELNS0_4arch9wavefront6targetE0EEEvSM_,"axG",@progbits,_ZN7rocprim17ROCPRIM_400000_NS6detail17trampoline_kernelINS0_14default_configENS1_38merge_sort_block_merge_config_selectorIlNS0_10empty_typeEEEZZNS1_27merge_sort_block_merge_implIS3_PlPS5_mZN2at6native12_GLOBAL__N_124unique_dim_cuda_templateImEESt5tupleIJNSA_6TensorESF_SF_EERKSF_lbbbEUlllE_EE10hipError_tT0_T1_T2_jT3_P12ihipStream_tbPNSt15iterator_traitsISL_E10value_typeEPNSR_ISM_E10value_typeEPSN_NS1_7vsmem_tEENKUlT_SL_SM_SN_E_clIS8_S8_S9_S9_EESK_S10_SL_SM_SN_EUlS10_E1_NS1_11comp_targetILNS1_3genE9ELNS1_11target_archE1100ELNS1_3gpuE3ELNS1_3repE0EEENS1_36merge_oddeven_config_static_selectorELNS0_4arch9wavefront6targetE0EEEvSM_,comdat
	.globl	_ZN7rocprim17ROCPRIM_400000_NS6detail17trampoline_kernelINS0_14default_configENS1_38merge_sort_block_merge_config_selectorIlNS0_10empty_typeEEEZZNS1_27merge_sort_block_merge_implIS3_PlPS5_mZN2at6native12_GLOBAL__N_124unique_dim_cuda_templateImEESt5tupleIJNSA_6TensorESF_SF_EERKSF_lbbbEUlllE_EE10hipError_tT0_T1_T2_jT3_P12ihipStream_tbPNSt15iterator_traitsISL_E10value_typeEPNSR_ISM_E10value_typeEPSN_NS1_7vsmem_tEENKUlT_SL_SM_SN_E_clIS8_S8_S9_S9_EESK_S10_SL_SM_SN_EUlS10_E1_NS1_11comp_targetILNS1_3genE9ELNS1_11target_archE1100ELNS1_3gpuE3ELNS1_3repE0EEENS1_36merge_oddeven_config_static_selectorELNS0_4arch9wavefront6targetE0EEEvSM_ ; -- Begin function _ZN7rocprim17ROCPRIM_400000_NS6detail17trampoline_kernelINS0_14default_configENS1_38merge_sort_block_merge_config_selectorIlNS0_10empty_typeEEEZZNS1_27merge_sort_block_merge_implIS3_PlPS5_mZN2at6native12_GLOBAL__N_124unique_dim_cuda_templateImEESt5tupleIJNSA_6TensorESF_SF_EERKSF_lbbbEUlllE_EE10hipError_tT0_T1_T2_jT3_P12ihipStream_tbPNSt15iterator_traitsISL_E10value_typeEPNSR_ISM_E10value_typeEPSN_NS1_7vsmem_tEENKUlT_SL_SM_SN_E_clIS8_S8_S9_S9_EESK_S10_SL_SM_SN_EUlS10_E1_NS1_11comp_targetILNS1_3genE9ELNS1_11target_archE1100ELNS1_3gpuE3ELNS1_3repE0EEENS1_36merge_oddeven_config_static_selectorELNS0_4arch9wavefront6targetE0EEEvSM_
	.p2align	8
	.type	_ZN7rocprim17ROCPRIM_400000_NS6detail17trampoline_kernelINS0_14default_configENS1_38merge_sort_block_merge_config_selectorIlNS0_10empty_typeEEEZZNS1_27merge_sort_block_merge_implIS3_PlPS5_mZN2at6native12_GLOBAL__N_124unique_dim_cuda_templateImEESt5tupleIJNSA_6TensorESF_SF_EERKSF_lbbbEUlllE_EE10hipError_tT0_T1_T2_jT3_P12ihipStream_tbPNSt15iterator_traitsISL_E10value_typeEPNSR_ISM_E10value_typeEPSN_NS1_7vsmem_tEENKUlT_SL_SM_SN_E_clIS8_S8_S9_S9_EESK_S10_SL_SM_SN_EUlS10_E1_NS1_11comp_targetILNS1_3genE9ELNS1_11target_archE1100ELNS1_3gpuE3ELNS1_3repE0EEENS1_36merge_oddeven_config_static_selectorELNS0_4arch9wavefront6targetE0EEEvSM_,@function
_ZN7rocprim17ROCPRIM_400000_NS6detail17trampoline_kernelINS0_14default_configENS1_38merge_sort_block_merge_config_selectorIlNS0_10empty_typeEEEZZNS1_27merge_sort_block_merge_implIS3_PlPS5_mZN2at6native12_GLOBAL__N_124unique_dim_cuda_templateImEESt5tupleIJNSA_6TensorESF_SF_EERKSF_lbbbEUlllE_EE10hipError_tT0_T1_T2_jT3_P12ihipStream_tbPNSt15iterator_traitsISL_E10value_typeEPNSR_ISM_E10value_typeEPSN_NS1_7vsmem_tEENKUlT_SL_SM_SN_E_clIS8_S8_S9_S9_EESK_S10_SL_SM_SN_EUlS10_E1_NS1_11comp_targetILNS1_3genE9ELNS1_11target_archE1100ELNS1_3gpuE3ELNS1_3repE0EEENS1_36merge_oddeven_config_static_selectorELNS0_4arch9wavefront6targetE0EEEvSM_: ; @_ZN7rocprim17ROCPRIM_400000_NS6detail17trampoline_kernelINS0_14default_configENS1_38merge_sort_block_merge_config_selectorIlNS0_10empty_typeEEEZZNS1_27merge_sort_block_merge_implIS3_PlPS5_mZN2at6native12_GLOBAL__N_124unique_dim_cuda_templateImEESt5tupleIJNSA_6TensorESF_SF_EERKSF_lbbbEUlllE_EE10hipError_tT0_T1_T2_jT3_P12ihipStream_tbPNSt15iterator_traitsISL_E10value_typeEPNSR_ISM_E10value_typeEPSN_NS1_7vsmem_tEENKUlT_SL_SM_SN_E_clIS8_S8_S9_S9_EESK_S10_SL_SM_SN_EUlS10_E1_NS1_11comp_targetILNS1_3genE9ELNS1_11target_archE1100ELNS1_3gpuE3ELNS1_3repE0EEENS1_36merge_oddeven_config_static_selectorELNS0_4arch9wavefront6targetE0EEEvSM_
; %bb.0:
	.section	.rodata,"a",@progbits
	.p2align	6, 0x0
	.amdhsa_kernel _ZN7rocprim17ROCPRIM_400000_NS6detail17trampoline_kernelINS0_14default_configENS1_38merge_sort_block_merge_config_selectorIlNS0_10empty_typeEEEZZNS1_27merge_sort_block_merge_implIS3_PlPS5_mZN2at6native12_GLOBAL__N_124unique_dim_cuda_templateImEESt5tupleIJNSA_6TensorESF_SF_EERKSF_lbbbEUlllE_EE10hipError_tT0_T1_T2_jT3_P12ihipStream_tbPNSt15iterator_traitsISL_E10value_typeEPNSR_ISM_E10value_typeEPSN_NS1_7vsmem_tEENKUlT_SL_SM_SN_E_clIS8_S8_S9_S9_EESK_S10_SL_SM_SN_EUlS10_E1_NS1_11comp_targetILNS1_3genE9ELNS1_11target_archE1100ELNS1_3gpuE3ELNS1_3repE0EEENS1_36merge_oddeven_config_static_selectorELNS0_4arch9wavefront6targetE0EEEvSM_
		.amdhsa_group_segment_fixed_size 0
		.amdhsa_private_segment_fixed_size 0
		.amdhsa_kernarg_size 64
		.amdhsa_user_sgpr_count 2
		.amdhsa_user_sgpr_dispatch_ptr 0
		.amdhsa_user_sgpr_queue_ptr 0
		.amdhsa_user_sgpr_kernarg_segment_ptr 1
		.amdhsa_user_sgpr_dispatch_id 0
		.amdhsa_user_sgpr_kernarg_preload_length 0
		.amdhsa_user_sgpr_kernarg_preload_offset 0
		.amdhsa_user_sgpr_private_segment_size 0
		.amdhsa_wavefront_size32 1
		.amdhsa_uses_dynamic_stack 0
		.amdhsa_enable_private_segment 0
		.amdhsa_system_sgpr_workgroup_id_x 1
		.amdhsa_system_sgpr_workgroup_id_y 0
		.amdhsa_system_sgpr_workgroup_id_z 0
		.amdhsa_system_sgpr_workgroup_info 0
		.amdhsa_system_vgpr_workitem_id 0
		.amdhsa_next_free_vgpr 1
		.amdhsa_next_free_sgpr 1
		.amdhsa_named_barrier_count 0
		.amdhsa_reserve_vcc 0
		.amdhsa_float_round_mode_32 0
		.amdhsa_float_round_mode_16_64 0
		.amdhsa_float_denorm_mode_32 3
		.amdhsa_float_denorm_mode_16_64 3
		.amdhsa_fp16_overflow 0
		.amdhsa_memory_ordered 1
		.amdhsa_forward_progress 1
		.amdhsa_inst_pref_size 0
		.amdhsa_round_robin_scheduling 0
		.amdhsa_exception_fp_ieee_invalid_op 0
		.amdhsa_exception_fp_denorm_src 0
		.amdhsa_exception_fp_ieee_div_zero 0
		.amdhsa_exception_fp_ieee_overflow 0
		.amdhsa_exception_fp_ieee_underflow 0
		.amdhsa_exception_fp_ieee_inexact 0
		.amdhsa_exception_int_div_zero 0
	.end_amdhsa_kernel
	.section	.text._ZN7rocprim17ROCPRIM_400000_NS6detail17trampoline_kernelINS0_14default_configENS1_38merge_sort_block_merge_config_selectorIlNS0_10empty_typeEEEZZNS1_27merge_sort_block_merge_implIS3_PlPS5_mZN2at6native12_GLOBAL__N_124unique_dim_cuda_templateImEESt5tupleIJNSA_6TensorESF_SF_EERKSF_lbbbEUlllE_EE10hipError_tT0_T1_T2_jT3_P12ihipStream_tbPNSt15iterator_traitsISL_E10value_typeEPNSR_ISM_E10value_typeEPSN_NS1_7vsmem_tEENKUlT_SL_SM_SN_E_clIS8_S8_S9_S9_EESK_S10_SL_SM_SN_EUlS10_E1_NS1_11comp_targetILNS1_3genE9ELNS1_11target_archE1100ELNS1_3gpuE3ELNS1_3repE0EEENS1_36merge_oddeven_config_static_selectorELNS0_4arch9wavefront6targetE0EEEvSM_,"axG",@progbits,_ZN7rocprim17ROCPRIM_400000_NS6detail17trampoline_kernelINS0_14default_configENS1_38merge_sort_block_merge_config_selectorIlNS0_10empty_typeEEEZZNS1_27merge_sort_block_merge_implIS3_PlPS5_mZN2at6native12_GLOBAL__N_124unique_dim_cuda_templateImEESt5tupleIJNSA_6TensorESF_SF_EERKSF_lbbbEUlllE_EE10hipError_tT0_T1_T2_jT3_P12ihipStream_tbPNSt15iterator_traitsISL_E10value_typeEPNSR_ISM_E10value_typeEPSN_NS1_7vsmem_tEENKUlT_SL_SM_SN_E_clIS8_S8_S9_S9_EESK_S10_SL_SM_SN_EUlS10_E1_NS1_11comp_targetILNS1_3genE9ELNS1_11target_archE1100ELNS1_3gpuE3ELNS1_3repE0EEENS1_36merge_oddeven_config_static_selectorELNS0_4arch9wavefront6targetE0EEEvSM_,comdat
.Lfunc_end1636:
	.size	_ZN7rocprim17ROCPRIM_400000_NS6detail17trampoline_kernelINS0_14default_configENS1_38merge_sort_block_merge_config_selectorIlNS0_10empty_typeEEEZZNS1_27merge_sort_block_merge_implIS3_PlPS5_mZN2at6native12_GLOBAL__N_124unique_dim_cuda_templateImEESt5tupleIJNSA_6TensorESF_SF_EERKSF_lbbbEUlllE_EE10hipError_tT0_T1_T2_jT3_P12ihipStream_tbPNSt15iterator_traitsISL_E10value_typeEPNSR_ISM_E10value_typeEPSN_NS1_7vsmem_tEENKUlT_SL_SM_SN_E_clIS8_S8_S9_S9_EESK_S10_SL_SM_SN_EUlS10_E1_NS1_11comp_targetILNS1_3genE9ELNS1_11target_archE1100ELNS1_3gpuE3ELNS1_3repE0EEENS1_36merge_oddeven_config_static_selectorELNS0_4arch9wavefront6targetE0EEEvSM_, .Lfunc_end1636-_ZN7rocprim17ROCPRIM_400000_NS6detail17trampoline_kernelINS0_14default_configENS1_38merge_sort_block_merge_config_selectorIlNS0_10empty_typeEEEZZNS1_27merge_sort_block_merge_implIS3_PlPS5_mZN2at6native12_GLOBAL__N_124unique_dim_cuda_templateImEESt5tupleIJNSA_6TensorESF_SF_EERKSF_lbbbEUlllE_EE10hipError_tT0_T1_T2_jT3_P12ihipStream_tbPNSt15iterator_traitsISL_E10value_typeEPNSR_ISM_E10value_typeEPSN_NS1_7vsmem_tEENKUlT_SL_SM_SN_E_clIS8_S8_S9_S9_EESK_S10_SL_SM_SN_EUlS10_E1_NS1_11comp_targetILNS1_3genE9ELNS1_11target_archE1100ELNS1_3gpuE3ELNS1_3repE0EEENS1_36merge_oddeven_config_static_selectorELNS0_4arch9wavefront6targetE0EEEvSM_
                                        ; -- End function
	.set _ZN7rocprim17ROCPRIM_400000_NS6detail17trampoline_kernelINS0_14default_configENS1_38merge_sort_block_merge_config_selectorIlNS0_10empty_typeEEEZZNS1_27merge_sort_block_merge_implIS3_PlPS5_mZN2at6native12_GLOBAL__N_124unique_dim_cuda_templateImEESt5tupleIJNSA_6TensorESF_SF_EERKSF_lbbbEUlllE_EE10hipError_tT0_T1_T2_jT3_P12ihipStream_tbPNSt15iterator_traitsISL_E10value_typeEPNSR_ISM_E10value_typeEPSN_NS1_7vsmem_tEENKUlT_SL_SM_SN_E_clIS8_S8_S9_S9_EESK_S10_SL_SM_SN_EUlS10_E1_NS1_11comp_targetILNS1_3genE9ELNS1_11target_archE1100ELNS1_3gpuE3ELNS1_3repE0EEENS1_36merge_oddeven_config_static_selectorELNS0_4arch9wavefront6targetE0EEEvSM_.num_vgpr, 0
	.set _ZN7rocprim17ROCPRIM_400000_NS6detail17trampoline_kernelINS0_14default_configENS1_38merge_sort_block_merge_config_selectorIlNS0_10empty_typeEEEZZNS1_27merge_sort_block_merge_implIS3_PlPS5_mZN2at6native12_GLOBAL__N_124unique_dim_cuda_templateImEESt5tupleIJNSA_6TensorESF_SF_EERKSF_lbbbEUlllE_EE10hipError_tT0_T1_T2_jT3_P12ihipStream_tbPNSt15iterator_traitsISL_E10value_typeEPNSR_ISM_E10value_typeEPSN_NS1_7vsmem_tEENKUlT_SL_SM_SN_E_clIS8_S8_S9_S9_EESK_S10_SL_SM_SN_EUlS10_E1_NS1_11comp_targetILNS1_3genE9ELNS1_11target_archE1100ELNS1_3gpuE3ELNS1_3repE0EEENS1_36merge_oddeven_config_static_selectorELNS0_4arch9wavefront6targetE0EEEvSM_.num_agpr, 0
	.set _ZN7rocprim17ROCPRIM_400000_NS6detail17trampoline_kernelINS0_14default_configENS1_38merge_sort_block_merge_config_selectorIlNS0_10empty_typeEEEZZNS1_27merge_sort_block_merge_implIS3_PlPS5_mZN2at6native12_GLOBAL__N_124unique_dim_cuda_templateImEESt5tupleIJNSA_6TensorESF_SF_EERKSF_lbbbEUlllE_EE10hipError_tT0_T1_T2_jT3_P12ihipStream_tbPNSt15iterator_traitsISL_E10value_typeEPNSR_ISM_E10value_typeEPSN_NS1_7vsmem_tEENKUlT_SL_SM_SN_E_clIS8_S8_S9_S9_EESK_S10_SL_SM_SN_EUlS10_E1_NS1_11comp_targetILNS1_3genE9ELNS1_11target_archE1100ELNS1_3gpuE3ELNS1_3repE0EEENS1_36merge_oddeven_config_static_selectorELNS0_4arch9wavefront6targetE0EEEvSM_.numbered_sgpr, 0
	.set _ZN7rocprim17ROCPRIM_400000_NS6detail17trampoline_kernelINS0_14default_configENS1_38merge_sort_block_merge_config_selectorIlNS0_10empty_typeEEEZZNS1_27merge_sort_block_merge_implIS3_PlPS5_mZN2at6native12_GLOBAL__N_124unique_dim_cuda_templateImEESt5tupleIJNSA_6TensorESF_SF_EERKSF_lbbbEUlllE_EE10hipError_tT0_T1_T2_jT3_P12ihipStream_tbPNSt15iterator_traitsISL_E10value_typeEPNSR_ISM_E10value_typeEPSN_NS1_7vsmem_tEENKUlT_SL_SM_SN_E_clIS8_S8_S9_S9_EESK_S10_SL_SM_SN_EUlS10_E1_NS1_11comp_targetILNS1_3genE9ELNS1_11target_archE1100ELNS1_3gpuE3ELNS1_3repE0EEENS1_36merge_oddeven_config_static_selectorELNS0_4arch9wavefront6targetE0EEEvSM_.num_named_barrier, 0
	.set _ZN7rocprim17ROCPRIM_400000_NS6detail17trampoline_kernelINS0_14default_configENS1_38merge_sort_block_merge_config_selectorIlNS0_10empty_typeEEEZZNS1_27merge_sort_block_merge_implIS3_PlPS5_mZN2at6native12_GLOBAL__N_124unique_dim_cuda_templateImEESt5tupleIJNSA_6TensorESF_SF_EERKSF_lbbbEUlllE_EE10hipError_tT0_T1_T2_jT3_P12ihipStream_tbPNSt15iterator_traitsISL_E10value_typeEPNSR_ISM_E10value_typeEPSN_NS1_7vsmem_tEENKUlT_SL_SM_SN_E_clIS8_S8_S9_S9_EESK_S10_SL_SM_SN_EUlS10_E1_NS1_11comp_targetILNS1_3genE9ELNS1_11target_archE1100ELNS1_3gpuE3ELNS1_3repE0EEENS1_36merge_oddeven_config_static_selectorELNS0_4arch9wavefront6targetE0EEEvSM_.private_seg_size, 0
	.set _ZN7rocprim17ROCPRIM_400000_NS6detail17trampoline_kernelINS0_14default_configENS1_38merge_sort_block_merge_config_selectorIlNS0_10empty_typeEEEZZNS1_27merge_sort_block_merge_implIS3_PlPS5_mZN2at6native12_GLOBAL__N_124unique_dim_cuda_templateImEESt5tupleIJNSA_6TensorESF_SF_EERKSF_lbbbEUlllE_EE10hipError_tT0_T1_T2_jT3_P12ihipStream_tbPNSt15iterator_traitsISL_E10value_typeEPNSR_ISM_E10value_typeEPSN_NS1_7vsmem_tEENKUlT_SL_SM_SN_E_clIS8_S8_S9_S9_EESK_S10_SL_SM_SN_EUlS10_E1_NS1_11comp_targetILNS1_3genE9ELNS1_11target_archE1100ELNS1_3gpuE3ELNS1_3repE0EEENS1_36merge_oddeven_config_static_selectorELNS0_4arch9wavefront6targetE0EEEvSM_.uses_vcc, 0
	.set _ZN7rocprim17ROCPRIM_400000_NS6detail17trampoline_kernelINS0_14default_configENS1_38merge_sort_block_merge_config_selectorIlNS0_10empty_typeEEEZZNS1_27merge_sort_block_merge_implIS3_PlPS5_mZN2at6native12_GLOBAL__N_124unique_dim_cuda_templateImEESt5tupleIJNSA_6TensorESF_SF_EERKSF_lbbbEUlllE_EE10hipError_tT0_T1_T2_jT3_P12ihipStream_tbPNSt15iterator_traitsISL_E10value_typeEPNSR_ISM_E10value_typeEPSN_NS1_7vsmem_tEENKUlT_SL_SM_SN_E_clIS8_S8_S9_S9_EESK_S10_SL_SM_SN_EUlS10_E1_NS1_11comp_targetILNS1_3genE9ELNS1_11target_archE1100ELNS1_3gpuE3ELNS1_3repE0EEENS1_36merge_oddeven_config_static_selectorELNS0_4arch9wavefront6targetE0EEEvSM_.uses_flat_scratch, 0
	.set _ZN7rocprim17ROCPRIM_400000_NS6detail17trampoline_kernelINS0_14default_configENS1_38merge_sort_block_merge_config_selectorIlNS0_10empty_typeEEEZZNS1_27merge_sort_block_merge_implIS3_PlPS5_mZN2at6native12_GLOBAL__N_124unique_dim_cuda_templateImEESt5tupleIJNSA_6TensorESF_SF_EERKSF_lbbbEUlllE_EE10hipError_tT0_T1_T2_jT3_P12ihipStream_tbPNSt15iterator_traitsISL_E10value_typeEPNSR_ISM_E10value_typeEPSN_NS1_7vsmem_tEENKUlT_SL_SM_SN_E_clIS8_S8_S9_S9_EESK_S10_SL_SM_SN_EUlS10_E1_NS1_11comp_targetILNS1_3genE9ELNS1_11target_archE1100ELNS1_3gpuE3ELNS1_3repE0EEENS1_36merge_oddeven_config_static_selectorELNS0_4arch9wavefront6targetE0EEEvSM_.has_dyn_sized_stack, 0
	.set _ZN7rocprim17ROCPRIM_400000_NS6detail17trampoline_kernelINS0_14default_configENS1_38merge_sort_block_merge_config_selectorIlNS0_10empty_typeEEEZZNS1_27merge_sort_block_merge_implIS3_PlPS5_mZN2at6native12_GLOBAL__N_124unique_dim_cuda_templateImEESt5tupleIJNSA_6TensorESF_SF_EERKSF_lbbbEUlllE_EE10hipError_tT0_T1_T2_jT3_P12ihipStream_tbPNSt15iterator_traitsISL_E10value_typeEPNSR_ISM_E10value_typeEPSN_NS1_7vsmem_tEENKUlT_SL_SM_SN_E_clIS8_S8_S9_S9_EESK_S10_SL_SM_SN_EUlS10_E1_NS1_11comp_targetILNS1_3genE9ELNS1_11target_archE1100ELNS1_3gpuE3ELNS1_3repE0EEENS1_36merge_oddeven_config_static_selectorELNS0_4arch9wavefront6targetE0EEEvSM_.has_recursion, 0
	.set _ZN7rocprim17ROCPRIM_400000_NS6detail17trampoline_kernelINS0_14default_configENS1_38merge_sort_block_merge_config_selectorIlNS0_10empty_typeEEEZZNS1_27merge_sort_block_merge_implIS3_PlPS5_mZN2at6native12_GLOBAL__N_124unique_dim_cuda_templateImEESt5tupleIJNSA_6TensorESF_SF_EERKSF_lbbbEUlllE_EE10hipError_tT0_T1_T2_jT3_P12ihipStream_tbPNSt15iterator_traitsISL_E10value_typeEPNSR_ISM_E10value_typeEPSN_NS1_7vsmem_tEENKUlT_SL_SM_SN_E_clIS8_S8_S9_S9_EESK_S10_SL_SM_SN_EUlS10_E1_NS1_11comp_targetILNS1_3genE9ELNS1_11target_archE1100ELNS1_3gpuE3ELNS1_3repE0EEENS1_36merge_oddeven_config_static_selectorELNS0_4arch9wavefront6targetE0EEEvSM_.has_indirect_call, 0
	.section	.AMDGPU.csdata,"",@progbits
; Kernel info:
; codeLenInByte = 0
; TotalNumSgprs: 0
; NumVgprs: 0
; ScratchSize: 0
; MemoryBound: 0
; FloatMode: 240
; IeeeMode: 1
; LDSByteSize: 0 bytes/workgroup (compile time only)
; SGPRBlocks: 0
; VGPRBlocks: 0
; NumSGPRsForWavesPerEU: 1
; NumVGPRsForWavesPerEU: 1
; NamedBarCnt: 0
; Occupancy: 16
; WaveLimiterHint : 0
; COMPUTE_PGM_RSRC2:SCRATCH_EN: 0
; COMPUTE_PGM_RSRC2:USER_SGPR: 2
; COMPUTE_PGM_RSRC2:TRAP_HANDLER: 0
; COMPUTE_PGM_RSRC2:TGID_X_EN: 1
; COMPUTE_PGM_RSRC2:TGID_Y_EN: 0
; COMPUTE_PGM_RSRC2:TGID_Z_EN: 0
; COMPUTE_PGM_RSRC2:TIDIG_COMP_CNT: 0
	.section	.text._ZN7rocprim17ROCPRIM_400000_NS6detail17trampoline_kernelINS0_14default_configENS1_38merge_sort_block_merge_config_selectorIlNS0_10empty_typeEEEZZNS1_27merge_sort_block_merge_implIS3_PlPS5_mZN2at6native12_GLOBAL__N_124unique_dim_cuda_templateImEESt5tupleIJNSA_6TensorESF_SF_EERKSF_lbbbEUlllE_EE10hipError_tT0_T1_T2_jT3_P12ihipStream_tbPNSt15iterator_traitsISL_E10value_typeEPNSR_ISM_E10value_typeEPSN_NS1_7vsmem_tEENKUlT_SL_SM_SN_E_clIS8_S8_S9_S9_EESK_S10_SL_SM_SN_EUlS10_E1_NS1_11comp_targetILNS1_3genE8ELNS1_11target_archE1030ELNS1_3gpuE2ELNS1_3repE0EEENS1_36merge_oddeven_config_static_selectorELNS0_4arch9wavefront6targetE0EEEvSM_,"axG",@progbits,_ZN7rocprim17ROCPRIM_400000_NS6detail17trampoline_kernelINS0_14default_configENS1_38merge_sort_block_merge_config_selectorIlNS0_10empty_typeEEEZZNS1_27merge_sort_block_merge_implIS3_PlPS5_mZN2at6native12_GLOBAL__N_124unique_dim_cuda_templateImEESt5tupleIJNSA_6TensorESF_SF_EERKSF_lbbbEUlllE_EE10hipError_tT0_T1_T2_jT3_P12ihipStream_tbPNSt15iterator_traitsISL_E10value_typeEPNSR_ISM_E10value_typeEPSN_NS1_7vsmem_tEENKUlT_SL_SM_SN_E_clIS8_S8_S9_S9_EESK_S10_SL_SM_SN_EUlS10_E1_NS1_11comp_targetILNS1_3genE8ELNS1_11target_archE1030ELNS1_3gpuE2ELNS1_3repE0EEENS1_36merge_oddeven_config_static_selectorELNS0_4arch9wavefront6targetE0EEEvSM_,comdat
	.globl	_ZN7rocprim17ROCPRIM_400000_NS6detail17trampoline_kernelINS0_14default_configENS1_38merge_sort_block_merge_config_selectorIlNS0_10empty_typeEEEZZNS1_27merge_sort_block_merge_implIS3_PlPS5_mZN2at6native12_GLOBAL__N_124unique_dim_cuda_templateImEESt5tupleIJNSA_6TensorESF_SF_EERKSF_lbbbEUlllE_EE10hipError_tT0_T1_T2_jT3_P12ihipStream_tbPNSt15iterator_traitsISL_E10value_typeEPNSR_ISM_E10value_typeEPSN_NS1_7vsmem_tEENKUlT_SL_SM_SN_E_clIS8_S8_S9_S9_EESK_S10_SL_SM_SN_EUlS10_E1_NS1_11comp_targetILNS1_3genE8ELNS1_11target_archE1030ELNS1_3gpuE2ELNS1_3repE0EEENS1_36merge_oddeven_config_static_selectorELNS0_4arch9wavefront6targetE0EEEvSM_ ; -- Begin function _ZN7rocprim17ROCPRIM_400000_NS6detail17trampoline_kernelINS0_14default_configENS1_38merge_sort_block_merge_config_selectorIlNS0_10empty_typeEEEZZNS1_27merge_sort_block_merge_implIS3_PlPS5_mZN2at6native12_GLOBAL__N_124unique_dim_cuda_templateImEESt5tupleIJNSA_6TensorESF_SF_EERKSF_lbbbEUlllE_EE10hipError_tT0_T1_T2_jT3_P12ihipStream_tbPNSt15iterator_traitsISL_E10value_typeEPNSR_ISM_E10value_typeEPSN_NS1_7vsmem_tEENKUlT_SL_SM_SN_E_clIS8_S8_S9_S9_EESK_S10_SL_SM_SN_EUlS10_E1_NS1_11comp_targetILNS1_3genE8ELNS1_11target_archE1030ELNS1_3gpuE2ELNS1_3repE0EEENS1_36merge_oddeven_config_static_selectorELNS0_4arch9wavefront6targetE0EEEvSM_
	.p2align	8
	.type	_ZN7rocprim17ROCPRIM_400000_NS6detail17trampoline_kernelINS0_14default_configENS1_38merge_sort_block_merge_config_selectorIlNS0_10empty_typeEEEZZNS1_27merge_sort_block_merge_implIS3_PlPS5_mZN2at6native12_GLOBAL__N_124unique_dim_cuda_templateImEESt5tupleIJNSA_6TensorESF_SF_EERKSF_lbbbEUlllE_EE10hipError_tT0_T1_T2_jT3_P12ihipStream_tbPNSt15iterator_traitsISL_E10value_typeEPNSR_ISM_E10value_typeEPSN_NS1_7vsmem_tEENKUlT_SL_SM_SN_E_clIS8_S8_S9_S9_EESK_S10_SL_SM_SN_EUlS10_E1_NS1_11comp_targetILNS1_3genE8ELNS1_11target_archE1030ELNS1_3gpuE2ELNS1_3repE0EEENS1_36merge_oddeven_config_static_selectorELNS0_4arch9wavefront6targetE0EEEvSM_,@function
_ZN7rocprim17ROCPRIM_400000_NS6detail17trampoline_kernelINS0_14default_configENS1_38merge_sort_block_merge_config_selectorIlNS0_10empty_typeEEEZZNS1_27merge_sort_block_merge_implIS3_PlPS5_mZN2at6native12_GLOBAL__N_124unique_dim_cuda_templateImEESt5tupleIJNSA_6TensorESF_SF_EERKSF_lbbbEUlllE_EE10hipError_tT0_T1_T2_jT3_P12ihipStream_tbPNSt15iterator_traitsISL_E10value_typeEPNSR_ISM_E10value_typeEPSN_NS1_7vsmem_tEENKUlT_SL_SM_SN_E_clIS8_S8_S9_S9_EESK_S10_SL_SM_SN_EUlS10_E1_NS1_11comp_targetILNS1_3genE8ELNS1_11target_archE1030ELNS1_3gpuE2ELNS1_3repE0EEENS1_36merge_oddeven_config_static_selectorELNS0_4arch9wavefront6targetE0EEEvSM_: ; @_ZN7rocprim17ROCPRIM_400000_NS6detail17trampoline_kernelINS0_14default_configENS1_38merge_sort_block_merge_config_selectorIlNS0_10empty_typeEEEZZNS1_27merge_sort_block_merge_implIS3_PlPS5_mZN2at6native12_GLOBAL__N_124unique_dim_cuda_templateImEESt5tupleIJNSA_6TensorESF_SF_EERKSF_lbbbEUlllE_EE10hipError_tT0_T1_T2_jT3_P12ihipStream_tbPNSt15iterator_traitsISL_E10value_typeEPNSR_ISM_E10value_typeEPSN_NS1_7vsmem_tEENKUlT_SL_SM_SN_E_clIS8_S8_S9_S9_EESK_S10_SL_SM_SN_EUlS10_E1_NS1_11comp_targetILNS1_3genE8ELNS1_11target_archE1030ELNS1_3gpuE2ELNS1_3repE0EEENS1_36merge_oddeven_config_static_selectorELNS0_4arch9wavefront6targetE0EEEvSM_
; %bb.0:
	.section	.rodata,"a",@progbits
	.p2align	6, 0x0
	.amdhsa_kernel _ZN7rocprim17ROCPRIM_400000_NS6detail17trampoline_kernelINS0_14default_configENS1_38merge_sort_block_merge_config_selectorIlNS0_10empty_typeEEEZZNS1_27merge_sort_block_merge_implIS3_PlPS5_mZN2at6native12_GLOBAL__N_124unique_dim_cuda_templateImEESt5tupleIJNSA_6TensorESF_SF_EERKSF_lbbbEUlllE_EE10hipError_tT0_T1_T2_jT3_P12ihipStream_tbPNSt15iterator_traitsISL_E10value_typeEPNSR_ISM_E10value_typeEPSN_NS1_7vsmem_tEENKUlT_SL_SM_SN_E_clIS8_S8_S9_S9_EESK_S10_SL_SM_SN_EUlS10_E1_NS1_11comp_targetILNS1_3genE8ELNS1_11target_archE1030ELNS1_3gpuE2ELNS1_3repE0EEENS1_36merge_oddeven_config_static_selectorELNS0_4arch9wavefront6targetE0EEEvSM_
		.amdhsa_group_segment_fixed_size 0
		.amdhsa_private_segment_fixed_size 0
		.amdhsa_kernarg_size 64
		.amdhsa_user_sgpr_count 2
		.amdhsa_user_sgpr_dispatch_ptr 0
		.amdhsa_user_sgpr_queue_ptr 0
		.amdhsa_user_sgpr_kernarg_segment_ptr 1
		.amdhsa_user_sgpr_dispatch_id 0
		.amdhsa_user_sgpr_kernarg_preload_length 0
		.amdhsa_user_sgpr_kernarg_preload_offset 0
		.amdhsa_user_sgpr_private_segment_size 0
		.amdhsa_wavefront_size32 1
		.amdhsa_uses_dynamic_stack 0
		.amdhsa_enable_private_segment 0
		.amdhsa_system_sgpr_workgroup_id_x 1
		.amdhsa_system_sgpr_workgroup_id_y 0
		.amdhsa_system_sgpr_workgroup_id_z 0
		.amdhsa_system_sgpr_workgroup_info 0
		.amdhsa_system_vgpr_workitem_id 0
		.amdhsa_next_free_vgpr 1
		.amdhsa_next_free_sgpr 1
		.amdhsa_named_barrier_count 0
		.amdhsa_reserve_vcc 0
		.amdhsa_float_round_mode_32 0
		.amdhsa_float_round_mode_16_64 0
		.amdhsa_float_denorm_mode_32 3
		.amdhsa_float_denorm_mode_16_64 3
		.amdhsa_fp16_overflow 0
		.amdhsa_memory_ordered 1
		.amdhsa_forward_progress 1
		.amdhsa_inst_pref_size 0
		.amdhsa_round_robin_scheduling 0
		.amdhsa_exception_fp_ieee_invalid_op 0
		.amdhsa_exception_fp_denorm_src 0
		.amdhsa_exception_fp_ieee_div_zero 0
		.amdhsa_exception_fp_ieee_overflow 0
		.amdhsa_exception_fp_ieee_underflow 0
		.amdhsa_exception_fp_ieee_inexact 0
		.amdhsa_exception_int_div_zero 0
	.end_amdhsa_kernel
	.section	.text._ZN7rocprim17ROCPRIM_400000_NS6detail17trampoline_kernelINS0_14default_configENS1_38merge_sort_block_merge_config_selectorIlNS0_10empty_typeEEEZZNS1_27merge_sort_block_merge_implIS3_PlPS5_mZN2at6native12_GLOBAL__N_124unique_dim_cuda_templateImEESt5tupleIJNSA_6TensorESF_SF_EERKSF_lbbbEUlllE_EE10hipError_tT0_T1_T2_jT3_P12ihipStream_tbPNSt15iterator_traitsISL_E10value_typeEPNSR_ISM_E10value_typeEPSN_NS1_7vsmem_tEENKUlT_SL_SM_SN_E_clIS8_S8_S9_S9_EESK_S10_SL_SM_SN_EUlS10_E1_NS1_11comp_targetILNS1_3genE8ELNS1_11target_archE1030ELNS1_3gpuE2ELNS1_3repE0EEENS1_36merge_oddeven_config_static_selectorELNS0_4arch9wavefront6targetE0EEEvSM_,"axG",@progbits,_ZN7rocprim17ROCPRIM_400000_NS6detail17trampoline_kernelINS0_14default_configENS1_38merge_sort_block_merge_config_selectorIlNS0_10empty_typeEEEZZNS1_27merge_sort_block_merge_implIS3_PlPS5_mZN2at6native12_GLOBAL__N_124unique_dim_cuda_templateImEESt5tupleIJNSA_6TensorESF_SF_EERKSF_lbbbEUlllE_EE10hipError_tT0_T1_T2_jT3_P12ihipStream_tbPNSt15iterator_traitsISL_E10value_typeEPNSR_ISM_E10value_typeEPSN_NS1_7vsmem_tEENKUlT_SL_SM_SN_E_clIS8_S8_S9_S9_EESK_S10_SL_SM_SN_EUlS10_E1_NS1_11comp_targetILNS1_3genE8ELNS1_11target_archE1030ELNS1_3gpuE2ELNS1_3repE0EEENS1_36merge_oddeven_config_static_selectorELNS0_4arch9wavefront6targetE0EEEvSM_,comdat
.Lfunc_end1637:
	.size	_ZN7rocprim17ROCPRIM_400000_NS6detail17trampoline_kernelINS0_14default_configENS1_38merge_sort_block_merge_config_selectorIlNS0_10empty_typeEEEZZNS1_27merge_sort_block_merge_implIS3_PlPS5_mZN2at6native12_GLOBAL__N_124unique_dim_cuda_templateImEESt5tupleIJNSA_6TensorESF_SF_EERKSF_lbbbEUlllE_EE10hipError_tT0_T1_T2_jT3_P12ihipStream_tbPNSt15iterator_traitsISL_E10value_typeEPNSR_ISM_E10value_typeEPSN_NS1_7vsmem_tEENKUlT_SL_SM_SN_E_clIS8_S8_S9_S9_EESK_S10_SL_SM_SN_EUlS10_E1_NS1_11comp_targetILNS1_3genE8ELNS1_11target_archE1030ELNS1_3gpuE2ELNS1_3repE0EEENS1_36merge_oddeven_config_static_selectorELNS0_4arch9wavefront6targetE0EEEvSM_, .Lfunc_end1637-_ZN7rocprim17ROCPRIM_400000_NS6detail17trampoline_kernelINS0_14default_configENS1_38merge_sort_block_merge_config_selectorIlNS0_10empty_typeEEEZZNS1_27merge_sort_block_merge_implIS3_PlPS5_mZN2at6native12_GLOBAL__N_124unique_dim_cuda_templateImEESt5tupleIJNSA_6TensorESF_SF_EERKSF_lbbbEUlllE_EE10hipError_tT0_T1_T2_jT3_P12ihipStream_tbPNSt15iterator_traitsISL_E10value_typeEPNSR_ISM_E10value_typeEPSN_NS1_7vsmem_tEENKUlT_SL_SM_SN_E_clIS8_S8_S9_S9_EESK_S10_SL_SM_SN_EUlS10_E1_NS1_11comp_targetILNS1_3genE8ELNS1_11target_archE1030ELNS1_3gpuE2ELNS1_3repE0EEENS1_36merge_oddeven_config_static_selectorELNS0_4arch9wavefront6targetE0EEEvSM_
                                        ; -- End function
	.set _ZN7rocprim17ROCPRIM_400000_NS6detail17trampoline_kernelINS0_14default_configENS1_38merge_sort_block_merge_config_selectorIlNS0_10empty_typeEEEZZNS1_27merge_sort_block_merge_implIS3_PlPS5_mZN2at6native12_GLOBAL__N_124unique_dim_cuda_templateImEESt5tupleIJNSA_6TensorESF_SF_EERKSF_lbbbEUlllE_EE10hipError_tT0_T1_T2_jT3_P12ihipStream_tbPNSt15iterator_traitsISL_E10value_typeEPNSR_ISM_E10value_typeEPSN_NS1_7vsmem_tEENKUlT_SL_SM_SN_E_clIS8_S8_S9_S9_EESK_S10_SL_SM_SN_EUlS10_E1_NS1_11comp_targetILNS1_3genE8ELNS1_11target_archE1030ELNS1_3gpuE2ELNS1_3repE0EEENS1_36merge_oddeven_config_static_selectorELNS0_4arch9wavefront6targetE0EEEvSM_.num_vgpr, 0
	.set _ZN7rocprim17ROCPRIM_400000_NS6detail17trampoline_kernelINS0_14default_configENS1_38merge_sort_block_merge_config_selectorIlNS0_10empty_typeEEEZZNS1_27merge_sort_block_merge_implIS3_PlPS5_mZN2at6native12_GLOBAL__N_124unique_dim_cuda_templateImEESt5tupleIJNSA_6TensorESF_SF_EERKSF_lbbbEUlllE_EE10hipError_tT0_T1_T2_jT3_P12ihipStream_tbPNSt15iterator_traitsISL_E10value_typeEPNSR_ISM_E10value_typeEPSN_NS1_7vsmem_tEENKUlT_SL_SM_SN_E_clIS8_S8_S9_S9_EESK_S10_SL_SM_SN_EUlS10_E1_NS1_11comp_targetILNS1_3genE8ELNS1_11target_archE1030ELNS1_3gpuE2ELNS1_3repE0EEENS1_36merge_oddeven_config_static_selectorELNS0_4arch9wavefront6targetE0EEEvSM_.num_agpr, 0
	.set _ZN7rocprim17ROCPRIM_400000_NS6detail17trampoline_kernelINS0_14default_configENS1_38merge_sort_block_merge_config_selectorIlNS0_10empty_typeEEEZZNS1_27merge_sort_block_merge_implIS3_PlPS5_mZN2at6native12_GLOBAL__N_124unique_dim_cuda_templateImEESt5tupleIJNSA_6TensorESF_SF_EERKSF_lbbbEUlllE_EE10hipError_tT0_T1_T2_jT3_P12ihipStream_tbPNSt15iterator_traitsISL_E10value_typeEPNSR_ISM_E10value_typeEPSN_NS1_7vsmem_tEENKUlT_SL_SM_SN_E_clIS8_S8_S9_S9_EESK_S10_SL_SM_SN_EUlS10_E1_NS1_11comp_targetILNS1_3genE8ELNS1_11target_archE1030ELNS1_3gpuE2ELNS1_3repE0EEENS1_36merge_oddeven_config_static_selectorELNS0_4arch9wavefront6targetE0EEEvSM_.numbered_sgpr, 0
	.set _ZN7rocprim17ROCPRIM_400000_NS6detail17trampoline_kernelINS0_14default_configENS1_38merge_sort_block_merge_config_selectorIlNS0_10empty_typeEEEZZNS1_27merge_sort_block_merge_implIS3_PlPS5_mZN2at6native12_GLOBAL__N_124unique_dim_cuda_templateImEESt5tupleIJNSA_6TensorESF_SF_EERKSF_lbbbEUlllE_EE10hipError_tT0_T1_T2_jT3_P12ihipStream_tbPNSt15iterator_traitsISL_E10value_typeEPNSR_ISM_E10value_typeEPSN_NS1_7vsmem_tEENKUlT_SL_SM_SN_E_clIS8_S8_S9_S9_EESK_S10_SL_SM_SN_EUlS10_E1_NS1_11comp_targetILNS1_3genE8ELNS1_11target_archE1030ELNS1_3gpuE2ELNS1_3repE0EEENS1_36merge_oddeven_config_static_selectorELNS0_4arch9wavefront6targetE0EEEvSM_.num_named_barrier, 0
	.set _ZN7rocprim17ROCPRIM_400000_NS6detail17trampoline_kernelINS0_14default_configENS1_38merge_sort_block_merge_config_selectorIlNS0_10empty_typeEEEZZNS1_27merge_sort_block_merge_implIS3_PlPS5_mZN2at6native12_GLOBAL__N_124unique_dim_cuda_templateImEESt5tupleIJNSA_6TensorESF_SF_EERKSF_lbbbEUlllE_EE10hipError_tT0_T1_T2_jT3_P12ihipStream_tbPNSt15iterator_traitsISL_E10value_typeEPNSR_ISM_E10value_typeEPSN_NS1_7vsmem_tEENKUlT_SL_SM_SN_E_clIS8_S8_S9_S9_EESK_S10_SL_SM_SN_EUlS10_E1_NS1_11comp_targetILNS1_3genE8ELNS1_11target_archE1030ELNS1_3gpuE2ELNS1_3repE0EEENS1_36merge_oddeven_config_static_selectorELNS0_4arch9wavefront6targetE0EEEvSM_.private_seg_size, 0
	.set _ZN7rocprim17ROCPRIM_400000_NS6detail17trampoline_kernelINS0_14default_configENS1_38merge_sort_block_merge_config_selectorIlNS0_10empty_typeEEEZZNS1_27merge_sort_block_merge_implIS3_PlPS5_mZN2at6native12_GLOBAL__N_124unique_dim_cuda_templateImEESt5tupleIJNSA_6TensorESF_SF_EERKSF_lbbbEUlllE_EE10hipError_tT0_T1_T2_jT3_P12ihipStream_tbPNSt15iterator_traitsISL_E10value_typeEPNSR_ISM_E10value_typeEPSN_NS1_7vsmem_tEENKUlT_SL_SM_SN_E_clIS8_S8_S9_S9_EESK_S10_SL_SM_SN_EUlS10_E1_NS1_11comp_targetILNS1_3genE8ELNS1_11target_archE1030ELNS1_3gpuE2ELNS1_3repE0EEENS1_36merge_oddeven_config_static_selectorELNS0_4arch9wavefront6targetE0EEEvSM_.uses_vcc, 0
	.set _ZN7rocprim17ROCPRIM_400000_NS6detail17trampoline_kernelINS0_14default_configENS1_38merge_sort_block_merge_config_selectorIlNS0_10empty_typeEEEZZNS1_27merge_sort_block_merge_implIS3_PlPS5_mZN2at6native12_GLOBAL__N_124unique_dim_cuda_templateImEESt5tupleIJNSA_6TensorESF_SF_EERKSF_lbbbEUlllE_EE10hipError_tT0_T1_T2_jT3_P12ihipStream_tbPNSt15iterator_traitsISL_E10value_typeEPNSR_ISM_E10value_typeEPSN_NS1_7vsmem_tEENKUlT_SL_SM_SN_E_clIS8_S8_S9_S9_EESK_S10_SL_SM_SN_EUlS10_E1_NS1_11comp_targetILNS1_3genE8ELNS1_11target_archE1030ELNS1_3gpuE2ELNS1_3repE0EEENS1_36merge_oddeven_config_static_selectorELNS0_4arch9wavefront6targetE0EEEvSM_.uses_flat_scratch, 0
	.set _ZN7rocprim17ROCPRIM_400000_NS6detail17trampoline_kernelINS0_14default_configENS1_38merge_sort_block_merge_config_selectorIlNS0_10empty_typeEEEZZNS1_27merge_sort_block_merge_implIS3_PlPS5_mZN2at6native12_GLOBAL__N_124unique_dim_cuda_templateImEESt5tupleIJNSA_6TensorESF_SF_EERKSF_lbbbEUlllE_EE10hipError_tT0_T1_T2_jT3_P12ihipStream_tbPNSt15iterator_traitsISL_E10value_typeEPNSR_ISM_E10value_typeEPSN_NS1_7vsmem_tEENKUlT_SL_SM_SN_E_clIS8_S8_S9_S9_EESK_S10_SL_SM_SN_EUlS10_E1_NS1_11comp_targetILNS1_3genE8ELNS1_11target_archE1030ELNS1_3gpuE2ELNS1_3repE0EEENS1_36merge_oddeven_config_static_selectorELNS0_4arch9wavefront6targetE0EEEvSM_.has_dyn_sized_stack, 0
	.set _ZN7rocprim17ROCPRIM_400000_NS6detail17trampoline_kernelINS0_14default_configENS1_38merge_sort_block_merge_config_selectorIlNS0_10empty_typeEEEZZNS1_27merge_sort_block_merge_implIS3_PlPS5_mZN2at6native12_GLOBAL__N_124unique_dim_cuda_templateImEESt5tupleIJNSA_6TensorESF_SF_EERKSF_lbbbEUlllE_EE10hipError_tT0_T1_T2_jT3_P12ihipStream_tbPNSt15iterator_traitsISL_E10value_typeEPNSR_ISM_E10value_typeEPSN_NS1_7vsmem_tEENKUlT_SL_SM_SN_E_clIS8_S8_S9_S9_EESK_S10_SL_SM_SN_EUlS10_E1_NS1_11comp_targetILNS1_3genE8ELNS1_11target_archE1030ELNS1_3gpuE2ELNS1_3repE0EEENS1_36merge_oddeven_config_static_selectorELNS0_4arch9wavefront6targetE0EEEvSM_.has_recursion, 0
	.set _ZN7rocprim17ROCPRIM_400000_NS6detail17trampoline_kernelINS0_14default_configENS1_38merge_sort_block_merge_config_selectorIlNS0_10empty_typeEEEZZNS1_27merge_sort_block_merge_implIS3_PlPS5_mZN2at6native12_GLOBAL__N_124unique_dim_cuda_templateImEESt5tupleIJNSA_6TensorESF_SF_EERKSF_lbbbEUlllE_EE10hipError_tT0_T1_T2_jT3_P12ihipStream_tbPNSt15iterator_traitsISL_E10value_typeEPNSR_ISM_E10value_typeEPSN_NS1_7vsmem_tEENKUlT_SL_SM_SN_E_clIS8_S8_S9_S9_EESK_S10_SL_SM_SN_EUlS10_E1_NS1_11comp_targetILNS1_3genE8ELNS1_11target_archE1030ELNS1_3gpuE2ELNS1_3repE0EEENS1_36merge_oddeven_config_static_selectorELNS0_4arch9wavefront6targetE0EEEvSM_.has_indirect_call, 0
	.section	.AMDGPU.csdata,"",@progbits
; Kernel info:
; codeLenInByte = 0
; TotalNumSgprs: 0
; NumVgprs: 0
; ScratchSize: 0
; MemoryBound: 0
; FloatMode: 240
; IeeeMode: 1
; LDSByteSize: 0 bytes/workgroup (compile time only)
; SGPRBlocks: 0
; VGPRBlocks: 0
; NumSGPRsForWavesPerEU: 1
; NumVGPRsForWavesPerEU: 1
; NamedBarCnt: 0
; Occupancy: 16
; WaveLimiterHint : 0
; COMPUTE_PGM_RSRC2:SCRATCH_EN: 0
; COMPUTE_PGM_RSRC2:USER_SGPR: 2
; COMPUTE_PGM_RSRC2:TRAP_HANDLER: 0
; COMPUTE_PGM_RSRC2:TGID_X_EN: 1
; COMPUTE_PGM_RSRC2:TGID_Y_EN: 0
; COMPUTE_PGM_RSRC2:TGID_Z_EN: 0
; COMPUTE_PGM_RSRC2:TIDIG_COMP_CNT: 0
	.section	.text._ZN7rocprim17ROCPRIM_400000_NS6detail17trampoline_kernelINS0_14default_configENS1_35adjacent_difference_config_selectorILb0ElEEZNS1_24adjacent_difference_implIS3_Lb0ELb0EPlS7_ZN2at6native12_GLOBAL__N_124unique_dim_cuda_templateImEESt5tupleIJNS8_6TensorESD_SD_EERKSD_lbbbEUlllE1_EE10hipError_tPvRmT2_T3_mT4_P12ihipStream_tbEUlT_E_NS1_11comp_targetILNS1_3genE0ELNS1_11target_archE4294967295ELNS1_3gpuE0ELNS1_3repE0EEENS1_30default_config_static_selectorELNS0_4arch9wavefront6targetE0EEEvT1_,"axG",@progbits,_ZN7rocprim17ROCPRIM_400000_NS6detail17trampoline_kernelINS0_14default_configENS1_35adjacent_difference_config_selectorILb0ElEEZNS1_24adjacent_difference_implIS3_Lb0ELb0EPlS7_ZN2at6native12_GLOBAL__N_124unique_dim_cuda_templateImEESt5tupleIJNS8_6TensorESD_SD_EERKSD_lbbbEUlllE1_EE10hipError_tPvRmT2_T3_mT4_P12ihipStream_tbEUlT_E_NS1_11comp_targetILNS1_3genE0ELNS1_11target_archE4294967295ELNS1_3gpuE0ELNS1_3repE0EEENS1_30default_config_static_selectorELNS0_4arch9wavefront6targetE0EEEvT1_,comdat
	.globl	_ZN7rocprim17ROCPRIM_400000_NS6detail17trampoline_kernelINS0_14default_configENS1_35adjacent_difference_config_selectorILb0ElEEZNS1_24adjacent_difference_implIS3_Lb0ELb0EPlS7_ZN2at6native12_GLOBAL__N_124unique_dim_cuda_templateImEESt5tupleIJNS8_6TensorESD_SD_EERKSD_lbbbEUlllE1_EE10hipError_tPvRmT2_T3_mT4_P12ihipStream_tbEUlT_E_NS1_11comp_targetILNS1_3genE0ELNS1_11target_archE4294967295ELNS1_3gpuE0ELNS1_3repE0EEENS1_30default_config_static_selectorELNS0_4arch9wavefront6targetE0EEEvT1_ ; -- Begin function _ZN7rocprim17ROCPRIM_400000_NS6detail17trampoline_kernelINS0_14default_configENS1_35adjacent_difference_config_selectorILb0ElEEZNS1_24adjacent_difference_implIS3_Lb0ELb0EPlS7_ZN2at6native12_GLOBAL__N_124unique_dim_cuda_templateImEESt5tupleIJNS8_6TensorESD_SD_EERKSD_lbbbEUlllE1_EE10hipError_tPvRmT2_T3_mT4_P12ihipStream_tbEUlT_E_NS1_11comp_targetILNS1_3genE0ELNS1_11target_archE4294967295ELNS1_3gpuE0ELNS1_3repE0EEENS1_30default_config_static_selectorELNS0_4arch9wavefront6targetE0EEEvT1_
	.p2align	8
	.type	_ZN7rocprim17ROCPRIM_400000_NS6detail17trampoline_kernelINS0_14default_configENS1_35adjacent_difference_config_selectorILb0ElEEZNS1_24adjacent_difference_implIS3_Lb0ELb0EPlS7_ZN2at6native12_GLOBAL__N_124unique_dim_cuda_templateImEESt5tupleIJNS8_6TensorESD_SD_EERKSD_lbbbEUlllE1_EE10hipError_tPvRmT2_T3_mT4_P12ihipStream_tbEUlT_E_NS1_11comp_targetILNS1_3genE0ELNS1_11target_archE4294967295ELNS1_3gpuE0ELNS1_3repE0EEENS1_30default_config_static_selectorELNS0_4arch9wavefront6targetE0EEEvT1_,@function
_ZN7rocprim17ROCPRIM_400000_NS6detail17trampoline_kernelINS0_14default_configENS1_35adjacent_difference_config_selectorILb0ElEEZNS1_24adjacent_difference_implIS3_Lb0ELb0EPlS7_ZN2at6native12_GLOBAL__N_124unique_dim_cuda_templateImEESt5tupleIJNS8_6TensorESD_SD_EERKSD_lbbbEUlllE1_EE10hipError_tPvRmT2_T3_mT4_P12ihipStream_tbEUlT_E_NS1_11comp_targetILNS1_3genE0ELNS1_11target_archE4294967295ELNS1_3gpuE0ELNS1_3repE0EEENS1_30default_config_static_selectorELNS0_4arch9wavefront6targetE0EEEvT1_: ; @_ZN7rocprim17ROCPRIM_400000_NS6detail17trampoline_kernelINS0_14default_configENS1_35adjacent_difference_config_selectorILb0ElEEZNS1_24adjacent_difference_implIS3_Lb0ELb0EPlS7_ZN2at6native12_GLOBAL__N_124unique_dim_cuda_templateImEESt5tupleIJNS8_6TensorESD_SD_EERKSD_lbbbEUlllE1_EE10hipError_tPvRmT2_T3_mT4_P12ihipStream_tbEUlT_E_NS1_11comp_targetILNS1_3genE0ELNS1_11target_archE4294967295ELNS1_3gpuE0ELNS1_3repE0EEENS1_30default_config_static_selectorELNS0_4arch9wavefront6targetE0EEEvT1_
; %bb.0:
	s_load_b256 s[4:11], s[0:1], 0x0
	s_bfe_u32 s2, ttmp6, 0x4000c
	s_and_b32 s3, ttmp6, 15
	s_add_co_i32 s2, s2, 1
	s_getreg_b32 s12, hwreg(HW_REG_IB_STS2, 6, 4)
	s_mul_i32 s2, ttmp9, s2
	s_load_b64 s[16:17], s[0:1], 0x38
	s_add_co_i32 s3, s3, s2
	s_mov_b32 s23, 0
	s_delay_alu instid0(SALU_CYCLE_1)
	s_mov_b32 s19, s23
	s_wait_kmcnt 0x0
	s_lshl_b64 s[6:7], s[6:7], 3
	s_cmp_eq_u32 s12, 0
	s_add_nc_u64 s[4:5], s[4:5], s[6:7]
	s_cselect_b32 s18, ttmp9, s3
	s_and_b64 s[12:13], s[10:11], 0x7f
	s_lshr_b64 s[20:21], s[10:11], 7
	s_lshl_b32 s2, s18, 7
	s_cmp_lg_u64 s[12:13], 0
	s_load_b128 s[12:15], s[0:1], 0x20
	s_cselect_b32 s3, -1, 0
	s_add_nc_u64 s[18:19], s[16:17], s[18:19]
	v_cndmask_b32_e64 v1, 0, 1, s3
	s_delay_alu instid0(VALU_DEP_1) | instskip(SKIP_2) | instid1(SALU_CYCLE_1)
	v_readfirstlane_b32 s22, v1
	s_wait_xcnt 0x0
	s_add_nc_u64 s[0:1], s[20:21], s[22:23]
	s_add_nc_u64 s[16:17], s[0:1], -1
	s_delay_alu instid0(SALU_CYCLE_1)
	v_cmp_ge_u64_e64 s11, s[18:19], s[16:17]
	s_and_b32 vcc_lo, exec_lo, s11
	s_cbranch_vccz .LBB1638_4
; %bb.1:
	s_lshl_b32 s3, s16, 7
	s_mov_b32 s20, exec_lo
	s_sub_co_i32 s3, s10, s3
                                        ; implicit-def: $vgpr2_vgpr3
	s_delay_alu instid0(SALU_CYCLE_1)
	v_cmpx_gt_u32_e64 s3, v0
	s_cbranch_execz .LBB1638_3
; %bb.2:
	s_mov_b32 s3, 0
	s_delay_alu instid0(SALU_CYCLE_1) | instskip(NEXT) | instid1(SALU_CYCLE_1)
	s_lshl_b64 s[22:23], s[2:3], 3
	s_add_nc_u64 s[22:23], s[4:5], s[22:23]
	global_load_b64 v[2:3], v0, s[22:23] scale_offset
.LBB1638_3:
	s_wait_xcnt 0x0
	s_or_b32 exec_lo, exec_lo, s20
	v_lshlrev_b32_e32 v1, 3, v0
	s_wait_loadcnt 0x0
	ds_store_b64 v1, v[2:3]
	s_wait_dscnt 0x0
	s_barrier_signal -1
	s_barrier_wait -1
	s_branch .LBB1638_6
.LBB1638_4:
                                        ; implicit-def: $vgpr1
	s_cbranch_execz .LBB1638_6
; %bb.5:
	s_mov_b32 s3, 0
	v_lshlrev_b32_e32 v1, 3, v0
	s_lshl_b64 s[20:21], s[2:3], 3
	s_delay_alu instid0(SALU_CYCLE_1)
	s_add_nc_u64 s[20:21], s[4:5], s[20:21]
	global_load_b64 v[2:3], v0, s[20:21] scale_offset
	s_wait_loadcnt 0x0
	ds_store_b64 v1, v[2:3]
	s_wait_dscnt 0x0
	s_barrier_signal -1
	s_barrier_wait -1
.LBB1638_6:
	ds_load_b64 v[2:3], v1
	s_cmp_eq_u64 s[18:19], 0
	s_wait_dscnt 0x0
	s_barrier_signal -1
	s_barrier_wait -1
	s_cbranch_scc1 .LBB1638_15
; %bb.7:
	s_mov_b32 s3, 0
	s_delay_alu instid0(SALU_CYCLE_1) | instskip(SKIP_2) | instid1(SALU_CYCLE_1)
	s_lshl_b64 s[20:21], s[2:3], 3
	s_cmp_eq_u64 s[18:19], s[16:17]
	s_add_nc_u64 s[4:5], s[4:5], s[20:21]
	s_add_nc_u64 s[4:5], s[4:5], -8
	s_load_b64 s[4:5], s[4:5], 0x0
	s_cbranch_scc1 .LBB1638_16
; %bb.8:
	s_wait_kmcnt 0x0
	v_mov_b64_e32 v[4:5], s[4:5]
	v_lshlrev_b32_e32 v1, 3, v0
	s_mov_b32 s3, exec_lo
	ds_store_b64 v1, v[2:3]
	s_wait_dscnt 0x0
	s_barrier_signal -1
	s_barrier_wait -1
	v_cmpx_ne_u32_e32 0, v0
; %bb.9:
	v_add_nc_u32_e32 v1, -8, v1
	ds_load_b64 v[4:5], v1
; %bb.10:
	s_or_b32 exec_lo, exec_lo, s3
	v_cmp_lt_i64_e64 s3, s[12:13], 1
	s_and_b32 vcc_lo, exec_lo, s3
	s_cbranch_vccnz .LBB1638_18
; %bb.11:
	v_mul_u64_e32 v[6:7], s[12:13], v[2:3]
	s_wait_dscnt 0x0
	v_mul_u64_e32 v[4:5], s[12:13], v[4:5]
	s_mov_b32 s3, 0
	s_mov_b64 s[20:21], s[12:13]
                                        ; implicit-def: $sgpr17
	s_delay_alu instid0(VALU_DEP_2) | instskip(NEXT) | instid1(VALU_DEP_2)
	v_lshl_add_u64 v[6:7], v[6:7], 3, s[14:15]
	v_lshl_add_u64 v[8:9], v[4:5], 3, s[14:15]
	s_branch .LBB1638_13
.LBB1638_12:                            ;   in Loop: Header=BB1638_13 Depth=1
	s_or_b32 exec_lo, exec_lo, s19
	s_delay_alu instid0(SALU_CYCLE_1) | instskip(NEXT) | instid1(SALU_CYCLE_1)
	s_and_b32 s19, exec_lo, s17
	s_or_b32 s3, s19, s3
	s_delay_alu instid0(SALU_CYCLE_1)
	s_and_not1_b32 exec_lo, exec_lo, s3
	s_cbranch_execz .LBB1638_17
.LBB1638_13:                            ; =>This Inner Loop Header: Depth=1
	global_load_b64 v[4:5], v[6:7], off
	global_load_b64 v[10:11], v[8:9], off
	s_or_b32 s17, s17, exec_lo
	s_wait_loadcnt 0x0
	v_cmp_eq_u64_e32 vcc_lo, v[4:5], v[10:11]
	v_mov_b64_e32 v[4:5], 1
	s_and_saveexec_b32 s19, vcc_lo
	s_cbranch_execz .LBB1638_12
; %bb.14:                               ;   in Loop: Header=BB1638_13 Depth=1
	s_add_nc_u64 s[20:21], s[20:21], -1
	v_add_nc_u64_e32 v[6:7], 8, v[6:7]
	s_cmp_eq_u64 s[20:21], 0
	v_add_nc_u64_e32 v[8:9], 8, v[8:9]
	v_mov_b64_e32 v[4:5], 0
	s_cselect_b32 s22, -1, 0
	s_and_not1_b32 s17, s17, exec_lo
	s_and_b32 s22, s22, exec_lo
	s_delay_alu instid0(SALU_CYCLE_1)
	s_or_b32 s17, s17, s22
	s_branch .LBB1638_12
.LBB1638_15:
                                        ; implicit-def: $vgpr4_vgpr5
	s_branch .LBB1638_31
.LBB1638_16:
                                        ; implicit-def: $vgpr4_vgpr5
	s_cbranch_execnz .LBB1638_19
	s_branch .LBB1638_30
.LBB1638_17:
	s_or_b32 exec_lo, exec_lo, s3
	s_branch .LBB1638_30
.LBB1638_18:
	s_wait_dscnt 0x0
	v_mov_b64_e32 v[4:5], 0
	s_branch .LBB1638_30
.LBB1638_19:
	s_wait_kmcnt 0x0
	v_mov_b64_e32 v[6:7], s[4:5]
	v_lshlrev_b32_e32 v1, 3, v0
	s_mov_b32 s3, exec_lo
	ds_store_b64 v1, v[2:3]
	s_wait_dscnt 0x0
	s_barrier_signal -1
	s_barrier_wait -1
	v_cmpx_ne_u32_e32 0, v0
; %bb.20:
	v_add_nc_u32_e32 v1, -8, v1
	ds_load_b64 v[6:7], v1
; %bb.21:
	s_or_b32 exec_lo, exec_lo, s3
	s_lshl_b32 s3, s18, 7
	v_mov_b64_e32 v[4:5], v[2:3]
	s_sub_co_i32 s3, s10, s3
	s_delay_alu instid0(SALU_CYCLE_1)
	v_cmp_gt_u32_e32 vcc_lo, s3, v0
	s_and_saveexec_b32 s3, vcc_lo
	s_cbranch_execz .LBB1638_29
; %bb.22:
	v_cmp_lt_i64_e64 s4, s[12:13], 1
	s_and_b32 vcc_lo, exec_lo, s4
	s_cbranch_vccnz .LBB1638_28
; %bb.23:
	v_mul_u64_e32 v[4:5], s[12:13], v[2:3]
	s_wait_dscnt 0x0
	v_mul_u64_e32 v[8:9], s[12:13], v[6:7]
	s_mov_b32 s17, 0
	s_mov_b64 s[4:5], s[12:13]
                                        ; implicit-def: $sgpr18
	s_delay_alu instid0(VALU_DEP_2) | instskip(NEXT) | instid1(VALU_DEP_2)
	v_lshl_add_u64 v[6:7], v[4:5], 3, s[14:15]
	v_lshl_add_u64 v[8:9], v[8:9], 3, s[14:15]
	s_branch .LBB1638_25
.LBB1638_24:                            ;   in Loop: Header=BB1638_25 Depth=1
	s_or_b32 exec_lo, exec_lo, s19
	s_delay_alu instid0(SALU_CYCLE_1) | instskip(NEXT) | instid1(SALU_CYCLE_1)
	s_and_b32 s19, exec_lo, s18
	s_or_b32 s17, s19, s17
	s_delay_alu instid0(SALU_CYCLE_1)
	s_and_not1_b32 exec_lo, exec_lo, s17
	s_cbranch_execz .LBB1638_27
.LBB1638_25:                            ; =>This Inner Loop Header: Depth=1
	global_load_b64 v[4:5], v[6:7], off
	global_load_b64 v[10:11], v[8:9], off
	s_or_b32 s18, s18, exec_lo
	s_wait_loadcnt 0x0
	v_cmp_eq_u64_e32 vcc_lo, v[4:5], v[10:11]
	v_mov_b64_e32 v[4:5], 1
	s_and_saveexec_b32 s19, vcc_lo
	s_cbranch_execz .LBB1638_24
; %bb.26:                               ;   in Loop: Header=BB1638_25 Depth=1
	s_add_nc_u64 s[4:5], s[4:5], -1
	v_add_nc_u64_e32 v[6:7], 8, v[6:7]
	s_cmp_eq_u64 s[4:5], 0
	v_add_nc_u64_e32 v[8:9], 8, v[8:9]
	v_mov_b64_e32 v[4:5], 0
	s_cselect_b32 s20, -1, 0
	s_and_not1_b32 s18, s18, exec_lo
	s_and_b32 s20, s20, exec_lo
	s_delay_alu instid0(SALU_CYCLE_1)
	s_or_b32 s18, s18, s20
	s_branch .LBB1638_24
.LBB1638_27:
	s_or_b32 exec_lo, exec_lo, s17
	s_branch .LBB1638_29
.LBB1638_28:
	v_mov_b64_e32 v[4:5], 0
.LBB1638_29:
	s_or_b32 exec_lo, exec_lo, s3
.LBB1638_30:
	s_cbranch_execnz .LBB1638_51
.LBB1638_31:
	s_cmp_eq_u64 s[0:1], 1
	v_cmp_ne_u32_e32 vcc_lo, 0, v0
	s_cbranch_scc1 .LBB1638_38
; %bb.32:
	v_mov_b64_e32 v[4:5], v[2:3]
	v_lshlrev_b32_e32 v1, 3, v0
	s_mov_b32 s3, 0
	ds_store_b64 v1, v[2:3]
	s_wait_dscnt 0x0
	s_barrier_signal -1
	s_barrier_wait -1
	s_wait_kmcnt 0x0
	s_and_saveexec_b32 s4, vcc_lo
	s_cbranch_execz .LBB1638_40
; %bb.33:
	v_cmp_lt_i64_e64 s0, s[12:13], 1
	s_and_b32 vcc_lo, exec_lo, s0
	s_cbranch_vccnz .LBB1638_48
; %bb.34:
	v_add_nc_u32_e32 v1, -8, v1
	v_mul_u64_e32 v[6:7], s[12:13], v[2:3]
	s_mov_b32 s5, 0
	s_mov_b64 s[0:1], s[12:13]
                                        ; implicit-def: $sgpr17
	ds_load_b64 v[4:5], v1
	s_wait_dscnt 0x0
	v_mul_u64_e32 v[4:5], s[12:13], v[4:5]
	v_lshl_add_u64 v[6:7], v[6:7], 3, s[14:15]
	s_delay_alu instid0(VALU_DEP_2)
	v_lshl_add_u64 v[8:9], v[4:5], 3, s[14:15]
	s_branch .LBB1638_36
.LBB1638_35:                            ;   in Loop: Header=BB1638_36 Depth=1
	s_or_b32 exec_lo, exec_lo, s18
	s_delay_alu instid0(SALU_CYCLE_1) | instskip(NEXT) | instid1(SALU_CYCLE_1)
	s_and_b32 s18, exec_lo, s17
	s_or_b32 s5, s18, s5
	s_delay_alu instid0(SALU_CYCLE_1)
	s_and_not1_b32 exec_lo, exec_lo, s5
	s_cbranch_execz .LBB1638_39
.LBB1638_36:                            ; =>This Inner Loop Header: Depth=1
	global_load_b64 v[4:5], v[6:7], off
	global_load_b64 v[10:11], v[8:9], off
	s_or_b32 s17, s17, exec_lo
	s_wait_loadcnt 0x0
	v_cmp_eq_u64_e32 vcc_lo, v[4:5], v[10:11]
	v_mov_b64_e32 v[4:5], 1
	s_and_saveexec_b32 s18, vcc_lo
	s_cbranch_execz .LBB1638_35
; %bb.37:                               ;   in Loop: Header=BB1638_36 Depth=1
	s_add_nc_u64 s[0:1], s[0:1], -1
	v_add_nc_u64_e32 v[6:7], 8, v[6:7]
	s_cmp_eq_u64 s[0:1], 0
	v_add_nc_u64_e32 v[8:9], 8, v[8:9]
	v_mov_b64_e32 v[4:5], 0
	s_cselect_b32 s19, -1, 0
	s_and_not1_b32 s17, s17, exec_lo
	s_and_b32 s19, s19, exec_lo
	s_delay_alu instid0(SALU_CYCLE_1)
	s_or_b32 s17, s17, s19
	s_branch .LBB1638_35
.LBB1638_38:
                                        ; implicit-def: $vgpr4_vgpr5
	s_branch .LBB1638_41
.LBB1638_39:
	s_or_b32 exec_lo, exec_lo, s5
.LBB1638_40:
	s_delay_alu instid0(SALU_CYCLE_1) | instskip(NEXT) | instid1(SALU_CYCLE_1)
	s_or_b32 exec_lo, exec_lo, s4
	s_and_not1_b32 vcc_lo, exec_lo, s3
	s_cbranch_vccnz .LBB1638_51
.LBB1638_41:
	v_cmp_ne_u32_e32 vcc_lo, 0, v0
	v_cmp_gt_u32_e64 s0, s10, v0
	v_lshlrev_b32_e32 v1, 3, v0
	s_and_b32 s1, vcc_lo, s0
	ds_store_b64 v1, v[2:3]
	s_wait_dscnt 0x0
	s_barrier_signal -1
	s_barrier_wait -1
	s_and_saveexec_b32 s0, s1
	s_cbranch_execz .LBB1638_50
; %bb.42:
	s_wait_kmcnt 0x0
	v_cmp_lt_i64_e64 s1, s[12:13], 1
	s_and_b32 vcc_lo, exec_lo, s1
	s_cbranch_vccnz .LBB1638_49
; %bb.43:
	v_add_nc_u32_e32 v1, -8, v1
	v_mul_u64_e32 v[2:3], s[12:13], v[2:3]
	s_mov_b32 s1, 0
                                        ; implicit-def: $sgpr3
	ds_load_b64 v[4:5], v1
	s_wait_dscnt 0x0
	v_mul_u64_e32 v[6:7], s[12:13], v[4:5]
	v_lshl_add_u64 v[4:5], v[2:3], 3, s[14:15]
	s_delay_alu instid0(VALU_DEP_2)
	v_lshl_add_u64 v[6:7], v[6:7], 3, s[14:15]
	s_branch .LBB1638_45
.LBB1638_44:                            ;   in Loop: Header=BB1638_45 Depth=1
	s_or_b32 exec_lo, exec_lo, s4
	s_delay_alu instid0(SALU_CYCLE_1) | instskip(NEXT) | instid1(SALU_CYCLE_1)
	s_and_b32 s4, exec_lo, s3
	s_or_b32 s1, s4, s1
	s_delay_alu instid0(SALU_CYCLE_1)
	s_and_not1_b32 exec_lo, exec_lo, s1
	s_cbranch_execz .LBB1638_47
.LBB1638_45:                            ; =>This Inner Loop Header: Depth=1
	global_load_b64 v[2:3], v[4:5], off
	global_load_b64 v[8:9], v[6:7], off
	s_or_b32 s3, s3, exec_lo
	s_wait_loadcnt 0x0
	v_cmp_eq_u64_e32 vcc_lo, v[2:3], v[8:9]
	v_mov_b64_e32 v[2:3], 1
	s_and_saveexec_b32 s4, vcc_lo
	s_cbranch_execz .LBB1638_44
; %bb.46:                               ;   in Loop: Header=BB1638_45 Depth=1
	s_add_nc_u64 s[12:13], s[12:13], -1
	v_add_nc_u64_e32 v[4:5], 8, v[4:5]
	s_cmp_eq_u64 s[12:13], 0
	v_add_nc_u64_e32 v[6:7], 8, v[6:7]
	v_mov_b64_e32 v[2:3], 0
	s_cselect_b32 s5, -1, 0
	s_and_not1_b32 s3, s3, exec_lo
	s_and_b32 s5, s5, exec_lo
	s_delay_alu instid0(SALU_CYCLE_1)
	s_or_b32 s3, s3, s5
	s_branch .LBB1638_44
.LBB1638_47:
	s_or_b32 exec_lo, exec_lo, s1
	s_branch .LBB1638_50
.LBB1638_48:
	v_mov_b64_e32 v[4:5], 0
	s_or_b32 exec_lo, exec_lo, s4
	s_delay_alu instid0(SALU_CYCLE_1)
	s_and_not1_b32 vcc_lo, exec_lo, s3
	s_cbranch_vccz .LBB1638_41
	s_branch .LBB1638_51
.LBB1638_49:
	v_mov_b64_e32 v[2:3], 0
.LBB1638_50:
	s_or_b32 exec_lo, exec_lo, s0
	s_delay_alu instid0(VALU_DEP_1)
	v_mov_b64_e32 v[4:5], v[2:3]
.LBB1638_51:
	s_add_nc_u64 s[0:1], s[8:9], s[6:7]
	s_and_b32 vcc_lo, exec_lo, s11
	s_mov_b32 s3, -1
	s_wait_dscnt 0x0
	s_barrier_signal -1
	s_barrier_wait -1
	s_cbranch_vccnz .LBB1638_54
; %bb.52:
	s_and_not1_b32 vcc_lo, exec_lo, s3
	s_cbranch_vccz .LBB1638_57
.LBB1638_53:
	s_endpgm
.LBB1638_54:
	v_lshlrev_b32_e32 v1, 3, v0
	s_lshl_b32 s3, s16, 7
	s_wait_kmcnt 0x0
	s_mov_b32 s4, exec_lo
	s_sub_co_i32 s3, s10, s3
	ds_store_b64 v1, v[4:5]
	s_wait_dscnt 0x0
	s_barrier_signal -1
	s_barrier_wait -1
	v_cmpx_gt_u32_e64 s3, v0
	s_cbranch_execz .LBB1638_56
; %bb.55:
	ds_load_b64 v[2:3], v1
	s_mov_b32 s3, 0
	s_delay_alu instid0(SALU_CYCLE_1) | instskip(NEXT) | instid1(SALU_CYCLE_1)
	s_lshl_b64 s[6:7], s[2:3], 3
	s_add_nc_u64 s[6:7], s[0:1], s[6:7]
	s_wait_dscnt 0x0
	global_store_b64 v0, v[2:3], s[6:7] scale_offset
.LBB1638_56:
	s_wait_xcnt 0x0
	s_or_b32 exec_lo, exec_lo, s4
	s_cbranch_execnz .LBB1638_53
.LBB1638_57:
	v_lshlrev_b32_e32 v1, 3, v0
	s_mov_b32 s3, 0
	s_delay_alu instid0(SALU_CYCLE_1) | instskip(NEXT) | instid1(SALU_CYCLE_1)
	s_lshl_b64 s[2:3], s[2:3], 3
	s_add_nc_u64 s[0:1], s[0:1], s[2:3]
	ds_store_b64 v1, v[4:5]
	s_wait_storecnt_dscnt 0x0
	s_barrier_signal -1
	s_barrier_wait -1
	ds_load_b64 v[2:3], v1
	s_wait_dscnt 0x0
	global_store_b64 v0, v[2:3], s[0:1] scale_offset
	s_endpgm
	.section	.rodata,"a",@progbits
	.p2align	6, 0x0
	.amdhsa_kernel _ZN7rocprim17ROCPRIM_400000_NS6detail17trampoline_kernelINS0_14default_configENS1_35adjacent_difference_config_selectorILb0ElEEZNS1_24adjacent_difference_implIS3_Lb0ELb0EPlS7_ZN2at6native12_GLOBAL__N_124unique_dim_cuda_templateImEESt5tupleIJNS8_6TensorESD_SD_EERKSD_lbbbEUlllE1_EE10hipError_tPvRmT2_T3_mT4_P12ihipStream_tbEUlT_E_NS1_11comp_targetILNS1_3genE0ELNS1_11target_archE4294967295ELNS1_3gpuE0ELNS1_3repE0EEENS1_30default_config_static_selectorELNS0_4arch9wavefront6targetE0EEEvT1_
		.amdhsa_group_segment_fixed_size 2048
		.amdhsa_private_segment_fixed_size 0
		.amdhsa_kernarg_size 64
		.amdhsa_user_sgpr_count 2
		.amdhsa_user_sgpr_dispatch_ptr 0
		.amdhsa_user_sgpr_queue_ptr 0
		.amdhsa_user_sgpr_kernarg_segment_ptr 1
		.amdhsa_user_sgpr_dispatch_id 0
		.amdhsa_user_sgpr_kernarg_preload_length 0
		.amdhsa_user_sgpr_kernarg_preload_offset 0
		.amdhsa_user_sgpr_private_segment_size 0
		.amdhsa_wavefront_size32 1
		.amdhsa_uses_dynamic_stack 0
		.amdhsa_enable_private_segment 0
		.amdhsa_system_sgpr_workgroup_id_x 1
		.amdhsa_system_sgpr_workgroup_id_y 0
		.amdhsa_system_sgpr_workgroup_id_z 0
		.amdhsa_system_sgpr_workgroup_info 0
		.amdhsa_system_vgpr_workitem_id 0
		.amdhsa_next_free_vgpr 12
		.amdhsa_next_free_sgpr 24
		.amdhsa_named_barrier_count 0
		.amdhsa_reserve_vcc 1
		.amdhsa_float_round_mode_32 0
		.amdhsa_float_round_mode_16_64 0
		.amdhsa_float_denorm_mode_32 3
		.amdhsa_float_denorm_mode_16_64 3
		.amdhsa_fp16_overflow 0
		.amdhsa_memory_ordered 1
		.amdhsa_forward_progress 1
		.amdhsa_inst_pref_size 14
		.amdhsa_round_robin_scheduling 0
		.amdhsa_exception_fp_ieee_invalid_op 0
		.amdhsa_exception_fp_denorm_src 0
		.amdhsa_exception_fp_ieee_div_zero 0
		.amdhsa_exception_fp_ieee_overflow 0
		.amdhsa_exception_fp_ieee_underflow 0
		.amdhsa_exception_fp_ieee_inexact 0
		.amdhsa_exception_int_div_zero 0
	.end_amdhsa_kernel
	.section	.text._ZN7rocprim17ROCPRIM_400000_NS6detail17trampoline_kernelINS0_14default_configENS1_35adjacent_difference_config_selectorILb0ElEEZNS1_24adjacent_difference_implIS3_Lb0ELb0EPlS7_ZN2at6native12_GLOBAL__N_124unique_dim_cuda_templateImEESt5tupleIJNS8_6TensorESD_SD_EERKSD_lbbbEUlllE1_EE10hipError_tPvRmT2_T3_mT4_P12ihipStream_tbEUlT_E_NS1_11comp_targetILNS1_3genE0ELNS1_11target_archE4294967295ELNS1_3gpuE0ELNS1_3repE0EEENS1_30default_config_static_selectorELNS0_4arch9wavefront6targetE0EEEvT1_,"axG",@progbits,_ZN7rocprim17ROCPRIM_400000_NS6detail17trampoline_kernelINS0_14default_configENS1_35adjacent_difference_config_selectorILb0ElEEZNS1_24adjacent_difference_implIS3_Lb0ELb0EPlS7_ZN2at6native12_GLOBAL__N_124unique_dim_cuda_templateImEESt5tupleIJNS8_6TensorESD_SD_EERKSD_lbbbEUlllE1_EE10hipError_tPvRmT2_T3_mT4_P12ihipStream_tbEUlT_E_NS1_11comp_targetILNS1_3genE0ELNS1_11target_archE4294967295ELNS1_3gpuE0ELNS1_3repE0EEENS1_30default_config_static_selectorELNS0_4arch9wavefront6targetE0EEEvT1_,comdat
.Lfunc_end1638:
	.size	_ZN7rocprim17ROCPRIM_400000_NS6detail17trampoline_kernelINS0_14default_configENS1_35adjacent_difference_config_selectorILb0ElEEZNS1_24adjacent_difference_implIS3_Lb0ELb0EPlS7_ZN2at6native12_GLOBAL__N_124unique_dim_cuda_templateImEESt5tupleIJNS8_6TensorESD_SD_EERKSD_lbbbEUlllE1_EE10hipError_tPvRmT2_T3_mT4_P12ihipStream_tbEUlT_E_NS1_11comp_targetILNS1_3genE0ELNS1_11target_archE4294967295ELNS1_3gpuE0ELNS1_3repE0EEENS1_30default_config_static_selectorELNS0_4arch9wavefront6targetE0EEEvT1_, .Lfunc_end1638-_ZN7rocprim17ROCPRIM_400000_NS6detail17trampoline_kernelINS0_14default_configENS1_35adjacent_difference_config_selectorILb0ElEEZNS1_24adjacent_difference_implIS3_Lb0ELb0EPlS7_ZN2at6native12_GLOBAL__N_124unique_dim_cuda_templateImEESt5tupleIJNS8_6TensorESD_SD_EERKSD_lbbbEUlllE1_EE10hipError_tPvRmT2_T3_mT4_P12ihipStream_tbEUlT_E_NS1_11comp_targetILNS1_3genE0ELNS1_11target_archE4294967295ELNS1_3gpuE0ELNS1_3repE0EEENS1_30default_config_static_selectorELNS0_4arch9wavefront6targetE0EEEvT1_
                                        ; -- End function
	.set _ZN7rocprim17ROCPRIM_400000_NS6detail17trampoline_kernelINS0_14default_configENS1_35adjacent_difference_config_selectorILb0ElEEZNS1_24adjacent_difference_implIS3_Lb0ELb0EPlS7_ZN2at6native12_GLOBAL__N_124unique_dim_cuda_templateImEESt5tupleIJNS8_6TensorESD_SD_EERKSD_lbbbEUlllE1_EE10hipError_tPvRmT2_T3_mT4_P12ihipStream_tbEUlT_E_NS1_11comp_targetILNS1_3genE0ELNS1_11target_archE4294967295ELNS1_3gpuE0ELNS1_3repE0EEENS1_30default_config_static_selectorELNS0_4arch9wavefront6targetE0EEEvT1_.num_vgpr, 12
	.set _ZN7rocprim17ROCPRIM_400000_NS6detail17trampoline_kernelINS0_14default_configENS1_35adjacent_difference_config_selectorILb0ElEEZNS1_24adjacent_difference_implIS3_Lb0ELb0EPlS7_ZN2at6native12_GLOBAL__N_124unique_dim_cuda_templateImEESt5tupleIJNS8_6TensorESD_SD_EERKSD_lbbbEUlllE1_EE10hipError_tPvRmT2_T3_mT4_P12ihipStream_tbEUlT_E_NS1_11comp_targetILNS1_3genE0ELNS1_11target_archE4294967295ELNS1_3gpuE0ELNS1_3repE0EEENS1_30default_config_static_selectorELNS0_4arch9wavefront6targetE0EEEvT1_.num_agpr, 0
	.set _ZN7rocprim17ROCPRIM_400000_NS6detail17trampoline_kernelINS0_14default_configENS1_35adjacent_difference_config_selectorILb0ElEEZNS1_24adjacent_difference_implIS3_Lb0ELb0EPlS7_ZN2at6native12_GLOBAL__N_124unique_dim_cuda_templateImEESt5tupleIJNS8_6TensorESD_SD_EERKSD_lbbbEUlllE1_EE10hipError_tPvRmT2_T3_mT4_P12ihipStream_tbEUlT_E_NS1_11comp_targetILNS1_3genE0ELNS1_11target_archE4294967295ELNS1_3gpuE0ELNS1_3repE0EEENS1_30default_config_static_selectorELNS0_4arch9wavefront6targetE0EEEvT1_.numbered_sgpr, 24
	.set _ZN7rocprim17ROCPRIM_400000_NS6detail17trampoline_kernelINS0_14default_configENS1_35adjacent_difference_config_selectorILb0ElEEZNS1_24adjacent_difference_implIS3_Lb0ELb0EPlS7_ZN2at6native12_GLOBAL__N_124unique_dim_cuda_templateImEESt5tupleIJNS8_6TensorESD_SD_EERKSD_lbbbEUlllE1_EE10hipError_tPvRmT2_T3_mT4_P12ihipStream_tbEUlT_E_NS1_11comp_targetILNS1_3genE0ELNS1_11target_archE4294967295ELNS1_3gpuE0ELNS1_3repE0EEENS1_30default_config_static_selectorELNS0_4arch9wavefront6targetE0EEEvT1_.num_named_barrier, 0
	.set _ZN7rocprim17ROCPRIM_400000_NS6detail17trampoline_kernelINS0_14default_configENS1_35adjacent_difference_config_selectorILb0ElEEZNS1_24adjacent_difference_implIS3_Lb0ELb0EPlS7_ZN2at6native12_GLOBAL__N_124unique_dim_cuda_templateImEESt5tupleIJNS8_6TensorESD_SD_EERKSD_lbbbEUlllE1_EE10hipError_tPvRmT2_T3_mT4_P12ihipStream_tbEUlT_E_NS1_11comp_targetILNS1_3genE0ELNS1_11target_archE4294967295ELNS1_3gpuE0ELNS1_3repE0EEENS1_30default_config_static_selectorELNS0_4arch9wavefront6targetE0EEEvT1_.private_seg_size, 0
	.set _ZN7rocprim17ROCPRIM_400000_NS6detail17trampoline_kernelINS0_14default_configENS1_35adjacent_difference_config_selectorILb0ElEEZNS1_24adjacent_difference_implIS3_Lb0ELb0EPlS7_ZN2at6native12_GLOBAL__N_124unique_dim_cuda_templateImEESt5tupleIJNS8_6TensorESD_SD_EERKSD_lbbbEUlllE1_EE10hipError_tPvRmT2_T3_mT4_P12ihipStream_tbEUlT_E_NS1_11comp_targetILNS1_3genE0ELNS1_11target_archE4294967295ELNS1_3gpuE0ELNS1_3repE0EEENS1_30default_config_static_selectorELNS0_4arch9wavefront6targetE0EEEvT1_.uses_vcc, 1
	.set _ZN7rocprim17ROCPRIM_400000_NS6detail17trampoline_kernelINS0_14default_configENS1_35adjacent_difference_config_selectorILb0ElEEZNS1_24adjacent_difference_implIS3_Lb0ELb0EPlS7_ZN2at6native12_GLOBAL__N_124unique_dim_cuda_templateImEESt5tupleIJNS8_6TensorESD_SD_EERKSD_lbbbEUlllE1_EE10hipError_tPvRmT2_T3_mT4_P12ihipStream_tbEUlT_E_NS1_11comp_targetILNS1_3genE0ELNS1_11target_archE4294967295ELNS1_3gpuE0ELNS1_3repE0EEENS1_30default_config_static_selectorELNS0_4arch9wavefront6targetE0EEEvT1_.uses_flat_scratch, 0
	.set _ZN7rocprim17ROCPRIM_400000_NS6detail17trampoline_kernelINS0_14default_configENS1_35adjacent_difference_config_selectorILb0ElEEZNS1_24adjacent_difference_implIS3_Lb0ELb0EPlS7_ZN2at6native12_GLOBAL__N_124unique_dim_cuda_templateImEESt5tupleIJNS8_6TensorESD_SD_EERKSD_lbbbEUlllE1_EE10hipError_tPvRmT2_T3_mT4_P12ihipStream_tbEUlT_E_NS1_11comp_targetILNS1_3genE0ELNS1_11target_archE4294967295ELNS1_3gpuE0ELNS1_3repE0EEENS1_30default_config_static_selectorELNS0_4arch9wavefront6targetE0EEEvT1_.has_dyn_sized_stack, 0
	.set _ZN7rocprim17ROCPRIM_400000_NS6detail17trampoline_kernelINS0_14default_configENS1_35adjacent_difference_config_selectorILb0ElEEZNS1_24adjacent_difference_implIS3_Lb0ELb0EPlS7_ZN2at6native12_GLOBAL__N_124unique_dim_cuda_templateImEESt5tupleIJNS8_6TensorESD_SD_EERKSD_lbbbEUlllE1_EE10hipError_tPvRmT2_T3_mT4_P12ihipStream_tbEUlT_E_NS1_11comp_targetILNS1_3genE0ELNS1_11target_archE4294967295ELNS1_3gpuE0ELNS1_3repE0EEENS1_30default_config_static_selectorELNS0_4arch9wavefront6targetE0EEEvT1_.has_recursion, 0
	.set _ZN7rocprim17ROCPRIM_400000_NS6detail17trampoline_kernelINS0_14default_configENS1_35adjacent_difference_config_selectorILb0ElEEZNS1_24adjacent_difference_implIS3_Lb0ELb0EPlS7_ZN2at6native12_GLOBAL__N_124unique_dim_cuda_templateImEESt5tupleIJNS8_6TensorESD_SD_EERKSD_lbbbEUlllE1_EE10hipError_tPvRmT2_T3_mT4_P12ihipStream_tbEUlT_E_NS1_11comp_targetILNS1_3genE0ELNS1_11target_archE4294967295ELNS1_3gpuE0ELNS1_3repE0EEENS1_30default_config_static_selectorELNS0_4arch9wavefront6targetE0EEEvT1_.has_indirect_call, 0
	.section	.AMDGPU.csdata,"",@progbits
; Kernel info:
; codeLenInByte = 1704
; TotalNumSgprs: 26
; NumVgprs: 12
; ScratchSize: 0
; MemoryBound: 0
; FloatMode: 240
; IeeeMode: 1
; LDSByteSize: 2048 bytes/workgroup (compile time only)
; SGPRBlocks: 0
; VGPRBlocks: 0
; NumSGPRsForWavesPerEU: 26
; NumVGPRsForWavesPerEU: 12
; NamedBarCnt: 0
; Occupancy: 16
; WaveLimiterHint : 0
; COMPUTE_PGM_RSRC2:SCRATCH_EN: 0
; COMPUTE_PGM_RSRC2:USER_SGPR: 2
; COMPUTE_PGM_RSRC2:TRAP_HANDLER: 0
; COMPUTE_PGM_RSRC2:TGID_X_EN: 1
; COMPUTE_PGM_RSRC2:TGID_Y_EN: 0
; COMPUTE_PGM_RSRC2:TGID_Z_EN: 0
; COMPUTE_PGM_RSRC2:TIDIG_COMP_CNT: 0
	.section	.text._ZN7rocprim17ROCPRIM_400000_NS6detail17trampoline_kernelINS0_14default_configENS1_35adjacent_difference_config_selectorILb0ElEEZNS1_24adjacent_difference_implIS3_Lb0ELb0EPlS7_ZN2at6native12_GLOBAL__N_124unique_dim_cuda_templateImEESt5tupleIJNS8_6TensorESD_SD_EERKSD_lbbbEUlllE1_EE10hipError_tPvRmT2_T3_mT4_P12ihipStream_tbEUlT_E_NS1_11comp_targetILNS1_3genE10ELNS1_11target_archE1201ELNS1_3gpuE5ELNS1_3repE0EEENS1_30default_config_static_selectorELNS0_4arch9wavefront6targetE0EEEvT1_,"axG",@progbits,_ZN7rocprim17ROCPRIM_400000_NS6detail17trampoline_kernelINS0_14default_configENS1_35adjacent_difference_config_selectorILb0ElEEZNS1_24adjacent_difference_implIS3_Lb0ELb0EPlS7_ZN2at6native12_GLOBAL__N_124unique_dim_cuda_templateImEESt5tupleIJNS8_6TensorESD_SD_EERKSD_lbbbEUlllE1_EE10hipError_tPvRmT2_T3_mT4_P12ihipStream_tbEUlT_E_NS1_11comp_targetILNS1_3genE10ELNS1_11target_archE1201ELNS1_3gpuE5ELNS1_3repE0EEENS1_30default_config_static_selectorELNS0_4arch9wavefront6targetE0EEEvT1_,comdat
	.globl	_ZN7rocprim17ROCPRIM_400000_NS6detail17trampoline_kernelINS0_14default_configENS1_35adjacent_difference_config_selectorILb0ElEEZNS1_24adjacent_difference_implIS3_Lb0ELb0EPlS7_ZN2at6native12_GLOBAL__N_124unique_dim_cuda_templateImEESt5tupleIJNS8_6TensorESD_SD_EERKSD_lbbbEUlllE1_EE10hipError_tPvRmT2_T3_mT4_P12ihipStream_tbEUlT_E_NS1_11comp_targetILNS1_3genE10ELNS1_11target_archE1201ELNS1_3gpuE5ELNS1_3repE0EEENS1_30default_config_static_selectorELNS0_4arch9wavefront6targetE0EEEvT1_ ; -- Begin function _ZN7rocprim17ROCPRIM_400000_NS6detail17trampoline_kernelINS0_14default_configENS1_35adjacent_difference_config_selectorILb0ElEEZNS1_24adjacent_difference_implIS3_Lb0ELb0EPlS7_ZN2at6native12_GLOBAL__N_124unique_dim_cuda_templateImEESt5tupleIJNS8_6TensorESD_SD_EERKSD_lbbbEUlllE1_EE10hipError_tPvRmT2_T3_mT4_P12ihipStream_tbEUlT_E_NS1_11comp_targetILNS1_3genE10ELNS1_11target_archE1201ELNS1_3gpuE5ELNS1_3repE0EEENS1_30default_config_static_selectorELNS0_4arch9wavefront6targetE0EEEvT1_
	.p2align	8
	.type	_ZN7rocprim17ROCPRIM_400000_NS6detail17trampoline_kernelINS0_14default_configENS1_35adjacent_difference_config_selectorILb0ElEEZNS1_24adjacent_difference_implIS3_Lb0ELb0EPlS7_ZN2at6native12_GLOBAL__N_124unique_dim_cuda_templateImEESt5tupleIJNS8_6TensorESD_SD_EERKSD_lbbbEUlllE1_EE10hipError_tPvRmT2_T3_mT4_P12ihipStream_tbEUlT_E_NS1_11comp_targetILNS1_3genE10ELNS1_11target_archE1201ELNS1_3gpuE5ELNS1_3repE0EEENS1_30default_config_static_selectorELNS0_4arch9wavefront6targetE0EEEvT1_,@function
_ZN7rocprim17ROCPRIM_400000_NS6detail17trampoline_kernelINS0_14default_configENS1_35adjacent_difference_config_selectorILb0ElEEZNS1_24adjacent_difference_implIS3_Lb0ELb0EPlS7_ZN2at6native12_GLOBAL__N_124unique_dim_cuda_templateImEESt5tupleIJNS8_6TensorESD_SD_EERKSD_lbbbEUlllE1_EE10hipError_tPvRmT2_T3_mT4_P12ihipStream_tbEUlT_E_NS1_11comp_targetILNS1_3genE10ELNS1_11target_archE1201ELNS1_3gpuE5ELNS1_3repE0EEENS1_30default_config_static_selectorELNS0_4arch9wavefront6targetE0EEEvT1_: ; @_ZN7rocprim17ROCPRIM_400000_NS6detail17trampoline_kernelINS0_14default_configENS1_35adjacent_difference_config_selectorILb0ElEEZNS1_24adjacent_difference_implIS3_Lb0ELb0EPlS7_ZN2at6native12_GLOBAL__N_124unique_dim_cuda_templateImEESt5tupleIJNS8_6TensorESD_SD_EERKSD_lbbbEUlllE1_EE10hipError_tPvRmT2_T3_mT4_P12ihipStream_tbEUlT_E_NS1_11comp_targetILNS1_3genE10ELNS1_11target_archE1201ELNS1_3gpuE5ELNS1_3repE0EEENS1_30default_config_static_selectorELNS0_4arch9wavefront6targetE0EEEvT1_
; %bb.0:
	.section	.rodata,"a",@progbits
	.p2align	6, 0x0
	.amdhsa_kernel _ZN7rocprim17ROCPRIM_400000_NS6detail17trampoline_kernelINS0_14default_configENS1_35adjacent_difference_config_selectorILb0ElEEZNS1_24adjacent_difference_implIS3_Lb0ELb0EPlS7_ZN2at6native12_GLOBAL__N_124unique_dim_cuda_templateImEESt5tupleIJNS8_6TensorESD_SD_EERKSD_lbbbEUlllE1_EE10hipError_tPvRmT2_T3_mT4_P12ihipStream_tbEUlT_E_NS1_11comp_targetILNS1_3genE10ELNS1_11target_archE1201ELNS1_3gpuE5ELNS1_3repE0EEENS1_30default_config_static_selectorELNS0_4arch9wavefront6targetE0EEEvT1_
		.amdhsa_group_segment_fixed_size 0
		.amdhsa_private_segment_fixed_size 0
		.amdhsa_kernarg_size 64
		.amdhsa_user_sgpr_count 2
		.amdhsa_user_sgpr_dispatch_ptr 0
		.amdhsa_user_sgpr_queue_ptr 0
		.amdhsa_user_sgpr_kernarg_segment_ptr 1
		.amdhsa_user_sgpr_dispatch_id 0
		.amdhsa_user_sgpr_kernarg_preload_length 0
		.amdhsa_user_sgpr_kernarg_preload_offset 0
		.amdhsa_user_sgpr_private_segment_size 0
		.amdhsa_wavefront_size32 1
		.amdhsa_uses_dynamic_stack 0
		.amdhsa_enable_private_segment 0
		.amdhsa_system_sgpr_workgroup_id_x 1
		.amdhsa_system_sgpr_workgroup_id_y 0
		.amdhsa_system_sgpr_workgroup_id_z 0
		.amdhsa_system_sgpr_workgroup_info 0
		.amdhsa_system_vgpr_workitem_id 0
		.amdhsa_next_free_vgpr 1
		.amdhsa_next_free_sgpr 1
		.amdhsa_named_barrier_count 0
		.amdhsa_reserve_vcc 0
		.amdhsa_float_round_mode_32 0
		.amdhsa_float_round_mode_16_64 0
		.amdhsa_float_denorm_mode_32 3
		.amdhsa_float_denorm_mode_16_64 3
		.amdhsa_fp16_overflow 0
		.amdhsa_memory_ordered 1
		.amdhsa_forward_progress 1
		.amdhsa_inst_pref_size 0
		.amdhsa_round_robin_scheduling 0
		.amdhsa_exception_fp_ieee_invalid_op 0
		.amdhsa_exception_fp_denorm_src 0
		.amdhsa_exception_fp_ieee_div_zero 0
		.amdhsa_exception_fp_ieee_overflow 0
		.amdhsa_exception_fp_ieee_underflow 0
		.amdhsa_exception_fp_ieee_inexact 0
		.amdhsa_exception_int_div_zero 0
	.end_amdhsa_kernel
	.section	.text._ZN7rocprim17ROCPRIM_400000_NS6detail17trampoline_kernelINS0_14default_configENS1_35adjacent_difference_config_selectorILb0ElEEZNS1_24adjacent_difference_implIS3_Lb0ELb0EPlS7_ZN2at6native12_GLOBAL__N_124unique_dim_cuda_templateImEESt5tupleIJNS8_6TensorESD_SD_EERKSD_lbbbEUlllE1_EE10hipError_tPvRmT2_T3_mT4_P12ihipStream_tbEUlT_E_NS1_11comp_targetILNS1_3genE10ELNS1_11target_archE1201ELNS1_3gpuE5ELNS1_3repE0EEENS1_30default_config_static_selectorELNS0_4arch9wavefront6targetE0EEEvT1_,"axG",@progbits,_ZN7rocprim17ROCPRIM_400000_NS6detail17trampoline_kernelINS0_14default_configENS1_35adjacent_difference_config_selectorILb0ElEEZNS1_24adjacent_difference_implIS3_Lb0ELb0EPlS7_ZN2at6native12_GLOBAL__N_124unique_dim_cuda_templateImEESt5tupleIJNS8_6TensorESD_SD_EERKSD_lbbbEUlllE1_EE10hipError_tPvRmT2_T3_mT4_P12ihipStream_tbEUlT_E_NS1_11comp_targetILNS1_3genE10ELNS1_11target_archE1201ELNS1_3gpuE5ELNS1_3repE0EEENS1_30default_config_static_selectorELNS0_4arch9wavefront6targetE0EEEvT1_,comdat
.Lfunc_end1639:
	.size	_ZN7rocprim17ROCPRIM_400000_NS6detail17trampoline_kernelINS0_14default_configENS1_35adjacent_difference_config_selectorILb0ElEEZNS1_24adjacent_difference_implIS3_Lb0ELb0EPlS7_ZN2at6native12_GLOBAL__N_124unique_dim_cuda_templateImEESt5tupleIJNS8_6TensorESD_SD_EERKSD_lbbbEUlllE1_EE10hipError_tPvRmT2_T3_mT4_P12ihipStream_tbEUlT_E_NS1_11comp_targetILNS1_3genE10ELNS1_11target_archE1201ELNS1_3gpuE5ELNS1_3repE0EEENS1_30default_config_static_selectorELNS0_4arch9wavefront6targetE0EEEvT1_, .Lfunc_end1639-_ZN7rocprim17ROCPRIM_400000_NS6detail17trampoline_kernelINS0_14default_configENS1_35adjacent_difference_config_selectorILb0ElEEZNS1_24adjacent_difference_implIS3_Lb0ELb0EPlS7_ZN2at6native12_GLOBAL__N_124unique_dim_cuda_templateImEESt5tupleIJNS8_6TensorESD_SD_EERKSD_lbbbEUlllE1_EE10hipError_tPvRmT2_T3_mT4_P12ihipStream_tbEUlT_E_NS1_11comp_targetILNS1_3genE10ELNS1_11target_archE1201ELNS1_3gpuE5ELNS1_3repE0EEENS1_30default_config_static_selectorELNS0_4arch9wavefront6targetE0EEEvT1_
                                        ; -- End function
	.set _ZN7rocprim17ROCPRIM_400000_NS6detail17trampoline_kernelINS0_14default_configENS1_35adjacent_difference_config_selectorILb0ElEEZNS1_24adjacent_difference_implIS3_Lb0ELb0EPlS7_ZN2at6native12_GLOBAL__N_124unique_dim_cuda_templateImEESt5tupleIJNS8_6TensorESD_SD_EERKSD_lbbbEUlllE1_EE10hipError_tPvRmT2_T3_mT4_P12ihipStream_tbEUlT_E_NS1_11comp_targetILNS1_3genE10ELNS1_11target_archE1201ELNS1_3gpuE5ELNS1_3repE0EEENS1_30default_config_static_selectorELNS0_4arch9wavefront6targetE0EEEvT1_.num_vgpr, 0
	.set _ZN7rocprim17ROCPRIM_400000_NS6detail17trampoline_kernelINS0_14default_configENS1_35adjacent_difference_config_selectorILb0ElEEZNS1_24adjacent_difference_implIS3_Lb0ELb0EPlS7_ZN2at6native12_GLOBAL__N_124unique_dim_cuda_templateImEESt5tupleIJNS8_6TensorESD_SD_EERKSD_lbbbEUlllE1_EE10hipError_tPvRmT2_T3_mT4_P12ihipStream_tbEUlT_E_NS1_11comp_targetILNS1_3genE10ELNS1_11target_archE1201ELNS1_3gpuE5ELNS1_3repE0EEENS1_30default_config_static_selectorELNS0_4arch9wavefront6targetE0EEEvT1_.num_agpr, 0
	.set _ZN7rocprim17ROCPRIM_400000_NS6detail17trampoline_kernelINS0_14default_configENS1_35adjacent_difference_config_selectorILb0ElEEZNS1_24adjacent_difference_implIS3_Lb0ELb0EPlS7_ZN2at6native12_GLOBAL__N_124unique_dim_cuda_templateImEESt5tupleIJNS8_6TensorESD_SD_EERKSD_lbbbEUlllE1_EE10hipError_tPvRmT2_T3_mT4_P12ihipStream_tbEUlT_E_NS1_11comp_targetILNS1_3genE10ELNS1_11target_archE1201ELNS1_3gpuE5ELNS1_3repE0EEENS1_30default_config_static_selectorELNS0_4arch9wavefront6targetE0EEEvT1_.numbered_sgpr, 0
	.set _ZN7rocprim17ROCPRIM_400000_NS6detail17trampoline_kernelINS0_14default_configENS1_35adjacent_difference_config_selectorILb0ElEEZNS1_24adjacent_difference_implIS3_Lb0ELb0EPlS7_ZN2at6native12_GLOBAL__N_124unique_dim_cuda_templateImEESt5tupleIJNS8_6TensorESD_SD_EERKSD_lbbbEUlllE1_EE10hipError_tPvRmT2_T3_mT4_P12ihipStream_tbEUlT_E_NS1_11comp_targetILNS1_3genE10ELNS1_11target_archE1201ELNS1_3gpuE5ELNS1_3repE0EEENS1_30default_config_static_selectorELNS0_4arch9wavefront6targetE0EEEvT1_.num_named_barrier, 0
	.set _ZN7rocprim17ROCPRIM_400000_NS6detail17trampoline_kernelINS0_14default_configENS1_35adjacent_difference_config_selectorILb0ElEEZNS1_24adjacent_difference_implIS3_Lb0ELb0EPlS7_ZN2at6native12_GLOBAL__N_124unique_dim_cuda_templateImEESt5tupleIJNS8_6TensorESD_SD_EERKSD_lbbbEUlllE1_EE10hipError_tPvRmT2_T3_mT4_P12ihipStream_tbEUlT_E_NS1_11comp_targetILNS1_3genE10ELNS1_11target_archE1201ELNS1_3gpuE5ELNS1_3repE0EEENS1_30default_config_static_selectorELNS0_4arch9wavefront6targetE0EEEvT1_.private_seg_size, 0
	.set _ZN7rocprim17ROCPRIM_400000_NS6detail17trampoline_kernelINS0_14default_configENS1_35adjacent_difference_config_selectorILb0ElEEZNS1_24adjacent_difference_implIS3_Lb0ELb0EPlS7_ZN2at6native12_GLOBAL__N_124unique_dim_cuda_templateImEESt5tupleIJNS8_6TensorESD_SD_EERKSD_lbbbEUlllE1_EE10hipError_tPvRmT2_T3_mT4_P12ihipStream_tbEUlT_E_NS1_11comp_targetILNS1_3genE10ELNS1_11target_archE1201ELNS1_3gpuE5ELNS1_3repE0EEENS1_30default_config_static_selectorELNS0_4arch9wavefront6targetE0EEEvT1_.uses_vcc, 0
	.set _ZN7rocprim17ROCPRIM_400000_NS6detail17trampoline_kernelINS0_14default_configENS1_35adjacent_difference_config_selectorILb0ElEEZNS1_24adjacent_difference_implIS3_Lb0ELb0EPlS7_ZN2at6native12_GLOBAL__N_124unique_dim_cuda_templateImEESt5tupleIJNS8_6TensorESD_SD_EERKSD_lbbbEUlllE1_EE10hipError_tPvRmT2_T3_mT4_P12ihipStream_tbEUlT_E_NS1_11comp_targetILNS1_3genE10ELNS1_11target_archE1201ELNS1_3gpuE5ELNS1_3repE0EEENS1_30default_config_static_selectorELNS0_4arch9wavefront6targetE0EEEvT1_.uses_flat_scratch, 0
	.set _ZN7rocprim17ROCPRIM_400000_NS6detail17trampoline_kernelINS0_14default_configENS1_35adjacent_difference_config_selectorILb0ElEEZNS1_24adjacent_difference_implIS3_Lb0ELb0EPlS7_ZN2at6native12_GLOBAL__N_124unique_dim_cuda_templateImEESt5tupleIJNS8_6TensorESD_SD_EERKSD_lbbbEUlllE1_EE10hipError_tPvRmT2_T3_mT4_P12ihipStream_tbEUlT_E_NS1_11comp_targetILNS1_3genE10ELNS1_11target_archE1201ELNS1_3gpuE5ELNS1_3repE0EEENS1_30default_config_static_selectorELNS0_4arch9wavefront6targetE0EEEvT1_.has_dyn_sized_stack, 0
	.set _ZN7rocprim17ROCPRIM_400000_NS6detail17trampoline_kernelINS0_14default_configENS1_35adjacent_difference_config_selectorILb0ElEEZNS1_24adjacent_difference_implIS3_Lb0ELb0EPlS7_ZN2at6native12_GLOBAL__N_124unique_dim_cuda_templateImEESt5tupleIJNS8_6TensorESD_SD_EERKSD_lbbbEUlllE1_EE10hipError_tPvRmT2_T3_mT4_P12ihipStream_tbEUlT_E_NS1_11comp_targetILNS1_3genE10ELNS1_11target_archE1201ELNS1_3gpuE5ELNS1_3repE0EEENS1_30default_config_static_selectorELNS0_4arch9wavefront6targetE0EEEvT1_.has_recursion, 0
	.set _ZN7rocprim17ROCPRIM_400000_NS6detail17trampoline_kernelINS0_14default_configENS1_35adjacent_difference_config_selectorILb0ElEEZNS1_24adjacent_difference_implIS3_Lb0ELb0EPlS7_ZN2at6native12_GLOBAL__N_124unique_dim_cuda_templateImEESt5tupleIJNS8_6TensorESD_SD_EERKSD_lbbbEUlllE1_EE10hipError_tPvRmT2_T3_mT4_P12ihipStream_tbEUlT_E_NS1_11comp_targetILNS1_3genE10ELNS1_11target_archE1201ELNS1_3gpuE5ELNS1_3repE0EEENS1_30default_config_static_selectorELNS0_4arch9wavefront6targetE0EEEvT1_.has_indirect_call, 0
	.section	.AMDGPU.csdata,"",@progbits
; Kernel info:
; codeLenInByte = 0
; TotalNumSgprs: 0
; NumVgprs: 0
; ScratchSize: 0
; MemoryBound: 0
; FloatMode: 240
; IeeeMode: 1
; LDSByteSize: 0 bytes/workgroup (compile time only)
; SGPRBlocks: 0
; VGPRBlocks: 0
; NumSGPRsForWavesPerEU: 1
; NumVGPRsForWavesPerEU: 1
; NamedBarCnt: 0
; Occupancy: 16
; WaveLimiterHint : 0
; COMPUTE_PGM_RSRC2:SCRATCH_EN: 0
; COMPUTE_PGM_RSRC2:USER_SGPR: 2
; COMPUTE_PGM_RSRC2:TRAP_HANDLER: 0
; COMPUTE_PGM_RSRC2:TGID_X_EN: 1
; COMPUTE_PGM_RSRC2:TGID_Y_EN: 0
; COMPUTE_PGM_RSRC2:TGID_Z_EN: 0
; COMPUTE_PGM_RSRC2:TIDIG_COMP_CNT: 0
	.section	.text._ZN7rocprim17ROCPRIM_400000_NS6detail17trampoline_kernelINS0_14default_configENS1_35adjacent_difference_config_selectorILb0ElEEZNS1_24adjacent_difference_implIS3_Lb0ELb0EPlS7_ZN2at6native12_GLOBAL__N_124unique_dim_cuda_templateImEESt5tupleIJNS8_6TensorESD_SD_EERKSD_lbbbEUlllE1_EE10hipError_tPvRmT2_T3_mT4_P12ihipStream_tbEUlT_E_NS1_11comp_targetILNS1_3genE5ELNS1_11target_archE942ELNS1_3gpuE9ELNS1_3repE0EEENS1_30default_config_static_selectorELNS0_4arch9wavefront6targetE0EEEvT1_,"axG",@progbits,_ZN7rocprim17ROCPRIM_400000_NS6detail17trampoline_kernelINS0_14default_configENS1_35adjacent_difference_config_selectorILb0ElEEZNS1_24adjacent_difference_implIS3_Lb0ELb0EPlS7_ZN2at6native12_GLOBAL__N_124unique_dim_cuda_templateImEESt5tupleIJNS8_6TensorESD_SD_EERKSD_lbbbEUlllE1_EE10hipError_tPvRmT2_T3_mT4_P12ihipStream_tbEUlT_E_NS1_11comp_targetILNS1_3genE5ELNS1_11target_archE942ELNS1_3gpuE9ELNS1_3repE0EEENS1_30default_config_static_selectorELNS0_4arch9wavefront6targetE0EEEvT1_,comdat
	.globl	_ZN7rocprim17ROCPRIM_400000_NS6detail17trampoline_kernelINS0_14default_configENS1_35adjacent_difference_config_selectorILb0ElEEZNS1_24adjacent_difference_implIS3_Lb0ELb0EPlS7_ZN2at6native12_GLOBAL__N_124unique_dim_cuda_templateImEESt5tupleIJNS8_6TensorESD_SD_EERKSD_lbbbEUlllE1_EE10hipError_tPvRmT2_T3_mT4_P12ihipStream_tbEUlT_E_NS1_11comp_targetILNS1_3genE5ELNS1_11target_archE942ELNS1_3gpuE9ELNS1_3repE0EEENS1_30default_config_static_selectorELNS0_4arch9wavefront6targetE0EEEvT1_ ; -- Begin function _ZN7rocprim17ROCPRIM_400000_NS6detail17trampoline_kernelINS0_14default_configENS1_35adjacent_difference_config_selectorILb0ElEEZNS1_24adjacent_difference_implIS3_Lb0ELb0EPlS7_ZN2at6native12_GLOBAL__N_124unique_dim_cuda_templateImEESt5tupleIJNS8_6TensorESD_SD_EERKSD_lbbbEUlllE1_EE10hipError_tPvRmT2_T3_mT4_P12ihipStream_tbEUlT_E_NS1_11comp_targetILNS1_3genE5ELNS1_11target_archE942ELNS1_3gpuE9ELNS1_3repE0EEENS1_30default_config_static_selectorELNS0_4arch9wavefront6targetE0EEEvT1_
	.p2align	8
	.type	_ZN7rocprim17ROCPRIM_400000_NS6detail17trampoline_kernelINS0_14default_configENS1_35adjacent_difference_config_selectorILb0ElEEZNS1_24adjacent_difference_implIS3_Lb0ELb0EPlS7_ZN2at6native12_GLOBAL__N_124unique_dim_cuda_templateImEESt5tupleIJNS8_6TensorESD_SD_EERKSD_lbbbEUlllE1_EE10hipError_tPvRmT2_T3_mT4_P12ihipStream_tbEUlT_E_NS1_11comp_targetILNS1_3genE5ELNS1_11target_archE942ELNS1_3gpuE9ELNS1_3repE0EEENS1_30default_config_static_selectorELNS0_4arch9wavefront6targetE0EEEvT1_,@function
_ZN7rocprim17ROCPRIM_400000_NS6detail17trampoline_kernelINS0_14default_configENS1_35adjacent_difference_config_selectorILb0ElEEZNS1_24adjacent_difference_implIS3_Lb0ELb0EPlS7_ZN2at6native12_GLOBAL__N_124unique_dim_cuda_templateImEESt5tupleIJNS8_6TensorESD_SD_EERKSD_lbbbEUlllE1_EE10hipError_tPvRmT2_T3_mT4_P12ihipStream_tbEUlT_E_NS1_11comp_targetILNS1_3genE5ELNS1_11target_archE942ELNS1_3gpuE9ELNS1_3repE0EEENS1_30default_config_static_selectorELNS0_4arch9wavefront6targetE0EEEvT1_: ; @_ZN7rocprim17ROCPRIM_400000_NS6detail17trampoline_kernelINS0_14default_configENS1_35adjacent_difference_config_selectorILb0ElEEZNS1_24adjacent_difference_implIS3_Lb0ELb0EPlS7_ZN2at6native12_GLOBAL__N_124unique_dim_cuda_templateImEESt5tupleIJNS8_6TensorESD_SD_EERKSD_lbbbEUlllE1_EE10hipError_tPvRmT2_T3_mT4_P12ihipStream_tbEUlT_E_NS1_11comp_targetILNS1_3genE5ELNS1_11target_archE942ELNS1_3gpuE9ELNS1_3repE0EEENS1_30default_config_static_selectorELNS0_4arch9wavefront6targetE0EEEvT1_
; %bb.0:
	.section	.rodata,"a",@progbits
	.p2align	6, 0x0
	.amdhsa_kernel _ZN7rocprim17ROCPRIM_400000_NS6detail17trampoline_kernelINS0_14default_configENS1_35adjacent_difference_config_selectorILb0ElEEZNS1_24adjacent_difference_implIS3_Lb0ELb0EPlS7_ZN2at6native12_GLOBAL__N_124unique_dim_cuda_templateImEESt5tupleIJNS8_6TensorESD_SD_EERKSD_lbbbEUlllE1_EE10hipError_tPvRmT2_T3_mT4_P12ihipStream_tbEUlT_E_NS1_11comp_targetILNS1_3genE5ELNS1_11target_archE942ELNS1_3gpuE9ELNS1_3repE0EEENS1_30default_config_static_selectorELNS0_4arch9wavefront6targetE0EEEvT1_
		.amdhsa_group_segment_fixed_size 0
		.amdhsa_private_segment_fixed_size 0
		.amdhsa_kernarg_size 64
		.amdhsa_user_sgpr_count 2
		.amdhsa_user_sgpr_dispatch_ptr 0
		.amdhsa_user_sgpr_queue_ptr 0
		.amdhsa_user_sgpr_kernarg_segment_ptr 1
		.amdhsa_user_sgpr_dispatch_id 0
		.amdhsa_user_sgpr_kernarg_preload_length 0
		.amdhsa_user_sgpr_kernarg_preload_offset 0
		.amdhsa_user_sgpr_private_segment_size 0
		.amdhsa_wavefront_size32 1
		.amdhsa_uses_dynamic_stack 0
		.amdhsa_enable_private_segment 0
		.amdhsa_system_sgpr_workgroup_id_x 1
		.amdhsa_system_sgpr_workgroup_id_y 0
		.amdhsa_system_sgpr_workgroup_id_z 0
		.amdhsa_system_sgpr_workgroup_info 0
		.amdhsa_system_vgpr_workitem_id 0
		.amdhsa_next_free_vgpr 1
		.amdhsa_next_free_sgpr 1
		.amdhsa_named_barrier_count 0
		.amdhsa_reserve_vcc 0
		.amdhsa_float_round_mode_32 0
		.amdhsa_float_round_mode_16_64 0
		.amdhsa_float_denorm_mode_32 3
		.amdhsa_float_denorm_mode_16_64 3
		.amdhsa_fp16_overflow 0
		.amdhsa_memory_ordered 1
		.amdhsa_forward_progress 1
		.amdhsa_inst_pref_size 0
		.amdhsa_round_robin_scheduling 0
		.amdhsa_exception_fp_ieee_invalid_op 0
		.amdhsa_exception_fp_denorm_src 0
		.amdhsa_exception_fp_ieee_div_zero 0
		.amdhsa_exception_fp_ieee_overflow 0
		.amdhsa_exception_fp_ieee_underflow 0
		.amdhsa_exception_fp_ieee_inexact 0
		.amdhsa_exception_int_div_zero 0
	.end_amdhsa_kernel
	.section	.text._ZN7rocprim17ROCPRIM_400000_NS6detail17trampoline_kernelINS0_14default_configENS1_35adjacent_difference_config_selectorILb0ElEEZNS1_24adjacent_difference_implIS3_Lb0ELb0EPlS7_ZN2at6native12_GLOBAL__N_124unique_dim_cuda_templateImEESt5tupleIJNS8_6TensorESD_SD_EERKSD_lbbbEUlllE1_EE10hipError_tPvRmT2_T3_mT4_P12ihipStream_tbEUlT_E_NS1_11comp_targetILNS1_3genE5ELNS1_11target_archE942ELNS1_3gpuE9ELNS1_3repE0EEENS1_30default_config_static_selectorELNS0_4arch9wavefront6targetE0EEEvT1_,"axG",@progbits,_ZN7rocprim17ROCPRIM_400000_NS6detail17trampoline_kernelINS0_14default_configENS1_35adjacent_difference_config_selectorILb0ElEEZNS1_24adjacent_difference_implIS3_Lb0ELb0EPlS7_ZN2at6native12_GLOBAL__N_124unique_dim_cuda_templateImEESt5tupleIJNS8_6TensorESD_SD_EERKSD_lbbbEUlllE1_EE10hipError_tPvRmT2_T3_mT4_P12ihipStream_tbEUlT_E_NS1_11comp_targetILNS1_3genE5ELNS1_11target_archE942ELNS1_3gpuE9ELNS1_3repE0EEENS1_30default_config_static_selectorELNS0_4arch9wavefront6targetE0EEEvT1_,comdat
.Lfunc_end1640:
	.size	_ZN7rocprim17ROCPRIM_400000_NS6detail17trampoline_kernelINS0_14default_configENS1_35adjacent_difference_config_selectorILb0ElEEZNS1_24adjacent_difference_implIS3_Lb0ELb0EPlS7_ZN2at6native12_GLOBAL__N_124unique_dim_cuda_templateImEESt5tupleIJNS8_6TensorESD_SD_EERKSD_lbbbEUlllE1_EE10hipError_tPvRmT2_T3_mT4_P12ihipStream_tbEUlT_E_NS1_11comp_targetILNS1_3genE5ELNS1_11target_archE942ELNS1_3gpuE9ELNS1_3repE0EEENS1_30default_config_static_selectorELNS0_4arch9wavefront6targetE0EEEvT1_, .Lfunc_end1640-_ZN7rocprim17ROCPRIM_400000_NS6detail17trampoline_kernelINS0_14default_configENS1_35adjacent_difference_config_selectorILb0ElEEZNS1_24adjacent_difference_implIS3_Lb0ELb0EPlS7_ZN2at6native12_GLOBAL__N_124unique_dim_cuda_templateImEESt5tupleIJNS8_6TensorESD_SD_EERKSD_lbbbEUlllE1_EE10hipError_tPvRmT2_T3_mT4_P12ihipStream_tbEUlT_E_NS1_11comp_targetILNS1_3genE5ELNS1_11target_archE942ELNS1_3gpuE9ELNS1_3repE0EEENS1_30default_config_static_selectorELNS0_4arch9wavefront6targetE0EEEvT1_
                                        ; -- End function
	.set _ZN7rocprim17ROCPRIM_400000_NS6detail17trampoline_kernelINS0_14default_configENS1_35adjacent_difference_config_selectorILb0ElEEZNS1_24adjacent_difference_implIS3_Lb0ELb0EPlS7_ZN2at6native12_GLOBAL__N_124unique_dim_cuda_templateImEESt5tupleIJNS8_6TensorESD_SD_EERKSD_lbbbEUlllE1_EE10hipError_tPvRmT2_T3_mT4_P12ihipStream_tbEUlT_E_NS1_11comp_targetILNS1_3genE5ELNS1_11target_archE942ELNS1_3gpuE9ELNS1_3repE0EEENS1_30default_config_static_selectorELNS0_4arch9wavefront6targetE0EEEvT1_.num_vgpr, 0
	.set _ZN7rocprim17ROCPRIM_400000_NS6detail17trampoline_kernelINS0_14default_configENS1_35adjacent_difference_config_selectorILb0ElEEZNS1_24adjacent_difference_implIS3_Lb0ELb0EPlS7_ZN2at6native12_GLOBAL__N_124unique_dim_cuda_templateImEESt5tupleIJNS8_6TensorESD_SD_EERKSD_lbbbEUlllE1_EE10hipError_tPvRmT2_T3_mT4_P12ihipStream_tbEUlT_E_NS1_11comp_targetILNS1_3genE5ELNS1_11target_archE942ELNS1_3gpuE9ELNS1_3repE0EEENS1_30default_config_static_selectorELNS0_4arch9wavefront6targetE0EEEvT1_.num_agpr, 0
	.set _ZN7rocprim17ROCPRIM_400000_NS6detail17trampoline_kernelINS0_14default_configENS1_35adjacent_difference_config_selectorILb0ElEEZNS1_24adjacent_difference_implIS3_Lb0ELb0EPlS7_ZN2at6native12_GLOBAL__N_124unique_dim_cuda_templateImEESt5tupleIJNS8_6TensorESD_SD_EERKSD_lbbbEUlllE1_EE10hipError_tPvRmT2_T3_mT4_P12ihipStream_tbEUlT_E_NS1_11comp_targetILNS1_3genE5ELNS1_11target_archE942ELNS1_3gpuE9ELNS1_3repE0EEENS1_30default_config_static_selectorELNS0_4arch9wavefront6targetE0EEEvT1_.numbered_sgpr, 0
	.set _ZN7rocprim17ROCPRIM_400000_NS6detail17trampoline_kernelINS0_14default_configENS1_35adjacent_difference_config_selectorILb0ElEEZNS1_24adjacent_difference_implIS3_Lb0ELb0EPlS7_ZN2at6native12_GLOBAL__N_124unique_dim_cuda_templateImEESt5tupleIJNS8_6TensorESD_SD_EERKSD_lbbbEUlllE1_EE10hipError_tPvRmT2_T3_mT4_P12ihipStream_tbEUlT_E_NS1_11comp_targetILNS1_3genE5ELNS1_11target_archE942ELNS1_3gpuE9ELNS1_3repE0EEENS1_30default_config_static_selectorELNS0_4arch9wavefront6targetE0EEEvT1_.num_named_barrier, 0
	.set _ZN7rocprim17ROCPRIM_400000_NS6detail17trampoline_kernelINS0_14default_configENS1_35adjacent_difference_config_selectorILb0ElEEZNS1_24adjacent_difference_implIS3_Lb0ELb0EPlS7_ZN2at6native12_GLOBAL__N_124unique_dim_cuda_templateImEESt5tupleIJNS8_6TensorESD_SD_EERKSD_lbbbEUlllE1_EE10hipError_tPvRmT2_T3_mT4_P12ihipStream_tbEUlT_E_NS1_11comp_targetILNS1_3genE5ELNS1_11target_archE942ELNS1_3gpuE9ELNS1_3repE0EEENS1_30default_config_static_selectorELNS0_4arch9wavefront6targetE0EEEvT1_.private_seg_size, 0
	.set _ZN7rocprim17ROCPRIM_400000_NS6detail17trampoline_kernelINS0_14default_configENS1_35adjacent_difference_config_selectorILb0ElEEZNS1_24adjacent_difference_implIS3_Lb0ELb0EPlS7_ZN2at6native12_GLOBAL__N_124unique_dim_cuda_templateImEESt5tupleIJNS8_6TensorESD_SD_EERKSD_lbbbEUlllE1_EE10hipError_tPvRmT2_T3_mT4_P12ihipStream_tbEUlT_E_NS1_11comp_targetILNS1_3genE5ELNS1_11target_archE942ELNS1_3gpuE9ELNS1_3repE0EEENS1_30default_config_static_selectorELNS0_4arch9wavefront6targetE0EEEvT1_.uses_vcc, 0
	.set _ZN7rocprim17ROCPRIM_400000_NS6detail17trampoline_kernelINS0_14default_configENS1_35adjacent_difference_config_selectorILb0ElEEZNS1_24adjacent_difference_implIS3_Lb0ELb0EPlS7_ZN2at6native12_GLOBAL__N_124unique_dim_cuda_templateImEESt5tupleIJNS8_6TensorESD_SD_EERKSD_lbbbEUlllE1_EE10hipError_tPvRmT2_T3_mT4_P12ihipStream_tbEUlT_E_NS1_11comp_targetILNS1_3genE5ELNS1_11target_archE942ELNS1_3gpuE9ELNS1_3repE0EEENS1_30default_config_static_selectorELNS0_4arch9wavefront6targetE0EEEvT1_.uses_flat_scratch, 0
	.set _ZN7rocprim17ROCPRIM_400000_NS6detail17trampoline_kernelINS0_14default_configENS1_35adjacent_difference_config_selectorILb0ElEEZNS1_24adjacent_difference_implIS3_Lb0ELb0EPlS7_ZN2at6native12_GLOBAL__N_124unique_dim_cuda_templateImEESt5tupleIJNS8_6TensorESD_SD_EERKSD_lbbbEUlllE1_EE10hipError_tPvRmT2_T3_mT4_P12ihipStream_tbEUlT_E_NS1_11comp_targetILNS1_3genE5ELNS1_11target_archE942ELNS1_3gpuE9ELNS1_3repE0EEENS1_30default_config_static_selectorELNS0_4arch9wavefront6targetE0EEEvT1_.has_dyn_sized_stack, 0
	.set _ZN7rocprim17ROCPRIM_400000_NS6detail17trampoline_kernelINS0_14default_configENS1_35adjacent_difference_config_selectorILb0ElEEZNS1_24adjacent_difference_implIS3_Lb0ELb0EPlS7_ZN2at6native12_GLOBAL__N_124unique_dim_cuda_templateImEESt5tupleIJNS8_6TensorESD_SD_EERKSD_lbbbEUlllE1_EE10hipError_tPvRmT2_T3_mT4_P12ihipStream_tbEUlT_E_NS1_11comp_targetILNS1_3genE5ELNS1_11target_archE942ELNS1_3gpuE9ELNS1_3repE0EEENS1_30default_config_static_selectorELNS0_4arch9wavefront6targetE0EEEvT1_.has_recursion, 0
	.set _ZN7rocprim17ROCPRIM_400000_NS6detail17trampoline_kernelINS0_14default_configENS1_35adjacent_difference_config_selectorILb0ElEEZNS1_24adjacent_difference_implIS3_Lb0ELb0EPlS7_ZN2at6native12_GLOBAL__N_124unique_dim_cuda_templateImEESt5tupleIJNS8_6TensorESD_SD_EERKSD_lbbbEUlllE1_EE10hipError_tPvRmT2_T3_mT4_P12ihipStream_tbEUlT_E_NS1_11comp_targetILNS1_3genE5ELNS1_11target_archE942ELNS1_3gpuE9ELNS1_3repE0EEENS1_30default_config_static_selectorELNS0_4arch9wavefront6targetE0EEEvT1_.has_indirect_call, 0
	.section	.AMDGPU.csdata,"",@progbits
; Kernel info:
; codeLenInByte = 0
; TotalNumSgprs: 0
; NumVgprs: 0
; ScratchSize: 0
; MemoryBound: 0
; FloatMode: 240
; IeeeMode: 1
; LDSByteSize: 0 bytes/workgroup (compile time only)
; SGPRBlocks: 0
; VGPRBlocks: 0
; NumSGPRsForWavesPerEU: 1
; NumVGPRsForWavesPerEU: 1
; NamedBarCnt: 0
; Occupancy: 16
; WaveLimiterHint : 0
; COMPUTE_PGM_RSRC2:SCRATCH_EN: 0
; COMPUTE_PGM_RSRC2:USER_SGPR: 2
; COMPUTE_PGM_RSRC2:TRAP_HANDLER: 0
; COMPUTE_PGM_RSRC2:TGID_X_EN: 1
; COMPUTE_PGM_RSRC2:TGID_Y_EN: 0
; COMPUTE_PGM_RSRC2:TGID_Z_EN: 0
; COMPUTE_PGM_RSRC2:TIDIG_COMP_CNT: 0
	.section	.text._ZN7rocprim17ROCPRIM_400000_NS6detail17trampoline_kernelINS0_14default_configENS1_35adjacent_difference_config_selectorILb0ElEEZNS1_24adjacent_difference_implIS3_Lb0ELb0EPlS7_ZN2at6native12_GLOBAL__N_124unique_dim_cuda_templateImEESt5tupleIJNS8_6TensorESD_SD_EERKSD_lbbbEUlllE1_EE10hipError_tPvRmT2_T3_mT4_P12ihipStream_tbEUlT_E_NS1_11comp_targetILNS1_3genE4ELNS1_11target_archE910ELNS1_3gpuE8ELNS1_3repE0EEENS1_30default_config_static_selectorELNS0_4arch9wavefront6targetE0EEEvT1_,"axG",@progbits,_ZN7rocprim17ROCPRIM_400000_NS6detail17trampoline_kernelINS0_14default_configENS1_35adjacent_difference_config_selectorILb0ElEEZNS1_24adjacent_difference_implIS3_Lb0ELb0EPlS7_ZN2at6native12_GLOBAL__N_124unique_dim_cuda_templateImEESt5tupleIJNS8_6TensorESD_SD_EERKSD_lbbbEUlllE1_EE10hipError_tPvRmT2_T3_mT4_P12ihipStream_tbEUlT_E_NS1_11comp_targetILNS1_3genE4ELNS1_11target_archE910ELNS1_3gpuE8ELNS1_3repE0EEENS1_30default_config_static_selectorELNS0_4arch9wavefront6targetE0EEEvT1_,comdat
	.globl	_ZN7rocprim17ROCPRIM_400000_NS6detail17trampoline_kernelINS0_14default_configENS1_35adjacent_difference_config_selectorILb0ElEEZNS1_24adjacent_difference_implIS3_Lb0ELb0EPlS7_ZN2at6native12_GLOBAL__N_124unique_dim_cuda_templateImEESt5tupleIJNS8_6TensorESD_SD_EERKSD_lbbbEUlllE1_EE10hipError_tPvRmT2_T3_mT4_P12ihipStream_tbEUlT_E_NS1_11comp_targetILNS1_3genE4ELNS1_11target_archE910ELNS1_3gpuE8ELNS1_3repE0EEENS1_30default_config_static_selectorELNS0_4arch9wavefront6targetE0EEEvT1_ ; -- Begin function _ZN7rocprim17ROCPRIM_400000_NS6detail17trampoline_kernelINS0_14default_configENS1_35adjacent_difference_config_selectorILb0ElEEZNS1_24adjacent_difference_implIS3_Lb0ELb0EPlS7_ZN2at6native12_GLOBAL__N_124unique_dim_cuda_templateImEESt5tupleIJNS8_6TensorESD_SD_EERKSD_lbbbEUlllE1_EE10hipError_tPvRmT2_T3_mT4_P12ihipStream_tbEUlT_E_NS1_11comp_targetILNS1_3genE4ELNS1_11target_archE910ELNS1_3gpuE8ELNS1_3repE0EEENS1_30default_config_static_selectorELNS0_4arch9wavefront6targetE0EEEvT1_
	.p2align	8
	.type	_ZN7rocprim17ROCPRIM_400000_NS6detail17trampoline_kernelINS0_14default_configENS1_35adjacent_difference_config_selectorILb0ElEEZNS1_24adjacent_difference_implIS3_Lb0ELb0EPlS7_ZN2at6native12_GLOBAL__N_124unique_dim_cuda_templateImEESt5tupleIJNS8_6TensorESD_SD_EERKSD_lbbbEUlllE1_EE10hipError_tPvRmT2_T3_mT4_P12ihipStream_tbEUlT_E_NS1_11comp_targetILNS1_3genE4ELNS1_11target_archE910ELNS1_3gpuE8ELNS1_3repE0EEENS1_30default_config_static_selectorELNS0_4arch9wavefront6targetE0EEEvT1_,@function
_ZN7rocprim17ROCPRIM_400000_NS6detail17trampoline_kernelINS0_14default_configENS1_35adjacent_difference_config_selectorILb0ElEEZNS1_24adjacent_difference_implIS3_Lb0ELb0EPlS7_ZN2at6native12_GLOBAL__N_124unique_dim_cuda_templateImEESt5tupleIJNS8_6TensorESD_SD_EERKSD_lbbbEUlllE1_EE10hipError_tPvRmT2_T3_mT4_P12ihipStream_tbEUlT_E_NS1_11comp_targetILNS1_3genE4ELNS1_11target_archE910ELNS1_3gpuE8ELNS1_3repE0EEENS1_30default_config_static_selectorELNS0_4arch9wavefront6targetE0EEEvT1_: ; @_ZN7rocprim17ROCPRIM_400000_NS6detail17trampoline_kernelINS0_14default_configENS1_35adjacent_difference_config_selectorILb0ElEEZNS1_24adjacent_difference_implIS3_Lb0ELb0EPlS7_ZN2at6native12_GLOBAL__N_124unique_dim_cuda_templateImEESt5tupleIJNS8_6TensorESD_SD_EERKSD_lbbbEUlllE1_EE10hipError_tPvRmT2_T3_mT4_P12ihipStream_tbEUlT_E_NS1_11comp_targetILNS1_3genE4ELNS1_11target_archE910ELNS1_3gpuE8ELNS1_3repE0EEENS1_30default_config_static_selectorELNS0_4arch9wavefront6targetE0EEEvT1_
; %bb.0:
	.section	.rodata,"a",@progbits
	.p2align	6, 0x0
	.amdhsa_kernel _ZN7rocprim17ROCPRIM_400000_NS6detail17trampoline_kernelINS0_14default_configENS1_35adjacent_difference_config_selectorILb0ElEEZNS1_24adjacent_difference_implIS3_Lb0ELb0EPlS7_ZN2at6native12_GLOBAL__N_124unique_dim_cuda_templateImEESt5tupleIJNS8_6TensorESD_SD_EERKSD_lbbbEUlllE1_EE10hipError_tPvRmT2_T3_mT4_P12ihipStream_tbEUlT_E_NS1_11comp_targetILNS1_3genE4ELNS1_11target_archE910ELNS1_3gpuE8ELNS1_3repE0EEENS1_30default_config_static_selectorELNS0_4arch9wavefront6targetE0EEEvT1_
		.amdhsa_group_segment_fixed_size 0
		.amdhsa_private_segment_fixed_size 0
		.amdhsa_kernarg_size 64
		.amdhsa_user_sgpr_count 2
		.amdhsa_user_sgpr_dispatch_ptr 0
		.amdhsa_user_sgpr_queue_ptr 0
		.amdhsa_user_sgpr_kernarg_segment_ptr 1
		.amdhsa_user_sgpr_dispatch_id 0
		.amdhsa_user_sgpr_kernarg_preload_length 0
		.amdhsa_user_sgpr_kernarg_preload_offset 0
		.amdhsa_user_sgpr_private_segment_size 0
		.amdhsa_wavefront_size32 1
		.amdhsa_uses_dynamic_stack 0
		.amdhsa_enable_private_segment 0
		.amdhsa_system_sgpr_workgroup_id_x 1
		.amdhsa_system_sgpr_workgroup_id_y 0
		.amdhsa_system_sgpr_workgroup_id_z 0
		.amdhsa_system_sgpr_workgroup_info 0
		.amdhsa_system_vgpr_workitem_id 0
		.amdhsa_next_free_vgpr 1
		.amdhsa_next_free_sgpr 1
		.amdhsa_named_barrier_count 0
		.amdhsa_reserve_vcc 0
		.amdhsa_float_round_mode_32 0
		.amdhsa_float_round_mode_16_64 0
		.amdhsa_float_denorm_mode_32 3
		.amdhsa_float_denorm_mode_16_64 3
		.amdhsa_fp16_overflow 0
		.amdhsa_memory_ordered 1
		.amdhsa_forward_progress 1
		.amdhsa_inst_pref_size 0
		.amdhsa_round_robin_scheduling 0
		.amdhsa_exception_fp_ieee_invalid_op 0
		.amdhsa_exception_fp_denorm_src 0
		.amdhsa_exception_fp_ieee_div_zero 0
		.amdhsa_exception_fp_ieee_overflow 0
		.amdhsa_exception_fp_ieee_underflow 0
		.amdhsa_exception_fp_ieee_inexact 0
		.amdhsa_exception_int_div_zero 0
	.end_amdhsa_kernel
	.section	.text._ZN7rocprim17ROCPRIM_400000_NS6detail17trampoline_kernelINS0_14default_configENS1_35adjacent_difference_config_selectorILb0ElEEZNS1_24adjacent_difference_implIS3_Lb0ELb0EPlS7_ZN2at6native12_GLOBAL__N_124unique_dim_cuda_templateImEESt5tupleIJNS8_6TensorESD_SD_EERKSD_lbbbEUlllE1_EE10hipError_tPvRmT2_T3_mT4_P12ihipStream_tbEUlT_E_NS1_11comp_targetILNS1_3genE4ELNS1_11target_archE910ELNS1_3gpuE8ELNS1_3repE0EEENS1_30default_config_static_selectorELNS0_4arch9wavefront6targetE0EEEvT1_,"axG",@progbits,_ZN7rocprim17ROCPRIM_400000_NS6detail17trampoline_kernelINS0_14default_configENS1_35adjacent_difference_config_selectorILb0ElEEZNS1_24adjacent_difference_implIS3_Lb0ELb0EPlS7_ZN2at6native12_GLOBAL__N_124unique_dim_cuda_templateImEESt5tupleIJNS8_6TensorESD_SD_EERKSD_lbbbEUlllE1_EE10hipError_tPvRmT2_T3_mT4_P12ihipStream_tbEUlT_E_NS1_11comp_targetILNS1_3genE4ELNS1_11target_archE910ELNS1_3gpuE8ELNS1_3repE0EEENS1_30default_config_static_selectorELNS0_4arch9wavefront6targetE0EEEvT1_,comdat
.Lfunc_end1641:
	.size	_ZN7rocprim17ROCPRIM_400000_NS6detail17trampoline_kernelINS0_14default_configENS1_35adjacent_difference_config_selectorILb0ElEEZNS1_24adjacent_difference_implIS3_Lb0ELb0EPlS7_ZN2at6native12_GLOBAL__N_124unique_dim_cuda_templateImEESt5tupleIJNS8_6TensorESD_SD_EERKSD_lbbbEUlllE1_EE10hipError_tPvRmT2_T3_mT4_P12ihipStream_tbEUlT_E_NS1_11comp_targetILNS1_3genE4ELNS1_11target_archE910ELNS1_3gpuE8ELNS1_3repE0EEENS1_30default_config_static_selectorELNS0_4arch9wavefront6targetE0EEEvT1_, .Lfunc_end1641-_ZN7rocprim17ROCPRIM_400000_NS6detail17trampoline_kernelINS0_14default_configENS1_35adjacent_difference_config_selectorILb0ElEEZNS1_24adjacent_difference_implIS3_Lb0ELb0EPlS7_ZN2at6native12_GLOBAL__N_124unique_dim_cuda_templateImEESt5tupleIJNS8_6TensorESD_SD_EERKSD_lbbbEUlllE1_EE10hipError_tPvRmT2_T3_mT4_P12ihipStream_tbEUlT_E_NS1_11comp_targetILNS1_3genE4ELNS1_11target_archE910ELNS1_3gpuE8ELNS1_3repE0EEENS1_30default_config_static_selectorELNS0_4arch9wavefront6targetE0EEEvT1_
                                        ; -- End function
	.set _ZN7rocprim17ROCPRIM_400000_NS6detail17trampoline_kernelINS0_14default_configENS1_35adjacent_difference_config_selectorILb0ElEEZNS1_24adjacent_difference_implIS3_Lb0ELb0EPlS7_ZN2at6native12_GLOBAL__N_124unique_dim_cuda_templateImEESt5tupleIJNS8_6TensorESD_SD_EERKSD_lbbbEUlllE1_EE10hipError_tPvRmT2_T3_mT4_P12ihipStream_tbEUlT_E_NS1_11comp_targetILNS1_3genE4ELNS1_11target_archE910ELNS1_3gpuE8ELNS1_3repE0EEENS1_30default_config_static_selectorELNS0_4arch9wavefront6targetE0EEEvT1_.num_vgpr, 0
	.set _ZN7rocprim17ROCPRIM_400000_NS6detail17trampoline_kernelINS0_14default_configENS1_35adjacent_difference_config_selectorILb0ElEEZNS1_24adjacent_difference_implIS3_Lb0ELb0EPlS7_ZN2at6native12_GLOBAL__N_124unique_dim_cuda_templateImEESt5tupleIJNS8_6TensorESD_SD_EERKSD_lbbbEUlllE1_EE10hipError_tPvRmT2_T3_mT4_P12ihipStream_tbEUlT_E_NS1_11comp_targetILNS1_3genE4ELNS1_11target_archE910ELNS1_3gpuE8ELNS1_3repE0EEENS1_30default_config_static_selectorELNS0_4arch9wavefront6targetE0EEEvT1_.num_agpr, 0
	.set _ZN7rocprim17ROCPRIM_400000_NS6detail17trampoline_kernelINS0_14default_configENS1_35adjacent_difference_config_selectorILb0ElEEZNS1_24adjacent_difference_implIS3_Lb0ELb0EPlS7_ZN2at6native12_GLOBAL__N_124unique_dim_cuda_templateImEESt5tupleIJNS8_6TensorESD_SD_EERKSD_lbbbEUlllE1_EE10hipError_tPvRmT2_T3_mT4_P12ihipStream_tbEUlT_E_NS1_11comp_targetILNS1_3genE4ELNS1_11target_archE910ELNS1_3gpuE8ELNS1_3repE0EEENS1_30default_config_static_selectorELNS0_4arch9wavefront6targetE0EEEvT1_.numbered_sgpr, 0
	.set _ZN7rocprim17ROCPRIM_400000_NS6detail17trampoline_kernelINS0_14default_configENS1_35adjacent_difference_config_selectorILb0ElEEZNS1_24adjacent_difference_implIS3_Lb0ELb0EPlS7_ZN2at6native12_GLOBAL__N_124unique_dim_cuda_templateImEESt5tupleIJNS8_6TensorESD_SD_EERKSD_lbbbEUlllE1_EE10hipError_tPvRmT2_T3_mT4_P12ihipStream_tbEUlT_E_NS1_11comp_targetILNS1_3genE4ELNS1_11target_archE910ELNS1_3gpuE8ELNS1_3repE0EEENS1_30default_config_static_selectorELNS0_4arch9wavefront6targetE0EEEvT1_.num_named_barrier, 0
	.set _ZN7rocprim17ROCPRIM_400000_NS6detail17trampoline_kernelINS0_14default_configENS1_35adjacent_difference_config_selectorILb0ElEEZNS1_24adjacent_difference_implIS3_Lb0ELb0EPlS7_ZN2at6native12_GLOBAL__N_124unique_dim_cuda_templateImEESt5tupleIJNS8_6TensorESD_SD_EERKSD_lbbbEUlllE1_EE10hipError_tPvRmT2_T3_mT4_P12ihipStream_tbEUlT_E_NS1_11comp_targetILNS1_3genE4ELNS1_11target_archE910ELNS1_3gpuE8ELNS1_3repE0EEENS1_30default_config_static_selectorELNS0_4arch9wavefront6targetE0EEEvT1_.private_seg_size, 0
	.set _ZN7rocprim17ROCPRIM_400000_NS6detail17trampoline_kernelINS0_14default_configENS1_35adjacent_difference_config_selectorILb0ElEEZNS1_24adjacent_difference_implIS3_Lb0ELb0EPlS7_ZN2at6native12_GLOBAL__N_124unique_dim_cuda_templateImEESt5tupleIJNS8_6TensorESD_SD_EERKSD_lbbbEUlllE1_EE10hipError_tPvRmT2_T3_mT4_P12ihipStream_tbEUlT_E_NS1_11comp_targetILNS1_3genE4ELNS1_11target_archE910ELNS1_3gpuE8ELNS1_3repE0EEENS1_30default_config_static_selectorELNS0_4arch9wavefront6targetE0EEEvT1_.uses_vcc, 0
	.set _ZN7rocprim17ROCPRIM_400000_NS6detail17trampoline_kernelINS0_14default_configENS1_35adjacent_difference_config_selectorILb0ElEEZNS1_24adjacent_difference_implIS3_Lb0ELb0EPlS7_ZN2at6native12_GLOBAL__N_124unique_dim_cuda_templateImEESt5tupleIJNS8_6TensorESD_SD_EERKSD_lbbbEUlllE1_EE10hipError_tPvRmT2_T3_mT4_P12ihipStream_tbEUlT_E_NS1_11comp_targetILNS1_3genE4ELNS1_11target_archE910ELNS1_3gpuE8ELNS1_3repE0EEENS1_30default_config_static_selectorELNS0_4arch9wavefront6targetE0EEEvT1_.uses_flat_scratch, 0
	.set _ZN7rocprim17ROCPRIM_400000_NS6detail17trampoline_kernelINS0_14default_configENS1_35adjacent_difference_config_selectorILb0ElEEZNS1_24adjacent_difference_implIS3_Lb0ELb0EPlS7_ZN2at6native12_GLOBAL__N_124unique_dim_cuda_templateImEESt5tupleIJNS8_6TensorESD_SD_EERKSD_lbbbEUlllE1_EE10hipError_tPvRmT2_T3_mT4_P12ihipStream_tbEUlT_E_NS1_11comp_targetILNS1_3genE4ELNS1_11target_archE910ELNS1_3gpuE8ELNS1_3repE0EEENS1_30default_config_static_selectorELNS0_4arch9wavefront6targetE0EEEvT1_.has_dyn_sized_stack, 0
	.set _ZN7rocprim17ROCPRIM_400000_NS6detail17trampoline_kernelINS0_14default_configENS1_35adjacent_difference_config_selectorILb0ElEEZNS1_24adjacent_difference_implIS3_Lb0ELb0EPlS7_ZN2at6native12_GLOBAL__N_124unique_dim_cuda_templateImEESt5tupleIJNS8_6TensorESD_SD_EERKSD_lbbbEUlllE1_EE10hipError_tPvRmT2_T3_mT4_P12ihipStream_tbEUlT_E_NS1_11comp_targetILNS1_3genE4ELNS1_11target_archE910ELNS1_3gpuE8ELNS1_3repE0EEENS1_30default_config_static_selectorELNS0_4arch9wavefront6targetE0EEEvT1_.has_recursion, 0
	.set _ZN7rocprim17ROCPRIM_400000_NS6detail17trampoline_kernelINS0_14default_configENS1_35adjacent_difference_config_selectorILb0ElEEZNS1_24adjacent_difference_implIS3_Lb0ELb0EPlS7_ZN2at6native12_GLOBAL__N_124unique_dim_cuda_templateImEESt5tupleIJNS8_6TensorESD_SD_EERKSD_lbbbEUlllE1_EE10hipError_tPvRmT2_T3_mT4_P12ihipStream_tbEUlT_E_NS1_11comp_targetILNS1_3genE4ELNS1_11target_archE910ELNS1_3gpuE8ELNS1_3repE0EEENS1_30default_config_static_selectorELNS0_4arch9wavefront6targetE0EEEvT1_.has_indirect_call, 0
	.section	.AMDGPU.csdata,"",@progbits
; Kernel info:
; codeLenInByte = 0
; TotalNumSgprs: 0
; NumVgprs: 0
; ScratchSize: 0
; MemoryBound: 0
; FloatMode: 240
; IeeeMode: 1
; LDSByteSize: 0 bytes/workgroup (compile time only)
; SGPRBlocks: 0
; VGPRBlocks: 0
; NumSGPRsForWavesPerEU: 1
; NumVGPRsForWavesPerEU: 1
; NamedBarCnt: 0
; Occupancy: 16
; WaveLimiterHint : 0
; COMPUTE_PGM_RSRC2:SCRATCH_EN: 0
; COMPUTE_PGM_RSRC2:USER_SGPR: 2
; COMPUTE_PGM_RSRC2:TRAP_HANDLER: 0
; COMPUTE_PGM_RSRC2:TGID_X_EN: 1
; COMPUTE_PGM_RSRC2:TGID_Y_EN: 0
; COMPUTE_PGM_RSRC2:TGID_Z_EN: 0
; COMPUTE_PGM_RSRC2:TIDIG_COMP_CNT: 0
	.section	.text._ZN7rocprim17ROCPRIM_400000_NS6detail17trampoline_kernelINS0_14default_configENS1_35adjacent_difference_config_selectorILb0ElEEZNS1_24adjacent_difference_implIS3_Lb0ELb0EPlS7_ZN2at6native12_GLOBAL__N_124unique_dim_cuda_templateImEESt5tupleIJNS8_6TensorESD_SD_EERKSD_lbbbEUlllE1_EE10hipError_tPvRmT2_T3_mT4_P12ihipStream_tbEUlT_E_NS1_11comp_targetILNS1_3genE3ELNS1_11target_archE908ELNS1_3gpuE7ELNS1_3repE0EEENS1_30default_config_static_selectorELNS0_4arch9wavefront6targetE0EEEvT1_,"axG",@progbits,_ZN7rocprim17ROCPRIM_400000_NS6detail17trampoline_kernelINS0_14default_configENS1_35adjacent_difference_config_selectorILb0ElEEZNS1_24adjacent_difference_implIS3_Lb0ELb0EPlS7_ZN2at6native12_GLOBAL__N_124unique_dim_cuda_templateImEESt5tupleIJNS8_6TensorESD_SD_EERKSD_lbbbEUlllE1_EE10hipError_tPvRmT2_T3_mT4_P12ihipStream_tbEUlT_E_NS1_11comp_targetILNS1_3genE3ELNS1_11target_archE908ELNS1_3gpuE7ELNS1_3repE0EEENS1_30default_config_static_selectorELNS0_4arch9wavefront6targetE0EEEvT1_,comdat
	.globl	_ZN7rocprim17ROCPRIM_400000_NS6detail17trampoline_kernelINS0_14default_configENS1_35adjacent_difference_config_selectorILb0ElEEZNS1_24adjacent_difference_implIS3_Lb0ELb0EPlS7_ZN2at6native12_GLOBAL__N_124unique_dim_cuda_templateImEESt5tupleIJNS8_6TensorESD_SD_EERKSD_lbbbEUlllE1_EE10hipError_tPvRmT2_T3_mT4_P12ihipStream_tbEUlT_E_NS1_11comp_targetILNS1_3genE3ELNS1_11target_archE908ELNS1_3gpuE7ELNS1_3repE0EEENS1_30default_config_static_selectorELNS0_4arch9wavefront6targetE0EEEvT1_ ; -- Begin function _ZN7rocprim17ROCPRIM_400000_NS6detail17trampoline_kernelINS0_14default_configENS1_35adjacent_difference_config_selectorILb0ElEEZNS1_24adjacent_difference_implIS3_Lb0ELb0EPlS7_ZN2at6native12_GLOBAL__N_124unique_dim_cuda_templateImEESt5tupleIJNS8_6TensorESD_SD_EERKSD_lbbbEUlllE1_EE10hipError_tPvRmT2_T3_mT4_P12ihipStream_tbEUlT_E_NS1_11comp_targetILNS1_3genE3ELNS1_11target_archE908ELNS1_3gpuE7ELNS1_3repE0EEENS1_30default_config_static_selectorELNS0_4arch9wavefront6targetE0EEEvT1_
	.p2align	8
	.type	_ZN7rocprim17ROCPRIM_400000_NS6detail17trampoline_kernelINS0_14default_configENS1_35adjacent_difference_config_selectorILb0ElEEZNS1_24adjacent_difference_implIS3_Lb0ELb0EPlS7_ZN2at6native12_GLOBAL__N_124unique_dim_cuda_templateImEESt5tupleIJNS8_6TensorESD_SD_EERKSD_lbbbEUlllE1_EE10hipError_tPvRmT2_T3_mT4_P12ihipStream_tbEUlT_E_NS1_11comp_targetILNS1_3genE3ELNS1_11target_archE908ELNS1_3gpuE7ELNS1_3repE0EEENS1_30default_config_static_selectorELNS0_4arch9wavefront6targetE0EEEvT1_,@function
_ZN7rocprim17ROCPRIM_400000_NS6detail17trampoline_kernelINS0_14default_configENS1_35adjacent_difference_config_selectorILb0ElEEZNS1_24adjacent_difference_implIS3_Lb0ELb0EPlS7_ZN2at6native12_GLOBAL__N_124unique_dim_cuda_templateImEESt5tupleIJNS8_6TensorESD_SD_EERKSD_lbbbEUlllE1_EE10hipError_tPvRmT2_T3_mT4_P12ihipStream_tbEUlT_E_NS1_11comp_targetILNS1_3genE3ELNS1_11target_archE908ELNS1_3gpuE7ELNS1_3repE0EEENS1_30default_config_static_selectorELNS0_4arch9wavefront6targetE0EEEvT1_: ; @_ZN7rocprim17ROCPRIM_400000_NS6detail17trampoline_kernelINS0_14default_configENS1_35adjacent_difference_config_selectorILb0ElEEZNS1_24adjacent_difference_implIS3_Lb0ELb0EPlS7_ZN2at6native12_GLOBAL__N_124unique_dim_cuda_templateImEESt5tupleIJNS8_6TensorESD_SD_EERKSD_lbbbEUlllE1_EE10hipError_tPvRmT2_T3_mT4_P12ihipStream_tbEUlT_E_NS1_11comp_targetILNS1_3genE3ELNS1_11target_archE908ELNS1_3gpuE7ELNS1_3repE0EEENS1_30default_config_static_selectorELNS0_4arch9wavefront6targetE0EEEvT1_
; %bb.0:
	.section	.rodata,"a",@progbits
	.p2align	6, 0x0
	.amdhsa_kernel _ZN7rocprim17ROCPRIM_400000_NS6detail17trampoline_kernelINS0_14default_configENS1_35adjacent_difference_config_selectorILb0ElEEZNS1_24adjacent_difference_implIS3_Lb0ELb0EPlS7_ZN2at6native12_GLOBAL__N_124unique_dim_cuda_templateImEESt5tupleIJNS8_6TensorESD_SD_EERKSD_lbbbEUlllE1_EE10hipError_tPvRmT2_T3_mT4_P12ihipStream_tbEUlT_E_NS1_11comp_targetILNS1_3genE3ELNS1_11target_archE908ELNS1_3gpuE7ELNS1_3repE0EEENS1_30default_config_static_selectorELNS0_4arch9wavefront6targetE0EEEvT1_
		.amdhsa_group_segment_fixed_size 0
		.amdhsa_private_segment_fixed_size 0
		.amdhsa_kernarg_size 64
		.amdhsa_user_sgpr_count 2
		.amdhsa_user_sgpr_dispatch_ptr 0
		.amdhsa_user_sgpr_queue_ptr 0
		.amdhsa_user_sgpr_kernarg_segment_ptr 1
		.amdhsa_user_sgpr_dispatch_id 0
		.amdhsa_user_sgpr_kernarg_preload_length 0
		.amdhsa_user_sgpr_kernarg_preload_offset 0
		.amdhsa_user_sgpr_private_segment_size 0
		.amdhsa_wavefront_size32 1
		.amdhsa_uses_dynamic_stack 0
		.amdhsa_enable_private_segment 0
		.amdhsa_system_sgpr_workgroup_id_x 1
		.amdhsa_system_sgpr_workgroup_id_y 0
		.amdhsa_system_sgpr_workgroup_id_z 0
		.amdhsa_system_sgpr_workgroup_info 0
		.amdhsa_system_vgpr_workitem_id 0
		.amdhsa_next_free_vgpr 1
		.amdhsa_next_free_sgpr 1
		.amdhsa_named_barrier_count 0
		.amdhsa_reserve_vcc 0
		.amdhsa_float_round_mode_32 0
		.amdhsa_float_round_mode_16_64 0
		.amdhsa_float_denorm_mode_32 3
		.amdhsa_float_denorm_mode_16_64 3
		.amdhsa_fp16_overflow 0
		.amdhsa_memory_ordered 1
		.amdhsa_forward_progress 1
		.amdhsa_inst_pref_size 0
		.amdhsa_round_robin_scheduling 0
		.amdhsa_exception_fp_ieee_invalid_op 0
		.amdhsa_exception_fp_denorm_src 0
		.amdhsa_exception_fp_ieee_div_zero 0
		.amdhsa_exception_fp_ieee_overflow 0
		.amdhsa_exception_fp_ieee_underflow 0
		.amdhsa_exception_fp_ieee_inexact 0
		.amdhsa_exception_int_div_zero 0
	.end_amdhsa_kernel
	.section	.text._ZN7rocprim17ROCPRIM_400000_NS6detail17trampoline_kernelINS0_14default_configENS1_35adjacent_difference_config_selectorILb0ElEEZNS1_24adjacent_difference_implIS3_Lb0ELb0EPlS7_ZN2at6native12_GLOBAL__N_124unique_dim_cuda_templateImEESt5tupleIJNS8_6TensorESD_SD_EERKSD_lbbbEUlllE1_EE10hipError_tPvRmT2_T3_mT4_P12ihipStream_tbEUlT_E_NS1_11comp_targetILNS1_3genE3ELNS1_11target_archE908ELNS1_3gpuE7ELNS1_3repE0EEENS1_30default_config_static_selectorELNS0_4arch9wavefront6targetE0EEEvT1_,"axG",@progbits,_ZN7rocprim17ROCPRIM_400000_NS6detail17trampoline_kernelINS0_14default_configENS1_35adjacent_difference_config_selectorILb0ElEEZNS1_24adjacent_difference_implIS3_Lb0ELb0EPlS7_ZN2at6native12_GLOBAL__N_124unique_dim_cuda_templateImEESt5tupleIJNS8_6TensorESD_SD_EERKSD_lbbbEUlllE1_EE10hipError_tPvRmT2_T3_mT4_P12ihipStream_tbEUlT_E_NS1_11comp_targetILNS1_3genE3ELNS1_11target_archE908ELNS1_3gpuE7ELNS1_3repE0EEENS1_30default_config_static_selectorELNS0_4arch9wavefront6targetE0EEEvT1_,comdat
.Lfunc_end1642:
	.size	_ZN7rocprim17ROCPRIM_400000_NS6detail17trampoline_kernelINS0_14default_configENS1_35adjacent_difference_config_selectorILb0ElEEZNS1_24adjacent_difference_implIS3_Lb0ELb0EPlS7_ZN2at6native12_GLOBAL__N_124unique_dim_cuda_templateImEESt5tupleIJNS8_6TensorESD_SD_EERKSD_lbbbEUlllE1_EE10hipError_tPvRmT2_T3_mT4_P12ihipStream_tbEUlT_E_NS1_11comp_targetILNS1_3genE3ELNS1_11target_archE908ELNS1_3gpuE7ELNS1_3repE0EEENS1_30default_config_static_selectorELNS0_4arch9wavefront6targetE0EEEvT1_, .Lfunc_end1642-_ZN7rocprim17ROCPRIM_400000_NS6detail17trampoline_kernelINS0_14default_configENS1_35adjacent_difference_config_selectorILb0ElEEZNS1_24adjacent_difference_implIS3_Lb0ELb0EPlS7_ZN2at6native12_GLOBAL__N_124unique_dim_cuda_templateImEESt5tupleIJNS8_6TensorESD_SD_EERKSD_lbbbEUlllE1_EE10hipError_tPvRmT2_T3_mT4_P12ihipStream_tbEUlT_E_NS1_11comp_targetILNS1_3genE3ELNS1_11target_archE908ELNS1_3gpuE7ELNS1_3repE0EEENS1_30default_config_static_selectorELNS0_4arch9wavefront6targetE0EEEvT1_
                                        ; -- End function
	.set _ZN7rocprim17ROCPRIM_400000_NS6detail17trampoline_kernelINS0_14default_configENS1_35adjacent_difference_config_selectorILb0ElEEZNS1_24adjacent_difference_implIS3_Lb0ELb0EPlS7_ZN2at6native12_GLOBAL__N_124unique_dim_cuda_templateImEESt5tupleIJNS8_6TensorESD_SD_EERKSD_lbbbEUlllE1_EE10hipError_tPvRmT2_T3_mT4_P12ihipStream_tbEUlT_E_NS1_11comp_targetILNS1_3genE3ELNS1_11target_archE908ELNS1_3gpuE7ELNS1_3repE0EEENS1_30default_config_static_selectorELNS0_4arch9wavefront6targetE0EEEvT1_.num_vgpr, 0
	.set _ZN7rocprim17ROCPRIM_400000_NS6detail17trampoline_kernelINS0_14default_configENS1_35adjacent_difference_config_selectorILb0ElEEZNS1_24adjacent_difference_implIS3_Lb0ELb0EPlS7_ZN2at6native12_GLOBAL__N_124unique_dim_cuda_templateImEESt5tupleIJNS8_6TensorESD_SD_EERKSD_lbbbEUlllE1_EE10hipError_tPvRmT2_T3_mT4_P12ihipStream_tbEUlT_E_NS1_11comp_targetILNS1_3genE3ELNS1_11target_archE908ELNS1_3gpuE7ELNS1_3repE0EEENS1_30default_config_static_selectorELNS0_4arch9wavefront6targetE0EEEvT1_.num_agpr, 0
	.set _ZN7rocprim17ROCPRIM_400000_NS6detail17trampoline_kernelINS0_14default_configENS1_35adjacent_difference_config_selectorILb0ElEEZNS1_24adjacent_difference_implIS3_Lb0ELb0EPlS7_ZN2at6native12_GLOBAL__N_124unique_dim_cuda_templateImEESt5tupleIJNS8_6TensorESD_SD_EERKSD_lbbbEUlllE1_EE10hipError_tPvRmT2_T3_mT4_P12ihipStream_tbEUlT_E_NS1_11comp_targetILNS1_3genE3ELNS1_11target_archE908ELNS1_3gpuE7ELNS1_3repE0EEENS1_30default_config_static_selectorELNS0_4arch9wavefront6targetE0EEEvT1_.numbered_sgpr, 0
	.set _ZN7rocprim17ROCPRIM_400000_NS6detail17trampoline_kernelINS0_14default_configENS1_35adjacent_difference_config_selectorILb0ElEEZNS1_24adjacent_difference_implIS3_Lb0ELb0EPlS7_ZN2at6native12_GLOBAL__N_124unique_dim_cuda_templateImEESt5tupleIJNS8_6TensorESD_SD_EERKSD_lbbbEUlllE1_EE10hipError_tPvRmT2_T3_mT4_P12ihipStream_tbEUlT_E_NS1_11comp_targetILNS1_3genE3ELNS1_11target_archE908ELNS1_3gpuE7ELNS1_3repE0EEENS1_30default_config_static_selectorELNS0_4arch9wavefront6targetE0EEEvT1_.num_named_barrier, 0
	.set _ZN7rocprim17ROCPRIM_400000_NS6detail17trampoline_kernelINS0_14default_configENS1_35adjacent_difference_config_selectorILb0ElEEZNS1_24adjacent_difference_implIS3_Lb0ELb0EPlS7_ZN2at6native12_GLOBAL__N_124unique_dim_cuda_templateImEESt5tupleIJNS8_6TensorESD_SD_EERKSD_lbbbEUlllE1_EE10hipError_tPvRmT2_T3_mT4_P12ihipStream_tbEUlT_E_NS1_11comp_targetILNS1_3genE3ELNS1_11target_archE908ELNS1_3gpuE7ELNS1_3repE0EEENS1_30default_config_static_selectorELNS0_4arch9wavefront6targetE0EEEvT1_.private_seg_size, 0
	.set _ZN7rocprim17ROCPRIM_400000_NS6detail17trampoline_kernelINS0_14default_configENS1_35adjacent_difference_config_selectorILb0ElEEZNS1_24adjacent_difference_implIS3_Lb0ELb0EPlS7_ZN2at6native12_GLOBAL__N_124unique_dim_cuda_templateImEESt5tupleIJNS8_6TensorESD_SD_EERKSD_lbbbEUlllE1_EE10hipError_tPvRmT2_T3_mT4_P12ihipStream_tbEUlT_E_NS1_11comp_targetILNS1_3genE3ELNS1_11target_archE908ELNS1_3gpuE7ELNS1_3repE0EEENS1_30default_config_static_selectorELNS0_4arch9wavefront6targetE0EEEvT1_.uses_vcc, 0
	.set _ZN7rocprim17ROCPRIM_400000_NS6detail17trampoline_kernelINS0_14default_configENS1_35adjacent_difference_config_selectorILb0ElEEZNS1_24adjacent_difference_implIS3_Lb0ELb0EPlS7_ZN2at6native12_GLOBAL__N_124unique_dim_cuda_templateImEESt5tupleIJNS8_6TensorESD_SD_EERKSD_lbbbEUlllE1_EE10hipError_tPvRmT2_T3_mT4_P12ihipStream_tbEUlT_E_NS1_11comp_targetILNS1_3genE3ELNS1_11target_archE908ELNS1_3gpuE7ELNS1_3repE0EEENS1_30default_config_static_selectorELNS0_4arch9wavefront6targetE0EEEvT1_.uses_flat_scratch, 0
	.set _ZN7rocprim17ROCPRIM_400000_NS6detail17trampoline_kernelINS0_14default_configENS1_35adjacent_difference_config_selectorILb0ElEEZNS1_24adjacent_difference_implIS3_Lb0ELb0EPlS7_ZN2at6native12_GLOBAL__N_124unique_dim_cuda_templateImEESt5tupleIJNS8_6TensorESD_SD_EERKSD_lbbbEUlllE1_EE10hipError_tPvRmT2_T3_mT4_P12ihipStream_tbEUlT_E_NS1_11comp_targetILNS1_3genE3ELNS1_11target_archE908ELNS1_3gpuE7ELNS1_3repE0EEENS1_30default_config_static_selectorELNS0_4arch9wavefront6targetE0EEEvT1_.has_dyn_sized_stack, 0
	.set _ZN7rocprim17ROCPRIM_400000_NS6detail17trampoline_kernelINS0_14default_configENS1_35adjacent_difference_config_selectorILb0ElEEZNS1_24adjacent_difference_implIS3_Lb0ELb0EPlS7_ZN2at6native12_GLOBAL__N_124unique_dim_cuda_templateImEESt5tupleIJNS8_6TensorESD_SD_EERKSD_lbbbEUlllE1_EE10hipError_tPvRmT2_T3_mT4_P12ihipStream_tbEUlT_E_NS1_11comp_targetILNS1_3genE3ELNS1_11target_archE908ELNS1_3gpuE7ELNS1_3repE0EEENS1_30default_config_static_selectorELNS0_4arch9wavefront6targetE0EEEvT1_.has_recursion, 0
	.set _ZN7rocprim17ROCPRIM_400000_NS6detail17trampoline_kernelINS0_14default_configENS1_35adjacent_difference_config_selectorILb0ElEEZNS1_24adjacent_difference_implIS3_Lb0ELb0EPlS7_ZN2at6native12_GLOBAL__N_124unique_dim_cuda_templateImEESt5tupleIJNS8_6TensorESD_SD_EERKSD_lbbbEUlllE1_EE10hipError_tPvRmT2_T3_mT4_P12ihipStream_tbEUlT_E_NS1_11comp_targetILNS1_3genE3ELNS1_11target_archE908ELNS1_3gpuE7ELNS1_3repE0EEENS1_30default_config_static_selectorELNS0_4arch9wavefront6targetE0EEEvT1_.has_indirect_call, 0
	.section	.AMDGPU.csdata,"",@progbits
; Kernel info:
; codeLenInByte = 0
; TotalNumSgprs: 0
; NumVgprs: 0
; ScratchSize: 0
; MemoryBound: 0
; FloatMode: 240
; IeeeMode: 1
; LDSByteSize: 0 bytes/workgroup (compile time only)
; SGPRBlocks: 0
; VGPRBlocks: 0
; NumSGPRsForWavesPerEU: 1
; NumVGPRsForWavesPerEU: 1
; NamedBarCnt: 0
; Occupancy: 16
; WaveLimiterHint : 0
; COMPUTE_PGM_RSRC2:SCRATCH_EN: 0
; COMPUTE_PGM_RSRC2:USER_SGPR: 2
; COMPUTE_PGM_RSRC2:TRAP_HANDLER: 0
; COMPUTE_PGM_RSRC2:TGID_X_EN: 1
; COMPUTE_PGM_RSRC2:TGID_Y_EN: 0
; COMPUTE_PGM_RSRC2:TGID_Z_EN: 0
; COMPUTE_PGM_RSRC2:TIDIG_COMP_CNT: 0
	.section	.text._ZN7rocprim17ROCPRIM_400000_NS6detail17trampoline_kernelINS0_14default_configENS1_35adjacent_difference_config_selectorILb0ElEEZNS1_24adjacent_difference_implIS3_Lb0ELb0EPlS7_ZN2at6native12_GLOBAL__N_124unique_dim_cuda_templateImEESt5tupleIJNS8_6TensorESD_SD_EERKSD_lbbbEUlllE1_EE10hipError_tPvRmT2_T3_mT4_P12ihipStream_tbEUlT_E_NS1_11comp_targetILNS1_3genE2ELNS1_11target_archE906ELNS1_3gpuE6ELNS1_3repE0EEENS1_30default_config_static_selectorELNS0_4arch9wavefront6targetE0EEEvT1_,"axG",@progbits,_ZN7rocprim17ROCPRIM_400000_NS6detail17trampoline_kernelINS0_14default_configENS1_35adjacent_difference_config_selectorILb0ElEEZNS1_24adjacent_difference_implIS3_Lb0ELb0EPlS7_ZN2at6native12_GLOBAL__N_124unique_dim_cuda_templateImEESt5tupleIJNS8_6TensorESD_SD_EERKSD_lbbbEUlllE1_EE10hipError_tPvRmT2_T3_mT4_P12ihipStream_tbEUlT_E_NS1_11comp_targetILNS1_3genE2ELNS1_11target_archE906ELNS1_3gpuE6ELNS1_3repE0EEENS1_30default_config_static_selectorELNS0_4arch9wavefront6targetE0EEEvT1_,comdat
	.globl	_ZN7rocprim17ROCPRIM_400000_NS6detail17trampoline_kernelINS0_14default_configENS1_35adjacent_difference_config_selectorILb0ElEEZNS1_24adjacent_difference_implIS3_Lb0ELb0EPlS7_ZN2at6native12_GLOBAL__N_124unique_dim_cuda_templateImEESt5tupleIJNS8_6TensorESD_SD_EERKSD_lbbbEUlllE1_EE10hipError_tPvRmT2_T3_mT4_P12ihipStream_tbEUlT_E_NS1_11comp_targetILNS1_3genE2ELNS1_11target_archE906ELNS1_3gpuE6ELNS1_3repE0EEENS1_30default_config_static_selectorELNS0_4arch9wavefront6targetE0EEEvT1_ ; -- Begin function _ZN7rocprim17ROCPRIM_400000_NS6detail17trampoline_kernelINS0_14default_configENS1_35adjacent_difference_config_selectorILb0ElEEZNS1_24adjacent_difference_implIS3_Lb0ELb0EPlS7_ZN2at6native12_GLOBAL__N_124unique_dim_cuda_templateImEESt5tupleIJNS8_6TensorESD_SD_EERKSD_lbbbEUlllE1_EE10hipError_tPvRmT2_T3_mT4_P12ihipStream_tbEUlT_E_NS1_11comp_targetILNS1_3genE2ELNS1_11target_archE906ELNS1_3gpuE6ELNS1_3repE0EEENS1_30default_config_static_selectorELNS0_4arch9wavefront6targetE0EEEvT1_
	.p2align	8
	.type	_ZN7rocprim17ROCPRIM_400000_NS6detail17trampoline_kernelINS0_14default_configENS1_35adjacent_difference_config_selectorILb0ElEEZNS1_24adjacent_difference_implIS3_Lb0ELb0EPlS7_ZN2at6native12_GLOBAL__N_124unique_dim_cuda_templateImEESt5tupleIJNS8_6TensorESD_SD_EERKSD_lbbbEUlllE1_EE10hipError_tPvRmT2_T3_mT4_P12ihipStream_tbEUlT_E_NS1_11comp_targetILNS1_3genE2ELNS1_11target_archE906ELNS1_3gpuE6ELNS1_3repE0EEENS1_30default_config_static_selectorELNS0_4arch9wavefront6targetE0EEEvT1_,@function
_ZN7rocprim17ROCPRIM_400000_NS6detail17trampoline_kernelINS0_14default_configENS1_35adjacent_difference_config_selectorILb0ElEEZNS1_24adjacent_difference_implIS3_Lb0ELb0EPlS7_ZN2at6native12_GLOBAL__N_124unique_dim_cuda_templateImEESt5tupleIJNS8_6TensorESD_SD_EERKSD_lbbbEUlllE1_EE10hipError_tPvRmT2_T3_mT4_P12ihipStream_tbEUlT_E_NS1_11comp_targetILNS1_3genE2ELNS1_11target_archE906ELNS1_3gpuE6ELNS1_3repE0EEENS1_30default_config_static_selectorELNS0_4arch9wavefront6targetE0EEEvT1_: ; @_ZN7rocprim17ROCPRIM_400000_NS6detail17trampoline_kernelINS0_14default_configENS1_35adjacent_difference_config_selectorILb0ElEEZNS1_24adjacent_difference_implIS3_Lb0ELb0EPlS7_ZN2at6native12_GLOBAL__N_124unique_dim_cuda_templateImEESt5tupleIJNS8_6TensorESD_SD_EERKSD_lbbbEUlllE1_EE10hipError_tPvRmT2_T3_mT4_P12ihipStream_tbEUlT_E_NS1_11comp_targetILNS1_3genE2ELNS1_11target_archE906ELNS1_3gpuE6ELNS1_3repE0EEENS1_30default_config_static_selectorELNS0_4arch9wavefront6targetE0EEEvT1_
; %bb.0:
	.section	.rodata,"a",@progbits
	.p2align	6, 0x0
	.amdhsa_kernel _ZN7rocprim17ROCPRIM_400000_NS6detail17trampoline_kernelINS0_14default_configENS1_35adjacent_difference_config_selectorILb0ElEEZNS1_24adjacent_difference_implIS3_Lb0ELb0EPlS7_ZN2at6native12_GLOBAL__N_124unique_dim_cuda_templateImEESt5tupleIJNS8_6TensorESD_SD_EERKSD_lbbbEUlllE1_EE10hipError_tPvRmT2_T3_mT4_P12ihipStream_tbEUlT_E_NS1_11comp_targetILNS1_3genE2ELNS1_11target_archE906ELNS1_3gpuE6ELNS1_3repE0EEENS1_30default_config_static_selectorELNS0_4arch9wavefront6targetE0EEEvT1_
		.amdhsa_group_segment_fixed_size 0
		.amdhsa_private_segment_fixed_size 0
		.amdhsa_kernarg_size 64
		.amdhsa_user_sgpr_count 2
		.amdhsa_user_sgpr_dispatch_ptr 0
		.amdhsa_user_sgpr_queue_ptr 0
		.amdhsa_user_sgpr_kernarg_segment_ptr 1
		.amdhsa_user_sgpr_dispatch_id 0
		.amdhsa_user_sgpr_kernarg_preload_length 0
		.amdhsa_user_sgpr_kernarg_preload_offset 0
		.amdhsa_user_sgpr_private_segment_size 0
		.amdhsa_wavefront_size32 1
		.amdhsa_uses_dynamic_stack 0
		.amdhsa_enable_private_segment 0
		.amdhsa_system_sgpr_workgroup_id_x 1
		.amdhsa_system_sgpr_workgroup_id_y 0
		.amdhsa_system_sgpr_workgroup_id_z 0
		.amdhsa_system_sgpr_workgroup_info 0
		.amdhsa_system_vgpr_workitem_id 0
		.amdhsa_next_free_vgpr 1
		.amdhsa_next_free_sgpr 1
		.amdhsa_named_barrier_count 0
		.amdhsa_reserve_vcc 0
		.amdhsa_float_round_mode_32 0
		.amdhsa_float_round_mode_16_64 0
		.amdhsa_float_denorm_mode_32 3
		.amdhsa_float_denorm_mode_16_64 3
		.amdhsa_fp16_overflow 0
		.amdhsa_memory_ordered 1
		.amdhsa_forward_progress 1
		.amdhsa_inst_pref_size 0
		.amdhsa_round_robin_scheduling 0
		.amdhsa_exception_fp_ieee_invalid_op 0
		.amdhsa_exception_fp_denorm_src 0
		.amdhsa_exception_fp_ieee_div_zero 0
		.amdhsa_exception_fp_ieee_overflow 0
		.amdhsa_exception_fp_ieee_underflow 0
		.amdhsa_exception_fp_ieee_inexact 0
		.amdhsa_exception_int_div_zero 0
	.end_amdhsa_kernel
	.section	.text._ZN7rocprim17ROCPRIM_400000_NS6detail17trampoline_kernelINS0_14default_configENS1_35adjacent_difference_config_selectorILb0ElEEZNS1_24adjacent_difference_implIS3_Lb0ELb0EPlS7_ZN2at6native12_GLOBAL__N_124unique_dim_cuda_templateImEESt5tupleIJNS8_6TensorESD_SD_EERKSD_lbbbEUlllE1_EE10hipError_tPvRmT2_T3_mT4_P12ihipStream_tbEUlT_E_NS1_11comp_targetILNS1_3genE2ELNS1_11target_archE906ELNS1_3gpuE6ELNS1_3repE0EEENS1_30default_config_static_selectorELNS0_4arch9wavefront6targetE0EEEvT1_,"axG",@progbits,_ZN7rocprim17ROCPRIM_400000_NS6detail17trampoline_kernelINS0_14default_configENS1_35adjacent_difference_config_selectorILb0ElEEZNS1_24adjacent_difference_implIS3_Lb0ELb0EPlS7_ZN2at6native12_GLOBAL__N_124unique_dim_cuda_templateImEESt5tupleIJNS8_6TensorESD_SD_EERKSD_lbbbEUlllE1_EE10hipError_tPvRmT2_T3_mT4_P12ihipStream_tbEUlT_E_NS1_11comp_targetILNS1_3genE2ELNS1_11target_archE906ELNS1_3gpuE6ELNS1_3repE0EEENS1_30default_config_static_selectorELNS0_4arch9wavefront6targetE0EEEvT1_,comdat
.Lfunc_end1643:
	.size	_ZN7rocprim17ROCPRIM_400000_NS6detail17trampoline_kernelINS0_14default_configENS1_35adjacent_difference_config_selectorILb0ElEEZNS1_24adjacent_difference_implIS3_Lb0ELb0EPlS7_ZN2at6native12_GLOBAL__N_124unique_dim_cuda_templateImEESt5tupleIJNS8_6TensorESD_SD_EERKSD_lbbbEUlllE1_EE10hipError_tPvRmT2_T3_mT4_P12ihipStream_tbEUlT_E_NS1_11comp_targetILNS1_3genE2ELNS1_11target_archE906ELNS1_3gpuE6ELNS1_3repE0EEENS1_30default_config_static_selectorELNS0_4arch9wavefront6targetE0EEEvT1_, .Lfunc_end1643-_ZN7rocprim17ROCPRIM_400000_NS6detail17trampoline_kernelINS0_14default_configENS1_35adjacent_difference_config_selectorILb0ElEEZNS1_24adjacent_difference_implIS3_Lb0ELb0EPlS7_ZN2at6native12_GLOBAL__N_124unique_dim_cuda_templateImEESt5tupleIJNS8_6TensorESD_SD_EERKSD_lbbbEUlllE1_EE10hipError_tPvRmT2_T3_mT4_P12ihipStream_tbEUlT_E_NS1_11comp_targetILNS1_3genE2ELNS1_11target_archE906ELNS1_3gpuE6ELNS1_3repE0EEENS1_30default_config_static_selectorELNS0_4arch9wavefront6targetE0EEEvT1_
                                        ; -- End function
	.set _ZN7rocprim17ROCPRIM_400000_NS6detail17trampoline_kernelINS0_14default_configENS1_35adjacent_difference_config_selectorILb0ElEEZNS1_24adjacent_difference_implIS3_Lb0ELb0EPlS7_ZN2at6native12_GLOBAL__N_124unique_dim_cuda_templateImEESt5tupleIJNS8_6TensorESD_SD_EERKSD_lbbbEUlllE1_EE10hipError_tPvRmT2_T3_mT4_P12ihipStream_tbEUlT_E_NS1_11comp_targetILNS1_3genE2ELNS1_11target_archE906ELNS1_3gpuE6ELNS1_3repE0EEENS1_30default_config_static_selectorELNS0_4arch9wavefront6targetE0EEEvT1_.num_vgpr, 0
	.set _ZN7rocprim17ROCPRIM_400000_NS6detail17trampoline_kernelINS0_14default_configENS1_35adjacent_difference_config_selectorILb0ElEEZNS1_24adjacent_difference_implIS3_Lb0ELb0EPlS7_ZN2at6native12_GLOBAL__N_124unique_dim_cuda_templateImEESt5tupleIJNS8_6TensorESD_SD_EERKSD_lbbbEUlllE1_EE10hipError_tPvRmT2_T3_mT4_P12ihipStream_tbEUlT_E_NS1_11comp_targetILNS1_3genE2ELNS1_11target_archE906ELNS1_3gpuE6ELNS1_3repE0EEENS1_30default_config_static_selectorELNS0_4arch9wavefront6targetE0EEEvT1_.num_agpr, 0
	.set _ZN7rocprim17ROCPRIM_400000_NS6detail17trampoline_kernelINS0_14default_configENS1_35adjacent_difference_config_selectorILb0ElEEZNS1_24adjacent_difference_implIS3_Lb0ELb0EPlS7_ZN2at6native12_GLOBAL__N_124unique_dim_cuda_templateImEESt5tupleIJNS8_6TensorESD_SD_EERKSD_lbbbEUlllE1_EE10hipError_tPvRmT2_T3_mT4_P12ihipStream_tbEUlT_E_NS1_11comp_targetILNS1_3genE2ELNS1_11target_archE906ELNS1_3gpuE6ELNS1_3repE0EEENS1_30default_config_static_selectorELNS0_4arch9wavefront6targetE0EEEvT1_.numbered_sgpr, 0
	.set _ZN7rocprim17ROCPRIM_400000_NS6detail17trampoline_kernelINS0_14default_configENS1_35adjacent_difference_config_selectorILb0ElEEZNS1_24adjacent_difference_implIS3_Lb0ELb0EPlS7_ZN2at6native12_GLOBAL__N_124unique_dim_cuda_templateImEESt5tupleIJNS8_6TensorESD_SD_EERKSD_lbbbEUlllE1_EE10hipError_tPvRmT2_T3_mT4_P12ihipStream_tbEUlT_E_NS1_11comp_targetILNS1_3genE2ELNS1_11target_archE906ELNS1_3gpuE6ELNS1_3repE0EEENS1_30default_config_static_selectorELNS0_4arch9wavefront6targetE0EEEvT1_.num_named_barrier, 0
	.set _ZN7rocprim17ROCPRIM_400000_NS6detail17trampoline_kernelINS0_14default_configENS1_35adjacent_difference_config_selectorILb0ElEEZNS1_24adjacent_difference_implIS3_Lb0ELb0EPlS7_ZN2at6native12_GLOBAL__N_124unique_dim_cuda_templateImEESt5tupleIJNS8_6TensorESD_SD_EERKSD_lbbbEUlllE1_EE10hipError_tPvRmT2_T3_mT4_P12ihipStream_tbEUlT_E_NS1_11comp_targetILNS1_3genE2ELNS1_11target_archE906ELNS1_3gpuE6ELNS1_3repE0EEENS1_30default_config_static_selectorELNS0_4arch9wavefront6targetE0EEEvT1_.private_seg_size, 0
	.set _ZN7rocprim17ROCPRIM_400000_NS6detail17trampoline_kernelINS0_14default_configENS1_35adjacent_difference_config_selectorILb0ElEEZNS1_24adjacent_difference_implIS3_Lb0ELb0EPlS7_ZN2at6native12_GLOBAL__N_124unique_dim_cuda_templateImEESt5tupleIJNS8_6TensorESD_SD_EERKSD_lbbbEUlllE1_EE10hipError_tPvRmT2_T3_mT4_P12ihipStream_tbEUlT_E_NS1_11comp_targetILNS1_3genE2ELNS1_11target_archE906ELNS1_3gpuE6ELNS1_3repE0EEENS1_30default_config_static_selectorELNS0_4arch9wavefront6targetE0EEEvT1_.uses_vcc, 0
	.set _ZN7rocprim17ROCPRIM_400000_NS6detail17trampoline_kernelINS0_14default_configENS1_35adjacent_difference_config_selectorILb0ElEEZNS1_24adjacent_difference_implIS3_Lb0ELb0EPlS7_ZN2at6native12_GLOBAL__N_124unique_dim_cuda_templateImEESt5tupleIJNS8_6TensorESD_SD_EERKSD_lbbbEUlllE1_EE10hipError_tPvRmT2_T3_mT4_P12ihipStream_tbEUlT_E_NS1_11comp_targetILNS1_3genE2ELNS1_11target_archE906ELNS1_3gpuE6ELNS1_3repE0EEENS1_30default_config_static_selectorELNS0_4arch9wavefront6targetE0EEEvT1_.uses_flat_scratch, 0
	.set _ZN7rocprim17ROCPRIM_400000_NS6detail17trampoline_kernelINS0_14default_configENS1_35adjacent_difference_config_selectorILb0ElEEZNS1_24adjacent_difference_implIS3_Lb0ELb0EPlS7_ZN2at6native12_GLOBAL__N_124unique_dim_cuda_templateImEESt5tupleIJNS8_6TensorESD_SD_EERKSD_lbbbEUlllE1_EE10hipError_tPvRmT2_T3_mT4_P12ihipStream_tbEUlT_E_NS1_11comp_targetILNS1_3genE2ELNS1_11target_archE906ELNS1_3gpuE6ELNS1_3repE0EEENS1_30default_config_static_selectorELNS0_4arch9wavefront6targetE0EEEvT1_.has_dyn_sized_stack, 0
	.set _ZN7rocprim17ROCPRIM_400000_NS6detail17trampoline_kernelINS0_14default_configENS1_35adjacent_difference_config_selectorILb0ElEEZNS1_24adjacent_difference_implIS3_Lb0ELb0EPlS7_ZN2at6native12_GLOBAL__N_124unique_dim_cuda_templateImEESt5tupleIJNS8_6TensorESD_SD_EERKSD_lbbbEUlllE1_EE10hipError_tPvRmT2_T3_mT4_P12ihipStream_tbEUlT_E_NS1_11comp_targetILNS1_3genE2ELNS1_11target_archE906ELNS1_3gpuE6ELNS1_3repE0EEENS1_30default_config_static_selectorELNS0_4arch9wavefront6targetE0EEEvT1_.has_recursion, 0
	.set _ZN7rocprim17ROCPRIM_400000_NS6detail17trampoline_kernelINS0_14default_configENS1_35adjacent_difference_config_selectorILb0ElEEZNS1_24adjacent_difference_implIS3_Lb0ELb0EPlS7_ZN2at6native12_GLOBAL__N_124unique_dim_cuda_templateImEESt5tupleIJNS8_6TensorESD_SD_EERKSD_lbbbEUlllE1_EE10hipError_tPvRmT2_T3_mT4_P12ihipStream_tbEUlT_E_NS1_11comp_targetILNS1_3genE2ELNS1_11target_archE906ELNS1_3gpuE6ELNS1_3repE0EEENS1_30default_config_static_selectorELNS0_4arch9wavefront6targetE0EEEvT1_.has_indirect_call, 0
	.section	.AMDGPU.csdata,"",@progbits
; Kernel info:
; codeLenInByte = 0
; TotalNumSgprs: 0
; NumVgprs: 0
; ScratchSize: 0
; MemoryBound: 0
; FloatMode: 240
; IeeeMode: 1
; LDSByteSize: 0 bytes/workgroup (compile time only)
; SGPRBlocks: 0
; VGPRBlocks: 0
; NumSGPRsForWavesPerEU: 1
; NumVGPRsForWavesPerEU: 1
; NamedBarCnt: 0
; Occupancy: 16
; WaveLimiterHint : 0
; COMPUTE_PGM_RSRC2:SCRATCH_EN: 0
; COMPUTE_PGM_RSRC2:USER_SGPR: 2
; COMPUTE_PGM_RSRC2:TRAP_HANDLER: 0
; COMPUTE_PGM_RSRC2:TGID_X_EN: 1
; COMPUTE_PGM_RSRC2:TGID_Y_EN: 0
; COMPUTE_PGM_RSRC2:TGID_Z_EN: 0
; COMPUTE_PGM_RSRC2:TIDIG_COMP_CNT: 0
	.section	.text._ZN7rocprim17ROCPRIM_400000_NS6detail17trampoline_kernelINS0_14default_configENS1_35adjacent_difference_config_selectorILb0ElEEZNS1_24adjacent_difference_implIS3_Lb0ELb0EPlS7_ZN2at6native12_GLOBAL__N_124unique_dim_cuda_templateImEESt5tupleIJNS8_6TensorESD_SD_EERKSD_lbbbEUlllE1_EE10hipError_tPvRmT2_T3_mT4_P12ihipStream_tbEUlT_E_NS1_11comp_targetILNS1_3genE9ELNS1_11target_archE1100ELNS1_3gpuE3ELNS1_3repE0EEENS1_30default_config_static_selectorELNS0_4arch9wavefront6targetE0EEEvT1_,"axG",@progbits,_ZN7rocprim17ROCPRIM_400000_NS6detail17trampoline_kernelINS0_14default_configENS1_35adjacent_difference_config_selectorILb0ElEEZNS1_24adjacent_difference_implIS3_Lb0ELb0EPlS7_ZN2at6native12_GLOBAL__N_124unique_dim_cuda_templateImEESt5tupleIJNS8_6TensorESD_SD_EERKSD_lbbbEUlllE1_EE10hipError_tPvRmT2_T3_mT4_P12ihipStream_tbEUlT_E_NS1_11comp_targetILNS1_3genE9ELNS1_11target_archE1100ELNS1_3gpuE3ELNS1_3repE0EEENS1_30default_config_static_selectorELNS0_4arch9wavefront6targetE0EEEvT1_,comdat
	.globl	_ZN7rocprim17ROCPRIM_400000_NS6detail17trampoline_kernelINS0_14default_configENS1_35adjacent_difference_config_selectorILb0ElEEZNS1_24adjacent_difference_implIS3_Lb0ELb0EPlS7_ZN2at6native12_GLOBAL__N_124unique_dim_cuda_templateImEESt5tupleIJNS8_6TensorESD_SD_EERKSD_lbbbEUlllE1_EE10hipError_tPvRmT2_T3_mT4_P12ihipStream_tbEUlT_E_NS1_11comp_targetILNS1_3genE9ELNS1_11target_archE1100ELNS1_3gpuE3ELNS1_3repE0EEENS1_30default_config_static_selectorELNS0_4arch9wavefront6targetE0EEEvT1_ ; -- Begin function _ZN7rocprim17ROCPRIM_400000_NS6detail17trampoline_kernelINS0_14default_configENS1_35adjacent_difference_config_selectorILb0ElEEZNS1_24adjacent_difference_implIS3_Lb0ELb0EPlS7_ZN2at6native12_GLOBAL__N_124unique_dim_cuda_templateImEESt5tupleIJNS8_6TensorESD_SD_EERKSD_lbbbEUlllE1_EE10hipError_tPvRmT2_T3_mT4_P12ihipStream_tbEUlT_E_NS1_11comp_targetILNS1_3genE9ELNS1_11target_archE1100ELNS1_3gpuE3ELNS1_3repE0EEENS1_30default_config_static_selectorELNS0_4arch9wavefront6targetE0EEEvT1_
	.p2align	8
	.type	_ZN7rocprim17ROCPRIM_400000_NS6detail17trampoline_kernelINS0_14default_configENS1_35adjacent_difference_config_selectorILb0ElEEZNS1_24adjacent_difference_implIS3_Lb0ELb0EPlS7_ZN2at6native12_GLOBAL__N_124unique_dim_cuda_templateImEESt5tupleIJNS8_6TensorESD_SD_EERKSD_lbbbEUlllE1_EE10hipError_tPvRmT2_T3_mT4_P12ihipStream_tbEUlT_E_NS1_11comp_targetILNS1_3genE9ELNS1_11target_archE1100ELNS1_3gpuE3ELNS1_3repE0EEENS1_30default_config_static_selectorELNS0_4arch9wavefront6targetE0EEEvT1_,@function
_ZN7rocprim17ROCPRIM_400000_NS6detail17trampoline_kernelINS0_14default_configENS1_35adjacent_difference_config_selectorILb0ElEEZNS1_24adjacent_difference_implIS3_Lb0ELb0EPlS7_ZN2at6native12_GLOBAL__N_124unique_dim_cuda_templateImEESt5tupleIJNS8_6TensorESD_SD_EERKSD_lbbbEUlllE1_EE10hipError_tPvRmT2_T3_mT4_P12ihipStream_tbEUlT_E_NS1_11comp_targetILNS1_3genE9ELNS1_11target_archE1100ELNS1_3gpuE3ELNS1_3repE0EEENS1_30default_config_static_selectorELNS0_4arch9wavefront6targetE0EEEvT1_: ; @_ZN7rocprim17ROCPRIM_400000_NS6detail17trampoline_kernelINS0_14default_configENS1_35adjacent_difference_config_selectorILb0ElEEZNS1_24adjacent_difference_implIS3_Lb0ELb0EPlS7_ZN2at6native12_GLOBAL__N_124unique_dim_cuda_templateImEESt5tupleIJNS8_6TensorESD_SD_EERKSD_lbbbEUlllE1_EE10hipError_tPvRmT2_T3_mT4_P12ihipStream_tbEUlT_E_NS1_11comp_targetILNS1_3genE9ELNS1_11target_archE1100ELNS1_3gpuE3ELNS1_3repE0EEENS1_30default_config_static_selectorELNS0_4arch9wavefront6targetE0EEEvT1_
; %bb.0:
	.section	.rodata,"a",@progbits
	.p2align	6, 0x0
	.amdhsa_kernel _ZN7rocprim17ROCPRIM_400000_NS6detail17trampoline_kernelINS0_14default_configENS1_35adjacent_difference_config_selectorILb0ElEEZNS1_24adjacent_difference_implIS3_Lb0ELb0EPlS7_ZN2at6native12_GLOBAL__N_124unique_dim_cuda_templateImEESt5tupleIJNS8_6TensorESD_SD_EERKSD_lbbbEUlllE1_EE10hipError_tPvRmT2_T3_mT4_P12ihipStream_tbEUlT_E_NS1_11comp_targetILNS1_3genE9ELNS1_11target_archE1100ELNS1_3gpuE3ELNS1_3repE0EEENS1_30default_config_static_selectorELNS0_4arch9wavefront6targetE0EEEvT1_
		.amdhsa_group_segment_fixed_size 0
		.amdhsa_private_segment_fixed_size 0
		.amdhsa_kernarg_size 64
		.amdhsa_user_sgpr_count 2
		.amdhsa_user_sgpr_dispatch_ptr 0
		.amdhsa_user_sgpr_queue_ptr 0
		.amdhsa_user_sgpr_kernarg_segment_ptr 1
		.amdhsa_user_sgpr_dispatch_id 0
		.amdhsa_user_sgpr_kernarg_preload_length 0
		.amdhsa_user_sgpr_kernarg_preload_offset 0
		.amdhsa_user_sgpr_private_segment_size 0
		.amdhsa_wavefront_size32 1
		.amdhsa_uses_dynamic_stack 0
		.amdhsa_enable_private_segment 0
		.amdhsa_system_sgpr_workgroup_id_x 1
		.amdhsa_system_sgpr_workgroup_id_y 0
		.amdhsa_system_sgpr_workgroup_id_z 0
		.amdhsa_system_sgpr_workgroup_info 0
		.amdhsa_system_vgpr_workitem_id 0
		.amdhsa_next_free_vgpr 1
		.amdhsa_next_free_sgpr 1
		.amdhsa_named_barrier_count 0
		.amdhsa_reserve_vcc 0
		.amdhsa_float_round_mode_32 0
		.amdhsa_float_round_mode_16_64 0
		.amdhsa_float_denorm_mode_32 3
		.amdhsa_float_denorm_mode_16_64 3
		.amdhsa_fp16_overflow 0
		.amdhsa_memory_ordered 1
		.amdhsa_forward_progress 1
		.amdhsa_inst_pref_size 0
		.amdhsa_round_robin_scheduling 0
		.amdhsa_exception_fp_ieee_invalid_op 0
		.amdhsa_exception_fp_denorm_src 0
		.amdhsa_exception_fp_ieee_div_zero 0
		.amdhsa_exception_fp_ieee_overflow 0
		.amdhsa_exception_fp_ieee_underflow 0
		.amdhsa_exception_fp_ieee_inexact 0
		.amdhsa_exception_int_div_zero 0
	.end_amdhsa_kernel
	.section	.text._ZN7rocprim17ROCPRIM_400000_NS6detail17trampoline_kernelINS0_14default_configENS1_35adjacent_difference_config_selectorILb0ElEEZNS1_24adjacent_difference_implIS3_Lb0ELb0EPlS7_ZN2at6native12_GLOBAL__N_124unique_dim_cuda_templateImEESt5tupleIJNS8_6TensorESD_SD_EERKSD_lbbbEUlllE1_EE10hipError_tPvRmT2_T3_mT4_P12ihipStream_tbEUlT_E_NS1_11comp_targetILNS1_3genE9ELNS1_11target_archE1100ELNS1_3gpuE3ELNS1_3repE0EEENS1_30default_config_static_selectorELNS0_4arch9wavefront6targetE0EEEvT1_,"axG",@progbits,_ZN7rocprim17ROCPRIM_400000_NS6detail17trampoline_kernelINS0_14default_configENS1_35adjacent_difference_config_selectorILb0ElEEZNS1_24adjacent_difference_implIS3_Lb0ELb0EPlS7_ZN2at6native12_GLOBAL__N_124unique_dim_cuda_templateImEESt5tupleIJNS8_6TensorESD_SD_EERKSD_lbbbEUlllE1_EE10hipError_tPvRmT2_T3_mT4_P12ihipStream_tbEUlT_E_NS1_11comp_targetILNS1_3genE9ELNS1_11target_archE1100ELNS1_3gpuE3ELNS1_3repE0EEENS1_30default_config_static_selectorELNS0_4arch9wavefront6targetE0EEEvT1_,comdat
.Lfunc_end1644:
	.size	_ZN7rocprim17ROCPRIM_400000_NS6detail17trampoline_kernelINS0_14default_configENS1_35adjacent_difference_config_selectorILb0ElEEZNS1_24adjacent_difference_implIS3_Lb0ELb0EPlS7_ZN2at6native12_GLOBAL__N_124unique_dim_cuda_templateImEESt5tupleIJNS8_6TensorESD_SD_EERKSD_lbbbEUlllE1_EE10hipError_tPvRmT2_T3_mT4_P12ihipStream_tbEUlT_E_NS1_11comp_targetILNS1_3genE9ELNS1_11target_archE1100ELNS1_3gpuE3ELNS1_3repE0EEENS1_30default_config_static_selectorELNS0_4arch9wavefront6targetE0EEEvT1_, .Lfunc_end1644-_ZN7rocprim17ROCPRIM_400000_NS6detail17trampoline_kernelINS0_14default_configENS1_35adjacent_difference_config_selectorILb0ElEEZNS1_24adjacent_difference_implIS3_Lb0ELb0EPlS7_ZN2at6native12_GLOBAL__N_124unique_dim_cuda_templateImEESt5tupleIJNS8_6TensorESD_SD_EERKSD_lbbbEUlllE1_EE10hipError_tPvRmT2_T3_mT4_P12ihipStream_tbEUlT_E_NS1_11comp_targetILNS1_3genE9ELNS1_11target_archE1100ELNS1_3gpuE3ELNS1_3repE0EEENS1_30default_config_static_selectorELNS0_4arch9wavefront6targetE0EEEvT1_
                                        ; -- End function
	.set _ZN7rocprim17ROCPRIM_400000_NS6detail17trampoline_kernelINS0_14default_configENS1_35adjacent_difference_config_selectorILb0ElEEZNS1_24adjacent_difference_implIS3_Lb0ELb0EPlS7_ZN2at6native12_GLOBAL__N_124unique_dim_cuda_templateImEESt5tupleIJNS8_6TensorESD_SD_EERKSD_lbbbEUlllE1_EE10hipError_tPvRmT2_T3_mT4_P12ihipStream_tbEUlT_E_NS1_11comp_targetILNS1_3genE9ELNS1_11target_archE1100ELNS1_3gpuE3ELNS1_3repE0EEENS1_30default_config_static_selectorELNS0_4arch9wavefront6targetE0EEEvT1_.num_vgpr, 0
	.set _ZN7rocprim17ROCPRIM_400000_NS6detail17trampoline_kernelINS0_14default_configENS1_35adjacent_difference_config_selectorILb0ElEEZNS1_24adjacent_difference_implIS3_Lb0ELb0EPlS7_ZN2at6native12_GLOBAL__N_124unique_dim_cuda_templateImEESt5tupleIJNS8_6TensorESD_SD_EERKSD_lbbbEUlllE1_EE10hipError_tPvRmT2_T3_mT4_P12ihipStream_tbEUlT_E_NS1_11comp_targetILNS1_3genE9ELNS1_11target_archE1100ELNS1_3gpuE3ELNS1_3repE0EEENS1_30default_config_static_selectorELNS0_4arch9wavefront6targetE0EEEvT1_.num_agpr, 0
	.set _ZN7rocprim17ROCPRIM_400000_NS6detail17trampoline_kernelINS0_14default_configENS1_35adjacent_difference_config_selectorILb0ElEEZNS1_24adjacent_difference_implIS3_Lb0ELb0EPlS7_ZN2at6native12_GLOBAL__N_124unique_dim_cuda_templateImEESt5tupleIJNS8_6TensorESD_SD_EERKSD_lbbbEUlllE1_EE10hipError_tPvRmT2_T3_mT4_P12ihipStream_tbEUlT_E_NS1_11comp_targetILNS1_3genE9ELNS1_11target_archE1100ELNS1_3gpuE3ELNS1_3repE0EEENS1_30default_config_static_selectorELNS0_4arch9wavefront6targetE0EEEvT1_.numbered_sgpr, 0
	.set _ZN7rocprim17ROCPRIM_400000_NS6detail17trampoline_kernelINS0_14default_configENS1_35adjacent_difference_config_selectorILb0ElEEZNS1_24adjacent_difference_implIS3_Lb0ELb0EPlS7_ZN2at6native12_GLOBAL__N_124unique_dim_cuda_templateImEESt5tupleIJNS8_6TensorESD_SD_EERKSD_lbbbEUlllE1_EE10hipError_tPvRmT2_T3_mT4_P12ihipStream_tbEUlT_E_NS1_11comp_targetILNS1_3genE9ELNS1_11target_archE1100ELNS1_3gpuE3ELNS1_3repE0EEENS1_30default_config_static_selectorELNS0_4arch9wavefront6targetE0EEEvT1_.num_named_barrier, 0
	.set _ZN7rocprim17ROCPRIM_400000_NS6detail17trampoline_kernelINS0_14default_configENS1_35adjacent_difference_config_selectorILb0ElEEZNS1_24adjacent_difference_implIS3_Lb0ELb0EPlS7_ZN2at6native12_GLOBAL__N_124unique_dim_cuda_templateImEESt5tupleIJNS8_6TensorESD_SD_EERKSD_lbbbEUlllE1_EE10hipError_tPvRmT2_T3_mT4_P12ihipStream_tbEUlT_E_NS1_11comp_targetILNS1_3genE9ELNS1_11target_archE1100ELNS1_3gpuE3ELNS1_3repE0EEENS1_30default_config_static_selectorELNS0_4arch9wavefront6targetE0EEEvT1_.private_seg_size, 0
	.set _ZN7rocprim17ROCPRIM_400000_NS6detail17trampoline_kernelINS0_14default_configENS1_35adjacent_difference_config_selectorILb0ElEEZNS1_24adjacent_difference_implIS3_Lb0ELb0EPlS7_ZN2at6native12_GLOBAL__N_124unique_dim_cuda_templateImEESt5tupleIJNS8_6TensorESD_SD_EERKSD_lbbbEUlllE1_EE10hipError_tPvRmT2_T3_mT4_P12ihipStream_tbEUlT_E_NS1_11comp_targetILNS1_3genE9ELNS1_11target_archE1100ELNS1_3gpuE3ELNS1_3repE0EEENS1_30default_config_static_selectorELNS0_4arch9wavefront6targetE0EEEvT1_.uses_vcc, 0
	.set _ZN7rocprim17ROCPRIM_400000_NS6detail17trampoline_kernelINS0_14default_configENS1_35adjacent_difference_config_selectorILb0ElEEZNS1_24adjacent_difference_implIS3_Lb0ELb0EPlS7_ZN2at6native12_GLOBAL__N_124unique_dim_cuda_templateImEESt5tupleIJNS8_6TensorESD_SD_EERKSD_lbbbEUlllE1_EE10hipError_tPvRmT2_T3_mT4_P12ihipStream_tbEUlT_E_NS1_11comp_targetILNS1_3genE9ELNS1_11target_archE1100ELNS1_3gpuE3ELNS1_3repE0EEENS1_30default_config_static_selectorELNS0_4arch9wavefront6targetE0EEEvT1_.uses_flat_scratch, 0
	.set _ZN7rocprim17ROCPRIM_400000_NS6detail17trampoline_kernelINS0_14default_configENS1_35adjacent_difference_config_selectorILb0ElEEZNS1_24adjacent_difference_implIS3_Lb0ELb0EPlS7_ZN2at6native12_GLOBAL__N_124unique_dim_cuda_templateImEESt5tupleIJNS8_6TensorESD_SD_EERKSD_lbbbEUlllE1_EE10hipError_tPvRmT2_T3_mT4_P12ihipStream_tbEUlT_E_NS1_11comp_targetILNS1_3genE9ELNS1_11target_archE1100ELNS1_3gpuE3ELNS1_3repE0EEENS1_30default_config_static_selectorELNS0_4arch9wavefront6targetE0EEEvT1_.has_dyn_sized_stack, 0
	.set _ZN7rocprim17ROCPRIM_400000_NS6detail17trampoline_kernelINS0_14default_configENS1_35adjacent_difference_config_selectorILb0ElEEZNS1_24adjacent_difference_implIS3_Lb0ELb0EPlS7_ZN2at6native12_GLOBAL__N_124unique_dim_cuda_templateImEESt5tupleIJNS8_6TensorESD_SD_EERKSD_lbbbEUlllE1_EE10hipError_tPvRmT2_T3_mT4_P12ihipStream_tbEUlT_E_NS1_11comp_targetILNS1_3genE9ELNS1_11target_archE1100ELNS1_3gpuE3ELNS1_3repE0EEENS1_30default_config_static_selectorELNS0_4arch9wavefront6targetE0EEEvT1_.has_recursion, 0
	.set _ZN7rocprim17ROCPRIM_400000_NS6detail17trampoline_kernelINS0_14default_configENS1_35adjacent_difference_config_selectorILb0ElEEZNS1_24adjacent_difference_implIS3_Lb0ELb0EPlS7_ZN2at6native12_GLOBAL__N_124unique_dim_cuda_templateImEESt5tupleIJNS8_6TensorESD_SD_EERKSD_lbbbEUlllE1_EE10hipError_tPvRmT2_T3_mT4_P12ihipStream_tbEUlT_E_NS1_11comp_targetILNS1_3genE9ELNS1_11target_archE1100ELNS1_3gpuE3ELNS1_3repE0EEENS1_30default_config_static_selectorELNS0_4arch9wavefront6targetE0EEEvT1_.has_indirect_call, 0
	.section	.AMDGPU.csdata,"",@progbits
; Kernel info:
; codeLenInByte = 0
; TotalNumSgprs: 0
; NumVgprs: 0
; ScratchSize: 0
; MemoryBound: 0
; FloatMode: 240
; IeeeMode: 1
; LDSByteSize: 0 bytes/workgroup (compile time only)
; SGPRBlocks: 0
; VGPRBlocks: 0
; NumSGPRsForWavesPerEU: 1
; NumVGPRsForWavesPerEU: 1
; NamedBarCnt: 0
; Occupancy: 16
; WaveLimiterHint : 0
; COMPUTE_PGM_RSRC2:SCRATCH_EN: 0
; COMPUTE_PGM_RSRC2:USER_SGPR: 2
; COMPUTE_PGM_RSRC2:TRAP_HANDLER: 0
; COMPUTE_PGM_RSRC2:TGID_X_EN: 1
; COMPUTE_PGM_RSRC2:TGID_Y_EN: 0
; COMPUTE_PGM_RSRC2:TGID_Z_EN: 0
; COMPUTE_PGM_RSRC2:TIDIG_COMP_CNT: 0
	.section	.text._ZN7rocprim17ROCPRIM_400000_NS6detail17trampoline_kernelINS0_14default_configENS1_35adjacent_difference_config_selectorILb0ElEEZNS1_24adjacent_difference_implIS3_Lb0ELb0EPlS7_ZN2at6native12_GLOBAL__N_124unique_dim_cuda_templateImEESt5tupleIJNS8_6TensorESD_SD_EERKSD_lbbbEUlllE1_EE10hipError_tPvRmT2_T3_mT4_P12ihipStream_tbEUlT_E_NS1_11comp_targetILNS1_3genE8ELNS1_11target_archE1030ELNS1_3gpuE2ELNS1_3repE0EEENS1_30default_config_static_selectorELNS0_4arch9wavefront6targetE0EEEvT1_,"axG",@progbits,_ZN7rocprim17ROCPRIM_400000_NS6detail17trampoline_kernelINS0_14default_configENS1_35adjacent_difference_config_selectorILb0ElEEZNS1_24adjacent_difference_implIS3_Lb0ELb0EPlS7_ZN2at6native12_GLOBAL__N_124unique_dim_cuda_templateImEESt5tupleIJNS8_6TensorESD_SD_EERKSD_lbbbEUlllE1_EE10hipError_tPvRmT2_T3_mT4_P12ihipStream_tbEUlT_E_NS1_11comp_targetILNS1_3genE8ELNS1_11target_archE1030ELNS1_3gpuE2ELNS1_3repE0EEENS1_30default_config_static_selectorELNS0_4arch9wavefront6targetE0EEEvT1_,comdat
	.globl	_ZN7rocprim17ROCPRIM_400000_NS6detail17trampoline_kernelINS0_14default_configENS1_35adjacent_difference_config_selectorILb0ElEEZNS1_24adjacent_difference_implIS3_Lb0ELb0EPlS7_ZN2at6native12_GLOBAL__N_124unique_dim_cuda_templateImEESt5tupleIJNS8_6TensorESD_SD_EERKSD_lbbbEUlllE1_EE10hipError_tPvRmT2_T3_mT4_P12ihipStream_tbEUlT_E_NS1_11comp_targetILNS1_3genE8ELNS1_11target_archE1030ELNS1_3gpuE2ELNS1_3repE0EEENS1_30default_config_static_selectorELNS0_4arch9wavefront6targetE0EEEvT1_ ; -- Begin function _ZN7rocprim17ROCPRIM_400000_NS6detail17trampoline_kernelINS0_14default_configENS1_35adjacent_difference_config_selectorILb0ElEEZNS1_24adjacent_difference_implIS3_Lb0ELb0EPlS7_ZN2at6native12_GLOBAL__N_124unique_dim_cuda_templateImEESt5tupleIJNS8_6TensorESD_SD_EERKSD_lbbbEUlllE1_EE10hipError_tPvRmT2_T3_mT4_P12ihipStream_tbEUlT_E_NS1_11comp_targetILNS1_3genE8ELNS1_11target_archE1030ELNS1_3gpuE2ELNS1_3repE0EEENS1_30default_config_static_selectorELNS0_4arch9wavefront6targetE0EEEvT1_
	.p2align	8
	.type	_ZN7rocprim17ROCPRIM_400000_NS6detail17trampoline_kernelINS0_14default_configENS1_35adjacent_difference_config_selectorILb0ElEEZNS1_24adjacent_difference_implIS3_Lb0ELb0EPlS7_ZN2at6native12_GLOBAL__N_124unique_dim_cuda_templateImEESt5tupleIJNS8_6TensorESD_SD_EERKSD_lbbbEUlllE1_EE10hipError_tPvRmT2_T3_mT4_P12ihipStream_tbEUlT_E_NS1_11comp_targetILNS1_3genE8ELNS1_11target_archE1030ELNS1_3gpuE2ELNS1_3repE0EEENS1_30default_config_static_selectorELNS0_4arch9wavefront6targetE0EEEvT1_,@function
_ZN7rocprim17ROCPRIM_400000_NS6detail17trampoline_kernelINS0_14default_configENS1_35adjacent_difference_config_selectorILb0ElEEZNS1_24adjacent_difference_implIS3_Lb0ELb0EPlS7_ZN2at6native12_GLOBAL__N_124unique_dim_cuda_templateImEESt5tupleIJNS8_6TensorESD_SD_EERKSD_lbbbEUlllE1_EE10hipError_tPvRmT2_T3_mT4_P12ihipStream_tbEUlT_E_NS1_11comp_targetILNS1_3genE8ELNS1_11target_archE1030ELNS1_3gpuE2ELNS1_3repE0EEENS1_30default_config_static_selectorELNS0_4arch9wavefront6targetE0EEEvT1_: ; @_ZN7rocprim17ROCPRIM_400000_NS6detail17trampoline_kernelINS0_14default_configENS1_35adjacent_difference_config_selectorILb0ElEEZNS1_24adjacent_difference_implIS3_Lb0ELb0EPlS7_ZN2at6native12_GLOBAL__N_124unique_dim_cuda_templateImEESt5tupleIJNS8_6TensorESD_SD_EERKSD_lbbbEUlllE1_EE10hipError_tPvRmT2_T3_mT4_P12ihipStream_tbEUlT_E_NS1_11comp_targetILNS1_3genE8ELNS1_11target_archE1030ELNS1_3gpuE2ELNS1_3repE0EEENS1_30default_config_static_selectorELNS0_4arch9wavefront6targetE0EEEvT1_
; %bb.0:
	.section	.rodata,"a",@progbits
	.p2align	6, 0x0
	.amdhsa_kernel _ZN7rocprim17ROCPRIM_400000_NS6detail17trampoline_kernelINS0_14default_configENS1_35adjacent_difference_config_selectorILb0ElEEZNS1_24adjacent_difference_implIS3_Lb0ELb0EPlS7_ZN2at6native12_GLOBAL__N_124unique_dim_cuda_templateImEESt5tupleIJNS8_6TensorESD_SD_EERKSD_lbbbEUlllE1_EE10hipError_tPvRmT2_T3_mT4_P12ihipStream_tbEUlT_E_NS1_11comp_targetILNS1_3genE8ELNS1_11target_archE1030ELNS1_3gpuE2ELNS1_3repE0EEENS1_30default_config_static_selectorELNS0_4arch9wavefront6targetE0EEEvT1_
		.amdhsa_group_segment_fixed_size 0
		.amdhsa_private_segment_fixed_size 0
		.amdhsa_kernarg_size 64
		.amdhsa_user_sgpr_count 2
		.amdhsa_user_sgpr_dispatch_ptr 0
		.amdhsa_user_sgpr_queue_ptr 0
		.amdhsa_user_sgpr_kernarg_segment_ptr 1
		.amdhsa_user_sgpr_dispatch_id 0
		.amdhsa_user_sgpr_kernarg_preload_length 0
		.amdhsa_user_sgpr_kernarg_preload_offset 0
		.amdhsa_user_sgpr_private_segment_size 0
		.amdhsa_wavefront_size32 1
		.amdhsa_uses_dynamic_stack 0
		.amdhsa_enable_private_segment 0
		.amdhsa_system_sgpr_workgroup_id_x 1
		.amdhsa_system_sgpr_workgroup_id_y 0
		.amdhsa_system_sgpr_workgroup_id_z 0
		.amdhsa_system_sgpr_workgroup_info 0
		.amdhsa_system_vgpr_workitem_id 0
		.amdhsa_next_free_vgpr 1
		.amdhsa_next_free_sgpr 1
		.amdhsa_named_barrier_count 0
		.amdhsa_reserve_vcc 0
		.amdhsa_float_round_mode_32 0
		.amdhsa_float_round_mode_16_64 0
		.amdhsa_float_denorm_mode_32 3
		.amdhsa_float_denorm_mode_16_64 3
		.amdhsa_fp16_overflow 0
		.amdhsa_memory_ordered 1
		.amdhsa_forward_progress 1
		.amdhsa_inst_pref_size 0
		.amdhsa_round_robin_scheduling 0
		.amdhsa_exception_fp_ieee_invalid_op 0
		.amdhsa_exception_fp_denorm_src 0
		.amdhsa_exception_fp_ieee_div_zero 0
		.amdhsa_exception_fp_ieee_overflow 0
		.amdhsa_exception_fp_ieee_underflow 0
		.amdhsa_exception_fp_ieee_inexact 0
		.amdhsa_exception_int_div_zero 0
	.end_amdhsa_kernel
	.section	.text._ZN7rocprim17ROCPRIM_400000_NS6detail17trampoline_kernelINS0_14default_configENS1_35adjacent_difference_config_selectorILb0ElEEZNS1_24adjacent_difference_implIS3_Lb0ELb0EPlS7_ZN2at6native12_GLOBAL__N_124unique_dim_cuda_templateImEESt5tupleIJNS8_6TensorESD_SD_EERKSD_lbbbEUlllE1_EE10hipError_tPvRmT2_T3_mT4_P12ihipStream_tbEUlT_E_NS1_11comp_targetILNS1_3genE8ELNS1_11target_archE1030ELNS1_3gpuE2ELNS1_3repE0EEENS1_30default_config_static_selectorELNS0_4arch9wavefront6targetE0EEEvT1_,"axG",@progbits,_ZN7rocprim17ROCPRIM_400000_NS6detail17trampoline_kernelINS0_14default_configENS1_35adjacent_difference_config_selectorILb0ElEEZNS1_24adjacent_difference_implIS3_Lb0ELb0EPlS7_ZN2at6native12_GLOBAL__N_124unique_dim_cuda_templateImEESt5tupleIJNS8_6TensorESD_SD_EERKSD_lbbbEUlllE1_EE10hipError_tPvRmT2_T3_mT4_P12ihipStream_tbEUlT_E_NS1_11comp_targetILNS1_3genE8ELNS1_11target_archE1030ELNS1_3gpuE2ELNS1_3repE0EEENS1_30default_config_static_selectorELNS0_4arch9wavefront6targetE0EEEvT1_,comdat
.Lfunc_end1645:
	.size	_ZN7rocprim17ROCPRIM_400000_NS6detail17trampoline_kernelINS0_14default_configENS1_35adjacent_difference_config_selectorILb0ElEEZNS1_24adjacent_difference_implIS3_Lb0ELb0EPlS7_ZN2at6native12_GLOBAL__N_124unique_dim_cuda_templateImEESt5tupleIJNS8_6TensorESD_SD_EERKSD_lbbbEUlllE1_EE10hipError_tPvRmT2_T3_mT4_P12ihipStream_tbEUlT_E_NS1_11comp_targetILNS1_3genE8ELNS1_11target_archE1030ELNS1_3gpuE2ELNS1_3repE0EEENS1_30default_config_static_selectorELNS0_4arch9wavefront6targetE0EEEvT1_, .Lfunc_end1645-_ZN7rocprim17ROCPRIM_400000_NS6detail17trampoline_kernelINS0_14default_configENS1_35adjacent_difference_config_selectorILb0ElEEZNS1_24adjacent_difference_implIS3_Lb0ELb0EPlS7_ZN2at6native12_GLOBAL__N_124unique_dim_cuda_templateImEESt5tupleIJNS8_6TensorESD_SD_EERKSD_lbbbEUlllE1_EE10hipError_tPvRmT2_T3_mT4_P12ihipStream_tbEUlT_E_NS1_11comp_targetILNS1_3genE8ELNS1_11target_archE1030ELNS1_3gpuE2ELNS1_3repE0EEENS1_30default_config_static_selectorELNS0_4arch9wavefront6targetE0EEEvT1_
                                        ; -- End function
	.set _ZN7rocprim17ROCPRIM_400000_NS6detail17trampoline_kernelINS0_14default_configENS1_35adjacent_difference_config_selectorILb0ElEEZNS1_24adjacent_difference_implIS3_Lb0ELb0EPlS7_ZN2at6native12_GLOBAL__N_124unique_dim_cuda_templateImEESt5tupleIJNS8_6TensorESD_SD_EERKSD_lbbbEUlllE1_EE10hipError_tPvRmT2_T3_mT4_P12ihipStream_tbEUlT_E_NS1_11comp_targetILNS1_3genE8ELNS1_11target_archE1030ELNS1_3gpuE2ELNS1_3repE0EEENS1_30default_config_static_selectorELNS0_4arch9wavefront6targetE0EEEvT1_.num_vgpr, 0
	.set _ZN7rocprim17ROCPRIM_400000_NS6detail17trampoline_kernelINS0_14default_configENS1_35adjacent_difference_config_selectorILb0ElEEZNS1_24adjacent_difference_implIS3_Lb0ELb0EPlS7_ZN2at6native12_GLOBAL__N_124unique_dim_cuda_templateImEESt5tupleIJNS8_6TensorESD_SD_EERKSD_lbbbEUlllE1_EE10hipError_tPvRmT2_T3_mT4_P12ihipStream_tbEUlT_E_NS1_11comp_targetILNS1_3genE8ELNS1_11target_archE1030ELNS1_3gpuE2ELNS1_3repE0EEENS1_30default_config_static_selectorELNS0_4arch9wavefront6targetE0EEEvT1_.num_agpr, 0
	.set _ZN7rocprim17ROCPRIM_400000_NS6detail17trampoline_kernelINS0_14default_configENS1_35adjacent_difference_config_selectorILb0ElEEZNS1_24adjacent_difference_implIS3_Lb0ELb0EPlS7_ZN2at6native12_GLOBAL__N_124unique_dim_cuda_templateImEESt5tupleIJNS8_6TensorESD_SD_EERKSD_lbbbEUlllE1_EE10hipError_tPvRmT2_T3_mT4_P12ihipStream_tbEUlT_E_NS1_11comp_targetILNS1_3genE8ELNS1_11target_archE1030ELNS1_3gpuE2ELNS1_3repE0EEENS1_30default_config_static_selectorELNS0_4arch9wavefront6targetE0EEEvT1_.numbered_sgpr, 0
	.set _ZN7rocprim17ROCPRIM_400000_NS6detail17trampoline_kernelINS0_14default_configENS1_35adjacent_difference_config_selectorILb0ElEEZNS1_24adjacent_difference_implIS3_Lb0ELb0EPlS7_ZN2at6native12_GLOBAL__N_124unique_dim_cuda_templateImEESt5tupleIJNS8_6TensorESD_SD_EERKSD_lbbbEUlllE1_EE10hipError_tPvRmT2_T3_mT4_P12ihipStream_tbEUlT_E_NS1_11comp_targetILNS1_3genE8ELNS1_11target_archE1030ELNS1_3gpuE2ELNS1_3repE0EEENS1_30default_config_static_selectorELNS0_4arch9wavefront6targetE0EEEvT1_.num_named_barrier, 0
	.set _ZN7rocprim17ROCPRIM_400000_NS6detail17trampoline_kernelINS0_14default_configENS1_35adjacent_difference_config_selectorILb0ElEEZNS1_24adjacent_difference_implIS3_Lb0ELb0EPlS7_ZN2at6native12_GLOBAL__N_124unique_dim_cuda_templateImEESt5tupleIJNS8_6TensorESD_SD_EERKSD_lbbbEUlllE1_EE10hipError_tPvRmT2_T3_mT4_P12ihipStream_tbEUlT_E_NS1_11comp_targetILNS1_3genE8ELNS1_11target_archE1030ELNS1_3gpuE2ELNS1_3repE0EEENS1_30default_config_static_selectorELNS0_4arch9wavefront6targetE0EEEvT1_.private_seg_size, 0
	.set _ZN7rocprim17ROCPRIM_400000_NS6detail17trampoline_kernelINS0_14default_configENS1_35adjacent_difference_config_selectorILb0ElEEZNS1_24adjacent_difference_implIS3_Lb0ELb0EPlS7_ZN2at6native12_GLOBAL__N_124unique_dim_cuda_templateImEESt5tupleIJNS8_6TensorESD_SD_EERKSD_lbbbEUlllE1_EE10hipError_tPvRmT2_T3_mT4_P12ihipStream_tbEUlT_E_NS1_11comp_targetILNS1_3genE8ELNS1_11target_archE1030ELNS1_3gpuE2ELNS1_3repE0EEENS1_30default_config_static_selectorELNS0_4arch9wavefront6targetE0EEEvT1_.uses_vcc, 0
	.set _ZN7rocprim17ROCPRIM_400000_NS6detail17trampoline_kernelINS0_14default_configENS1_35adjacent_difference_config_selectorILb0ElEEZNS1_24adjacent_difference_implIS3_Lb0ELb0EPlS7_ZN2at6native12_GLOBAL__N_124unique_dim_cuda_templateImEESt5tupleIJNS8_6TensorESD_SD_EERKSD_lbbbEUlllE1_EE10hipError_tPvRmT2_T3_mT4_P12ihipStream_tbEUlT_E_NS1_11comp_targetILNS1_3genE8ELNS1_11target_archE1030ELNS1_3gpuE2ELNS1_3repE0EEENS1_30default_config_static_selectorELNS0_4arch9wavefront6targetE0EEEvT1_.uses_flat_scratch, 0
	.set _ZN7rocprim17ROCPRIM_400000_NS6detail17trampoline_kernelINS0_14default_configENS1_35adjacent_difference_config_selectorILb0ElEEZNS1_24adjacent_difference_implIS3_Lb0ELb0EPlS7_ZN2at6native12_GLOBAL__N_124unique_dim_cuda_templateImEESt5tupleIJNS8_6TensorESD_SD_EERKSD_lbbbEUlllE1_EE10hipError_tPvRmT2_T3_mT4_P12ihipStream_tbEUlT_E_NS1_11comp_targetILNS1_3genE8ELNS1_11target_archE1030ELNS1_3gpuE2ELNS1_3repE0EEENS1_30default_config_static_selectorELNS0_4arch9wavefront6targetE0EEEvT1_.has_dyn_sized_stack, 0
	.set _ZN7rocprim17ROCPRIM_400000_NS6detail17trampoline_kernelINS0_14default_configENS1_35adjacent_difference_config_selectorILb0ElEEZNS1_24adjacent_difference_implIS3_Lb0ELb0EPlS7_ZN2at6native12_GLOBAL__N_124unique_dim_cuda_templateImEESt5tupleIJNS8_6TensorESD_SD_EERKSD_lbbbEUlllE1_EE10hipError_tPvRmT2_T3_mT4_P12ihipStream_tbEUlT_E_NS1_11comp_targetILNS1_3genE8ELNS1_11target_archE1030ELNS1_3gpuE2ELNS1_3repE0EEENS1_30default_config_static_selectorELNS0_4arch9wavefront6targetE0EEEvT1_.has_recursion, 0
	.set _ZN7rocprim17ROCPRIM_400000_NS6detail17trampoline_kernelINS0_14default_configENS1_35adjacent_difference_config_selectorILb0ElEEZNS1_24adjacent_difference_implIS3_Lb0ELb0EPlS7_ZN2at6native12_GLOBAL__N_124unique_dim_cuda_templateImEESt5tupleIJNS8_6TensorESD_SD_EERKSD_lbbbEUlllE1_EE10hipError_tPvRmT2_T3_mT4_P12ihipStream_tbEUlT_E_NS1_11comp_targetILNS1_3genE8ELNS1_11target_archE1030ELNS1_3gpuE2ELNS1_3repE0EEENS1_30default_config_static_selectorELNS0_4arch9wavefront6targetE0EEEvT1_.has_indirect_call, 0
	.section	.AMDGPU.csdata,"",@progbits
; Kernel info:
; codeLenInByte = 0
; TotalNumSgprs: 0
; NumVgprs: 0
; ScratchSize: 0
; MemoryBound: 0
; FloatMode: 240
; IeeeMode: 1
; LDSByteSize: 0 bytes/workgroup (compile time only)
; SGPRBlocks: 0
; VGPRBlocks: 0
; NumSGPRsForWavesPerEU: 1
; NumVGPRsForWavesPerEU: 1
; NamedBarCnt: 0
; Occupancy: 16
; WaveLimiterHint : 0
; COMPUTE_PGM_RSRC2:SCRATCH_EN: 0
; COMPUTE_PGM_RSRC2:USER_SGPR: 2
; COMPUTE_PGM_RSRC2:TRAP_HANDLER: 0
; COMPUTE_PGM_RSRC2:TGID_X_EN: 1
; COMPUTE_PGM_RSRC2:TGID_Y_EN: 0
; COMPUTE_PGM_RSRC2:TGID_Z_EN: 0
; COMPUTE_PGM_RSRC2:TIDIG_COMP_CNT: 0
	.section	.text._ZN7rocprim17ROCPRIM_400000_NS6detail17trampoline_kernelINS0_14default_configENS1_25transform_config_selectorIlLb0EEEZNS1_14transform_implILb0ES3_S5_NS0_18transform_iteratorINS0_17counting_iteratorImlEEZNS1_24adjacent_difference_implIS3_Lb1ELb0EPlSB_ZN2at6native12_GLOBAL__N_124unique_dim_cuda_templateImEESt5tupleIJNSC_6TensorESH_SH_EERKSH_lbbbEUlllE1_EE10hipError_tPvRmT2_T3_mT4_P12ihipStream_tbEUlmE_lEESB_NS0_8identityIvEEEESM_SP_SQ_mSR_ST_bEUlT_E_NS1_11comp_targetILNS1_3genE0ELNS1_11target_archE4294967295ELNS1_3gpuE0ELNS1_3repE0EEENS1_30default_config_static_selectorELNS0_4arch9wavefront6targetE0EEEvT1_,"axG",@progbits,_ZN7rocprim17ROCPRIM_400000_NS6detail17trampoline_kernelINS0_14default_configENS1_25transform_config_selectorIlLb0EEEZNS1_14transform_implILb0ES3_S5_NS0_18transform_iteratorINS0_17counting_iteratorImlEEZNS1_24adjacent_difference_implIS3_Lb1ELb0EPlSB_ZN2at6native12_GLOBAL__N_124unique_dim_cuda_templateImEESt5tupleIJNSC_6TensorESH_SH_EERKSH_lbbbEUlllE1_EE10hipError_tPvRmT2_T3_mT4_P12ihipStream_tbEUlmE_lEESB_NS0_8identityIvEEEESM_SP_SQ_mSR_ST_bEUlT_E_NS1_11comp_targetILNS1_3genE0ELNS1_11target_archE4294967295ELNS1_3gpuE0ELNS1_3repE0EEENS1_30default_config_static_selectorELNS0_4arch9wavefront6targetE0EEEvT1_,comdat
	.globl	_ZN7rocprim17ROCPRIM_400000_NS6detail17trampoline_kernelINS0_14default_configENS1_25transform_config_selectorIlLb0EEEZNS1_14transform_implILb0ES3_S5_NS0_18transform_iteratorINS0_17counting_iteratorImlEEZNS1_24adjacent_difference_implIS3_Lb1ELb0EPlSB_ZN2at6native12_GLOBAL__N_124unique_dim_cuda_templateImEESt5tupleIJNSC_6TensorESH_SH_EERKSH_lbbbEUlllE1_EE10hipError_tPvRmT2_T3_mT4_P12ihipStream_tbEUlmE_lEESB_NS0_8identityIvEEEESM_SP_SQ_mSR_ST_bEUlT_E_NS1_11comp_targetILNS1_3genE0ELNS1_11target_archE4294967295ELNS1_3gpuE0ELNS1_3repE0EEENS1_30default_config_static_selectorELNS0_4arch9wavefront6targetE0EEEvT1_ ; -- Begin function _ZN7rocprim17ROCPRIM_400000_NS6detail17trampoline_kernelINS0_14default_configENS1_25transform_config_selectorIlLb0EEEZNS1_14transform_implILb0ES3_S5_NS0_18transform_iteratorINS0_17counting_iteratorImlEEZNS1_24adjacent_difference_implIS3_Lb1ELb0EPlSB_ZN2at6native12_GLOBAL__N_124unique_dim_cuda_templateImEESt5tupleIJNSC_6TensorESH_SH_EERKSH_lbbbEUlllE1_EE10hipError_tPvRmT2_T3_mT4_P12ihipStream_tbEUlmE_lEESB_NS0_8identityIvEEEESM_SP_SQ_mSR_ST_bEUlT_E_NS1_11comp_targetILNS1_3genE0ELNS1_11target_archE4294967295ELNS1_3gpuE0ELNS1_3repE0EEENS1_30default_config_static_selectorELNS0_4arch9wavefront6targetE0EEEvT1_
	.p2align	8
	.type	_ZN7rocprim17ROCPRIM_400000_NS6detail17trampoline_kernelINS0_14default_configENS1_25transform_config_selectorIlLb0EEEZNS1_14transform_implILb0ES3_S5_NS0_18transform_iteratorINS0_17counting_iteratorImlEEZNS1_24adjacent_difference_implIS3_Lb1ELb0EPlSB_ZN2at6native12_GLOBAL__N_124unique_dim_cuda_templateImEESt5tupleIJNSC_6TensorESH_SH_EERKSH_lbbbEUlllE1_EE10hipError_tPvRmT2_T3_mT4_P12ihipStream_tbEUlmE_lEESB_NS0_8identityIvEEEESM_SP_SQ_mSR_ST_bEUlT_E_NS1_11comp_targetILNS1_3genE0ELNS1_11target_archE4294967295ELNS1_3gpuE0ELNS1_3repE0EEENS1_30default_config_static_selectorELNS0_4arch9wavefront6targetE0EEEvT1_,@function
_ZN7rocprim17ROCPRIM_400000_NS6detail17trampoline_kernelINS0_14default_configENS1_25transform_config_selectorIlLb0EEEZNS1_14transform_implILb0ES3_S5_NS0_18transform_iteratorINS0_17counting_iteratorImlEEZNS1_24adjacent_difference_implIS3_Lb1ELb0EPlSB_ZN2at6native12_GLOBAL__N_124unique_dim_cuda_templateImEESt5tupleIJNSC_6TensorESH_SH_EERKSH_lbbbEUlllE1_EE10hipError_tPvRmT2_T3_mT4_P12ihipStream_tbEUlmE_lEESB_NS0_8identityIvEEEESM_SP_SQ_mSR_ST_bEUlT_E_NS1_11comp_targetILNS1_3genE0ELNS1_11target_archE4294967295ELNS1_3gpuE0ELNS1_3repE0EEENS1_30default_config_static_selectorELNS0_4arch9wavefront6targetE0EEEvT1_: ; @_ZN7rocprim17ROCPRIM_400000_NS6detail17trampoline_kernelINS0_14default_configENS1_25transform_config_selectorIlLb0EEEZNS1_14transform_implILb0ES3_S5_NS0_18transform_iteratorINS0_17counting_iteratorImlEEZNS1_24adjacent_difference_implIS3_Lb1ELb0EPlSB_ZN2at6native12_GLOBAL__N_124unique_dim_cuda_templateImEESt5tupleIJNSC_6TensorESH_SH_EERKSH_lbbbEUlllE1_EE10hipError_tPvRmT2_T3_mT4_P12ihipStream_tbEUlmE_lEESB_NS0_8identityIvEEEESM_SP_SQ_mSR_ST_bEUlT_E_NS1_11comp_targetILNS1_3genE0ELNS1_11target_archE4294967295ELNS1_3gpuE0ELNS1_3repE0EEENS1_30default_config_static_selectorELNS0_4arch9wavefront6targetE0EEEvT1_
; %bb.0:
	s_clause 0x1
	s_load_b32 s2, s[0:1], 0x38
	s_load_b32 s3, s[0:1], 0x20
	s_bfe_u32 s4, ttmp6, 0x4000c
	s_and_b32 s5, ttmp6, 15
	s_add_co_i32 s4, s4, 1
	s_getreg_b32 s6, hwreg(HW_REG_IB_STS2, 6, 4)
	s_mul_i32 s4, ttmp9, s4
	s_delay_alu instid0(SALU_CYCLE_1)
	s_add_co_i32 s5, s5, s4
	s_cmp_eq_u32 s6, 0
	s_cselect_b32 s4, ttmp9, s5
	s_wait_kmcnt 0x0
	s_add_co_i32 s5, s2, -1
	s_lshl_b32 s2, s4, 7
	s_cmp_lg_u32 s4, s5
	s_cselect_b32 s4, -1, 0
	s_sub_co_i32 s3, s3, s2
	s_delay_alu instid0(SALU_CYCLE_1) | instskip(SKIP_2) | instid1(SALU_CYCLE_1)
	v_cmp_gt_u32_e32 vcc_lo, s3, v0
	s_mov_b32 s3, 0
	s_or_b32 s4, s4, vcc_lo
	s_and_saveexec_b32 s5, s4
	s_cbranch_execz .LBB1646_2
; %bb.1:
	s_clause 0x3
	s_load_b64 s[8:9], s[0:1], 0x18
	s_load_b128 s[4:7], s[0:1], 0x0
	s_load_b32 s10, s[0:1], 0x10
	s_load_b64 s[12:13], s[0:1], 0x28
	v_mov_b32_e32 v1, 0
	s_mov_b32 s11, s3
	s_wait_kmcnt 0x0
	s_add_nc_u64 s[0:1], s[4:5], s[8:9]
	s_delay_alu instid0(SALU_CYCLE_1) | instskip(SKIP_3) | instid1(SALU_CYCLE_1)
	s_add_nc_u64 s[0:1], s[0:1], s[2:3]
	s_lshl_b64 s[2:3], s[2:3], 3
	v_add_nc_u64_e32 v[2:3], s[0:1], v[0:1]
	s_lshl_b64 s[0:1], s[8:9], 3
	s_add_nc_u64 s[0:1], s[12:13], s[0:1]
	s_delay_alu instid0(SALU_CYCLE_1) | instskip(NEXT) | instid1(VALU_DEP_1)
	s_add_nc_u64 s[0:1], s[0:1], s[2:3]
	v_mul_u64_e32 v[2:3], s[10:11], v[2:3]
	s_delay_alu instid0(VALU_DEP_1)
	v_lshl_add_u64 v[2:3], v[2:3], 3, s[6:7]
	global_load_b64 v[2:3], v[2:3], off
	s_wait_loadcnt 0x0
	global_store_b64 v0, v[2:3], s[0:1] scale_offset
.LBB1646_2:
	s_endpgm
	.section	.rodata,"a",@progbits
	.p2align	6, 0x0
	.amdhsa_kernel _ZN7rocprim17ROCPRIM_400000_NS6detail17trampoline_kernelINS0_14default_configENS1_25transform_config_selectorIlLb0EEEZNS1_14transform_implILb0ES3_S5_NS0_18transform_iteratorINS0_17counting_iteratorImlEEZNS1_24adjacent_difference_implIS3_Lb1ELb0EPlSB_ZN2at6native12_GLOBAL__N_124unique_dim_cuda_templateImEESt5tupleIJNSC_6TensorESH_SH_EERKSH_lbbbEUlllE1_EE10hipError_tPvRmT2_T3_mT4_P12ihipStream_tbEUlmE_lEESB_NS0_8identityIvEEEESM_SP_SQ_mSR_ST_bEUlT_E_NS1_11comp_targetILNS1_3genE0ELNS1_11target_archE4294967295ELNS1_3gpuE0ELNS1_3repE0EEENS1_30default_config_static_selectorELNS0_4arch9wavefront6targetE0EEEvT1_
		.amdhsa_group_segment_fixed_size 0
		.amdhsa_private_segment_fixed_size 0
		.amdhsa_kernarg_size 312
		.amdhsa_user_sgpr_count 2
		.amdhsa_user_sgpr_dispatch_ptr 0
		.amdhsa_user_sgpr_queue_ptr 0
		.amdhsa_user_sgpr_kernarg_segment_ptr 1
		.amdhsa_user_sgpr_dispatch_id 0
		.amdhsa_user_sgpr_kernarg_preload_length 0
		.amdhsa_user_sgpr_kernarg_preload_offset 0
		.amdhsa_user_sgpr_private_segment_size 0
		.amdhsa_wavefront_size32 1
		.amdhsa_uses_dynamic_stack 0
		.amdhsa_enable_private_segment 0
		.amdhsa_system_sgpr_workgroup_id_x 1
		.amdhsa_system_sgpr_workgroup_id_y 0
		.amdhsa_system_sgpr_workgroup_id_z 0
		.amdhsa_system_sgpr_workgroup_info 0
		.amdhsa_system_vgpr_workitem_id 0
		.amdhsa_next_free_vgpr 4
		.amdhsa_next_free_sgpr 14
		.amdhsa_named_barrier_count 0
		.amdhsa_reserve_vcc 1
		.amdhsa_float_round_mode_32 0
		.amdhsa_float_round_mode_16_64 0
		.amdhsa_float_denorm_mode_32 3
		.amdhsa_float_denorm_mode_16_64 3
		.amdhsa_fp16_overflow 0
		.amdhsa_memory_ordered 1
		.amdhsa_forward_progress 1
		.amdhsa_inst_pref_size 2
		.amdhsa_round_robin_scheduling 0
		.amdhsa_exception_fp_ieee_invalid_op 0
		.amdhsa_exception_fp_denorm_src 0
		.amdhsa_exception_fp_ieee_div_zero 0
		.amdhsa_exception_fp_ieee_overflow 0
		.amdhsa_exception_fp_ieee_underflow 0
		.amdhsa_exception_fp_ieee_inexact 0
		.amdhsa_exception_int_div_zero 0
	.end_amdhsa_kernel
	.section	.text._ZN7rocprim17ROCPRIM_400000_NS6detail17trampoline_kernelINS0_14default_configENS1_25transform_config_selectorIlLb0EEEZNS1_14transform_implILb0ES3_S5_NS0_18transform_iteratorINS0_17counting_iteratorImlEEZNS1_24adjacent_difference_implIS3_Lb1ELb0EPlSB_ZN2at6native12_GLOBAL__N_124unique_dim_cuda_templateImEESt5tupleIJNSC_6TensorESH_SH_EERKSH_lbbbEUlllE1_EE10hipError_tPvRmT2_T3_mT4_P12ihipStream_tbEUlmE_lEESB_NS0_8identityIvEEEESM_SP_SQ_mSR_ST_bEUlT_E_NS1_11comp_targetILNS1_3genE0ELNS1_11target_archE4294967295ELNS1_3gpuE0ELNS1_3repE0EEENS1_30default_config_static_selectorELNS0_4arch9wavefront6targetE0EEEvT1_,"axG",@progbits,_ZN7rocprim17ROCPRIM_400000_NS6detail17trampoline_kernelINS0_14default_configENS1_25transform_config_selectorIlLb0EEEZNS1_14transform_implILb0ES3_S5_NS0_18transform_iteratorINS0_17counting_iteratorImlEEZNS1_24adjacent_difference_implIS3_Lb1ELb0EPlSB_ZN2at6native12_GLOBAL__N_124unique_dim_cuda_templateImEESt5tupleIJNSC_6TensorESH_SH_EERKSH_lbbbEUlllE1_EE10hipError_tPvRmT2_T3_mT4_P12ihipStream_tbEUlmE_lEESB_NS0_8identityIvEEEESM_SP_SQ_mSR_ST_bEUlT_E_NS1_11comp_targetILNS1_3genE0ELNS1_11target_archE4294967295ELNS1_3gpuE0ELNS1_3repE0EEENS1_30default_config_static_selectorELNS0_4arch9wavefront6targetE0EEEvT1_,comdat
.Lfunc_end1646:
	.size	_ZN7rocprim17ROCPRIM_400000_NS6detail17trampoline_kernelINS0_14default_configENS1_25transform_config_selectorIlLb0EEEZNS1_14transform_implILb0ES3_S5_NS0_18transform_iteratorINS0_17counting_iteratorImlEEZNS1_24adjacent_difference_implIS3_Lb1ELb0EPlSB_ZN2at6native12_GLOBAL__N_124unique_dim_cuda_templateImEESt5tupleIJNSC_6TensorESH_SH_EERKSH_lbbbEUlllE1_EE10hipError_tPvRmT2_T3_mT4_P12ihipStream_tbEUlmE_lEESB_NS0_8identityIvEEEESM_SP_SQ_mSR_ST_bEUlT_E_NS1_11comp_targetILNS1_3genE0ELNS1_11target_archE4294967295ELNS1_3gpuE0ELNS1_3repE0EEENS1_30default_config_static_selectorELNS0_4arch9wavefront6targetE0EEEvT1_, .Lfunc_end1646-_ZN7rocprim17ROCPRIM_400000_NS6detail17trampoline_kernelINS0_14default_configENS1_25transform_config_selectorIlLb0EEEZNS1_14transform_implILb0ES3_S5_NS0_18transform_iteratorINS0_17counting_iteratorImlEEZNS1_24adjacent_difference_implIS3_Lb1ELb0EPlSB_ZN2at6native12_GLOBAL__N_124unique_dim_cuda_templateImEESt5tupleIJNSC_6TensorESH_SH_EERKSH_lbbbEUlllE1_EE10hipError_tPvRmT2_T3_mT4_P12ihipStream_tbEUlmE_lEESB_NS0_8identityIvEEEESM_SP_SQ_mSR_ST_bEUlT_E_NS1_11comp_targetILNS1_3genE0ELNS1_11target_archE4294967295ELNS1_3gpuE0ELNS1_3repE0EEENS1_30default_config_static_selectorELNS0_4arch9wavefront6targetE0EEEvT1_
                                        ; -- End function
	.set _ZN7rocprim17ROCPRIM_400000_NS6detail17trampoline_kernelINS0_14default_configENS1_25transform_config_selectorIlLb0EEEZNS1_14transform_implILb0ES3_S5_NS0_18transform_iteratorINS0_17counting_iteratorImlEEZNS1_24adjacent_difference_implIS3_Lb1ELb0EPlSB_ZN2at6native12_GLOBAL__N_124unique_dim_cuda_templateImEESt5tupleIJNSC_6TensorESH_SH_EERKSH_lbbbEUlllE1_EE10hipError_tPvRmT2_T3_mT4_P12ihipStream_tbEUlmE_lEESB_NS0_8identityIvEEEESM_SP_SQ_mSR_ST_bEUlT_E_NS1_11comp_targetILNS1_3genE0ELNS1_11target_archE4294967295ELNS1_3gpuE0ELNS1_3repE0EEENS1_30default_config_static_selectorELNS0_4arch9wavefront6targetE0EEEvT1_.num_vgpr, 4
	.set _ZN7rocprim17ROCPRIM_400000_NS6detail17trampoline_kernelINS0_14default_configENS1_25transform_config_selectorIlLb0EEEZNS1_14transform_implILb0ES3_S5_NS0_18transform_iteratorINS0_17counting_iteratorImlEEZNS1_24adjacent_difference_implIS3_Lb1ELb0EPlSB_ZN2at6native12_GLOBAL__N_124unique_dim_cuda_templateImEESt5tupleIJNSC_6TensorESH_SH_EERKSH_lbbbEUlllE1_EE10hipError_tPvRmT2_T3_mT4_P12ihipStream_tbEUlmE_lEESB_NS0_8identityIvEEEESM_SP_SQ_mSR_ST_bEUlT_E_NS1_11comp_targetILNS1_3genE0ELNS1_11target_archE4294967295ELNS1_3gpuE0ELNS1_3repE0EEENS1_30default_config_static_selectorELNS0_4arch9wavefront6targetE0EEEvT1_.num_agpr, 0
	.set _ZN7rocprim17ROCPRIM_400000_NS6detail17trampoline_kernelINS0_14default_configENS1_25transform_config_selectorIlLb0EEEZNS1_14transform_implILb0ES3_S5_NS0_18transform_iteratorINS0_17counting_iteratorImlEEZNS1_24adjacent_difference_implIS3_Lb1ELb0EPlSB_ZN2at6native12_GLOBAL__N_124unique_dim_cuda_templateImEESt5tupleIJNSC_6TensorESH_SH_EERKSH_lbbbEUlllE1_EE10hipError_tPvRmT2_T3_mT4_P12ihipStream_tbEUlmE_lEESB_NS0_8identityIvEEEESM_SP_SQ_mSR_ST_bEUlT_E_NS1_11comp_targetILNS1_3genE0ELNS1_11target_archE4294967295ELNS1_3gpuE0ELNS1_3repE0EEENS1_30default_config_static_selectorELNS0_4arch9wavefront6targetE0EEEvT1_.numbered_sgpr, 14
	.set _ZN7rocprim17ROCPRIM_400000_NS6detail17trampoline_kernelINS0_14default_configENS1_25transform_config_selectorIlLb0EEEZNS1_14transform_implILb0ES3_S5_NS0_18transform_iteratorINS0_17counting_iteratorImlEEZNS1_24adjacent_difference_implIS3_Lb1ELb0EPlSB_ZN2at6native12_GLOBAL__N_124unique_dim_cuda_templateImEESt5tupleIJNSC_6TensorESH_SH_EERKSH_lbbbEUlllE1_EE10hipError_tPvRmT2_T3_mT4_P12ihipStream_tbEUlmE_lEESB_NS0_8identityIvEEEESM_SP_SQ_mSR_ST_bEUlT_E_NS1_11comp_targetILNS1_3genE0ELNS1_11target_archE4294967295ELNS1_3gpuE0ELNS1_3repE0EEENS1_30default_config_static_selectorELNS0_4arch9wavefront6targetE0EEEvT1_.num_named_barrier, 0
	.set _ZN7rocprim17ROCPRIM_400000_NS6detail17trampoline_kernelINS0_14default_configENS1_25transform_config_selectorIlLb0EEEZNS1_14transform_implILb0ES3_S5_NS0_18transform_iteratorINS0_17counting_iteratorImlEEZNS1_24adjacent_difference_implIS3_Lb1ELb0EPlSB_ZN2at6native12_GLOBAL__N_124unique_dim_cuda_templateImEESt5tupleIJNSC_6TensorESH_SH_EERKSH_lbbbEUlllE1_EE10hipError_tPvRmT2_T3_mT4_P12ihipStream_tbEUlmE_lEESB_NS0_8identityIvEEEESM_SP_SQ_mSR_ST_bEUlT_E_NS1_11comp_targetILNS1_3genE0ELNS1_11target_archE4294967295ELNS1_3gpuE0ELNS1_3repE0EEENS1_30default_config_static_selectorELNS0_4arch9wavefront6targetE0EEEvT1_.private_seg_size, 0
	.set _ZN7rocprim17ROCPRIM_400000_NS6detail17trampoline_kernelINS0_14default_configENS1_25transform_config_selectorIlLb0EEEZNS1_14transform_implILb0ES3_S5_NS0_18transform_iteratorINS0_17counting_iteratorImlEEZNS1_24adjacent_difference_implIS3_Lb1ELb0EPlSB_ZN2at6native12_GLOBAL__N_124unique_dim_cuda_templateImEESt5tupleIJNSC_6TensorESH_SH_EERKSH_lbbbEUlllE1_EE10hipError_tPvRmT2_T3_mT4_P12ihipStream_tbEUlmE_lEESB_NS0_8identityIvEEEESM_SP_SQ_mSR_ST_bEUlT_E_NS1_11comp_targetILNS1_3genE0ELNS1_11target_archE4294967295ELNS1_3gpuE0ELNS1_3repE0EEENS1_30default_config_static_selectorELNS0_4arch9wavefront6targetE0EEEvT1_.uses_vcc, 1
	.set _ZN7rocprim17ROCPRIM_400000_NS6detail17trampoline_kernelINS0_14default_configENS1_25transform_config_selectorIlLb0EEEZNS1_14transform_implILb0ES3_S5_NS0_18transform_iteratorINS0_17counting_iteratorImlEEZNS1_24adjacent_difference_implIS3_Lb1ELb0EPlSB_ZN2at6native12_GLOBAL__N_124unique_dim_cuda_templateImEESt5tupleIJNSC_6TensorESH_SH_EERKSH_lbbbEUlllE1_EE10hipError_tPvRmT2_T3_mT4_P12ihipStream_tbEUlmE_lEESB_NS0_8identityIvEEEESM_SP_SQ_mSR_ST_bEUlT_E_NS1_11comp_targetILNS1_3genE0ELNS1_11target_archE4294967295ELNS1_3gpuE0ELNS1_3repE0EEENS1_30default_config_static_selectorELNS0_4arch9wavefront6targetE0EEEvT1_.uses_flat_scratch, 0
	.set _ZN7rocprim17ROCPRIM_400000_NS6detail17trampoline_kernelINS0_14default_configENS1_25transform_config_selectorIlLb0EEEZNS1_14transform_implILb0ES3_S5_NS0_18transform_iteratorINS0_17counting_iteratorImlEEZNS1_24adjacent_difference_implIS3_Lb1ELb0EPlSB_ZN2at6native12_GLOBAL__N_124unique_dim_cuda_templateImEESt5tupleIJNSC_6TensorESH_SH_EERKSH_lbbbEUlllE1_EE10hipError_tPvRmT2_T3_mT4_P12ihipStream_tbEUlmE_lEESB_NS0_8identityIvEEEESM_SP_SQ_mSR_ST_bEUlT_E_NS1_11comp_targetILNS1_3genE0ELNS1_11target_archE4294967295ELNS1_3gpuE0ELNS1_3repE0EEENS1_30default_config_static_selectorELNS0_4arch9wavefront6targetE0EEEvT1_.has_dyn_sized_stack, 0
	.set _ZN7rocprim17ROCPRIM_400000_NS6detail17trampoline_kernelINS0_14default_configENS1_25transform_config_selectorIlLb0EEEZNS1_14transform_implILb0ES3_S5_NS0_18transform_iteratorINS0_17counting_iteratorImlEEZNS1_24adjacent_difference_implIS3_Lb1ELb0EPlSB_ZN2at6native12_GLOBAL__N_124unique_dim_cuda_templateImEESt5tupleIJNSC_6TensorESH_SH_EERKSH_lbbbEUlllE1_EE10hipError_tPvRmT2_T3_mT4_P12ihipStream_tbEUlmE_lEESB_NS0_8identityIvEEEESM_SP_SQ_mSR_ST_bEUlT_E_NS1_11comp_targetILNS1_3genE0ELNS1_11target_archE4294967295ELNS1_3gpuE0ELNS1_3repE0EEENS1_30default_config_static_selectorELNS0_4arch9wavefront6targetE0EEEvT1_.has_recursion, 0
	.set _ZN7rocprim17ROCPRIM_400000_NS6detail17trampoline_kernelINS0_14default_configENS1_25transform_config_selectorIlLb0EEEZNS1_14transform_implILb0ES3_S5_NS0_18transform_iteratorINS0_17counting_iteratorImlEEZNS1_24adjacent_difference_implIS3_Lb1ELb0EPlSB_ZN2at6native12_GLOBAL__N_124unique_dim_cuda_templateImEESt5tupleIJNSC_6TensorESH_SH_EERKSH_lbbbEUlllE1_EE10hipError_tPvRmT2_T3_mT4_P12ihipStream_tbEUlmE_lEESB_NS0_8identityIvEEEESM_SP_SQ_mSR_ST_bEUlT_E_NS1_11comp_targetILNS1_3genE0ELNS1_11target_archE4294967295ELNS1_3gpuE0ELNS1_3repE0EEENS1_30default_config_static_selectorELNS0_4arch9wavefront6targetE0EEEvT1_.has_indirect_call, 0
	.section	.AMDGPU.csdata,"",@progbits
; Kernel info:
; codeLenInByte = 240
; TotalNumSgprs: 16
; NumVgprs: 4
; ScratchSize: 0
; MemoryBound: 0
; FloatMode: 240
; IeeeMode: 1
; LDSByteSize: 0 bytes/workgroup (compile time only)
; SGPRBlocks: 0
; VGPRBlocks: 0
; NumSGPRsForWavesPerEU: 16
; NumVGPRsForWavesPerEU: 4
; NamedBarCnt: 0
; Occupancy: 16
; WaveLimiterHint : 0
; COMPUTE_PGM_RSRC2:SCRATCH_EN: 0
; COMPUTE_PGM_RSRC2:USER_SGPR: 2
; COMPUTE_PGM_RSRC2:TRAP_HANDLER: 0
; COMPUTE_PGM_RSRC2:TGID_X_EN: 1
; COMPUTE_PGM_RSRC2:TGID_Y_EN: 0
; COMPUTE_PGM_RSRC2:TGID_Z_EN: 0
; COMPUTE_PGM_RSRC2:TIDIG_COMP_CNT: 0
	.section	.text._ZN7rocprim17ROCPRIM_400000_NS6detail17trampoline_kernelINS0_14default_configENS1_25transform_config_selectorIlLb0EEEZNS1_14transform_implILb0ES3_S5_NS0_18transform_iteratorINS0_17counting_iteratorImlEEZNS1_24adjacent_difference_implIS3_Lb1ELb0EPlSB_ZN2at6native12_GLOBAL__N_124unique_dim_cuda_templateImEESt5tupleIJNSC_6TensorESH_SH_EERKSH_lbbbEUlllE1_EE10hipError_tPvRmT2_T3_mT4_P12ihipStream_tbEUlmE_lEESB_NS0_8identityIvEEEESM_SP_SQ_mSR_ST_bEUlT_E_NS1_11comp_targetILNS1_3genE5ELNS1_11target_archE942ELNS1_3gpuE9ELNS1_3repE0EEENS1_30default_config_static_selectorELNS0_4arch9wavefront6targetE0EEEvT1_,"axG",@progbits,_ZN7rocprim17ROCPRIM_400000_NS6detail17trampoline_kernelINS0_14default_configENS1_25transform_config_selectorIlLb0EEEZNS1_14transform_implILb0ES3_S5_NS0_18transform_iteratorINS0_17counting_iteratorImlEEZNS1_24adjacent_difference_implIS3_Lb1ELb0EPlSB_ZN2at6native12_GLOBAL__N_124unique_dim_cuda_templateImEESt5tupleIJNSC_6TensorESH_SH_EERKSH_lbbbEUlllE1_EE10hipError_tPvRmT2_T3_mT4_P12ihipStream_tbEUlmE_lEESB_NS0_8identityIvEEEESM_SP_SQ_mSR_ST_bEUlT_E_NS1_11comp_targetILNS1_3genE5ELNS1_11target_archE942ELNS1_3gpuE9ELNS1_3repE0EEENS1_30default_config_static_selectorELNS0_4arch9wavefront6targetE0EEEvT1_,comdat
	.globl	_ZN7rocprim17ROCPRIM_400000_NS6detail17trampoline_kernelINS0_14default_configENS1_25transform_config_selectorIlLb0EEEZNS1_14transform_implILb0ES3_S5_NS0_18transform_iteratorINS0_17counting_iteratorImlEEZNS1_24adjacent_difference_implIS3_Lb1ELb0EPlSB_ZN2at6native12_GLOBAL__N_124unique_dim_cuda_templateImEESt5tupleIJNSC_6TensorESH_SH_EERKSH_lbbbEUlllE1_EE10hipError_tPvRmT2_T3_mT4_P12ihipStream_tbEUlmE_lEESB_NS0_8identityIvEEEESM_SP_SQ_mSR_ST_bEUlT_E_NS1_11comp_targetILNS1_3genE5ELNS1_11target_archE942ELNS1_3gpuE9ELNS1_3repE0EEENS1_30default_config_static_selectorELNS0_4arch9wavefront6targetE0EEEvT1_ ; -- Begin function _ZN7rocprim17ROCPRIM_400000_NS6detail17trampoline_kernelINS0_14default_configENS1_25transform_config_selectorIlLb0EEEZNS1_14transform_implILb0ES3_S5_NS0_18transform_iteratorINS0_17counting_iteratorImlEEZNS1_24adjacent_difference_implIS3_Lb1ELb0EPlSB_ZN2at6native12_GLOBAL__N_124unique_dim_cuda_templateImEESt5tupleIJNSC_6TensorESH_SH_EERKSH_lbbbEUlllE1_EE10hipError_tPvRmT2_T3_mT4_P12ihipStream_tbEUlmE_lEESB_NS0_8identityIvEEEESM_SP_SQ_mSR_ST_bEUlT_E_NS1_11comp_targetILNS1_3genE5ELNS1_11target_archE942ELNS1_3gpuE9ELNS1_3repE0EEENS1_30default_config_static_selectorELNS0_4arch9wavefront6targetE0EEEvT1_
	.p2align	8
	.type	_ZN7rocprim17ROCPRIM_400000_NS6detail17trampoline_kernelINS0_14default_configENS1_25transform_config_selectorIlLb0EEEZNS1_14transform_implILb0ES3_S5_NS0_18transform_iteratorINS0_17counting_iteratorImlEEZNS1_24adjacent_difference_implIS3_Lb1ELb0EPlSB_ZN2at6native12_GLOBAL__N_124unique_dim_cuda_templateImEESt5tupleIJNSC_6TensorESH_SH_EERKSH_lbbbEUlllE1_EE10hipError_tPvRmT2_T3_mT4_P12ihipStream_tbEUlmE_lEESB_NS0_8identityIvEEEESM_SP_SQ_mSR_ST_bEUlT_E_NS1_11comp_targetILNS1_3genE5ELNS1_11target_archE942ELNS1_3gpuE9ELNS1_3repE0EEENS1_30default_config_static_selectorELNS0_4arch9wavefront6targetE0EEEvT1_,@function
_ZN7rocprim17ROCPRIM_400000_NS6detail17trampoline_kernelINS0_14default_configENS1_25transform_config_selectorIlLb0EEEZNS1_14transform_implILb0ES3_S5_NS0_18transform_iteratorINS0_17counting_iteratorImlEEZNS1_24adjacent_difference_implIS3_Lb1ELb0EPlSB_ZN2at6native12_GLOBAL__N_124unique_dim_cuda_templateImEESt5tupleIJNSC_6TensorESH_SH_EERKSH_lbbbEUlllE1_EE10hipError_tPvRmT2_T3_mT4_P12ihipStream_tbEUlmE_lEESB_NS0_8identityIvEEEESM_SP_SQ_mSR_ST_bEUlT_E_NS1_11comp_targetILNS1_3genE5ELNS1_11target_archE942ELNS1_3gpuE9ELNS1_3repE0EEENS1_30default_config_static_selectorELNS0_4arch9wavefront6targetE0EEEvT1_: ; @_ZN7rocprim17ROCPRIM_400000_NS6detail17trampoline_kernelINS0_14default_configENS1_25transform_config_selectorIlLb0EEEZNS1_14transform_implILb0ES3_S5_NS0_18transform_iteratorINS0_17counting_iteratorImlEEZNS1_24adjacent_difference_implIS3_Lb1ELb0EPlSB_ZN2at6native12_GLOBAL__N_124unique_dim_cuda_templateImEESt5tupleIJNSC_6TensorESH_SH_EERKSH_lbbbEUlllE1_EE10hipError_tPvRmT2_T3_mT4_P12ihipStream_tbEUlmE_lEESB_NS0_8identityIvEEEESM_SP_SQ_mSR_ST_bEUlT_E_NS1_11comp_targetILNS1_3genE5ELNS1_11target_archE942ELNS1_3gpuE9ELNS1_3repE0EEENS1_30default_config_static_selectorELNS0_4arch9wavefront6targetE0EEEvT1_
; %bb.0:
	.section	.rodata,"a",@progbits
	.p2align	6, 0x0
	.amdhsa_kernel _ZN7rocprim17ROCPRIM_400000_NS6detail17trampoline_kernelINS0_14default_configENS1_25transform_config_selectorIlLb0EEEZNS1_14transform_implILb0ES3_S5_NS0_18transform_iteratorINS0_17counting_iteratorImlEEZNS1_24adjacent_difference_implIS3_Lb1ELb0EPlSB_ZN2at6native12_GLOBAL__N_124unique_dim_cuda_templateImEESt5tupleIJNSC_6TensorESH_SH_EERKSH_lbbbEUlllE1_EE10hipError_tPvRmT2_T3_mT4_P12ihipStream_tbEUlmE_lEESB_NS0_8identityIvEEEESM_SP_SQ_mSR_ST_bEUlT_E_NS1_11comp_targetILNS1_3genE5ELNS1_11target_archE942ELNS1_3gpuE9ELNS1_3repE0EEENS1_30default_config_static_selectorELNS0_4arch9wavefront6targetE0EEEvT1_
		.amdhsa_group_segment_fixed_size 0
		.amdhsa_private_segment_fixed_size 0
		.amdhsa_kernarg_size 56
		.amdhsa_user_sgpr_count 2
		.amdhsa_user_sgpr_dispatch_ptr 0
		.amdhsa_user_sgpr_queue_ptr 0
		.amdhsa_user_sgpr_kernarg_segment_ptr 1
		.amdhsa_user_sgpr_dispatch_id 0
		.amdhsa_user_sgpr_kernarg_preload_length 0
		.amdhsa_user_sgpr_kernarg_preload_offset 0
		.amdhsa_user_sgpr_private_segment_size 0
		.amdhsa_wavefront_size32 1
		.amdhsa_uses_dynamic_stack 0
		.amdhsa_enable_private_segment 0
		.amdhsa_system_sgpr_workgroup_id_x 1
		.amdhsa_system_sgpr_workgroup_id_y 0
		.amdhsa_system_sgpr_workgroup_id_z 0
		.amdhsa_system_sgpr_workgroup_info 0
		.amdhsa_system_vgpr_workitem_id 0
		.amdhsa_next_free_vgpr 1
		.amdhsa_next_free_sgpr 1
		.amdhsa_named_barrier_count 0
		.amdhsa_reserve_vcc 0
		.amdhsa_float_round_mode_32 0
		.amdhsa_float_round_mode_16_64 0
		.amdhsa_float_denorm_mode_32 3
		.amdhsa_float_denorm_mode_16_64 3
		.amdhsa_fp16_overflow 0
		.amdhsa_memory_ordered 1
		.amdhsa_forward_progress 1
		.amdhsa_inst_pref_size 0
		.amdhsa_round_robin_scheduling 0
		.amdhsa_exception_fp_ieee_invalid_op 0
		.amdhsa_exception_fp_denorm_src 0
		.amdhsa_exception_fp_ieee_div_zero 0
		.amdhsa_exception_fp_ieee_overflow 0
		.amdhsa_exception_fp_ieee_underflow 0
		.amdhsa_exception_fp_ieee_inexact 0
		.amdhsa_exception_int_div_zero 0
	.end_amdhsa_kernel
	.section	.text._ZN7rocprim17ROCPRIM_400000_NS6detail17trampoline_kernelINS0_14default_configENS1_25transform_config_selectorIlLb0EEEZNS1_14transform_implILb0ES3_S5_NS0_18transform_iteratorINS0_17counting_iteratorImlEEZNS1_24adjacent_difference_implIS3_Lb1ELb0EPlSB_ZN2at6native12_GLOBAL__N_124unique_dim_cuda_templateImEESt5tupleIJNSC_6TensorESH_SH_EERKSH_lbbbEUlllE1_EE10hipError_tPvRmT2_T3_mT4_P12ihipStream_tbEUlmE_lEESB_NS0_8identityIvEEEESM_SP_SQ_mSR_ST_bEUlT_E_NS1_11comp_targetILNS1_3genE5ELNS1_11target_archE942ELNS1_3gpuE9ELNS1_3repE0EEENS1_30default_config_static_selectorELNS0_4arch9wavefront6targetE0EEEvT1_,"axG",@progbits,_ZN7rocprim17ROCPRIM_400000_NS6detail17trampoline_kernelINS0_14default_configENS1_25transform_config_selectorIlLb0EEEZNS1_14transform_implILb0ES3_S5_NS0_18transform_iteratorINS0_17counting_iteratorImlEEZNS1_24adjacent_difference_implIS3_Lb1ELb0EPlSB_ZN2at6native12_GLOBAL__N_124unique_dim_cuda_templateImEESt5tupleIJNSC_6TensorESH_SH_EERKSH_lbbbEUlllE1_EE10hipError_tPvRmT2_T3_mT4_P12ihipStream_tbEUlmE_lEESB_NS0_8identityIvEEEESM_SP_SQ_mSR_ST_bEUlT_E_NS1_11comp_targetILNS1_3genE5ELNS1_11target_archE942ELNS1_3gpuE9ELNS1_3repE0EEENS1_30default_config_static_selectorELNS0_4arch9wavefront6targetE0EEEvT1_,comdat
.Lfunc_end1647:
	.size	_ZN7rocprim17ROCPRIM_400000_NS6detail17trampoline_kernelINS0_14default_configENS1_25transform_config_selectorIlLb0EEEZNS1_14transform_implILb0ES3_S5_NS0_18transform_iteratorINS0_17counting_iteratorImlEEZNS1_24adjacent_difference_implIS3_Lb1ELb0EPlSB_ZN2at6native12_GLOBAL__N_124unique_dim_cuda_templateImEESt5tupleIJNSC_6TensorESH_SH_EERKSH_lbbbEUlllE1_EE10hipError_tPvRmT2_T3_mT4_P12ihipStream_tbEUlmE_lEESB_NS0_8identityIvEEEESM_SP_SQ_mSR_ST_bEUlT_E_NS1_11comp_targetILNS1_3genE5ELNS1_11target_archE942ELNS1_3gpuE9ELNS1_3repE0EEENS1_30default_config_static_selectorELNS0_4arch9wavefront6targetE0EEEvT1_, .Lfunc_end1647-_ZN7rocprim17ROCPRIM_400000_NS6detail17trampoline_kernelINS0_14default_configENS1_25transform_config_selectorIlLb0EEEZNS1_14transform_implILb0ES3_S5_NS0_18transform_iteratorINS0_17counting_iteratorImlEEZNS1_24adjacent_difference_implIS3_Lb1ELb0EPlSB_ZN2at6native12_GLOBAL__N_124unique_dim_cuda_templateImEESt5tupleIJNSC_6TensorESH_SH_EERKSH_lbbbEUlllE1_EE10hipError_tPvRmT2_T3_mT4_P12ihipStream_tbEUlmE_lEESB_NS0_8identityIvEEEESM_SP_SQ_mSR_ST_bEUlT_E_NS1_11comp_targetILNS1_3genE5ELNS1_11target_archE942ELNS1_3gpuE9ELNS1_3repE0EEENS1_30default_config_static_selectorELNS0_4arch9wavefront6targetE0EEEvT1_
                                        ; -- End function
	.set _ZN7rocprim17ROCPRIM_400000_NS6detail17trampoline_kernelINS0_14default_configENS1_25transform_config_selectorIlLb0EEEZNS1_14transform_implILb0ES3_S5_NS0_18transform_iteratorINS0_17counting_iteratorImlEEZNS1_24adjacent_difference_implIS3_Lb1ELb0EPlSB_ZN2at6native12_GLOBAL__N_124unique_dim_cuda_templateImEESt5tupleIJNSC_6TensorESH_SH_EERKSH_lbbbEUlllE1_EE10hipError_tPvRmT2_T3_mT4_P12ihipStream_tbEUlmE_lEESB_NS0_8identityIvEEEESM_SP_SQ_mSR_ST_bEUlT_E_NS1_11comp_targetILNS1_3genE5ELNS1_11target_archE942ELNS1_3gpuE9ELNS1_3repE0EEENS1_30default_config_static_selectorELNS0_4arch9wavefront6targetE0EEEvT1_.num_vgpr, 0
	.set _ZN7rocprim17ROCPRIM_400000_NS6detail17trampoline_kernelINS0_14default_configENS1_25transform_config_selectorIlLb0EEEZNS1_14transform_implILb0ES3_S5_NS0_18transform_iteratorINS0_17counting_iteratorImlEEZNS1_24adjacent_difference_implIS3_Lb1ELb0EPlSB_ZN2at6native12_GLOBAL__N_124unique_dim_cuda_templateImEESt5tupleIJNSC_6TensorESH_SH_EERKSH_lbbbEUlllE1_EE10hipError_tPvRmT2_T3_mT4_P12ihipStream_tbEUlmE_lEESB_NS0_8identityIvEEEESM_SP_SQ_mSR_ST_bEUlT_E_NS1_11comp_targetILNS1_3genE5ELNS1_11target_archE942ELNS1_3gpuE9ELNS1_3repE0EEENS1_30default_config_static_selectorELNS0_4arch9wavefront6targetE0EEEvT1_.num_agpr, 0
	.set _ZN7rocprim17ROCPRIM_400000_NS6detail17trampoline_kernelINS0_14default_configENS1_25transform_config_selectorIlLb0EEEZNS1_14transform_implILb0ES3_S5_NS0_18transform_iteratorINS0_17counting_iteratorImlEEZNS1_24adjacent_difference_implIS3_Lb1ELb0EPlSB_ZN2at6native12_GLOBAL__N_124unique_dim_cuda_templateImEESt5tupleIJNSC_6TensorESH_SH_EERKSH_lbbbEUlllE1_EE10hipError_tPvRmT2_T3_mT4_P12ihipStream_tbEUlmE_lEESB_NS0_8identityIvEEEESM_SP_SQ_mSR_ST_bEUlT_E_NS1_11comp_targetILNS1_3genE5ELNS1_11target_archE942ELNS1_3gpuE9ELNS1_3repE0EEENS1_30default_config_static_selectorELNS0_4arch9wavefront6targetE0EEEvT1_.numbered_sgpr, 0
	.set _ZN7rocprim17ROCPRIM_400000_NS6detail17trampoline_kernelINS0_14default_configENS1_25transform_config_selectorIlLb0EEEZNS1_14transform_implILb0ES3_S5_NS0_18transform_iteratorINS0_17counting_iteratorImlEEZNS1_24adjacent_difference_implIS3_Lb1ELb0EPlSB_ZN2at6native12_GLOBAL__N_124unique_dim_cuda_templateImEESt5tupleIJNSC_6TensorESH_SH_EERKSH_lbbbEUlllE1_EE10hipError_tPvRmT2_T3_mT4_P12ihipStream_tbEUlmE_lEESB_NS0_8identityIvEEEESM_SP_SQ_mSR_ST_bEUlT_E_NS1_11comp_targetILNS1_3genE5ELNS1_11target_archE942ELNS1_3gpuE9ELNS1_3repE0EEENS1_30default_config_static_selectorELNS0_4arch9wavefront6targetE0EEEvT1_.num_named_barrier, 0
	.set _ZN7rocprim17ROCPRIM_400000_NS6detail17trampoline_kernelINS0_14default_configENS1_25transform_config_selectorIlLb0EEEZNS1_14transform_implILb0ES3_S5_NS0_18transform_iteratorINS0_17counting_iteratorImlEEZNS1_24adjacent_difference_implIS3_Lb1ELb0EPlSB_ZN2at6native12_GLOBAL__N_124unique_dim_cuda_templateImEESt5tupleIJNSC_6TensorESH_SH_EERKSH_lbbbEUlllE1_EE10hipError_tPvRmT2_T3_mT4_P12ihipStream_tbEUlmE_lEESB_NS0_8identityIvEEEESM_SP_SQ_mSR_ST_bEUlT_E_NS1_11comp_targetILNS1_3genE5ELNS1_11target_archE942ELNS1_3gpuE9ELNS1_3repE0EEENS1_30default_config_static_selectorELNS0_4arch9wavefront6targetE0EEEvT1_.private_seg_size, 0
	.set _ZN7rocprim17ROCPRIM_400000_NS6detail17trampoline_kernelINS0_14default_configENS1_25transform_config_selectorIlLb0EEEZNS1_14transform_implILb0ES3_S5_NS0_18transform_iteratorINS0_17counting_iteratorImlEEZNS1_24adjacent_difference_implIS3_Lb1ELb0EPlSB_ZN2at6native12_GLOBAL__N_124unique_dim_cuda_templateImEESt5tupleIJNSC_6TensorESH_SH_EERKSH_lbbbEUlllE1_EE10hipError_tPvRmT2_T3_mT4_P12ihipStream_tbEUlmE_lEESB_NS0_8identityIvEEEESM_SP_SQ_mSR_ST_bEUlT_E_NS1_11comp_targetILNS1_3genE5ELNS1_11target_archE942ELNS1_3gpuE9ELNS1_3repE0EEENS1_30default_config_static_selectorELNS0_4arch9wavefront6targetE0EEEvT1_.uses_vcc, 0
	.set _ZN7rocprim17ROCPRIM_400000_NS6detail17trampoline_kernelINS0_14default_configENS1_25transform_config_selectorIlLb0EEEZNS1_14transform_implILb0ES3_S5_NS0_18transform_iteratorINS0_17counting_iteratorImlEEZNS1_24adjacent_difference_implIS3_Lb1ELb0EPlSB_ZN2at6native12_GLOBAL__N_124unique_dim_cuda_templateImEESt5tupleIJNSC_6TensorESH_SH_EERKSH_lbbbEUlllE1_EE10hipError_tPvRmT2_T3_mT4_P12ihipStream_tbEUlmE_lEESB_NS0_8identityIvEEEESM_SP_SQ_mSR_ST_bEUlT_E_NS1_11comp_targetILNS1_3genE5ELNS1_11target_archE942ELNS1_3gpuE9ELNS1_3repE0EEENS1_30default_config_static_selectorELNS0_4arch9wavefront6targetE0EEEvT1_.uses_flat_scratch, 0
	.set _ZN7rocprim17ROCPRIM_400000_NS6detail17trampoline_kernelINS0_14default_configENS1_25transform_config_selectorIlLb0EEEZNS1_14transform_implILb0ES3_S5_NS0_18transform_iteratorINS0_17counting_iteratorImlEEZNS1_24adjacent_difference_implIS3_Lb1ELb0EPlSB_ZN2at6native12_GLOBAL__N_124unique_dim_cuda_templateImEESt5tupleIJNSC_6TensorESH_SH_EERKSH_lbbbEUlllE1_EE10hipError_tPvRmT2_T3_mT4_P12ihipStream_tbEUlmE_lEESB_NS0_8identityIvEEEESM_SP_SQ_mSR_ST_bEUlT_E_NS1_11comp_targetILNS1_3genE5ELNS1_11target_archE942ELNS1_3gpuE9ELNS1_3repE0EEENS1_30default_config_static_selectorELNS0_4arch9wavefront6targetE0EEEvT1_.has_dyn_sized_stack, 0
	.set _ZN7rocprim17ROCPRIM_400000_NS6detail17trampoline_kernelINS0_14default_configENS1_25transform_config_selectorIlLb0EEEZNS1_14transform_implILb0ES3_S5_NS0_18transform_iteratorINS0_17counting_iteratorImlEEZNS1_24adjacent_difference_implIS3_Lb1ELb0EPlSB_ZN2at6native12_GLOBAL__N_124unique_dim_cuda_templateImEESt5tupleIJNSC_6TensorESH_SH_EERKSH_lbbbEUlllE1_EE10hipError_tPvRmT2_T3_mT4_P12ihipStream_tbEUlmE_lEESB_NS0_8identityIvEEEESM_SP_SQ_mSR_ST_bEUlT_E_NS1_11comp_targetILNS1_3genE5ELNS1_11target_archE942ELNS1_3gpuE9ELNS1_3repE0EEENS1_30default_config_static_selectorELNS0_4arch9wavefront6targetE0EEEvT1_.has_recursion, 0
	.set _ZN7rocprim17ROCPRIM_400000_NS6detail17trampoline_kernelINS0_14default_configENS1_25transform_config_selectorIlLb0EEEZNS1_14transform_implILb0ES3_S5_NS0_18transform_iteratorINS0_17counting_iteratorImlEEZNS1_24adjacent_difference_implIS3_Lb1ELb0EPlSB_ZN2at6native12_GLOBAL__N_124unique_dim_cuda_templateImEESt5tupleIJNSC_6TensorESH_SH_EERKSH_lbbbEUlllE1_EE10hipError_tPvRmT2_T3_mT4_P12ihipStream_tbEUlmE_lEESB_NS0_8identityIvEEEESM_SP_SQ_mSR_ST_bEUlT_E_NS1_11comp_targetILNS1_3genE5ELNS1_11target_archE942ELNS1_3gpuE9ELNS1_3repE0EEENS1_30default_config_static_selectorELNS0_4arch9wavefront6targetE0EEEvT1_.has_indirect_call, 0
	.section	.AMDGPU.csdata,"",@progbits
; Kernel info:
; codeLenInByte = 0
; TotalNumSgprs: 0
; NumVgprs: 0
; ScratchSize: 0
; MemoryBound: 0
; FloatMode: 240
; IeeeMode: 1
; LDSByteSize: 0 bytes/workgroup (compile time only)
; SGPRBlocks: 0
; VGPRBlocks: 0
; NumSGPRsForWavesPerEU: 1
; NumVGPRsForWavesPerEU: 1
; NamedBarCnt: 0
; Occupancy: 16
; WaveLimiterHint : 0
; COMPUTE_PGM_RSRC2:SCRATCH_EN: 0
; COMPUTE_PGM_RSRC2:USER_SGPR: 2
; COMPUTE_PGM_RSRC2:TRAP_HANDLER: 0
; COMPUTE_PGM_RSRC2:TGID_X_EN: 1
; COMPUTE_PGM_RSRC2:TGID_Y_EN: 0
; COMPUTE_PGM_RSRC2:TGID_Z_EN: 0
; COMPUTE_PGM_RSRC2:TIDIG_COMP_CNT: 0
	.section	.text._ZN7rocprim17ROCPRIM_400000_NS6detail17trampoline_kernelINS0_14default_configENS1_25transform_config_selectorIlLb0EEEZNS1_14transform_implILb0ES3_S5_NS0_18transform_iteratorINS0_17counting_iteratorImlEEZNS1_24adjacent_difference_implIS3_Lb1ELb0EPlSB_ZN2at6native12_GLOBAL__N_124unique_dim_cuda_templateImEESt5tupleIJNSC_6TensorESH_SH_EERKSH_lbbbEUlllE1_EE10hipError_tPvRmT2_T3_mT4_P12ihipStream_tbEUlmE_lEESB_NS0_8identityIvEEEESM_SP_SQ_mSR_ST_bEUlT_E_NS1_11comp_targetILNS1_3genE4ELNS1_11target_archE910ELNS1_3gpuE8ELNS1_3repE0EEENS1_30default_config_static_selectorELNS0_4arch9wavefront6targetE0EEEvT1_,"axG",@progbits,_ZN7rocprim17ROCPRIM_400000_NS6detail17trampoline_kernelINS0_14default_configENS1_25transform_config_selectorIlLb0EEEZNS1_14transform_implILb0ES3_S5_NS0_18transform_iteratorINS0_17counting_iteratorImlEEZNS1_24adjacent_difference_implIS3_Lb1ELb0EPlSB_ZN2at6native12_GLOBAL__N_124unique_dim_cuda_templateImEESt5tupleIJNSC_6TensorESH_SH_EERKSH_lbbbEUlllE1_EE10hipError_tPvRmT2_T3_mT4_P12ihipStream_tbEUlmE_lEESB_NS0_8identityIvEEEESM_SP_SQ_mSR_ST_bEUlT_E_NS1_11comp_targetILNS1_3genE4ELNS1_11target_archE910ELNS1_3gpuE8ELNS1_3repE0EEENS1_30default_config_static_selectorELNS0_4arch9wavefront6targetE0EEEvT1_,comdat
	.globl	_ZN7rocprim17ROCPRIM_400000_NS6detail17trampoline_kernelINS0_14default_configENS1_25transform_config_selectorIlLb0EEEZNS1_14transform_implILb0ES3_S5_NS0_18transform_iteratorINS0_17counting_iteratorImlEEZNS1_24adjacent_difference_implIS3_Lb1ELb0EPlSB_ZN2at6native12_GLOBAL__N_124unique_dim_cuda_templateImEESt5tupleIJNSC_6TensorESH_SH_EERKSH_lbbbEUlllE1_EE10hipError_tPvRmT2_T3_mT4_P12ihipStream_tbEUlmE_lEESB_NS0_8identityIvEEEESM_SP_SQ_mSR_ST_bEUlT_E_NS1_11comp_targetILNS1_3genE4ELNS1_11target_archE910ELNS1_3gpuE8ELNS1_3repE0EEENS1_30default_config_static_selectorELNS0_4arch9wavefront6targetE0EEEvT1_ ; -- Begin function _ZN7rocprim17ROCPRIM_400000_NS6detail17trampoline_kernelINS0_14default_configENS1_25transform_config_selectorIlLb0EEEZNS1_14transform_implILb0ES3_S5_NS0_18transform_iteratorINS0_17counting_iteratorImlEEZNS1_24adjacent_difference_implIS3_Lb1ELb0EPlSB_ZN2at6native12_GLOBAL__N_124unique_dim_cuda_templateImEESt5tupleIJNSC_6TensorESH_SH_EERKSH_lbbbEUlllE1_EE10hipError_tPvRmT2_T3_mT4_P12ihipStream_tbEUlmE_lEESB_NS0_8identityIvEEEESM_SP_SQ_mSR_ST_bEUlT_E_NS1_11comp_targetILNS1_3genE4ELNS1_11target_archE910ELNS1_3gpuE8ELNS1_3repE0EEENS1_30default_config_static_selectorELNS0_4arch9wavefront6targetE0EEEvT1_
	.p2align	8
	.type	_ZN7rocprim17ROCPRIM_400000_NS6detail17trampoline_kernelINS0_14default_configENS1_25transform_config_selectorIlLb0EEEZNS1_14transform_implILb0ES3_S5_NS0_18transform_iteratorINS0_17counting_iteratorImlEEZNS1_24adjacent_difference_implIS3_Lb1ELb0EPlSB_ZN2at6native12_GLOBAL__N_124unique_dim_cuda_templateImEESt5tupleIJNSC_6TensorESH_SH_EERKSH_lbbbEUlllE1_EE10hipError_tPvRmT2_T3_mT4_P12ihipStream_tbEUlmE_lEESB_NS0_8identityIvEEEESM_SP_SQ_mSR_ST_bEUlT_E_NS1_11comp_targetILNS1_3genE4ELNS1_11target_archE910ELNS1_3gpuE8ELNS1_3repE0EEENS1_30default_config_static_selectorELNS0_4arch9wavefront6targetE0EEEvT1_,@function
_ZN7rocprim17ROCPRIM_400000_NS6detail17trampoline_kernelINS0_14default_configENS1_25transform_config_selectorIlLb0EEEZNS1_14transform_implILb0ES3_S5_NS0_18transform_iteratorINS0_17counting_iteratorImlEEZNS1_24adjacent_difference_implIS3_Lb1ELb0EPlSB_ZN2at6native12_GLOBAL__N_124unique_dim_cuda_templateImEESt5tupleIJNSC_6TensorESH_SH_EERKSH_lbbbEUlllE1_EE10hipError_tPvRmT2_T3_mT4_P12ihipStream_tbEUlmE_lEESB_NS0_8identityIvEEEESM_SP_SQ_mSR_ST_bEUlT_E_NS1_11comp_targetILNS1_3genE4ELNS1_11target_archE910ELNS1_3gpuE8ELNS1_3repE0EEENS1_30default_config_static_selectorELNS0_4arch9wavefront6targetE0EEEvT1_: ; @_ZN7rocprim17ROCPRIM_400000_NS6detail17trampoline_kernelINS0_14default_configENS1_25transform_config_selectorIlLb0EEEZNS1_14transform_implILb0ES3_S5_NS0_18transform_iteratorINS0_17counting_iteratorImlEEZNS1_24adjacent_difference_implIS3_Lb1ELb0EPlSB_ZN2at6native12_GLOBAL__N_124unique_dim_cuda_templateImEESt5tupleIJNSC_6TensorESH_SH_EERKSH_lbbbEUlllE1_EE10hipError_tPvRmT2_T3_mT4_P12ihipStream_tbEUlmE_lEESB_NS0_8identityIvEEEESM_SP_SQ_mSR_ST_bEUlT_E_NS1_11comp_targetILNS1_3genE4ELNS1_11target_archE910ELNS1_3gpuE8ELNS1_3repE0EEENS1_30default_config_static_selectorELNS0_4arch9wavefront6targetE0EEEvT1_
; %bb.0:
	.section	.rodata,"a",@progbits
	.p2align	6, 0x0
	.amdhsa_kernel _ZN7rocprim17ROCPRIM_400000_NS6detail17trampoline_kernelINS0_14default_configENS1_25transform_config_selectorIlLb0EEEZNS1_14transform_implILb0ES3_S5_NS0_18transform_iteratorINS0_17counting_iteratorImlEEZNS1_24adjacent_difference_implIS3_Lb1ELb0EPlSB_ZN2at6native12_GLOBAL__N_124unique_dim_cuda_templateImEESt5tupleIJNSC_6TensorESH_SH_EERKSH_lbbbEUlllE1_EE10hipError_tPvRmT2_T3_mT4_P12ihipStream_tbEUlmE_lEESB_NS0_8identityIvEEEESM_SP_SQ_mSR_ST_bEUlT_E_NS1_11comp_targetILNS1_3genE4ELNS1_11target_archE910ELNS1_3gpuE8ELNS1_3repE0EEENS1_30default_config_static_selectorELNS0_4arch9wavefront6targetE0EEEvT1_
		.amdhsa_group_segment_fixed_size 0
		.amdhsa_private_segment_fixed_size 0
		.amdhsa_kernarg_size 56
		.amdhsa_user_sgpr_count 2
		.amdhsa_user_sgpr_dispatch_ptr 0
		.amdhsa_user_sgpr_queue_ptr 0
		.amdhsa_user_sgpr_kernarg_segment_ptr 1
		.amdhsa_user_sgpr_dispatch_id 0
		.amdhsa_user_sgpr_kernarg_preload_length 0
		.amdhsa_user_sgpr_kernarg_preload_offset 0
		.amdhsa_user_sgpr_private_segment_size 0
		.amdhsa_wavefront_size32 1
		.amdhsa_uses_dynamic_stack 0
		.amdhsa_enable_private_segment 0
		.amdhsa_system_sgpr_workgroup_id_x 1
		.amdhsa_system_sgpr_workgroup_id_y 0
		.amdhsa_system_sgpr_workgroup_id_z 0
		.amdhsa_system_sgpr_workgroup_info 0
		.amdhsa_system_vgpr_workitem_id 0
		.amdhsa_next_free_vgpr 1
		.amdhsa_next_free_sgpr 1
		.amdhsa_named_barrier_count 0
		.amdhsa_reserve_vcc 0
		.amdhsa_float_round_mode_32 0
		.amdhsa_float_round_mode_16_64 0
		.amdhsa_float_denorm_mode_32 3
		.amdhsa_float_denorm_mode_16_64 3
		.amdhsa_fp16_overflow 0
		.amdhsa_memory_ordered 1
		.amdhsa_forward_progress 1
		.amdhsa_inst_pref_size 0
		.amdhsa_round_robin_scheduling 0
		.amdhsa_exception_fp_ieee_invalid_op 0
		.amdhsa_exception_fp_denorm_src 0
		.amdhsa_exception_fp_ieee_div_zero 0
		.amdhsa_exception_fp_ieee_overflow 0
		.amdhsa_exception_fp_ieee_underflow 0
		.amdhsa_exception_fp_ieee_inexact 0
		.amdhsa_exception_int_div_zero 0
	.end_amdhsa_kernel
	.section	.text._ZN7rocprim17ROCPRIM_400000_NS6detail17trampoline_kernelINS0_14default_configENS1_25transform_config_selectorIlLb0EEEZNS1_14transform_implILb0ES3_S5_NS0_18transform_iteratorINS0_17counting_iteratorImlEEZNS1_24adjacent_difference_implIS3_Lb1ELb0EPlSB_ZN2at6native12_GLOBAL__N_124unique_dim_cuda_templateImEESt5tupleIJNSC_6TensorESH_SH_EERKSH_lbbbEUlllE1_EE10hipError_tPvRmT2_T3_mT4_P12ihipStream_tbEUlmE_lEESB_NS0_8identityIvEEEESM_SP_SQ_mSR_ST_bEUlT_E_NS1_11comp_targetILNS1_3genE4ELNS1_11target_archE910ELNS1_3gpuE8ELNS1_3repE0EEENS1_30default_config_static_selectorELNS0_4arch9wavefront6targetE0EEEvT1_,"axG",@progbits,_ZN7rocprim17ROCPRIM_400000_NS6detail17trampoline_kernelINS0_14default_configENS1_25transform_config_selectorIlLb0EEEZNS1_14transform_implILb0ES3_S5_NS0_18transform_iteratorINS0_17counting_iteratorImlEEZNS1_24adjacent_difference_implIS3_Lb1ELb0EPlSB_ZN2at6native12_GLOBAL__N_124unique_dim_cuda_templateImEESt5tupleIJNSC_6TensorESH_SH_EERKSH_lbbbEUlllE1_EE10hipError_tPvRmT2_T3_mT4_P12ihipStream_tbEUlmE_lEESB_NS0_8identityIvEEEESM_SP_SQ_mSR_ST_bEUlT_E_NS1_11comp_targetILNS1_3genE4ELNS1_11target_archE910ELNS1_3gpuE8ELNS1_3repE0EEENS1_30default_config_static_selectorELNS0_4arch9wavefront6targetE0EEEvT1_,comdat
.Lfunc_end1648:
	.size	_ZN7rocprim17ROCPRIM_400000_NS6detail17trampoline_kernelINS0_14default_configENS1_25transform_config_selectorIlLb0EEEZNS1_14transform_implILb0ES3_S5_NS0_18transform_iteratorINS0_17counting_iteratorImlEEZNS1_24adjacent_difference_implIS3_Lb1ELb0EPlSB_ZN2at6native12_GLOBAL__N_124unique_dim_cuda_templateImEESt5tupleIJNSC_6TensorESH_SH_EERKSH_lbbbEUlllE1_EE10hipError_tPvRmT2_T3_mT4_P12ihipStream_tbEUlmE_lEESB_NS0_8identityIvEEEESM_SP_SQ_mSR_ST_bEUlT_E_NS1_11comp_targetILNS1_3genE4ELNS1_11target_archE910ELNS1_3gpuE8ELNS1_3repE0EEENS1_30default_config_static_selectorELNS0_4arch9wavefront6targetE0EEEvT1_, .Lfunc_end1648-_ZN7rocprim17ROCPRIM_400000_NS6detail17trampoline_kernelINS0_14default_configENS1_25transform_config_selectorIlLb0EEEZNS1_14transform_implILb0ES3_S5_NS0_18transform_iteratorINS0_17counting_iteratorImlEEZNS1_24adjacent_difference_implIS3_Lb1ELb0EPlSB_ZN2at6native12_GLOBAL__N_124unique_dim_cuda_templateImEESt5tupleIJNSC_6TensorESH_SH_EERKSH_lbbbEUlllE1_EE10hipError_tPvRmT2_T3_mT4_P12ihipStream_tbEUlmE_lEESB_NS0_8identityIvEEEESM_SP_SQ_mSR_ST_bEUlT_E_NS1_11comp_targetILNS1_3genE4ELNS1_11target_archE910ELNS1_3gpuE8ELNS1_3repE0EEENS1_30default_config_static_selectorELNS0_4arch9wavefront6targetE0EEEvT1_
                                        ; -- End function
	.set _ZN7rocprim17ROCPRIM_400000_NS6detail17trampoline_kernelINS0_14default_configENS1_25transform_config_selectorIlLb0EEEZNS1_14transform_implILb0ES3_S5_NS0_18transform_iteratorINS0_17counting_iteratorImlEEZNS1_24adjacent_difference_implIS3_Lb1ELb0EPlSB_ZN2at6native12_GLOBAL__N_124unique_dim_cuda_templateImEESt5tupleIJNSC_6TensorESH_SH_EERKSH_lbbbEUlllE1_EE10hipError_tPvRmT2_T3_mT4_P12ihipStream_tbEUlmE_lEESB_NS0_8identityIvEEEESM_SP_SQ_mSR_ST_bEUlT_E_NS1_11comp_targetILNS1_3genE4ELNS1_11target_archE910ELNS1_3gpuE8ELNS1_3repE0EEENS1_30default_config_static_selectorELNS0_4arch9wavefront6targetE0EEEvT1_.num_vgpr, 0
	.set _ZN7rocprim17ROCPRIM_400000_NS6detail17trampoline_kernelINS0_14default_configENS1_25transform_config_selectorIlLb0EEEZNS1_14transform_implILb0ES3_S5_NS0_18transform_iteratorINS0_17counting_iteratorImlEEZNS1_24adjacent_difference_implIS3_Lb1ELb0EPlSB_ZN2at6native12_GLOBAL__N_124unique_dim_cuda_templateImEESt5tupleIJNSC_6TensorESH_SH_EERKSH_lbbbEUlllE1_EE10hipError_tPvRmT2_T3_mT4_P12ihipStream_tbEUlmE_lEESB_NS0_8identityIvEEEESM_SP_SQ_mSR_ST_bEUlT_E_NS1_11comp_targetILNS1_3genE4ELNS1_11target_archE910ELNS1_3gpuE8ELNS1_3repE0EEENS1_30default_config_static_selectorELNS0_4arch9wavefront6targetE0EEEvT1_.num_agpr, 0
	.set _ZN7rocprim17ROCPRIM_400000_NS6detail17trampoline_kernelINS0_14default_configENS1_25transform_config_selectorIlLb0EEEZNS1_14transform_implILb0ES3_S5_NS0_18transform_iteratorINS0_17counting_iteratorImlEEZNS1_24adjacent_difference_implIS3_Lb1ELb0EPlSB_ZN2at6native12_GLOBAL__N_124unique_dim_cuda_templateImEESt5tupleIJNSC_6TensorESH_SH_EERKSH_lbbbEUlllE1_EE10hipError_tPvRmT2_T3_mT4_P12ihipStream_tbEUlmE_lEESB_NS0_8identityIvEEEESM_SP_SQ_mSR_ST_bEUlT_E_NS1_11comp_targetILNS1_3genE4ELNS1_11target_archE910ELNS1_3gpuE8ELNS1_3repE0EEENS1_30default_config_static_selectorELNS0_4arch9wavefront6targetE0EEEvT1_.numbered_sgpr, 0
	.set _ZN7rocprim17ROCPRIM_400000_NS6detail17trampoline_kernelINS0_14default_configENS1_25transform_config_selectorIlLb0EEEZNS1_14transform_implILb0ES3_S5_NS0_18transform_iteratorINS0_17counting_iteratorImlEEZNS1_24adjacent_difference_implIS3_Lb1ELb0EPlSB_ZN2at6native12_GLOBAL__N_124unique_dim_cuda_templateImEESt5tupleIJNSC_6TensorESH_SH_EERKSH_lbbbEUlllE1_EE10hipError_tPvRmT2_T3_mT4_P12ihipStream_tbEUlmE_lEESB_NS0_8identityIvEEEESM_SP_SQ_mSR_ST_bEUlT_E_NS1_11comp_targetILNS1_3genE4ELNS1_11target_archE910ELNS1_3gpuE8ELNS1_3repE0EEENS1_30default_config_static_selectorELNS0_4arch9wavefront6targetE0EEEvT1_.num_named_barrier, 0
	.set _ZN7rocprim17ROCPRIM_400000_NS6detail17trampoline_kernelINS0_14default_configENS1_25transform_config_selectorIlLb0EEEZNS1_14transform_implILb0ES3_S5_NS0_18transform_iteratorINS0_17counting_iteratorImlEEZNS1_24adjacent_difference_implIS3_Lb1ELb0EPlSB_ZN2at6native12_GLOBAL__N_124unique_dim_cuda_templateImEESt5tupleIJNSC_6TensorESH_SH_EERKSH_lbbbEUlllE1_EE10hipError_tPvRmT2_T3_mT4_P12ihipStream_tbEUlmE_lEESB_NS0_8identityIvEEEESM_SP_SQ_mSR_ST_bEUlT_E_NS1_11comp_targetILNS1_3genE4ELNS1_11target_archE910ELNS1_3gpuE8ELNS1_3repE0EEENS1_30default_config_static_selectorELNS0_4arch9wavefront6targetE0EEEvT1_.private_seg_size, 0
	.set _ZN7rocprim17ROCPRIM_400000_NS6detail17trampoline_kernelINS0_14default_configENS1_25transform_config_selectorIlLb0EEEZNS1_14transform_implILb0ES3_S5_NS0_18transform_iteratorINS0_17counting_iteratorImlEEZNS1_24adjacent_difference_implIS3_Lb1ELb0EPlSB_ZN2at6native12_GLOBAL__N_124unique_dim_cuda_templateImEESt5tupleIJNSC_6TensorESH_SH_EERKSH_lbbbEUlllE1_EE10hipError_tPvRmT2_T3_mT4_P12ihipStream_tbEUlmE_lEESB_NS0_8identityIvEEEESM_SP_SQ_mSR_ST_bEUlT_E_NS1_11comp_targetILNS1_3genE4ELNS1_11target_archE910ELNS1_3gpuE8ELNS1_3repE0EEENS1_30default_config_static_selectorELNS0_4arch9wavefront6targetE0EEEvT1_.uses_vcc, 0
	.set _ZN7rocprim17ROCPRIM_400000_NS6detail17trampoline_kernelINS0_14default_configENS1_25transform_config_selectorIlLb0EEEZNS1_14transform_implILb0ES3_S5_NS0_18transform_iteratorINS0_17counting_iteratorImlEEZNS1_24adjacent_difference_implIS3_Lb1ELb0EPlSB_ZN2at6native12_GLOBAL__N_124unique_dim_cuda_templateImEESt5tupleIJNSC_6TensorESH_SH_EERKSH_lbbbEUlllE1_EE10hipError_tPvRmT2_T3_mT4_P12ihipStream_tbEUlmE_lEESB_NS0_8identityIvEEEESM_SP_SQ_mSR_ST_bEUlT_E_NS1_11comp_targetILNS1_3genE4ELNS1_11target_archE910ELNS1_3gpuE8ELNS1_3repE0EEENS1_30default_config_static_selectorELNS0_4arch9wavefront6targetE0EEEvT1_.uses_flat_scratch, 0
	.set _ZN7rocprim17ROCPRIM_400000_NS6detail17trampoline_kernelINS0_14default_configENS1_25transform_config_selectorIlLb0EEEZNS1_14transform_implILb0ES3_S5_NS0_18transform_iteratorINS0_17counting_iteratorImlEEZNS1_24adjacent_difference_implIS3_Lb1ELb0EPlSB_ZN2at6native12_GLOBAL__N_124unique_dim_cuda_templateImEESt5tupleIJNSC_6TensorESH_SH_EERKSH_lbbbEUlllE1_EE10hipError_tPvRmT2_T3_mT4_P12ihipStream_tbEUlmE_lEESB_NS0_8identityIvEEEESM_SP_SQ_mSR_ST_bEUlT_E_NS1_11comp_targetILNS1_3genE4ELNS1_11target_archE910ELNS1_3gpuE8ELNS1_3repE0EEENS1_30default_config_static_selectorELNS0_4arch9wavefront6targetE0EEEvT1_.has_dyn_sized_stack, 0
	.set _ZN7rocprim17ROCPRIM_400000_NS6detail17trampoline_kernelINS0_14default_configENS1_25transform_config_selectorIlLb0EEEZNS1_14transform_implILb0ES3_S5_NS0_18transform_iteratorINS0_17counting_iteratorImlEEZNS1_24adjacent_difference_implIS3_Lb1ELb0EPlSB_ZN2at6native12_GLOBAL__N_124unique_dim_cuda_templateImEESt5tupleIJNSC_6TensorESH_SH_EERKSH_lbbbEUlllE1_EE10hipError_tPvRmT2_T3_mT4_P12ihipStream_tbEUlmE_lEESB_NS0_8identityIvEEEESM_SP_SQ_mSR_ST_bEUlT_E_NS1_11comp_targetILNS1_3genE4ELNS1_11target_archE910ELNS1_3gpuE8ELNS1_3repE0EEENS1_30default_config_static_selectorELNS0_4arch9wavefront6targetE0EEEvT1_.has_recursion, 0
	.set _ZN7rocprim17ROCPRIM_400000_NS6detail17trampoline_kernelINS0_14default_configENS1_25transform_config_selectorIlLb0EEEZNS1_14transform_implILb0ES3_S5_NS0_18transform_iteratorINS0_17counting_iteratorImlEEZNS1_24adjacent_difference_implIS3_Lb1ELb0EPlSB_ZN2at6native12_GLOBAL__N_124unique_dim_cuda_templateImEESt5tupleIJNSC_6TensorESH_SH_EERKSH_lbbbEUlllE1_EE10hipError_tPvRmT2_T3_mT4_P12ihipStream_tbEUlmE_lEESB_NS0_8identityIvEEEESM_SP_SQ_mSR_ST_bEUlT_E_NS1_11comp_targetILNS1_3genE4ELNS1_11target_archE910ELNS1_3gpuE8ELNS1_3repE0EEENS1_30default_config_static_selectorELNS0_4arch9wavefront6targetE0EEEvT1_.has_indirect_call, 0
	.section	.AMDGPU.csdata,"",@progbits
; Kernel info:
; codeLenInByte = 0
; TotalNumSgprs: 0
; NumVgprs: 0
; ScratchSize: 0
; MemoryBound: 0
; FloatMode: 240
; IeeeMode: 1
; LDSByteSize: 0 bytes/workgroup (compile time only)
; SGPRBlocks: 0
; VGPRBlocks: 0
; NumSGPRsForWavesPerEU: 1
; NumVGPRsForWavesPerEU: 1
; NamedBarCnt: 0
; Occupancy: 16
; WaveLimiterHint : 0
; COMPUTE_PGM_RSRC2:SCRATCH_EN: 0
; COMPUTE_PGM_RSRC2:USER_SGPR: 2
; COMPUTE_PGM_RSRC2:TRAP_HANDLER: 0
; COMPUTE_PGM_RSRC2:TGID_X_EN: 1
; COMPUTE_PGM_RSRC2:TGID_Y_EN: 0
; COMPUTE_PGM_RSRC2:TGID_Z_EN: 0
; COMPUTE_PGM_RSRC2:TIDIG_COMP_CNT: 0
	.section	.text._ZN7rocprim17ROCPRIM_400000_NS6detail17trampoline_kernelINS0_14default_configENS1_25transform_config_selectorIlLb0EEEZNS1_14transform_implILb0ES3_S5_NS0_18transform_iteratorINS0_17counting_iteratorImlEEZNS1_24adjacent_difference_implIS3_Lb1ELb0EPlSB_ZN2at6native12_GLOBAL__N_124unique_dim_cuda_templateImEESt5tupleIJNSC_6TensorESH_SH_EERKSH_lbbbEUlllE1_EE10hipError_tPvRmT2_T3_mT4_P12ihipStream_tbEUlmE_lEESB_NS0_8identityIvEEEESM_SP_SQ_mSR_ST_bEUlT_E_NS1_11comp_targetILNS1_3genE3ELNS1_11target_archE908ELNS1_3gpuE7ELNS1_3repE0EEENS1_30default_config_static_selectorELNS0_4arch9wavefront6targetE0EEEvT1_,"axG",@progbits,_ZN7rocprim17ROCPRIM_400000_NS6detail17trampoline_kernelINS0_14default_configENS1_25transform_config_selectorIlLb0EEEZNS1_14transform_implILb0ES3_S5_NS0_18transform_iteratorINS0_17counting_iteratorImlEEZNS1_24adjacent_difference_implIS3_Lb1ELb0EPlSB_ZN2at6native12_GLOBAL__N_124unique_dim_cuda_templateImEESt5tupleIJNSC_6TensorESH_SH_EERKSH_lbbbEUlllE1_EE10hipError_tPvRmT2_T3_mT4_P12ihipStream_tbEUlmE_lEESB_NS0_8identityIvEEEESM_SP_SQ_mSR_ST_bEUlT_E_NS1_11comp_targetILNS1_3genE3ELNS1_11target_archE908ELNS1_3gpuE7ELNS1_3repE0EEENS1_30default_config_static_selectorELNS0_4arch9wavefront6targetE0EEEvT1_,comdat
	.globl	_ZN7rocprim17ROCPRIM_400000_NS6detail17trampoline_kernelINS0_14default_configENS1_25transform_config_selectorIlLb0EEEZNS1_14transform_implILb0ES3_S5_NS0_18transform_iteratorINS0_17counting_iteratorImlEEZNS1_24adjacent_difference_implIS3_Lb1ELb0EPlSB_ZN2at6native12_GLOBAL__N_124unique_dim_cuda_templateImEESt5tupleIJNSC_6TensorESH_SH_EERKSH_lbbbEUlllE1_EE10hipError_tPvRmT2_T3_mT4_P12ihipStream_tbEUlmE_lEESB_NS0_8identityIvEEEESM_SP_SQ_mSR_ST_bEUlT_E_NS1_11comp_targetILNS1_3genE3ELNS1_11target_archE908ELNS1_3gpuE7ELNS1_3repE0EEENS1_30default_config_static_selectorELNS0_4arch9wavefront6targetE0EEEvT1_ ; -- Begin function _ZN7rocprim17ROCPRIM_400000_NS6detail17trampoline_kernelINS0_14default_configENS1_25transform_config_selectorIlLb0EEEZNS1_14transform_implILb0ES3_S5_NS0_18transform_iteratorINS0_17counting_iteratorImlEEZNS1_24adjacent_difference_implIS3_Lb1ELb0EPlSB_ZN2at6native12_GLOBAL__N_124unique_dim_cuda_templateImEESt5tupleIJNSC_6TensorESH_SH_EERKSH_lbbbEUlllE1_EE10hipError_tPvRmT2_T3_mT4_P12ihipStream_tbEUlmE_lEESB_NS0_8identityIvEEEESM_SP_SQ_mSR_ST_bEUlT_E_NS1_11comp_targetILNS1_3genE3ELNS1_11target_archE908ELNS1_3gpuE7ELNS1_3repE0EEENS1_30default_config_static_selectorELNS0_4arch9wavefront6targetE0EEEvT1_
	.p2align	8
	.type	_ZN7rocprim17ROCPRIM_400000_NS6detail17trampoline_kernelINS0_14default_configENS1_25transform_config_selectorIlLb0EEEZNS1_14transform_implILb0ES3_S5_NS0_18transform_iteratorINS0_17counting_iteratorImlEEZNS1_24adjacent_difference_implIS3_Lb1ELb0EPlSB_ZN2at6native12_GLOBAL__N_124unique_dim_cuda_templateImEESt5tupleIJNSC_6TensorESH_SH_EERKSH_lbbbEUlllE1_EE10hipError_tPvRmT2_T3_mT4_P12ihipStream_tbEUlmE_lEESB_NS0_8identityIvEEEESM_SP_SQ_mSR_ST_bEUlT_E_NS1_11comp_targetILNS1_3genE3ELNS1_11target_archE908ELNS1_3gpuE7ELNS1_3repE0EEENS1_30default_config_static_selectorELNS0_4arch9wavefront6targetE0EEEvT1_,@function
_ZN7rocprim17ROCPRIM_400000_NS6detail17trampoline_kernelINS0_14default_configENS1_25transform_config_selectorIlLb0EEEZNS1_14transform_implILb0ES3_S5_NS0_18transform_iteratorINS0_17counting_iteratorImlEEZNS1_24adjacent_difference_implIS3_Lb1ELb0EPlSB_ZN2at6native12_GLOBAL__N_124unique_dim_cuda_templateImEESt5tupleIJNSC_6TensorESH_SH_EERKSH_lbbbEUlllE1_EE10hipError_tPvRmT2_T3_mT4_P12ihipStream_tbEUlmE_lEESB_NS0_8identityIvEEEESM_SP_SQ_mSR_ST_bEUlT_E_NS1_11comp_targetILNS1_3genE3ELNS1_11target_archE908ELNS1_3gpuE7ELNS1_3repE0EEENS1_30default_config_static_selectorELNS0_4arch9wavefront6targetE0EEEvT1_: ; @_ZN7rocprim17ROCPRIM_400000_NS6detail17trampoline_kernelINS0_14default_configENS1_25transform_config_selectorIlLb0EEEZNS1_14transform_implILb0ES3_S5_NS0_18transform_iteratorINS0_17counting_iteratorImlEEZNS1_24adjacent_difference_implIS3_Lb1ELb0EPlSB_ZN2at6native12_GLOBAL__N_124unique_dim_cuda_templateImEESt5tupleIJNSC_6TensorESH_SH_EERKSH_lbbbEUlllE1_EE10hipError_tPvRmT2_T3_mT4_P12ihipStream_tbEUlmE_lEESB_NS0_8identityIvEEEESM_SP_SQ_mSR_ST_bEUlT_E_NS1_11comp_targetILNS1_3genE3ELNS1_11target_archE908ELNS1_3gpuE7ELNS1_3repE0EEENS1_30default_config_static_selectorELNS0_4arch9wavefront6targetE0EEEvT1_
; %bb.0:
	.section	.rodata,"a",@progbits
	.p2align	6, 0x0
	.amdhsa_kernel _ZN7rocprim17ROCPRIM_400000_NS6detail17trampoline_kernelINS0_14default_configENS1_25transform_config_selectorIlLb0EEEZNS1_14transform_implILb0ES3_S5_NS0_18transform_iteratorINS0_17counting_iteratorImlEEZNS1_24adjacent_difference_implIS3_Lb1ELb0EPlSB_ZN2at6native12_GLOBAL__N_124unique_dim_cuda_templateImEESt5tupleIJNSC_6TensorESH_SH_EERKSH_lbbbEUlllE1_EE10hipError_tPvRmT2_T3_mT4_P12ihipStream_tbEUlmE_lEESB_NS0_8identityIvEEEESM_SP_SQ_mSR_ST_bEUlT_E_NS1_11comp_targetILNS1_3genE3ELNS1_11target_archE908ELNS1_3gpuE7ELNS1_3repE0EEENS1_30default_config_static_selectorELNS0_4arch9wavefront6targetE0EEEvT1_
		.amdhsa_group_segment_fixed_size 0
		.amdhsa_private_segment_fixed_size 0
		.amdhsa_kernarg_size 56
		.amdhsa_user_sgpr_count 2
		.amdhsa_user_sgpr_dispatch_ptr 0
		.amdhsa_user_sgpr_queue_ptr 0
		.amdhsa_user_sgpr_kernarg_segment_ptr 1
		.amdhsa_user_sgpr_dispatch_id 0
		.amdhsa_user_sgpr_kernarg_preload_length 0
		.amdhsa_user_sgpr_kernarg_preload_offset 0
		.amdhsa_user_sgpr_private_segment_size 0
		.amdhsa_wavefront_size32 1
		.amdhsa_uses_dynamic_stack 0
		.amdhsa_enable_private_segment 0
		.amdhsa_system_sgpr_workgroup_id_x 1
		.amdhsa_system_sgpr_workgroup_id_y 0
		.amdhsa_system_sgpr_workgroup_id_z 0
		.amdhsa_system_sgpr_workgroup_info 0
		.amdhsa_system_vgpr_workitem_id 0
		.amdhsa_next_free_vgpr 1
		.amdhsa_next_free_sgpr 1
		.amdhsa_named_barrier_count 0
		.amdhsa_reserve_vcc 0
		.amdhsa_float_round_mode_32 0
		.amdhsa_float_round_mode_16_64 0
		.amdhsa_float_denorm_mode_32 3
		.amdhsa_float_denorm_mode_16_64 3
		.amdhsa_fp16_overflow 0
		.amdhsa_memory_ordered 1
		.amdhsa_forward_progress 1
		.amdhsa_inst_pref_size 0
		.amdhsa_round_robin_scheduling 0
		.amdhsa_exception_fp_ieee_invalid_op 0
		.amdhsa_exception_fp_denorm_src 0
		.amdhsa_exception_fp_ieee_div_zero 0
		.amdhsa_exception_fp_ieee_overflow 0
		.amdhsa_exception_fp_ieee_underflow 0
		.amdhsa_exception_fp_ieee_inexact 0
		.amdhsa_exception_int_div_zero 0
	.end_amdhsa_kernel
	.section	.text._ZN7rocprim17ROCPRIM_400000_NS6detail17trampoline_kernelINS0_14default_configENS1_25transform_config_selectorIlLb0EEEZNS1_14transform_implILb0ES3_S5_NS0_18transform_iteratorINS0_17counting_iteratorImlEEZNS1_24adjacent_difference_implIS3_Lb1ELb0EPlSB_ZN2at6native12_GLOBAL__N_124unique_dim_cuda_templateImEESt5tupleIJNSC_6TensorESH_SH_EERKSH_lbbbEUlllE1_EE10hipError_tPvRmT2_T3_mT4_P12ihipStream_tbEUlmE_lEESB_NS0_8identityIvEEEESM_SP_SQ_mSR_ST_bEUlT_E_NS1_11comp_targetILNS1_3genE3ELNS1_11target_archE908ELNS1_3gpuE7ELNS1_3repE0EEENS1_30default_config_static_selectorELNS0_4arch9wavefront6targetE0EEEvT1_,"axG",@progbits,_ZN7rocprim17ROCPRIM_400000_NS6detail17trampoline_kernelINS0_14default_configENS1_25transform_config_selectorIlLb0EEEZNS1_14transform_implILb0ES3_S5_NS0_18transform_iteratorINS0_17counting_iteratorImlEEZNS1_24adjacent_difference_implIS3_Lb1ELb0EPlSB_ZN2at6native12_GLOBAL__N_124unique_dim_cuda_templateImEESt5tupleIJNSC_6TensorESH_SH_EERKSH_lbbbEUlllE1_EE10hipError_tPvRmT2_T3_mT4_P12ihipStream_tbEUlmE_lEESB_NS0_8identityIvEEEESM_SP_SQ_mSR_ST_bEUlT_E_NS1_11comp_targetILNS1_3genE3ELNS1_11target_archE908ELNS1_3gpuE7ELNS1_3repE0EEENS1_30default_config_static_selectorELNS0_4arch9wavefront6targetE0EEEvT1_,comdat
.Lfunc_end1649:
	.size	_ZN7rocprim17ROCPRIM_400000_NS6detail17trampoline_kernelINS0_14default_configENS1_25transform_config_selectorIlLb0EEEZNS1_14transform_implILb0ES3_S5_NS0_18transform_iteratorINS0_17counting_iteratorImlEEZNS1_24adjacent_difference_implIS3_Lb1ELb0EPlSB_ZN2at6native12_GLOBAL__N_124unique_dim_cuda_templateImEESt5tupleIJNSC_6TensorESH_SH_EERKSH_lbbbEUlllE1_EE10hipError_tPvRmT2_T3_mT4_P12ihipStream_tbEUlmE_lEESB_NS0_8identityIvEEEESM_SP_SQ_mSR_ST_bEUlT_E_NS1_11comp_targetILNS1_3genE3ELNS1_11target_archE908ELNS1_3gpuE7ELNS1_3repE0EEENS1_30default_config_static_selectorELNS0_4arch9wavefront6targetE0EEEvT1_, .Lfunc_end1649-_ZN7rocprim17ROCPRIM_400000_NS6detail17trampoline_kernelINS0_14default_configENS1_25transform_config_selectorIlLb0EEEZNS1_14transform_implILb0ES3_S5_NS0_18transform_iteratorINS0_17counting_iteratorImlEEZNS1_24adjacent_difference_implIS3_Lb1ELb0EPlSB_ZN2at6native12_GLOBAL__N_124unique_dim_cuda_templateImEESt5tupleIJNSC_6TensorESH_SH_EERKSH_lbbbEUlllE1_EE10hipError_tPvRmT2_T3_mT4_P12ihipStream_tbEUlmE_lEESB_NS0_8identityIvEEEESM_SP_SQ_mSR_ST_bEUlT_E_NS1_11comp_targetILNS1_3genE3ELNS1_11target_archE908ELNS1_3gpuE7ELNS1_3repE0EEENS1_30default_config_static_selectorELNS0_4arch9wavefront6targetE0EEEvT1_
                                        ; -- End function
	.set _ZN7rocprim17ROCPRIM_400000_NS6detail17trampoline_kernelINS0_14default_configENS1_25transform_config_selectorIlLb0EEEZNS1_14transform_implILb0ES3_S5_NS0_18transform_iteratorINS0_17counting_iteratorImlEEZNS1_24adjacent_difference_implIS3_Lb1ELb0EPlSB_ZN2at6native12_GLOBAL__N_124unique_dim_cuda_templateImEESt5tupleIJNSC_6TensorESH_SH_EERKSH_lbbbEUlllE1_EE10hipError_tPvRmT2_T3_mT4_P12ihipStream_tbEUlmE_lEESB_NS0_8identityIvEEEESM_SP_SQ_mSR_ST_bEUlT_E_NS1_11comp_targetILNS1_3genE3ELNS1_11target_archE908ELNS1_3gpuE7ELNS1_3repE0EEENS1_30default_config_static_selectorELNS0_4arch9wavefront6targetE0EEEvT1_.num_vgpr, 0
	.set _ZN7rocprim17ROCPRIM_400000_NS6detail17trampoline_kernelINS0_14default_configENS1_25transform_config_selectorIlLb0EEEZNS1_14transform_implILb0ES3_S5_NS0_18transform_iteratorINS0_17counting_iteratorImlEEZNS1_24adjacent_difference_implIS3_Lb1ELb0EPlSB_ZN2at6native12_GLOBAL__N_124unique_dim_cuda_templateImEESt5tupleIJNSC_6TensorESH_SH_EERKSH_lbbbEUlllE1_EE10hipError_tPvRmT2_T3_mT4_P12ihipStream_tbEUlmE_lEESB_NS0_8identityIvEEEESM_SP_SQ_mSR_ST_bEUlT_E_NS1_11comp_targetILNS1_3genE3ELNS1_11target_archE908ELNS1_3gpuE7ELNS1_3repE0EEENS1_30default_config_static_selectorELNS0_4arch9wavefront6targetE0EEEvT1_.num_agpr, 0
	.set _ZN7rocprim17ROCPRIM_400000_NS6detail17trampoline_kernelINS0_14default_configENS1_25transform_config_selectorIlLb0EEEZNS1_14transform_implILb0ES3_S5_NS0_18transform_iteratorINS0_17counting_iteratorImlEEZNS1_24adjacent_difference_implIS3_Lb1ELb0EPlSB_ZN2at6native12_GLOBAL__N_124unique_dim_cuda_templateImEESt5tupleIJNSC_6TensorESH_SH_EERKSH_lbbbEUlllE1_EE10hipError_tPvRmT2_T3_mT4_P12ihipStream_tbEUlmE_lEESB_NS0_8identityIvEEEESM_SP_SQ_mSR_ST_bEUlT_E_NS1_11comp_targetILNS1_3genE3ELNS1_11target_archE908ELNS1_3gpuE7ELNS1_3repE0EEENS1_30default_config_static_selectorELNS0_4arch9wavefront6targetE0EEEvT1_.numbered_sgpr, 0
	.set _ZN7rocprim17ROCPRIM_400000_NS6detail17trampoline_kernelINS0_14default_configENS1_25transform_config_selectorIlLb0EEEZNS1_14transform_implILb0ES3_S5_NS0_18transform_iteratorINS0_17counting_iteratorImlEEZNS1_24adjacent_difference_implIS3_Lb1ELb0EPlSB_ZN2at6native12_GLOBAL__N_124unique_dim_cuda_templateImEESt5tupleIJNSC_6TensorESH_SH_EERKSH_lbbbEUlllE1_EE10hipError_tPvRmT2_T3_mT4_P12ihipStream_tbEUlmE_lEESB_NS0_8identityIvEEEESM_SP_SQ_mSR_ST_bEUlT_E_NS1_11comp_targetILNS1_3genE3ELNS1_11target_archE908ELNS1_3gpuE7ELNS1_3repE0EEENS1_30default_config_static_selectorELNS0_4arch9wavefront6targetE0EEEvT1_.num_named_barrier, 0
	.set _ZN7rocprim17ROCPRIM_400000_NS6detail17trampoline_kernelINS0_14default_configENS1_25transform_config_selectorIlLb0EEEZNS1_14transform_implILb0ES3_S5_NS0_18transform_iteratorINS0_17counting_iteratorImlEEZNS1_24adjacent_difference_implIS3_Lb1ELb0EPlSB_ZN2at6native12_GLOBAL__N_124unique_dim_cuda_templateImEESt5tupleIJNSC_6TensorESH_SH_EERKSH_lbbbEUlllE1_EE10hipError_tPvRmT2_T3_mT4_P12ihipStream_tbEUlmE_lEESB_NS0_8identityIvEEEESM_SP_SQ_mSR_ST_bEUlT_E_NS1_11comp_targetILNS1_3genE3ELNS1_11target_archE908ELNS1_3gpuE7ELNS1_3repE0EEENS1_30default_config_static_selectorELNS0_4arch9wavefront6targetE0EEEvT1_.private_seg_size, 0
	.set _ZN7rocprim17ROCPRIM_400000_NS6detail17trampoline_kernelINS0_14default_configENS1_25transform_config_selectorIlLb0EEEZNS1_14transform_implILb0ES3_S5_NS0_18transform_iteratorINS0_17counting_iteratorImlEEZNS1_24adjacent_difference_implIS3_Lb1ELb0EPlSB_ZN2at6native12_GLOBAL__N_124unique_dim_cuda_templateImEESt5tupleIJNSC_6TensorESH_SH_EERKSH_lbbbEUlllE1_EE10hipError_tPvRmT2_T3_mT4_P12ihipStream_tbEUlmE_lEESB_NS0_8identityIvEEEESM_SP_SQ_mSR_ST_bEUlT_E_NS1_11comp_targetILNS1_3genE3ELNS1_11target_archE908ELNS1_3gpuE7ELNS1_3repE0EEENS1_30default_config_static_selectorELNS0_4arch9wavefront6targetE0EEEvT1_.uses_vcc, 0
	.set _ZN7rocprim17ROCPRIM_400000_NS6detail17trampoline_kernelINS0_14default_configENS1_25transform_config_selectorIlLb0EEEZNS1_14transform_implILb0ES3_S5_NS0_18transform_iteratorINS0_17counting_iteratorImlEEZNS1_24adjacent_difference_implIS3_Lb1ELb0EPlSB_ZN2at6native12_GLOBAL__N_124unique_dim_cuda_templateImEESt5tupleIJNSC_6TensorESH_SH_EERKSH_lbbbEUlllE1_EE10hipError_tPvRmT2_T3_mT4_P12ihipStream_tbEUlmE_lEESB_NS0_8identityIvEEEESM_SP_SQ_mSR_ST_bEUlT_E_NS1_11comp_targetILNS1_3genE3ELNS1_11target_archE908ELNS1_3gpuE7ELNS1_3repE0EEENS1_30default_config_static_selectorELNS0_4arch9wavefront6targetE0EEEvT1_.uses_flat_scratch, 0
	.set _ZN7rocprim17ROCPRIM_400000_NS6detail17trampoline_kernelINS0_14default_configENS1_25transform_config_selectorIlLb0EEEZNS1_14transform_implILb0ES3_S5_NS0_18transform_iteratorINS0_17counting_iteratorImlEEZNS1_24adjacent_difference_implIS3_Lb1ELb0EPlSB_ZN2at6native12_GLOBAL__N_124unique_dim_cuda_templateImEESt5tupleIJNSC_6TensorESH_SH_EERKSH_lbbbEUlllE1_EE10hipError_tPvRmT2_T3_mT4_P12ihipStream_tbEUlmE_lEESB_NS0_8identityIvEEEESM_SP_SQ_mSR_ST_bEUlT_E_NS1_11comp_targetILNS1_3genE3ELNS1_11target_archE908ELNS1_3gpuE7ELNS1_3repE0EEENS1_30default_config_static_selectorELNS0_4arch9wavefront6targetE0EEEvT1_.has_dyn_sized_stack, 0
	.set _ZN7rocprim17ROCPRIM_400000_NS6detail17trampoline_kernelINS0_14default_configENS1_25transform_config_selectorIlLb0EEEZNS1_14transform_implILb0ES3_S5_NS0_18transform_iteratorINS0_17counting_iteratorImlEEZNS1_24adjacent_difference_implIS3_Lb1ELb0EPlSB_ZN2at6native12_GLOBAL__N_124unique_dim_cuda_templateImEESt5tupleIJNSC_6TensorESH_SH_EERKSH_lbbbEUlllE1_EE10hipError_tPvRmT2_T3_mT4_P12ihipStream_tbEUlmE_lEESB_NS0_8identityIvEEEESM_SP_SQ_mSR_ST_bEUlT_E_NS1_11comp_targetILNS1_3genE3ELNS1_11target_archE908ELNS1_3gpuE7ELNS1_3repE0EEENS1_30default_config_static_selectorELNS0_4arch9wavefront6targetE0EEEvT1_.has_recursion, 0
	.set _ZN7rocprim17ROCPRIM_400000_NS6detail17trampoline_kernelINS0_14default_configENS1_25transform_config_selectorIlLb0EEEZNS1_14transform_implILb0ES3_S5_NS0_18transform_iteratorINS0_17counting_iteratorImlEEZNS1_24adjacent_difference_implIS3_Lb1ELb0EPlSB_ZN2at6native12_GLOBAL__N_124unique_dim_cuda_templateImEESt5tupleIJNSC_6TensorESH_SH_EERKSH_lbbbEUlllE1_EE10hipError_tPvRmT2_T3_mT4_P12ihipStream_tbEUlmE_lEESB_NS0_8identityIvEEEESM_SP_SQ_mSR_ST_bEUlT_E_NS1_11comp_targetILNS1_3genE3ELNS1_11target_archE908ELNS1_3gpuE7ELNS1_3repE0EEENS1_30default_config_static_selectorELNS0_4arch9wavefront6targetE0EEEvT1_.has_indirect_call, 0
	.section	.AMDGPU.csdata,"",@progbits
; Kernel info:
; codeLenInByte = 0
; TotalNumSgprs: 0
; NumVgprs: 0
; ScratchSize: 0
; MemoryBound: 0
; FloatMode: 240
; IeeeMode: 1
; LDSByteSize: 0 bytes/workgroup (compile time only)
; SGPRBlocks: 0
; VGPRBlocks: 0
; NumSGPRsForWavesPerEU: 1
; NumVGPRsForWavesPerEU: 1
; NamedBarCnt: 0
; Occupancy: 16
; WaveLimiterHint : 0
; COMPUTE_PGM_RSRC2:SCRATCH_EN: 0
; COMPUTE_PGM_RSRC2:USER_SGPR: 2
; COMPUTE_PGM_RSRC2:TRAP_HANDLER: 0
; COMPUTE_PGM_RSRC2:TGID_X_EN: 1
; COMPUTE_PGM_RSRC2:TGID_Y_EN: 0
; COMPUTE_PGM_RSRC2:TGID_Z_EN: 0
; COMPUTE_PGM_RSRC2:TIDIG_COMP_CNT: 0
	.section	.text._ZN7rocprim17ROCPRIM_400000_NS6detail17trampoline_kernelINS0_14default_configENS1_25transform_config_selectorIlLb0EEEZNS1_14transform_implILb0ES3_S5_NS0_18transform_iteratorINS0_17counting_iteratorImlEEZNS1_24adjacent_difference_implIS3_Lb1ELb0EPlSB_ZN2at6native12_GLOBAL__N_124unique_dim_cuda_templateImEESt5tupleIJNSC_6TensorESH_SH_EERKSH_lbbbEUlllE1_EE10hipError_tPvRmT2_T3_mT4_P12ihipStream_tbEUlmE_lEESB_NS0_8identityIvEEEESM_SP_SQ_mSR_ST_bEUlT_E_NS1_11comp_targetILNS1_3genE2ELNS1_11target_archE906ELNS1_3gpuE6ELNS1_3repE0EEENS1_30default_config_static_selectorELNS0_4arch9wavefront6targetE0EEEvT1_,"axG",@progbits,_ZN7rocprim17ROCPRIM_400000_NS6detail17trampoline_kernelINS0_14default_configENS1_25transform_config_selectorIlLb0EEEZNS1_14transform_implILb0ES3_S5_NS0_18transform_iteratorINS0_17counting_iteratorImlEEZNS1_24adjacent_difference_implIS3_Lb1ELb0EPlSB_ZN2at6native12_GLOBAL__N_124unique_dim_cuda_templateImEESt5tupleIJNSC_6TensorESH_SH_EERKSH_lbbbEUlllE1_EE10hipError_tPvRmT2_T3_mT4_P12ihipStream_tbEUlmE_lEESB_NS0_8identityIvEEEESM_SP_SQ_mSR_ST_bEUlT_E_NS1_11comp_targetILNS1_3genE2ELNS1_11target_archE906ELNS1_3gpuE6ELNS1_3repE0EEENS1_30default_config_static_selectorELNS0_4arch9wavefront6targetE0EEEvT1_,comdat
	.globl	_ZN7rocprim17ROCPRIM_400000_NS6detail17trampoline_kernelINS0_14default_configENS1_25transform_config_selectorIlLb0EEEZNS1_14transform_implILb0ES3_S5_NS0_18transform_iteratorINS0_17counting_iteratorImlEEZNS1_24adjacent_difference_implIS3_Lb1ELb0EPlSB_ZN2at6native12_GLOBAL__N_124unique_dim_cuda_templateImEESt5tupleIJNSC_6TensorESH_SH_EERKSH_lbbbEUlllE1_EE10hipError_tPvRmT2_T3_mT4_P12ihipStream_tbEUlmE_lEESB_NS0_8identityIvEEEESM_SP_SQ_mSR_ST_bEUlT_E_NS1_11comp_targetILNS1_3genE2ELNS1_11target_archE906ELNS1_3gpuE6ELNS1_3repE0EEENS1_30default_config_static_selectorELNS0_4arch9wavefront6targetE0EEEvT1_ ; -- Begin function _ZN7rocprim17ROCPRIM_400000_NS6detail17trampoline_kernelINS0_14default_configENS1_25transform_config_selectorIlLb0EEEZNS1_14transform_implILb0ES3_S5_NS0_18transform_iteratorINS0_17counting_iteratorImlEEZNS1_24adjacent_difference_implIS3_Lb1ELb0EPlSB_ZN2at6native12_GLOBAL__N_124unique_dim_cuda_templateImEESt5tupleIJNSC_6TensorESH_SH_EERKSH_lbbbEUlllE1_EE10hipError_tPvRmT2_T3_mT4_P12ihipStream_tbEUlmE_lEESB_NS0_8identityIvEEEESM_SP_SQ_mSR_ST_bEUlT_E_NS1_11comp_targetILNS1_3genE2ELNS1_11target_archE906ELNS1_3gpuE6ELNS1_3repE0EEENS1_30default_config_static_selectorELNS0_4arch9wavefront6targetE0EEEvT1_
	.p2align	8
	.type	_ZN7rocprim17ROCPRIM_400000_NS6detail17trampoline_kernelINS0_14default_configENS1_25transform_config_selectorIlLb0EEEZNS1_14transform_implILb0ES3_S5_NS0_18transform_iteratorINS0_17counting_iteratorImlEEZNS1_24adjacent_difference_implIS3_Lb1ELb0EPlSB_ZN2at6native12_GLOBAL__N_124unique_dim_cuda_templateImEESt5tupleIJNSC_6TensorESH_SH_EERKSH_lbbbEUlllE1_EE10hipError_tPvRmT2_T3_mT4_P12ihipStream_tbEUlmE_lEESB_NS0_8identityIvEEEESM_SP_SQ_mSR_ST_bEUlT_E_NS1_11comp_targetILNS1_3genE2ELNS1_11target_archE906ELNS1_3gpuE6ELNS1_3repE0EEENS1_30default_config_static_selectorELNS0_4arch9wavefront6targetE0EEEvT1_,@function
_ZN7rocprim17ROCPRIM_400000_NS6detail17trampoline_kernelINS0_14default_configENS1_25transform_config_selectorIlLb0EEEZNS1_14transform_implILb0ES3_S5_NS0_18transform_iteratorINS0_17counting_iteratorImlEEZNS1_24adjacent_difference_implIS3_Lb1ELb0EPlSB_ZN2at6native12_GLOBAL__N_124unique_dim_cuda_templateImEESt5tupleIJNSC_6TensorESH_SH_EERKSH_lbbbEUlllE1_EE10hipError_tPvRmT2_T3_mT4_P12ihipStream_tbEUlmE_lEESB_NS0_8identityIvEEEESM_SP_SQ_mSR_ST_bEUlT_E_NS1_11comp_targetILNS1_3genE2ELNS1_11target_archE906ELNS1_3gpuE6ELNS1_3repE0EEENS1_30default_config_static_selectorELNS0_4arch9wavefront6targetE0EEEvT1_: ; @_ZN7rocprim17ROCPRIM_400000_NS6detail17trampoline_kernelINS0_14default_configENS1_25transform_config_selectorIlLb0EEEZNS1_14transform_implILb0ES3_S5_NS0_18transform_iteratorINS0_17counting_iteratorImlEEZNS1_24adjacent_difference_implIS3_Lb1ELb0EPlSB_ZN2at6native12_GLOBAL__N_124unique_dim_cuda_templateImEESt5tupleIJNSC_6TensorESH_SH_EERKSH_lbbbEUlllE1_EE10hipError_tPvRmT2_T3_mT4_P12ihipStream_tbEUlmE_lEESB_NS0_8identityIvEEEESM_SP_SQ_mSR_ST_bEUlT_E_NS1_11comp_targetILNS1_3genE2ELNS1_11target_archE906ELNS1_3gpuE6ELNS1_3repE0EEENS1_30default_config_static_selectorELNS0_4arch9wavefront6targetE0EEEvT1_
; %bb.0:
	.section	.rodata,"a",@progbits
	.p2align	6, 0x0
	.amdhsa_kernel _ZN7rocprim17ROCPRIM_400000_NS6detail17trampoline_kernelINS0_14default_configENS1_25transform_config_selectorIlLb0EEEZNS1_14transform_implILb0ES3_S5_NS0_18transform_iteratorINS0_17counting_iteratorImlEEZNS1_24adjacent_difference_implIS3_Lb1ELb0EPlSB_ZN2at6native12_GLOBAL__N_124unique_dim_cuda_templateImEESt5tupleIJNSC_6TensorESH_SH_EERKSH_lbbbEUlllE1_EE10hipError_tPvRmT2_T3_mT4_P12ihipStream_tbEUlmE_lEESB_NS0_8identityIvEEEESM_SP_SQ_mSR_ST_bEUlT_E_NS1_11comp_targetILNS1_3genE2ELNS1_11target_archE906ELNS1_3gpuE6ELNS1_3repE0EEENS1_30default_config_static_selectorELNS0_4arch9wavefront6targetE0EEEvT1_
		.amdhsa_group_segment_fixed_size 0
		.amdhsa_private_segment_fixed_size 0
		.amdhsa_kernarg_size 56
		.amdhsa_user_sgpr_count 2
		.amdhsa_user_sgpr_dispatch_ptr 0
		.amdhsa_user_sgpr_queue_ptr 0
		.amdhsa_user_sgpr_kernarg_segment_ptr 1
		.amdhsa_user_sgpr_dispatch_id 0
		.amdhsa_user_sgpr_kernarg_preload_length 0
		.amdhsa_user_sgpr_kernarg_preload_offset 0
		.amdhsa_user_sgpr_private_segment_size 0
		.amdhsa_wavefront_size32 1
		.amdhsa_uses_dynamic_stack 0
		.amdhsa_enable_private_segment 0
		.amdhsa_system_sgpr_workgroup_id_x 1
		.amdhsa_system_sgpr_workgroup_id_y 0
		.amdhsa_system_sgpr_workgroup_id_z 0
		.amdhsa_system_sgpr_workgroup_info 0
		.amdhsa_system_vgpr_workitem_id 0
		.amdhsa_next_free_vgpr 1
		.amdhsa_next_free_sgpr 1
		.amdhsa_named_barrier_count 0
		.amdhsa_reserve_vcc 0
		.amdhsa_float_round_mode_32 0
		.amdhsa_float_round_mode_16_64 0
		.amdhsa_float_denorm_mode_32 3
		.amdhsa_float_denorm_mode_16_64 3
		.amdhsa_fp16_overflow 0
		.amdhsa_memory_ordered 1
		.amdhsa_forward_progress 1
		.amdhsa_inst_pref_size 0
		.amdhsa_round_robin_scheduling 0
		.amdhsa_exception_fp_ieee_invalid_op 0
		.amdhsa_exception_fp_denorm_src 0
		.amdhsa_exception_fp_ieee_div_zero 0
		.amdhsa_exception_fp_ieee_overflow 0
		.amdhsa_exception_fp_ieee_underflow 0
		.amdhsa_exception_fp_ieee_inexact 0
		.amdhsa_exception_int_div_zero 0
	.end_amdhsa_kernel
	.section	.text._ZN7rocprim17ROCPRIM_400000_NS6detail17trampoline_kernelINS0_14default_configENS1_25transform_config_selectorIlLb0EEEZNS1_14transform_implILb0ES3_S5_NS0_18transform_iteratorINS0_17counting_iteratorImlEEZNS1_24adjacent_difference_implIS3_Lb1ELb0EPlSB_ZN2at6native12_GLOBAL__N_124unique_dim_cuda_templateImEESt5tupleIJNSC_6TensorESH_SH_EERKSH_lbbbEUlllE1_EE10hipError_tPvRmT2_T3_mT4_P12ihipStream_tbEUlmE_lEESB_NS0_8identityIvEEEESM_SP_SQ_mSR_ST_bEUlT_E_NS1_11comp_targetILNS1_3genE2ELNS1_11target_archE906ELNS1_3gpuE6ELNS1_3repE0EEENS1_30default_config_static_selectorELNS0_4arch9wavefront6targetE0EEEvT1_,"axG",@progbits,_ZN7rocprim17ROCPRIM_400000_NS6detail17trampoline_kernelINS0_14default_configENS1_25transform_config_selectorIlLb0EEEZNS1_14transform_implILb0ES3_S5_NS0_18transform_iteratorINS0_17counting_iteratorImlEEZNS1_24adjacent_difference_implIS3_Lb1ELb0EPlSB_ZN2at6native12_GLOBAL__N_124unique_dim_cuda_templateImEESt5tupleIJNSC_6TensorESH_SH_EERKSH_lbbbEUlllE1_EE10hipError_tPvRmT2_T3_mT4_P12ihipStream_tbEUlmE_lEESB_NS0_8identityIvEEEESM_SP_SQ_mSR_ST_bEUlT_E_NS1_11comp_targetILNS1_3genE2ELNS1_11target_archE906ELNS1_3gpuE6ELNS1_3repE0EEENS1_30default_config_static_selectorELNS0_4arch9wavefront6targetE0EEEvT1_,comdat
.Lfunc_end1650:
	.size	_ZN7rocprim17ROCPRIM_400000_NS6detail17trampoline_kernelINS0_14default_configENS1_25transform_config_selectorIlLb0EEEZNS1_14transform_implILb0ES3_S5_NS0_18transform_iteratorINS0_17counting_iteratorImlEEZNS1_24adjacent_difference_implIS3_Lb1ELb0EPlSB_ZN2at6native12_GLOBAL__N_124unique_dim_cuda_templateImEESt5tupleIJNSC_6TensorESH_SH_EERKSH_lbbbEUlllE1_EE10hipError_tPvRmT2_T3_mT4_P12ihipStream_tbEUlmE_lEESB_NS0_8identityIvEEEESM_SP_SQ_mSR_ST_bEUlT_E_NS1_11comp_targetILNS1_3genE2ELNS1_11target_archE906ELNS1_3gpuE6ELNS1_3repE0EEENS1_30default_config_static_selectorELNS0_4arch9wavefront6targetE0EEEvT1_, .Lfunc_end1650-_ZN7rocprim17ROCPRIM_400000_NS6detail17trampoline_kernelINS0_14default_configENS1_25transform_config_selectorIlLb0EEEZNS1_14transform_implILb0ES3_S5_NS0_18transform_iteratorINS0_17counting_iteratorImlEEZNS1_24adjacent_difference_implIS3_Lb1ELb0EPlSB_ZN2at6native12_GLOBAL__N_124unique_dim_cuda_templateImEESt5tupleIJNSC_6TensorESH_SH_EERKSH_lbbbEUlllE1_EE10hipError_tPvRmT2_T3_mT4_P12ihipStream_tbEUlmE_lEESB_NS0_8identityIvEEEESM_SP_SQ_mSR_ST_bEUlT_E_NS1_11comp_targetILNS1_3genE2ELNS1_11target_archE906ELNS1_3gpuE6ELNS1_3repE0EEENS1_30default_config_static_selectorELNS0_4arch9wavefront6targetE0EEEvT1_
                                        ; -- End function
	.set _ZN7rocprim17ROCPRIM_400000_NS6detail17trampoline_kernelINS0_14default_configENS1_25transform_config_selectorIlLb0EEEZNS1_14transform_implILb0ES3_S5_NS0_18transform_iteratorINS0_17counting_iteratorImlEEZNS1_24adjacent_difference_implIS3_Lb1ELb0EPlSB_ZN2at6native12_GLOBAL__N_124unique_dim_cuda_templateImEESt5tupleIJNSC_6TensorESH_SH_EERKSH_lbbbEUlllE1_EE10hipError_tPvRmT2_T3_mT4_P12ihipStream_tbEUlmE_lEESB_NS0_8identityIvEEEESM_SP_SQ_mSR_ST_bEUlT_E_NS1_11comp_targetILNS1_3genE2ELNS1_11target_archE906ELNS1_3gpuE6ELNS1_3repE0EEENS1_30default_config_static_selectorELNS0_4arch9wavefront6targetE0EEEvT1_.num_vgpr, 0
	.set _ZN7rocprim17ROCPRIM_400000_NS6detail17trampoline_kernelINS0_14default_configENS1_25transform_config_selectorIlLb0EEEZNS1_14transform_implILb0ES3_S5_NS0_18transform_iteratorINS0_17counting_iteratorImlEEZNS1_24adjacent_difference_implIS3_Lb1ELb0EPlSB_ZN2at6native12_GLOBAL__N_124unique_dim_cuda_templateImEESt5tupleIJNSC_6TensorESH_SH_EERKSH_lbbbEUlllE1_EE10hipError_tPvRmT2_T3_mT4_P12ihipStream_tbEUlmE_lEESB_NS0_8identityIvEEEESM_SP_SQ_mSR_ST_bEUlT_E_NS1_11comp_targetILNS1_3genE2ELNS1_11target_archE906ELNS1_3gpuE6ELNS1_3repE0EEENS1_30default_config_static_selectorELNS0_4arch9wavefront6targetE0EEEvT1_.num_agpr, 0
	.set _ZN7rocprim17ROCPRIM_400000_NS6detail17trampoline_kernelINS0_14default_configENS1_25transform_config_selectorIlLb0EEEZNS1_14transform_implILb0ES3_S5_NS0_18transform_iteratorINS0_17counting_iteratorImlEEZNS1_24adjacent_difference_implIS3_Lb1ELb0EPlSB_ZN2at6native12_GLOBAL__N_124unique_dim_cuda_templateImEESt5tupleIJNSC_6TensorESH_SH_EERKSH_lbbbEUlllE1_EE10hipError_tPvRmT2_T3_mT4_P12ihipStream_tbEUlmE_lEESB_NS0_8identityIvEEEESM_SP_SQ_mSR_ST_bEUlT_E_NS1_11comp_targetILNS1_3genE2ELNS1_11target_archE906ELNS1_3gpuE6ELNS1_3repE0EEENS1_30default_config_static_selectorELNS0_4arch9wavefront6targetE0EEEvT1_.numbered_sgpr, 0
	.set _ZN7rocprim17ROCPRIM_400000_NS6detail17trampoline_kernelINS0_14default_configENS1_25transform_config_selectorIlLb0EEEZNS1_14transform_implILb0ES3_S5_NS0_18transform_iteratorINS0_17counting_iteratorImlEEZNS1_24adjacent_difference_implIS3_Lb1ELb0EPlSB_ZN2at6native12_GLOBAL__N_124unique_dim_cuda_templateImEESt5tupleIJNSC_6TensorESH_SH_EERKSH_lbbbEUlllE1_EE10hipError_tPvRmT2_T3_mT4_P12ihipStream_tbEUlmE_lEESB_NS0_8identityIvEEEESM_SP_SQ_mSR_ST_bEUlT_E_NS1_11comp_targetILNS1_3genE2ELNS1_11target_archE906ELNS1_3gpuE6ELNS1_3repE0EEENS1_30default_config_static_selectorELNS0_4arch9wavefront6targetE0EEEvT1_.num_named_barrier, 0
	.set _ZN7rocprim17ROCPRIM_400000_NS6detail17trampoline_kernelINS0_14default_configENS1_25transform_config_selectorIlLb0EEEZNS1_14transform_implILb0ES3_S5_NS0_18transform_iteratorINS0_17counting_iteratorImlEEZNS1_24adjacent_difference_implIS3_Lb1ELb0EPlSB_ZN2at6native12_GLOBAL__N_124unique_dim_cuda_templateImEESt5tupleIJNSC_6TensorESH_SH_EERKSH_lbbbEUlllE1_EE10hipError_tPvRmT2_T3_mT4_P12ihipStream_tbEUlmE_lEESB_NS0_8identityIvEEEESM_SP_SQ_mSR_ST_bEUlT_E_NS1_11comp_targetILNS1_3genE2ELNS1_11target_archE906ELNS1_3gpuE6ELNS1_3repE0EEENS1_30default_config_static_selectorELNS0_4arch9wavefront6targetE0EEEvT1_.private_seg_size, 0
	.set _ZN7rocprim17ROCPRIM_400000_NS6detail17trampoline_kernelINS0_14default_configENS1_25transform_config_selectorIlLb0EEEZNS1_14transform_implILb0ES3_S5_NS0_18transform_iteratorINS0_17counting_iteratorImlEEZNS1_24adjacent_difference_implIS3_Lb1ELb0EPlSB_ZN2at6native12_GLOBAL__N_124unique_dim_cuda_templateImEESt5tupleIJNSC_6TensorESH_SH_EERKSH_lbbbEUlllE1_EE10hipError_tPvRmT2_T3_mT4_P12ihipStream_tbEUlmE_lEESB_NS0_8identityIvEEEESM_SP_SQ_mSR_ST_bEUlT_E_NS1_11comp_targetILNS1_3genE2ELNS1_11target_archE906ELNS1_3gpuE6ELNS1_3repE0EEENS1_30default_config_static_selectorELNS0_4arch9wavefront6targetE0EEEvT1_.uses_vcc, 0
	.set _ZN7rocprim17ROCPRIM_400000_NS6detail17trampoline_kernelINS0_14default_configENS1_25transform_config_selectorIlLb0EEEZNS1_14transform_implILb0ES3_S5_NS0_18transform_iteratorINS0_17counting_iteratorImlEEZNS1_24adjacent_difference_implIS3_Lb1ELb0EPlSB_ZN2at6native12_GLOBAL__N_124unique_dim_cuda_templateImEESt5tupleIJNSC_6TensorESH_SH_EERKSH_lbbbEUlllE1_EE10hipError_tPvRmT2_T3_mT4_P12ihipStream_tbEUlmE_lEESB_NS0_8identityIvEEEESM_SP_SQ_mSR_ST_bEUlT_E_NS1_11comp_targetILNS1_3genE2ELNS1_11target_archE906ELNS1_3gpuE6ELNS1_3repE0EEENS1_30default_config_static_selectorELNS0_4arch9wavefront6targetE0EEEvT1_.uses_flat_scratch, 0
	.set _ZN7rocprim17ROCPRIM_400000_NS6detail17trampoline_kernelINS0_14default_configENS1_25transform_config_selectorIlLb0EEEZNS1_14transform_implILb0ES3_S5_NS0_18transform_iteratorINS0_17counting_iteratorImlEEZNS1_24adjacent_difference_implIS3_Lb1ELb0EPlSB_ZN2at6native12_GLOBAL__N_124unique_dim_cuda_templateImEESt5tupleIJNSC_6TensorESH_SH_EERKSH_lbbbEUlllE1_EE10hipError_tPvRmT2_T3_mT4_P12ihipStream_tbEUlmE_lEESB_NS0_8identityIvEEEESM_SP_SQ_mSR_ST_bEUlT_E_NS1_11comp_targetILNS1_3genE2ELNS1_11target_archE906ELNS1_3gpuE6ELNS1_3repE0EEENS1_30default_config_static_selectorELNS0_4arch9wavefront6targetE0EEEvT1_.has_dyn_sized_stack, 0
	.set _ZN7rocprim17ROCPRIM_400000_NS6detail17trampoline_kernelINS0_14default_configENS1_25transform_config_selectorIlLb0EEEZNS1_14transform_implILb0ES3_S5_NS0_18transform_iteratorINS0_17counting_iteratorImlEEZNS1_24adjacent_difference_implIS3_Lb1ELb0EPlSB_ZN2at6native12_GLOBAL__N_124unique_dim_cuda_templateImEESt5tupleIJNSC_6TensorESH_SH_EERKSH_lbbbEUlllE1_EE10hipError_tPvRmT2_T3_mT4_P12ihipStream_tbEUlmE_lEESB_NS0_8identityIvEEEESM_SP_SQ_mSR_ST_bEUlT_E_NS1_11comp_targetILNS1_3genE2ELNS1_11target_archE906ELNS1_3gpuE6ELNS1_3repE0EEENS1_30default_config_static_selectorELNS0_4arch9wavefront6targetE0EEEvT1_.has_recursion, 0
	.set _ZN7rocprim17ROCPRIM_400000_NS6detail17trampoline_kernelINS0_14default_configENS1_25transform_config_selectorIlLb0EEEZNS1_14transform_implILb0ES3_S5_NS0_18transform_iteratorINS0_17counting_iteratorImlEEZNS1_24adjacent_difference_implIS3_Lb1ELb0EPlSB_ZN2at6native12_GLOBAL__N_124unique_dim_cuda_templateImEESt5tupleIJNSC_6TensorESH_SH_EERKSH_lbbbEUlllE1_EE10hipError_tPvRmT2_T3_mT4_P12ihipStream_tbEUlmE_lEESB_NS0_8identityIvEEEESM_SP_SQ_mSR_ST_bEUlT_E_NS1_11comp_targetILNS1_3genE2ELNS1_11target_archE906ELNS1_3gpuE6ELNS1_3repE0EEENS1_30default_config_static_selectorELNS0_4arch9wavefront6targetE0EEEvT1_.has_indirect_call, 0
	.section	.AMDGPU.csdata,"",@progbits
; Kernel info:
; codeLenInByte = 0
; TotalNumSgprs: 0
; NumVgprs: 0
; ScratchSize: 0
; MemoryBound: 0
; FloatMode: 240
; IeeeMode: 1
; LDSByteSize: 0 bytes/workgroup (compile time only)
; SGPRBlocks: 0
; VGPRBlocks: 0
; NumSGPRsForWavesPerEU: 1
; NumVGPRsForWavesPerEU: 1
; NamedBarCnt: 0
; Occupancy: 16
; WaveLimiterHint : 0
; COMPUTE_PGM_RSRC2:SCRATCH_EN: 0
; COMPUTE_PGM_RSRC2:USER_SGPR: 2
; COMPUTE_PGM_RSRC2:TRAP_HANDLER: 0
; COMPUTE_PGM_RSRC2:TGID_X_EN: 1
; COMPUTE_PGM_RSRC2:TGID_Y_EN: 0
; COMPUTE_PGM_RSRC2:TGID_Z_EN: 0
; COMPUTE_PGM_RSRC2:TIDIG_COMP_CNT: 0
	.section	.text._ZN7rocprim17ROCPRIM_400000_NS6detail17trampoline_kernelINS0_14default_configENS1_25transform_config_selectorIlLb0EEEZNS1_14transform_implILb0ES3_S5_NS0_18transform_iteratorINS0_17counting_iteratorImlEEZNS1_24adjacent_difference_implIS3_Lb1ELb0EPlSB_ZN2at6native12_GLOBAL__N_124unique_dim_cuda_templateImEESt5tupleIJNSC_6TensorESH_SH_EERKSH_lbbbEUlllE1_EE10hipError_tPvRmT2_T3_mT4_P12ihipStream_tbEUlmE_lEESB_NS0_8identityIvEEEESM_SP_SQ_mSR_ST_bEUlT_E_NS1_11comp_targetILNS1_3genE10ELNS1_11target_archE1201ELNS1_3gpuE5ELNS1_3repE0EEENS1_30default_config_static_selectorELNS0_4arch9wavefront6targetE0EEEvT1_,"axG",@progbits,_ZN7rocprim17ROCPRIM_400000_NS6detail17trampoline_kernelINS0_14default_configENS1_25transform_config_selectorIlLb0EEEZNS1_14transform_implILb0ES3_S5_NS0_18transform_iteratorINS0_17counting_iteratorImlEEZNS1_24adjacent_difference_implIS3_Lb1ELb0EPlSB_ZN2at6native12_GLOBAL__N_124unique_dim_cuda_templateImEESt5tupleIJNSC_6TensorESH_SH_EERKSH_lbbbEUlllE1_EE10hipError_tPvRmT2_T3_mT4_P12ihipStream_tbEUlmE_lEESB_NS0_8identityIvEEEESM_SP_SQ_mSR_ST_bEUlT_E_NS1_11comp_targetILNS1_3genE10ELNS1_11target_archE1201ELNS1_3gpuE5ELNS1_3repE0EEENS1_30default_config_static_selectorELNS0_4arch9wavefront6targetE0EEEvT1_,comdat
	.globl	_ZN7rocprim17ROCPRIM_400000_NS6detail17trampoline_kernelINS0_14default_configENS1_25transform_config_selectorIlLb0EEEZNS1_14transform_implILb0ES3_S5_NS0_18transform_iteratorINS0_17counting_iteratorImlEEZNS1_24adjacent_difference_implIS3_Lb1ELb0EPlSB_ZN2at6native12_GLOBAL__N_124unique_dim_cuda_templateImEESt5tupleIJNSC_6TensorESH_SH_EERKSH_lbbbEUlllE1_EE10hipError_tPvRmT2_T3_mT4_P12ihipStream_tbEUlmE_lEESB_NS0_8identityIvEEEESM_SP_SQ_mSR_ST_bEUlT_E_NS1_11comp_targetILNS1_3genE10ELNS1_11target_archE1201ELNS1_3gpuE5ELNS1_3repE0EEENS1_30default_config_static_selectorELNS0_4arch9wavefront6targetE0EEEvT1_ ; -- Begin function _ZN7rocprim17ROCPRIM_400000_NS6detail17trampoline_kernelINS0_14default_configENS1_25transform_config_selectorIlLb0EEEZNS1_14transform_implILb0ES3_S5_NS0_18transform_iteratorINS0_17counting_iteratorImlEEZNS1_24adjacent_difference_implIS3_Lb1ELb0EPlSB_ZN2at6native12_GLOBAL__N_124unique_dim_cuda_templateImEESt5tupleIJNSC_6TensorESH_SH_EERKSH_lbbbEUlllE1_EE10hipError_tPvRmT2_T3_mT4_P12ihipStream_tbEUlmE_lEESB_NS0_8identityIvEEEESM_SP_SQ_mSR_ST_bEUlT_E_NS1_11comp_targetILNS1_3genE10ELNS1_11target_archE1201ELNS1_3gpuE5ELNS1_3repE0EEENS1_30default_config_static_selectorELNS0_4arch9wavefront6targetE0EEEvT1_
	.p2align	8
	.type	_ZN7rocprim17ROCPRIM_400000_NS6detail17trampoline_kernelINS0_14default_configENS1_25transform_config_selectorIlLb0EEEZNS1_14transform_implILb0ES3_S5_NS0_18transform_iteratorINS0_17counting_iteratorImlEEZNS1_24adjacent_difference_implIS3_Lb1ELb0EPlSB_ZN2at6native12_GLOBAL__N_124unique_dim_cuda_templateImEESt5tupleIJNSC_6TensorESH_SH_EERKSH_lbbbEUlllE1_EE10hipError_tPvRmT2_T3_mT4_P12ihipStream_tbEUlmE_lEESB_NS0_8identityIvEEEESM_SP_SQ_mSR_ST_bEUlT_E_NS1_11comp_targetILNS1_3genE10ELNS1_11target_archE1201ELNS1_3gpuE5ELNS1_3repE0EEENS1_30default_config_static_selectorELNS0_4arch9wavefront6targetE0EEEvT1_,@function
_ZN7rocprim17ROCPRIM_400000_NS6detail17trampoline_kernelINS0_14default_configENS1_25transform_config_selectorIlLb0EEEZNS1_14transform_implILb0ES3_S5_NS0_18transform_iteratorINS0_17counting_iteratorImlEEZNS1_24adjacent_difference_implIS3_Lb1ELb0EPlSB_ZN2at6native12_GLOBAL__N_124unique_dim_cuda_templateImEESt5tupleIJNSC_6TensorESH_SH_EERKSH_lbbbEUlllE1_EE10hipError_tPvRmT2_T3_mT4_P12ihipStream_tbEUlmE_lEESB_NS0_8identityIvEEEESM_SP_SQ_mSR_ST_bEUlT_E_NS1_11comp_targetILNS1_3genE10ELNS1_11target_archE1201ELNS1_3gpuE5ELNS1_3repE0EEENS1_30default_config_static_selectorELNS0_4arch9wavefront6targetE0EEEvT1_: ; @_ZN7rocprim17ROCPRIM_400000_NS6detail17trampoline_kernelINS0_14default_configENS1_25transform_config_selectorIlLb0EEEZNS1_14transform_implILb0ES3_S5_NS0_18transform_iteratorINS0_17counting_iteratorImlEEZNS1_24adjacent_difference_implIS3_Lb1ELb0EPlSB_ZN2at6native12_GLOBAL__N_124unique_dim_cuda_templateImEESt5tupleIJNSC_6TensorESH_SH_EERKSH_lbbbEUlllE1_EE10hipError_tPvRmT2_T3_mT4_P12ihipStream_tbEUlmE_lEESB_NS0_8identityIvEEEESM_SP_SQ_mSR_ST_bEUlT_E_NS1_11comp_targetILNS1_3genE10ELNS1_11target_archE1201ELNS1_3gpuE5ELNS1_3repE0EEENS1_30default_config_static_selectorELNS0_4arch9wavefront6targetE0EEEvT1_
; %bb.0:
	.section	.rodata,"a",@progbits
	.p2align	6, 0x0
	.amdhsa_kernel _ZN7rocprim17ROCPRIM_400000_NS6detail17trampoline_kernelINS0_14default_configENS1_25transform_config_selectorIlLb0EEEZNS1_14transform_implILb0ES3_S5_NS0_18transform_iteratorINS0_17counting_iteratorImlEEZNS1_24adjacent_difference_implIS3_Lb1ELb0EPlSB_ZN2at6native12_GLOBAL__N_124unique_dim_cuda_templateImEESt5tupleIJNSC_6TensorESH_SH_EERKSH_lbbbEUlllE1_EE10hipError_tPvRmT2_T3_mT4_P12ihipStream_tbEUlmE_lEESB_NS0_8identityIvEEEESM_SP_SQ_mSR_ST_bEUlT_E_NS1_11comp_targetILNS1_3genE10ELNS1_11target_archE1201ELNS1_3gpuE5ELNS1_3repE0EEENS1_30default_config_static_selectorELNS0_4arch9wavefront6targetE0EEEvT1_
		.amdhsa_group_segment_fixed_size 0
		.amdhsa_private_segment_fixed_size 0
		.amdhsa_kernarg_size 56
		.amdhsa_user_sgpr_count 2
		.amdhsa_user_sgpr_dispatch_ptr 0
		.amdhsa_user_sgpr_queue_ptr 0
		.amdhsa_user_sgpr_kernarg_segment_ptr 1
		.amdhsa_user_sgpr_dispatch_id 0
		.amdhsa_user_sgpr_kernarg_preload_length 0
		.amdhsa_user_sgpr_kernarg_preload_offset 0
		.amdhsa_user_sgpr_private_segment_size 0
		.amdhsa_wavefront_size32 1
		.amdhsa_uses_dynamic_stack 0
		.amdhsa_enable_private_segment 0
		.amdhsa_system_sgpr_workgroup_id_x 1
		.amdhsa_system_sgpr_workgroup_id_y 0
		.amdhsa_system_sgpr_workgroup_id_z 0
		.amdhsa_system_sgpr_workgroup_info 0
		.amdhsa_system_vgpr_workitem_id 0
		.amdhsa_next_free_vgpr 1
		.amdhsa_next_free_sgpr 1
		.amdhsa_named_barrier_count 0
		.amdhsa_reserve_vcc 0
		.amdhsa_float_round_mode_32 0
		.amdhsa_float_round_mode_16_64 0
		.amdhsa_float_denorm_mode_32 3
		.amdhsa_float_denorm_mode_16_64 3
		.amdhsa_fp16_overflow 0
		.amdhsa_memory_ordered 1
		.amdhsa_forward_progress 1
		.amdhsa_inst_pref_size 0
		.amdhsa_round_robin_scheduling 0
		.amdhsa_exception_fp_ieee_invalid_op 0
		.amdhsa_exception_fp_denorm_src 0
		.amdhsa_exception_fp_ieee_div_zero 0
		.amdhsa_exception_fp_ieee_overflow 0
		.amdhsa_exception_fp_ieee_underflow 0
		.amdhsa_exception_fp_ieee_inexact 0
		.amdhsa_exception_int_div_zero 0
	.end_amdhsa_kernel
	.section	.text._ZN7rocprim17ROCPRIM_400000_NS6detail17trampoline_kernelINS0_14default_configENS1_25transform_config_selectorIlLb0EEEZNS1_14transform_implILb0ES3_S5_NS0_18transform_iteratorINS0_17counting_iteratorImlEEZNS1_24adjacent_difference_implIS3_Lb1ELb0EPlSB_ZN2at6native12_GLOBAL__N_124unique_dim_cuda_templateImEESt5tupleIJNSC_6TensorESH_SH_EERKSH_lbbbEUlllE1_EE10hipError_tPvRmT2_T3_mT4_P12ihipStream_tbEUlmE_lEESB_NS0_8identityIvEEEESM_SP_SQ_mSR_ST_bEUlT_E_NS1_11comp_targetILNS1_3genE10ELNS1_11target_archE1201ELNS1_3gpuE5ELNS1_3repE0EEENS1_30default_config_static_selectorELNS0_4arch9wavefront6targetE0EEEvT1_,"axG",@progbits,_ZN7rocprim17ROCPRIM_400000_NS6detail17trampoline_kernelINS0_14default_configENS1_25transform_config_selectorIlLb0EEEZNS1_14transform_implILb0ES3_S5_NS0_18transform_iteratorINS0_17counting_iteratorImlEEZNS1_24adjacent_difference_implIS3_Lb1ELb0EPlSB_ZN2at6native12_GLOBAL__N_124unique_dim_cuda_templateImEESt5tupleIJNSC_6TensorESH_SH_EERKSH_lbbbEUlllE1_EE10hipError_tPvRmT2_T3_mT4_P12ihipStream_tbEUlmE_lEESB_NS0_8identityIvEEEESM_SP_SQ_mSR_ST_bEUlT_E_NS1_11comp_targetILNS1_3genE10ELNS1_11target_archE1201ELNS1_3gpuE5ELNS1_3repE0EEENS1_30default_config_static_selectorELNS0_4arch9wavefront6targetE0EEEvT1_,comdat
.Lfunc_end1651:
	.size	_ZN7rocprim17ROCPRIM_400000_NS6detail17trampoline_kernelINS0_14default_configENS1_25transform_config_selectorIlLb0EEEZNS1_14transform_implILb0ES3_S5_NS0_18transform_iteratorINS0_17counting_iteratorImlEEZNS1_24adjacent_difference_implIS3_Lb1ELb0EPlSB_ZN2at6native12_GLOBAL__N_124unique_dim_cuda_templateImEESt5tupleIJNSC_6TensorESH_SH_EERKSH_lbbbEUlllE1_EE10hipError_tPvRmT2_T3_mT4_P12ihipStream_tbEUlmE_lEESB_NS0_8identityIvEEEESM_SP_SQ_mSR_ST_bEUlT_E_NS1_11comp_targetILNS1_3genE10ELNS1_11target_archE1201ELNS1_3gpuE5ELNS1_3repE0EEENS1_30default_config_static_selectorELNS0_4arch9wavefront6targetE0EEEvT1_, .Lfunc_end1651-_ZN7rocprim17ROCPRIM_400000_NS6detail17trampoline_kernelINS0_14default_configENS1_25transform_config_selectorIlLb0EEEZNS1_14transform_implILb0ES3_S5_NS0_18transform_iteratorINS0_17counting_iteratorImlEEZNS1_24adjacent_difference_implIS3_Lb1ELb0EPlSB_ZN2at6native12_GLOBAL__N_124unique_dim_cuda_templateImEESt5tupleIJNSC_6TensorESH_SH_EERKSH_lbbbEUlllE1_EE10hipError_tPvRmT2_T3_mT4_P12ihipStream_tbEUlmE_lEESB_NS0_8identityIvEEEESM_SP_SQ_mSR_ST_bEUlT_E_NS1_11comp_targetILNS1_3genE10ELNS1_11target_archE1201ELNS1_3gpuE5ELNS1_3repE0EEENS1_30default_config_static_selectorELNS0_4arch9wavefront6targetE0EEEvT1_
                                        ; -- End function
	.set _ZN7rocprim17ROCPRIM_400000_NS6detail17trampoline_kernelINS0_14default_configENS1_25transform_config_selectorIlLb0EEEZNS1_14transform_implILb0ES3_S5_NS0_18transform_iteratorINS0_17counting_iteratorImlEEZNS1_24adjacent_difference_implIS3_Lb1ELb0EPlSB_ZN2at6native12_GLOBAL__N_124unique_dim_cuda_templateImEESt5tupleIJNSC_6TensorESH_SH_EERKSH_lbbbEUlllE1_EE10hipError_tPvRmT2_T3_mT4_P12ihipStream_tbEUlmE_lEESB_NS0_8identityIvEEEESM_SP_SQ_mSR_ST_bEUlT_E_NS1_11comp_targetILNS1_3genE10ELNS1_11target_archE1201ELNS1_3gpuE5ELNS1_3repE0EEENS1_30default_config_static_selectorELNS0_4arch9wavefront6targetE0EEEvT1_.num_vgpr, 0
	.set _ZN7rocprim17ROCPRIM_400000_NS6detail17trampoline_kernelINS0_14default_configENS1_25transform_config_selectorIlLb0EEEZNS1_14transform_implILb0ES3_S5_NS0_18transform_iteratorINS0_17counting_iteratorImlEEZNS1_24adjacent_difference_implIS3_Lb1ELb0EPlSB_ZN2at6native12_GLOBAL__N_124unique_dim_cuda_templateImEESt5tupleIJNSC_6TensorESH_SH_EERKSH_lbbbEUlllE1_EE10hipError_tPvRmT2_T3_mT4_P12ihipStream_tbEUlmE_lEESB_NS0_8identityIvEEEESM_SP_SQ_mSR_ST_bEUlT_E_NS1_11comp_targetILNS1_3genE10ELNS1_11target_archE1201ELNS1_3gpuE5ELNS1_3repE0EEENS1_30default_config_static_selectorELNS0_4arch9wavefront6targetE0EEEvT1_.num_agpr, 0
	.set _ZN7rocprim17ROCPRIM_400000_NS6detail17trampoline_kernelINS0_14default_configENS1_25transform_config_selectorIlLb0EEEZNS1_14transform_implILb0ES3_S5_NS0_18transform_iteratorINS0_17counting_iteratorImlEEZNS1_24adjacent_difference_implIS3_Lb1ELb0EPlSB_ZN2at6native12_GLOBAL__N_124unique_dim_cuda_templateImEESt5tupleIJNSC_6TensorESH_SH_EERKSH_lbbbEUlllE1_EE10hipError_tPvRmT2_T3_mT4_P12ihipStream_tbEUlmE_lEESB_NS0_8identityIvEEEESM_SP_SQ_mSR_ST_bEUlT_E_NS1_11comp_targetILNS1_3genE10ELNS1_11target_archE1201ELNS1_3gpuE5ELNS1_3repE0EEENS1_30default_config_static_selectorELNS0_4arch9wavefront6targetE0EEEvT1_.numbered_sgpr, 0
	.set _ZN7rocprim17ROCPRIM_400000_NS6detail17trampoline_kernelINS0_14default_configENS1_25transform_config_selectorIlLb0EEEZNS1_14transform_implILb0ES3_S5_NS0_18transform_iteratorINS0_17counting_iteratorImlEEZNS1_24adjacent_difference_implIS3_Lb1ELb0EPlSB_ZN2at6native12_GLOBAL__N_124unique_dim_cuda_templateImEESt5tupleIJNSC_6TensorESH_SH_EERKSH_lbbbEUlllE1_EE10hipError_tPvRmT2_T3_mT4_P12ihipStream_tbEUlmE_lEESB_NS0_8identityIvEEEESM_SP_SQ_mSR_ST_bEUlT_E_NS1_11comp_targetILNS1_3genE10ELNS1_11target_archE1201ELNS1_3gpuE5ELNS1_3repE0EEENS1_30default_config_static_selectorELNS0_4arch9wavefront6targetE0EEEvT1_.num_named_barrier, 0
	.set _ZN7rocprim17ROCPRIM_400000_NS6detail17trampoline_kernelINS0_14default_configENS1_25transform_config_selectorIlLb0EEEZNS1_14transform_implILb0ES3_S5_NS0_18transform_iteratorINS0_17counting_iteratorImlEEZNS1_24adjacent_difference_implIS3_Lb1ELb0EPlSB_ZN2at6native12_GLOBAL__N_124unique_dim_cuda_templateImEESt5tupleIJNSC_6TensorESH_SH_EERKSH_lbbbEUlllE1_EE10hipError_tPvRmT2_T3_mT4_P12ihipStream_tbEUlmE_lEESB_NS0_8identityIvEEEESM_SP_SQ_mSR_ST_bEUlT_E_NS1_11comp_targetILNS1_3genE10ELNS1_11target_archE1201ELNS1_3gpuE5ELNS1_3repE0EEENS1_30default_config_static_selectorELNS0_4arch9wavefront6targetE0EEEvT1_.private_seg_size, 0
	.set _ZN7rocprim17ROCPRIM_400000_NS6detail17trampoline_kernelINS0_14default_configENS1_25transform_config_selectorIlLb0EEEZNS1_14transform_implILb0ES3_S5_NS0_18transform_iteratorINS0_17counting_iteratorImlEEZNS1_24adjacent_difference_implIS3_Lb1ELb0EPlSB_ZN2at6native12_GLOBAL__N_124unique_dim_cuda_templateImEESt5tupleIJNSC_6TensorESH_SH_EERKSH_lbbbEUlllE1_EE10hipError_tPvRmT2_T3_mT4_P12ihipStream_tbEUlmE_lEESB_NS0_8identityIvEEEESM_SP_SQ_mSR_ST_bEUlT_E_NS1_11comp_targetILNS1_3genE10ELNS1_11target_archE1201ELNS1_3gpuE5ELNS1_3repE0EEENS1_30default_config_static_selectorELNS0_4arch9wavefront6targetE0EEEvT1_.uses_vcc, 0
	.set _ZN7rocprim17ROCPRIM_400000_NS6detail17trampoline_kernelINS0_14default_configENS1_25transform_config_selectorIlLb0EEEZNS1_14transform_implILb0ES3_S5_NS0_18transform_iteratorINS0_17counting_iteratorImlEEZNS1_24adjacent_difference_implIS3_Lb1ELb0EPlSB_ZN2at6native12_GLOBAL__N_124unique_dim_cuda_templateImEESt5tupleIJNSC_6TensorESH_SH_EERKSH_lbbbEUlllE1_EE10hipError_tPvRmT2_T3_mT4_P12ihipStream_tbEUlmE_lEESB_NS0_8identityIvEEEESM_SP_SQ_mSR_ST_bEUlT_E_NS1_11comp_targetILNS1_3genE10ELNS1_11target_archE1201ELNS1_3gpuE5ELNS1_3repE0EEENS1_30default_config_static_selectorELNS0_4arch9wavefront6targetE0EEEvT1_.uses_flat_scratch, 0
	.set _ZN7rocprim17ROCPRIM_400000_NS6detail17trampoline_kernelINS0_14default_configENS1_25transform_config_selectorIlLb0EEEZNS1_14transform_implILb0ES3_S5_NS0_18transform_iteratorINS0_17counting_iteratorImlEEZNS1_24adjacent_difference_implIS3_Lb1ELb0EPlSB_ZN2at6native12_GLOBAL__N_124unique_dim_cuda_templateImEESt5tupleIJNSC_6TensorESH_SH_EERKSH_lbbbEUlllE1_EE10hipError_tPvRmT2_T3_mT4_P12ihipStream_tbEUlmE_lEESB_NS0_8identityIvEEEESM_SP_SQ_mSR_ST_bEUlT_E_NS1_11comp_targetILNS1_3genE10ELNS1_11target_archE1201ELNS1_3gpuE5ELNS1_3repE0EEENS1_30default_config_static_selectorELNS0_4arch9wavefront6targetE0EEEvT1_.has_dyn_sized_stack, 0
	.set _ZN7rocprim17ROCPRIM_400000_NS6detail17trampoline_kernelINS0_14default_configENS1_25transform_config_selectorIlLb0EEEZNS1_14transform_implILb0ES3_S5_NS0_18transform_iteratorINS0_17counting_iteratorImlEEZNS1_24adjacent_difference_implIS3_Lb1ELb0EPlSB_ZN2at6native12_GLOBAL__N_124unique_dim_cuda_templateImEESt5tupleIJNSC_6TensorESH_SH_EERKSH_lbbbEUlllE1_EE10hipError_tPvRmT2_T3_mT4_P12ihipStream_tbEUlmE_lEESB_NS0_8identityIvEEEESM_SP_SQ_mSR_ST_bEUlT_E_NS1_11comp_targetILNS1_3genE10ELNS1_11target_archE1201ELNS1_3gpuE5ELNS1_3repE0EEENS1_30default_config_static_selectorELNS0_4arch9wavefront6targetE0EEEvT1_.has_recursion, 0
	.set _ZN7rocprim17ROCPRIM_400000_NS6detail17trampoline_kernelINS0_14default_configENS1_25transform_config_selectorIlLb0EEEZNS1_14transform_implILb0ES3_S5_NS0_18transform_iteratorINS0_17counting_iteratorImlEEZNS1_24adjacent_difference_implIS3_Lb1ELb0EPlSB_ZN2at6native12_GLOBAL__N_124unique_dim_cuda_templateImEESt5tupleIJNSC_6TensorESH_SH_EERKSH_lbbbEUlllE1_EE10hipError_tPvRmT2_T3_mT4_P12ihipStream_tbEUlmE_lEESB_NS0_8identityIvEEEESM_SP_SQ_mSR_ST_bEUlT_E_NS1_11comp_targetILNS1_3genE10ELNS1_11target_archE1201ELNS1_3gpuE5ELNS1_3repE0EEENS1_30default_config_static_selectorELNS0_4arch9wavefront6targetE0EEEvT1_.has_indirect_call, 0
	.section	.AMDGPU.csdata,"",@progbits
; Kernel info:
; codeLenInByte = 0
; TotalNumSgprs: 0
; NumVgprs: 0
; ScratchSize: 0
; MemoryBound: 0
; FloatMode: 240
; IeeeMode: 1
; LDSByteSize: 0 bytes/workgroup (compile time only)
; SGPRBlocks: 0
; VGPRBlocks: 0
; NumSGPRsForWavesPerEU: 1
; NumVGPRsForWavesPerEU: 1
; NamedBarCnt: 0
; Occupancy: 16
; WaveLimiterHint : 0
; COMPUTE_PGM_RSRC2:SCRATCH_EN: 0
; COMPUTE_PGM_RSRC2:USER_SGPR: 2
; COMPUTE_PGM_RSRC2:TRAP_HANDLER: 0
; COMPUTE_PGM_RSRC2:TGID_X_EN: 1
; COMPUTE_PGM_RSRC2:TGID_Y_EN: 0
; COMPUTE_PGM_RSRC2:TGID_Z_EN: 0
; COMPUTE_PGM_RSRC2:TIDIG_COMP_CNT: 0
	.section	.text._ZN7rocprim17ROCPRIM_400000_NS6detail17trampoline_kernelINS0_14default_configENS1_25transform_config_selectorIlLb0EEEZNS1_14transform_implILb0ES3_S5_NS0_18transform_iteratorINS0_17counting_iteratorImlEEZNS1_24adjacent_difference_implIS3_Lb1ELb0EPlSB_ZN2at6native12_GLOBAL__N_124unique_dim_cuda_templateImEESt5tupleIJNSC_6TensorESH_SH_EERKSH_lbbbEUlllE1_EE10hipError_tPvRmT2_T3_mT4_P12ihipStream_tbEUlmE_lEESB_NS0_8identityIvEEEESM_SP_SQ_mSR_ST_bEUlT_E_NS1_11comp_targetILNS1_3genE10ELNS1_11target_archE1200ELNS1_3gpuE4ELNS1_3repE0EEENS1_30default_config_static_selectorELNS0_4arch9wavefront6targetE0EEEvT1_,"axG",@progbits,_ZN7rocprim17ROCPRIM_400000_NS6detail17trampoline_kernelINS0_14default_configENS1_25transform_config_selectorIlLb0EEEZNS1_14transform_implILb0ES3_S5_NS0_18transform_iteratorINS0_17counting_iteratorImlEEZNS1_24adjacent_difference_implIS3_Lb1ELb0EPlSB_ZN2at6native12_GLOBAL__N_124unique_dim_cuda_templateImEESt5tupleIJNSC_6TensorESH_SH_EERKSH_lbbbEUlllE1_EE10hipError_tPvRmT2_T3_mT4_P12ihipStream_tbEUlmE_lEESB_NS0_8identityIvEEEESM_SP_SQ_mSR_ST_bEUlT_E_NS1_11comp_targetILNS1_3genE10ELNS1_11target_archE1200ELNS1_3gpuE4ELNS1_3repE0EEENS1_30default_config_static_selectorELNS0_4arch9wavefront6targetE0EEEvT1_,comdat
	.globl	_ZN7rocprim17ROCPRIM_400000_NS6detail17trampoline_kernelINS0_14default_configENS1_25transform_config_selectorIlLb0EEEZNS1_14transform_implILb0ES3_S5_NS0_18transform_iteratorINS0_17counting_iteratorImlEEZNS1_24adjacent_difference_implIS3_Lb1ELb0EPlSB_ZN2at6native12_GLOBAL__N_124unique_dim_cuda_templateImEESt5tupleIJNSC_6TensorESH_SH_EERKSH_lbbbEUlllE1_EE10hipError_tPvRmT2_T3_mT4_P12ihipStream_tbEUlmE_lEESB_NS0_8identityIvEEEESM_SP_SQ_mSR_ST_bEUlT_E_NS1_11comp_targetILNS1_3genE10ELNS1_11target_archE1200ELNS1_3gpuE4ELNS1_3repE0EEENS1_30default_config_static_selectorELNS0_4arch9wavefront6targetE0EEEvT1_ ; -- Begin function _ZN7rocprim17ROCPRIM_400000_NS6detail17trampoline_kernelINS0_14default_configENS1_25transform_config_selectorIlLb0EEEZNS1_14transform_implILb0ES3_S5_NS0_18transform_iteratorINS0_17counting_iteratorImlEEZNS1_24adjacent_difference_implIS3_Lb1ELb0EPlSB_ZN2at6native12_GLOBAL__N_124unique_dim_cuda_templateImEESt5tupleIJNSC_6TensorESH_SH_EERKSH_lbbbEUlllE1_EE10hipError_tPvRmT2_T3_mT4_P12ihipStream_tbEUlmE_lEESB_NS0_8identityIvEEEESM_SP_SQ_mSR_ST_bEUlT_E_NS1_11comp_targetILNS1_3genE10ELNS1_11target_archE1200ELNS1_3gpuE4ELNS1_3repE0EEENS1_30default_config_static_selectorELNS0_4arch9wavefront6targetE0EEEvT1_
	.p2align	8
	.type	_ZN7rocprim17ROCPRIM_400000_NS6detail17trampoline_kernelINS0_14default_configENS1_25transform_config_selectorIlLb0EEEZNS1_14transform_implILb0ES3_S5_NS0_18transform_iteratorINS0_17counting_iteratorImlEEZNS1_24adjacent_difference_implIS3_Lb1ELb0EPlSB_ZN2at6native12_GLOBAL__N_124unique_dim_cuda_templateImEESt5tupleIJNSC_6TensorESH_SH_EERKSH_lbbbEUlllE1_EE10hipError_tPvRmT2_T3_mT4_P12ihipStream_tbEUlmE_lEESB_NS0_8identityIvEEEESM_SP_SQ_mSR_ST_bEUlT_E_NS1_11comp_targetILNS1_3genE10ELNS1_11target_archE1200ELNS1_3gpuE4ELNS1_3repE0EEENS1_30default_config_static_selectorELNS0_4arch9wavefront6targetE0EEEvT1_,@function
_ZN7rocprim17ROCPRIM_400000_NS6detail17trampoline_kernelINS0_14default_configENS1_25transform_config_selectorIlLb0EEEZNS1_14transform_implILb0ES3_S5_NS0_18transform_iteratorINS0_17counting_iteratorImlEEZNS1_24adjacent_difference_implIS3_Lb1ELb0EPlSB_ZN2at6native12_GLOBAL__N_124unique_dim_cuda_templateImEESt5tupleIJNSC_6TensorESH_SH_EERKSH_lbbbEUlllE1_EE10hipError_tPvRmT2_T3_mT4_P12ihipStream_tbEUlmE_lEESB_NS0_8identityIvEEEESM_SP_SQ_mSR_ST_bEUlT_E_NS1_11comp_targetILNS1_3genE10ELNS1_11target_archE1200ELNS1_3gpuE4ELNS1_3repE0EEENS1_30default_config_static_selectorELNS0_4arch9wavefront6targetE0EEEvT1_: ; @_ZN7rocprim17ROCPRIM_400000_NS6detail17trampoline_kernelINS0_14default_configENS1_25transform_config_selectorIlLb0EEEZNS1_14transform_implILb0ES3_S5_NS0_18transform_iteratorINS0_17counting_iteratorImlEEZNS1_24adjacent_difference_implIS3_Lb1ELb0EPlSB_ZN2at6native12_GLOBAL__N_124unique_dim_cuda_templateImEESt5tupleIJNSC_6TensorESH_SH_EERKSH_lbbbEUlllE1_EE10hipError_tPvRmT2_T3_mT4_P12ihipStream_tbEUlmE_lEESB_NS0_8identityIvEEEESM_SP_SQ_mSR_ST_bEUlT_E_NS1_11comp_targetILNS1_3genE10ELNS1_11target_archE1200ELNS1_3gpuE4ELNS1_3repE0EEENS1_30default_config_static_selectorELNS0_4arch9wavefront6targetE0EEEvT1_
; %bb.0:
	.section	.rodata,"a",@progbits
	.p2align	6, 0x0
	.amdhsa_kernel _ZN7rocprim17ROCPRIM_400000_NS6detail17trampoline_kernelINS0_14default_configENS1_25transform_config_selectorIlLb0EEEZNS1_14transform_implILb0ES3_S5_NS0_18transform_iteratorINS0_17counting_iteratorImlEEZNS1_24adjacent_difference_implIS3_Lb1ELb0EPlSB_ZN2at6native12_GLOBAL__N_124unique_dim_cuda_templateImEESt5tupleIJNSC_6TensorESH_SH_EERKSH_lbbbEUlllE1_EE10hipError_tPvRmT2_T3_mT4_P12ihipStream_tbEUlmE_lEESB_NS0_8identityIvEEEESM_SP_SQ_mSR_ST_bEUlT_E_NS1_11comp_targetILNS1_3genE10ELNS1_11target_archE1200ELNS1_3gpuE4ELNS1_3repE0EEENS1_30default_config_static_selectorELNS0_4arch9wavefront6targetE0EEEvT1_
		.amdhsa_group_segment_fixed_size 0
		.amdhsa_private_segment_fixed_size 0
		.amdhsa_kernarg_size 56
		.amdhsa_user_sgpr_count 2
		.amdhsa_user_sgpr_dispatch_ptr 0
		.amdhsa_user_sgpr_queue_ptr 0
		.amdhsa_user_sgpr_kernarg_segment_ptr 1
		.amdhsa_user_sgpr_dispatch_id 0
		.amdhsa_user_sgpr_kernarg_preload_length 0
		.amdhsa_user_sgpr_kernarg_preload_offset 0
		.amdhsa_user_sgpr_private_segment_size 0
		.amdhsa_wavefront_size32 1
		.amdhsa_uses_dynamic_stack 0
		.amdhsa_enable_private_segment 0
		.amdhsa_system_sgpr_workgroup_id_x 1
		.amdhsa_system_sgpr_workgroup_id_y 0
		.amdhsa_system_sgpr_workgroup_id_z 0
		.amdhsa_system_sgpr_workgroup_info 0
		.amdhsa_system_vgpr_workitem_id 0
		.amdhsa_next_free_vgpr 1
		.amdhsa_next_free_sgpr 1
		.amdhsa_named_barrier_count 0
		.amdhsa_reserve_vcc 0
		.amdhsa_float_round_mode_32 0
		.amdhsa_float_round_mode_16_64 0
		.amdhsa_float_denorm_mode_32 3
		.amdhsa_float_denorm_mode_16_64 3
		.amdhsa_fp16_overflow 0
		.amdhsa_memory_ordered 1
		.amdhsa_forward_progress 1
		.amdhsa_inst_pref_size 0
		.amdhsa_round_robin_scheduling 0
		.amdhsa_exception_fp_ieee_invalid_op 0
		.amdhsa_exception_fp_denorm_src 0
		.amdhsa_exception_fp_ieee_div_zero 0
		.amdhsa_exception_fp_ieee_overflow 0
		.amdhsa_exception_fp_ieee_underflow 0
		.amdhsa_exception_fp_ieee_inexact 0
		.amdhsa_exception_int_div_zero 0
	.end_amdhsa_kernel
	.section	.text._ZN7rocprim17ROCPRIM_400000_NS6detail17trampoline_kernelINS0_14default_configENS1_25transform_config_selectorIlLb0EEEZNS1_14transform_implILb0ES3_S5_NS0_18transform_iteratorINS0_17counting_iteratorImlEEZNS1_24adjacent_difference_implIS3_Lb1ELb0EPlSB_ZN2at6native12_GLOBAL__N_124unique_dim_cuda_templateImEESt5tupleIJNSC_6TensorESH_SH_EERKSH_lbbbEUlllE1_EE10hipError_tPvRmT2_T3_mT4_P12ihipStream_tbEUlmE_lEESB_NS0_8identityIvEEEESM_SP_SQ_mSR_ST_bEUlT_E_NS1_11comp_targetILNS1_3genE10ELNS1_11target_archE1200ELNS1_3gpuE4ELNS1_3repE0EEENS1_30default_config_static_selectorELNS0_4arch9wavefront6targetE0EEEvT1_,"axG",@progbits,_ZN7rocprim17ROCPRIM_400000_NS6detail17trampoline_kernelINS0_14default_configENS1_25transform_config_selectorIlLb0EEEZNS1_14transform_implILb0ES3_S5_NS0_18transform_iteratorINS0_17counting_iteratorImlEEZNS1_24adjacent_difference_implIS3_Lb1ELb0EPlSB_ZN2at6native12_GLOBAL__N_124unique_dim_cuda_templateImEESt5tupleIJNSC_6TensorESH_SH_EERKSH_lbbbEUlllE1_EE10hipError_tPvRmT2_T3_mT4_P12ihipStream_tbEUlmE_lEESB_NS0_8identityIvEEEESM_SP_SQ_mSR_ST_bEUlT_E_NS1_11comp_targetILNS1_3genE10ELNS1_11target_archE1200ELNS1_3gpuE4ELNS1_3repE0EEENS1_30default_config_static_selectorELNS0_4arch9wavefront6targetE0EEEvT1_,comdat
.Lfunc_end1652:
	.size	_ZN7rocprim17ROCPRIM_400000_NS6detail17trampoline_kernelINS0_14default_configENS1_25transform_config_selectorIlLb0EEEZNS1_14transform_implILb0ES3_S5_NS0_18transform_iteratorINS0_17counting_iteratorImlEEZNS1_24adjacent_difference_implIS3_Lb1ELb0EPlSB_ZN2at6native12_GLOBAL__N_124unique_dim_cuda_templateImEESt5tupleIJNSC_6TensorESH_SH_EERKSH_lbbbEUlllE1_EE10hipError_tPvRmT2_T3_mT4_P12ihipStream_tbEUlmE_lEESB_NS0_8identityIvEEEESM_SP_SQ_mSR_ST_bEUlT_E_NS1_11comp_targetILNS1_3genE10ELNS1_11target_archE1200ELNS1_3gpuE4ELNS1_3repE0EEENS1_30default_config_static_selectorELNS0_4arch9wavefront6targetE0EEEvT1_, .Lfunc_end1652-_ZN7rocprim17ROCPRIM_400000_NS6detail17trampoline_kernelINS0_14default_configENS1_25transform_config_selectorIlLb0EEEZNS1_14transform_implILb0ES3_S5_NS0_18transform_iteratorINS0_17counting_iteratorImlEEZNS1_24adjacent_difference_implIS3_Lb1ELb0EPlSB_ZN2at6native12_GLOBAL__N_124unique_dim_cuda_templateImEESt5tupleIJNSC_6TensorESH_SH_EERKSH_lbbbEUlllE1_EE10hipError_tPvRmT2_T3_mT4_P12ihipStream_tbEUlmE_lEESB_NS0_8identityIvEEEESM_SP_SQ_mSR_ST_bEUlT_E_NS1_11comp_targetILNS1_3genE10ELNS1_11target_archE1200ELNS1_3gpuE4ELNS1_3repE0EEENS1_30default_config_static_selectorELNS0_4arch9wavefront6targetE0EEEvT1_
                                        ; -- End function
	.set _ZN7rocprim17ROCPRIM_400000_NS6detail17trampoline_kernelINS0_14default_configENS1_25transform_config_selectorIlLb0EEEZNS1_14transform_implILb0ES3_S5_NS0_18transform_iteratorINS0_17counting_iteratorImlEEZNS1_24adjacent_difference_implIS3_Lb1ELb0EPlSB_ZN2at6native12_GLOBAL__N_124unique_dim_cuda_templateImEESt5tupleIJNSC_6TensorESH_SH_EERKSH_lbbbEUlllE1_EE10hipError_tPvRmT2_T3_mT4_P12ihipStream_tbEUlmE_lEESB_NS0_8identityIvEEEESM_SP_SQ_mSR_ST_bEUlT_E_NS1_11comp_targetILNS1_3genE10ELNS1_11target_archE1200ELNS1_3gpuE4ELNS1_3repE0EEENS1_30default_config_static_selectorELNS0_4arch9wavefront6targetE0EEEvT1_.num_vgpr, 0
	.set _ZN7rocprim17ROCPRIM_400000_NS6detail17trampoline_kernelINS0_14default_configENS1_25transform_config_selectorIlLb0EEEZNS1_14transform_implILb0ES3_S5_NS0_18transform_iteratorINS0_17counting_iteratorImlEEZNS1_24adjacent_difference_implIS3_Lb1ELb0EPlSB_ZN2at6native12_GLOBAL__N_124unique_dim_cuda_templateImEESt5tupleIJNSC_6TensorESH_SH_EERKSH_lbbbEUlllE1_EE10hipError_tPvRmT2_T3_mT4_P12ihipStream_tbEUlmE_lEESB_NS0_8identityIvEEEESM_SP_SQ_mSR_ST_bEUlT_E_NS1_11comp_targetILNS1_3genE10ELNS1_11target_archE1200ELNS1_3gpuE4ELNS1_3repE0EEENS1_30default_config_static_selectorELNS0_4arch9wavefront6targetE0EEEvT1_.num_agpr, 0
	.set _ZN7rocprim17ROCPRIM_400000_NS6detail17trampoline_kernelINS0_14default_configENS1_25transform_config_selectorIlLb0EEEZNS1_14transform_implILb0ES3_S5_NS0_18transform_iteratorINS0_17counting_iteratorImlEEZNS1_24adjacent_difference_implIS3_Lb1ELb0EPlSB_ZN2at6native12_GLOBAL__N_124unique_dim_cuda_templateImEESt5tupleIJNSC_6TensorESH_SH_EERKSH_lbbbEUlllE1_EE10hipError_tPvRmT2_T3_mT4_P12ihipStream_tbEUlmE_lEESB_NS0_8identityIvEEEESM_SP_SQ_mSR_ST_bEUlT_E_NS1_11comp_targetILNS1_3genE10ELNS1_11target_archE1200ELNS1_3gpuE4ELNS1_3repE0EEENS1_30default_config_static_selectorELNS0_4arch9wavefront6targetE0EEEvT1_.numbered_sgpr, 0
	.set _ZN7rocprim17ROCPRIM_400000_NS6detail17trampoline_kernelINS0_14default_configENS1_25transform_config_selectorIlLb0EEEZNS1_14transform_implILb0ES3_S5_NS0_18transform_iteratorINS0_17counting_iteratorImlEEZNS1_24adjacent_difference_implIS3_Lb1ELb0EPlSB_ZN2at6native12_GLOBAL__N_124unique_dim_cuda_templateImEESt5tupleIJNSC_6TensorESH_SH_EERKSH_lbbbEUlllE1_EE10hipError_tPvRmT2_T3_mT4_P12ihipStream_tbEUlmE_lEESB_NS0_8identityIvEEEESM_SP_SQ_mSR_ST_bEUlT_E_NS1_11comp_targetILNS1_3genE10ELNS1_11target_archE1200ELNS1_3gpuE4ELNS1_3repE0EEENS1_30default_config_static_selectorELNS0_4arch9wavefront6targetE0EEEvT1_.num_named_barrier, 0
	.set _ZN7rocprim17ROCPRIM_400000_NS6detail17trampoline_kernelINS0_14default_configENS1_25transform_config_selectorIlLb0EEEZNS1_14transform_implILb0ES3_S5_NS0_18transform_iteratorINS0_17counting_iteratorImlEEZNS1_24adjacent_difference_implIS3_Lb1ELb0EPlSB_ZN2at6native12_GLOBAL__N_124unique_dim_cuda_templateImEESt5tupleIJNSC_6TensorESH_SH_EERKSH_lbbbEUlllE1_EE10hipError_tPvRmT2_T3_mT4_P12ihipStream_tbEUlmE_lEESB_NS0_8identityIvEEEESM_SP_SQ_mSR_ST_bEUlT_E_NS1_11comp_targetILNS1_3genE10ELNS1_11target_archE1200ELNS1_3gpuE4ELNS1_3repE0EEENS1_30default_config_static_selectorELNS0_4arch9wavefront6targetE0EEEvT1_.private_seg_size, 0
	.set _ZN7rocprim17ROCPRIM_400000_NS6detail17trampoline_kernelINS0_14default_configENS1_25transform_config_selectorIlLb0EEEZNS1_14transform_implILb0ES3_S5_NS0_18transform_iteratorINS0_17counting_iteratorImlEEZNS1_24adjacent_difference_implIS3_Lb1ELb0EPlSB_ZN2at6native12_GLOBAL__N_124unique_dim_cuda_templateImEESt5tupleIJNSC_6TensorESH_SH_EERKSH_lbbbEUlllE1_EE10hipError_tPvRmT2_T3_mT4_P12ihipStream_tbEUlmE_lEESB_NS0_8identityIvEEEESM_SP_SQ_mSR_ST_bEUlT_E_NS1_11comp_targetILNS1_3genE10ELNS1_11target_archE1200ELNS1_3gpuE4ELNS1_3repE0EEENS1_30default_config_static_selectorELNS0_4arch9wavefront6targetE0EEEvT1_.uses_vcc, 0
	.set _ZN7rocprim17ROCPRIM_400000_NS6detail17trampoline_kernelINS0_14default_configENS1_25transform_config_selectorIlLb0EEEZNS1_14transform_implILb0ES3_S5_NS0_18transform_iteratorINS0_17counting_iteratorImlEEZNS1_24adjacent_difference_implIS3_Lb1ELb0EPlSB_ZN2at6native12_GLOBAL__N_124unique_dim_cuda_templateImEESt5tupleIJNSC_6TensorESH_SH_EERKSH_lbbbEUlllE1_EE10hipError_tPvRmT2_T3_mT4_P12ihipStream_tbEUlmE_lEESB_NS0_8identityIvEEEESM_SP_SQ_mSR_ST_bEUlT_E_NS1_11comp_targetILNS1_3genE10ELNS1_11target_archE1200ELNS1_3gpuE4ELNS1_3repE0EEENS1_30default_config_static_selectorELNS0_4arch9wavefront6targetE0EEEvT1_.uses_flat_scratch, 0
	.set _ZN7rocprim17ROCPRIM_400000_NS6detail17trampoline_kernelINS0_14default_configENS1_25transform_config_selectorIlLb0EEEZNS1_14transform_implILb0ES3_S5_NS0_18transform_iteratorINS0_17counting_iteratorImlEEZNS1_24adjacent_difference_implIS3_Lb1ELb0EPlSB_ZN2at6native12_GLOBAL__N_124unique_dim_cuda_templateImEESt5tupleIJNSC_6TensorESH_SH_EERKSH_lbbbEUlllE1_EE10hipError_tPvRmT2_T3_mT4_P12ihipStream_tbEUlmE_lEESB_NS0_8identityIvEEEESM_SP_SQ_mSR_ST_bEUlT_E_NS1_11comp_targetILNS1_3genE10ELNS1_11target_archE1200ELNS1_3gpuE4ELNS1_3repE0EEENS1_30default_config_static_selectorELNS0_4arch9wavefront6targetE0EEEvT1_.has_dyn_sized_stack, 0
	.set _ZN7rocprim17ROCPRIM_400000_NS6detail17trampoline_kernelINS0_14default_configENS1_25transform_config_selectorIlLb0EEEZNS1_14transform_implILb0ES3_S5_NS0_18transform_iteratorINS0_17counting_iteratorImlEEZNS1_24adjacent_difference_implIS3_Lb1ELb0EPlSB_ZN2at6native12_GLOBAL__N_124unique_dim_cuda_templateImEESt5tupleIJNSC_6TensorESH_SH_EERKSH_lbbbEUlllE1_EE10hipError_tPvRmT2_T3_mT4_P12ihipStream_tbEUlmE_lEESB_NS0_8identityIvEEEESM_SP_SQ_mSR_ST_bEUlT_E_NS1_11comp_targetILNS1_3genE10ELNS1_11target_archE1200ELNS1_3gpuE4ELNS1_3repE0EEENS1_30default_config_static_selectorELNS0_4arch9wavefront6targetE0EEEvT1_.has_recursion, 0
	.set _ZN7rocprim17ROCPRIM_400000_NS6detail17trampoline_kernelINS0_14default_configENS1_25transform_config_selectorIlLb0EEEZNS1_14transform_implILb0ES3_S5_NS0_18transform_iteratorINS0_17counting_iteratorImlEEZNS1_24adjacent_difference_implIS3_Lb1ELb0EPlSB_ZN2at6native12_GLOBAL__N_124unique_dim_cuda_templateImEESt5tupleIJNSC_6TensorESH_SH_EERKSH_lbbbEUlllE1_EE10hipError_tPvRmT2_T3_mT4_P12ihipStream_tbEUlmE_lEESB_NS0_8identityIvEEEESM_SP_SQ_mSR_ST_bEUlT_E_NS1_11comp_targetILNS1_3genE10ELNS1_11target_archE1200ELNS1_3gpuE4ELNS1_3repE0EEENS1_30default_config_static_selectorELNS0_4arch9wavefront6targetE0EEEvT1_.has_indirect_call, 0
	.section	.AMDGPU.csdata,"",@progbits
; Kernel info:
; codeLenInByte = 0
; TotalNumSgprs: 0
; NumVgprs: 0
; ScratchSize: 0
; MemoryBound: 0
; FloatMode: 240
; IeeeMode: 1
; LDSByteSize: 0 bytes/workgroup (compile time only)
; SGPRBlocks: 0
; VGPRBlocks: 0
; NumSGPRsForWavesPerEU: 1
; NumVGPRsForWavesPerEU: 1
; NamedBarCnt: 0
; Occupancy: 16
; WaveLimiterHint : 0
; COMPUTE_PGM_RSRC2:SCRATCH_EN: 0
; COMPUTE_PGM_RSRC2:USER_SGPR: 2
; COMPUTE_PGM_RSRC2:TRAP_HANDLER: 0
; COMPUTE_PGM_RSRC2:TGID_X_EN: 1
; COMPUTE_PGM_RSRC2:TGID_Y_EN: 0
; COMPUTE_PGM_RSRC2:TGID_Z_EN: 0
; COMPUTE_PGM_RSRC2:TIDIG_COMP_CNT: 0
	.section	.text._ZN7rocprim17ROCPRIM_400000_NS6detail17trampoline_kernelINS0_14default_configENS1_25transform_config_selectorIlLb0EEEZNS1_14transform_implILb0ES3_S5_NS0_18transform_iteratorINS0_17counting_iteratorImlEEZNS1_24adjacent_difference_implIS3_Lb1ELb0EPlSB_ZN2at6native12_GLOBAL__N_124unique_dim_cuda_templateImEESt5tupleIJNSC_6TensorESH_SH_EERKSH_lbbbEUlllE1_EE10hipError_tPvRmT2_T3_mT4_P12ihipStream_tbEUlmE_lEESB_NS0_8identityIvEEEESM_SP_SQ_mSR_ST_bEUlT_E_NS1_11comp_targetILNS1_3genE9ELNS1_11target_archE1100ELNS1_3gpuE3ELNS1_3repE0EEENS1_30default_config_static_selectorELNS0_4arch9wavefront6targetE0EEEvT1_,"axG",@progbits,_ZN7rocprim17ROCPRIM_400000_NS6detail17trampoline_kernelINS0_14default_configENS1_25transform_config_selectorIlLb0EEEZNS1_14transform_implILb0ES3_S5_NS0_18transform_iteratorINS0_17counting_iteratorImlEEZNS1_24adjacent_difference_implIS3_Lb1ELb0EPlSB_ZN2at6native12_GLOBAL__N_124unique_dim_cuda_templateImEESt5tupleIJNSC_6TensorESH_SH_EERKSH_lbbbEUlllE1_EE10hipError_tPvRmT2_T3_mT4_P12ihipStream_tbEUlmE_lEESB_NS0_8identityIvEEEESM_SP_SQ_mSR_ST_bEUlT_E_NS1_11comp_targetILNS1_3genE9ELNS1_11target_archE1100ELNS1_3gpuE3ELNS1_3repE0EEENS1_30default_config_static_selectorELNS0_4arch9wavefront6targetE0EEEvT1_,comdat
	.globl	_ZN7rocprim17ROCPRIM_400000_NS6detail17trampoline_kernelINS0_14default_configENS1_25transform_config_selectorIlLb0EEEZNS1_14transform_implILb0ES3_S5_NS0_18transform_iteratorINS0_17counting_iteratorImlEEZNS1_24adjacent_difference_implIS3_Lb1ELb0EPlSB_ZN2at6native12_GLOBAL__N_124unique_dim_cuda_templateImEESt5tupleIJNSC_6TensorESH_SH_EERKSH_lbbbEUlllE1_EE10hipError_tPvRmT2_T3_mT4_P12ihipStream_tbEUlmE_lEESB_NS0_8identityIvEEEESM_SP_SQ_mSR_ST_bEUlT_E_NS1_11comp_targetILNS1_3genE9ELNS1_11target_archE1100ELNS1_3gpuE3ELNS1_3repE0EEENS1_30default_config_static_selectorELNS0_4arch9wavefront6targetE0EEEvT1_ ; -- Begin function _ZN7rocprim17ROCPRIM_400000_NS6detail17trampoline_kernelINS0_14default_configENS1_25transform_config_selectorIlLb0EEEZNS1_14transform_implILb0ES3_S5_NS0_18transform_iteratorINS0_17counting_iteratorImlEEZNS1_24adjacent_difference_implIS3_Lb1ELb0EPlSB_ZN2at6native12_GLOBAL__N_124unique_dim_cuda_templateImEESt5tupleIJNSC_6TensorESH_SH_EERKSH_lbbbEUlllE1_EE10hipError_tPvRmT2_T3_mT4_P12ihipStream_tbEUlmE_lEESB_NS0_8identityIvEEEESM_SP_SQ_mSR_ST_bEUlT_E_NS1_11comp_targetILNS1_3genE9ELNS1_11target_archE1100ELNS1_3gpuE3ELNS1_3repE0EEENS1_30default_config_static_selectorELNS0_4arch9wavefront6targetE0EEEvT1_
	.p2align	8
	.type	_ZN7rocprim17ROCPRIM_400000_NS6detail17trampoline_kernelINS0_14default_configENS1_25transform_config_selectorIlLb0EEEZNS1_14transform_implILb0ES3_S5_NS0_18transform_iteratorINS0_17counting_iteratorImlEEZNS1_24adjacent_difference_implIS3_Lb1ELb0EPlSB_ZN2at6native12_GLOBAL__N_124unique_dim_cuda_templateImEESt5tupleIJNSC_6TensorESH_SH_EERKSH_lbbbEUlllE1_EE10hipError_tPvRmT2_T3_mT4_P12ihipStream_tbEUlmE_lEESB_NS0_8identityIvEEEESM_SP_SQ_mSR_ST_bEUlT_E_NS1_11comp_targetILNS1_3genE9ELNS1_11target_archE1100ELNS1_3gpuE3ELNS1_3repE0EEENS1_30default_config_static_selectorELNS0_4arch9wavefront6targetE0EEEvT1_,@function
_ZN7rocprim17ROCPRIM_400000_NS6detail17trampoline_kernelINS0_14default_configENS1_25transform_config_selectorIlLb0EEEZNS1_14transform_implILb0ES3_S5_NS0_18transform_iteratorINS0_17counting_iteratorImlEEZNS1_24adjacent_difference_implIS3_Lb1ELb0EPlSB_ZN2at6native12_GLOBAL__N_124unique_dim_cuda_templateImEESt5tupleIJNSC_6TensorESH_SH_EERKSH_lbbbEUlllE1_EE10hipError_tPvRmT2_T3_mT4_P12ihipStream_tbEUlmE_lEESB_NS0_8identityIvEEEESM_SP_SQ_mSR_ST_bEUlT_E_NS1_11comp_targetILNS1_3genE9ELNS1_11target_archE1100ELNS1_3gpuE3ELNS1_3repE0EEENS1_30default_config_static_selectorELNS0_4arch9wavefront6targetE0EEEvT1_: ; @_ZN7rocprim17ROCPRIM_400000_NS6detail17trampoline_kernelINS0_14default_configENS1_25transform_config_selectorIlLb0EEEZNS1_14transform_implILb0ES3_S5_NS0_18transform_iteratorINS0_17counting_iteratorImlEEZNS1_24adjacent_difference_implIS3_Lb1ELb0EPlSB_ZN2at6native12_GLOBAL__N_124unique_dim_cuda_templateImEESt5tupleIJNSC_6TensorESH_SH_EERKSH_lbbbEUlllE1_EE10hipError_tPvRmT2_T3_mT4_P12ihipStream_tbEUlmE_lEESB_NS0_8identityIvEEEESM_SP_SQ_mSR_ST_bEUlT_E_NS1_11comp_targetILNS1_3genE9ELNS1_11target_archE1100ELNS1_3gpuE3ELNS1_3repE0EEENS1_30default_config_static_selectorELNS0_4arch9wavefront6targetE0EEEvT1_
; %bb.0:
	.section	.rodata,"a",@progbits
	.p2align	6, 0x0
	.amdhsa_kernel _ZN7rocprim17ROCPRIM_400000_NS6detail17trampoline_kernelINS0_14default_configENS1_25transform_config_selectorIlLb0EEEZNS1_14transform_implILb0ES3_S5_NS0_18transform_iteratorINS0_17counting_iteratorImlEEZNS1_24adjacent_difference_implIS3_Lb1ELb0EPlSB_ZN2at6native12_GLOBAL__N_124unique_dim_cuda_templateImEESt5tupleIJNSC_6TensorESH_SH_EERKSH_lbbbEUlllE1_EE10hipError_tPvRmT2_T3_mT4_P12ihipStream_tbEUlmE_lEESB_NS0_8identityIvEEEESM_SP_SQ_mSR_ST_bEUlT_E_NS1_11comp_targetILNS1_3genE9ELNS1_11target_archE1100ELNS1_3gpuE3ELNS1_3repE0EEENS1_30default_config_static_selectorELNS0_4arch9wavefront6targetE0EEEvT1_
		.amdhsa_group_segment_fixed_size 0
		.amdhsa_private_segment_fixed_size 0
		.amdhsa_kernarg_size 56
		.amdhsa_user_sgpr_count 2
		.amdhsa_user_sgpr_dispatch_ptr 0
		.amdhsa_user_sgpr_queue_ptr 0
		.amdhsa_user_sgpr_kernarg_segment_ptr 1
		.amdhsa_user_sgpr_dispatch_id 0
		.amdhsa_user_sgpr_kernarg_preload_length 0
		.amdhsa_user_sgpr_kernarg_preload_offset 0
		.amdhsa_user_sgpr_private_segment_size 0
		.amdhsa_wavefront_size32 1
		.amdhsa_uses_dynamic_stack 0
		.amdhsa_enable_private_segment 0
		.amdhsa_system_sgpr_workgroup_id_x 1
		.amdhsa_system_sgpr_workgroup_id_y 0
		.amdhsa_system_sgpr_workgroup_id_z 0
		.amdhsa_system_sgpr_workgroup_info 0
		.amdhsa_system_vgpr_workitem_id 0
		.amdhsa_next_free_vgpr 1
		.amdhsa_next_free_sgpr 1
		.amdhsa_named_barrier_count 0
		.amdhsa_reserve_vcc 0
		.amdhsa_float_round_mode_32 0
		.amdhsa_float_round_mode_16_64 0
		.amdhsa_float_denorm_mode_32 3
		.amdhsa_float_denorm_mode_16_64 3
		.amdhsa_fp16_overflow 0
		.amdhsa_memory_ordered 1
		.amdhsa_forward_progress 1
		.amdhsa_inst_pref_size 0
		.amdhsa_round_robin_scheduling 0
		.amdhsa_exception_fp_ieee_invalid_op 0
		.amdhsa_exception_fp_denorm_src 0
		.amdhsa_exception_fp_ieee_div_zero 0
		.amdhsa_exception_fp_ieee_overflow 0
		.amdhsa_exception_fp_ieee_underflow 0
		.amdhsa_exception_fp_ieee_inexact 0
		.amdhsa_exception_int_div_zero 0
	.end_amdhsa_kernel
	.section	.text._ZN7rocprim17ROCPRIM_400000_NS6detail17trampoline_kernelINS0_14default_configENS1_25transform_config_selectorIlLb0EEEZNS1_14transform_implILb0ES3_S5_NS0_18transform_iteratorINS0_17counting_iteratorImlEEZNS1_24adjacent_difference_implIS3_Lb1ELb0EPlSB_ZN2at6native12_GLOBAL__N_124unique_dim_cuda_templateImEESt5tupleIJNSC_6TensorESH_SH_EERKSH_lbbbEUlllE1_EE10hipError_tPvRmT2_T3_mT4_P12ihipStream_tbEUlmE_lEESB_NS0_8identityIvEEEESM_SP_SQ_mSR_ST_bEUlT_E_NS1_11comp_targetILNS1_3genE9ELNS1_11target_archE1100ELNS1_3gpuE3ELNS1_3repE0EEENS1_30default_config_static_selectorELNS0_4arch9wavefront6targetE0EEEvT1_,"axG",@progbits,_ZN7rocprim17ROCPRIM_400000_NS6detail17trampoline_kernelINS0_14default_configENS1_25transform_config_selectorIlLb0EEEZNS1_14transform_implILb0ES3_S5_NS0_18transform_iteratorINS0_17counting_iteratorImlEEZNS1_24adjacent_difference_implIS3_Lb1ELb0EPlSB_ZN2at6native12_GLOBAL__N_124unique_dim_cuda_templateImEESt5tupleIJNSC_6TensorESH_SH_EERKSH_lbbbEUlllE1_EE10hipError_tPvRmT2_T3_mT4_P12ihipStream_tbEUlmE_lEESB_NS0_8identityIvEEEESM_SP_SQ_mSR_ST_bEUlT_E_NS1_11comp_targetILNS1_3genE9ELNS1_11target_archE1100ELNS1_3gpuE3ELNS1_3repE0EEENS1_30default_config_static_selectorELNS0_4arch9wavefront6targetE0EEEvT1_,comdat
.Lfunc_end1653:
	.size	_ZN7rocprim17ROCPRIM_400000_NS6detail17trampoline_kernelINS0_14default_configENS1_25transform_config_selectorIlLb0EEEZNS1_14transform_implILb0ES3_S5_NS0_18transform_iteratorINS0_17counting_iteratorImlEEZNS1_24adjacent_difference_implIS3_Lb1ELb0EPlSB_ZN2at6native12_GLOBAL__N_124unique_dim_cuda_templateImEESt5tupleIJNSC_6TensorESH_SH_EERKSH_lbbbEUlllE1_EE10hipError_tPvRmT2_T3_mT4_P12ihipStream_tbEUlmE_lEESB_NS0_8identityIvEEEESM_SP_SQ_mSR_ST_bEUlT_E_NS1_11comp_targetILNS1_3genE9ELNS1_11target_archE1100ELNS1_3gpuE3ELNS1_3repE0EEENS1_30default_config_static_selectorELNS0_4arch9wavefront6targetE0EEEvT1_, .Lfunc_end1653-_ZN7rocprim17ROCPRIM_400000_NS6detail17trampoline_kernelINS0_14default_configENS1_25transform_config_selectorIlLb0EEEZNS1_14transform_implILb0ES3_S5_NS0_18transform_iteratorINS0_17counting_iteratorImlEEZNS1_24adjacent_difference_implIS3_Lb1ELb0EPlSB_ZN2at6native12_GLOBAL__N_124unique_dim_cuda_templateImEESt5tupleIJNSC_6TensorESH_SH_EERKSH_lbbbEUlllE1_EE10hipError_tPvRmT2_T3_mT4_P12ihipStream_tbEUlmE_lEESB_NS0_8identityIvEEEESM_SP_SQ_mSR_ST_bEUlT_E_NS1_11comp_targetILNS1_3genE9ELNS1_11target_archE1100ELNS1_3gpuE3ELNS1_3repE0EEENS1_30default_config_static_selectorELNS0_4arch9wavefront6targetE0EEEvT1_
                                        ; -- End function
	.set _ZN7rocprim17ROCPRIM_400000_NS6detail17trampoline_kernelINS0_14default_configENS1_25transform_config_selectorIlLb0EEEZNS1_14transform_implILb0ES3_S5_NS0_18transform_iteratorINS0_17counting_iteratorImlEEZNS1_24adjacent_difference_implIS3_Lb1ELb0EPlSB_ZN2at6native12_GLOBAL__N_124unique_dim_cuda_templateImEESt5tupleIJNSC_6TensorESH_SH_EERKSH_lbbbEUlllE1_EE10hipError_tPvRmT2_T3_mT4_P12ihipStream_tbEUlmE_lEESB_NS0_8identityIvEEEESM_SP_SQ_mSR_ST_bEUlT_E_NS1_11comp_targetILNS1_3genE9ELNS1_11target_archE1100ELNS1_3gpuE3ELNS1_3repE0EEENS1_30default_config_static_selectorELNS0_4arch9wavefront6targetE0EEEvT1_.num_vgpr, 0
	.set _ZN7rocprim17ROCPRIM_400000_NS6detail17trampoline_kernelINS0_14default_configENS1_25transform_config_selectorIlLb0EEEZNS1_14transform_implILb0ES3_S5_NS0_18transform_iteratorINS0_17counting_iteratorImlEEZNS1_24adjacent_difference_implIS3_Lb1ELb0EPlSB_ZN2at6native12_GLOBAL__N_124unique_dim_cuda_templateImEESt5tupleIJNSC_6TensorESH_SH_EERKSH_lbbbEUlllE1_EE10hipError_tPvRmT2_T3_mT4_P12ihipStream_tbEUlmE_lEESB_NS0_8identityIvEEEESM_SP_SQ_mSR_ST_bEUlT_E_NS1_11comp_targetILNS1_3genE9ELNS1_11target_archE1100ELNS1_3gpuE3ELNS1_3repE0EEENS1_30default_config_static_selectorELNS0_4arch9wavefront6targetE0EEEvT1_.num_agpr, 0
	.set _ZN7rocprim17ROCPRIM_400000_NS6detail17trampoline_kernelINS0_14default_configENS1_25transform_config_selectorIlLb0EEEZNS1_14transform_implILb0ES3_S5_NS0_18transform_iteratorINS0_17counting_iteratorImlEEZNS1_24adjacent_difference_implIS3_Lb1ELb0EPlSB_ZN2at6native12_GLOBAL__N_124unique_dim_cuda_templateImEESt5tupleIJNSC_6TensorESH_SH_EERKSH_lbbbEUlllE1_EE10hipError_tPvRmT2_T3_mT4_P12ihipStream_tbEUlmE_lEESB_NS0_8identityIvEEEESM_SP_SQ_mSR_ST_bEUlT_E_NS1_11comp_targetILNS1_3genE9ELNS1_11target_archE1100ELNS1_3gpuE3ELNS1_3repE0EEENS1_30default_config_static_selectorELNS0_4arch9wavefront6targetE0EEEvT1_.numbered_sgpr, 0
	.set _ZN7rocprim17ROCPRIM_400000_NS6detail17trampoline_kernelINS0_14default_configENS1_25transform_config_selectorIlLb0EEEZNS1_14transform_implILb0ES3_S5_NS0_18transform_iteratorINS0_17counting_iteratorImlEEZNS1_24adjacent_difference_implIS3_Lb1ELb0EPlSB_ZN2at6native12_GLOBAL__N_124unique_dim_cuda_templateImEESt5tupleIJNSC_6TensorESH_SH_EERKSH_lbbbEUlllE1_EE10hipError_tPvRmT2_T3_mT4_P12ihipStream_tbEUlmE_lEESB_NS0_8identityIvEEEESM_SP_SQ_mSR_ST_bEUlT_E_NS1_11comp_targetILNS1_3genE9ELNS1_11target_archE1100ELNS1_3gpuE3ELNS1_3repE0EEENS1_30default_config_static_selectorELNS0_4arch9wavefront6targetE0EEEvT1_.num_named_barrier, 0
	.set _ZN7rocprim17ROCPRIM_400000_NS6detail17trampoline_kernelINS0_14default_configENS1_25transform_config_selectorIlLb0EEEZNS1_14transform_implILb0ES3_S5_NS0_18transform_iteratorINS0_17counting_iteratorImlEEZNS1_24adjacent_difference_implIS3_Lb1ELb0EPlSB_ZN2at6native12_GLOBAL__N_124unique_dim_cuda_templateImEESt5tupleIJNSC_6TensorESH_SH_EERKSH_lbbbEUlllE1_EE10hipError_tPvRmT2_T3_mT4_P12ihipStream_tbEUlmE_lEESB_NS0_8identityIvEEEESM_SP_SQ_mSR_ST_bEUlT_E_NS1_11comp_targetILNS1_3genE9ELNS1_11target_archE1100ELNS1_3gpuE3ELNS1_3repE0EEENS1_30default_config_static_selectorELNS0_4arch9wavefront6targetE0EEEvT1_.private_seg_size, 0
	.set _ZN7rocprim17ROCPRIM_400000_NS6detail17trampoline_kernelINS0_14default_configENS1_25transform_config_selectorIlLb0EEEZNS1_14transform_implILb0ES3_S5_NS0_18transform_iteratorINS0_17counting_iteratorImlEEZNS1_24adjacent_difference_implIS3_Lb1ELb0EPlSB_ZN2at6native12_GLOBAL__N_124unique_dim_cuda_templateImEESt5tupleIJNSC_6TensorESH_SH_EERKSH_lbbbEUlllE1_EE10hipError_tPvRmT2_T3_mT4_P12ihipStream_tbEUlmE_lEESB_NS0_8identityIvEEEESM_SP_SQ_mSR_ST_bEUlT_E_NS1_11comp_targetILNS1_3genE9ELNS1_11target_archE1100ELNS1_3gpuE3ELNS1_3repE0EEENS1_30default_config_static_selectorELNS0_4arch9wavefront6targetE0EEEvT1_.uses_vcc, 0
	.set _ZN7rocprim17ROCPRIM_400000_NS6detail17trampoline_kernelINS0_14default_configENS1_25transform_config_selectorIlLb0EEEZNS1_14transform_implILb0ES3_S5_NS0_18transform_iteratorINS0_17counting_iteratorImlEEZNS1_24adjacent_difference_implIS3_Lb1ELb0EPlSB_ZN2at6native12_GLOBAL__N_124unique_dim_cuda_templateImEESt5tupleIJNSC_6TensorESH_SH_EERKSH_lbbbEUlllE1_EE10hipError_tPvRmT2_T3_mT4_P12ihipStream_tbEUlmE_lEESB_NS0_8identityIvEEEESM_SP_SQ_mSR_ST_bEUlT_E_NS1_11comp_targetILNS1_3genE9ELNS1_11target_archE1100ELNS1_3gpuE3ELNS1_3repE0EEENS1_30default_config_static_selectorELNS0_4arch9wavefront6targetE0EEEvT1_.uses_flat_scratch, 0
	.set _ZN7rocprim17ROCPRIM_400000_NS6detail17trampoline_kernelINS0_14default_configENS1_25transform_config_selectorIlLb0EEEZNS1_14transform_implILb0ES3_S5_NS0_18transform_iteratorINS0_17counting_iteratorImlEEZNS1_24adjacent_difference_implIS3_Lb1ELb0EPlSB_ZN2at6native12_GLOBAL__N_124unique_dim_cuda_templateImEESt5tupleIJNSC_6TensorESH_SH_EERKSH_lbbbEUlllE1_EE10hipError_tPvRmT2_T3_mT4_P12ihipStream_tbEUlmE_lEESB_NS0_8identityIvEEEESM_SP_SQ_mSR_ST_bEUlT_E_NS1_11comp_targetILNS1_3genE9ELNS1_11target_archE1100ELNS1_3gpuE3ELNS1_3repE0EEENS1_30default_config_static_selectorELNS0_4arch9wavefront6targetE0EEEvT1_.has_dyn_sized_stack, 0
	.set _ZN7rocprim17ROCPRIM_400000_NS6detail17trampoline_kernelINS0_14default_configENS1_25transform_config_selectorIlLb0EEEZNS1_14transform_implILb0ES3_S5_NS0_18transform_iteratorINS0_17counting_iteratorImlEEZNS1_24adjacent_difference_implIS3_Lb1ELb0EPlSB_ZN2at6native12_GLOBAL__N_124unique_dim_cuda_templateImEESt5tupleIJNSC_6TensorESH_SH_EERKSH_lbbbEUlllE1_EE10hipError_tPvRmT2_T3_mT4_P12ihipStream_tbEUlmE_lEESB_NS0_8identityIvEEEESM_SP_SQ_mSR_ST_bEUlT_E_NS1_11comp_targetILNS1_3genE9ELNS1_11target_archE1100ELNS1_3gpuE3ELNS1_3repE0EEENS1_30default_config_static_selectorELNS0_4arch9wavefront6targetE0EEEvT1_.has_recursion, 0
	.set _ZN7rocprim17ROCPRIM_400000_NS6detail17trampoline_kernelINS0_14default_configENS1_25transform_config_selectorIlLb0EEEZNS1_14transform_implILb0ES3_S5_NS0_18transform_iteratorINS0_17counting_iteratorImlEEZNS1_24adjacent_difference_implIS3_Lb1ELb0EPlSB_ZN2at6native12_GLOBAL__N_124unique_dim_cuda_templateImEESt5tupleIJNSC_6TensorESH_SH_EERKSH_lbbbEUlllE1_EE10hipError_tPvRmT2_T3_mT4_P12ihipStream_tbEUlmE_lEESB_NS0_8identityIvEEEESM_SP_SQ_mSR_ST_bEUlT_E_NS1_11comp_targetILNS1_3genE9ELNS1_11target_archE1100ELNS1_3gpuE3ELNS1_3repE0EEENS1_30default_config_static_selectorELNS0_4arch9wavefront6targetE0EEEvT1_.has_indirect_call, 0
	.section	.AMDGPU.csdata,"",@progbits
; Kernel info:
; codeLenInByte = 0
; TotalNumSgprs: 0
; NumVgprs: 0
; ScratchSize: 0
; MemoryBound: 0
; FloatMode: 240
; IeeeMode: 1
; LDSByteSize: 0 bytes/workgroup (compile time only)
; SGPRBlocks: 0
; VGPRBlocks: 0
; NumSGPRsForWavesPerEU: 1
; NumVGPRsForWavesPerEU: 1
; NamedBarCnt: 0
; Occupancy: 16
; WaveLimiterHint : 0
; COMPUTE_PGM_RSRC2:SCRATCH_EN: 0
; COMPUTE_PGM_RSRC2:USER_SGPR: 2
; COMPUTE_PGM_RSRC2:TRAP_HANDLER: 0
; COMPUTE_PGM_RSRC2:TGID_X_EN: 1
; COMPUTE_PGM_RSRC2:TGID_Y_EN: 0
; COMPUTE_PGM_RSRC2:TGID_Z_EN: 0
; COMPUTE_PGM_RSRC2:TIDIG_COMP_CNT: 0
	.section	.text._ZN7rocprim17ROCPRIM_400000_NS6detail17trampoline_kernelINS0_14default_configENS1_25transform_config_selectorIlLb0EEEZNS1_14transform_implILb0ES3_S5_NS0_18transform_iteratorINS0_17counting_iteratorImlEEZNS1_24adjacent_difference_implIS3_Lb1ELb0EPlSB_ZN2at6native12_GLOBAL__N_124unique_dim_cuda_templateImEESt5tupleIJNSC_6TensorESH_SH_EERKSH_lbbbEUlllE1_EE10hipError_tPvRmT2_T3_mT4_P12ihipStream_tbEUlmE_lEESB_NS0_8identityIvEEEESM_SP_SQ_mSR_ST_bEUlT_E_NS1_11comp_targetILNS1_3genE8ELNS1_11target_archE1030ELNS1_3gpuE2ELNS1_3repE0EEENS1_30default_config_static_selectorELNS0_4arch9wavefront6targetE0EEEvT1_,"axG",@progbits,_ZN7rocprim17ROCPRIM_400000_NS6detail17trampoline_kernelINS0_14default_configENS1_25transform_config_selectorIlLb0EEEZNS1_14transform_implILb0ES3_S5_NS0_18transform_iteratorINS0_17counting_iteratorImlEEZNS1_24adjacent_difference_implIS3_Lb1ELb0EPlSB_ZN2at6native12_GLOBAL__N_124unique_dim_cuda_templateImEESt5tupleIJNSC_6TensorESH_SH_EERKSH_lbbbEUlllE1_EE10hipError_tPvRmT2_T3_mT4_P12ihipStream_tbEUlmE_lEESB_NS0_8identityIvEEEESM_SP_SQ_mSR_ST_bEUlT_E_NS1_11comp_targetILNS1_3genE8ELNS1_11target_archE1030ELNS1_3gpuE2ELNS1_3repE0EEENS1_30default_config_static_selectorELNS0_4arch9wavefront6targetE0EEEvT1_,comdat
	.globl	_ZN7rocprim17ROCPRIM_400000_NS6detail17trampoline_kernelINS0_14default_configENS1_25transform_config_selectorIlLb0EEEZNS1_14transform_implILb0ES3_S5_NS0_18transform_iteratorINS0_17counting_iteratorImlEEZNS1_24adjacent_difference_implIS3_Lb1ELb0EPlSB_ZN2at6native12_GLOBAL__N_124unique_dim_cuda_templateImEESt5tupleIJNSC_6TensorESH_SH_EERKSH_lbbbEUlllE1_EE10hipError_tPvRmT2_T3_mT4_P12ihipStream_tbEUlmE_lEESB_NS0_8identityIvEEEESM_SP_SQ_mSR_ST_bEUlT_E_NS1_11comp_targetILNS1_3genE8ELNS1_11target_archE1030ELNS1_3gpuE2ELNS1_3repE0EEENS1_30default_config_static_selectorELNS0_4arch9wavefront6targetE0EEEvT1_ ; -- Begin function _ZN7rocprim17ROCPRIM_400000_NS6detail17trampoline_kernelINS0_14default_configENS1_25transform_config_selectorIlLb0EEEZNS1_14transform_implILb0ES3_S5_NS0_18transform_iteratorINS0_17counting_iteratorImlEEZNS1_24adjacent_difference_implIS3_Lb1ELb0EPlSB_ZN2at6native12_GLOBAL__N_124unique_dim_cuda_templateImEESt5tupleIJNSC_6TensorESH_SH_EERKSH_lbbbEUlllE1_EE10hipError_tPvRmT2_T3_mT4_P12ihipStream_tbEUlmE_lEESB_NS0_8identityIvEEEESM_SP_SQ_mSR_ST_bEUlT_E_NS1_11comp_targetILNS1_3genE8ELNS1_11target_archE1030ELNS1_3gpuE2ELNS1_3repE0EEENS1_30default_config_static_selectorELNS0_4arch9wavefront6targetE0EEEvT1_
	.p2align	8
	.type	_ZN7rocprim17ROCPRIM_400000_NS6detail17trampoline_kernelINS0_14default_configENS1_25transform_config_selectorIlLb0EEEZNS1_14transform_implILb0ES3_S5_NS0_18transform_iteratorINS0_17counting_iteratorImlEEZNS1_24adjacent_difference_implIS3_Lb1ELb0EPlSB_ZN2at6native12_GLOBAL__N_124unique_dim_cuda_templateImEESt5tupleIJNSC_6TensorESH_SH_EERKSH_lbbbEUlllE1_EE10hipError_tPvRmT2_T3_mT4_P12ihipStream_tbEUlmE_lEESB_NS0_8identityIvEEEESM_SP_SQ_mSR_ST_bEUlT_E_NS1_11comp_targetILNS1_3genE8ELNS1_11target_archE1030ELNS1_3gpuE2ELNS1_3repE0EEENS1_30default_config_static_selectorELNS0_4arch9wavefront6targetE0EEEvT1_,@function
_ZN7rocprim17ROCPRIM_400000_NS6detail17trampoline_kernelINS0_14default_configENS1_25transform_config_selectorIlLb0EEEZNS1_14transform_implILb0ES3_S5_NS0_18transform_iteratorINS0_17counting_iteratorImlEEZNS1_24adjacent_difference_implIS3_Lb1ELb0EPlSB_ZN2at6native12_GLOBAL__N_124unique_dim_cuda_templateImEESt5tupleIJNSC_6TensorESH_SH_EERKSH_lbbbEUlllE1_EE10hipError_tPvRmT2_T3_mT4_P12ihipStream_tbEUlmE_lEESB_NS0_8identityIvEEEESM_SP_SQ_mSR_ST_bEUlT_E_NS1_11comp_targetILNS1_3genE8ELNS1_11target_archE1030ELNS1_3gpuE2ELNS1_3repE0EEENS1_30default_config_static_selectorELNS0_4arch9wavefront6targetE0EEEvT1_: ; @_ZN7rocprim17ROCPRIM_400000_NS6detail17trampoline_kernelINS0_14default_configENS1_25transform_config_selectorIlLb0EEEZNS1_14transform_implILb0ES3_S5_NS0_18transform_iteratorINS0_17counting_iteratorImlEEZNS1_24adjacent_difference_implIS3_Lb1ELb0EPlSB_ZN2at6native12_GLOBAL__N_124unique_dim_cuda_templateImEESt5tupleIJNSC_6TensorESH_SH_EERKSH_lbbbEUlllE1_EE10hipError_tPvRmT2_T3_mT4_P12ihipStream_tbEUlmE_lEESB_NS0_8identityIvEEEESM_SP_SQ_mSR_ST_bEUlT_E_NS1_11comp_targetILNS1_3genE8ELNS1_11target_archE1030ELNS1_3gpuE2ELNS1_3repE0EEENS1_30default_config_static_selectorELNS0_4arch9wavefront6targetE0EEEvT1_
; %bb.0:
	.section	.rodata,"a",@progbits
	.p2align	6, 0x0
	.amdhsa_kernel _ZN7rocprim17ROCPRIM_400000_NS6detail17trampoline_kernelINS0_14default_configENS1_25transform_config_selectorIlLb0EEEZNS1_14transform_implILb0ES3_S5_NS0_18transform_iteratorINS0_17counting_iteratorImlEEZNS1_24adjacent_difference_implIS3_Lb1ELb0EPlSB_ZN2at6native12_GLOBAL__N_124unique_dim_cuda_templateImEESt5tupleIJNSC_6TensorESH_SH_EERKSH_lbbbEUlllE1_EE10hipError_tPvRmT2_T3_mT4_P12ihipStream_tbEUlmE_lEESB_NS0_8identityIvEEEESM_SP_SQ_mSR_ST_bEUlT_E_NS1_11comp_targetILNS1_3genE8ELNS1_11target_archE1030ELNS1_3gpuE2ELNS1_3repE0EEENS1_30default_config_static_selectorELNS0_4arch9wavefront6targetE0EEEvT1_
		.amdhsa_group_segment_fixed_size 0
		.amdhsa_private_segment_fixed_size 0
		.amdhsa_kernarg_size 56
		.amdhsa_user_sgpr_count 2
		.amdhsa_user_sgpr_dispatch_ptr 0
		.amdhsa_user_sgpr_queue_ptr 0
		.amdhsa_user_sgpr_kernarg_segment_ptr 1
		.amdhsa_user_sgpr_dispatch_id 0
		.amdhsa_user_sgpr_kernarg_preload_length 0
		.amdhsa_user_sgpr_kernarg_preload_offset 0
		.amdhsa_user_sgpr_private_segment_size 0
		.amdhsa_wavefront_size32 1
		.amdhsa_uses_dynamic_stack 0
		.amdhsa_enable_private_segment 0
		.amdhsa_system_sgpr_workgroup_id_x 1
		.amdhsa_system_sgpr_workgroup_id_y 0
		.amdhsa_system_sgpr_workgroup_id_z 0
		.amdhsa_system_sgpr_workgroup_info 0
		.amdhsa_system_vgpr_workitem_id 0
		.amdhsa_next_free_vgpr 1
		.amdhsa_next_free_sgpr 1
		.amdhsa_named_barrier_count 0
		.amdhsa_reserve_vcc 0
		.amdhsa_float_round_mode_32 0
		.amdhsa_float_round_mode_16_64 0
		.amdhsa_float_denorm_mode_32 3
		.amdhsa_float_denorm_mode_16_64 3
		.amdhsa_fp16_overflow 0
		.amdhsa_memory_ordered 1
		.amdhsa_forward_progress 1
		.amdhsa_inst_pref_size 0
		.amdhsa_round_robin_scheduling 0
		.amdhsa_exception_fp_ieee_invalid_op 0
		.amdhsa_exception_fp_denorm_src 0
		.amdhsa_exception_fp_ieee_div_zero 0
		.amdhsa_exception_fp_ieee_overflow 0
		.amdhsa_exception_fp_ieee_underflow 0
		.amdhsa_exception_fp_ieee_inexact 0
		.amdhsa_exception_int_div_zero 0
	.end_amdhsa_kernel
	.section	.text._ZN7rocprim17ROCPRIM_400000_NS6detail17trampoline_kernelINS0_14default_configENS1_25transform_config_selectorIlLb0EEEZNS1_14transform_implILb0ES3_S5_NS0_18transform_iteratorINS0_17counting_iteratorImlEEZNS1_24adjacent_difference_implIS3_Lb1ELb0EPlSB_ZN2at6native12_GLOBAL__N_124unique_dim_cuda_templateImEESt5tupleIJNSC_6TensorESH_SH_EERKSH_lbbbEUlllE1_EE10hipError_tPvRmT2_T3_mT4_P12ihipStream_tbEUlmE_lEESB_NS0_8identityIvEEEESM_SP_SQ_mSR_ST_bEUlT_E_NS1_11comp_targetILNS1_3genE8ELNS1_11target_archE1030ELNS1_3gpuE2ELNS1_3repE0EEENS1_30default_config_static_selectorELNS0_4arch9wavefront6targetE0EEEvT1_,"axG",@progbits,_ZN7rocprim17ROCPRIM_400000_NS6detail17trampoline_kernelINS0_14default_configENS1_25transform_config_selectorIlLb0EEEZNS1_14transform_implILb0ES3_S5_NS0_18transform_iteratorINS0_17counting_iteratorImlEEZNS1_24adjacent_difference_implIS3_Lb1ELb0EPlSB_ZN2at6native12_GLOBAL__N_124unique_dim_cuda_templateImEESt5tupleIJNSC_6TensorESH_SH_EERKSH_lbbbEUlllE1_EE10hipError_tPvRmT2_T3_mT4_P12ihipStream_tbEUlmE_lEESB_NS0_8identityIvEEEESM_SP_SQ_mSR_ST_bEUlT_E_NS1_11comp_targetILNS1_3genE8ELNS1_11target_archE1030ELNS1_3gpuE2ELNS1_3repE0EEENS1_30default_config_static_selectorELNS0_4arch9wavefront6targetE0EEEvT1_,comdat
.Lfunc_end1654:
	.size	_ZN7rocprim17ROCPRIM_400000_NS6detail17trampoline_kernelINS0_14default_configENS1_25transform_config_selectorIlLb0EEEZNS1_14transform_implILb0ES3_S5_NS0_18transform_iteratorINS0_17counting_iteratorImlEEZNS1_24adjacent_difference_implIS3_Lb1ELb0EPlSB_ZN2at6native12_GLOBAL__N_124unique_dim_cuda_templateImEESt5tupleIJNSC_6TensorESH_SH_EERKSH_lbbbEUlllE1_EE10hipError_tPvRmT2_T3_mT4_P12ihipStream_tbEUlmE_lEESB_NS0_8identityIvEEEESM_SP_SQ_mSR_ST_bEUlT_E_NS1_11comp_targetILNS1_3genE8ELNS1_11target_archE1030ELNS1_3gpuE2ELNS1_3repE0EEENS1_30default_config_static_selectorELNS0_4arch9wavefront6targetE0EEEvT1_, .Lfunc_end1654-_ZN7rocprim17ROCPRIM_400000_NS6detail17trampoline_kernelINS0_14default_configENS1_25transform_config_selectorIlLb0EEEZNS1_14transform_implILb0ES3_S5_NS0_18transform_iteratorINS0_17counting_iteratorImlEEZNS1_24adjacent_difference_implIS3_Lb1ELb0EPlSB_ZN2at6native12_GLOBAL__N_124unique_dim_cuda_templateImEESt5tupleIJNSC_6TensorESH_SH_EERKSH_lbbbEUlllE1_EE10hipError_tPvRmT2_T3_mT4_P12ihipStream_tbEUlmE_lEESB_NS0_8identityIvEEEESM_SP_SQ_mSR_ST_bEUlT_E_NS1_11comp_targetILNS1_3genE8ELNS1_11target_archE1030ELNS1_3gpuE2ELNS1_3repE0EEENS1_30default_config_static_selectorELNS0_4arch9wavefront6targetE0EEEvT1_
                                        ; -- End function
	.set _ZN7rocprim17ROCPRIM_400000_NS6detail17trampoline_kernelINS0_14default_configENS1_25transform_config_selectorIlLb0EEEZNS1_14transform_implILb0ES3_S5_NS0_18transform_iteratorINS0_17counting_iteratorImlEEZNS1_24adjacent_difference_implIS3_Lb1ELb0EPlSB_ZN2at6native12_GLOBAL__N_124unique_dim_cuda_templateImEESt5tupleIJNSC_6TensorESH_SH_EERKSH_lbbbEUlllE1_EE10hipError_tPvRmT2_T3_mT4_P12ihipStream_tbEUlmE_lEESB_NS0_8identityIvEEEESM_SP_SQ_mSR_ST_bEUlT_E_NS1_11comp_targetILNS1_3genE8ELNS1_11target_archE1030ELNS1_3gpuE2ELNS1_3repE0EEENS1_30default_config_static_selectorELNS0_4arch9wavefront6targetE0EEEvT1_.num_vgpr, 0
	.set _ZN7rocprim17ROCPRIM_400000_NS6detail17trampoline_kernelINS0_14default_configENS1_25transform_config_selectorIlLb0EEEZNS1_14transform_implILb0ES3_S5_NS0_18transform_iteratorINS0_17counting_iteratorImlEEZNS1_24adjacent_difference_implIS3_Lb1ELb0EPlSB_ZN2at6native12_GLOBAL__N_124unique_dim_cuda_templateImEESt5tupleIJNSC_6TensorESH_SH_EERKSH_lbbbEUlllE1_EE10hipError_tPvRmT2_T3_mT4_P12ihipStream_tbEUlmE_lEESB_NS0_8identityIvEEEESM_SP_SQ_mSR_ST_bEUlT_E_NS1_11comp_targetILNS1_3genE8ELNS1_11target_archE1030ELNS1_3gpuE2ELNS1_3repE0EEENS1_30default_config_static_selectorELNS0_4arch9wavefront6targetE0EEEvT1_.num_agpr, 0
	.set _ZN7rocprim17ROCPRIM_400000_NS6detail17trampoline_kernelINS0_14default_configENS1_25transform_config_selectorIlLb0EEEZNS1_14transform_implILb0ES3_S5_NS0_18transform_iteratorINS0_17counting_iteratorImlEEZNS1_24adjacent_difference_implIS3_Lb1ELb0EPlSB_ZN2at6native12_GLOBAL__N_124unique_dim_cuda_templateImEESt5tupleIJNSC_6TensorESH_SH_EERKSH_lbbbEUlllE1_EE10hipError_tPvRmT2_T3_mT4_P12ihipStream_tbEUlmE_lEESB_NS0_8identityIvEEEESM_SP_SQ_mSR_ST_bEUlT_E_NS1_11comp_targetILNS1_3genE8ELNS1_11target_archE1030ELNS1_3gpuE2ELNS1_3repE0EEENS1_30default_config_static_selectorELNS0_4arch9wavefront6targetE0EEEvT1_.numbered_sgpr, 0
	.set _ZN7rocprim17ROCPRIM_400000_NS6detail17trampoline_kernelINS0_14default_configENS1_25transform_config_selectorIlLb0EEEZNS1_14transform_implILb0ES3_S5_NS0_18transform_iteratorINS0_17counting_iteratorImlEEZNS1_24adjacent_difference_implIS3_Lb1ELb0EPlSB_ZN2at6native12_GLOBAL__N_124unique_dim_cuda_templateImEESt5tupleIJNSC_6TensorESH_SH_EERKSH_lbbbEUlllE1_EE10hipError_tPvRmT2_T3_mT4_P12ihipStream_tbEUlmE_lEESB_NS0_8identityIvEEEESM_SP_SQ_mSR_ST_bEUlT_E_NS1_11comp_targetILNS1_3genE8ELNS1_11target_archE1030ELNS1_3gpuE2ELNS1_3repE0EEENS1_30default_config_static_selectorELNS0_4arch9wavefront6targetE0EEEvT1_.num_named_barrier, 0
	.set _ZN7rocprim17ROCPRIM_400000_NS6detail17trampoline_kernelINS0_14default_configENS1_25transform_config_selectorIlLb0EEEZNS1_14transform_implILb0ES3_S5_NS0_18transform_iteratorINS0_17counting_iteratorImlEEZNS1_24adjacent_difference_implIS3_Lb1ELb0EPlSB_ZN2at6native12_GLOBAL__N_124unique_dim_cuda_templateImEESt5tupleIJNSC_6TensorESH_SH_EERKSH_lbbbEUlllE1_EE10hipError_tPvRmT2_T3_mT4_P12ihipStream_tbEUlmE_lEESB_NS0_8identityIvEEEESM_SP_SQ_mSR_ST_bEUlT_E_NS1_11comp_targetILNS1_3genE8ELNS1_11target_archE1030ELNS1_3gpuE2ELNS1_3repE0EEENS1_30default_config_static_selectorELNS0_4arch9wavefront6targetE0EEEvT1_.private_seg_size, 0
	.set _ZN7rocprim17ROCPRIM_400000_NS6detail17trampoline_kernelINS0_14default_configENS1_25transform_config_selectorIlLb0EEEZNS1_14transform_implILb0ES3_S5_NS0_18transform_iteratorINS0_17counting_iteratorImlEEZNS1_24adjacent_difference_implIS3_Lb1ELb0EPlSB_ZN2at6native12_GLOBAL__N_124unique_dim_cuda_templateImEESt5tupleIJNSC_6TensorESH_SH_EERKSH_lbbbEUlllE1_EE10hipError_tPvRmT2_T3_mT4_P12ihipStream_tbEUlmE_lEESB_NS0_8identityIvEEEESM_SP_SQ_mSR_ST_bEUlT_E_NS1_11comp_targetILNS1_3genE8ELNS1_11target_archE1030ELNS1_3gpuE2ELNS1_3repE0EEENS1_30default_config_static_selectorELNS0_4arch9wavefront6targetE0EEEvT1_.uses_vcc, 0
	.set _ZN7rocprim17ROCPRIM_400000_NS6detail17trampoline_kernelINS0_14default_configENS1_25transform_config_selectorIlLb0EEEZNS1_14transform_implILb0ES3_S5_NS0_18transform_iteratorINS0_17counting_iteratorImlEEZNS1_24adjacent_difference_implIS3_Lb1ELb0EPlSB_ZN2at6native12_GLOBAL__N_124unique_dim_cuda_templateImEESt5tupleIJNSC_6TensorESH_SH_EERKSH_lbbbEUlllE1_EE10hipError_tPvRmT2_T3_mT4_P12ihipStream_tbEUlmE_lEESB_NS0_8identityIvEEEESM_SP_SQ_mSR_ST_bEUlT_E_NS1_11comp_targetILNS1_3genE8ELNS1_11target_archE1030ELNS1_3gpuE2ELNS1_3repE0EEENS1_30default_config_static_selectorELNS0_4arch9wavefront6targetE0EEEvT1_.uses_flat_scratch, 0
	.set _ZN7rocprim17ROCPRIM_400000_NS6detail17trampoline_kernelINS0_14default_configENS1_25transform_config_selectorIlLb0EEEZNS1_14transform_implILb0ES3_S5_NS0_18transform_iteratorINS0_17counting_iteratorImlEEZNS1_24adjacent_difference_implIS3_Lb1ELb0EPlSB_ZN2at6native12_GLOBAL__N_124unique_dim_cuda_templateImEESt5tupleIJNSC_6TensorESH_SH_EERKSH_lbbbEUlllE1_EE10hipError_tPvRmT2_T3_mT4_P12ihipStream_tbEUlmE_lEESB_NS0_8identityIvEEEESM_SP_SQ_mSR_ST_bEUlT_E_NS1_11comp_targetILNS1_3genE8ELNS1_11target_archE1030ELNS1_3gpuE2ELNS1_3repE0EEENS1_30default_config_static_selectorELNS0_4arch9wavefront6targetE0EEEvT1_.has_dyn_sized_stack, 0
	.set _ZN7rocprim17ROCPRIM_400000_NS6detail17trampoline_kernelINS0_14default_configENS1_25transform_config_selectorIlLb0EEEZNS1_14transform_implILb0ES3_S5_NS0_18transform_iteratorINS0_17counting_iteratorImlEEZNS1_24adjacent_difference_implIS3_Lb1ELb0EPlSB_ZN2at6native12_GLOBAL__N_124unique_dim_cuda_templateImEESt5tupleIJNSC_6TensorESH_SH_EERKSH_lbbbEUlllE1_EE10hipError_tPvRmT2_T3_mT4_P12ihipStream_tbEUlmE_lEESB_NS0_8identityIvEEEESM_SP_SQ_mSR_ST_bEUlT_E_NS1_11comp_targetILNS1_3genE8ELNS1_11target_archE1030ELNS1_3gpuE2ELNS1_3repE0EEENS1_30default_config_static_selectorELNS0_4arch9wavefront6targetE0EEEvT1_.has_recursion, 0
	.set _ZN7rocprim17ROCPRIM_400000_NS6detail17trampoline_kernelINS0_14default_configENS1_25transform_config_selectorIlLb0EEEZNS1_14transform_implILb0ES3_S5_NS0_18transform_iteratorINS0_17counting_iteratorImlEEZNS1_24adjacent_difference_implIS3_Lb1ELb0EPlSB_ZN2at6native12_GLOBAL__N_124unique_dim_cuda_templateImEESt5tupleIJNSC_6TensorESH_SH_EERKSH_lbbbEUlllE1_EE10hipError_tPvRmT2_T3_mT4_P12ihipStream_tbEUlmE_lEESB_NS0_8identityIvEEEESM_SP_SQ_mSR_ST_bEUlT_E_NS1_11comp_targetILNS1_3genE8ELNS1_11target_archE1030ELNS1_3gpuE2ELNS1_3repE0EEENS1_30default_config_static_selectorELNS0_4arch9wavefront6targetE0EEEvT1_.has_indirect_call, 0
	.section	.AMDGPU.csdata,"",@progbits
; Kernel info:
; codeLenInByte = 0
; TotalNumSgprs: 0
; NumVgprs: 0
; ScratchSize: 0
; MemoryBound: 0
; FloatMode: 240
; IeeeMode: 1
; LDSByteSize: 0 bytes/workgroup (compile time only)
; SGPRBlocks: 0
; VGPRBlocks: 0
; NumSGPRsForWavesPerEU: 1
; NumVGPRsForWavesPerEU: 1
; NamedBarCnt: 0
; Occupancy: 16
; WaveLimiterHint : 0
; COMPUTE_PGM_RSRC2:SCRATCH_EN: 0
; COMPUTE_PGM_RSRC2:USER_SGPR: 2
; COMPUTE_PGM_RSRC2:TRAP_HANDLER: 0
; COMPUTE_PGM_RSRC2:TGID_X_EN: 1
; COMPUTE_PGM_RSRC2:TGID_Y_EN: 0
; COMPUTE_PGM_RSRC2:TGID_Z_EN: 0
; COMPUTE_PGM_RSRC2:TIDIG_COMP_CNT: 0
	.section	.text._ZN7rocprim17ROCPRIM_400000_NS6detail17trampoline_kernelINS0_14default_configENS1_35adjacent_difference_config_selectorILb1ElEEZNS1_24adjacent_difference_implIS3_Lb1ELb0EPlS7_ZN2at6native12_GLOBAL__N_124unique_dim_cuda_templateImEESt5tupleIJNS8_6TensorESD_SD_EERKSD_lbbbEUlllE1_EE10hipError_tPvRmT2_T3_mT4_P12ihipStream_tbEUlT_E_NS1_11comp_targetILNS1_3genE0ELNS1_11target_archE4294967295ELNS1_3gpuE0ELNS1_3repE0EEENS1_30default_config_static_selectorELNS0_4arch9wavefront6targetE0EEEvT1_,"axG",@progbits,_ZN7rocprim17ROCPRIM_400000_NS6detail17trampoline_kernelINS0_14default_configENS1_35adjacent_difference_config_selectorILb1ElEEZNS1_24adjacent_difference_implIS3_Lb1ELb0EPlS7_ZN2at6native12_GLOBAL__N_124unique_dim_cuda_templateImEESt5tupleIJNS8_6TensorESD_SD_EERKSD_lbbbEUlllE1_EE10hipError_tPvRmT2_T3_mT4_P12ihipStream_tbEUlT_E_NS1_11comp_targetILNS1_3genE0ELNS1_11target_archE4294967295ELNS1_3gpuE0ELNS1_3repE0EEENS1_30default_config_static_selectorELNS0_4arch9wavefront6targetE0EEEvT1_,comdat
	.globl	_ZN7rocprim17ROCPRIM_400000_NS6detail17trampoline_kernelINS0_14default_configENS1_35adjacent_difference_config_selectorILb1ElEEZNS1_24adjacent_difference_implIS3_Lb1ELb0EPlS7_ZN2at6native12_GLOBAL__N_124unique_dim_cuda_templateImEESt5tupleIJNS8_6TensorESD_SD_EERKSD_lbbbEUlllE1_EE10hipError_tPvRmT2_T3_mT4_P12ihipStream_tbEUlT_E_NS1_11comp_targetILNS1_3genE0ELNS1_11target_archE4294967295ELNS1_3gpuE0ELNS1_3repE0EEENS1_30default_config_static_selectorELNS0_4arch9wavefront6targetE0EEEvT1_ ; -- Begin function _ZN7rocprim17ROCPRIM_400000_NS6detail17trampoline_kernelINS0_14default_configENS1_35adjacent_difference_config_selectorILb1ElEEZNS1_24adjacent_difference_implIS3_Lb1ELb0EPlS7_ZN2at6native12_GLOBAL__N_124unique_dim_cuda_templateImEESt5tupleIJNS8_6TensorESD_SD_EERKSD_lbbbEUlllE1_EE10hipError_tPvRmT2_T3_mT4_P12ihipStream_tbEUlT_E_NS1_11comp_targetILNS1_3genE0ELNS1_11target_archE4294967295ELNS1_3gpuE0ELNS1_3repE0EEENS1_30default_config_static_selectorELNS0_4arch9wavefront6targetE0EEEvT1_
	.p2align	8
	.type	_ZN7rocprim17ROCPRIM_400000_NS6detail17trampoline_kernelINS0_14default_configENS1_35adjacent_difference_config_selectorILb1ElEEZNS1_24adjacent_difference_implIS3_Lb1ELb0EPlS7_ZN2at6native12_GLOBAL__N_124unique_dim_cuda_templateImEESt5tupleIJNS8_6TensorESD_SD_EERKSD_lbbbEUlllE1_EE10hipError_tPvRmT2_T3_mT4_P12ihipStream_tbEUlT_E_NS1_11comp_targetILNS1_3genE0ELNS1_11target_archE4294967295ELNS1_3gpuE0ELNS1_3repE0EEENS1_30default_config_static_selectorELNS0_4arch9wavefront6targetE0EEEvT1_,@function
_ZN7rocprim17ROCPRIM_400000_NS6detail17trampoline_kernelINS0_14default_configENS1_35adjacent_difference_config_selectorILb1ElEEZNS1_24adjacent_difference_implIS3_Lb1ELb0EPlS7_ZN2at6native12_GLOBAL__N_124unique_dim_cuda_templateImEESt5tupleIJNS8_6TensorESD_SD_EERKSD_lbbbEUlllE1_EE10hipError_tPvRmT2_T3_mT4_P12ihipStream_tbEUlT_E_NS1_11comp_targetILNS1_3genE0ELNS1_11target_archE4294967295ELNS1_3gpuE0ELNS1_3repE0EEENS1_30default_config_static_selectorELNS0_4arch9wavefront6targetE0EEEvT1_: ; @_ZN7rocprim17ROCPRIM_400000_NS6detail17trampoline_kernelINS0_14default_configENS1_35adjacent_difference_config_selectorILb1ElEEZNS1_24adjacent_difference_implIS3_Lb1ELb0EPlS7_ZN2at6native12_GLOBAL__N_124unique_dim_cuda_templateImEESt5tupleIJNS8_6TensorESD_SD_EERKSD_lbbbEUlllE1_EE10hipError_tPvRmT2_T3_mT4_P12ihipStream_tbEUlT_E_NS1_11comp_targetILNS1_3genE0ELNS1_11target_archE4294967295ELNS1_3gpuE0ELNS1_3repE0EEENS1_30default_config_static_selectorELNS0_4arch9wavefront6targetE0EEEvT1_
; %bb.0:
	s_load_b512 s[4:19], s[0:1], 0x0
	s_wait_xcnt 0x0
	s_bfe_u32 s0, ttmp6, 0x4000c
	s_and_b32 s1, ttmp6, 15
	s_add_co_i32 s0, s0, 1
	s_getreg_b32 s2, hwreg(HW_REG_IB_STS2, 6, 4)
	s_mul_i32 s0, ttmp9, s0
	s_mov_b32 s25, 0
	s_add_co_i32 s1, s1, s0
	s_wait_kmcnt 0x0
	s_lshl_b64 s[20:21], s[6:7], 3
	s_cmp_eq_u32 s2, 0
	s_add_nc_u64 s[4:5], s[4:5], s[20:21]
	s_cselect_b32 s3, ttmp9, s1
	s_and_b64 s[6:7], s[10:11], 0x3ff
	s_lshr_b64 s[0:1], s[10:11], 10
	s_lshl_b32 s2, s3, 10
	s_cmp_lg_u64 s[6:7], 0
	s_cselect_b32 s6, -1, 0
	s_delay_alu instid0(SALU_CYCLE_1) | instskip(NEXT) | instid1(VALU_DEP_1)
	v_cndmask_b32_e64 v1, 0, 1, s6
	v_readfirstlane_b32 s24, v1
	s_add_nc_u64 s[0:1], s[0:1], s[24:25]
	s_mov_b32 s24, s3
	s_add_nc_u64 s[6:7], s[0:1], -1
	s_add_nc_u64 s[22:23], s[18:19], s[24:25]
	s_mov_b32 s3, -1
	v_cmp_ge_u64_e64 s11, s[22:23], s[6:7]
	s_and_b32 vcc_lo, exec_lo, s11
	s_cbranch_vccz .LBB1655_6
; %bb.1:
	v_mov_b32_e32 v2, 0
	s_lshl_b32 s3, s6, 10
	s_delay_alu instid0(SALU_CYCLE_1) | instskip(SKIP_1) | instid1(VALU_DEP_1)
	s_sub_co_i32 s28, s10, s3
	s_mov_b32 s3, s25
	v_dual_mov_b32 v3, v2 :: v_dual_mov_b32 v4, v2
	v_mov_b32_e32 v5, v2
	s_lshl_b64 s[26:27], s[2:3], 3
	s_mov_b32 s3, exec_lo
	s_add_nc_u64 s[26:27], s[4:5], s[26:27]
	v_cmpx_gt_u32_e64 s28, v0
	s_cbranch_execz .LBB1655_3
; %bb.2:
	global_load_b64 v[4:5], v0, s[26:27] scale_offset
	v_dual_mov_b32 v6, v2 :: v_dual_mov_b32 v7, v2
	s_wait_loadcnt 0x0
	v_mov_b64_e32 v[2:3], v[4:5]
	s_delay_alu instid0(VALU_DEP_2)
	v_mov_b64_e32 v[4:5], v[6:7]
.LBB1655_3:
	s_or_b32 exec_lo, exec_lo, s3
	v_or_b32_e32 v1, 0x200, v0
	s_mov_b32 s3, exec_lo
	s_delay_alu instid0(VALU_DEP_1)
	v_cmpx_gt_u32_e64 s28, v1
	s_cbranch_execz .LBB1655_5
; %bb.4:
	global_load_b64 v[4:5], v0, s[26:27] offset:4096 scale_offset
.LBB1655_5:
	s_wait_xcnt 0x0
	s_or_b32 exec_lo, exec_lo, s3
	v_dual_lshrrev_b32 v6, 2, v0 :: v_dual_lshrrev_b32 v1, 2, v1
	v_lshlrev_b32_e32 v7, 3, v0
	s_mov_b32 s3, 0
	s_delay_alu instid0(VALU_DEP_2) | instskip(NEXT) | instid1(VALU_DEP_3)
	v_and_b32_e32 v6, 0x78, v6
	v_and_b32_e32 v1, 0xf8, v1
	s_delay_alu instid0(VALU_DEP_1)
	v_dual_add_nc_u32 v6, v6, v7 :: v_dual_add_nc_u32 v1, v1, v7
	ds_store_b64 v6, v[2:3]
	s_wait_loadcnt 0x0
	ds_store_b64 v1, v[4:5] offset:4096
	s_wait_dscnt 0x0
	s_barrier_signal -1
	s_barrier_wait -1
.LBB1655_6:
	s_and_b32 vcc_lo, exec_lo, s3
	s_cbranch_vccz .LBB1655_8
; %bb.7:
	s_mov_b32 s3, 0
	v_or_b32_e32 v1, 0x200, v0
	s_lshl_b64 s[26:27], s[2:3], 3
	v_lshrrev_b32_e32 v6, 2, v0
	s_add_nc_u64 s[4:5], s[4:5], s[26:27]
	v_lshlrev_b32_e32 v7, 3, v0
	s_clause 0x1
	global_load_b64 v[2:3], v0, s[4:5] scale_offset
	global_load_b64 v[4:5], v0, s[4:5] offset:4096 scale_offset
	v_lshrrev_b32_e32 v1, 2, v1
	v_and_b32_e32 v6, 0x78, v6
	s_delay_alu instid0(VALU_DEP_2) | instskip(NEXT) | instid1(VALU_DEP_1)
	v_and_b32_e32 v1, 0xf8, v1
	v_dual_add_nc_u32 v6, v6, v7 :: v_dual_add_nc_u32 v1, v1, v7
	s_wait_loadcnt 0x1
	ds_store_b64 v6, v[2:3]
	s_wait_loadcnt 0x0
	ds_store_b64 v1, v[4:5] offset:4096
	s_wait_dscnt 0x0
	s_barrier_signal -1
	s_barrier_wait -1
.LBB1655_8:
	v_lshrrev_b32_e32 v1, 1, v0
	s_cmp_eq_u64 s[22:23], 0
	s_delay_alu instid0(VALU_DEP_1) | instskip(NEXT) | instid1(VALU_DEP_1)
	v_and_b32_e32 v1, 0xf8, v1
	v_lshl_add_u32 v1, v0, 4, v1
	ds_load_2addr_b64 v[2:5], v1 offset1:1
	s_wait_dscnt 0x0
	s_barrier_signal -1
	s_barrier_wait -1
	s_cbranch_scc1 .LBB1655_15
; %bb.9:
	s_lshl_b64 s[4:5], s[18:19], 3
	s_delay_alu instid0(SALU_CYCLE_1) | instskip(SKIP_3) | instid1(SALU_CYCLE_1)
	s_add_nc_u64 s[4:5], s[16:17], s[4:5]
	s_lshl_b64 s[16:17], s[24:25], 3
	s_cmp_eq_u64 s[22:23], s[6:7]
	s_add_nc_u64 s[4:5], s[4:5], s[16:17]
	s_add_nc_u64 s[4:5], s[4:5], -8
	s_load_b64 s[4:5], s[4:5], 0x0
	s_cbranch_scc1 .LBB1655_16
; %bb.10:
	v_cmp_lt_i64_e64 s7, s[12:13], 1
	v_mov_b64_e32 v[8:9], 0
	v_cmp_gt_i64_e64 s3, s[12:13], 0
	v_lshlrev_b32_e32 v12, 3, v0
	s_and_b32 vcc_lo, exec_lo, s7
	ds_store_b64 v12, v[4:5]
	s_cbranch_vccnz .LBB1655_18
; %bb.11:
	v_mul_u64_e32 v[6:7], s[12:13], v[4:5]
	v_mul_u64_e32 v[8:9], s[12:13], v[2:3]
	s_mov_b32 s7, 0
	s_mov_b64 s[16:17], s[12:13]
                                        ; implicit-def: $sgpr18
	s_delay_alu instid0(VALU_DEP_2) | instskip(NEXT) | instid1(VALU_DEP_2)
	v_lshl_add_u64 v[6:7], v[6:7], 3, s[14:15]
	v_lshl_add_u64 v[10:11], v[8:9], 3, s[14:15]
	s_branch .LBB1655_13
.LBB1655_12:                            ;   in Loop: Header=BB1655_13 Depth=1
	s_or_b32 exec_lo, exec_lo, s19
	s_delay_alu instid0(SALU_CYCLE_1) | instskip(NEXT) | instid1(SALU_CYCLE_1)
	s_and_b32 s19, exec_lo, s18
	s_or_b32 s7, s19, s7
	s_delay_alu instid0(SALU_CYCLE_1)
	s_and_not1_b32 exec_lo, exec_lo, s7
	s_cbranch_execz .LBB1655_17
.LBB1655_13:                            ; =>This Inner Loop Header: Depth=1
	global_load_b64 v[8:9], v[6:7], off
	global_load_b64 v[14:15], v[10:11], off
	s_or_b32 s18, s18, exec_lo
	s_wait_loadcnt 0x0
	v_cmp_eq_u64_e32 vcc_lo, v[8:9], v[14:15]
	v_mov_b64_e32 v[8:9], 1
	s_and_saveexec_b32 s19, vcc_lo
	s_cbranch_execz .LBB1655_12
; %bb.14:                               ;   in Loop: Header=BB1655_13 Depth=1
	s_add_nc_u64 s[16:17], s[16:17], -1
	v_add_nc_u64_e32 v[6:7], 8, v[6:7]
	s_cmp_eq_u64 s[16:17], 0
	v_add_nc_u64_e32 v[10:11], 8, v[10:11]
	v_mov_b64_e32 v[8:9], 0
	s_cselect_b32 s23, -1, 0
	s_and_not1_b32 s18, s18, exec_lo
	s_and_b32 s23, s23, exec_lo
	s_delay_alu instid0(SALU_CYCLE_1)
	s_or_b32 s18, s18, s23
	s_branch .LBB1655_12
.LBB1655_15:
                                        ; implicit-def: $vgpr8_vgpr9
                                        ; implicit-def: $vgpr6_vgpr7
	s_branch .LBB1655_47
.LBB1655_16:
                                        ; implicit-def: $vgpr8_vgpr9
                                        ; implicit-def: $vgpr6_vgpr7
	s_cbranch_execnz .LBB1655_27
	s_branch .LBB1655_46
.LBB1655_17:
	s_or_b32 exec_lo, exec_lo, s7
.LBB1655_18:
	s_wait_kmcnt 0x0
	v_mov_b64_e32 v[6:7], s[4:5]
	s_mov_b32 s7, exec_lo
	s_wait_dscnt 0x0
	s_barrier_signal -1
	s_barrier_wait -1
	v_cmpx_ne_u32_e32 0, v0
; %bb.19:
	v_add_nc_u32_e32 v6, -8, v12
	ds_load_b64 v[6:7], v6
; %bb.20:
	s_or_b32 exec_lo, exec_lo, s7
	s_delay_alu instid0(SALU_CYCLE_1)
	s_and_not1_b32 vcc_lo, exec_lo, s3
	s_cbranch_vccnz .LBB1655_26
; %bb.21:
	v_mul_u64_e32 v[10:11], s[12:13], v[2:3]
	s_wait_dscnt 0x0
	v_mul_u64_e32 v[6:7], s[12:13], v[6:7]
	s_mov_b32 s3, 0
	s_mov_b64 s[16:17], s[12:13]
                                        ; implicit-def: $sgpr7
	s_delay_alu instid0(VALU_DEP_2) | instskip(NEXT) | instid1(VALU_DEP_2)
	v_lshl_add_u64 v[10:11], v[10:11], 3, s[14:15]
	v_lshl_add_u64 v[12:13], v[6:7], 3, s[14:15]
	s_branch .LBB1655_23
.LBB1655_22:                            ;   in Loop: Header=BB1655_23 Depth=1
	s_or_b32 exec_lo, exec_lo, s18
	s_delay_alu instid0(SALU_CYCLE_1) | instskip(NEXT) | instid1(SALU_CYCLE_1)
	s_and_b32 s18, exec_lo, s7
	s_or_b32 s3, s18, s3
	s_delay_alu instid0(SALU_CYCLE_1)
	s_and_not1_b32 exec_lo, exec_lo, s3
	s_cbranch_execz .LBB1655_25
.LBB1655_23:                            ; =>This Inner Loop Header: Depth=1
	global_load_b64 v[6:7], v[10:11], off
	global_load_b64 v[14:15], v[12:13], off
	s_or_b32 s7, s7, exec_lo
	s_wait_loadcnt 0x0
	v_cmp_eq_u64_e32 vcc_lo, v[6:7], v[14:15]
	v_mov_b64_e32 v[6:7], 1
	s_and_saveexec_b32 s18, vcc_lo
	s_cbranch_execz .LBB1655_22
; %bb.24:                               ;   in Loop: Header=BB1655_23 Depth=1
	s_add_nc_u64 s[16:17], s[16:17], -1
	v_add_nc_u64_e32 v[10:11], 8, v[10:11]
	s_cmp_eq_u64 s[16:17], 0
	v_add_nc_u64_e32 v[12:13], 8, v[12:13]
	v_mov_b64_e32 v[6:7], 0
	s_cselect_b32 s19, -1, 0
	s_and_not1_b32 s7, s7, exec_lo
	s_and_b32 s19, s19, exec_lo
	s_delay_alu instid0(SALU_CYCLE_1)
	s_or_b32 s7, s7, s19
	s_branch .LBB1655_22
.LBB1655_25:
	s_or_b32 exec_lo, exec_lo, s3
	s_branch .LBB1655_46
.LBB1655_26:
	s_wait_dscnt 0x0
	v_mov_b64_e32 v[6:7], 0
	s_branch .LBB1655_46
.LBB1655_27:
	v_dual_lshlrev_b32 v12, 1, v0 :: v_dual_lshlrev_b32 v13, 3, v0
	v_mov_b64_e32 v[8:9], v[4:5]
	s_lshl_b32 s3, s22, 10
	s_mov_b32 s7, exec_lo
	s_delay_alu instid0(VALU_DEP_2)
	v_or_b32_e32 v10, 1, v12
	s_sub_co_i32 s3, s10, s3
	v_mov_b64_e32 v[6:7], v[2:3]
	ds_store_b64 v13, v[4:5]
	v_cmpx_gt_u32_e64 s3, v10
	s_cbranch_execz .LBB1655_35
; %bb.28:
	v_cmp_lt_i64_e64 s16, s[12:13], 1
	s_and_b32 vcc_lo, exec_lo, s16
	s_cbranch_vccnz .LBB1655_34
; %bb.29:
	v_mul_u64_e32 v[6:7], s[12:13], v[4:5]
	v_mul_u64_e32 v[8:9], s[12:13], v[2:3]
	s_mov_b32 s18, 0
	s_mov_b64 s[16:17], s[12:13]
                                        ; implicit-def: $sgpr19
	s_delay_alu instid0(VALU_DEP_2) | instskip(NEXT) | instid1(VALU_DEP_2)
	v_lshl_add_u64 v[6:7], v[6:7], 3, s[14:15]
	v_lshl_add_u64 v[10:11], v[8:9], 3, s[14:15]
	s_branch .LBB1655_31
.LBB1655_30:                            ;   in Loop: Header=BB1655_31 Depth=1
	s_or_b32 exec_lo, exec_lo, s22
	s_delay_alu instid0(SALU_CYCLE_1) | instskip(NEXT) | instid1(SALU_CYCLE_1)
	s_and_b32 s22, exec_lo, s19
	s_or_b32 s18, s22, s18
	s_delay_alu instid0(SALU_CYCLE_1)
	s_and_not1_b32 exec_lo, exec_lo, s18
	s_cbranch_execz .LBB1655_33
.LBB1655_31:                            ; =>This Inner Loop Header: Depth=1
	global_load_b64 v[8:9], v[6:7], off
	global_load_b64 v[14:15], v[10:11], off
	s_or_b32 s19, s19, exec_lo
	s_wait_loadcnt 0x0
	v_cmp_eq_u64_e32 vcc_lo, v[8:9], v[14:15]
	v_mov_b64_e32 v[8:9], 1
	s_and_saveexec_b32 s22, vcc_lo
	s_cbranch_execz .LBB1655_30
; %bb.32:                               ;   in Loop: Header=BB1655_31 Depth=1
	s_add_nc_u64 s[16:17], s[16:17], -1
	v_add_nc_u64_e32 v[6:7], 8, v[6:7]
	s_cmp_eq_u64 s[16:17], 0
	v_add_nc_u64_e32 v[10:11], 8, v[10:11]
	s_cselect_b32 s23, -1, 0
	s_and_not1_b32 s19, s19, exec_lo
	s_and_b32 s23, s23, exec_lo
	v_mov_b64_e32 v[8:9], 0
	s_or_b32 s19, s19, s23
	s_branch .LBB1655_30
.LBB1655_33:
	s_or_b32 exec_lo, exec_lo, s18
	s_branch .LBB1655_35
.LBB1655_34:
	v_mov_b64_e32 v[8:9], 0
.LBB1655_35:
	s_or_b32 exec_lo, exec_lo, s7
	s_wait_kmcnt 0x0
	v_mov_b64_e32 v[10:11], s[4:5]
	s_mov_b32 s4, exec_lo
	s_wait_dscnt 0x0
	s_barrier_signal -1
	s_barrier_wait -1
	v_cmpx_ne_u32_e32 0, v0
; %bb.36:
	v_add_nc_u32_e32 v6, -8, v13
	ds_load_b64 v[10:11], v6
; %bb.37:
	s_or_b32 exec_lo, exec_lo, s4
	v_mov_b64_e32 v[6:7], v[2:3]
	v_cmp_gt_u32_e32 vcc_lo, s3, v12
	s_and_saveexec_b32 s3, vcc_lo
	s_cbranch_execz .LBB1655_45
; %bb.38:
	v_cmp_lt_i64_e64 s4, s[12:13], 1
	s_and_b32 vcc_lo, exec_lo, s4
	s_cbranch_vccnz .LBB1655_44
; %bb.39:
	v_mul_u64_e32 v[6:7], s[12:13], v[2:3]
	s_wait_dscnt 0x0
	v_mul_u64_e32 v[12:13], s[12:13], v[10:11]
	s_mov_b32 s7, 0
	s_mov_b64 s[4:5], s[12:13]
                                        ; implicit-def: $sgpr16
	s_delay_alu instid0(VALU_DEP_2) | instskip(NEXT) | instid1(VALU_DEP_2)
	v_lshl_add_u64 v[10:11], v[6:7], 3, s[14:15]
	v_lshl_add_u64 v[12:13], v[12:13], 3, s[14:15]
	s_branch .LBB1655_41
.LBB1655_40:                            ;   in Loop: Header=BB1655_41 Depth=1
	s_or_b32 exec_lo, exec_lo, s17
	s_delay_alu instid0(SALU_CYCLE_1) | instskip(NEXT) | instid1(SALU_CYCLE_1)
	s_and_b32 s17, exec_lo, s16
	s_or_b32 s7, s17, s7
	s_delay_alu instid0(SALU_CYCLE_1)
	s_and_not1_b32 exec_lo, exec_lo, s7
	s_cbranch_execz .LBB1655_43
.LBB1655_41:                            ; =>This Inner Loop Header: Depth=1
	global_load_b64 v[6:7], v[10:11], off
	global_load_b64 v[14:15], v[12:13], off
	s_or_b32 s16, s16, exec_lo
	s_wait_loadcnt 0x0
	v_cmp_eq_u64_e32 vcc_lo, v[6:7], v[14:15]
	v_mov_b64_e32 v[6:7], 1
	s_and_saveexec_b32 s17, vcc_lo
	s_cbranch_execz .LBB1655_40
; %bb.42:                               ;   in Loop: Header=BB1655_41 Depth=1
	s_add_nc_u64 s[4:5], s[4:5], -1
	v_add_nc_u64_e32 v[10:11], 8, v[10:11]
	s_cmp_eq_u64 s[4:5], 0
	v_add_nc_u64_e32 v[12:13], 8, v[12:13]
	v_mov_b64_e32 v[6:7], 0
	s_cselect_b32 s18, -1, 0
	s_and_not1_b32 s16, s16, exec_lo
	s_and_b32 s18, s18, exec_lo
	s_delay_alu instid0(SALU_CYCLE_1)
	s_or_b32 s16, s16, s18
	s_branch .LBB1655_40
.LBB1655_43:
	s_or_b32 exec_lo, exec_lo, s7
	s_branch .LBB1655_45
.LBB1655_44:
	v_mov_b64_e32 v[6:7], 0
.LBB1655_45:
	s_or_b32 exec_lo, exec_lo, s3
.LBB1655_46:
	s_cbranch_execnz .LBB1655_81
.LBB1655_47:
	s_cmp_eq_u64 s[0:1], 1
	s_cbranch_scc1 .LBB1655_53
; %bb.48:
	v_cmp_lt_i64_e64 s0, s[12:13], 1
	v_mov_b64_e32 v[8:9], 0
	s_wait_kmcnt 0x0
	v_cmp_gt_i64_e64 s4, s[12:13], 0
	v_lshlrev_b32_e32 v12, 3, v0
	s_and_b32 vcc_lo, exec_lo, s0
	ds_store_b64 v12, v[4:5]
	s_cbranch_vccnz .LBB1655_55
; %bb.49:
	v_mul_u64_e32 v[6:7], s[12:13], v[4:5]
	v_mul_u64_e32 v[8:9], s[12:13], v[2:3]
	s_mov_b32 s3, 0
	s_mov_b64 s[0:1], s[12:13]
                                        ; implicit-def: $sgpr5
	s_delay_alu instid0(VALU_DEP_2) | instskip(SKIP_1) | instid1(VALU_DEP_2)
	v_lshl_add_u64 v[6:7], v[6:7], 3, s[14:15]
	s_wait_dscnt 0x1
	v_lshl_add_u64 v[10:11], v[8:9], 3, s[14:15]
	s_branch .LBB1655_51
.LBB1655_50:                            ;   in Loop: Header=BB1655_51 Depth=1
	s_or_b32 exec_lo, exec_lo, s7
	s_delay_alu instid0(SALU_CYCLE_1) | instskip(NEXT) | instid1(SALU_CYCLE_1)
	s_and_b32 s7, exec_lo, s5
	s_or_b32 s3, s7, s3
	s_delay_alu instid0(SALU_CYCLE_1)
	s_and_not1_b32 exec_lo, exec_lo, s3
	s_cbranch_execz .LBB1655_54
.LBB1655_51:                            ; =>This Inner Loop Header: Depth=1
	global_load_b64 v[8:9], v[6:7], off
	global_load_b64 v[14:15], v[10:11], off
	s_or_b32 s5, s5, exec_lo
	s_wait_loadcnt 0x0
	v_cmp_eq_u64_e32 vcc_lo, v[8:9], v[14:15]
	v_mov_b64_e32 v[8:9], 1
	s_and_saveexec_b32 s7, vcc_lo
	s_cbranch_execz .LBB1655_50
; %bb.52:                               ;   in Loop: Header=BB1655_51 Depth=1
	s_add_nc_u64 s[0:1], s[0:1], -1
	v_add_nc_u64_e32 v[6:7], 8, v[6:7]
	s_cmp_eq_u64 s[0:1], 0
	v_add_nc_u64_e32 v[10:11], 8, v[10:11]
	v_mov_b64_e32 v[8:9], 0
	s_cselect_b32 s16, -1, 0
	s_and_not1_b32 s5, s5, exec_lo
	s_and_b32 s16, s16, exec_lo
	s_delay_alu instid0(SALU_CYCLE_1)
	s_or_b32 s5, s5, s16
	s_branch .LBB1655_50
.LBB1655_53:
                                        ; implicit-def: $vgpr8_vgpr9
                                        ; implicit-def: $vgpr6_vgpr7
	s_cbranch_execnz .LBB1655_63
	s_branch .LBB1655_81
.LBB1655_54:
	s_or_b32 exec_lo, exec_lo, s3
.LBB1655_55:
	v_mov_b64_e32 v[6:7], v[2:3]
	s_mov_b32 s3, 0
	s_mov_b32 s5, exec_lo
	s_wait_dscnt 0x0
	s_barrier_signal -1
	s_barrier_wait -1
	v_cmpx_ne_u32_e32 0, v0
	s_cbranch_execz .LBB1655_62
; %bb.56:
	s_and_not1_b32 vcc_lo, exec_lo, s4
	s_cbranch_vccnz .LBB1655_70
; %bb.57:
	v_add_nc_u32_e32 v6, -8, v12
	v_mul_u64_e32 v[10:11], s[12:13], v[2:3]
	s_mov_b32 s4, 0
	s_mov_b64 s[0:1], s[12:13]
                                        ; implicit-def: $sgpr7
	ds_load_b64 v[6:7], v6
	s_wait_dscnt 0x0
	v_mul_u64_e32 v[6:7], s[12:13], v[6:7]
	v_lshl_add_u64 v[10:11], v[10:11], 3, s[14:15]
	s_delay_alu instid0(VALU_DEP_2)
	v_lshl_add_u64 v[12:13], v[6:7], 3, s[14:15]
	s_branch .LBB1655_59
.LBB1655_58:                            ;   in Loop: Header=BB1655_59 Depth=1
	s_or_b32 exec_lo, exec_lo, s16
	s_delay_alu instid0(SALU_CYCLE_1) | instskip(NEXT) | instid1(SALU_CYCLE_1)
	s_and_b32 s16, exec_lo, s7
	s_or_b32 s4, s16, s4
	s_delay_alu instid0(SALU_CYCLE_1)
	s_and_not1_b32 exec_lo, exec_lo, s4
	s_cbranch_execz .LBB1655_61
.LBB1655_59:                            ; =>This Inner Loop Header: Depth=1
	global_load_b64 v[6:7], v[10:11], off
	global_load_b64 v[14:15], v[12:13], off
	s_or_b32 s7, s7, exec_lo
	s_wait_loadcnt 0x0
	v_cmp_eq_u64_e32 vcc_lo, v[6:7], v[14:15]
	v_mov_b64_e32 v[6:7], 1
	s_and_saveexec_b32 s16, vcc_lo
	s_cbranch_execz .LBB1655_58
; %bb.60:                               ;   in Loop: Header=BB1655_59 Depth=1
	s_add_nc_u64 s[0:1], s[0:1], -1
	v_add_nc_u64_e32 v[10:11], 8, v[10:11]
	s_cmp_eq_u64 s[0:1], 0
	v_add_nc_u64_e32 v[12:13], 8, v[12:13]
	v_mov_b64_e32 v[6:7], 0
	s_cselect_b32 s17, -1, 0
	s_and_not1_b32 s7, s7, exec_lo
	s_and_b32 s17, s17, exec_lo
	s_delay_alu instid0(SALU_CYCLE_1)
	s_or_b32 s7, s7, s17
	s_branch .LBB1655_58
.LBB1655_61:
	s_or_b32 exec_lo, exec_lo, s4
.LBB1655_62:
	s_delay_alu instid0(SALU_CYCLE_1) | instskip(NEXT) | instid1(SALU_CYCLE_1)
	s_or_b32 exec_lo, exec_lo, s5
	s_and_b32 vcc_lo, exec_lo, s3
	s_cbranch_vccz .LBB1655_81
.LBB1655_63:
	s_wait_dscnt 0x0
	v_dual_lshlrev_b32 v11, 1, v0 :: v_dual_lshlrev_b32 v10, 3, v0
	v_mov_b64_e32 v[8:9], v[4:5]
	s_mov_b32 s3, exec_lo
	v_mov_b64_e32 v[6:7], v[2:3]
	s_delay_alu instid0(VALU_DEP_3)
	v_or_b32_e32 v12, 1, v11
	ds_store_b64 v10, v[4:5]
	v_cmpx_gt_u32_e64 s10, v12
	s_cbranch_execz .LBB1655_72
; %bb.64:
	v_cmp_lt_i64_e64 s0, s[12:13], 1
	s_and_b32 vcc_lo, exec_lo, s0
	s_cbranch_vccnz .LBB1655_71
; %bb.65:
	v_mul_u64_e32 v[4:5], s[12:13], v[4:5]
	v_mul_u64_e32 v[6:7], s[12:13], v[2:3]
	s_wait_kmcnt 0x0
	s_mov_b32 s4, 0
	s_mov_b64 s[0:1], s[12:13]
                                        ; implicit-def: $sgpr5
	s_delay_alu instid0(VALU_DEP_2) | instskip(NEXT) | instid1(VALU_DEP_2)
	v_lshl_add_u64 v[4:5], v[4:5], 3, s[14:15]
	v_lshl_add_u64 v[6:7], v[6:7], 3, s[14:15]
	s_branch .LBB1655_67
.LBB1655_66:                            ;   in Loop: Header=BB1655_67 Depth=1
	s_or_b32 exec_lo, exec_lo, s7
	s_delay_alu instid0(SALU_CYCLE_1) | instskip(NEXT) | instid1(SALU_CYCLE_1)
	s_and_b32 s7, exec_lo, s5
	s_or_b32 s4, s7, s4
	s_delay_alu instid0(SALU_CYCLE_1)
	s_and_not1_b32 exec_lo, exec_lo, s4
	s_cbranch_execz .LBB1655_69
.LBB1655_67:                            ; =>This Inner Loop Header: Depth=1
	global_load_b64 v[8:9], v[4:5], off
	global_load_b64 v[12:13], v[6:7], off
	s_or_b32 s5, s5, exec_lo
	s_wait_loadcnt 0x0
	v_cmp_eq_u64_e32 vcc_lo, v[8:9], v[12:13]
	v_mov_b64_e32 v[8:9], 1
	s_and_saveexec_b32 s7, vcc_lo
	s_cbranch_execz .LBB1655_66
; %bb.68:                               ;   in Loop: Header=BB1655_67 Depth=1
	s_add_nc_u64 s[0:1], s[0:1], -1
	v_add_nc_u64_e32 v[4:5], 8, v[4:5]
	s_cmp_eq_u64 s[0:1], 0
	v_add_nc_u64_e32 v[6:7], 8, v[6:7]
	s_cselect_b32 s16, -1, 0
	s_and_not1_b32 s5, s5, exec_lo
	s_and_b32 s16, s16, exec_lo
	v_mov_b64_e32 v[8:9], 0
	s_or_b32 s5, s5, s16
	s_branch .LBB1655_66
.LBB1655_69:
	s_or_b32 exec_lo, exec_lo, s4
	s_branch .LBB1655_72
.LBB1655_70:
	v_mov_b64_e32 v[6:7], 0
	s_or_b32 exec_lo, exec_lo, s5
	s_delay_alu instid0(SALU_CYCLE_1)
	s_and_b32 vcc_lo, exec_lo, s3
	s_cbranch_vccnz .LBB1655_63
	s_branch .LBB1655_81
.LBB1655_71:
	v_mov_b64_e32 v[8:9], 0
.LBB1655_72:
	s_or_b32 exec_lo, exec_lo, s3
	v_cmp_ne_u32_e32 vcc_lo, 0, v0
	v_cmp_gt_u32_e64 s0, s10, v11
	s_wait_dscnt 0x0
	s_barrier_signal -1
	s_barrier_wait -1
	s_and_b32 s1, vcc_lo, s0
	s_delay_alu instid0(SALU_CYCLE_1)
	s_and_saveexec_b32 s0, s1
	s_cbranch_execz .LBB1655_80
; %bb.73:
	v_cmp_lt_i64_e64 s1, s[12:13], 1
	s_and_b32 vcc_lo, exec_lo, s1
	s_cbranch_vccnz .LBB1655_79
; %bb.74:
	v_add_nc_u32_e32 v4, -8, v10
	v_mul_u64_e32 v[2:3], s[12:13], v[2:3]
	s_mov_b32 s1, 0
                                        ; implicit-def: $sgpr3
	ds_load_b64 v[4:5], v4
	s_wait_dscnt 0x0
	v_mul_u64_e32 v[6:7], s[12:13], v[4:5]
	v_lshl_add_u64 v[4:5], v[2:3], 3, s[14:15]
	s_delay_alu instid0(VALU_DEP_2)
	v_lshl_add_u64 v[6:7], v[6:7], 3, s[14:15]
	s_branch .LBB1655_76
.LBB1655_75:                            ;   in Loop: Header=BB1655_76 Depth=1
	s_or_b32 exec_lo, exec_lo, s4
	s_delay_alu instid0(SALU_CYCLE_1) | instskip(NEXT) | instid1(SALU_CYCLE_1)
	s_and_b32 s4, exec_lo, s3
	s_or_b32 s1, s4, s1
	s_delay_alu instid0(SALU_CYCLE_1)
	s_and_not1_b32 exec_lo, exec_lo, s1
	s_cbranch_execz .LBB1655_78
.LBB1655_76:                            ; =>This Inner Loop Header: Depth=1
	global_load_b64 v[2:3], v[4:5], off
	global_load_b64 v[10:11], v[6:7], off
	s_or_b32 s3, s3, exec_lo
	s_wait_loadcnt 0x0
	v_cmp_eq_u64_e32 vcc_lo, v[2:3], v[10:11]
	v_mov_b64_e32 v[2:3], 1
	s_wait_kmcnt 0x0
	s_and_saveexec_b32 s4, vcc_lo
	s_cbranch_execz .LBB1655_75
; %bb.77:                               ;   in Loop: Header=BB1655_76 Depth=1
	s_add_nc_u64 s[12:13], s[12:13], -1
	v_add_nc_u64_e32 v[4:5], 8, v[4:5]
	s_cmp_eq_u64 s[12:13], 0
	v_add_nc_u64_e32 v[6:7], 8, v[6:7]
	v_mov_b64_e32 v[2:3], 0
	s_cselect_b32 s5, -1, 0
	s_and_not1_b32 s3, s3, exec_lo
	s_and_b32 s5, s5, exec_lo
	s_delay_alu instid0(SALU_CYCLE_1)
	s_or_b32 s3, s3, s5
	s_branch .LBB1655_75
.LBB1655_78:
	s_or_b32 exec_lo, exec_lo, s1
	s_branch .LBB1655_80
.LBB1655_79:
	v_mov_b64_e32 v[2:3], 0
.LBB1655_80:
	s_or_b32 exec_lo, exec_lo, s0
	s_delay_alu instid0(VALU_DEP_1)
	v_mov_b64_e32 v[6:7], v[2:3]
.LBB1655_81:
	s_add_nc_u64 s[0:1], s[8:9], s[20:21]
	s_and_b32 vcc_lo, exec_lo, s11
	s_wait_dscnt 0x0
	s_barrier_signal -1
	s_barrier_wait -1
	s_cbranch_vccz .LBB1655_85
; %bb.82:
	v_or_b32_e32 v10, 0x200, v0
	ds_store_2addr_b64 v1, v[6:7], v[8:9] offset1:1
	s_wait_dscnt 0x0
	s_barrier_signal -1
	s_barrier_wait -1
	v_dual_lshrrev_b32 v2, 2, v10 :: v_dual_lshlrev_b32 v4, 3, v0
	s_mov_b32 s3, 0
	s_lshl_b32 s8, s6, 10
	s_delay_alu instid0(VALU_DEP_1)
	v_and_b32_e32 v2, 0xf8, v2
	s_wait_kmcnt 0x0
	s_lshl_b64 s[4:5], s[2:3], 3
	v_mov_b32_e32 v5, 0
	s_add_nc_u64 s[6:7], s[0:1], s[4:5]
	s_sub_co_i32 s4, s10, s8
	v_add_nc_u32_e32 v2, v2, v4
	s_mov_b32 s5, exec_lo
	v_add_nc_u64_e32 v[4:5], s[6:7], v[4:5]
	ds_load_b64 v[2:3], v2 offset:4096
	v_cmpx_gt_u32_e64 s4, v0
	s_cbranch_execz .LBB1655_84
; %bb.83:
	v_lshrrev_b32_e32 v11, 2, v0
	s_delay_alu instid0(VALU_DEP_1) | instskip(NEXT) | instid1(VALU_DEP_1)
	v_and_b32_e32 v11, 0x78, v11
	v_lshl_add_u32 v11, v0, 3, v11
	ds_load_b64 v[12:13], v11
	s_wait_dscnt 0x0
	global_store_b64 v[4:5], v[12:13], off
.LBB1655_84:
	s_wait_xcnt 0x0
	s_or_b32 exec_lo, exec_lo, s5
	v_cmp_gt_u32_e64 s4, s4, v10
	s_and_b32 vcc_lo, exec_lo, s3
	s_cbranch_vccnz .LBB1655_86
	s_branch .LBB1655_87
.LBB1655_85:
	s_wait_kmcnt 0x0
	s_mov_b32 s4, 0
                                        ; implicit-def: $vgpr2_vgpr3
                                        ; implicit-def: $vgpr4_vgpr5
	s_cbranch_execz .LBB1655_87
.LBB1655_86:
	s_wait_dscnt 0x0
	v_or_b32_e32 v2, 0x200, v0
	v_dual_lshrrev_b32 v3, 2, v0 :: v_dual_lshlrev_b32 v4, 3, v0
	v_mov_b32_e32 v5, 0
	ds_store_2addr_b64 v1, v[6:7], v[8:9] offset1:1
	v_lshrrev_b32_e32 v2, 2, v2
	v_and_b32_e32 v3, 0x78, v3
	s_wait_storecnt_dscnt 0x0
	s_barrier_signal -1
	s_barrier_wait -1
	v_and_b32_e32 v2, 0xf8, v2
	v_add_nc_u32_e32 v1, v3, v4
	s_mov_b32 s3, 0
	s_or_b32 s4, s4, exec_lo
	s_delay_alu instid0(VALU_DEP_2) | instskip(SKIP_4) | instid1(SALU_CYCLE_1)
	v_add_nc_u32_e32 v2, v2, v4
	s_lshl_b64 s[2:3], s[2:3], 3
	ds_load_b64 v[6:7], v1
	ds_load_b64 v[2:3], v2 offset:4096
	s_add_nc_u64 s[0:1], s[0:1], s[2:3]
	v_add_nc_u64_e32 v[4:5], s[0:1], v[4:5]
	s_wait_dscnt 0x1
	global_store_b64 v0, v[6:7], s[0:1] scale_offset
.LBB1655_87:
	s_wait_xcnt 0x0
	s_and_saveexec_b32 s0, s4
	s_cbranch_execnz .LBB1655_89
; %bb.88:
	s_endpgm
.LBB1655_89:
	s_wait_dscnt 0x0
	global_store_b64 v[4:5], v[2:3], off offset:4096
	s_endpgm
	.section	.rodata,"a",@progbits
	.p2align	6, 0x0
	.amdhsa_kernel _ZN7rocprim17ROCPRIM_400000_NS6detail17trampoline_kernelINS0_14default_configENS1_35adjacent_difference_config_selectorILb1ElEEZNS1_24adjacent_difference_implIS3_Lb1ELb0EPlS7_ZN2at6native12_GLOBAL__N_124unique_dim_cuda_templateImEESt5tupleIJNS8_6TensorESD_SD_EERKSD_lbbbEUlllE1_EE10hipError_tPvRmT2_T3_mT4_P12ihipStream_tbEUlT_E_NS1_11comp_targetILNS1_3genE0ELNS1_11target_archE4294967295ELNS1_3gpuE0ELNS1_3repE0EEENS1_30default_config_static_selectorELNS0_4arch9wavefront6targetE0EEEvT1_
		.amdhsa_group_segment_fixed_size 8448
		.amdhsa_private_segment_fixed_size 0
		.amdhsa_kernarg_size 64
		.amdhsa_user_sgpr_count 2
		.amdhsa_user_sgpr_dispatch_ptr 0
		.amdhsa_user_sgpr_queue_ptr 0
		.amdhsa_user_sgpr_kernarg_segment_ptr 1
		.amdhsa_user_sgpr_dispatch_id 0
		.amdhsa_user_sgpr_kernarg_preload_length 0
		.amdhsa_user_sgpr_kernarg_preload_offset 0
		.amdhsa_user_sgpr_private_segment_size 0
		.amdhsa_wavefront_size32 1
		.amdhsa_uses_dynamic_stack 0
		.amdhsa_enable_private_segment 0
		.amdhsa_system_sgpr_workgroup_id_x 1
		.amdhsa_system_sgpr_workgroup_id_y 0
		.amdhsa_system_sgpr_workgroup_id_z 0
		.amdhsa_system_sgpr_workgroup_info 0
		.amdhsa_system_vgpr_workitem_id 0
		.amdhsa_next_free_vgpr 16
		.amdhsa_next_free_sgpr 29
		.amdhsa_named_barrier_count 0
		.amdhsa_reserve_vcc 1
		.amdhsa_float_round_mode_32 0
		.amdhsa_float_round_mode_16_64 0
		.amdhsa_float_denorm_mode_32 3
		.amdhsa_float_denorm_mode_16_64 3
		.amdhsa_fp16_overflow 0
		.amdhsa_memory_ordered 1
		.amdhsa_forward_progress 1
		.amdhsa_inst_pref_size 24
		.amdhsa_round_robin_scheduling 0
		.amdhsa_exception_fp_ieee_invalid_op 0
		.amdhsa_exception_fp_denorm_src 0
		.amdhsa_exception_fp_ieee_div_zero 0
		.amdhsa_exception_fp_ieee_overflow 0
		.amdhsa_exception_fp_ieee_underflow 0
		.amdhsa_exception_fp_ieee_inexact 0
		.amdhsa_exception_int_div_zero 0
	.end_amdhsa_kernel
	.section	.text._ZN7rocprim17ROCPRIM_400000_NS6detail17trampoline_kernelINS0_14default_configENS1_35adjacent_difference_config_selectorILb1ElEEZNS1_24adjacent_difference_implIS3_Lb1ELb0EPlS7_ZN2at6native12_GLOBAL__N_124unique_dim_cuda_templateImEESt5tupleIJNS8_6TensorESD_SD_EERKSD_lbbbEUlllE1_EE10hipError_tPvRmT2_T3_mT4_P12ihipStream_tbEUlT_E_NS1_11comp_targetILNS1_3genE0ELNS1_11target_archE4294967295ELNS1_3gpuE0ELNS1_3repE0EEENS1_30default_config_static_selectorELNS0_4arch9wavefront6targetE0EEEvT1_,"axG",@progbits,_ZN7rocprim17ROCPRIM_400000_NS6detail17trampoline_kernelINS0_14default_configENS1_35adjacent_difference_config_selectorILb1ElEEZNS1_24adjacent_difference_implIS3_Lb1ELb0EPlS7_ZN2at6native12_GLOBAL__N_124unique_dim_cuda_templateImEESt5tupleIJNS8_6TensorESD_SD_EERKSD_lbbbEUlllE1_EE10hipError_tPvRmT2_T3_mT4_P12ihipStream_tbEUlT_E_NS1_11comp_targetILNS1_3genE0ELNS1_11target_archE4294967295ELNS1_3gpuE0ELNS1_3repE0EEENS1_30default_config_static_selectorELNS0_4arch9wavefront6targetE0EEEvT1_,comdat
.Lfunc_end1655:
	.size	_ZN7rocprim17ROCPRIM_400000_NS6detail17trampoline_kernelINS0_14default_configENS1_35adjacent_difference_config_selectorILb1ElEEZNS1_24adjacent_difference_implIS3_Lb1ELb0EPlS7_ZN2at6native12_GLOBAL__N_124unique_dim_cuda_templateImEESt5tupleIJNS8_6TensorESD_SD_EERKSD_lbbbEUlllE1_EE10hipError_tPvRmT2_T3_mT4_P12ihipStream_tbEUlT_E_NS1_11comp_targetILNS1_3genE0ELNS1_11target_archE4294967295ELNS1_3gpuE0ELNS1_3repE0EEENS1_30default_config_static_selectorELNS0_4arch9wavefront6targetE0EEEvT1_, .Lfunc_end1655-_ZN7rocprim17ROCPRIM_400000_NS6detail17trampoline_kernelINS0_14default_configENS1_35adjacent_difference_config_selectorILb1ElEEZNS1_24adjacent_difference_implIS3_Lb1ELb0EPlS7_ZN2at6native12_GLOBAL__N_124unique_dim_cuda_templateImEESt5tupleIJNS8_6TensorESD_SD_EERKSD_lbbbEUlllE1_EE10hipError_tPvRmT2_T3_mT4_P12ihipStream_tbEUlT_E_NS1_11comp_targetILNS1_3genE0ELNS1_11target_archE4294967295ELNS1_3gpuE0ELNS1_3repE0EEENS1_30default_config_static_selectorELNS0_4arch9wavefront6targetE0EEEvT1_
                                        ; -- End function
	.set _ZN7rocprim17ROCPRIM_400000_NS6detail17trampoline_kernelINS0_14default_configENS1_35adjacent_difference_config_selectorILb1ElEEZNS1_24adjacent_difference_implIS3_Lb1ELb0EPlS7_ZN2at6native12_GLOBAL__N_124unique_dim_cuda_templateImEESt5tupleIJNS8_6TensorESD_SD_EERKSD_lbbbEUlllE1_EE10hipError_tPvRmT2_T3_mT4_P12ihipStream_tbEUlT_E_NS1_11comp_targetILNS1_3genE0ELNS1_11target_archE4294967295ELNS1_3gpuE0ELNS1_3repE0EEENS1_30default_config_static_selectorELNS0_4arch9wavefront6targetE0EEEvT1_.num_vgpr, 16
	.set _ZN7rocprim17ROCPRIM_400000_NS6detail17trampoline_kernelINS0_14default_configENS1_35adjacent_difference_config_selectorILb1ElEEZNS1_24adjacent_difference_implIS3_Lb1ELb0EPlS7_ZN2at6native12_GLOBAL__N_124unique_dim_cuda_templateImEESt5tupleIJNS8_6TensorESD_SD_EERKSD_lbbbEUlllE1_EE10hipError_tPvRmT2_T3_mT4_P12ihipStream_tbEUlT_E_NS1_11comp_targetILNS1_3genE0ELNS1_11target_archE4294967295ELNS1_3gpuE0ELNS1_3repE0EEENS1_30default_config_static_selectorELNS0_4arch9wavefront6targetE0EEEvT1_.num_agpr, 0
	.set _ZN7rocprim17ROCPRIM_400000_NS6detail17trampoline_kernelINS0_14default_configENS1_35adjacent_difference_config_selectorILb1ElEEZNS1_24adjacent_difference_implIS3_Lb1ELb0EPlS7_ZN2at6native12_GLOBAL__N_124unique_dim_cuda_templateImEESt5tupleIJNS8_6TensorESD_SD_EERKSD_lbbbEUlllE1_EE10hipError_tPvRmT2_T3_mT4_P12ihipStream_tbEUlT_E_NS1_11comp_targetILNS1_3genE0ELNS1_11target_archE4294967295ELNS1_3gpuE0ELNS1_3repE0EEENS1_30default_config_static_selectorELNS0_4arch9wavefront6targetE0EEEvT1_.numbered_sgpr, 29
	.set _ZN7rocprim17ROCPRIM_400000_NS6detail17trampoline_kernelINS0_14default_configENS1_35adjacent_difference_config_selectorILb1ElEEZNS1_24adjacent_difference_implIS3_Lb1ELb0EPlS7_ZN2at6native12_GLOBAL__N_124unique_dim_cuda_templateImEESt5tupleIJNS8_6TensorESD_SD_EERKSD_lbbbEUlllE1_EE10hipError_tPvRmT2_T3_mT4_P12ihipStream_tbEUlT_E_NS1_11comp_targetILNS1_3genE0ELNS1_11target_archE4294967295ELNS1_3gpuE0ELNS1_3repE0EEENS1_30default_config_static_selectorELNS0_4arch9wavefront6targetE0EEEvT1_.num_named_barrier, 0
	.set _ZN7rocprim17ROCPRIM_400000_NS6detail17trampoline_kernelINS0_14default_configENS1_35adjacent_difference_config_selectorILb1ElEEZNS1_24adjacent_difference_implIS3_Lb1ELb0EPlS7_ZN2at6native12_GLOBAL__N_124unique_dim_cuda_templateImEESt5tupleIJNS8_6TensorESD_SD_EERKSD_lbbbEUlllE1_EE10hipError_tPvRmT2_T3_mT4_P12ihipStream_tbEUlT_E_NS1_11comp_targetILNS1_3genE0ELNS1_11target_archE4294967295ELNS1_3gpuE0ELNS1_3repE0EEENS1_30default_config_static_selectorELNS0_4arch9wavefront6targetE0EEEvT1_.private_seg_size, 0
	.set _ZN7rocprim17ROCPRIM_400000_NS6detail17trampoline_kernelINS0_14default_configENS1_35adjacent_difference_config_selectorILb1ElEEZNS1_24adjacent_difference_implIS3_Lb1ELb0EPlS7_ZN2at6native12_GLOBAL__N_124unique_dim_cuda_templateImEESt5tupleIJNS8_6TensorESD_SD_EERKSD_lbbbEUlllE1_EE10hipError_tPvRmT2_T3_mT4_P12ihipStream_tbEUlT_E_NS1_11comp_targetILNS1_3genE0ELNS1_11target_archE4294967295ELNS1_3gpuE0ELNS1_3repE0EEENS1_30default_config_static_selectorELNS0_4arch9wavefront6targetE0EEEvT1_.uses_vcc, 1
	.set _ZN7rocprim17ROCPRIM_400000_NS6detail17trampoline_kernelINS0_14default_configENS1_35adjacent_difference_config_selectorILb1ElEEZNS1_24adjacent_difference_implIS3_Lb1ELb0EPlS7_ZN2at6native12_GLOBAL__N_124unique_dim_cuda_templateImEESt5tupleIJNS8_6TensorESD_SD_EERKSD_lbbbEUlllE1_EE10hipError_tPvRmT2_T3_mT4_P12ihipStream_tbEUlT_E_NS1_11comp_targetILNS1_3genE0ELNS1_11target_archE4294967295ELNS1_3gpuE0ELNS1_3repE0EEENS1_30default_config_static_selectorELNS0_4arch9wavefront6targetE0EEEvT1_.uses_flat_scratch, 0
	.set _ZN7rocprim17ROCPRIM_400000_NS6detail17trampoline_kernelINS0_14default_configENS1_35adjacent_difference_config_selectorILb1ElEEZNS1_24adjacent_difference_implIS3_Lb1ELb0EPlS7_ZN2at6native12_GLOBAL__N_124unique_dim_cuda_templateImEESt5tupleIJNS8_6TensorESD_SD_EERKSD_lbbbEUlllE1_EE10hipError_tPvRmT2_T3_mT4_P12ihipStream_tbEUlT_E_NS1_11comp_targetILNS1_3genE0ELNS1_11target_archE4294967295ELNS1_3gpuE0ELNS1_3repE0EEENS1_30default_config_static_selectorELNS0_4arch9wavefront6targetE0EEEvT1_.has_dyn_sized_stack, 0
	.set _ZN7rocprim17ROCPRIM_400000_NS6detail17trampoline_kernelINS0_14default_configENS1_35adjacent_difference_config_selectorILb1ElEEZNS1_24adjacent_difference_implIS3_Lb1ELb0EPlS7_ZN2at6native12_GLOBAL__N_124unique_dim_cuda_templateImEESt5tupleIJNS8_6TensorESD_SD_EERKSD_lbbbEUlllE1_EE10hipError_tPvRmT2_T3_mT4_P12ihipStream_tbEUlT_E_NS1_11comp_targetILNS1_3genE0ELNS1_11target_archE4294967295ELNS1_3gpuE0ELNS1_3repE0EEENS1_30default_config_static_selectorELNS0_4arch9wavefront6targetE0EEEvT1_.has_recursion, 0
	.set _ZN7rocprim17ROCPRIM_400000_NS6detail17trampoline_kernelINS0_14default_configENS1_35adjacent_difference_config_selectorILb1ElEEZNS1_24adjacent_difference_implIS3_Lb1ELb0EPlS7_ZN2at6native12_GLOBAL__N_124unique_dim_cuda_templateImEESt5tupleIJNS8_6TensorESD_SD_EERKSD_lbbbEUlllE1_EE10hipError_tPvRmT2_T3_mT4_P12ihipStream_tbEUlT_E_NS1_11comp_targetILNS1_3genE0ELNS1_11target_archE4294967295ELNS1_3gpuE0ELNS1_3repE0EEENS1_30default_config_static_selectorELNS0_4arch9wavefront6targetE0EEEvT1_.has_indirect_call, 0
	.section	.AMDGPU.csdata,"",@progbits
; Kernel info:
; codeLenInByte = 2948
; TotalNumSgprs: 31
; NumVgprs: 16
; ScratchSize: 0
; MemoryBound: 0
; FloatMode: 240
; IeeeMode: 1
; LDSByteSize: 8448 bytes/workgroup (compile time only)
; SGPRBlocks: 0
; VGPRBlocks: 0
; NumSGPRsForWavesPerEU: 31
; NumVGPRsForWavesPerEU: 16
; NamedBarCnt: 0
; Occupancy: 16
; WaveLimiterHint : 1
; COMPUTE_PGM_RSRC2:SCRATCH_EN: 0
; COMPUTE_PGM_RSRC2:USER_SGPR: 2
; COMPUTE_PGM_RSRC2:TRAP_HANDLER: 0
; COMPUTE_PGM_RSRC2:TGID_X_EN: 1
; COMPUTE_PGM_RSRC2:TGID_Y_EN: 0
; COMPUTE_PGM_RSRC2:TGID_Z_EN: 0
; COMPUTE_PGM_RSRC2:TIDIG_COMP_CNT: 0
	.section	.text._ZN7rocprim17ROCPRIM_400000_NS6detail17trampoline_kernelINS0_14default_configENS1_35adjacent_difference_config_selectorILb1ElEEZNS1_24adjacent_difference_implIS3_Lb1ELb0EPlS7_ZN2at6native12_GLOBAL__N_124unique_dim_cuda_templateImEESt5tupleIJNS8_6TensorESD_SD_EERKSD_lbbbEUlllE1_EE10hipError_tPvRmT2_T3_mT4_P12ihipStream_tbEUlT_E_NS1_11comp_targetILNS1_3genE10ELNS1_11target_archE1201ELNS1_3gpuE5ELNS1_3repE0EEENS1_30default_config_static_selectorELNS0_4arch9wavefront6targetE0EEEvT1_,"axG",@progbits,_ZN7rocprim17ROCPRIM_400000_NS6detail17trampoline_kernelINS0_14default_configENS1_35adjacent_difference_config_selectorILb1ElEEZNS1_24adjacent_difference_implIS3_Lb1ELb0EPlS7_ZN2at6native12_GLOBAL__N_124unique_dim_cuda_templateImEESt5tupleIJNS8_6TensorESD_SD_EERKSD_lbbbEUlllE1_EE10hipError_tPvRmT2_T3_mT4_P12ihipStream_tbEUlT_E_NS1_11comp_targetILNS1_3genE10ELNS1_11target_archE1201ELNS1_3gpuE5ELNS1_3repE0EEENS1_30default_config_static_selectorELNS0_4arch9wavefront6targetE0EEEvT1_,comdat
	.globl	_ZN7rocprim17ROCPRIM_400000_NS6detail17trampoline_kernelINS0_14default_configENS1_35adjacent_difference_config_selectorILb1ElEEZNS1_24adjacent_difference_implIS3_Lb1ELb0EPlS7_ZN2at6native12_GLOBAL__N_124unique_dim_cuda_templateImEESt5tupleIJNS8_6TensorESD_SD_EERKSD_lbbbEUlllE1_EE10hipError_tPvRmT2_T3_mT4_P12ihipStream_tbEUlT_E_NS1_11comp_targetILNS1_3genE10ELNS1_11target_archE1201ELNS1_3gpuE5ELNS1_3repE0EEENS1_30default_config_static_selectorELNS0_4arch9wavefront6targetE0EEEvT1_ ; -- Begin function _ZN7rocprim17ROCPRIM_400000_NS6detail17trampoline_kernelINS0_14default_configENS1_35adjacent_difference_config_selectorILb1ElEEZNS1_24adjacent_difference_implIS3_Lb1ELb0EPlS7_ZN2at6native12_GLOBAL__N_124unique_dim_cuda_templateImEESt5tupleIJNS8_6TensorESD_SD_EERKSD_lbbbEUlllE1_EE10hipError_tPvRmT2_T3_mT4_P12ihipStream_tbEUlT_E_NS1_11comp_targetILNS1_3genE10ELNS1_11target_archE1201ELNS1_3gpuE5ELNS1_3repE0EEENS1_30default_config_static_selectorELNS0_4arch9wavefront6targetE0EEEvT1_
	.p2align	8
	.type	_ZN7rocprim17ROCPRIM_400000_NS6detail17trampoline_kernelINS0_14default_configENS1_35adjacent_difference_config_selectorILb1ElEEZNS1_24adjacent_difference_implIS3_Lb1ELb0EPlS7_ZN2at6native12_GLOBAL__N_124unique_dim_cuda_templateImEESt5tupleIJNS8_6TensorESD_SD_EERKSD_lbbbEUlllE1_EE10hipError_tPvRmT2_T3_mT4_P12ihipStream_tbEUlT_E_NS1_11comp_targetILNS1_3genE10ELNS1_11target_archE1201ELNS1_3gpuE5ELNS1_3repE0EEENS1_30default_config_static_selectorELNS0_4arch9wavefront6targetE0EEEvT1_,@function
_ZN7rocprim17ROCPRIM_400000_NS6detail17trampoline_kernelINS0_14default_configENS1_35adjacent_difference_config_selectorILb1ElEEZNS1_24adjacent_difference_implIS3_Lb1ELb0EPlS7_ZN2at6native12_GLOBAL__N_124unique_dim_cuda_templateImEESt5tupleIJNS8_6TensorESD_SD_EERKSD_lbbbEUlllE1_EE10hipError_tPvRmT2_T3_mT4_P12ihipStream_tbEUlT_E_NS1_11comp_targetILNS1_3genE10ELNS1_11target_archE1201ELNS1_3gpuE5ELNS1_3repE0EEENS1_30default_config_static_selectorELNS0_4arch9wavefront6targetE0EEEvT1_: ; @_ZN7rocprim17ROCPRIM_400000_NS6detail17trampoline_kernelINS0_14default_configENS1_35adjacent_difference_config_selectorILb1ElEEZNS1_24adjacent_difference_implIS3_Lb1ELb0EPlS7_ZN2at6native12_GLOBAL__N_124unique_dim_cuda_templateImEESt5tupleIJNS8_6TensorESD_SD_EERKSD_lbbbEUlllE1_EE10hipError_tPvRmT2_T3_mT4_P12ihipStream_tbEUlT_E_NS1_11comp_targetILNS1_3genE10ELNS1_11target_archE1201ELNS1_3gpuE5ELNS1_3repE0EEENS1_30default_config_static_selectorELNS0_4arch9wavefront6targetE0EEEvT1_
; %bb.0:
	.section	.rodata,"a",@progbits
	.p2align	6, 0x0
	.amdhsa_kernel _ZN7rocprim17ROCPRIM_400000_NS6detail17trampoline_kernelINS0_14default_configENS1_35adjacent_difference_config_selectorILb1ElEEZNS1_24adjacent_difference_implIS3_Lb1ELb0EPlS7_ZN2at6native12_GLOBAL__N_124unique_dim_cuda_templateImEESt5tupleIJNS8_6TensorESD_SD_EERKSD_lbbbEUlllE1_EE10hipError_tPvRmT2_T3_mT4_P12ihipStream_tbEUlT_E_NS1_11comp_targetILNS1_3genE10ELNS1_11target_archE1201ELNS1_3gpuE5ELNS1_3repE0EEENS1_30default_config_static_selectorELNS0_4arch9wavefront6targetE0EEEvT1_
		.amdhsa_group_segment_fixed_size 0
		.amdhsa_private_segment_fixed_size 0
		.amdhsa_kernarg_size 64
		.amdhsa_user_sgpr_count 2
		.amdhsa_user_sgpr_dispatch_ptr 0
		.amdhsa_user_sgpr_queue_ptr 0
		.amdhsa_user_sgpr_kernarg_segment_ptr 1
		.amdhsa_user_sgpr_dispatch_id 0
		.amdhsa_user_sgpr_kernarg_preload_length 0
		.amdhsa_user_sgpr_kernarg_preload_offset 0
		.amdhsa_user_sgpr_private_segment_size 0
		.amdhsa_wavefront_size32 1
		.amdhsa_uses_dynamic_stack 0
		.amdhsa_enable_private_segment 0
		.amdhsa_system_sgpr_workgroup_id_x 1
		.amdhsa_system_sgpr_workgroup_id_y 0
		.amdhsa_system_sgpr_workgroup_id_z 0
		.amdhsa_system_sgpr_workgroup_info 0
		.amdhsa_system_vgpr_workitem_id 0
		.amdhsa_next_free_vgpr 1
		.amdhsa_next_free_sgpr 1
		.amdhsa_named_barrier_count 0
		.amdhsa_reserve_vcc 0
		.amdhsa_float_round_mode_32 0
		.amdhsa_float_round_mode_16_64 0
		.amdhsa_float_denorm_mode_32 3
		.amdhsa_float_denorm_mode_16_64 3
		.amdhsa_fp16_overflow 0
		.amdhsa_memory_ordered 1
		.amdhsa_forward_progress 1
		.amdhsa_inst_pref_size 0
		.amdhsa_round_robin_scheduling 0
		.amdhsa_exception_fp_ieee_invalid_op 0
		.amdhsa_exception_fp_denorm_src 0
		.amdhsa_exception_fp_ieee_div_zero 0
		.amdhsa_exception_fp_ieee_overflow 0
		.amdhsa_exception_fp_ieee_underflow 0
		.amdhsa_exception_fp_ieee_inexact 0
		.amdhsa_exception_int_div_zero 0
	.end_amdhsa_kernel
	.section	.text._ZN7rocprim17ROCPRIM_400000_NS6detail17trampoline_kernelINS0_14default_configENS1_35adjacent_difference_config_selectorILb1ElEEZNS1_24adjacent_difference_implIS3_Lb1ELb0EPlS7_ZN2at6native12_GLOBAL__N_124unique_dim_cuda_templateImEESt5tupleIJNS8_6TensorESD_SD_EERKSD_lbbbEUlllE1_EE10hipError_tPvRmT2_T3_mT4_P12ihipStream_tbEUlT_E_NS1_11comp_targetILNS1_3genE10ELNS1_11target_archE1201ELNS1_3gpuE5ELNS1_3repE0EEENS1_30default_config_static_selectorELNS0_4arch9wavefront6targetE0EEEvT1_,"axG",@progbits,_ZN7rocprim17ROCPRIM_400000_NS6detail17trampoline_kernelINS0_14default_configENS1_35adjacent_difference_config_selectorILb1ElEEZNS1_24adjacent_difference_implIS3_Lb1ELb0EPlS7_ZN2at6native12_GLOBAL__N_124unique_dim_cuda_templateImEESt5tupleIJNS8_6TensorESD_SD_EERKSD_lbbbEUlllE1_EE10hipError_tPvRmT2_T3_mT4_P12ihipStream_tbEUlT_E_NS1_11comp_targetILNS1_3genE10ELNS1_11target_archE1201ELNS1_3gpuE5ELNS1_3repE0EEENS1_30default_config_static_selectorELNS0_4arch9wavefront6targetE0EEEvT1_,comdat
.Lfunc_end1656:
	.size	_ZN7rocprim17ROCPRIM_400000_NS6detail17trampoline_kernelINS0_14default_configENS1_35adjacent_difference_config_selectorILb1ElEEZNS1_24adjacent_difference_implIS3_Lb1ELb0EPlS7_ZN2at6native12_GLOBAL__N_124unique_dim_cuda_templateImEESt5tupleIJNS8_6TensorESD_SD_EERKSD_lbbbEUlllE1_EE10hipError_tPvRmT2_T3_mT4_P12ihipStream_tbEUlT_E_NS1_11comp_targetILNS1_3genE10ELNS1_11target_archE1201ELNS1_3gpuE5ELNS1_3repE0EEENS1_30default_config_static_selectorELNS0_4arch9wavefront6targetE0EEEvT1_, .Lfunc_end1656-_ZN7rocprim17ROCPRIM_400000_NS6detail17trampoline_kernelINS0_14default_configENS1_35adjacent_difference_config_selectorILb1ElEEZNS1_24adjacent_difference_implIS3_Lb1ELb0EPlS7_ZN2at6native12_GLOBAL__N_124unique_dim_cuda_templateImEESt5tupleIJNS8_6TensorESD_SD_EERKSD_lbbbEUlllE1_EE10hipError_tPvRmT2_T3_mT4_P12ihipStream_tbEUlT_E_NS1_11comp_targetILNS1_3genE10ELNS1_11target_archE1201ELNS1_3gpuE5ELNS1_3repE0EEENS1_30default_config_static_selectorELNS0_4arch9wavefront6targetE0EEEvT1_
                                        ; -- End function
	.set _ZN7rocprim17ROCPRIM_400000_NS6detail17trampoline_kernelINS0_14default_configENS1_35adjacent_difference_config_selectorILb1ElEEZNS1_24adjacent_difference_implIS3_Lb1ELb0EPlS7_ZN2at6native12_GLOBAL__N_124unique_dim_cuda_templateImEESt5tupleIJNS8_6TensorESD_SD_EERKSD_lbbbEUlllE1_EE10hipError_tPvRmT2_T3_mT4_P12ihipStream_tbEUlT_E_NS1_11comp_targetILNS1_3genE10ELNS1_11target_archE1201ELNS1_3gpuE5ELNS1_3repE0EEENS1_30default_config_static_selectorELNS0_4arch9wavefront6targetE0EEEvT1_.num_vgpr, 0
	.set _ZN7rocprim17ROCPRIM_400000_NS6detail17trampoline_kernelINS0_14default_configENS1_35adjacent_difference_config_selectorILb1ElEEZNS1_24adjacent_difference_implIS3_Lb1ELb0EPlS7_ZN2at6native12_GLOBAL__N_124unique_dim_cuda_templateImEESt5tupleIJNS8_6TensorESD_SD_EERKSD_lbbbEUlllE1_EE10hipError_tPvRmT2_T3_mT4_P12ihipStream_tbEUlT_E_NS1_11comp_targetILNS1_3genE10ELNS1_11target_archE1201ELNS1_3gpuE5ELNS1_3repE0EEENS1_30default_config_static_selectorELNS0_4arch9wavefront6targetE0EEEvT1_.num_agpr, 0
	.set _ZN7rocprim17ROCPRIM_400000_NS6detail17trampoline_kernelINS0_14default_configENS1_35adjacent_difference_config_selectorILb1ElEEZNS1_24adjacent_difference_implIS3_Lb1ELb0EPlS7_ZN2at6native12_GLOBAL__N_124unique_dim_cuda_templateImEESt5tupleIJNS8_6TensorESD_SD_EERKSD_lbbbEUlllE1_EE10hipError_tPvRmT2_T3_mT4_P12ihipStream_tbEUlT_E_NS1_11comp_targetILNS1_3genE10ELNS1_11target_archE1201ELNS1_3gpuE5ELNS1_3repE0EEENS1_30default_config_static_selectorELNS0_4arch9wavefront6targetE0EEEvT1_.numbered_sgpr, 0
	.set _ZN7rocprim17ROCPRIM_400000_NS6detail17trampoline_kernelINS0_14default_configENS1_35adjacent_difference_config_selectorILb1ElEEZNS1_24adjacent_difference_implIS3_Lb1ELb0EPlS7_ZN2at6native12_GLOBAL__N_124unique_dim_cuda_templateImEESt5tupleIJNS8_6TensorESD_SD_EERKSD_lbbbEUlllE1_EE10hipError_tPvRmT2_T3_mT4_P12ihipStream_tbEUlT_E_NS1_11comp_targetILNS1_3genE10ELNS1_11target_archE1201ELNS1_3gpuE5ELNS1_3repE0EEENS1_30default_config_static_selectorELNS0_4arch9wavefront6targetE0EEEvT1_.num_named_barrier, 0
	.set _ZN7rocprim17ROCPRIM_400000_NS6detail17trampoline_kernelINS0_14default_configENS1_35adjacent_difference_config_selectorILb1ElEEZNS1_24adjacent_difference_implIS3_Lb1ELb0EPlS7_ZN2at6native12_GLOBAL__N_124unique_dim_cuda_templateImEESt5tupleIJNS8_6TensorESD_SD_EERKSD_lbbbEUlllE1_EE10hipError_tPvRmT2_T3_mT4_P12ihipStream_tbEUlT_E_NS1_11comp_targetILNS1_3genE10ELNS1_11target_archE1201ELNS1_3gpuE5ELNS1_3repE0EEENS1_30default_config_static_selectorELNS0_4arch9wavefront6targetE0EEEvT1_.private_seg_size, 0
	.set _ZN7rocprim17ROCPRIM_400000_NS6detail17trampoline_kernelINS0_14default_configENS1_35adjacent_difference_config_selectorILb1ElEEZNS1_24adjacent_difference_implIS3_Lb1ELb0EPlS7_ZN2at6native12_GLOBAL__N_124unique_dim_cuda_templateImEESt5tupleIJNS8_6TensorESD_SD_EERKSD_lbbbEUlllE1_EE10hipError_tPvRmT2_T3_mT4_P12ihipStream_tbEUlT_E_NS1_11comp_targetILNS1_3genE10ELNS1_11target_archE1201ELNS1_3gpuE5ELNS1_3repE0EEENS1_30default_config_static_selectorELNS0_4arch9wavefront6targetE0EEEvT1_.uses_vcc, 0
	.set _ZN7rocprim17ROCPRIM_400000_NS6detail17trampoline_kernelINS0_14default_configENS1_35adjacent_difference_config_selectorILb1ElEEZNS1_24adjacent_difference_implIS3_Lb1ELb0EPlS7_ZN2at6native12_GLOBAL__N_124unique_dim_cuda_templateImEESt5tupleIJNS8_6TensorESD_SD_EERKSD_lbbbEUlllE1_EE10hipError_tPvRmT2_T3_mT4_P12ihipStream_tbEUlT_E_NS1_11comp_targetILNS1_3genE10ELNS1_11target_archE1201ELNS1_3gpuE5ELNS1_3repE0EEENS1_30default_config_static_selectorELNS0_4arch9wavefront6targetE0EEEvT1_.uses_flat_scratch, 0
	.set _ZN7rocprim17ROCPRIM_400000_NS6detail17trampoline_kernelINS0_14default_configENS1_35adjacent_difference_config_selectorILb1ElEEZNS1_24adjacent_difference_implIS3_Lb1ELb0EPlS7_ZN2at6native12_GLOBAL__N_124unique_dim_cuda_templateImEESt5tupleIJNS8_6TensorESD_SD_EERKSD_lbbbEUlllE1_EE10hipError_tPvRmT2_T3_mT4_P12ihipStream_tbEUlT_E_NS1_11comp_targetILNS1_3genE10ELNS1_11target_archE1201ELNS1_3gpuE5ELNS1_3repE0EEENS1_30default_config_static_selectorELNS0_4arch9wavefront6targetE0EEEvT1_.has_dyn_sized_stack, 0
	.set _ZN7rocprim17ROCPRIM_400000_NS6detail17trampoline_kernelINS0_14default_configENS1_35adjacent_difference_config_selectorILb1ElEEZNS1_24adjacent_difference_implIS3_Lb1ELb0EPlS7_ZN2at6native12_GLOBAL__N_124unique_dim_cuda_templateImEESt5tupleIJNS8_6TensorESD_SD_EERKSD_lbbbEUlllE1_EE10hipError_tPvRmT2_T3_mT4_P12ihipStream_tbEUlT_E_NS1_11comp_targetILNS1_3genE10ELNS1_11target_archE1201ELNS1_3gpuE5ELNS1_3repE0EEENS1_30default_config_static_selectorELNS0_4arch9wavefront6targetE0EEEvT1_.has_recursion, 0
	.set _ZN7rocprim17ROCPRIM_400000_NS6detail17trampoline_kernelINS0_14default_configENS1_35adjacent_difference_config_selectorILb1ElEEZNS1_24adjacent_difference_implIS3_Lb1ELb0EPlS7_ZN2at6native12_GLOBAL__N_124unique_dim_cuda_templateImEESt5tupleIJNS8_6TensorESD_SD_EERKSD_lbbbEUlllE1_EE10hipError_tPvRmT2_T3_mT4_P12ihipStream_tbEUlT_E_NS1_11comp_targetILNS1_3genE10ELNS1_11target_archE1201ELNS1_3gpuE5ELNS1_3repE0EEENS1_30default_config_static_selectorELNS0_4arch9wavefront6targetE0EEEvT1_.has_indirect_call, 0
	.section	.AMDGPU.csdata,"",@progbits
; Kernel info:
; codeLenInByte = 0
; TotalNumSgprs: 0
; NumVgprs: 0
; ScratchSize: 0
; MemoryBound: 0
; FloatMode: 240
; IeeeMode: 1
; LDSByteSize: 0 bytes/workgroup (compile time only)
; SGPRBlocks: 0
; VGPRBlocks: 0
; NumSGPRsForWavesPerEU: 1
; NumVGPRsForWavesPerEU: 1
; NamedBarCnt: 0
; Occupancy: 16
; WaveLimiterHint : 0
; COMPUTE_PGM_RSRC2:SCRATCH_EN: 0
; COMPUTE_PGM_RSRC2:USER_SGPR: 2
; COMPUTE_PGM_RSRC2:TRAP_HANDLER: 0
; COMPUTE_PGM_RSRC2:TGID_X_EN: 1
; COMPUTE_PGM_RSRC2:TGID_Y_EN: 0
; COMPUTE_PGM_RSRC2:TGID_Z_EN: 0
; COMPUTE_PGM_RSRC2:TIDIG_COMP_CNT: 0
	.section	.text._ZN7rocprim17ROCPRIM_400000_NS6detail17trampoline_kernelINS0_14default_configENS1_35adjacent_difference_config_selectorILb1ElEEZNS1_24adjacent_difference_implIS3_Lb1ELb0EPlS7_ZN2at6native12_GLOBAL__N_124unique_dim_cuda_templateImEESt5tupleIJNS8_6TensorESD_SD_EERKSD_lbbbEUlllE1_EE10hipError_tPvRmT2_T3_mT4_P12ihipStream_tbEUlT_E_NS1_11comp_targetILNS1_3genE5ELNS1_11target_archE942ELNS1_3gpuE9ELNS1_3repE0EEENS1_30default_config_static_selectorELNS0_4arch9wavefront6targetE0EEEvT1_,"axG",@progbits,_ZN7rocprim17ROCPRIM_400000_NS6detail17trampoline_kernelINS0_14default_configENS1_35adjacent_difference_config_selectorILb1ElEEZNS1_24adjacent_difference_implIS3_Lb1ELb0EPlS7_ZN2at6native12_GLOBAL__N_124unique_dim_cuda_templateImEESt5tupleIJNS8_6TensorESD_SD_EERKSD_lbbbEUlllE1_EE10hipError_tPvRmT2_T3_mT4_P12ihipStream_tbEUlT_E_NS1_11comp_targetILNS1_3genE5ELNS1_11target_archE942ELNS1_3gpuE9ELNS1_3repE0EEENS1_30default_config_static_selectorELNS0_4arch9wavefront6targetE0EEEvT1_,comdat
	.globl	_ZN7rocprim17ROCPRIM_400000_NS6detail17trampoline_kernelINS0_14default_configENS1_35adjacent_difference_config_selectorILb1ElEEZNS1_24adjacent_difference_implIS3_Lb1ELb0EPlS7_ZN2at6native12_GLOBAL__N_124unique_dim_cuda_templateImEESt5tupleIJNS8_6TensorESD_SD_EERKSD_lbbbEUlllE1_EE10hipError_tPvRmT2_T3_mT4_P12ihipStream_tbEUlT_E_NS1_11comp_targetILNS1_3genE5ELNS1_11target_archE942ELNS1_3gpuE9ELNS1_3repE0EEENS1_30default_config_static_selectorELNS0_4arch9wavefront6targetE0EEEvT1_ ; -- Begin function _ZN7rocprim17ROCPRIM_400000_NS6detail17trampoline_kernelINS0_14default_configENS1_35adjacent_difference_config_selectorILb1ElEEZNS1_24adjacent_difference_implIS3_Lb1ELb0EPlS7_ZN2at6native12_GLOBAL__N_124unique_dim_cuda_templateImEESt5tupleIJNS8_6TensorESD_SD_EERKSD_lbbbEUlllE1_EE10hipError_tPvRmT2_T3_mT4_P12ihipStream_tbEUlT_E_NS1_11comp_targetILNS1_3genE5ELNS1_11target_archE942ELNS1_3gpuE9ELNS1_3repE0EEENS1_30default_config_static_selectorELNS0_4arch9wavefront6targetE0EEEvT1_
	.p2align	8
	.type	_ZN7rocprim17ROCPRIM_400000_NS6detail17trampoline_kernelINS0_14default_configENS1_35adjacent_difference_config_selectorILb1ElEEZNS1_24adjacent_difference_implIS3_Lb1ELb0EPlS7_ZN2at6native12_GLOBAL__N_124unique_dim_cuda_templateImEESt5tupleIJNS8_6TensorESD_SD_EERKSD_lbbbEUlllE1_EE10hipError_tPvRmT2_T3_mT4_P12ihipStream_tbEUlT_E_NS1_11comp_targetILNS1_3genE5ELNS1_11target_archE942ELNS1_3gpuE9ELNS1_3repE0EEENS1_30default_config_static_selectorELNS0_4arch9wavefront6targetE0EEEvT1_,@function
_ZN7rocprim17ROCPRIM_400000_NS6detail17trampoline_kernelINS0_14default_configENS1_35adjacent_difference_config_selectorILb1ElEEZNS1_24adjacent_difference_implIS3_Lb1ELb0EPlS7_ZN2at6native12_GLOBAL__N_124unique_dim_cuda_templateImEESt5tupleIJNS8_6TensorESD_SD_EERKSD_lbbbEUlllE1_EE10hipError_tPvRmT2_T3_mT4_P12ihipStream_tbEUlT_E_NS1_11comp_targetILNS1_3genE5ELNS1_11target_archE942ELNS1_3gpuE9ELNS1_3repE0EEENS1_30default_config_static_selectorELNS0_4arch9wavefront6targetE0EEEvT1_: ; @_ZN7rocprim17ROCPRIM_400000_NS6detail17trampoline_kernelINS0_14default_configENS1_35adjacent_difference_config_selectorILb1ElEEZNS1_24adjacent_difference_implIS3_Lb1ELb0EPlS7_ZN2at6native12_GLOBAL__N_124unique_dim_cuda_templateImEESt5tupleIJNS8_6TensorESD_SD_EERKSD_lbbbEUlllE1_EE10hipError_tPvRmT2_T3_mT4_P12ihipStream_tbEUlT_E_NS1_11comp_targetILNS1_3genE5ELNS1_11target_archE942ELNS1_3gpuE9ELNS1_3repE0EEENS1_30default_config_static_selectorELNS0_4arch9wavefront6targetE0EEEvT1_
; %bb.0:
	.section	.rodata,"a",@progbits
	.p2align	6, 0x0
	.amdhsa_kernel _ZN7rocprim17ROCPRIM_400000_NS6detail17trampoline_kernelINS0_14default_configENS1_35adjacent_difference_config_selectorILb1ElEEZNS1_24adjacent_difference_implIS3_Lb1ELb0EPlS7_ZN2at6native12_GLOBAL__N_124unique_dim_cuda_templateImEESt5tupleIJNS8_6TensorESD_SD_EERKSD_lbbbEUlllE1_EE10hipError_tPvRmT2_T3_mT4_P12ihipStream_tbEUlT_E_NS1_11comp_targetILNS1_3genE5ELNS1_11target_archE942ELNS1_3gpuE9ELNS1_3repE0EEENS1_30default_config_static_selectorELNS0_4arch9wavefront6targetE0EEEvT1_
		.amdhsa_group_segment_fixed_size 0
		.amdhsa_private_segment_fixed_size 0
		.amdhsa_kernarg_size 64
		.amdhsa_user_sgpr_count 2
		.amdhsa_user_sgpr_dispatch_ptr 0
		.amdhsa_user_sgpr_queue_ptr 0
		.amdhsa_user_sgpr_kernarg_segment_ptr 1
		.amdhsa_user_sgpr_dispatch_id 0
		.amdhsa_user_sgpr_kernarg_preload_length 0
		.amdhsa_user_sgpr_kernarg_preload_offset 0
		.amdhsa_user_sgpr_private_segment_size 0
		.amdhsa_wavefront_size32 1
		.amdhsa_uses_dynamic_stack 0
		.amdhsa_enable_private_segment 0
		.amdhsa_system_sgpr_workgroup_id_x 1
		.amdhsa_system_sgpr_workgroup_id_y 0
		.amdhsa_system_sgpr_workgroup_id_z 0
		.amdhsa_system_sgpr_workgroup_info 0
		.amdhsa_system_vgpr_workitem_id 0
		.amdhsa_next_free_vgpr 1
		.amdhsa_next_free_sgpr 1
		.amdhsa_named_barrier_count 0
		.amdhsa_reserve_vcc 0
		.amdhsa_float_round_mode_32 0
		.amdhsa_float_round_mode_16_64 0
		.amdhsa_float_denorm_mode_32 3
		.amdhsa_float_denorm_mode_16_64 3
		.amdhsa_fp16_overflow 0
		.amdhsa_memory_ordered 1
		.amdhsa_forward_progress 1
		.amdhsa_inst_pref_size 0
		.amdhsa_round_robin_scheduling 0
		.amdhsa_exception_fp_ieee_invalid_op 0
		.amdhsa_exception_fp_denorm_src 0
		.amdhsa_exception_fp_ieee_div_zero 0
		.amdhsa_exception_fp_ieee_overflow 0
		.amdhsa_exception_fp_ieee_underflow 0
		.amdhsa_exception_fp_ieee_inexact 0
		.amdhsa_exception_int_div_zero 0
	.end_amdhsa_kernel
	.section	.text._ZN7rocprim17ROCPRIM_400000_NS6detail17trampoline_kernelINS0_14default_configENS1_35adjacent_difference_config_selectorILb1ElEEZNS1_24adjacent_difference_implIS3_Lb1ELb0EPlS7_ZN2at6native12_GLOBAL__N_124unique_dim_cuda_templateImEESt5tupleIJNS8_6TensorESD_SD_EERKSD_lbbbEUlllE1_EE10hipError_tPvRmT2_T3_mT4_P12ihipStream_tbEUlT_E_NS1_11comp_targetILNS1_3genE5ELNS1_11target_archE942ELNS1_3gpuE9ELNS1_3repE0EEENS1_30default_config_static_selectorELNS0_4arch9wavefront6targetE0EEEvT1_,"axG",@progbits,_ZN7rocprim17ROCPRIM_400000_NS6detail17trampoline_kernelINS0_14default_configENS1_35adjacent_difference_config_selectorILb1ElEEZNS1_24adjacent_difference_implIS3_Lb1ELb0EPlS7_ZN2at6native12_GLOBAL__N_124unique_dim_cuda_templateImEESt5tupleIJNS8_6TensorESD_SD_EERKSD_lbbbEUlllE1_EE10hipError_tPvRmT2_T3_mT4_P12ihipStream_tbEUlT_E_NS1_11comp_targetILNS1_3genE5ELNS1_11target_archE942ELNS1_3gpuE9ELNS1_3repE0EEENS1_30default_config_static_selectorELNS0_4arch9wavefront6targetE0EEEvT1_,comdat
.Lfunc_end1657:
	.size	_ZN7rocprim17ROCPRIM_400000_NS6detail17trampoline_kernelINS0_14default_configENS1_35adjacent_difference_config_selectorILb1ElEEZNS1_24adjacent_difference_implIS3_Lb1ELb0EPlS7_ZN2at6native12_GLOBAL__N_124unique_dim_cuda_templateImEESt5tupleIJNS8_6TensorESD_SD_EERKSD_lbbbEUlllE1_EE10hipError_tPvRmT2_T3_mT4_P12ihipStream_tbEUlT_E_NS1_11comp_targetILNS1_3genE5ELNS1_11target_archE942ELNS1_3gpuE9ELNS1_3repE0EEENS1_30default_config_static_selectorELNS0_4arch9wavefront6targetE0EEEvT1_, .Lfunc_end1657-_ZN7rocprim17ROCPRIM_400000_NS6detail17trampoline_kernelINS0_14default_configENS1_35adjacent_difference_config_selectorILb1ElEEZNS1_24adjacent_difference_implIS3_Lb1ELb0EPlS7_ZN2at6native12_GLOBAL__N_124unique_dim_cuda_templateImEESt5tupleIJNS8_6TensorESD_SD_EERKSD_lbbbEUlllE1_EE10hipError_tPvRmT2_T3_mT4_P12ihipStream_tbEUlT_E_NS1_11comp_targetILNS1_3genE5ELNS1_11target_archE942ELNS1_3gpuE9ELNS1_3repE0EEENS1_30default_config_static_selectorELNS0_4arch9wavefront6targetE0EEEvT1_
                                        ; -- End function
	.set _ZN7rocprim17ROCPRIM_400000_NS6detail17trampoline_kernelINS0_14default_configENS1_35adjacent_difference_config_selectorILb1ElEEZNS1_24adjacent_difference_implIS3_Lb1ELb0EPlS7_ZN2at6native12_GLOBAL__N_124unique_dim_cuda_templateImEESt5tupleIJNS8_6TensorESD_SD_EERKSD_lbbbEUlllE1_EE10hipError_tPvRmT2_T3_mT4_P12ihipStream_tbEUlT_E_NS1_11comp_targetILNS1_3genE5ELNS1_11target_archE942ELNS1_3gpuE9ELNS1_3repE0EEENS1_30default_config_static_selectorELNS0_4arch9wavefront6targetE0EEEvT1_.num_vgpr, 0
	.set _ZN7rocprim17ROCPRIM_400000_NS6detail17trampoline_kernelINS0_14default_configENS1_35adjacent_difference_config_selectorILb1ElEEZNS1_24adjacent_difference_implIS3_Lb1ELb0EPlS7_ZN2at6native12_GLOBAL__N_124unique_dim_cuda_templateImEESt5tupleIJNS8_6TensorESD_SD_EERKSD_lbbbEUlllE1_EE10hipError_tPvRmT2_T3_mT4_P12ihipStream_tbEUlT_E_NS1_11comp_targetILNS1_3genE5ELNS1_11target_archE942ELNS1_3gpuE9ELNS1_3repE0EEENS1_30default_config_static_selectorELNS0_4arch9wavefront6targetE0EEEvT1_.num_agpr, 0
	.set _ZN7rocprim17ROCPRIM_400000_NS6detail17trampoline_kernelINS0_14default_configENS1_35adjacent_difference_config_selectorILb1ElEEZNS1_24adjacent_difference_implIS3_Lb1ELb0EPlS7_ZN2at6native12_GLOBAL__N_124unique_dim_cuda_templateImEESt5tupleIJNS8_6TensorESD_SD_EERKSD_lbbbEUlllE1_EE10hipError_tPvRmT2_T3_mT4_P12ihipStream_tbEUlT_E_NS1_11comp_targetILNS1_3genE5ELNS1_11target_archE942ELNS1_3gpuE9ELNS1_3repE0EEENS1_30default_config_static_selectorELNS0_4arch9wavefront6targetE0EEEvT1_.numbered_sgpr, 0
	.set _ZN7rocprim17ROCPRIM_400000_NS6detail17trampoline_kernelINS0_14default_configENS1_35adjacent_difference_config_selectorILb1ElEEZNS1_24adjacent_difference_implIS3_Lb1ELb0EPlS7_ZN2at6native12_GLOBAL__N_124unique_dim_cuda_templateImEESt5tupleIJNS8_6TensorESD_SD_EERKSD_lbbbEUlllE1_EE10hipError_tPvRmT2_T3_mT4_P12ihipStream_tbEUlT_E_NS1_11comp_targetILNS1_3genE5ELNS1_11target_archE942ELNS1_3gpuE9ELNS1_3repE0EEENS1_30default_config_static_selectorELNS0_4arch9wavefront6targetE0EEEvT1_.num_named_barrier, 0
	.set _ZN7rocprim17ROCPRIM_400000_NS6detail17trampoline_kernelINS0_14default_configENS1_35adjacent_difference_config_selectorILb1ElEEZNS1_24adjacent_difference_implIS3_Lb1ELb0EPlS7_ZN2at6native12_GLOBAL__N_124unique_dim_cuda_templateImEESt5tupleIJNS8_6TensorESD_SD_EERKSD_lbbbEUlllE1_EE10hipError_tPvRmT2_T3_mT4_P12ihipStream_tbEUlT_E_NS1_11comp_targetILNS1_3genE5ELNS1_11target_archE942ELNS1_3gpuE9ELNS1_3repE0EEENS1_30default_config_static_selectorELNS0_4arch9wavefront6targetE0EEEvT1_.private_seg_size, 0
	.set _ZN7rocprim17ROCPRIM_400000_NS6detail17trampoline_kernelINS0_14default_configENS1_35adjacent_difference_config_selectorILb1ElEEZNS1_24adjacent_difference_implIS3_Lb1ELb0EPlS7_ZN2at6native12_GLOBAL__N_124unique_dim_cuda_templateImEESt5tupleIJNS8_6TensorESD_SD_EERKSD_lbbbEUlllE1_EE10hipError_tPvRmT2_T3_mT4_P12ihipStream_tbEUlT_E_NS1_11comp_targetILNS1_3genE5ELNS1_11target_archE942ELNS1_3gpuE9ELNS1_3repE0EEENS1_30default_config_static_selectorELNS0_4arch9wavefront6targetE0EEEvT1_.uses_vcc, 0
	.set _ZN7rocprim17ROCPRIM_400000_NS6detail17trampoline_kernelINS0_14default_configENS1_35adjacent_difference_config_selectorILb1ElEEZNS1_24adjacent_difference_implIS3_Lb1ELb0EPlS7_ZN2at6native12_GLOBAL__N_124unique_dim_cuda_templateImEESt5tupleIJNS8_6TensorESD_SD_EERKSD_lbbbEUlllE1_EE10hipError_tPvRmT2_T3_mT4_P12ihipStream_tbEUlT_E_NS1_11comp_targetILNS1_3genE5ELNS1_11target_archE942ELNS1_3gpuE9ELNS1_3repE0EEENS1_30default_config_static_selectorELNS0_4arch9wavefront6targetE0EEEvT1_.uses_flat_scratch, 0
	.set _ZN7rocprim17ROCPRIM_400000_NS6detail17trampoline_kernelINS0_14default_configENS1_35adjacent_difference_config_selectorILb1ElEEZNS1_24adjacent_difference_implIS3_Lb1ELb0EPlS7_ZN2at6native12_GLOBAL__N_124unique_dim_cuda_templateImEESt5tupleIJNS8_6TensorESD_SD_EERKSD_lbbbEUlllE1_EE10hipError_tPvRmT2_T3_mT4_P12ihipStream_tbEUlT_E_NS1_11comp_targetILNS1_3genE5ELNS1_11target_archE942ELNS1_3gpuE9ELNS1_3repE0EEENS1_30default_config_static_selectorELNS0_4arch9wavefront6targetE0EEEvT1_.has_dyn_sized_stack, 0
	.set _ZN7rocprim17ROCPRIM_400000_NS6detail17trampoline_kernelINS0_14default_configENS1_35adjacent_difference_config_selectorILb1ElEEZNS1_24adjacent_difference_implIS3_Lb1ELb0EPlS7_ZN2at6native12_GLOBAL__N_124unique_dim_cuda_templateImEESt5tupleIJNS8_6TensorESD_SD_EERKSD_lbbbEUlllE1_EE10hipError_tPvRmT2_T3_mT4_P12ihipStream_tbEUlT_E_NS1_11comp_targetILNS1_3genE5ELNS1_11target_archE942ELNS1_3gpuE9ELNS1_3repE0EEENS1_30default_config_static_selectorELNS0_4arch9wavefront6targetE0EEEvT1_.has_recursion, 0
	.set _ZN7rocprim17ROCPRIM_400000_NS6detail17trampoline_kernelINS0_14default_configENS1_35adjacent_difference_config_selectorILb1ElEEZNS1_24adjacent_difference_implIS3_Lb1ELb0EPlS7_ZN2at6native12_GLOBAL__N_124unique_dim_cuda_templateImEESt5tupleIJNS8_6TensorESD_SD_EERKSD_lbbbEUlllE1_EE10hipError_tPvRmT2_T3_mT4_P12ihipStream_tbEUlT_E_NS1_11comp_targetILNS1_3genE5ELNS1_11target_archE942ELNS1_3gpuE9ELNS1_3repE0EEENS1_30default_config_static_selectorELNS0_4arch9wavefront6targetE0EEEvT1_.has_indirect_call, 0
	.section	.AMDGPU.csdata,"",@progbits
; Kernel info:
; codeLenInByte = 0
; TotalNumSgprs: 0
; NumVgprs: 0
; ScratchSize: 0
; MemoryBound: 0
; FloatMode: 240
; IeeeMode: 1
; LDSByteSize: 0 bytes/workgroup (compile time only)
; SGPRBlocks: 0
; VGPRBlocks: 0
; NumSGPRsForWavesPerEU: 1
; NumVGPRsForWavesPerEU: 1
; NamedBarCnt: 0
; Occupancy: 16
; WaveLimiterHint : 0
; COMPUTE_PGM_RSRC2:SCRATCH_EN: 0
; COMPUTE_PGM_RSRC2:USER_SGPR: 2
; COMPUTE_PGM_RSRC2:TRAP_HANDLER: 0
; COMPUTE_PGM_RSRC2:TGID_X_EN: 1
; COMPUTE_PGM_RSRC2:TGID_Y_EN: 0
; COMPUTE_PGM_RSRC2:TGID_Z_EN: 0
; COMPUTE_PGM_RSRC2:TIDIG_COMP_CNT: 0
	.section	.text._ZN7rocprim17ROCPRIM_400000_NS6detail17trampoline_kernelINS0_14default_configENS1_35adjacent_difference_config_selectorILb1ElEEZNS1_24adjacent_difference_implIS3_Lb1ELb0EPlS7_ZN2at6native12_GLOBAL__N_124unique_dim_cuda_templateImEESt5tupleIJNS8_6TensorESD_SD_EERKSD_lbbbEUlllE1_EE10hipError_tPvRmT2_T3_mT4_P12ihipStream_tbEUlT_E_NS1_11comp_targetILNS1_3genE4ELNS1_11target_archE910ELNS1_3gpuE8ELNS1_3repE0EEENS1_30default_config_static_selectorELNS0_4arch9wavefront6targetE0EEEvT1_,"axG",@progbits,_ZN7rocprim17ROCPRIM_400000_NS6detail17trampoline_kernelINS0_14default_configENS1_35adjacent_difference_config_selectorILb1ElEEZNS1_24adjacent_difference_implIS3_Lb1ELb0EPlS7_ZN2at6native12_GLOBAL__N_124unique_dim_cuda_templateImEESt5tupleIJNS8_6TensorESD_SD_EERKSD_lbbbEUlllE1_EE10hipError_tPvRmT2_T3_mT4_P12ihipStream_tbEUlT_E_NS1_11comp_targetILNS1_3genE4ELNS1_11target_archE910ELNS1_3gpuE8ELNS1_3repE0EEENS1_30default_config_static_selectorELNS0_4arch9wavefront6targetE0EEEvT1_,comdat
	.globl	_ZN7rocprim17ROCPRIM_400000_NS6detail17trampoline_kernelINS0_14default_configENS1_35adjacent_difference_config_selectorILb1ElEEZNS1_24adjacent_difference_implIS3_Lb1ELb0EPlS7_ZN2at6native12_GLOBAL__N_124unique_dim_cuda_templateImEESt5tupleIJNS8_6TensorESD_SD_EERKSD_lbbbEUlllE1_EE10hipError_tPvRmT2_T3_mT4_P12ihipStream_tbEUlT_E_NS1_11comp_targetILNS1_3genE4ELNS1_11target_archE910ELNS1_3gpuE8ELNS1_3repE0EEENS1_30default_config_static_selectorELNS0_4arch9wavefront6targetE0EEEvT1_ ; -- Begin function _ZN7rocprim17ROCPRIM_400000_NS6detail17trampoline_kernelINS0_14default_configENS1_35adjacent_difference_config_selectorILb1ElEEZNS1_24adjacent_difference_implIS3_Lb1ELb0EPlS7_ZN2at6native12_GLOBAL__N_124unique_dim_cuda_templateImEESt5tupleIJNS8_6TensorESD_SD_EERKSD_lbbbEUlllE1_EE10hipError_tPvRmT2_T3_mT4_P12ihipStream_tbEUlT_E_NS1_11comp_targetILNS1_3genE4ELNS1_11target_archE910ELNS1_3gpuE8ELNS1_3repE0EEENS1_30default_config_static_selectorELNS0_4arch9wavefront6targetE0EEEvT1_
	.p2align	8
	.type	_ZN7rocprim17ROCPRIM_400000_NS6detail17trampoline_kernelINS0_14default_configENS1_35adjacent_difference_config_selectorILb1ElEEZNS1_24adjacent_difference_implIS3_Lb1ELb0EPlS7_ZN2at6native12_GLOBAL__N_124unique_dim_cuda_templateImEESt5tupleIJNS8_6TensorESD_SD_EERKSD_lbbbEUlllE1_EE10hipError_tPvRmT2_T3_mT4_P12ihipStream_tbEUlT_E_NS1_11comp_targetILNS1_3genE4ELNS1_11target_archE910ELNS1_3gpuE8ELNS1_3repE0EEENS1_30default_config_static_selectorELNS0_4arch9wavefront6targetE0EEEvT1_,@function
_ZN7rocprim17ROCPRIM_400000_NS6detail17trampoline_kernelINS0_14default_configENS1_35adjacent_difference_config_selectorILb1ElEEZNS1_24adjacent_difference_implIS3_Lb1ELb0EPlS7_ZN2at6native12_GLOBAL__N_124unique_dim_cuda_templateImEESt5tupleIJNS8_6TensorESD_SD_EERKSD_lbbbEUlllE1_EE10hipError_tPvRmT2_T3_mT4_P12ihipStream_tbEUlT_E_NS1_11comp_targetILNS1_3genE4ELNS1_11target_archE910ELNS1_3gpuE8ELNS1_3repE0EEENS1_30default_config_static_selectorELNS0_4arch9wavefront6targetE0EEEvT1_: ; @_ZN7rocprim17ROCPRIM_400000_NS6detail17trampoline_kernelINS0_14default_configENS1_35adjacent_difference_config_selectorILb1ElEEZNS1_24adjacent_difference_implIS3_Lb1ELb0EPlS7_ZN2at6native12_GLOBAL__N_124unique_dim_cuda_templateImEESt5tupleIJNS8_6TensorESD_SD_EERKSD_lbbbEUlllE1_EE10hipError_tPvRmT2_T3_mT4_P12ihipStream_tbEUlT_E_NS1_11comp_targetILNS1_3genE4ELNS1_11target_archE910ELNS1_3gpuE8ELNS1_3repE0EEENS1_30default_config_static_selectorELNS0_4arch9wavefront6targetE0EEEvT1_
; %bb.0:
	.section	.rodata,"a",@progbits
	.p2align	6, 0x0
	.amdhsa_kernel _ZN7rocprim17ROCPRIM_400000_NS6detail17trampoline_kernelINS0_14default_configENS1_35adjacent_difference_config_selectorILb1ElEEZNS1_24adjacent_difference_implIS3_Lb1ELb0EPlS7_ZN2at6native12_GLOBAL__N_124unique_dim_cuda_templateImEESt5tupleIJNS8_6TensorESD_SD_EERKSD_lbbbEUlllE1_EE10hipError_tPvRmT2_T3_mT4_P12ihipStream_tbEUlT_E_NS1_11comp_targetILNS1_3genE4ELNS1_11target_archE910ELNS1_3gpuE8ELNS1_3repE0EEENS1_30default_config_static_selectorELNS0_4arch9wavefront6targetE0EEEvT1_
		.amdhsa_group_segment_fixed_size 0
		.amdhsa_private_segment_fixed_size 0
		.amdhsa_kernarg_size 64
		.amdhsa_user_sgpr_count 2
		.amdhsa_user_sgpr_dispatch_ptr 0
		.amdhsa_user_sgpr_queue_ptr 0
		.amdhsa_user_sgpr_kernarg_segment_ptr 1
		.amdhsa_user_sgpr_dispatch_id 0
		.amdhsa_user_sgpr_kernarg_preload_length 0
		.amdhsa_user_sgpr_kernarg_preload_offset 0
		.amdhsa_user_sgpr_private_segment_size 0
		.amdhsa_wavefront_size32 1
		.amdhsa_uses_dynamic_stack 0
		.amdhsa_enable_private_segment 0
		.amdhsa_system_sgpr_workgroup_id_x 1
		.amdhsa_system_sgpr_workgroup_id_y 0
		.amdhsa_system_sgpr_workgroup_id_z 0
		.amdhsa_system_sgpr_workgroup_info 0
		.amdhsa_system_vgpr_workitem_id 0
		.amdhsa_next_free_vgpr 1
		.amdhsa_next_free_sgpr 1
		.amdhsa_named_barrier_count 0
		.amdhsa_reserve_vcc 0
		.amdhsa_float_round_mode_32 0
		.amdhsa_float_round_mode_16_64 0
		.amdhsa_float_denorm_mode_32 3
		.amdhsa_float_denorm_mode_16_64 3
		.amdhsa_fp16_overflow 0
		.amdhsa_memory_ordered 1
		.amdhsa_forward_progress 1
		.amdhsa_inst_pref_size 0
		.amdhsa_round_robin_scheduling 0
		.amdhsa_exception_fp_ieee_invalid_op 0
		.amdhsa_exception_fp_denorm_src 0
		.amdhsa_exception_fp_ieee_div_zero 0
		.amdhsa_exception_fp_ieee_overflow 0
		.amdhsa_exception_fp_ieee_underflow 0
		.amdhsa_exception_fp_ieee_inexact 0
		.amdhsa_exception_int_div_zero 0
	.end_amdhsa_kernel
	.section	.text._ZN7rocprim17ROCPRIM_400000_NS6detail17trampoline_kernelINS0_14default_configENS1_35adjacent_difference_config_selectorILb1ElEEZNS1_24adjacent_difference_implIS3_Lb1ELb0EPlS7_ZN2at6native12_GLOBAL__N_124unique_dim_cuda_templateImEESt5tupleIJNS8_6TensorESD_SD_EERKSD_lbbbEUlllE1_EE10hipError_tPvRmT2_T3_mT4_P12ihipStream_tbEUlT_E_NS1_11comp_targetILNS1_3genE4ELNS1_11target_archE910ELNS1_3gpuE8ELNS1_3repE0EEENS1_30default_config_static_selectorELNS0_4arch9wavefront6targetE0EEEvT1_,"axG",@progbits,_ZN7rocprim17ROCPRIM_400000_NS6detail17trampoline_kernelINS0_14default_configENS1_35adjacent_difference_config_selectorILb1ElEEZNS1_24adjacent_difference_implIS3_Lb1ELb0EPlS7_ZN2at6native12_GLOBAL__N_124unique_dim_cuda_templateImEESt5tupleIJNS8_6TensorESD_SD_EERKSD_lbbbEUlllE1_EE10hipError_tPvRmT2_T3_mT4_P12ihipStream_tbEUlT_E_NS1_11comp_targetILNS1_3genE4ELNS1_11target_archE910ELNS1_3gpuE8ELNS1_3repE0EEENS1_30default_config_static_selectorELNS0_4arch9wavefront6targetE0EEEvT1_,comdat
.Lfunc_end1658:
	.size	_ZN7rocprim17ROCPRIM_400000_NS6detail17trampoline_kernelINS0_14default_configENS1_35adjacent_difference_config_selectorILb1ElEEZNS1_24adjacent_difference_implIS3_Lb1ELb0EPlS7_ZN2at6native12_GLOBAL__N_124unique_dim_cuda_templateImEESt5tupleIJNS8_6TensorESD_SD_EERKSD_lbbbEUlllE1_EE10hipError_tPvRmT2_T3_mT4_P12ihipStream_tbEUlT_E_NS1_11comp_targetILNS1_3genE4ELNS1_11target_archE910ELNS1_3gpuE8ELNS1_3repE0EEENS1_30default_config_static_selectorELNS0_4arch9wavefront6targetE0EEEvT1_, .Lfunc_end1658-_ZN7rocprim17ROCPRIM_400000_NS6detail17trampoline_kernelINS0_14default_configENS1_35adjacent_difference_config_selectorILb1ElEEZNS1_24adjacent_difference_implIS3_Lb1ELb0EPlS7_ZN2at6native12_GLOBAL__N_124unique_dim_cuda_templateImEESt5tupleIJNS8_6TensorESD_SD_EERKSD_lbbbEUlllE1_EE10hipError_tPvRmT2_T3_mT4_P12ihipStream_tbEUlT_E_NS1_11comp_targetILNS1_3genE4ELNS1_11target_archE910ELNS1_3gpuE8ELNS1_3repE0EEENS1_30default_config_static_selectorELNS0_4arch9wavefront6targetE0EEEvT1_
                                        ; -- End function
	.set _ZN7rocprim17ROCPRIM_400000_NS6detail17trampoline_kernelINS0_14default_configENS1_35adjacent_difference_config_selectorILb1ElEEZNS1_24adjacent_difference_implIS3_Lb1ELb0EPlS7_ZN2at6native12_GLOBAL__N_124unique_dim_cuda_templateImEESt5tupleIJNS8_6TensorESD_SD_EERKSD_lbbbEUlllE1_EE10hipError_tPvRmT2_T3_mT4_P12ihipStream_tbEUlT_E_NS1_11comp_targetILNS1_3genE4ELNS1_11target_archE910ELNS1_3gpuE8ELNS1_3repE0EEENS1_30default_config_static_selectorELNS0_4arch9wavefront6targetE0EEEvT1_.num_vgpr, 0
	.set _ZN7rocprim17ROCPRIM_400000_NS6detail17trampoline_kernelINS0_14default_configENS1_35adjacent_difference_config_selectorILb1ElEEZNS1_24adjacent_difference_implIS3_Lb1ELb0EPlS7_ZN2at6native12_GLOBAL__N_124unique_dim_cuda_templateImEESt5tupleIJNS8_6TensorESD_SD_EERKSD_lbbbEUlllE1_EE10hipError_tPvRmT2_T3_mT4_P12ihipStream_tbEUlT_E_NS1_11comp_targetILNS1_3genE4ELNS1_11target_archE910ELNS1_3gpuE8ELNS1_3repE0EEENS1_30default_config_static_selectorELNS0_4arch9wavefront6targetE0EEEvT1_.num_agpr, 0
	.set _ZN7rocprim17ROCPRIM_400000_NS6detail17trampoline_kernelINS0_14default_configENS1_35adjacent_difference_config_selectorILb1ElEEZNS1_24adjacent_difference_implIS3_Lb1ELb0EPlS7_ZN2at6native12_GLOBAL__N_124unique_dim_cuda_templateImEESt5tupleIJNS8_6TensorESD_SD_EERKSD_lbbbEUlllE1_EE10hipError_tPvRmT2_T3_mT4_P12ihipStream_tbEUlT_E_NS1_11comp_targetILNS1_3genE4ELNS1_11target_archE910ELNS1_3gpuE8ELNS1_3repE0EEENS1_30default_config_static_selectorELNS0_4arch9wavefront6targetE0EEEvT1_.numbered_sgpr, 0
	.set _ZN7rocprim17ROCPRIM_400000_NS6detail17trampoline_kernelINS0_14default_configENS1_35adjacent_difference_config_selectorILb1ElEEZNS1_24adjacent_difference_implIS3_Lb1ELb0EPlS7_ZN2at6native12_GLOBAL__N_124unique_dim_cuda_templateImEESt5tupleIJNS8_6TensorESD_SD_EERKSD_lbbbEUlllE1_EE10hipError_tPvRmT2_T3_mT4_P12ihipStream_tbEUlT_E_NS1_11comp_targetILNS1_3genE4ELNS1_11target_archE910ELNS1_3gpuE8ELNS1_3repE0EEENS1_30default_config_static_selectorELNS0_4arch9wavefront6targetE0EEEvT1_.num_named_barrier, 0
	.set _ZN7rocprim17ROCPRIM_400000_NS6detail17trampoline_kernelINS0_14default_configENS1_35adjacent_difference_config_selectorILb1ElEEZNS1_24adjacent_difference_implIS3_Lb1ELb0EPlS7_ZN2at6native12_GLOBAL__N_124unique_dim_cuda_templateImEESt5tupleIJNS8_6TensorESD_SD_EERKSD_lbbbEUlllE1_EE10hipError_tPvRmT2_T3_mT4_P12ihipStream_tbEUlT_E_NS1_11comp_targetILNS1_3genE4ELNS1_11target_archE910ELNS1_3gpuE8ELNS1_3repE0EEENS1_30default_config_static_selectorELNS0_4arch9wavefront6targetE0EEEvT1_.private_seg_size, 0
	.set _ZN7rocprim17ROCPRIM_400000_NS6detail17trampoline_kernelINS0_14default_configENS1_35adjacent_difference_config_selectorILb1ElEEZNS1_24adjacent_difference_implIS3_Lb1ELb0EPlS7_ZN2at6native12_GLOBAL__N_124unique_dim_cuda_templateImEESt5tupleIJNS8_6TensorESD_SD_EERKSD_lbbbEUlllE1_EE10hipError_tPvRmT2_T3_mT4_P12ihipStream_tbEUlT_E_NS1_11comp_targetILNS1_3genE4ELNS1_11target_archE910ELNS1_3gpuE8ELNS1_3repE0EEENS1_30default_config_static_selectorELNS0_4arch9wavefront6targetE0EEEvT1_.uses_vcc, 0
	.set _ZN7rocprim17ROCPRIM_400000_NS6detail17trampoline_kernelINS0_14default_configENS1_35adjacent_difference_config_selectorILb1ElEEZNS1_24adjacent_difference_implIS3_Lb1ELb0EPlS7_ZN2at6native12_GLOBAL__N_124unique_dim_cuda_templateImEESt5tupleIJNS8_6TensorESD_SD_EERKSD_lbbbEUlllE1_EE10hipError_tPvRmT2_T3_mT4_P12ihipStream_tbEUlT_E_NS1_11comp_targetILNS1_3genE4ELNS1_11target_archE910ELNS1_3gpuE8ELNS1_3repE0EEENS1_30default_config_static_selectorELNS0_4arch9wavefront6targetE0EEEvT1_.uses_flat_scratch, 0
	.set _ZN7rocprim17ROCPRIM_400000_NS6detail17trampoline_kernelINS0_14default_configENS1_35adjacent_difference_config_selectorILb1ElEEZNS1_24adjacent_difference_implIS3_Lb1ELb0EPlS7_ZN2at6native12_GLOBAL__N_124unique_dim_cuda_templateImEESt5tupleIJNS8_6TensorESD_SD_EERKSD_lbbbEUlllE1_EE10hipError_tPvRmT2_T3_mT4_P12ihipStream_tbEUlT_E_NS1_11comp_targetILNS1_3genE4ELNS1_11target_archE910ELNS1_3gpuE8ELNS1_3repE0EEENS1_30default_config_static_selectorELNS0_4arch9wavefront6targetE0EEEvT1_.has_dyn_sized_stack, 0
	.set _ZN7rocprim17ROCPRIM_400000_NS6detail17trampoline_kernelINS0_14default_configENS1_35adjacent_difference_config_selectorILb1ElEEZNS1_24adjacent_difference_implIS3_Lb1ELb0EPlS7_ZN2at6native12_GLOBAL__N_124unique_dim_cuda_templateImEESt5tupleIJNS8_6TensorESD_SD_EERKSD_lbbbEUlllE1_EE10hipError_tPvRmT2_T3_mT4_P12ihipStream_tbEUlT_E_NS1_11comp_targetILNS1_3genE4ELNS1_11target_archE910ELNS1_3gpuE8ELNS1_3repE0EEENS1_30default_config_static_selectorELNS0_4arch9wavefront6targetE0EEEvT1_.has_recursion, 0
	.set _ZN7rocprim17ROCPRIM_400000_NS6detail17trampoline_kernelINS0_14default_configENS1_35adjacent_difference_config_selectorILb1ElEEZNS1_24adjacent_difference_implIS3_Lb1ELb0EPlS7_ZN2at6native12_GLOBAL__N_124unique_dim_cuda_templateImEESt5tupleIJNS8_6TensorESD_SD_EERKSD_lbbbEUlllE1_EE10hipError_tPvRmT2_T3_mT4_P12ihipStream_tbEUlT_E_NS1_11comp_targetILNS1_3genE4ELNS1_11target_archE910ELNS1_3gpuE8ELNS1_3repE0EEENS1_30default_config_static_selectorELNS0_4arch9wavefront6targetE0EEEvT1_.has_indirect_call, 0
	.section	.AMDGPU.csdata,"",@progbits
; Kernel info:
; codeLenInByte = 0
; TotalNumSgprs: 0
; NumVgprs: 0
; ScratchSize: 0
; MemoryBound: 0
; FloatMode: 240
; IeeeMode: 1
; LDSByteSize: 0 bytes/workgroup (compile time only)
; SGPRBlocks: 0
; VGPRBlocks: 0
; NumSGPRsForWavesPerEU: 1
; NumVGPRsForWavesPerEU: 1
; NamedBarCnt: 0
; Occupancy: 16
; WaveLimiterHint : 0
; COMPUTE_PGM_RSRC2:SCRATCH_EN: 0
; COMPUTE_PGM_RSRC2:USER_SGPR: 2
; COMPUTE_PGM_RSRC2:TRAP_HANDLER: 0
; COMPUTE_PGM_RSRC2:TGID_X_EN: 1
; COMPUTE_PGM_RSRC2:TGID_Y_EN: 0
; COMPUTE_PGM_RSRC2:TGID_Z_EN: 0
; COMPUTE_PGM_RSRC2:TIDIG_COMP_CNT: 0
	.section	.text._ZN7rocprim17ROCPRIM_400000_NS6detail17trampoline_kernelINS0_14default_configENS1_35adjacent_difference_config_selectorILb1ElEEZNS1_24adjacent_difference_implIS3_Lb1ELb0EPlS7_ZN2at6native12_GLOBAL__N_124unique_dim_cuda_templateImEESt5tupleIJNS8_6TensorESD_SD_EERKSD_lbbbEUlllE1_EE10hipError_tPvRmT2_T3_mT4_P12ihipStream_tbEUlT_E_NS1_11comp_targetILNS1_3genE3ELNS1_11target_archE908ELNS1_3gpuE7ELNS1_3repE0EEENS1_30default_config_static_selectorELNS0_4arch9wavefront6targetE0EEEvT1_,"axG",@progbits,_ZN7rocprim17ROCPRIM_400000_NS6detail17trampoline_kernelINS0_14default_configENS1_35adjacent_difference_config_selectorILb1ElEEZNS1_24adjacent_difference_implIS3_Lb1ELb0EPlS7_ZN2at6native12_GLOBAL__N_124unique_dim_cuda_templateImEESt5tupleIJNS8_6TensorESD_SD_EERKSD_lbbbEUlllE1_EE10hipError_tPvRmT2_T3_mT4_P12ihipStream_tbEUlT_E_NS1_11comp_targetILNS1_3genE3ELNS1_11target_archE908ELNS1_3gpuE7ELNS1_3repE0EEENS1_30default_config_static_selectorELNS0_4arch9wavefront6targetE0EEEvT1_,comdat
	.globl	_ZN7rocprim17ROCPRIM_400000_NS6detail17trampoline_kernelINS0_14default_configENS1_35adjacent_difference_config_selectorILb1ElEEZNS1_24adjacent_difference_implIS3_Lb1ELb0EPlS7_ZN2at6native12_GLOBAL__N_124unique_dim_cuda_templateImEESt5tupleIJNS8_6TensorESD_SD_EERKSD_lbbbEUlllE1_EE10hipError_tPvRmT2_T3_mT4_P12ihipStream_tbEUlT_E_NS1_11comp_targetILNS1_3genE3ELNS1_11target_archE908ELNS1_3gpuE7ELNS1_3repE0EEENS1_30default_config_static_selectorELNS0_4arch9wavefront6targetE0EEEvT1_ ; -- Begin function _ZN7rocprim17ROCPRIM_400000_NS6detail17trampoline_kernelINS0_14default_configENS1_35adjacent_difference_config_selectorILb1ElEEZNS1_24adjacent_difference_implIS3_Lb1ELb0EPlS7_ZN2at6native12_GLOBAL__N_124unique_dim_cuda_templateImEESt5tupleIJNS8_6TensorESD_SD_EERKSD_lbbbEUlllE1_EE10hipError_tPvRmT2_T3_mT4_P12ihipStream_tbEUlT_E_NS1_11comp_targetILNS1_3genE3ELNS1_11target_archE908ELNS1_3gpuE7ELNS1_3repE0EEENS1_30default_config_static_selectorELNS0_4arch9wavefront6targetE0EEEvT1_
	.p2align	8
	.type	_ZN7rocprim17ROCPRIM_400000_NS6detail17trampoline_kernelINS0_14default_configENS1_35adjacent_difference_config_selectorILb1ElEEZNS1_24adjacent_difference_implIS3_Lb1ELb0EPlS7_ZN2at6native12_GLOBAL__N_124unique_dim_cuda_templateImEESt5tupleIJNS8_6TensorESD_SD_EERKSD_lbbbEUlllE1_EE10hipError_tPvRmT2_T3_mT4_P12ihipStream_tbEUlT_E_NS1_11comp_targetILNS1_3genE3ELNS1_11target_archE908ELNS1_3gpuE7ELNS1_3repE0EEENS1_30default_config_static_selectorELNS0_4arch9wavefront6targetE0EEEvT1_,@function
_ZN7rocprim17ROCPRIM_400000_NS6detail17trampoline_kernelINS0_14default_configENS1_35adjacent_difference_config_selectorILb1ElEEZNS1_24adjacent_difference_implIS3_Lb1ELb0EPlS7_ZN2at6native12_GLOBAL__N_124unique_dim_cuda_templateImEESt5tupleIJNS8_6TensorESD_SD_EERKSD_lbbbEUlllE1_EE10hipError_tPvRmT2_T3_mT4_P12ihipStream_tbEUlT_E_NS1_11comp_targetILNS1_3genE3ELNS1_11target_archE908ELNS1_3gpuE7ELNS1_3repE0EEENS1_30default_config_static_selectorELNS0_4arch9wavefront6targetE0EEEvT1_: ; @_ZN7rocprim17ROCPRIM_400000_NS6detail17trampoline_kernelINS0_14default_configENS1_35adjacent_difference_config_selectorILb1ElEEZNS1_24adjacent_difference_implIS3_Lb1ELb0EPlS7_ZN2at6native12_GLOBAL__N_124unique_dim_cuda_templateImEESt5tupleIJNS8_6TensorESD_SD_EERKSD_lbbbEUlllE1_EE10hipError_tPvRmT2_T3_mT4_P12ihipStream_tbEUlT_E_NS1_11comp_targetILNS1_3genE3ELNS1_11target_archE908ELNS1_3gpuE7ELNS1_3repE0EEENS1_30default_config_static_selectorELNS0_4arch9wavefront6targetE0EEEvT1_
; %bb.0:
	.section	.rodata,"a",@progbits
	.p2align	6, 0x0
	.amdhsa_kernel _ZN7rocprim17ROCPRIM_400000_NS6detail17trampoline_kernelINS0_14default_configENS1_35adjacent_difference_config_selectorILb1ElEEZNS1_24adjacent_difference_implIS3_Lb1ELb0EPlS7_ZN2at6native12_GLOBAL__N_124unique_dim_cuda_templateImEESt5tupleIJNS8_6TensorESD_SD_EERKSD_lbbbEUlllE1_EE10hipError_tPvRmT2_T3_mT4_P12ihipStream_tbEUlT_E_NS1_11comp_targetILNS1_3genE3ELNS1_11target_archE908ELNS1_3gpuE7ELNS1_3repE0EEENS1_30default_config_static_selectorELNS0_4arch9wavefront6targetE0EEEvT1_
		.amdhsa_group_segment_fixed_size 0
		.amdhsa_private_segment_fixed_size 0
		.amdhsa_kernarg_size 64
		.amdhsa_user_sgpr_count 2
		.amdhsa_user_sgpr_dispatch_ptr 0
		.amdhsa_user_sgpr_queue_ptr 0
		.amdhsa_user_sgpr_kernarg_segment_ptr 1
		.amdhsa_user_sgpr_dispatch_id 0
		.amdhsa_user_sgpr_kernarg_preload_length 0
		.amdhsa_user_sgpr_kernarg_preload_offset 0
		.amdhsa_user_sgpr_private_segment_size 0
		.amdhsa_wavefront_size32 1
		.amdhsa_uses_dynamic_stack 0
		.amdhsa_enable_private_segment 0
		.amdhsa_system_sgpr_workgroup_id_x 1
		.amdhsa_system_sgpr_workgroup_id_y 0
		.amdhsa_system_sgpr_workgroup_id_z 0
		.amdhsa_system_sgpr_workgroup_info 0
		.amdhsa_system_vgpr_workitem_id 0
		.amdhsa_next_free_vgpr 1
		.amdhsa_next_free_sgpr 1
		.amdhsa_named_barrier_count 0
		.amdhsa_reserve_vcc 0
		.amdhsa_float_round_mode_32 0
		.amdhsa_float_round_mode_16_64 0
		.amdhsa_float_denorm_mode_32 3
		.amdhsa_float_denorm_mode_16_64 3
		.amdhsa_fp16_overflow 0
		.amdhsa_memory_ordered 1
		.amdhsa_forward_progress 1
		.amdhsa_inst_pref_size 0
		.amdhsa_round_robin_scheduling 0
		.amdhsa_exception_fp_ieee_invalid_op 0
		.amdhsa_exception_fp_denorm_src 0
		.amdhsa_exception_fp_ieee_div_zero 0
		.amdhsa_exception_fp_ieee_overflow 0
		.amdhsa_exception_fp_ieee_underflow 0
		.amdhsa_exception_fp_ieee_inexact 0
		.amdhsa_exception_int_div_zero 0
	.end_amdhsa_kernel
	.section	.text._ZN7rocprim17ROCPRIM_400000_NS6detail17trampoline_kernelINS0_14default_configENS1_35adjacent_difference_config_selectorILb1ElEEZNS1_24adjacent_difference_implIS3_Lb1ELb0EPlS7_ZN2at6native12_GLOBAL__N_124unique_dim_cuda_templateImEESt5tupleIJNS8_6TensorESD_SD_EERKSD_lbbbEUlllE1_EE10hipError_tPvRmT2_T3_mT4_P12ihipStream_tbEUlT_E_NS1_11comp_targetILNS1_3genE3ELNS1_11target_archE908ELNS1_3gpuE7ELNS1_3repE0EEENS1_30default_config_static_selectorELNS0_4arch9wavefront6targetE0EEEvT1_,"axG",@progbits,_ZN7rocprim17ROCPRIM_400000_NS6detail17trampoline_kernelINS0_14default_configENS1_35adjacent_difference_config_selectorILb1ElEEZNS1_24adjacent_difference_implIS3_Lb1ELb0EPlS7_ZN2at6native12_GLOBAL__N_124unique_dim_cuda_templateImEESt5tupleIJNS8_6TensorESD_SD_EERKSD_lbbbEUlllE1_EE10hipError_tPvRmT2_T3_mT4_P12ihipStream_tbEUlT_E_NS1_11comp_targetILNS1_3genE3ELNS1_11target_archE908ELNS1_3gpuE7ELNS1_3repE0EEENS1_30default_config_static_selectorELNS0_4arch9wavefront6targetE0EEEvT1_,comdat
.Lfunc_end1659:
	.size	_ZN7rocprim17ROCPRIM_400000_NS6detail17trampoline_kernelINS0_14default_configENS1_35adjacent_difference_config_selectorILb1ElEEZNS1_24adjacent_difference_implIS3_Lb1ELb0EPlS7_ZN2at6native12_GLOBAL__N_124unique_dim_cuda_templateImEESt5tupleIJNS8_6TensorESD_SD_EERKSD_lbbbEUlllE1_EE10hipError_tPvRmT2_T3_mT4_P12ihipStream_tbEUlT_E_NS1_11comp_targetILNS1_3genE3ELNS1_11target_archE908ELNS1_3gpuE7ELNS1_3repE0EEENS1_30default_config_static_selectorELNS0_4arch9wavefront6targetE0EEEvT1_, .Lfunc_end1659-_ZN7rocprim17ROCPRIM_400000_NS6detail17trampoline_kernelINS0_14default_configENS1_35adjacent_difference_config_selectorILb1ElEEZNS1_24adjacent_difference_implIS3_Lb1ELb0EPlS7_ZN2at6native12_GLOBAL__N_124unique_dim_cuda_templateImEESt5tupleIJNS8_6TensorESD_SD_EERKSD_lbbbEUlllE1_EE10hipError_tPvRmT2_T3_mT4_P12ihipStream_tbEUlT_E_NS1_11comp_targetILNS1_3genE3ELNS1_11target_archE908ELNS1_3gpuE7ELNS1_3repE0EEENS1_30default_config_static_selectorELNS0_4arch9wavefront6targetE0EEEvT1_
                                        ; -- End function
	.set _ZN7rocprim17ROCPRIM_400000_NS6detail17trampoline_kernelINS0_14default_configENS1_35adjacent_difference_config_selectorILb1ElEEZNS1_24adjacent_difference_implIS3_Lb1ELb0EPlS7_ZN2at6native12_GLOBAL__N_124unique_dim_cuda_templateImEESt5tupleIJNS8_6TensorESD_SD_EERKSD_lbbbEUlllE1_EE10hipError_tPvRmT2_T3_mT4_P12ihipStream_tbEUlT_E_NS1_11comp_targetILNS1_3genE3ELNS1_11target_archE908ELNS1_3gpuE7ELNS1_3repE0EEENS1_30default_config_static_selectorELNS0_4arch9wavefront6targetE0EEEvT1_.num_vgpr, 0
	.set _ZN7rocprim17ROCPRIM_400000_NS6detail17trampoline_kernelINS0_14default_configENS1_35adjacent_difference_config_selectorILb1ElEEZNS1_24adjacent_difference_implIS3_Lb1ELb0EPlS7_ZN2at6native12_GLOBAL__N_124unique_dim_cuda_templateImEESt5tupleIJNS8_6TensorESD_SD_EERKSD_lbbbEUlllE1_EE10hipError_tPvRmT2_T3_mT4_P12ihipStream_tbEUlT_E_NS1_11comp_targetILNS1_3genE3ELNS1_11target_archE908ELNS1_3gpuE7ELNS1_3repE0EEENS1_30default_config_static_selectorELNS0_4arch9wavefront6targetE0EEEvT1_.num_agpr, 0
	.set _ZN7rocprim17ROCPRIM_400000_NS6detail17trampoline_kernelINS0_14default_configENS1_35adjacent_difference_config_selectorILb1ElEEZNS1_24adjacent_difference_implIS3_Lb1ELb0EPlS7_ZN2at6native12_GLOBAL__N_124unique_dim_cuda_templateImEESt5tupleIJNS8_6TensorESD_SD_EERKSD_lbbbEUlllE1_EE10hipError_tPvRmT2_T3_mT4_P12ihipStream_tbEUlT_E_NS1_11comp_targetILNS1_3genE3ELNS1_11target_archE908ELNS1_3gpuE7ELNS1_3repE0EEENS1_30default_config_static_selectorELNS0_4arch9wavefront6targetE0EEEvT1_.numbered_sgpr, 0
	.set _ZN7rocprim17ROCPRIM_400000_NS6detail17trampoline_kernelINS0_14default_configENS1_35adjacent_difference_config_selectorILb1ElEEZNS1_24adjacent_difference_implIS3_Lb1ELb0EPlS7_ZN2at6native12_GLOBAL__N_124unique_dim_cuda_templateImEESt5tupleIJNS8_6TensorESD_SD_EERKSD_lbbbEUlllE1_EE10hipError_tPvRmT2_T3_mT4_P12ihipStream_tbEUlT_E_NS1_11comp_targetILNS1_3genE3ELNS1_11target_archE908ELNS1_3gpuE7ELNS1_3repE0EEENS1_30default_config_static_selectorELNS0_4arch9wavefront6targetE0EEEvT1_.num_named_barrier, 0
	.set _ZN7rocprim17ROCPRIM_400000_NS6detail17trampoline_kernelINS0_14default_configENS1_35adjacent_difference_config_selectorILb1ElEEZNS1_24adjacent_difference_implIS3_Lb1ELb0EPlS7_ZN2at6native12_GLOBAL__N_124unique_dim_cuda_templateImEESt5tupleIJNS8_6TensorESD_SD_EERKSD_lbbbEUlllE1_EE10hipError_tPvRmT2_T3_mT4_P12ihipStream_tbEUlT_E_NS1_11comp_targetILNS1_3genE3ELNS1_11target_archE908ELNS1_3gpuE7ELNS1_3repE0EEENS1_30default_config_static_selectorELNS0_4arch9wavefront6targetE0EEEvT1_.private_seg_size, 0
	.set _ZN7rocprim17ROCPRIM_400000_NS6detail17trampoline_kernelINS0_14default_configENS1_35adjacent_difference_config_selectorILb1ElEEZNS1_24adjacent_difference_implIS3_Lb1ELb0EPlS7_ZN2at6native12_GLOBAL__N_124unique_dim_cuda_templateImEESt5tupleIJNS8_6TensorESD_SD_EERKSD_lbbbEUlllE1_EE10hipError_tPvRmT2_T3_mT4_P12ihipStream_tbEUlT_E_NS1_11comp_targetILNS1_3genE3ELNS1_11target_archE908ELNS1_3gpuE7ELNS1_3repE0EEENS1_30default_config_static_selectorELNS0_4arch9wavefront6targetE0EEEvT1_.uses_vcc, 0
	.set _ZN7rocprim17ROCPRIM_400000_NS6detail17trampoline_kernelINS0_14default_configENS1_35adjacent_difference_config_selectorILb1ElEEZNS1_24adjacent_difference_implIS3_Lb1ELb0EPlS7_ZN2at6native12_GLOBAL__N_124unique_dim_cuda_templateImEESt5tupleIJNS8_6TensorESD_SD_EERKSD_lbbbEUlllE1_EE10hipError_tPvRmT2_T3_mT4_P12ihipStream_tbEUlT_E_NS1_11comp_targetILNS1_3genE3ELNS1_11target_archE908ELNS1_3gpuE7ELNS1_3repE0EEENS1_30default_config_static_selectorELNS0_4arch9wavefront6targetE0EEEvT1_.uses_flat_scratch, 0
	.set _ZN7rocprim17ROCPRIM_400000_NS6detail17trampoline_kernelINS0_14default_configENS1_35adjacent_difference_config_selectorILb1ElEEZNS1_24adjacent_difference_implIS3_Lb1ELb0EPlS7_ZN2at6native12_GLOBAL__N_124unique_dim_cuda_templateImEESt5tupleIJNS8_6TensorESD_SD_EERKSD_lbbbEUlllE1_EE10hipError_tPvRmT2_T3_mT4_P12ihipStream_tbEUlT_E_NS1_11comp_targetILNS1_3genE3ELNS1_11target_archE908ELNS1_3gpuE7ELNS1_3repE0EEENS1_30default_config_static_selectorELNS0_4arch9wavefront6targetE0EEEvT1_.has_dyn_sized_stack, 0
	.set _ZN7rocprim17ROCPRIM_400000_NS6detail17trampoline_kernelINS0_14default_configENS1_35adjacent_difference_config_selectorILb1ElEEZNS1_24adjacent_difference_implIS3_Lb1ELb0EPlS7_ZN2at6native12_GLOBAL__N_124unique_dim_cuda_templateImEESt5tupleIJNS8_6TensorESD_SD_EERKSD_lbbbEUlllE1_EE10hipError_tPvRmT2_T3_mT4_P12ihipStream_tbEUlT_E_NS1_11comp_targetILNS1_3genE3ELNS1_11target_archE908ELNS1_3gpuE7ELNS1_3repE0EEENS1_30default_config_static_selectorELNS0_4arch9wavefront6targetE0EEEvT1_.has_recursion, 0
	.set _ZN7rocprim17ROCPRIM_400000_NS6detail17trampoline_kernelINS0_14default_configENS1_35adjacent_difference_config_selectorILb1ElEEZNS1_24adjacent_difference_implIS3_Lb1ELb0EPlS7_ZN2at6native12_GLOBAL__N_124unique_dim_cuda_templateImEESt5tupleIJNS8_6TensorESD_SD_EERKSD_lbbbEUlllE1_EE10hipError_tPvRmT2_T3_mT4_P12ihipStream_tbEUlT_E_NS1_11comp_targetILNS1_3genE3ELNS1_11target_archE908ELNS1_3gpuE7ELNS1_3repE0EEENS1_30default_config_static_selectorELNS0_4arch9wavefront6targetE0EEEvT1_.has_indirect_call, 0
	.section	.AMDGPU.csdata,"",@progbits
; Kernel info:
; codeLenInByte = 0
; TotalNumSgprs: 0
; NumVgprs: 0
; ScratchSize: 0
; MemoryBound: 0
; FloatMode: 240
; IeeeMode: 1
; LDSByteSize: 0 bytes/workgroup (compile time only)
; SGPRBlocks: 0
; VGPRBlocks: 0
; NumSGPRsForWavesPerEU: 1
; NumVGPRsForWavesPerEU: 1
; NamedBarCnt: 0
; Occupancy: 16
; WaveLimiterHint : 0
; COMPUTE_PGM_RSRC2:SCRATCH_EN: 0
; COMPUTE_PGM_RSRC2:USER_SGPR: 2
; COMPUTE_PGM_RSRC2:TRAP_HANDLER: 0
; COMPUTE_PGM_RSRC2:TGID_X_EN: 1
; COMPUTE_PGM_RSRC2:TGID_Y_EN: 0
; COMPUTE_PGM_RSRC2:TGID_Z_EN: 0
; COMPUTE_PGM_RSRC2:TIDIG_COMP_CNT: 0
	.section	.text._ZN7rocprim17ROCPRIM_400000_NS6detail17trampoline_kernelINS0_14default_configENS1_35adjacent_difference_config_selectorILb1ElEEZNS1_24adjacent_difference_implIS3_Lb1ELb0EPlS7_ZN2at6native12_GLOBAL__N_124unique_dim_cuda_templateImEESt5tupleIJNS8_6TensorESD_SD_EERKSD_lbbbEUlllE1_EE10hipError_tPvRmT2_T3_mT4_P12ihipStream_tbEUlT_E_NS1_11comp_targetILNS1_3genE2ELNS1_11target_archE906ELNS1_3gpuE6ELNS1_3repE0EEENS1_30default_config_static_selectorELNS0_4arch9wavefront6targetE0EEEvT1_,"axG",@progbits,_ZN7rocprim17ROCPRIM_400000_NS6detail17trampoline_kernelINS0_14default_configENS1_35adjacent_difference_config_selectorILb1ElEEZNS1_24adjacent_difference_implIS3_Lb1ELb0EPlS7_ZN2at6native12_GLOBAL__N_124unique_dim_cuda_templateImEESt5tupleIJNS8_6TensorESD_SD_EERKSD_lbbbEUlllE1_EE10hipError_tPvRmT2_T3_mT4_P12ihipStream_tbEUlT_E_NS1_11comp_targetILNS1_3genE2ELNS1_11target_archE906ELNS1_3gpuE6ELNS1_3repE0EEENS1_30default_config_static_selectorELNS0_4arch9wavefront6targetE0EEEvT1_,comdat
	.globl	_ZN7rocprim17ROCPRIM_400000_NS6detail17trampoline_kernelINS0_14default_configENS1_35adjacent_difference_config_selectorILb1ElEEZNS1_24adjacent_difference_implIS3_Lb1ELb0EPlS7_ZN2at6native12_GLOBAL__N_124unique_dim_cuda_templateImEESt5tupleIJNS8_6TensorESD_SD_EERKSD_lbbbEUlllE1_EE10hipError_tPvRmT2_T3_mT4_P12ihipStream_tbEUlT_E_NS1_11comp_targetILNS1_3genE2ELNS1_11target_archE906ELNS1_3gpuE6ELNS1_3repE0EEENS1_30default_config_static_selectorELNS0_4arch9wavefront6targetE0EEEvT1_ ; -- Begin function _ZN7rocprim17ROCPRIM_400000_NS6detail17trampoline_kernelINS0_14default_configENS1_35adjacent_difference_config_selectorILb1ElEEZNS1_24adjacent_difference_implIS3_Lb1ELb0EPlS7_ZN2at6native12_GLOBAL__N_124unique_dim_cuda_templateImEESt5tupleIJNS8_6TensorESD_SD_EERKSD_lbbbEUlllE1_EE10hipError_tPvRmT2_T3_mT4_P12ihipStream_tbEUlT_E_NS1_11comp_targetILNS1_3genE2ELNS1_11target_archE906ELNS1_3gpuE6ELNS1_3repE0EEENS1_30default_config_static_selectorELNS0_4arch9wavefront6targetE0EEEvT1_
	.p2align	8
	.type	_ZN7rocprim17ROCPRIM_400000_NS6detail17trampoline_kernelINS0_14default_configENS1_35adjacent_difference_config_selectorILb1ElEEZNS1_24adjacent_difference_implIS3_Lb1ELb0EPlS7_ZN2at6native12_GLOBAL__N_124unique_dim_cuda_templateImEESt5tupleIJNS8_6TensorESD_SD_EERKSD_lbbbEUlllE1_EE10hipError_tPvRmT2_T3_mT4_P12ihipStream_tbEUlT_E_NS1_11comp_targetILNS1_3genE2ELNS1_11target_archE906ELNS1_3gpuE6ELNS1_3repE0EEENS1_30default_config_static_selectorELNS0_4arch9wavefront6targetE0EEEvT1_,@function
_ZN7rocprim17ROCPRIM_400000_NS6detail17trampoline_kernelINS0_14default_configENS1_35adjacent_difference_config_selectorILb1ElEEZNS1_24adjacent_difference_implIS3_Lb1ELb0EPlS7_ZN2at6native12_GLOBAL__N_124unique_dim_cuda_templateImEESt5tupleIJNS8_6TensorESD_SD_EERKSD_lbbbEUlllE1_EE10hipError_tPvRmT2_T3_mT4_P12ihipStream_tbEUlT_E_NS1_11comp_targetILNS1_3genE2ELNS1_11target_archE906ELNS1_3gpuE6ELNS1_3repE0EEENS1_30default_config_static_selectorELNS0_4arch9wavefront6targetE0EEEvT1_: ; @_ZN7rocprim17ROCPRIM_400000_NS6detail17trampoline_kernelINS0_14default_configENS1_35adjacent_difference_config_selectorILb1ElEEZNS1_24adjacent_difference_implIS3_Lb1ELb0EPlS7_ZN2at6native12_GLOBAL__N_124unique_dim_cuda_templateImEESt5tupleIJNS8_6TensorESD_SD_EERKSD_lbbbEUlllE1_EE10hipError_tPvRmT2_T3_mT4_P12ihipStream_tbEUlT_E_NS1_11comp_targetILNS1_3genE2ELNS1_11target_archE906ELNS1_3gpuE6ELNS1_3repE0EEENS1_30default_config_static_selectorELNS0_4arch9wavefront6targetE0EEEvT1_
; %bb.0:
	.section	.rodata,"a",@progbits
	.p2align	6, 0x0
	.amdhsa_kernel _ZN7rocprim17ROCPRIM_400000_NS6detail17trampoline_kernelINS0_14default_configENS1_35adjacent_difference_config_selectorILb1ElEEZNS1_24adjacent_difference_implIS3_Lb1ELb0EPlS7_ZN2at6native12_GLOBAL__N_124unique_dim_cuda_templateImEESt5tupleIJNS8_6TensorESD_SD_EERKSD_lbbbEUlllE1_EE10hipError_tPvRmT2_T3_mT4_P12ihipStream_tbEUlT_E_NS1_11comp_targetILNS1_3genE2ELNS1_11target_archE906ELNS1_3gpuE6ELNS1_3repE0EEENS1_30default_config_static_selectorELNS0_4arch9wavefront6targetE0EEEvT1_
		.amdhsa_group_segment_fixed_size 0
		.amdhsa_private_segment_fixed_size 0
		.amdhsa_kernarg_size 64
		.amdhsa_user_sgpr_count 2
		.amdhsa_user_sgpr_dispatch_ptr 0
		.amdhsa_user_sgpr_queue_ptr 0
		.amdhsa_user_sgpr_kernarg_segment_ptr 1
		.amdhsa_user_sgpr_dispatch_id 0
		.amdhsa_user_sgpr_kernarg_preload_length 0
		.amdhsa_user_sgpr_kernarg_preload_offset 0
		.amdhsa_user_sgpr_private_segment_size 0
		.amdhsa_wavefront_size32 1
		.amdhsa_uses_dynamic_stack 0
		.amdhsa_enable_private_segment 0
		.amdhsa_system_sgpr_workgroup_id_x 1
		.amdhsa_system_sgpr_workgroup_id_y 0
		.amdhsa_system_sgpr_workgroup_id_z 0
		.amdhsa_system_sgpr_workgroup_info 0
		.amdhsa_system_vgpr_workitem_id 0
		.amdhsa_next_free_vgpr 1
		.amdhsa_next_free_sgpr 1
		.amdhsa_named_barrier_count 0
		.amdhsa_reserve_vcc 0
		.amdhsa_float_round_mode_32 0
		.amdhsa_float_round_mode_16_64 0
		.amdhsa_float_denorm_mode_32 3
		.amdhsa_float_denorm_mode_16_64 3
		.amdhsa_fp16_overflow 0
		.amdhsa_memory_ordered 1
		.amdhsa_forward_progress 1
		.amdhsa_inst_pref_size 0
		.amdhsa_round_robin_scheduling 0
		.amdhsa_exception_fp_ieee_invalid_op 0
		.amdhsa_exception_fp_denorm_src 0
		.amdhsa_exception_fp_ieee_div_zero 0
		.amdhsa_exception_fp_ieee_overflow 0
		.amdhsa_exception_fp_ieee_underflow 0
		.amdhsa_exception_fp_ieee_inexact 0
		.amdhsa_exception_int_div_zero 0
	.end_amdhsa_kernel
	.section	.text._ZN7rocprim17ROCPRIM_400000_NS6detail17trampoline_kernelINS0_14default_configENS1_35adjacent_difference_config_selectorILb1ElEEZNS1_24adjacent_difference_implIS3_Lb1ELb0EPlS7_ZN2at6native12_GLOBAL__N_124unique_dim_cuda_templateImEESt5tupleIJNS8_6TensorESD_SD_EERKSD_lbbbEUlllE1_EE10hipError_tPvRmT2_T3_mT4_P12ihipStream_tbEUlT_E_NS1_11comp_targetILNS1_3genE2ELNS1_11target_archE906ELNS1_3gpuE6ELNS1_3repE0EEENS1_30default_config_static_selectorELNS0_4arch9wavefront6targetE0EEEvT1_,"axG",@progbits,_ZN7rocprim17ROCPRIM_400000_NS6detail17trampoline_kernelINS0_14default_configENS1_35adjacent_difference_config_selectorILb1ElEEZNS1_24adjacent_difference_implIS3_Lb1ELb0EPlS7_ZN2at6native12_GLOBAL__N_124unique_dim_cuda_templateImEESt5tupleIJNS8_6TensorESD_SD_EERKSD_lbbbEUlllE1_EE10hipError_tPvRmT2_T3_mT4_P12ihipStream_tbEUlT_E_NS1_11comp_targetILNS1_3genE2ELNS1_11target_archE906ELNS1_3gpuE6ELNS1_3repE0EEENS1_30default_config_static_selectorELNS0_4arch9wavefront6targetE0EEEvT1_,comdat
.Lfunc_end1660:
	.size	_ZN7rocprim17ROCPRIM_400000_NS6detail17trampoline_kernelINS0_14default_configENS1_35adjacent_difference_config_selectorILb1ElEEZNS1_24adjacent_difference_implIS3_Lb1ELb0EPlS7_ZN2at6native12_GLOBAL__N_124unique_dim_cuda_templateImEESt5tupleIJNS8_6TensorESD_SD_EERKSD_lbbbEUlllE1_EE10hipError_tPvRmT2_T3_mT4_P12ihipStream_tbEUlT_E_NS1_11comp_targetILNS1_3genE2ELNS1_11target_archE906ELNS1_3gpuE6ELNS1_3repE0EEENS1_30default_config_static_selectorELNS0_4arch9wavefront6targetE0EEEvT1_, .Lfunc_end1660-_ZN7rocprim17ROCPRIM_400000_NS6detail17trampoline_kernelINS0_14default_configENS1_35adjacent_difference_config_selectorILb1ElEEZNS1_24adjacent_difference_implIS3_Lb1ELb0EPlS7_ZN2at6native12_GLOBAL__N_124unique_dim_cuda_templateImEESt5tupleIJNS8_6TensorESD_SD_EERKSD_lbbbEUlllE1_EE10hipError_tPvRmT2_T3_mT4_P12ihipStream_tbEUlT_E_NS1_11comp_targetILNS1_3genE2ELNS1_11target_archE906ELNS1_3gpuE6ELNS1_3repE0EEENS1_30default_config_static_selectorELNS0_4arch9wavefront6targetE0EEEvT1_
                                        ; -- End function
	.set _ZN7rocprim17ROCPRIM_400000_NS6detail17trampoline_kernelINS0_14default_configENS1_35adjacent_difference_config_selectorILb1ElEEZNS1_24adjacent_difference_implIS3_Lb1ELb0EPlS7_ZN2at6native12_GLOBAL__N_124unique_dim_cuda_templateImEESt5tupleIJNS8_6TensorESD_SD_EERKSD_lbbbEUlllE1_EE10hipError_tPvRmT2_T3_mT4_P12ihipStream_tbEUlT_E_NS1_11comp_targetILNS1_3genE2ELNS1_11target_archE906ELNS1_3gpuE6ELNS1_3repE0EEENS1_30default_config_static_selectorELNS0_4arch9wavefront6targetE0EEEvT1_.num_vgpr, 0
	.set _ZN7rocprim17ROCPRIM_400000_NS6detail17trampoline_kernelINS0_14default_configENS1_35adjacent_difference_config_selectorILb1ElEEZNS1_24adjacent_difference_implIS3_Lb1ELb0EPlS7_ZN2at6native12_GLOBAL__N_124unique_dim_cuda_templateImEESt5tupleIJNS8_6TensorESD_SD_EERKSD_lbbbEUlllE1_EE10hipError_tPvRmT2_T3_mT4_P12ihipStream_tbEUlT_E_NS1_11comp_targetILNS1_3genE2ELNS1_11target_archE906ELNS1_3gpuE6ELNS1_3repE0EEENS1_30default_config_static_selectorELNS0_4arch9wavefront6targetE0EEEvT1_.num_agpr, 0
	.set _ZN7rocprim17ROCPRIM_400000_NS6detail17trampoline_kernelINS0_14default_configENS1_35adjacent_difference_config_selectorILb1ElEEZNS1_24adjacent_difference_implIS3_Lb1ELb0EPlS7_ZN2at6native12_GLOBAL__N_124unique_dim_cuda_templateImEESt5tupleIJNS8_6TensorESD_SD_EERKSD_lbbbEUlllE1_EE10hipError_tPvRmT2_T3_mT4_P12ihipStream_tbEUlT_E_NS1_11comp_targetILNS1_3genE2ELNS1_11target_archE906ELNS1_3gpuE6ELNS1_3repE0EEENS1_30default_config_static_selectorELNS0_4arch9wavefront6targetE0EEEvT1_.numbered_sgpr, 0
	.set _ZN7rocprim17ROCPRIM_400000_NS6detail17trampoline_kernelINS0_14default_configENS1_35adjacent_difference_config_selectorILb1ElEEZNS1_24adjacent_difference_implIS3_Lb1ELb0EPlS7_ZN2at6native12_GLOBAL__N_124unique_dim_cuda_templateImEESt5tupleIJNS8_6TensorESD_SD_EERKSD_lbbbEUlllE1_EE10hipError_tPvRmT2_T3_mT4_P12ihipStream_tbEUlT_E_NS1_11comp_targetILNS1_3genE2ELNS1_11target_archE906ELNS1_3gpuE6ELNS1_3repE0EEENS1_30default_config_static_selectorELNS0_4arch9wavefront6targetE0EEEvT1_.num_named_barrier, 0
	.set _ZN7rocprim17ROCPRIM_400000_NS6detail17trampoline_kernelINS0_14default_configENS1_35adjacent_difference_config_selectorILb1ElEEZNS1_24adjacent_difference_implIS3_Lb1ELb0EPlS7_ZN2at6native12_GLOBAL__N_124unique_dim_cuda_templateImEESt5tupleIJNS8_6TensorESD_SD_EERKSD_lbbbEUlllE1_EE10hipError_tPvRmT2_T3_mT4_P12ihipStream_tbEUlT_E_NS1_11comp_targetILNS1_3genE2ELNS1_11target_archE906ELNS1_3gpuE6ELNS1_3repE0EEENS1_30default_config_static_selectorELNS0_4arch9wavefront6targetE0EEEvT1_.private_seg_size, 0
	.set _ZN7rocprim17ROCPRIM_400000_NS6detail17trampoline_kernelINS0_14default_configENS1_35adjacent_difference_config_selectorILb1ElEEZNS1_24adjacent_difference_implIS3_Lb1ELb0EPlS7_ZN2at6native12_GLOBAL__N_124unique_dim_cuda_templateImEESt5tupleIJNS8_6TensorESD_SD_EERKSD_lbbbEUlllE1_EE10hipError_tPvRmT2_T3_mT4_P12ihipStream_tbEUlT_E_NS1_11comp_targetILNS1_3genE2ELNS1_11target_archE906ELNS1_3gpuE6ELNS1_3repE0EEENS1_30default_config_static_selectorELNS0_4arch9wavefront6targetE0EEEvT1_.uses_vcc, 0
	.set _ZN7rocprim17ROCPRIM_400000_NS6detail17trampoline_kernelINS0_14default_configENS1_35adjacent_difference_config_selectorILb1ElEEZNS1_24adjacent_difference_implIS3_Lb1ELb0EPlS7_ZN2at6native12_GLOBAL__N_124unique_dim_cuda_templateImEESt5tupleIJNS8_6TensorESD_SD_EERKSD_lbbbEUlllE1_EE10hipError_tPvRmT2_T3_mT4_P12ihipStream_tbEUlT_E_NS1_11comp_targetILNS1_3genE2ELNS1_11target_archE906ELNS1_3gpuE6ELNS1_3repE0EEENS1_30default_config_static_selectorELNS0_4arch9wavefront6targetE0EEEvT1_.uses_flat_scratch, 0
	.set _ZN7rocprim17ROCPRIM_400000_NS6detail17trampoline_kernelINS0_14default_configENS1_35adjacent_difference_config_selectorILb1ElEEZNS1_24adjacent_difference_implIS3_Lb1ELb0EPlS7_ZN2at6native12_GLOBAL__N_124unique_dim_cuda_templateImEESt5tupleIJNS8_6TensorESD_SD_EERKSD_lbbbEUlllE1_EE10hipError_tPvRmT2_T3_mT4_P12ihipStream_tbEUlT_E_NS1_11comp_targetILNS1_3genE2ELNS1_11target_archE906ELNS1_3gpuE6ELNS1_3repE0EEENS1_30default_config_static_selectorELNS0_4arch9wavefront6targetE0EEEvT1_.has_dyn_sized_stack, 0
	.set _ZN7rocprim17ROCPRIM_400000_NS6detail17trampoline_kernelINS0_14default_configENS1_35adjacent_difference_config_selectorILb1ElEEZNS1_24adjacent_difference_implIS3_Lb1ELb0EPlS7_ZN2at6native12_GLOBAL__N_124unique_dim_cuda_templateImEESt5tupleIJNS8_6TensorESD_SD_EERKSD_lbbbEUlllE1_EE10hipError_tPvRmT2_T3_mT4_P12ihipStream_tbEUlT_E_NS1_11comp_targetILNS1_3genE2ELNS1_11target_archE906ELNS1_3gpuE6ELNS1_3repE0EEENS1_30default_config_static_selectorELNS0_4arch9wavefront6targetE0EEEvT1_.has_recursion, 0
	.set _ZN7rocprim17ROCPRIM_400000_NS6detail17trampoline_kernelINS0_14default_configENS1_35adjacent_difference_config_selectorILb1ElEEZNS1_24adjacent_difference_implIS3_Lb1ELb0EPlS7_ZN2at6native12_GLOBAL__N_124unique_dim_cuda_templateImEESt5tupleIJNS8_6TensorESD_SD_EERKSD_lbbbEUlllE1_EE10hipError_tPvRmT2_T3_mT4_P12ihipStream_tbEUlT_E_NS1_11comp_targetILNS1_3genE2ELNS1_11target_archE906ELNS1_3gpuE6ELNS1_3repE0EEENS1_30default_config_static_selectorELNS0_4arch9wavefront6targetE0EEEvT1_.has_indirect_call, 0
	.section	.AMDGPU.csdata,"",@progbits
; Kernel info:
; codeLenInByte = 0
; TotalNumSgprs: 0
; NumVgprs: 0
; ScratchSize: 0
; MemoryBound: 0
; FloatMode: 240
; IeeeMode: 1
; LDSByteSize: 0 bytes/workgroup (compile time only)
; SGPRBlocks: 0
; VGPRBlocks: 0
; NumSGPRsForWavesPerEU: 1
; NumVGPRsForWavesPerEU: 1
; NamedBarCnt: 0
; Occupancy: 16
; WaveLimiterHint : 0
; COMPUTE_PGM_RSRC2:SCRATCH_EN: 0
; COMPUTE_PGM_RSRC2:USER_SGPR: 2
; COMPUTE_PGM_RSRC2:TRAP_HANDLER: 0
; COMPUTE_PGM_RSRC2:TGID_X_EN: 1
; COMPUTE_PGM_RSRC2:TGID_Y_EN: 0
; COMPUTE_PGM_RSRC2:TGID_Z_EN: 0
; COMPUTE_PGM_RSRC2:TIDIG_COMP_CNT: 0
	.section	.text._ZN7rocprim17ROCPRIM_400000_NS6detail17trampoline_kernelINS0_14default_configENS1_35adjacent_difference_config_selectorILb1ElEEZNS1_24adjacent_difference_implIS3_Lb1ELb0EPlS7_ZN2at6native12_GLOBAL__N_124unique_dim_cuda_templateImEESt5tupleIJNS8_6TensorESD_SD_EERKSD_lbbbEUlllE1_EE10hipError_tPvRmT2_T3_mT4_P12ihipStream_tbEUlT_E_NS1_11comp_targetILNS1_3genE9ELNS1_11target_archE1100ELNS1_3gpuE3ELNS1_3repE0EEENS1_30default_config_static_selectorELNS0_4arch9wavefront6targetE0EEEvT1_,"axG",@progbits,_ZN7rocprim17ROCPRIM_400000_NS6detail17trampoline_kernelINS0_14default_configENS1_35adjacent_difference_config_selectorILb1ElEEZNS1_24adjacent_difference_implIS3_Lb1ELb0EPlS7_ZN2at6native12_GLOBAL__N_124unique_dim_cuda_templateImEESt5tupleIJNS8_6TensorESD_SD_EERKSD_lbbbEUlllE1_EE10hipError_tPvRmT2_T3_mT4_P12ihipStream_tbEUlT_E_NS1_11comp_targetILNS1_3genE9ELNS1_11target_archE1100ELNS1_3gpuE3ELNS1_3repE0EEENS1_30default_config_static_selectorELNS0_4arch9wavefront6targetE0EEEvT1_,comdat
	.globl	_ZN7rocprim17ROCPRIM_400000_NS6detail17trampoline_kernelINS0_14default_configENS1_35adjacent_difference_config_selectorILb1ElEEZNS1_24adjacent_difference_implIS3_Lb1ELb0EPlS7_ZN2at6native12_GLOBAL__N_124unique_dim_cuda_templateImEESt5tupleIJNS8_6TensorESD_SD_EERKSD_lbbbEUlllE1_EE10hipError_tPvRmT2_T3_mT4_P12ihipStream_tbEUlT_E_NS1_11comp_targetILNS1_3genE9ELNS1_11target_archE1100ELNS1_3gpuE3ELNS1_3repE0EEENS1_30default_config_static_selectorELNS0_4arch9wavefront6targetE0EEEvT1_ ; -- Begin function _ZN7rocprim17ROCPRIM_400000_NS6detail17trampoline_kernelINS0_14default_configENS1_35adjacent_difference_config_selectorILb1ElEEZNS1_24adjacent_difference_implIS3_Lb1ELb0EPlS7_ZN2at6native12_GLOBAL__N_124unique_dim_cuda_templateImEESt5tupleIJNS8_6TensorESD_SD_EERKSD_lbbbEUlllE1_EE10hipError_tPvRmT2_T3_mT4_P12ihipStream_tbEUlT_E_NS1_11comp_targetILNS1_3genE9ELNS1_11target_archE1100ELNS1_3gpuE3ELNS1_3repE0EEENS1_30default_config_static_selectorELNS0_4arch9wavefront6targetE0EEEvT1_
	.p2align	8
	.type	_ZN7rocprim17ROCPRIM_400000_NS6detail17trampoline_kernelINS0_14default_configENS1_35adjacent_difference_config_selectorILb1ElEEZNS1_24adjacent_difference_implIS3_Lb1ELb0EPlS7_ZN2at6native12_GLOBAL__N_124unique_dim_cuda_templateImEESt5tupleIJNS8_6TensorESD_SD_EERKSD_lbbbEUlllE1_EE10hipError_tPvRmT2_T3_mT4_P12ihipStream_tbEUlT_E_NS1_11comp_targetILNS1_3genE9ELNS1_11target_archE1100ELNS1_3gpuE3ELNS1_3repE0EEENS1_30default_config_static_selectorELNS0_4arch9wavefront6targetE0EEEvT1_,@function
_ZN7rocprim17ROCPRIM_400000_NS6detail17trampoline_kernelINS0_14default_configENS1_35adjacent_difference_config_selectorILb1ElEEZNS1_24adjacent_difference_implIS3_Lb1ELb0EPlS7_ZN2at6native12_GLOBAL__N_124unique_dim_cuda_templateImEESt5tupleIJNS8_6TensorESD_SD_EERKSD_lbbbEUlllE1_EE10hipError_tPvRmT2_T3_mT4_P12ihipStream_tbEUlT_E_NS1_11comp_targetILNS1_3genE9ELNS1_11target_archE1100ELNS1_3gpuE3ELNS1_3repE0EEENS1_30default_config_static_selectorELNS0_4arch9wavefront6targetE0EEEvT1_: ; @_ZN7rocprim17ROCPRIM_400000_NS6detail17trampoline_kernelINS0_14default_configENS1_35adjacent_difference_config_selectorILb1ElEEZNS1_24adjacent_difference_implIS3_Lb1ELb0EPlS7_ZN2at6native12_GLOBAL__N_124unique_dim_cuda_templateImEESt5tupleIJNS8_6TensorESD_SD_EERKSD_lbbbEUlllE1_EE10hipError_tPvRmT2_T3_mT4_P12ihipStream_tbEUlT_E_NS1_11comp_targetILNS1_3genE9ELNS1_11target_archE1100ELNS1_3gpuE3ELNS1_3repE0EEENS1_30default_config_static_selectorELNS0_4arch9wavefront6targetE0EEEvT1_
; %bb.0:
	.section	.rodata,"a",@progbits
	.p2align	6, 0x0
	.amdhsa_kernel _ZN7rocprim17ROCPRIM_400000_NS6detail17trampoline_kernelINS0_14default_configENS1_35adjacent_difference_config_selectorILb1ElEEZNS1_24adjacent_difference_implIS3_Lb1ELb0EPlS7_ZN2at6native12_GLOBAL__N_124unique_dim_cuda_templateImEESt5tupleIJNS8_6TensorESD_SD_EERKSD_lbbbEUlllE1_EE10hipError_tPvRmT2_T3_mT4_P12ihipStream_tbEUlT_E_NS1_11comp_targetILNS1_3genE9ELNS1_11target_archE1100ELNS1_3gpuE3ELNS1_3repE0EEENS1_30default_config_static_selectorELNS0_4arch9wavefront6targetE0EEEvT1_
		.amdhsa_group_segment_fixed_size 0
		.amdhsa_private_segment_fixed_size 0
		.amdhsa_kernarg_size 64
		.amdhsa_user_sgpr_count 2
		.amdhsa_user_sgpr_dispatch_ptr 0
		.amdhsa_user_sgpr_queue_ptr 0
		.amdhsa_user_sgpr_kernarg_segment_ptr 1
		.amdhsa_user_sgpr_dispatch_id 0
		.amdhsa_user_sgpr_kernarg_preload_length 0
		.amdhsa_user_sgpr_kernarg_preload_offset 0
		.amdhsa_user_sgpr_private_segment_size 0
		.amdhsa_wavefront_size32 1
		.amdhsa_uses_dynamic_stack 0
		.amdhsa_enable_private_segment 0
		.amdhsa_system_sgpr_workgroup_id_x 1
		.amdhsa_system_sgpr_workgroup_id_y 0
		.amdhsa_system_sgpr_workgroup_id_z 0
		.amdhsa_system_sgpr_workgroup_info 0
		.amdhsa_system_vgpr_workitem_id 0
		.amdhsa_next_free_vgpr 1
		.amdhsa_next_free_sgpr 1
		.amdhsa_named_barrier_count 0
		.amdhsa_reserve_vcc 0
		.amdhsa_float_round_mode_32 0
		.amdhsa_float_round_mode_16_64 0
		.amdhsa_float_denorm_mode_32 3
		.amdhsa_float_denorm_mode_16_64 3
		.amdhsa_fp16_overflow 0
		.amdhsa_memory_ordered 1
		.amdhsa_forward_progress 1
		.amdhsa_inst_pref_size 0
		.amdhsa_round_robin_scheduling 0
		.amdhsa_exception_fp_ieee_invalid_op 0
		.amdhsa_exception_fp_denorm_src 0
		.amdhsa_exception_fp_ieee_div_zero 0
		.amdhsa_exception_fp_ieee_overflow 0
		.amdhsa_exception_fp_ieee_underflow 0
		.amdhsa_exception_fp_ieee_inexact 0
		.amdhsa_exception_int_div_zero 0
	.end_amdhsa_kernel
	.section	.text._ZN7rocprim17ROCPRIM_400000_NS6detail17trampoline_kernelINS0_14default_configENS1_35adjacent_difference_config_selectorILb1ElEEZNS1_24adjacent_difference_implIS3_Lb1ELb0EPlS7_ZN2at6native12_GLOBAL__N_124unique_dim_cuda_templateImEESt5tupleIJNS8_6TensorESD_SD_EERKSD_lbbbEUlllE1_EE10hipError_tPvRmT2_T3_mT4_P12ihipStream_tbEUlT_E_NS1_11comp_targetILNS1_3genE9ELNS1_11target_archE1100ELNS1_3gpuE3ELNS1_3repE0EEENS1_30default_config_static_selectorELNS0_4arch9wavefront6targetE0EEEvT1_,"axG",@progbits,_ZN7rocprim17ROCPRIM_400000_NS6detail17trampoline_kernelINS0_14default_configENS1_35adjacent_difference_config_selectorILb1ElEEZNS1_24adjacent_difference_implIS3_Lb1ELb0EPlS7_ZN2at6native12_GLOBAL__N_124unique_dim_cuda_templateImEESt5tupleIJNS8_6TensorESD_SD_EERKSD_lbbbEUlllE1_EE10hipError_tPvRmT2_T3_mT4_P12ihipStream_tbEUlT_E_NS1_11comp_targetILNS1_3genE9ELNS1_11target_archE1100ELNS1_3gpuE3ELNS1_3repE0EEENS1_30default_config_static_selectorELNS0_4arch9wavefront6targetE0EEEvT1_,comdat
.Lfunc_end1661:
	.size	_ZN7rocprim17ROCPRIM_400000_NS6detail17trampoline_kernelINS0_14default_configENS1_35adjacent_difference_config_selectorILb1ElEEZNS1_24adjacent_difference_implIS3_Lb1ELb0EPlS7_ZN2at6native12_GLOBAL__N_124unique_dim_cuda_templateImEESt5tupleIJNS8_6TensorESD_SD_EERKSD_lbbbEUlllE1_EE10hipError_tPvRmT2_T3_mT4_P12ihipStream_tbEUlT_E_NS1_11comp_targetILNS1_3genE9ELNS1_11target_archE1100ELNS1_3gpuE3ELNS1_3repE0EEENS1_30default_config_static_selectorELNS0_4arch9wavefront6targetE0EEEvT1_, .Lfunc_end1661-_ZN7rocprim17ROCPRIM_400000_NS6detail17trampoline_kernelINS0_14default_configENS1_35adjacent_difference_config_selectorILb1ElEEZNS1_24adjacent_difference_implIS3_Lb1ELb0EPlS7_ZN2at6native12_GLOBAL__N_124unique_dim_cuda_templateImEESt5tupleIJNS8_6TensorESD_SD_EERKSD_lbbbEUlllE1_EE10hipError_tPvRmT2_T3_mT4_P12ihipStream_tbEUlT_E_NS1_11comp_targetILNS1_3genE9ELNS1_11target_archE1100ELNS1_3gpuE3ELNS1_3repE0EEENS1_30default_config_static_selectorELNS0_4arch9wavefront6targetE0EEEvT1_
                                        ; -- End function
	.set _ZN7rocprim17ROCPRIM_400000_NS6detail17trampoline_kernelINS0_14default_configENS1_35adjacent_difference_config_selectorILb1ElEEZNS1_24adjacent_difference_implIS3_Lb1ELb0EPlS7_ZN2at6native12_GLOBAL__N_124unique_dim_cuda_templateImEESt5tupleIJNS8_6TensorESD_SD_EERKSD_lbbbEUlllE1_EE10hipError_tPvRmT2_T3_mT4_P12ihipStream_tbEUlT_E_NS1_11comp_targetILNS1_3genE9ELNS1_11target_archE1100ELNS1_3gpuE3ELNS1_3repE0EEENS1_30default_config_static_selectorELNS0_4arch9wavefront6targetE0EEEvT1_.num_vgpr, 0
	.set _ZN7rocprim17ROCPRIM_400000_NS6detail17trampoline_kernelINS0_14default_configENS1_35adjacent_difference_config_selectorILb1ElEEZNS1_24adjacent_difference_implIS3_Lb1ELb0EPlS7_ZN2at6native12_GLOBAL__N_124unique_dim_cuda_templateImEESt5tupleIJNS8_6TensorESD_SD_EERKSD_lbbbEUlllE1_EE10hipError_tPvRmT2_T3_mT4_P12ihipStream_tbEUlT_E_NS1_11comp_targetILNS1_3genE9ELNS1_11target_archE1100ELNS1_3gpuE3ELNS1_3repE0EEENS1_30default_config_static_selectorELNS0_4arch9wavefront6targetE0EEEvT1_.num_agpr, 0
	.set _ZN7rocprim17ROCPRIM_400000_NS6detail17trampoline_kernelINS0_14default_configENS1_35adjacent_difference_config_selectorILb1ElEEZNS1_24adjacent_difference_implIS3_Lb1ELb0EPlS7_ZN2at6native12_GLOBAL__N_124unique_dim_cuda_templateImEESt5tupleIJNS8_6TensorESD_SD_EERKSD_lbbbEUlllE1_EE10hipError_tPvRmT2_T3_mT4_P12ihipStream_tbEUlT_E_NS1_11comp_targetILNS1_3genE9ELNS1_11target_archE1100ELNS1_3gpuE3ELNS1_3repE0EEENS1_30default_config_static_selectorELNS0_4arch9wavefront6targetE0EEEvT1_.numbered_sgpr, 0
	.set _ZN7rocprim17ROCPRIM_400000_NS6detail17trampoline_kernelINS0_14default_configENS1_35adjacent_difference_config_selectorILb1ElEEZNS1_24adjacent_difference_implIS3_Lb1ELb0EPlS7_ZN2at6native12_GLOBAL__N_124unique_dim_cuda_templateImEESt5tupleIJNS8_6TensorESD_SD_EERKSD_lbbbEUlllE1_EE10hipError_tPvRmT2_T3_mT4_P12ihipStream_tbEUlT_E_NS1_11comp_targetILNS1_3genE9ELNS1_11target_archE1100ELNS1_3gpuE3ELNS1_3repE0EEENS1_30default_config_static_selectorELNS0_4arch9wavefront6targetE0EEEvT1_.num_named_barrier, 0
	.set _ZN7rocprim17ROCPRIM_400000_NS6detail17trampoline_kernelINS0_14default_configENS1_35adjacent_difference_config_selectorILb1ElEEZNS1_24adjacent_difference_implIS3_Lb1ELb0EPlS7_ZN2at6native12_GLOBAL__N_124unique_dim_cuda_templateImEESt5tupleIJNS8_6TensorESD_SD_EERKSD_lbbbEUlllE1_EE10hipError_tPvRmT2_T3_mT4_P12ihipStream_tbEUlT_E_NS1_11comp_targetILNS1_3genE9ELNS1_11target_archE1100ELNS1_3gpuE3ELNS1_3repE0EEENS1_30default_config_static_selectorELNS0_4arch9wavefront6targetE0EEEvT1_.private_seg_size, 0
	.set _ZN7rocprim17ROCPRIM_400000_NS6detail17trampoline_kernelINS0_14default_configENS1_35adjacent_difference_config_selectorILb1ElEEZNS1_24adjacent_difference_implIS3_Lb1ELb0EPlS7_ZN2at6native12_GLOBAL__N_124unique_dim_cuda_templateImEESt5tupleIJNS8_6TensorESD_SD_EERKSD_lbbbEUlllE1_EE10hipError_tPvRmT2_T3_mT4_P12ihipStream_tbEUlT_E_NS1_11comp_targetILNS1_3genE9ELNS1_11target_archE1100ELNS1_3gpuE3ELNS1_3repE0EEENS1_30default_config_static_selectorELNS0_4arch9wavefront6targetE0EEEvT1_.uses_vcc, 0
	.set _ZN7rocprim17ROCPRIM_400000_NS6detail17trampoline_kernelINS0_14default_configENS1_35adjacent_difference_config_selectorILb1ElEEZNS1_24adjacent_difference_implIS3_Lb1ELb0EPlS7_ZN2at6native12_GLOBAL__N_124unique_dim_cuda_templateImEESt5tupleIJNS8_6TensorESD_SD_EERKSD_lbbbEUlllE1_EE10hipError_tPvRmT2_T3_mT4_P12ihipStream_tbEUlT_E_NS1_11comp_targetILNS1_3genE9ELNS1_11target_archE1100ELNS1_3gpuE3ELNS1_3repE0EEENS1_30default_config_static_selectorELNS0_4arch9wavefront6targetE0EEEvT1_.uses_flat_scratch, 0
	.set _ZN7rocprim17ROCPRIM_400000_NS6detail17trampoline_kernelINS0_14default_configENS1_35adjacent_difference_config_selectorILb1ElEEZNS1_24adjacent_difference_implIS3_Lb1ELb0EPlS7_ZN2at6native12_GLOBAL__N_124unique_dim_cuda_templateImEESt5tupleIJNS8_6TensorESD_SD_EERKSD_lbbbEUlllE1_EE10hipError_tPvRmT2_T3_mT4_P12ihipStream_tbEUlT_E_NS1_11comp_targetILNS1_3genE9ELNS1_11target_archE1100ELNS1_3gpuE3ELNS1_3repE0EEENS1_30default_config_static_selectorELNS0_4arch9wavefront6targetE0EEEvT1_.has_dyn_sized_stack, 0
	.set _ZN7rocprim17ROCPRIM_400000_NS6detail17trampoline_kernelINS0_14default_configENS1_35adjacent_difference_config_selectorILb1ElEEZNS1_24adjacent_difference_implIS3_Lb1ELb0EPlS7_ZN2at6native12_GLOBAL__N_124unique_dim_cuda_templateImEESt5tupleIJNS8_6TensorESD_SD_EERKSD_lbbbEUlllE1_EE10hipError_tPvRmT2_T3_mT4_P12ihipStream_tbEUlT_E_NS1_11comp_targetILNS1_3genE9ELNS1_11target_archE1100ELNS1_3gpuE3ELNS1_3repE0EEENS1_30default_config_static_selectorELNS0_4arch9wavefront6targetE0EEEvT1_.has_recursion, 0
	.set _ZN7rocprim17ROCPRIM_400000_NS6detail17trampoline_kernelINS0_14default_configENS1_35adjacent_difference_config_selectorILb1ElEEZNS1_24adjacent_difference_implIS3_Lb1ELb0EPlS7_ZN2at6native12_GLOBAL__N_124unique_dim_cuda_templateImEESt5tupleIJNS8_6TensorESD_SD_EERKSD_lbbbEUlllE1_EE10hipError_tPvRmT2_T3_mT4_P12ihipStream_tbEUlT_E_NS1_11comp_targetILNS1_3genE9ELNS1_11target_archE1100ELNS1_3gpuE3ELNS1_3repE0EEENS1_30default_config_static_selectorELNS0_4arch9wavefront6targetE0EEEvT1_.has_indirect_call, 0
	.section	.AMDGPU.csdata,"",@progbits
; Kernel info:
; codeLenInByte = 0
; TotalNumSgprs: 0
; NumVgprs: 0
; ScratchSize: 0
; MemoryBound: 0
; FloatMode: 240
; IeeeMode: 1
; LDSByteSize: 0 bytes/workgroup (compile time only)
; SGPRBlocks: 0
; VGPRBlocks: 0
; NumSGPRsForWavesPerEU: 1
; NumVGPRsForWavesPerEU: 1
; NamedBarCnt: 0
; Occupancy: 16
; WaveLimiterHint : 0
; COMPUTE_PGM_RSRC2:SCRATCH_EN: 0
; COMPUTE_PGM_RSRC2:USER_SGPR: 2
; COMPUTE_PGM_RSRC2:TRAP_HANDLER: 0
; COMPUTE_PGM_RSRC2:TGID_X_EN: 1
; COMPUTE_PGM_RSRC2:TGID_Y_EN: 0
; COMPUTE_PGM_RSRC2:TGID_Z_EN: 0
; COMPUTE_PGM_RSRC2:TIDIG_COMP_CNT: 0
	.section	.text._ZN7rocprim17ROCPRIM_400000_NS6detail17trampoline_kernelINS0_14default_configENS1_35adjacent_difference_config_selectorILb1ElEEZNS1_24adjacent_difference_implIS3_Lb1ELb0EPlS7_ZN2at6native12_GLOBAL__N_124unique_dim_cuda_templateImEESt5tupleIJNS8_6TensorESD_SD_EERKSD_lbbbEUlllE1_EE10hipError_tPvRmT2_T3_mT4_P12ihipStream_tbEUlT_E_NS1_11comp_targetILNS1_3genE8ELNS1_11target_archE1030ELNS1_3gpuE2ELNS1_3repE0EEENS1_30default_config_static_selectorELNS0_4arch9wavefront6targetE0EEEvT1_,"axG",@progbits,_ZN7rocprim17ROCPRIM_400000_NS6detail17trampoline_kernelINS0_14default_configENS1_35adjacent_difference_config_selectorILb1ElEEZNS1_24adjacent_difference_implIS3_Lb1ELb0EPlS7_ZN2at6native12_GLOBAL__N_124unique_dim_cuda_templateImEESt5tupleIJNS8_6TensorESD_SD_EERKSD_lbbbEUlllE1_EE10hipError_tPvRmT2_T3_mT4_P12ihipStream_tbEUlT_E_NS1_11comp_targetILNS1_3genE8ELNS1_11target_archE1030ELNS1_3gpuE2ELNS1_3repE0EEENS1_30default_config_static_selectorELNS0_4arch9wavefront6targetE0EEEvT1_,comdat
	.globl	_ZN7rocprim17ROCPRIM_400000_NS6detail17trampoline_kernelINS0_14default_configENS1_35adjacent_difference_config_selectorILb1ElEEZNS1_24adjacent_difference_implIS3_Lb1ELb0EPlS7_ZN2at6native12_GLOBAL__N_124unique_dim_cuda_templateImEESt5tupleIJNS8_6TensorESD_SD_EERKSD_lbbbEUlllE1_EE10hipError_tPvRmT2_T3_mT4_P12ihipStream_tbEUlT_E_NS1_11comp_targetILNS1_3genE8ELNS1_11target_archE1030ELNS1_3gpuE2ELNS1_3repE0EEENS1_30default_config_static_selectorELNS0_4arch9wavefront6targetE0EEEvT1_ ; -- Begin function _ZN7rocprim17ROCPRIM_400000_NS6detail17trampoline_kernelINS0_14default_configENS1_35adjacent_difference_config_selectorILb1ElEEZNS1_24adjacent_difference_implIS3_Lb1ELb0EPlS7_ZN2at6native12_GLOBAL__N_124unique_dim_cuda_templateImEESt5tupleIJNS8_6TensorESD_SD_EERKSD_lbbbEUlllE1_EE10hipError_tPvRmT2_T3_mT4_P12ihipStream_tbEUlT_E_NS1_11comp_targetILNS1_3genE8ELNS1_11target_archE1030ELNS1_3gpuE2ELNS1_3repE0EEENS1_30default_config_static_selectorELNS0_4arch9wavefront6targetE0EEEvT1_
	.p2align	8
	.type	_ZN7rocprim17ROCPRIM_400000_NS6detail17trampoline_kernelINS0_14default_configENS1_35adjacent_difference_config_selectorILb1ElEEZNS1_24adjacent_difference_implIS3_Lb1ELb0EPlS7_ZN2at6native12_GLOBAL__N_124unique_dim_cuda_templateImEESt5tupleIJNS8_6TensorESD_SD_EERKSD_lbbbEUlllE1_EE10hipError_tPvRmT2_T3_mT4_P12ihipStream_tbEUlT_E_NS1_11comp_targetILNS1_3genE8ELNS1_11target_archE1030ELNS1_3gpuE2ELNS1_3repE0EEENS1_30default_config_static_selectorELNS0_4arch9wavefront6targetE0EEEvT1_,@function
_ZN7rocprim17ROCPRIM_400000_NS6detail17trampoline_kernelINS0_14default_configENS1_35adjacent_difference_config_selectorILb1ElEEZNS1_24adjacent_difference_implIS3_Lb1ELb0EPlS7_ZN2at6native12_GLOBAL__N_124unique_dim_cuda_templateImEESt5tupleIJNS8_6TensorESD_SD_EERKSD_lbbbEUlllE1_EE10hipError_tPvRmT2_T3_mT4_P12ihipStream_tbEUlT_E_NS1_11comp_targetILNS1_3genE8ELNS1_11target_archE1030ELNS1_3gpuE2ELNS1_3repE0EEENS1_30default_config_static_selectorELNS0_4arch9wavefront6targetE0EEEvT1_: ; @_ZN7rocprim17ROCPRIM_400000_NS6detail17trampoline_kernelINS0_14default_configENS1_35adjacent_difference_config_selectorILb1ElEEZNS1_24adjacent_difference_implIS3_Lb1ELb0EPlS7_ZN2at6native12_GLOBAL__N_124unique_dim_cuda_templateImEESt5tupleIJNS8_6TensorESD_SD_EERKSD_lbbbEUlllE1_EE10hipError_tPvRmT2_T3_mT4_P12ihipStream_tbEUlT_E_NS1_11comp_targetILNS1_3genE8ELNS1_11target_archE1030ELNS1_3gpuE2ELNS1_3repE0EEENS1_30default_config_static_selectorELNS0_4arch9wavefront6targetE0EEEvT1_
; %bb.0:
	.section	.rodata,"a",@progbits
	.p2align	6, 0x0
	.amdhsa_kernel _ZN7rocprim17ROCPRIM_400000_NS6detail17trampoline_kernelINS0_14default_configENS1_35adjacent_difference_config_selectorILb1ElEEZNS1_24adjacent_difference_implIS3_Lb1ELb0EPlS7_ZN2at6native12_GLOBAL__N_124unique_dim_cuda_templateImEESt5tupleIJNS8_6TensorESD_SD_EERKSD_lbbbEUlllE1_EE10hipError_tPvRmT2_T3_mT4_P12ihipStream_tbEUlT_E_NS1_11comp_targetILNS1_3genE8ELNS1_11target_archE1030ELNS1_3gpuE2ELNS1_3repE0EEENS1_30default_config_static_selectorELNS0_4arch9wavefront6targetE0EEEvT1_
		.amdhsa_group_segment_fixed_size 0
		.amdhsa_private_segment_fixed_size 0
		.amdhsa_kernarg_size 64
		.amdhsa_user_sgpr_count 2
		.amdhsa_user_sgpr_dispatch_ptr 0
		.amdhsa_user_sgpr_queue_ptr 0
		.amdhsa_user_sgpr_kernarg_segment_ptr 1
		.amdhsa_user_sgpr_dispatch_id 0
		.amdhsa_user_sgpr_kernarg_preload_length 0
		.amdhsa_user_sgpr_kernarg_preload_offset 0
		.amdhsa_user_sgpr_private_segment_size 0
		.amdhsa_wavefront_size32 1
		.amdhsa_uses_dynamic_stack 0
		.amdhsa_enable_private_segment 0
		.amdhsa_system_sgpr_workgroup_id_x 1
		.amdhsa_system_sgpr_workgroup_id_y 0
		.amdhsa_system_sgpr_workgroup_id_z 0
		.amdhsa_system_sgpr_workgroup_info 0
		.amdhsa_system_vgpr_workitem_id 0
		.amdhsa_next_free_vgpr 1
		.amdhsa_next_free_sgpr 1
		.amdhsa_named_barrier_count 0
		.amdhsa_reserve_vcc 0
		.amdhsa_float_round_mode_32 0
		.amdhsa_float_round_mode_16_64 0
		.amdhsa_float_denorm_mode_32 3
		.amdhsa_float_denorm_mode_16_64 3
		.amdhsa_fp16_overflow 0
		.amdhsa_memory_ordered 1
		.amdhsa_forward_progress 1
		.amdhsa_inst_pref_size 0
		.amdhsa_round_robin_scheduling 0
		.amdhsa_exception_fp_ieee_invalid_op 0
		.amdhsa_exception_fp_denorm_src 0
		.amdhsa_exception_fp_ieee_div_zero 0
		.amdhsa_exception_fp_ieee_overflow 0
		.amdhsa_exception_fp_ieee_underflow 0
		.amdhsa_exception_fp_ieee_inexact 0
		.amdhsa_exception_int_div_zero 0
	.end_amdhsa_kernel
	.section	.text._ZN7rocprim17ROCPRIM_400000_NS6detail17trampoline_kernelINS0_14default_configENS1_35adjacent_difference_config_selectorILb1ElEEZNS1_24adjacent_difference_implIS3_Lb1ELb0EPlS7_ZN2at6native12_GLOBAL__N_124unique_dim_cuda_templateImEESt5tupleIJNS8_6TensorESD_SD_EERKSD_lbbbEUlllE1_EE10hipError_tPvRmT2_T3_mT4_P12ihipStream_tbEUlT_E_NS1_11comp_targetILNS1_3genE8ELNS1_11target_archE1030ELNS1_3gpuE2ELNS1_3repE0EEENS1_30default_config_static_selectorELNS0_4arch9wavefront6targetE0EEEvT1_,"axG",@progbits,_ZN7rocprim17ROCPRIM_400000_NS6detail17trampoline_kernelINS0_14default_configENS1_35adjacent_difference_config_selectorILb1ElEEZNS1_24adjacent_difference_implIS3_Lb1ELb0EPlS7_ZN2at6native12_GLOBAL__N_124unique_dim_cuda_templateImEESt5tupleIJNS8_6TensorESD_SD_EERKSD_lbbbEUlllE1_EE10hipError_tPvRmT2_T3_mT4_P12ihipStream_tbEUlT_E_NS1_11comp_targetILNS1_3genE8ELNS1_11target_archE1030ELNS1_3gpuE2ELNS1_3repE0EEENS1_30default_config_static_selectorELNS0_4arch9wavefront6targetE0EEEvT1_,comdat
.Lfunc_end1662:
	.size	_ZN7rocprim17ROCPRIM_400000_NS6detail17trampoline_kernelINS0_14default_configENS1_35adjacent_difference_config_selectorILb1ElEEZNS1_24adjacent_difference_implIS3_Lb1ELb0EPlS7_ZN2at6native12_GLOBAL__N_124unique_dim_cuda_templateImEESt5tupleIJNS8_6TensorESD_SD_EERKSD_lbbbEUlllE1_EE10hipError_tPvRmT2_T3_mT4_P12ihipStream_tbEUlT_E_NS1_11comp_targetILNS1_3genE8ELNS1_11target_archE1030ELNS1_3gpuE2ELNS1_3repE0EEENS1_30default_config_static_selectorELNS0_4arch9wavefront6targetE0EEEvT1_, .Lfunc_end1662-_ZN7rocprim17ROCPRIM_400000_NS6detail17trampoline_kernelINS0_14default_configENS1_35adjacent_difference_config_selectorILb1ElEEZNS1_24adjacent_difference_implIS3_Lb1ELb0EPlS7_ZN2at6native12_GLOBAL__N_124unique_dim_cuda_templateImEESt5tupleIJNS8_6TensorESD_SD_EERKSD_lbbbEUlllE1_EE10hipError_tPvRmT2_T3_mT4_P12ihipStream_tbEUlT_E_NS1_11comp_targetILNS1_3genE8ELNS1_11target_archE1030ELNS1_3gpuE2ELNS1_3repE0EEENS1_30default_config_static_selectorELNS0_4arch9wavefront6targetE0EEEvT1_
                                        ; -- End function
	.set _ZN7rocprim17ROCPRIM_400000_NS6detail17trampoline_kernelINS0_14default_configENS1_35adjacent_difference_config_selectorILb1ElEEZNS1_24adjacent_difference_implIS3_Lb1ELb0EPlS7_ZN2at6native12_GLOBAL__N_124unique_dim_cuda_templateImEESt5tupleIJNS8_6TensorESD_SD_EERKSD_lbbbEUlllE1_EE10hipError_tPvRmT2_T3_mT4_P12ihipStream_tbEUlT_E_NS1_11comp_targetILNS1_3genE8ELNS1_11target_archE1030ELNS1_3gpuE2ELNS1_3repE0EEENS1_30default_config_static_selectorELNS0_4arch9wavefront6targetE0EEEvT1_.num_vgpr, 0
	.set _ZN7rocprim17ROCPRIM_400000_NS6detail17trampoline_kernelINS0_14default_configENS1_35adjacent_difference_config_selectorILb1ElEEZNS1_24adjacent_difference_implIS3_Lb1ELb0EPlS7_ZN2at6native12_GLOBAL__N_124unique_dim_cuda_templateImEESt5tupleIJNS8_6TensorESD_SD_EERKSD_lbbbEUlllE1_EE10hipError_tPvRmT2_T3_mT4_P12ihipStream_tbEUlT_E_NS1_11comp_targetILNS1_3genE8ELNS1_11target_archE1030ELNS1_3gpuE2ELNS1_3repE0EEENS1_30default_config_static_selectorELNS0_4arch9wavefront6targetE0EEEvT1_.num_agpr, 0
	.set _ZN7rocprim17ROCPRIM_400000_NS6detail17trampoline_kernelINS0_14default_configENS1_35adjacent_difference_config_selectorILb1ElEEZNS1_24adjacent_difference_implIS3_Lb1ELb0EPlS7_ZN2at6native12_GLOBAL__N_124unique_dim_cuda_templateImEESt5tupleIJNS8_6TensorESD_SD_EERKSD_lbbbEUlllE1_EE10hipError_tPvRmT2_T3_mT4_P12ihipStream_tbEUlT_E_NS1_11comp_targetILNS1_3genE8ELNS1_11target_archE1030ELNS1_3gpuE2ELNS1_3repE0EEENS1_30default_config_static_selectorELNS0_4arch9wavefront6targetE0EEEvT1_.numbered_sgpr, 0
	.set _ZN7rocprim17ROCPRIM_400000_NS6detail17trampoline_kernelINS0_14default_configENS1_35adjacent_difference_config_selectorILb1ElEEZNS1_24adjacent_difference_implIS3_Lb1ELb0EPlS7_ZN2at6native12_GLOBAL__N_124unique_dim_cuda_templateImEESt5tupleIJNS8_6TensorESD_SD_EERKSD_lbbbEUlllE1_EE10hipError_tPvRmT2_T3_mT4_P12ihipStream_tbEUlT_E_NS1_11comp_targetILNS1_3genE8ELNS1_11target_archE1030ELNS1_3gpuE2ELNS1_3repE0EEENS1_30default_config_static_selectorELNS0_4arch9wavefront6targetE0EEEvT1_.num_named_barrier, 0
	.set _ZN7rocprim17ROCPRIM_400000_NS6detail17trampoline_kernelINS0_14default_configENS1_35adjacent_difference_config_selectorILb1ElEEZNS1_24adjacent_difference_implIS3_Lb1ELb0EPlS7_ZN2at6native12_GLOBAL__N_124unique_dim_cuda_templateImEESt5tupleIJNS8_6TensorESD_SD_EERKSD_lbbbEUlllE1_EE10hipError_tPvRmT2_T3_mT4_P12ihipStream_tbEUlT_E_NS1_11comp_targetILNS1_3genE8ELNS1_11target_archE1030ELNS1_3gpuE2ELNS1_3repE0EEENS1_30default_config_static_selectorELNS0_4arch9wavefront6targetE0EEEvT1_.private_seg_size, 0
	.set _ZN7rocprim17ROCPRIM_400000_NS6detail17trampoline_kernelINS0_14default_configENS1_35adjacent_difference_config_selectorILb1ElEEZNS1_24adjacent_difference_implIS3_Lb1ELb0EPlS7_ZN2at6native12_GLOBAL__N_124unique_dim_cuda_templateImEESt5tupleIJNS8_6TensorESD_SD_EERKSD_lbbbEUlllE1_EE10hipError_tPvRmT2_T3_mT4_P12ihipStream_tbEUlT_E_NS1_11comp_targetILNS1_3genE8ELNS1_11target_archE1030ELNS1_3gpuE2ELNS1_3repE0EEENS1_30default_config_static_selectorELNS0_4arch9wavefront6targetE0EEEvT1_.uses_vcc, 0
	.set _ZN7rocprim17ROCPRIM_400000_NS6detail17trampoline_kernelINS0_14default_configENS1_35adjacent_difference_config_selectorILb1ElEEZNS1_24adjacent_difference_implIS3_Lb1ELb0EPlS7_ZN2at6native12_GLOBAL__N_124unique_dim_cuda_templateImEESt5tupleIJNS8_6TensorESD_SD_EERKSD_lbbbEUlllE1_EE10hipError_tPvRmT2_T3_mT4_P12ihipStream_tbEUlT_E_NS1_11comp_targetILNS1_3genE8ELNS1_11target_archE1030ELNS1_3gpuE2ELNS1_3repE0EEENS1_30default_config_static_selectorELNS0_4arch9wavefront6targetE0EEEvT1_.uses_flat_scratch, 0
	.set _ZN7rocprim17ROCPRIM_400000_NS6detail17trampoline_kernelINS0_14default_configENS1_35adjacent_difference_config_selectorILb1ElEEZNS1_24adjacent_difference_implIS3_Lb1ELb0EPlS7_ZN2at6native12_GLOBAL__N_124unique_dim_cuda_templateImEESt5tupleIJNS8_6TensorESD_SD_EERKSD_lbbbEUlllE1_EE10hipError_tPvRmT2_T3_mT4_P12ihipStream_tbEUlT_E_NS1_11comp_targetILNS1_3genE8ELNS1_11target_archE1030ELNS1_3gpuE2ELNS1_3repE0EEENS1_30default_config_static_selectorELNS0_4arch9wavefront6targetE0EEEvT1_.has_dyn_sized_stack, 0
	.set _ZN7rocprim17ROCPRIM_400000_NS6detail17trampoline_kernelINS0_14default_configENS1_35adjacent_difference_config_selectorILb1ElEEZNS1_24adjacent_difference_implIS3_Lb1ELb0EPlS7_ZN2at6native12_GLOBAL__N_124unique_dim_cuda_templateImEESt5tupleIJNS8_6TensorESD_SD_EERKSD_lbbbEUlllE1_EE10hipError_tPvRmT2_T3_mT4_P12ihipStream_tbEUlT_E_NS1_11comp_targetILNS1_3genE8ELNS1_11target_archE1030ELNS1_3gpuE2ELNS1_3repE0EEENS1_30default_config_static_selectorELNS0_4arch9wavefront6targetE0EEEvT1_.has_recursion, 0
	.set _ZN7rocprim17ROCPRIM_400000_NS6detail17trampoline_kernelINS0_14default_configENS1_35adjacent_difference_config_selectorILb1ElEEZNS1_24adjacent_difference_implIS3_Lb1ELb0EPlS7_ZN2at6native12_GLOBAL__N_124unique_dim_cuda_templateImEESt5tupleIJNS8_6TensorESD_SD_EERKSD_lbbbEUlllE1_EE10hipError_tPvRmT2_T3_mT4_P12ihipStream_tbEUlT_E_NS1_11comp_targetILNS1_3genE8ELNS1_11target_archE1030ELNS1_3gpuE2ELNS1_3repE0EEENS1_30default_config_static_selectorELNS0_4arch9wavefront6targetE0EEEvT1_.has_indirect_call, 0
	.section	.AMDGPU.csdata,"",@progbits
; Kernel info:
; codeLenInByte = 0
; TotalNumSgprs: 0
; NumVgprs: 0
; ScratchSize: 0
; MemoryBound: 0
; FloatMode: 240
; IeeeMode: 1
; LDSByteSize: 0 bytes/workgroup (compile time only)
; SGPRBlocks: 0
; VGPRBlocks: 0
; NumSGPRsForWavesPerEU: 1
; NumVGPRsForWavesPerEU: 1
; NamedBarCnt: 0
; Occupancy: 16
; WaveLimiterHint : 0
; COMPUTE_PGM_RSRC2:SCRATCH_EN: 0
; COMPUTE_PGM_RSRC2:USER_SGPR: 2
; COMPUTE_PGM_RSRC2:TRAP_HANDLER: 0
; COMPUTE_PGM_RSRC2:TGID_X_EN: 1
; COMPUTE_PGM_RSRC2:TGID_Y_EN: 0
; COMPUTE_PGM_RSRC2:TGID_Z_EN: 0
; COMPUTE_PGM_RSRC2:TIDIG_COMP_CNT: 0
	.section	.text._ZN7rocprim17ROCPRIM_400000_NS6detail17trampoline_kernelINS0_14default_configENS1_25partition_config_selectorILNS1_17partition_subalgoE8ElNS0_10empty_typeEbEEZZNS1_14partition_implILS5_8ELb0ES3_jPlPS6_PKS6_NS0_5tupleIJS9_S6_EEENSD_IJSA_SA_EEENS0_18inequality_wrapperIZN2at6native12_GLOBAL__N_124unique_dim_cuda_templateImEESt5tupleIJNSH_6TensorESM_SM_EERKSM_lbbbEUlllE0_EEPmJS6_EEE10hipError_tPvRmT3_T4_T5_T6_T7_T9_mT8_P12ihipStream_tbDpT10_ENKUlT_T0_E_clISt17integral_constantIbLb0EES1C_EEDaS17_S18_EUlS17_E_NS1_11comp_targetILNS1_3genE0ELNS1_11target_archE4294967295ELNS1_3gpuE0ELNS1_3repE0EEENS1_30default_config_static_selectorELNS0_4arch9wavefront6targetE0EEEvT1_,"axG",@progbits,_ZN7rocprim17ROCPRIM_400000_NS6detail17trampoline_kernelINS0_14default_configENS1_25partition_config_selectorILNS1_17partition_subalgoE8ElNS0_10empty_typeEbEEZZNS1_14partition_implILS5_8ELb0ES3_jPlPS6_PKS6_NS0_5tupleIJS9_S6_EEENSD_IJSA_SA_EEENS0_18inequality_wrapperIZN2at6native12_GLOBAL__N_124unique_dim_cuda_templateImEESt5tupleIJNSH_6TensorESM_SM_EERKSM_lbbbEUlllE0_EEPmJS6_EEE10hipError_tPvRmT3_T4_T5_T6_T7_T9_mT8_P12ihipStream_tbDpT10_ENKUlT_T0_E_clISt17integral_constantIbLb0EES1C_EEDaS17_S18_EUlS17_E_NS1_11comp_targetILNS1_3genE0ELNS1_11target_archE4294967295ELNS1_3gpuE0ELNS1_3repE0EEENS1_30default_config_static_selectorELNS0_4arch9wavefront6targetE0EEEvT1_,comdat
	.globl	_ZN7rocprim17ROCPRIM_400000_NS6detail17trampoline_kernelINS0_14default_configENS1_25partition_config_selectorILNS1_17partition_subalgoE8ElNS0_10empty_typeEbEEZZNS1_14partition_implILS5_8ELb0ES3_jPlPS6_PKS6_NS0_5tupleIJS9_S6_EEENSD_IJSA_SA_EEENS0_18inequality_wrapperIZN2at6native12_GLOBAL__N_124unique_dim_cuda_templateImEESt5tupleIJNSH_6TensorESM_SM_EERKSM_lbbbEUlllE0_EEPmJS6_EEE10hipError_tPvRmT3_T4_T5_T6_T7_T9_mT8_P12ihipStream_tbDpT10_ENKUlT_T0_E_clISt17integral_constantIbLb0EES1C_EEDaS17_S18_EUlS17_E_NS1_11comp_targetILNS1_3genE0ELNS1_11target_archE4294967295ELNS1_3gpuE0ELNS1_3repE0EEENS1_30default_config_static_selectorELNS0_4arch9wavefront6targetE0EEEvT1_ ; -- Begin function _ZN7rocprim17ROCPRIM_400000_NS6detail17trampoline_kernelINS0_14default_configENS1_25partition_config_selectorILNS1_17partition_subalgoE8ElNS0_10empty_typeEbEEZZNS1_14partition_implILS5_8ELb0ES3_jPlPS6_PKS6_NS0_5tupleIJS9_S6_EEENSD_IJSA_SA_EEENS0_18inequality_wrapperIZN2at6native12_GLOBAL__N_124unique_dim_cuda_templateImEESt5tupleIJNSH_6TensorESM_SM_EERKSM_lbbbEUlllE0_EEPmJS6_EEE10hipError_tPvRmT3_T4_T5_T6_T7_T9_mT8_P12ihipStream_tbDpT10_ENKUlT_T0_E_clISt17integral_constantIbLb0EES1C_EEDaS17_S18_EUlS17_E_NS1_11comp_targetILNS1_3genE0ELNS1_11target_archE4294967295ELNS1_3gpuE0ELNS1_3repE0EEENS1_30default_config_static_selectorELNS0_4arch9wavefront6targetE0EEEvT1_
	.p2align	8
	.type	_ZN7rocprim17ROCPRIM_400000_NS6detail17trampoline_kernelINS0_14default_configENS1_25partition_config_selectorILNS1_17partition_subalgoE8ElNS0_10empty_typeEbEEZZNS1_14partition_implILS5_8ELb0ES3_jPlPS6_PKS6_NS0_5tupleIJS9_S6_EEENSD_IJSA_SA_EEENS0_18inequality_wrapperIZN2at6native12_GLOBAL__N_124unique_dim_cuda_templateImEESt5tupleIJNSH_6TensorESM_SM_EERKSM_lbbbEUlllE0_EEPmJS6_EEE10hipError_tPvRmT3_T4_T5_T6_T7_T9_mT8_P12ihipStream_tbDpT10_ENKUlT_T0_E_clISt17integral_constantIbLb0EES1C_EEDaS17_S18_EUlS17_E_NS1_11comp_targetILNS1_3genE0ELNS1_11target_archE4294967295ELNS1_3gpuE0ELNS1_3repE0EEENS1_30default_config_static_selectorELNS0_4arch9wavefront6targetE0EEEvT1_,@function
_ZN7rocprim17ROCPRIM_400000_NS6detail17trampoline_kernelINS0_14default_configENS1_25partition_config_selectorILNS1_17partition_subalgoE8ElNS0_10empty_typeEbEEZZNS1_14partition_implILS5_8ELb0ES3_jPlPS6_PKS6_NS0_5tupleIJS9_S6_EEENSD_IJSA_SA_EEENS0_18inequality_wrapperIZN2at6native12_GLOBAL__N_124unique_dim_cuda_templateImEESt5tupleIJNSH_6TensorESM_SM_EERKSM_lbbbEUlllE0_EEPmJS6_EEE10hipError_tPvRmT3_T4_T5_T6_T7_T9_mT8_P12ihipStream_tbDpT10_ENKUlT_T0_E_clISt17integral_constantIbLb0EES1C_EEDaS17_S18_EUlS17_E_NS1_11comp_targetILNS1_3genE0ELNS1_11target_archE4294967295ELNS1_3gpuE0ELNS1_3repE0EEENS1_30default_config_static_selectorELNS0_4arch9wavefront6targetE0EEEvT1_: ; @_ZN7rocprim17ROCPRIM_400000_NS6detail17trampoline_kernelINS0_14default_configENS1_25partition_config_selectorILNS1_17partition_subalgoE8ElNS0_10empty_typeEbEEZZNS1_14partition_implILS5_8ELb0ES3_jPlPS6_PKS6_NS0_5tupleIJS9_S6_EEENSD_IJSA_SA_EEENS0_18inequality_wrapperIZN2at6native12_GLOBAL__N_124unique_dim_cuda_templateImEESt5tupleIJNSH_6TensorESM_SM_EERKSM_lbbbEUlllE0_EEPmJS6_EEE10hipError_tPvRmT3_T4_T5_T6_T7_T9_mT8_P12ihipStream_tbDpT10_ENKUlT_T0_E_clISt17integral_constantIbLb0EES1C_EEDaS17_S18_EUlS17_E_NS1_11comp_targetILNS1_3genE0ELNS1_11target_archE4294967295ELNS1_3gpuE0ELNS1_3repE0EEENS1_30default_config_static_selectorELNS0_4arch9wavefront6targetE0EEEvT1_
; %bb.0:
	s_clause 0x3
	s_load_b128 s[4:7], s[0:1], 0x8
	s_load_b256 s[12:19], s[0:1], 0x40
	s_load_b32 s24, s[0:1], 0x70
	s_load_b128 s[8:11], s[0:1], 0x60
	s_bfe_u32 s20, ttmp6, 0x4000c
	s_and_b32 s2, ttmp6, 15
	s_add_co_i32 s20, s20, 1
	s_mov_b32 s3, 0
	s_mul_i32 s20, ttmp9, s20
	s_getreg_b32 s22, hwreg(HW_REG_IB_STS2, 6, 4)
	s_add_co_i32 s20, s2, s20
	s_mov_b32 s25, s3
	v_dual_mov_b32 v1, v0 :: v_dual_lshlrev_b32 v18, 3, v0
	s_mov_b32 s21, -1
	s_wait_kmcnt 0x0
	s_lshl_b64 s[26:27], s[6:7], 3
	s_load_b64 s[14:15], s[14:15], 0x0
	s_mul_i32 s2, s24, 0xe00
	s_cmp_eq_u32 s22, 0
	s_add_nc_u64 s[22:23], s[6:7], s[2:3]
	s_cselect_b32 s20, ttmp9, s20
	s_add_co_i32 s2, s2, s6
	v_cmp_le_u64_e64 s17, s[16:17], s[22:23]
	s_add_co_i32 s24, s24, -1
	s_sub_co_i32 s23, s16, s2
	s_cmp_eq_u32 s20, s24
	s_mul_i32 s24, s20, 0xe00
	s_cselect_b32 s16, -1, 0
	s_add_nc_u64 s[2:3], s[4:5], s[26:27]
	s_and_b32 s22, s16, s17
	s_lshl_b64 s[4:5], s[24:25], 3
	s_xor_b32 s17, s22, -1
	s_add_nc_u64 s[2:3], s[2:3], s[4:5]
	s_and_b32 vcc_lo, exec_lo, s17
	s_cbranch_vccz .LBB1663_2
; %bb.1:
	s_clause 0x6
	global_load_b64 v[2:3], v0, s[2:3] scale_offset
	global_load_b64 v[4:5], v0, s[2:3] offset:4096 scale_offset
	global_load_b64 v[6:7], v0, s[2:3] offset:8192 scale_offset
	;; [unrolled: 1-line block ×6, first 2 shown]
	v_lshlrev_b32_e32 v16, 3, v0
	s_mov_b32 s21, 0
	s_wait_loadcnt 0x5
	ds_store_2addr_stride64_b64 v16, v[2:3], v[4:5] offset1:8
	s_wait_loadcnt 0x3
	ds_store_2addr_stride64_b64 v16, v[6:7], v[8:9] offset0:16 offset1:24
	s_wait_loadcnt 0x1
	ds_store_2addr_stride64_b64 v16, v[10:11], v[12:13] offset0:32 offset1:40
	s_wait_loadcnt 0x0
	ds_store_b64 v16, v[14:15] offset:24576
	s_wait_dscnt 0x0
	s_barrier_signal -1
	s_barrier_wait -1
.LBB1663_2:
	s_and_not1_b32 vcc_lo, exec_lo, s21
	s_add_co_i32 s21, s23, 0xe00
	s_cbranch_vccnz .LBB1663_18
; %bb.3:
	v_mov_b32_e32 v2, 0
	s_mov_b32 s4, exec_lo
	s_delay_alu instid0(VALU_DEP_1)
	v_dual_mov_b32 v3, v2 :: v_dual_mov_b32 v4, v2
	v_dual_mov_b32 v5, v2 :: v_dual_mov_b32 v6, v2
	;; [unrolled: 1-line block ×6, first 2 shown]
	v_mov_b32_e32 v15, v2
	v_cmpx_gt_u32_e64 s21, v0
	s_cbranch_execz .LBB1663_5
; %bb.4:
	global_load_b64 v[4:5], v0, s[2:3] scale_offset
	v_dual_mov_b32 v6, v2 :: v_dual_mov_b32 v7, v2
	v_dual_mov_b32 v8, v2 :: v_dual_mov_b32 v9, v2
	;; [unrolled: 1-line block ×6, first 2 shown]
	s_wait_loadcnt 0x0
	v_mov_b64_e32 v[2:3], v[4:5]
	v_mov_b64_e32 v[4:5], v[6:7]
	;; [unrolled: 1-line block ×8, first 2 shown]
.LBB1663_5:
	s_or_b32 exec_lo, exec_lo, s4
	v_or_b32_e32 v16, 0x200, v0
	s_mov_b32 s4, exec_lo
	s_delay_alu instid0(VALU_DEP_1)
	v_cmpx_gt_u32_e64 s21, v16
	s_cbranch_execz .LBB1663_7
; %bb.6:
	global_load_b64 v[4:5], v0, s[2:3] offset:4096 scale_offset
.LBB1663_7:
	s_wait_xcnt 0x0
	s_or_b32 exec_lo, exec_lo, s4
	v_or_b32_e32 v16, 0x400, v0
	s_mov_b32 s4, exec_lo
	s_delay_alu instid0(VALU_DEP_1)
	v_cmpx_gt_u32_e64 s21, v16
	s_cbranch_execz .LBB1663_9
; %bb.8:
	global_load_b64 v[6:7], v0, s[2:3] offset:8192 scale_offset
.LBB1663_9:
	s_wait_xcnt 0x0
	;; [unrolled: 10-line block ×6, first 2 shown]
	s_or_b32 exec_lo, exec_lo, s4
	v_lshlrev_b32_e32 v16, 3, v0
	s_wait_loadcnt 0x0
	ds_store_2addr_stride64_b64 v16, v[2:3], v[4:5] offset1:8
	ds_store_2addr_stride64_b64 v16, v[6:7], v[8:9] offset0:16 offset1:24
	ds_store_2addr_stride64_b64 v16, v[10:11], v[12:13] offset0:32 offset1:40
	ds_store_b64 v16, v[14:15] offset:24576
	s_wait_dscnt 0x0
	s_barrier_signal -1
	s_barrier_wait -1
.LBB1663_18:
	v_mul_u32_u24_e32 v19, 7, v0
	s_cmp_lg_u32 s20, 0
	v_cmp_gt_i64_e64 s24, s[18:19], 0
	s_cselect_b32 s23, -1, 0
	v_lshlrev_b32_e32 v24, 3, v19
	s_cmp_lg_u64 s[6:7], 0
	s_mov_b32 s6, 0
	s_cselect_b32 s4, -1, 0
	ds_load_2addr_b64 v[10:13], v24 offset1:1
	ds_load_2addr_b64 v[6:9], v24 offset0:2 offset1:3
	ds_load_2addr_b64 v[2:5], v24 offset0:4 offset1:5
	ds_load_b64 v[14:15], v24 offset:48
	s_or_b32 s4, s23, s4
	s_wait_dscnt 0x0
	s_and_b32 vcc_lo, exec_lo, s4
	s_barrier_signal -1
	s_barrier_wait -1
	s_cbranch_vccz .LBB1663_34
; %bb.19:
	s_add_nc_u64 s[2:3], s[2:3], -8
	v_cndmask_b32_e64 v25, 0, 1, s24
	s_load_b64 s[4:5], s[2:3], 0x0
	v_lshlrev_b32_e32 v26, 3, v0
	s_and_b32 vcc_lo, exec_lo, s17
	s_wait_xcnt 0x0
	v_cmp_ne_u32_e64 s2, 1, v25
	ds_store_b64 v26, v[14:15]
	s_cbranch_vccz .LBB1663_36
; %bb.20:
	s_and_b32 vcc_lo, exec_lo, s2
	s_cbranch_vccnz .LBB1663_37
; %bb.21:
	v_mul_u64_e32 v[16:17], s[18:19], v[4:5]
	v_mul_u64_e32 v[20:21], s[18:19], v[14:15]
	s_add_nc_u64 s[6:7], s[18:19], -1
	s_mov_b32 s26, 0
	s_mov_b64 s[2:3], s[6:7]
                                        ; implicit-def: $sgpr25
	s_delay_alu instid0(VALU_DEP_2) | instskip(NEXT) | instid1(VALU_DEP_2)
	v_lshl_add_u64 v[16:17], v[16:17], 3, s[8:9]
	v_lshl_add_u64 v[20:21], v[20:21], 3, s[8:9]
	s_delay_alu instid0(VALU_DEP_2)
	v_mov_b64_e32 v[22:23], v[16:17]
.LBB1663_22:                            ; =>This Inner Loop Header: Depth=1
	global_load_b64 v[28:29], v[22:23], off
	global_load_b64 v[30:31], v[20:21], off
	s_cmp_eq_u64 s[2:3], 0
	s_add_nc_u64 s[28:29], s[2:3], -1
	s_cselect_b32 s3, -1, 0
	s_wait_xcnt 0x1
	v_add_nc_u64_e32 v[22:23], 8, v[22:23]
	s_wait_xcnt 0x0
	v_add_nc_u64_e32 v[20:21], 8, v[20:21]
	s_wait_loadcnt 0x0
	v_cmp_ne_u64_e32 vcc_lo, v[28:29], v[30:31]
	v_cmp_eq_u64_e64 s2, v[28:29], v[30:31]
	s_or_b32 s3, vcc_lo, s3
	s_delay_alu instid0(SALU_CYCLE_1) | instskip(NEXT) | instid1(SALU_CYCLE_1)
	s_and_b32 s3, exec_lo, s3
	s_or_b32 s26, s3, s26
	s_and_not1_b32 s25, s25, exec_lo
	s_and_b32 s27, s2, exec_lo
	s_mov_b64 s[2:3], s[28:29]
	s_or_b32 s25, s25, s27
	s_and_not1_b32 exec_lo, exec_lo, s26
	s_cbranch_execnz .LBB1663_22
; %bb.23:
	s_or_b32 exec_lo, exec_lo, s26
	v_mul_u64_e32 v[20:21], s[18:19], v[2:3]
	s_mov_b32 s27, 0
	s_mov_b64 s[2:3], s[6:7]
                                        ; implicit-def: $sgpr26
	s_delay_alu instid0(VALU_DEP_1) | instskip(NEXT) | instid1(VALU_DEP_1)
	v_lshl_add_u64 v[20:21], v[20:21], 3, s[8:9]
	v_mov_b64_e32 v[22:23], v[20:21]
.LBB1663_24:                            ; =>This Inner Loop Header: Depth=1
	global_load_b64 v[28:29], v[22:23], off
	global_load_b64 v[30:31], v[16:17], off
	s_cmp_eq_u64 s[2:3], 0
	s_add_nc_u64 s[28:29], s[2:3], -1
	s_cselect_b32 s3, -1, 0
	s_wait_xcnt 0x1
	v_add_nc_u64_e32 v[22:23], 8, v[22:23]
	s_wait_xcnt 0x0
	v_add_nc_u64_e32 v[16:17], 8, v[16:17]
	s_wait_loadcnt 0x0
	v_cmp_ne_u64_e32 vcc_lo, v[28:29], v[30:31]
	v_cmp_eq_u64_e64 s2, v[28:29], v[30:31]
	s_or_b32 s3, vcc_lo, s3
	s_delay_alu instid0(SALU_CYCLE_1) | instskip(NEXT) | instid1(SALU_CYCLE_1)
	s_and_b32 s3, exec_lo, s3
	s_or_b32 s27, s3, s27
	s_and_not1_b32 s26, s26, exec_lo
	s_and_b32 s30, s2, exec_lo
	s_mov_b64 s[2:3], s[28:29]
	s_or_b32 s26, s26, s30
	s_and_not1_b32 exec_lo, exec_lo, s27
	s_cbranch_execnz .LBB1663_24
; %bb.25:
	s_or_b32 exec_lo, exec_lo, s27
	v_mul_u64_e32 v[16:17], s[18:19], v[8:9]
	s_mov_b32 s28, 0
	s_mov_b64 s[2:3], s[6:7]
                                        ; implicit-def: $sgpr27
	s_delay_alu instid0(VALU_DEP_1) | instskip(NEXT) | instid1(VALU_DEP_1)
	v_lshl_add_u64 v[16:17], v[16:17], 3, s[8:9]
	v_mov_b64_e32 v[22:23], v[16:17]
.LBB1663_26:                            ; =>This Inner Loop Header: Depth=1
	global_load_b64 v[28:29], v[22:23], off
	global_load_b64 v[30:31], v[20:21], off
	s_cmp_eq_u64 s[2:3], 0
	s_add_nc_u64 s[30:31], s[2:3], -1
	s_cselect_b32 s3, -1, 0
	s_wait_xcnt 0x1
	v_add_nc_u64_e32 v[22:23], 8, v[22:23]
	s_wait_xcnt 0x0
	v_add_nc_u64_e32 v[20:21], 8, v[20:21]
	s_wait_loadcnt 0x0
	v_cmp_ne_u64_e32 vcc_lo, v[28:29], v[30:31]
	v_cmp_eq_u64_e64 s2, v[28:29], v[30:31]
	s_or_b32 s3, vcc_lo, s3
	s_delay_alu instid0(SALU_CYCLE_1) | instskip(NEXT) | instid1(SALU_CYCLE_1)
	s_and_b32 s3, exec_lo, s3
	s_or_b32 s28, s3, s28
	s_and_not1_b32 s27, s27, exec_lo
	s_and_b32 s29, s2, exec_lo
	s_mov_b64 s[2:3], s[30:31]
	s_or_b32 s27, s27, s29
	s_and_not1_b32 exec_lo, exec_lo, s28
	s_cbranch_execnz .LBB1663_26
; %bb.27:
	s_or_b32 exec_lo, exec_lo, s28
	v_mul_u64_e32 v[20:21], s[18:19], v[6:7]
	s_mov_b32 s29, 0
	s_mov_b64 s[2:3], s[6:7]
                                        ; implicit-def: $sgpr28
	s_delay_alu instid0(VALU_DEP_1) | instskip(NEXT) | instid1(VALU_DEP_1)
	v_lshl_add_u64 v[20:21], v[20:21], 3, s[8:9]
	v_mov_b64_e32 v[22:23], v[20:21]
.LBB1663_28:                            ; =>This Inner Loop Header: Depth=1
	global_load_b64 v[28:29], v[22:23], off
	global_load_b64 v[30:31], v[16:17], off
	s_cmp_eq_u64 s[2:3], 0
	s_add_nc_u64 s[30:31], s[2:3], -1
	s_cselect_b32 s3, -1, 0
	s_wait_xcnt 0x1
	v_add_nc_u64_e32 v[22:23], 8, v[22:23]
	s_wait_xcnt 0x0
	v_add_nc_u64_e32 v[16:17], 8, v[16:17]
	s_wait_loadcnt 0x0
	v_cmp_ne_u64_e32 vcc_lo, v[28:29], v[30:31]
	v_cmp_eq_u64_e64 s2, v[28:29], v[30:31]
	s_or_b32 s3, vcc_lo, s3
	s_delay_alu instid0(SALU_CYCLE_1) | instskip(NEXT) | instid1(SALU_CYCLE_1)
	s_and_b32 s3, exec_lo, s3
	s_or_b32 s29, s3, s29
	s_and_not1_b32 s28, s28, exec_lo
	s_and_b32 s33, s2, exec_lo
	s_mov_b64 s[2:3], s[30:31]
	s_or_b32 s28, s28, s33
	s_and_not1_b32 exec_lo, exec_lo, s29
	s_cbranch_execnz .LBB1663_28
; %bb.29:
	s_or_b32 exec_lo, exec_lo, s29
	v_mul_u64_e32 v[16:17], s[18:19], v[12:13]
	s_mov_b32 s30, 0
	s_mov_b64 s[2:3], s[6:7]
                                        ; implicit-def: $sgpr29
	s_delay_alu instid0(VALU_DEP_1) | instskip(NEXT) | instid1(VALU_DEP_1)
	v_lshl_add_u64 v[16:17], v[16:17], 3, s[8:9]
	v_mov_b64_e32 v[22:23], v[16:17]
.LBB1663_30:                            ; =>This Inner Loop Header: Depth=1
	global_load_b64 v[28:29], v[22:23], off
	global_load_b64 v[30:31], v[20:21], off
	s_cmp_eq_u64 s[2:3], 0
	s_add_nc_u64 s[34:35], s[2:3], -1
	s_cselect_b32 s3, -1, 0
	s_wait_xcnt 0x1
	v_add_nc_u64_e32 v[22:23], 8, v[22:23]
	s_wait_xcnt 0x0
	v_add_nc_u64_e32 v[20:21], 8, v[20:21]
	s_wait_loadcnt 0x0
	v_cmp_ne_u64_e32 vcc_lo, v[28:29], v[30:31]
	v_cmp_eq_u64_e64 s2, v[28:29], v[30:31]
	s_or_b32 s3, vcc_lo, s3
	s_delay_alu instid0(SALU_CYCLE_1) | instskip(NEXT) | instid1(SALU_CYCLE_1)
	s_and_b32 s3, exec_lo, s3
	s_or_b32 s30, s3, s30
	s_and_not1_b32 s29, s29, exec_lo
	s_and_b32 s31, s2, exec_lo
	s_mov_b64 s[2:3], s[34:35]
	s_or_b32 s29, s29, s31
	s_and_not1_b32 exec_lo, exec_lo, s30
	s_cbranch_execnz .LBB1663_30
; %bb.31:
	s_or_b32 exec_lo, exec_lo, s30
	v_mul_u64_e32 v[20:21], s[18:19], v[10:11]
	s_mov_b32 s30, 0
                                        ; implicit-def: $sgpr3
	s_delay_alu instid0(VALU_DEP_1)
	v_lshl_add_u64 v[20:21], v[20:21], 3, s[8:9]
.LBB1663_32:                            ; =>This Inner Loop Header: Depth=1
	global_load_b64 v[22:23], v[20:21], off
	global_load_b64 v[28:29], v[16:17], off
	s_cmp_eq_u64 s[6:7], 0
	s_add_nc_u64 s[34:35], s[6:7], -1
	s_cselect_b32 s6, -1, 0
	s_wait_xcnt 0x1
	v_add_nc_u64_e32 v[20:21], 8, v[20:21]
	s_wait_xcnt 0x0
	v_add_nc_u64_e32 v[16:17], 8, v[16:17]
	s_wait_loadcnt 0x0
	v_cmp_ne_u64_e32 vcc_lo, v[22:23], v[28:29]
	v_cmp_eq_u64_e64 s2, v[22:23], v[28:29]
	s_or_b32 s6, vcc_lo, s6
	s_delay_alu instid0(SALU_CYCLE_1) | instskip(NEXT) | instid1(SALU_CYCLE_1)
	s_and_b32 s6, exec_lo, s6
	s_or_b32 s30, s6, s30
	s_and_not1_b32 s3, s3, exec_lo
	s_and_b32 s2, s2, exec_lo
	s_mov_b64 s[6:7], s[34:35]
	s_or_b32 s3, s3, s2
	s_and_not1_b32 exec_lo, exec_lo, s30
	s_cbranch_execnz .LBB1663_32
; %bb.33:
	s_or_b32 exec_lo, exec_lo, s30
	s_xor_b32 s2, s28, -1
	s_xor_b32 s3, s3, -1
	v_cndmask_b32_e64 v16, 0, 1, s2
	s_xor_b32 s2, s29, -1
	s_delay_alu instid0(SALU_CYCLE_1) | instskip(SKIP_1) | instid1(VALU_DEP_2)
	v_cndmask_b32_e64 v17, 0, 1, s2
	s_xor_b32 s2, s26, -1
	v_lshlrev_b16 v16, 8, v16
	v_cndmask_b32_e64 v31, 0, 1, s2
	s_xor_b32 s2, s25, -1
	s_delay_alu instid0(SALU_CYCLE_1) | instskip(NEXT) | instid1(VALU_DEP_3)
	v_cndmask_b32_e64 v30, 0, 1, s2
	v_lshrrev_b32_e32 v16, 8, v16
	s_xor_b32 s2, s27, -1
	s_delay_alu instid0(VALU_DEP_1) | instskip(NEXT) | instid1(VALU_DEP_1)
	v_and_b32_e32 v16, 1, v16
	v_lshlrev_b16 v16, 8, v16
	s_delay_alu instid0(VALU_DEP_1) | instskip(SKIP_1) | instid1(VALU_DEP_2)
	v_or_b32_e32 v16, v17, v16
	v_cndmask_b32_e64 v17, 0, 1, s2
	v_lshlrev_b32_e32 v16, 16, v16
	s_branch .LBB1663_38
.LBB1663_34:
                                        ; implicit-def: $sgpr2
                                        ; implicit-def: $vgpr30
                                        ; implicit-def: $vgpr31
                                        ; implicit-def: $vgpr17
                                        ; implicit-def: $vgpr21
	s_branch .LBB1663_91
.LBB1663_35:
                                        ; implicit-def: $vgpr33
                                        ; implicit-def: $vgpr32
                                        ; implicit-def: $vgpr20
	s_branch .LBB1663_160
.LBB1663_36:
                                        ; implicit-def: $sgpr2
                                        ; implicit-def: $vgpr30
                                        ; implicit-def: $vgpr31
                                        ; implicit-def: $vgpr17
                                        ; implicit-def: $vgpr21
	s_cbranch_execnz .LBB1663_45
	s_branch .LBB1663_90
.LBB1663_37:
	v_dual_mov_b32 v16, 0 :: v_dual_mov_b32 v30, 0
	v_dual_mov_b32 v31, 0 :: v_dual_mov_b32 v17, 0
	s_mov_b32 s3, 0
.LBB1663_38:
	s_wait_kmcnt 0x0
	v_mov_b64_e32 v[20:21], s[4:5]
	s_mov_b32 s2, 0
	s_mov_b32 s6, exec_lo
	s_wait_dscnt 0x0
	s_barrier_signal -1
	s_barrier_wait -1
	v_cmpx_ne_u32_e32 0, v0
; %bb.39:
	v_add_nc_u32_e32 v20, -8, v26
	ds_load_b64 v[20:21], v20
; %bb.40:
	s_or_b32 exec_lo, exec_lo, s6
	v_cndmask_b32_e64 v22, 0, 1, s3
	v_lshrrev_b32_e32 v23, 16, v16
	s_and_not1_b32 vcc_lo, exec_lo, s24
	s_delay_alu instid0(VALU_DEP_2) | instskip(NEXT) | instid1(VALU_DEP_1)
	v_lshlrev_b16 v22, 8, v22
	v_bitop3_b16 v22, v16, v22, 0xff bitop3:0xec
	s_delay_alu instid0(VALU_DEP_3) | instskip(NEXT) | instid1(VALU_DEP_2)
	v_perm_b32 v16, v23, v16, 0xc0c0304
	v_and_b32_e32 v27, 0xffff, v22
	s_cbranch_vccnz .LBB1663_44
; %bb.41:
	s_wait_dscnt 0x0
	v_mul_u64_e32 v[20:21], s[18:19], v[20:21]
	v_mul_u64_e32 v[22:23], s[18:19], v[10:11]
	s_add_nc_u64 s[2:3], s[18:19], -1
	s_mov_b32 s6, 0
                                        ; implicit-def: $sgpr7
	s_delay_alu instid0(VALU_DEP_2) | instskip(NEXT) | instid1(VALU_DEP_2)
	v_lshl_add_u64 v[20:21], v[20:21], 3, s[8:9]
	v_lshl_add_u64 v[22:23], v[22:23], 3, s[8:9]
.LBB1663_42:                            ; =>This Inner Loop Header: Depth=1
	global_load_b64 v[28:29], v[20:21], off
	global_load_b64 v[32:33], v[22:23], off
	s_cmp_eq_u64 s[2:3], 0
	s_add_nc_u64 s[26:27], s[2:3], -1
	s_cselect_b32 s3, -1, 0
	s_wait_xcnt 0x1
	v_add_nc_u64_e32 v[20:21], 8, v[20:21]
	s_wait_xcnt 0x0
	v_add_nc_u64_e32 v[22:23], 8, v[22:23]
	s_wait_loadcnt 0x0
	v_cmp_ne_u64_e32 vcc_lo, v[28:29], v[32:33]
	v_cmp_eq_u64_e64 s2, v[28:29], v[32:33]
	s_or_b32 s3, vcc_lo, s3
	s_delay_alu instid0(SALU_CYCLE_1) | instskip(NEXT) | instid1(SALU_CYCLE_1)
	s_and_b32 s3, exec_lo, s3
	s_or_b32 s6, s3, s6
	s_and_not1_b32 s7, s7, exec_lo
	s_and_b32 s25, s2, exec_lo
	s_mov_b64 s[2:3], s[26:27]
	s_or_b32 s7, s7, s25
	s_and_not1_b32 exec_lo, exec_lo, s6
	s_cbranch_execnz .LBB1663_42
; %bb.43:
	s_or_b32 exec_lo, exec_lo, s6
	s_xor_b32 s2, s7, -1
.LBB1663_44:
	s_wait_dscnt 0x0
	s_delay_alu instid0(VALU_DEP_1)
	v_lshl_or_b32 v21, v16, 16, v27
	s_branch .LBB1663_90
.LBB1663_45:
	v_add_nc_u32_e32 v16, 6, v19
	s_mov_b32 s7, 0
	s_mov_b32 s6, 0
	s_mov_b32 s25, exec_lo
	s_delay_alu instid0(VALU_DEP_1)
	v_cmpx_gt_u32_e64 s21, v16
	s_cbranch_execz .LBB1663_51
; %bb.46:
	s_and_not1_b32 vcc_lo, exec_lo, s24
	s_mov_b32 s2, 0
	s_cbranch_vccnz .LBB1663_50
; %bb.47:
	v_mul_u64_e32 v[16:17], s[18:19], v[4:5]
	v_mul_u64_e32 v[20:21], s[18:19], v[14:15]
	s_add_nc_u64 s[2:3], s[18:19], -1
                                        ; implicit-def: $sgpr24
	s_delay_alu instid0(VALU_DEP_2) | instskip(NEXT) | instid1(VALU_DEP_2)
	v_lshl_add_u64 v[16:17], v[16:17], 3, s[8:9]
	v_lshl_add_u64 v[20:21], v[20:21], 3, s[8:9]
.LBB1663_48:                            ; =>This Inner Loop Header: Depth=1
	global_load_b64 v[22:23], v[16:17], off
	global_load_b64 v[28:29], v[20:21], off
	s_cmp_eq_u64 s[2:3], 0
	s_add_nc_u64 s[26:27], s[2:3], -1
	s_cselect_b32 s3, -1, 0
	s_wait_xcnt 0x1
	v_add_nc_u64_e32 v[16:17], 8, v[16:17]
	s_wait_xcnt 0x0
	v_add_nc_u64_e32 v[20:21], 8, v[20:21]
	s_wait_loadcnt 0x0
	v_cmp_ne_u64_e32 vcc_lo, v[22:23], v[28:29]
	v_cmp_eq_u64_e64 s2, v[22:23], v[28:29]
	s_or_b32 s3, vcc_lo, s3
	s_delay_alu instid0(SALU_CYCLE_1) | instskip(NEXT) | instid1(SALU_CYCLE_1)
	s_and_b32 s3, exec_lo, s3
	s_or_b32 s6, s3, s6
	s_and_not1_b32 s24, s24, exec_lo
	s_and_b32 s28, s2, exec_lo
	s_mov_b64 s[2:3], s[26:27]
	s_or_b32 s24, s24, s28
	s_and_not1_b32 exec_lo, exec_lo, s6
	s_cbranch_execnz .LBB1663_48
; %bb.49:
	s_or_b32 exec_lo, exec_lo, s6
	s_xor_b32 s2, s24, -1
.LBB1663_50:
	s_delay_alu instid0(SALU_CYCLE_1)
	s_and_b32 s6, s2, exec_lo
.LBB1663_51:
	s_or_b32 exec_lo, exec_lo, s25
	v_add_nc_u32_e32 v16, 5, v19
	s_mov_b32 s24, exec_lo
	s_delay_alu instid0(VALU_DEP_1)
	v_cmpx_gt_u32_e64 s21, v16
	s_cbranch_execz .LBB1663_57
; %bb.52:
	v_cmp_ne_u32_e32 vcc_lo, 1, v25
	s_mov_b32 s2, 0
	s_cbranch_vccnz .LBB1663_56
; %bb.53:
	v_mul_u64_e32 v[16:17], s[18:19], v[2:3]
	v_mul_u64_e32 v[20:21], s[18:19], v[4:5]
	s_add_nc_u64 s[2:3], s[18:19], -1
	s_mov_b32 s7, 0
                                        ; implicit-def: $sgpr25
	s_delay_alu instid0(VALU_DEP_2) | instskip(NEXT) | instid1(VALU_DEP_2)
	v_lshl_add_u64 v[16:17], v[16:17], 3, s[8:9]
	v_lshl_add_u64 v[20:21], v[20:21], 3, s[8:9]
.LBB1663_54:                            ; =>This Inner Loop Header: Depth=1
	global_load_b64 v[22:23], v[16:17], off
	global_load_b64 v[28:29], v[20:21], off
	s_cmp_eq_u64 s[2:3], 0
	s_add_nc_u64 s[26:27], s[2:3], -1
	s_cselect_b32 s3, -1, 0
	s_wait_xcnt 0x1
	v_add_nc_u64_e32 v[16:17], 8, v[16:17]
	s_wait_xcnt 0x0
	v_add_nc_u64_e32 v[20:21], 8, v[20:21]
	s_wait_loadcnt 0x0
	v_cmp_ne_u64_e32 vcc_lo, v[22:23], v[28:29]
	v_cmp_eq_u64_e64 s2, v[22:23], v[28:29]
	s_or_b32 s3, vcc_lo, s3
	s_delay_alu instid0(SALU_CYCLE_1) | instskip(NEXT) | instid1(SALU_CYCLE_1)
	s_and_b32 s3, exec_lo, s3
	s_or_b32 s7, s3, s7
	s_and_not1_b32 s25, s25, exec_lo
	s_and_b32 s28, s2, exec_lo
	s_mov_b64 s[2:3], s[26:27]
	s_or_b32 s25, s25, s28
	s_and_not1_b32 exec_lo, exec_lo, s7
	s_cbranch_execnz .LBB1663_54
; %bb.55:
	s_or_b32 exec_lo, exec_lo, s7
	s_xor_b32 s2, s25, -1
.LBB1663_56:
	s_delay_alu instid0(SALU_CYCLE_1)
	s_and_b32 s7, s2, exec_lo
.LBB1663_57:
	s_or_b32 exec_lo, exec_lo, s24
	v_add_nc_u32_e32 v16, 4, v19
	s_mov_b32 s25, 0
	s_mov_b32 s24, 0
	s_mov_b32 s26, exec_lo
	s_delay_alu instid0(VALU_DEP_1)
	v_cmpx_gt_u32_e64 s21, v16
	s_cbranch_execz .LBB1663_63
; %bb.58:
	v_cmp_ne_u32_e32 vcc_lo, 1, v25
	s_mov_b32 s2, 0
	s_cbranch_vccnz .LBB1663_62
; %bb.59:
	v_mul_u64_e32 v[16:17], s[18:19], v[8:9]
	v_mul_u64_e32 v[20:21], s[18:19], v[2:3]
	s_add_nc_u64 s[2:3], s[18:19], -1
                                        ; implicit-def: $sgpr27
	s_delay_alu instid0(VALU_DEP_2) | instskip(NEXT) | instid1(VALU_DEP_2)
	v_lshl_add_u64 v[16:17], v[16:17], 3, s[8:9]
	v_lshl_add_u64 v[20:21], v[20:21], 3, s[8:9]
.LBB1663_60:                            ; =>This Inner Loop Header: Depth=1
	global_load_b64 v[22:23], v[16:17], off
	global_load_b64 v[28:29], v[20:21], off
	s_cmp_eq_u64 s[2:3], 0
	s_add_nc_u64 s[28:29], s[2:3], -1
	s_cselect_b32 s3, -1, 0
	s_wait_xcnt 0x1
	v_add_nc_u64_e32 v[16:17], 8, v[16:17]
	s_wait_xcnt 0x0
	v_add_nc_u64_e32 v[20:21], 8, v[20:21]
	s_wait_loadcnt 0x0
	v_cmp_ne_u64_e32 vcc_lo, v[22:23], v[28:29]
	v_cmp_eq_u64_e64 s2, v[22:23], v[28:29]
	s_or_b32 s3, vcc_lo, s3
	s_delay_alu instid0(SALU_CYCLE_1) | instskip(NEXT) | instid1(SALU_CYCLE_1)
	s_and_b32 s3, exec_lo, s3
	s_or_b32 s24, s3, s24
	s_and_not1_b32 s27, s27, exec_lo
	s_and_b32 s30, s2, exec_lo
	s_mov_b64 s[2:3], s[28:29]
	s_or_b32 s27, s27, s30
	s_and_not1_b32 exec_lo, exec_lo, s24
	s_cbranch_execnz .LBB1663_60
; %bb.61:
	s_or_b32 exec_lo, exec_lo, s24
	s_xor_b32 s2, s27, -1
.LBB1663_62:
	s_delay_alu instid0(SALU_CYCLE_1)
	s_and_b32 s24, s2, exec_lo
.LBB1663_63:
	s_or_b32 exec_lo, exec_lo, s26
	v_add_nc_u32_e32 v16, 3, v19
	s_mov_b32 s26, exec_lo
	s_delay_alu instid0(VALU_DEP_1)
	v_cmpx_gt_u32_e64 s21, v16
	s_cbranch_execz .LBB1663_69
; %bb.64:
	v_cmp_ne_u32_e32 vcc_lo, 1, v25
	s_mov_b32 s2, 0
	s_cbranch_vccnz .LBB1663_68
; %bb.65:
	v_mul_u64_e32 v[16:17], s[18:19], v[6:7]
	v_mul_u64_e32 v[20:21], s[18:19], v[8:9]
	s_add_nc_u64 s[2:3], s[18:19], -1
	s_mov_b32 s25, 0
                                        ; implicit-def: $sgpr27
	s_delay_alu instid0(VALU_DEP_2) | instskip(NEXT) | instid1(VALU_DEP_2)
	v_lshl_add_u64 v[16:17], v[16:17], 3, s[8:9]
	v_lshl_add_u64 v[20:21], v[20:21], 3, s[8:9]
.LBB1663_66:                            ; =>This Inner Loop Header: Depth=1
	global_load_b64 v[22:23], v[16:17], off
	global_load_b64 v[28:29], v[20:21], off
	s_cmp_eq_u64 s[2:3], 0
	s_add_nc_u64 s[28:29], s[2:3], -1
	s_cselect_b32 s3, -1, 0
	s_wait_xcnt 0x1
	v_add_nc_u64_e32 v[16:17], 8, v[16:17]
	s_wait_xcnt 0x0
	v_add_nc_u64_e32 v[20:21], 8, v[20:21]
	s_wait_loadcnt 0x0
	v_cmp_ne_u64_e32 vcc_lo, v[22:23], v[28:29]
	v_cmp_eq_u64_e64 s2, v[22:23], v[28:29]
	s_or_b32 s3, vcc_lo, s3
	s_delay_alu instid0(SALU_CYCLE_1) | instskip(NEXT) | instid1(SALU_CYCLE_1)
	s_and_b32 s3, exec_lo, s3
	s_or_b32 s25, s3, s25
	s_and_not1_b32 s27, s27, exec_lo
	s_and_b32 s30, s2, exec_lo
	s_mov_b64 s[2:3], s[28:29]
	s_or_b32 s27, s27, s30
	s_and_not1_b32 exec_lo, exec_lo, s25
	s_cbranch_execnz .LBB1663_66
; %bb.67:
	s_or_b32 exec_lo, exec_lo, s25
	s_xor_b32 s2, s27, -1
.LBB1663_68:
	s_delay_alu instid0(SALU_CYCLE_1)
	s_and_b32 s25, s2, exec_lo
.LBB1663_69:
	s_or_b32 exec_lo, exec_lo, s26
	v_add_nc_u32_e32 v16, 2, v19
	s_mov_b32 s26, 0
	s_mov_b32 s27, 0
	s_mov_b32 s28, exec_lo
	s_delay_alu instid0(VALU_DEP_1)
	v_cmpx_gt_u32_e64 s21, v16
	s_cbranch_execz .LBB1663_75
; %bb.70:
	v_cmp_ne_u32_e32 vcc_lo, 1, v25
	s_mov_b32 s2, 0
	s_cbranch_vccnz .LBB1663_74
; %bb.71:
	v_mul_u64_e32 v[16:17], s[18:19], v[12:13]
	v_mul_u64_e32 v[20:21], s[18:19], v[6:7]
	s_add_nc_u64 s[2:3], s[18:19], -1
                                        ; implicit-def: $sgpr29
	s_delay_alu instid0(VALU_DEP_2) | instskip(NEXT) | instid1(VALU_DEP_2)
	v_lshl_add_u64 v[16:17], v[16:17], 3, s[8:9]
	v_lshl_add_u64 v[20:21], v[20:21], 3, s[8:9]
.LBB1663_72:                            ; =>This Inner Loop Header: Depth=1
	global_load_b64 v[22:23], v[16:17], off
	global_load_b64 v[28:29], v[20:21], off
	s_cmp_eq_u64 s[2:3], 0
	s_add_nc_u64 s[30:31], s[2:3], -1
	s_cselect_b32 s3, -1, 0
	s_wait_xcnt 0x1
	v_add_nc_u64_e32 v[16:17], 8, v[16:17]
	s_wait_xcnt 0x0
	v_add_nc_u64_e32 v[20:21], 8, v[20:21]
	s_wait_loadcnt 0x0
	v_cmp_ne_u64_e32 vcc_lo, v[22:23], v[28:29]
	v_cmp_eq_u64_e64 s2, v[22:23], v[28:29]
	s_or_b32 s3, vcc_lo, s3
	s_delay_alu instid0(SALU_CYCLE_1) | instskip(NEXT) | instid1(SALU_CYCLE_1)
	s_and_b32 s3, exec_lo, s3
	s_or_b32 s27, s3, s27
	s_and_not1_b32 s29, s29, exec_lo
	s_and_b32 s33, s2, exec_lo
	s_mov_b64 s[2:3], s[30:31]
	s_or_b32 s29, s29, s33
	s_and_not1_b32 exec_lo, exec_lo, s27
	s_cbranch_execnz .LBB1663_72
; %bb.73:
	s_or_b32 exec_lo, exec_lo, s27
	s_xor_b32 s2, s29, -1
.LBB1663_74:
	s_delay_alu instid0(SALU_CYCLE_1)
	s_and_b32 s27, s2, exec_lo
.LBB1663_75:
	s_or_b32 exec_lo, exec_lo, s28
	v_add_nc_u32_e32 v16, 1, v19
	s_mov_b32 s28, exec_lo
	s_delay_alu instid0(VALU_DEP_1)
	v_cmpx_gt_u32_e64 s21, v16
	s_cbranch_execz .LBB1663_81
; %bb.76:
	v_cmp_ne_u32_e32 vcc_lo, 1, v25
	s_mov_b32 s2, 0
	s_cbranch_vccnz .LBB1663_80
; %bb.77:
	v_mul_u64_e32 v[16:17], s[18:19], v[10:11]
	v_mul_u64_e32 v[20:21], s[18:19], v[12:13]
	s_add_nc_u64 s[2:3], s[18:19], -1
	s_mov_b32 s26, 0
                                        ; implicit-def: $sgpr29
	s_delay_alu instid0(VALU_DEP_2) | instskip(NEXT) | instid1(VALU_DEP_2)
	v_lshl_add_u64 v[16:17], v[16:17], 3, s[8:9]
	v_lshl_add_u64 v[20:21], v[20:21], 3, s[8:9]
.LBB1663_78:                            ; =>This Inner Loop Header: Depth=1
	global_load_b64 v[22:23], v[16:17], off
	global_load_b64 v[28:29], v[20:21], off
	s_cmp_eq_u64 s[2:3], 0
	s_add_nc_u64 s[30:31], s[2:3], -1
	s_cselect_b32 s3, -1, 0
	s_wait_xcnt 0x1
	v_add_nc_u64_e32 v[16:17], 8, v[16:17]
	s_wait_xcnt 0x0
	v_add_nc_u64_e32 v[20:21], 8, v[20:21]
	s_wait_loadcnt 0x0
	v_cmp_ne_u64_e32 vcc_lo, v[22:23], v[28:29]
	v_cmp_eq_u64_e64 s2, v[22:23], v[28:29]
	s_or_b32 s3, vcc_lo, s3
	s_delay_alu instid0(SALU_CYCLE_1) | instskip(NEXT) | instid1(SALU_CYCLE_1)
	s_and_b32 s3, exec_lo, s3
	s_or_b32 s26, s3, s26
	s_and_not1_b32 s29, s29, exec_lo
	s_and_b32 s33, s2, exec_lo
	s_mov_b64 s[2:3], s[30:31]
	s_or_b32 s29, s29, s33
	s_and_not1_b32 exec_lo, exec_lo, s26
	s_cbranch_execnz .LBB1663_78
; %bb.79:
	s_or_b32 exec_lo, exec_lo, s26
	s_xor_b32 s2, s29, -1
.LBB1663_80:
	s_delay_alu instid0(SALU_CYCLE_1)
	s_and_b32 s26, s2, exec_lo
.LBB1663_81:
	s_or_b32 exec_lo, exec_lo, s28
	s_wait_kmcnt 0x0
	v_mov_b64_e32 v[16:17], s[4:5]
	s_mov_b32 s2, 0
	s_mov_b32 s3, exec_lo
	s_wait_dscnt 0x0
	s_barrier_signal -1
	s_barrier_wait -1
	v_cmpx_ne_u32_e32 0, v0
; %bb.82:
	v_add_nc_u32_e32 v16, -8, v26
	ds_load_b64 v[16:17], v16
; %bb.83:
	s_or_b32 exec_lo, exec_lo, s3
	v_cndmask_b32_e64 v20, 0, 1, s25
	v_cndmask_b32_e64 v21, 0, 1, s27
	;; [unrolled: 1-line block ×3, first 2 shown]
	s_mov_b32 s4, exec_lo
	s_delay_alu instid0(VALU_DEP_3) | instskip(NEXT) | instid1(VALU_DEP_2)
	v_lshlrev_b16 v20, 8, v20
	v_lshlrev_b16 v22, 8, v22
	s_delay_alu instid0(VALU_DEP_2) | instskip(NEXT) | instid1(VALU_DEP_2)
	v_or_b32_e32 v20, v21, v20
	v_and_b32_e32 v22, 0xffff, v22
	s_delay_alu instid0(VALU_DEP_2)
	v_lshlrev_b32_e32 v23, 16, v20
	v_cmpx_gt_u32_e64 s21, v19
	s_cbranch_execz .LBB1663_89
; %bb.84:
	v_cmp_ne_u32_e32 vcc_lo, 1, v25
	s_cbranch_vccnz .LBB1663_88
; %bb.85:
	s_wait_dscnt 0x0
	v_mul_u64_e32 v[16:17], s[18:19], v[16:17]
	v_mul_u64_e32 v[20:21], s[18:19], v[10:11]
	s_add_nc_u64 s[2:3], s[18:19], -1
	s_mov_b32 s5, 0
                                        ; implicit-def: $sgpr25
	s_delay_alu instid0(VALU_DEP_2) | instskip(NEXT) | instid1(VALU_DEP_2)
	v_lshl_add_u64 v[16:17], v[16:17], 3, s[8:9]
	v_lshl_add_u64 v[20:21], v[20:21], 3, s[8:9]
.LBB1663_86:                            ; =>This Inner Loop Header: Depth=1
	global_load_b64 v[26:27], v[16:17], off
	global_load_b64 v[28:29], v[20:21], off
	s_cmp_eq_u64 s[2:3], 0
	s_add_nc_u64 s[26:27], s[2:3], -1
	s_cselect_b32 s3, -1, 0
	s_wait_xcnt 0x1
	v_add_nc_u64_e32 v[16:17], 8, v[16:17]
	s_wait_xcnt 0x0
	v_add_nc_u64_e32 v[20:21], 8, v[20:21]
	s_wait_loadcnt 0x0
	v_cmp_ne_u64_e32 vcc_lo, v[26:27], v[28:29]
	v_cmp_eq_u64_e64 s2, v[26:27], v[28:29]
	s_or_b32 s3, vcc_lo, s3
	s_delay_alu instid0(SALU_CYCLE_1) | instskip(NEXT) | instid1(SALU_CYCLE_1)
	s_and_b32 s3, exec_lo, s3
	s_or_b32 s5, s3, s5
	s_and_not1_b32 s25, s25, exec_lo
	s_and_b32 s28, s2, exec_lo
	s_mov_b64 s[2:3], s[26:27]
	s_or_b32 s25, s25, s28
	s_and_not1_b32 exec_lo, exec_lo, s5
	s_cbranch_execnz .LBB1663_86
; %bb.87:
	s_or_b32 exec_lo, exec_lo, s5
	s_xor_b32 s2, s25, -1
.LBB1663_88:
	s_delay_alu instid0(SALU_CYCLE_1)
	s_and_b32 s2, s2, exec_lo
.LBB1663_89:
	s_or_b32 exec_lo, exec_lo, s4
	s_wait_dscnt 0x0
	v_cndmask_b32_e64 v17, 0, 1, s24
	v_cndmask_b32_e64 v31, 0, 1, s7
	;; [unrolled: 1-line block ×3, first 2 shown]
	v_or_b32_e32 v21, v22, v23
.LBB1663_90:
	s_mov_b32 s6, -1
	s_cbranch_execnz .LBB1663_35
.LBB1663_91:
	v_cmp_gt_i64_e64 s7, s[18:19], 0
	v_mad_i32_i24 v26, 0xffffffd0, v0, v24
	s_and_b32 vcc_lo, exec_lo, s17
	ds_store_b64 v26, v[14:15]
	s_cbranch_vccz .LBB1663_106
; %bb.92:
	s_and_not1_b32 vcc_lo, exec_lo, s7
	s_cbranch_vccnz .LBB1663_107
; %bb.93:
	v_mul_u64_e32 v[16:17], s[18:19], v[4:5]
	v_mul_u64_e32 v[20:21], s[18:19], v[14:15]
	s_wait_kmcnt 0x0
	s_add_nc_u64 s[4:5], s[18:19], -1
	s_mov_b32 s25, 0
	s_mov_b64 s[2:3], s[4:5]
                                        ; implicit-def: $sgpr24
	s_delay_alu instid0(VALU_DEP_2) | instskip(NEXT) | instid1(VALU_DEP_2)
	v_lshl_add_u64 v[16:17], v[16:17], 3, s[8:9]
	v_lshl_add_u64 v[20:21], v[20:21], 3, s[8:9]
	s_delay_alu instid0(VALU_DEP_2)
	v_mov_b64_e32 v[22:23], v[16:17]
.LBB1663_94:                            ; =>This Inner Loop Header: Depth=1
	global_load_b64 v[24:25], v[22:23], off
	global_load_b64 v[28:29], v[20:21], off
	s_cmp_eq_u64 s[2:3], 0
	s_add_nc_u64 s[26:27], s[2:3], -1
	s_cselect_b32 s3, -1, 0
	s_wait_xcnt 0x1
	v_add_nc_u64_e32 v[22:23], 8, v[22:23]
	s_wait_xcnt 0x0
	v_add_nc_u64_e32 v[20:21], 8, v[20:21]
	s_wait_loadcnt 0x0
	v_cmp_ne_u64_e32 vcc_lo, v[24:25], v[28:29]
	v_cmp_eq_u64_e64 s2, v[24:25], v[28:29]
	s_or_b32 s3, vcc_lo, s3
	s_delay_alu instid0(SALU_CYCLE_1) | instskip(NEXT) | instid1(SALU_CYCLE_1)
	s_and_b32 s3, exec_lo, s3
	s_or_b32 s25, s3, s25
	s_and_not1_b32 s24, s24, exec_lo
	s_and_b32 s28, s2, exec_lo
	s_mov_b64 s[2:3], s[26:27]
	s_or_b32 s24, s24, s28
	s_and_not1_b32 exec_lo, exec_lo, s25
	s_cbranch_execnz .LBB1663_94
; %bb.95:
	s_or_b32 exec_lo, exec_lo, s25
	v_mul_u64_e32 v[20:21], s[18:19], v[2:3]
	s_mov_b32 s26, 0
	s_mov_b64 s[2:3], s[4:5]
                                        ; implicit-def: $sgpr25
	s_delay_alu instid0(VALU_DEP_1) | instskip(NEXT) | instid1(VALU_DEP_1)
	v_lshl_add_u64 v[20:21], v[20:21], 3, s[8:9]
	v_mov_b64_e32 v[22:23], v[20:21]
.LBB1663_96:                            ; =>This Inner Loop Header: Depth=1
	global_load_b64 v[24:25], v[22:23], off
	global_load_b64 v[28:29], v[16:17], off
	s_cmp_eq_u64 s[2:3], 0
	s_add_nc_u64 s[28:29], s[2:3], -1
	s_cselect_b32 s3, -1, 0
	s_wait_xcnt 0x1
	v_add_nc_u64_e32 v[22:23], 8, v[22:23]
	s_wait_xcnt 0x0
	v_add_nc_u64_e32 v[16:17], 8, v[16:17]
	s_wait_loadcnt 0x0
	v_cmp_ne_u64_e32 vcc_lo, v[24:25], v[28:29]
	v_cmp_eq_u64_e64 s2, v[24:25], v[28:29]
	s_or_b32 s3, vcc_lo, s3
	s_delay_alu instid0(SALU_CYCLE_1) | instskip(NEXT) | instid1(SALU_CYCLE_1)
	s_and_b32 s3, exec_lo, s3
	s_or_b32 s26, s3, s26
	s_and_not1_b32 s25, s25, exec_lo
	s_and_b32 s27, s2, exec_lo
	s_mov_b64 s[2:3], s[28:29]
	s_or_b32 s25, s25, s27
	s_and_not1_b32 exec_lo, exec_lo, s26
	s_cbranch_execnz .LBB1663_96
; %bb.97:
	s_or_b32 exec_lo, exec_lo, s26
	v_mul_u64_e32 v[16:17], s[18:19], v[8:9]
	s_mov_b32 s27, 0
	s_mov_b64 s[2:3], s[4:5]
                                        ; implicit-def: $sgpr26
	s_delay_alu instid0(VALU_DEP_1) | instskip(NEXT) | instid1(VALU_DEP_1)
	v_lshl_add_u64 v[16:17], v[16:17], 3, s[8:9]
	v_mov_b64_e32 v[22:23], v[16:17]
.LBB1663_98:                            ; =>This Inner Loop Header: Depth=1
	global_load_b64 v[24:25], v[22:23], off
	global_load_b64 v[28:29], v[20:21], off
	s_cmp_eq_u64 s[2:3], 0
	s_add_nc_u64 s[28:29], s[2:3], -1
	s_cselect_b32 s3, -1, 0
	s_wait_xcnt 0x1
	v_add_nc_u64_e32 v[22:23], 8, v[22:23]
	s_wait_xcnt 0x0
	v_add_nc_u64_e32 v[20:21], 8, v[20:21]
	s_wait_loadcnt 0x0
	v_cmp_ne_u64_e32 vcc_lo, v[24:25], v[28:29]
	v_cmp_eq_u64_e64 s2, v[24:25], v[28:29]
	s_or_b32 s3, vcc_lo, s3
	s_delay_alu instid0(SALU_CYCLE_1) | instskip(NEXT) | instid1(SALU_CYCLE_1)
	s_and_b32 s3, exec_lo, s3
	s_or_b32 s27, s3, s27
	s_and_not1_b32 s26, s26, exec_lo
	s_and_b32 s30, s2, exec_lo
	s_mov_b64 s[2:3], s[28:29]
	s_or_b32 s26, s26, s30
	s_and_not1_b32 exec_lo, exec_lo, s27
	s_cbranch_execnz .LBB1663_98
; %bb.99:
	s_or_b32 exec_lo, exec_lo, s27
	v_mul_u64_e32 v[20:21], s[18:19], v[6:7]
	s_mov_b32 s28, 0
	s_mov_b64 s[2:3], s[4:5]
                                        ; implicit-def: $sgpr27
	s_delay_alu instid0(VALU_DEP_1) | instskip(NEXT) | instid1(VALU_DEP_1)
	v_lshl_add_u64 v[20:21], v[20:21], 3, s[8:9]
	v_mov_b64_e32 v[22:23], v[20:21]
.LBB1663_100:                           ; =>This Inner Loop Header: Depth=1
	global_load_b64 v[24:25], v[22:23], off
	global_load_b64 v[28:29], v[16:17], off
	s_cmp_eq_u64 s[2:3], 0
	s_add_nc_u64 s[30:31], s[2:3], -1
	s_cselect_b32 s3, -1, 0
	s_wait_xcnt 0x1
	v_add_nc_u64_e32 v[22:23], 8, v[22:23]
	s_wait_xcnt 0x0
	v_add_nc_u64_e32 v[16:17], 8, v[16:17]
	s_wait_loadcnt 0x0
	v_cmp_ne_u64_e32 vcc_lo, v[24:25], v[28:29]
	v_cmp_eq_u64_e64 s2, v[24:25], v[28:29]
	s_or_b32 s3, vcc_lo, s3
	s_delay_alu instid0(SALU_CYCLE_1) | instskip(NEXT) | instid1(SALU_CYCLE_1)
	s_and_b32 s3, exec_lo, s3
	s_or_b32 s28, s3, s28
	s_and_not1_b32 s27, s27, exec_lo
	s_and_b32 s29, s2, exec_lo
	s_mov_b64 s[2:3], s[30:31]
	s_or_b32 s27, s27, s29
	s_and_not1_b32 exec_lo, exec_lo, s28
	s_cbranch_execnz .LBB1663_100
; %bb.101:
	s_or_b32 exec_lo, exec_lo, s28
	v_mul_u64_e32 v[16:17], s[18:19], v[12:13]
	s_mov_b32 s29, 0
	s_mov_b64 s[2:3], s[4:5]
                                        ; implicit-def: $sgpr28
	s_delay_alu instid0(VALU_DEP_1) | instskip(NEXT) | instid1(VALU_DEP_1)
	v_lshl_add_u64 v[16:17], v[16:17], 3, s[8:9]
	v_mov_b64_e32 v[22:23], v[16:17]
.LBB1663_102:                           ; =>This Inner Loop Header: Depth=1
	global_load_b64 v[24:25], v[22:23], off
	global_load_b64 v[28:29], v[20:21], off
	s_cmp_eq_u64 s[2:3], 0
	s_add_nc_u64 s[30:31], s[2:3], -1
	s_cselect_b32 s3, -1, 0
	s_wait_xcnt 0x1
	v_add_nc_u64_e32 v[22:23], 8, v[22:23]
	s_wait_xcnt 0x0
	v_add_nc_u64_e32 v[20:21], 8, v[20:21]
	s_wait_loadcnt 0x0
	v_cmp_ne_u64_e32 vcc_lo, v[24:25], v[28:29]
	v_cmp_eq_u64_e64 s2, v[24:25], v[28:29]
	s_or_b32 s3, vcc_lo, s3
	s_delay_alu instid0(SALU_CYCLE_1) | instskip(NEXT) | instid1(SALU_CYCLE_1)
	s_and_b32 s3, exec_lo, s3
	s_or_b32 s29, s3, s29
	s_and_not1_b32 s28, s28, exec_lo
	s_and_b32 s33, s2, exec_lo
	s_mov_b64 s[2:3], s[30:31]
	s_or_b32 s28, s28, s33
	s_and_not1_b32 exec_lo, exec_lo, s29
	s_cbranch_execnz .LBB1663_102
; %bb.103:
	s_or_b32 exec_lo, exec_lo, s29
	v_mul_u64_e32 v[20:21], s[18:19], v[10:11]
	s_mov_b32 s29, 0
                                        ; implicit-def: $sgpr3
	s_delay_alu instid0(VALU_DEP_1)
	v_lshl_add_u64 v[20:21], v[20:21], 3, s[8:9]
.LBB1663_104:                           ; =>This Inner Loop Header: Depth=1
	global_load_b64 v[22:23], v[20:21], off
	global_load_b64 v[24:25], v[16:17], off
	s_cmp_eq_u64 s[4:5], 0
	s_add_nc_u64 s[30:31], s[4:5], -1
	s_cselect_b32 s4, -1, 0
	s_wait_xcnt 0x1
	v_add_nc_u64_e32 v[20:21], 8, v[20:21]
	s_wait_xcnt 0x0
	v_add_nc_u64_e32 v[16:17], 8, v[16:17]
	s_wait_loadcnt 0x0
	v_cmp_ne_u64_e32 vcc_lo, v[22:23], v[24:25]
	v_cmp_eq_u64_e64 s2, v[22:23], v[24:25]
	s_or_b32 s4, vcc_lo, s4
	s_delay_alu instid0(SALU_CYCLE_1) | instskip(NEXT) | instid1(SALU_CYCLE_1)
	s_and_b32 s4, exec_lo, s4
	s_or_b32 s29, s4, s29
	s_and_not1_b32 s3, s3, exec_lo
	s_and_b32 s2, s2, exec_lo
	s_mov_b64 s[4:5], s[30:31]
	s_or_b32 s3, s3, s2
	s_and_not1_b32 exec_lo, exec_lo, s29
	s_cbranch_execnz .LBB1663_104
; %bb.105:
	s_or_b32 exec_lo, exec_lo, s29
	s_xor_b32 s2, s27, -1
	s_delay_alu instid0(SALU_CYCLE_1) | instskip(SKIP_1) | instid1(SALU_CYCLE_1)
	v_cndmask_b32_e64 v16, 0, 1, s2
	s_xor_b32 s2, s28, -1
	v_cndmask_b32_e64 v17, 0, 1, s2
	s_xor_b32 s2, s25, -1
	s_delay_alu instid0(VALU_DEP_2) | instskip(SKIP_2) | instid1(SALU_CYCLE_1)
	v_lshlrev_b16 v16, 8, v16
	v_cndmask_b32_e64 v31, 0, 1, s2
	s_xor_b32 s2, s24, -1
	v_cndmask_b32_e64 v30, 0, 1, s2
	s_delay_alu instid0(VALU_DEP_3) | instskip(SKIP_1) | instid1(VALU_DEP_1)
	v_lshrrev_b32_e32 v16, 8, v16
	s_xor_b32 s2, s26, -1
	v_and_b32_e32 v16, 1, v16
	s_delay_alu instid0(VALU_DEP_1) | instskip(NEXT) | instid1(VALU_DEP_1)
	v_lshlrev_b16 v16, 8, v16
	v_or_b32_e32 v16, v17, v16
	v_cndmask_b32_e64 v17, 0, 1, s2
	s_xor_b32 s2, s3, -1
	s_delay_alu instid0(VALU_DEP_2)
	v_lshlrev_b32_e32 v16, 16, v16
	s_branch .LBB1663_108
.LBB1663_106:
	s_wait_kmcnt 0x0
                                        ; implicit-def: $sgpr2
                                        ; implicit-def: $vgpr30
                                        ; implicit-def: $vgpr31
                                        ; implicit-def: $vgpr17
                                        ; implicit-def: $vgpr21
                                        ; implicit-def: $vgpr33
                                        ; implicit-def: $vgpr32
                                        ; implicit-def: $vgpr20
	s_cbranch_execnz .LBB1663_115
	s_branch .LBB1663_160
.LBB1663_107:
	v_dual_mov_b32 v16, 0 :: v_dual_mov_b32 v30, 0
	v_dual_mov_b32 v31, 0 :: v_dual_mov_b32 v17, 0
	s_mov_b32 s2, 0
.LBB1663_108:
	s_delay_alu instid0(VALU_DEP_1)
	v_dual_lshrrev_b32 v32, 16, v16 :: v_dual_lshrrev_b32 v20, 24, v16
	v_cndmask_b32_e64 v33, 0, 1, s2
	v_mov_b32_e32 v16, 1
	s_wait_kmcnt 0x0
	s_mov_b32 s4, 0
	s_wait_dscnt 0x0
	s_barrier_signal -1
	s_barrier_wait -1
                                        ; implicit-def: $sgpr2
                                        ; implicit-def: $vgpr21
	s_mov_b32 s3, exec_lo
	v_cmpx_ne_u32_e32 0, v0
	s_xor_b32 s5, exec_lo, s3
	s_cbranch_execz .LBB1663_114
; %bb.109:
	v_lshlrev_b16 v21, 8, v20
	v_lshlrev_b16 v22, 8, v33
	s_and_not1_b32 vcc_lo, exec_lo, s7
	s_mov_b32 s2, 0
	s_delay_alu instid0(VALU_DEP_2) | instskip(NEXT) | instid1(VALU_DEP_1)
	v_bitop3_b16 v21, v32, v21, 0xff bitop3:0xec
	v_dual_lshlrev_b32 v21, 16, v21 :: v_dual_bitop2_b32 v22, 1, v22 bitop3:0x54
	s_delay_alu instid0(VALU_DEP_1) | instskip(NEXT) | instid1(VALU_DEP_1)
	v_and_b32_e32 v22, 0xffff, v22
	v_or_b32_e32 v21, v22, v21
	s_cbranch_vccnz .LBB1663_113
; %bb.110:
	v_add_nc_u32_e32 v22, -8, v26
	v_mul_u64_e32 v[24:25], s[18:19], v[10:11]
	s_add_nc_u64 s[2:3], s[18:19], -1
	s_mov_b32 s24, 0
                                        ; implicit-def: $sgpr25
	ds_load_b64 v[22:23], v22
	s_wait_dscnt 0x0
	v_mul_u64_e32 v[22:23], s[18:19], v[22:23]
	v_lshl_add_u64 v[24:25], v[24:25], 3, s[8:9]
	s_delay_alu instid0(VALU_DEP_2)
	v_lshl_add_u64 v[22:23], v[22:23], 3, s[8:9]
.LBB1663_111:                           ; =>This Inner Loop Header: Depth=1
	global_load_b64 v[28:29], v[22:23], off
	global_load_b64 v[34:35], v[24:25], off
	s_cmp_eq_u64 s[2:3], 0
	s_add_nc_u64 s[26:27], s[2:3], -1
	s_cselect_b32 s3, -1, 0
	s_wait_xcnt 0x1
	v_add_nc_u64_e32 v[22:23], 8, v[22:23]
	s_wait_xcnt 0x0
	v_add_nc_u64_e32 v[24:25], 8, v[24:25]
	s_wait_loadcnt 0x0
	v_cmp_ne_u64_e32 vcc_lo, v[28:29], v[34:35]
	v_cmp_eq_u64_e64 s2, v[28:29], v[34:35]
	s_or_b32 s3, vcc_lo, s3
	s_delay_alu instid0(SALU_CYCLE_1) | instskip(NEXT) | instid1(SALU_CYCLE_1)
	s_and_b32 s3, exec_lo, s3
	s_or_b32 s24, s3, s24
	s_and_not1_b32 s25, s25, exec_lo
	s_and_b32 s28, s2, exec_lo
	s_mov_b64 s[2:3], s[26:27]
	s_or_b32 s25, s25, s28
	s_and_not1_b32 exec_lo, exec_lo, s24
	s_cbranch_execnz .LBB1663_111
; %bb.112:
	s_or_b32 exec_lo, exec_lo, s24
	s_xor_b32 s2, s25, -1
.LBB1663_113:
	s_delay_alu instid0(VALU_DEP_1)
	v_perm_b32 v21, v21, v21, 0x3020104
	s_or_b32 s6, s6, exec_lo
.LBB1663_114:
	s_or_b32 exec_lo, exec_lo, s5
	s_delay_alu instid0(SALU_CYCLE_1)
	s_and_b32 vcc_lo, exec_lo, s4
	s_cbranch_vccz .LBB1663_160
.LBB1663_115:
	v_add_nc_u32_e32 v16, 6, v19
	s_mov_b32 s5, 0
	s_mov_b32 s4, 0
	s_mov_b32 s24, exec_lo
	s_delay_alu instid0(VALU_DEP_1)
	v_cmpx_gt_u32_e64 s21, v16
	s_cbranch_execz .LBB1663_121
; %bb.116:
	s_and_not1_b32 vcc_lo, exec_lo, s7
	s_mov_b32 s2, 0
	s_cbranch_vccnz .LBB1663_120
; %bb.117:
	v_mul_u64_e32 v[16:17], s[18:19], v[4:5]
	v_mul_u64_e32 v[20:21], s[18:19], v[14:15]
	s_add_nc_u64 s[2:3], s[18:19], -1
                                        ; implicit-def: $sgpr25
	s_delay_alu instid0(VALU_DEP_2) | instskip(NEXT) | instid1(VALU_DEP_2)
	v_lshl_add_u64 v[16:17], v[16:17], 3, s[8:9]
	v_lshl_add_u64 v[20:21], v[20:21], 3, s[8:9]
.LBB1663_118:                           ; =>This Inner Loop Header: Depth=1
	global_load_b64 v[22:23], v[16:17], off
	global_load_b64 v[24:25], v[20:21], off
	s_cmp_eq_u64 s[2:3], 0
	s_add_nc_u64 s[26:27], s[2:3], -1
	s_cselect_b32 s3, -1, 0
	s_wait_xcnt 0x1
	v_add_nc_u64_e32 v[16:17], 8, v[16:17]
	s_wait_xcnt 0x0
	v_add_nc_u64_e32 v[20:21], 8, v[20:21]
	s_wait_loadcnt 0x0
	v_cmp_ne_u64_e32 vcc_lo, v[22:23], v[24:25]
	v_cmp_eq_u64_e64 s2, v[22:23], v[24:25]
	s_or_b32 s3, vcc_lo, s3
	s_delay_alu instid0(SALU_CYCLE_1) | instskip(NEXT) | instid1(SALU_CYCLE_1)
	s_and_b32 s3, exec_lo, s3
	s_or_b32 s4, s3, s4
	s_and_not1_b32 s25, s25, exec_lo
	s_and_b32 s28, s2, exec_lo
	s_mov_b64 s[2:3], s[26:27]
	s_or_b32 s25, s25, s28
	s_and_not1_b32 exec_lo, exec_lo, s4
	s_cbranch_execnz .LBB1663_118
; %bb.119:
	s_or_b32 exec_lo, exec_lo, s4
	s_xor_b32 s2, s25, -1
.LBB1663_120:
	s_delay_alu instid0(SALU_CYCLE_1)
	s_and_b32 s4, s2, exec_lo
.LBB1663_121:
	s_or_b32 exec_lo, exec_lo, s24
	v_add_nc_u32_e32 v16, 5, v19
	s_mov_b32 s24, exec_lo
	s_delay_alu instid0(VALU_DEP_1)
	v_cmpx_gt_u32_e64 s21, v16
	s_cbranch_execz .LBB1663_127
; %bb.122:
	s_and_not1_b32 vcc_lo, exec_lo, s7
	s_mov_b32 s2, 0
	s_cbranch_vccnz .LBB1663_126
; %bb.123:
	v_mul_u64_e32 v[16:17], s[18:19], v[2:3]
	v_mul_u64_e32 v[20:21], s[18:19], v[4:5]
	s_add_nc_u64 s[2:3], s[18:19], -1
	s_mov_b32 s5, 0
                                        ; implicit-def: $sgpr25
	s_delay_alu instid0(VALU_DEP_2) | instskip(NEXT) | instid1(VALU_DEP_2)
	v_lshl_add_u64 v[16:17], v[16:17], 3, s[8:9]
	v_lshl_add_u64 v[20:21], v[20:21], 3, s[8:9]
.LBB1663_124:                           ; =>This Inner Loop Header: Depth=1
	global_load_b64 v[22:23], v[16:17], off
	global_load_b64 v[24:25], v[20:21], off
	s_cmp_eq_u64 s[2:3], 0
	s_add_nc_u64 s[26:27], s[2:3], -1
	s_cselect_b32 s3, -1, 0
	s_wait_xcnt 0x1
	v_add_nc_u64_e32 v[16:17], 8, v[16:17]
	s_wait_xcnt 0x0
	v_add_nc_u64_e32 v[20:21], 8, v[20:21]
	s_wait_loadcnt 0x0
	v_cmp_ne_u64_e32 vcc_lo, v[22:23], v[24:25]
	v_cmp_eq_u64_e64 s2, v[22:23], v[24:25]
	s_or_b32 s3, vcc_lo, s3
	s_delay_alu instid0(SALU_CYCLE_1) | instskip(NEXT) | instid1(SALU_CYCLE_1)
	s_and_b32 s3, exec_lo, s3
	s_or_b32 s5, s3, s5
	s_and_not1_b32 s25, s25, exec_lo
	s_and_b32 s28, s2, exec_lo
	s_mov_b64 s[2:3], s[26:27]
	s_or_b32 s25, s25, s28
	s_and_not1_b32 exec_lo, exec_lo, s5
	s_cbranch_execnz .LBB1663_124
; %bb.125:
	s_or_b32 exec_lo, exec_lo, s5
	s_xor_b32 s2, s25, -1
.LBB1663_126:
	s_delay_alu instid0(SALU_CYCLE_1)
	s_and_b32 s5, s2, exec_lo
.LBB1663_127:
	s_or_b32 exec_lo, exec_lo, s24
	v_add_nc_u32_e32 v16, 4, v19
	s_mov_b32 s24, 0
	s_mov_b32 s25, 0
	s_mov_b32 s26, exec_lo
	s_delay_alu instid0(VALU_DEP_1)
	v_cmpx_gt_u32_e64 s21, v16
	s_cbranch_execz .LBB1663_133
; %bb.128:
	s_and_not1_b32 vcc_lo, exec_lo, s7
	s_mov_b32 s2, 0
	s_cbranch_vccnz .LBB1663_132
; %bb.129:
	v_mul_u64_e32 v[16:17], s[18:19], v[8:9]
	v_mul_u64_e32 v[20:21], s[18:19], v[2:3]
	s_add_nc_u64 s[2:3], s[18:19], -1
                                        ; implicit-def: $sgpr27
	s_delay_alu instid0(VALU_DEP_2) | instskip(NEXT) | instid1(VALU_DEP_2)
	v_lshl_add_u64 v[16:17], v[16:17], 3, s[8:9]
	v_lshl_add_u64 v[20:21], v[20:21], 3, s[8:9]
.LBB1663_130:                           ; =>This Inner Loop Header: Depth=1
	global_load_b64 v[22:23], v[16:17], off
	global_load_b64 v[24:25], v[20:21], off
	s_cmp_eq_u64 s[2:3], 0
	s_add_nc_u64 s[28:29], s[2:3], -1
	s_cselect_b32 s3, -1, 0
	s_wait_xcnt 0x1
	v_add_nc_u64_e32 v[16:17], 8, v[16:17]
	s_wait_xcnt 0x0
	v_add_nc_u64_e32 v[20:21], 8, v[20:21]
	s_wait_loadcnt 0x0
	v_cmp_ne_u64_e32 vcc_lo, v[22:23], v[24:25]
	v_cmp_eq_u64_e64 s2, v[22:23], v[24:25]
	s_or_b32 s3, vcc_lo, s3
	s_delay_alu instid0(SALU_CYCLE_1) | instskip(NEXT) | instid1(SALU_CYCLE_1)
	s_and_b32 s3, exec_lo, s3
	s_or_b32 s25, s3, s25
	s_and_not1_b32 s27, s27, exec_lo
	s_and_b32 s30, s2, exec_lo
	s_mov_b64 s[2:3], s[28:29]
	s_or_b32 s27, s27, s30
	s_and_not1_b32 exec_lo, exec_lo, s25
	s_cbranch_execnz .LBB1663_130
; %bb.131:
	s_or_b32 exec_lo, exec_lo, s25
	s_xor_b32 s2, s27, -1
.LBB1663_132:
	s_delay_alu instid0(SALU_CYCLE_1)
	s_and_b32 s25, s2, exec_lo
.LBB1663_133:
	s_or_b32 exec_lo, exec_lo, s26
	v_add_nc_u32_e32 v16, 3, v19
	s_mov_b32 s26, exec_lo
	s_delay_alu instid0(VALU_DEP_1)
	v_cmpx_gt_u32_e64 s21, v16
	s_cbranch_execz .LBB1663_139
; %bb.134:
	s_and_not1_b32 vcc_lo, exec_lo, s7
	s_mov_b32 s2, 0
	s_cbranch_vccnz .LBB1663_138
; %bb.135:
	v_mul_u64_e32 v[16:17], s[18:19], v[6:7]
	v_mul_u64_e32 v[20:21], s[18:19], v[8:9]
	s_add_nc_u64 s[2:3], s[18:19], -1
	s_mov_b32 s24, 0
                                        ; implicit-def: $sgpr27
	s_delay_alu instid0(VALU_DEP_2) | instskip(NEXT) | instid1(VALU_DEP_2)
	v_lshl_add_u64 v[16:17], v[16:17], 3, s[8:9]
	v_lshl_add_u64 v[20:21], v[20:21], 3, s[8:9]
.LBB1663_136:                           ; =>This Inner Loop Header: Depth=1
	global_load_b64 v[22:23], v[16:17], off
	global_load_b64 v[24:25], v[20:21], off
	s_cmp_eq_u64 s[2:3], 0
	s_add_nc_u64 s[28:29], s[2:3], -1
	s_cselect_b32 s3, -1, 0
	s_wait_xcnt 0x1
	v_add_nc_u64_e32 v[16:17], 8, v[16:17]
	s_wait_xcnt 0x0
	v_add_nc_u64_e32 v[20:21], 8, v[20:21]
	s_wait_loadcnt 0x0
	v_cmp_ne_u64_e32 vcc_lo, v[22:23], v[24:25]
	v_cmp_eq_u64_e64 s2, v[22:23], v[24:25]
	s_or_b32 s3, vcc_lo, s3
	s_delay_alu instid0(SALU_CYCLE_1) | instskip(NEXT) | instid1(SALU_CYCLE_1)
	s_and_b32 s3, exec_lo, s3
	s_or_b32 s24, s3, s24
	s_and_not1_b32 s27, s27, exec_lo
	s_and_b32 s30, s2, exec_lo
	s_mov_b64 s[2:3], s[28:29]
	s_or_b32 s27, s27, s30
	s_and_not1_b32 exec_lo, exec_lo, s24
	s_cbranch_execnz .LBB1663_136
; %bb.137:
	s_or_b32 exec_lo, exec_lo, s24
	s_xor_b32 s2, s27, -1
.LBB1663_138:
	s_delay_alu instid0(SALU_CYCLE_1)
	s_and_b32 s24, s2, exec_lo
.LBB1663_139:
	s_or_b32 exec_lo, exec_lo, s26
	v_add_nc_u32_e32 v16, 2, v19
	s_mov_b32 s26, 0
	s_mov_b32 s27, 0
	s_mov_b32 s28, exec_lo
	s_delay_alu instid0(VALU_DEP_1)
	v_cmpx_gt_u32_e64 s21, v16
	s_cbranch_execz .LBB1663_145
; %bb.140:
	s_and_not1_b32 vcc_lo, exec_lo, s7
	s_mov_b32 s2, 0
	s_cbranch_vccnz .LBB1663_144
; %bb.141:
	v_mul_u64_e32 v[16:17], s[18:19], v[12:13]
	v_mul_u64_e32 v[20:21], s[18:19], v[6:7]
	s_add_nc_u64 s[2:3], s[18:19], -1
                                        ; implicit-def: $sgpr29
	s_delay_alu instid0(VALU_DEP_2) | instskip(NEXT) | instid1(VALU_DEP_2)
	v_lshl_add_u64 v[16:17], v[16:17], 3, s[8:9]
	v_lshl_add_u64 v[20:21], v[20:21], 3, s[8:9]
.LBB1663_142:                           ; =>This Inner Loop Header: Depth=1
	global_load_b64 v[22:23], v[16:17], off
	global_load_b64 v[24:25], v[20:21], off
	s_cmp_eq_u64 s[2:3], 0
	s_add_nc_u64 s[30:31], s[2:3], -1
	s_cselect_b32 s3, -1, 0
	s_wait_xcnt 0x1
	v_add_nc_u64_e32 v[16:17], 8, v[16:17]
	s_wait_xcnt 0x0
	v_add_nc_u64_e32 v[20:21], 8, v[20:21]
	s_wait_loadcnt 0x0
	v_cmp_ne_u64_e32 vcc_lo, v[22:23], v[24:25]
	v_cmp_eq_u64_e64 s2, v[22:23], v[24:25]
	s_or_b32 s3, vcc_lo, s3
	s_delay_alu instid0(SALU_CYCLE_1) | instskip(NEXT) | instid1(SALU_CYCLE_1)
	s_and_b32 s3, exec_lo, s3
	s_or_b32 s27, s3, s27
	s_and_not1_b32 s29, s29, exec_lo
	s_and_b32 s33, s2, exec_lo
	s_mov_b64 s[2:3], s[30:31]
	s_or_b32 s29, s29, s33
	s_and_not1_b32 exec_lo, exec_lo, s27
	s_cbranch_execnz .LBB1663_142
; %bb.143:
	s_or_b32 exec_lo, exec_lo, s27
	s_xor_b32 s2, s29, -1
.LBB1663_144:
	s_delay_alu instid0(SALU_CYCLE_1)
	s_and_b32 s27, s2, exec_lo
.LBB1663_145:
	s_or_b32 exec_lo, exec_lo, s28
	v_add_nc_u32_e32 v16, 1, v19
	s_mov_b32 s28, exec_lo
	s_delay_alu instid0(VALU_DEP_1)
	v_cmpx_gt_u32_e64 s21, v16
	s_cbranch_execz .LBB1663_151
; %bb.146:
	s_and_not1_b32 vcc_lo, exec_lo, s7
	s_mov_b32 s2, 0
	s_cbranch_vccnz .LBB1663_150
; %bb.147:
	v_mul_u64_e32 v[16:17], s[18:19], v[10:11]
	v_mul_u64_e32 v[20:21], s[18:19], v[12:13]
	s_add_nc_u64 s[2:3], s[18:19], -1
	s_mov_b32 s26, 0
                                        ; implicit-def: $sgpr29
	s_delay_alu instid0(VALU_DEP_2) | instskip(NEXT) | instid1(VALU_DEP_2)
	v_lshl_add_u64 v[16:17], v[16:17], 3, s[8:9]
	v_lshl_add_u64 v[20:21], v[20:21], 3, s[8:9]
.LBB1663_148:                           ; =>This Inner Loop Header: Depth=1
	global_load_b64 v[22:23], v[16:17], off
	global_load_b64 v[24:25], v[20:21], off
	s_cmp_eq_u64 s[2:3], 0
	s_add_nc_u64 s[30:31], s[2:3], -1
	s_cselect_b32 s3, -1, 0
	s_wait_xcnt 0x1
	v_add_nc_u64_e32 v[16:17], 8, v[16:17]
	s_wait_xcnt 0x0
	v_add_nc_u64_e32 v[20:21], 8, v[20:21]
	s_wait_loadcnt 0x0
	v_cmp_ne_u64_e32 vcc_lo, v[22:23], v[24:25]
	v_cmp_eq_u64_e64 s2, v[22:23], v[24:25]
	s_or_b32 s3, vcc_lo, s3
	s_delay_alu instid0(SALU_CYCLE_1) | instskip(NEXT) | instid1(SALU_CYCLE_1)
	s_and_b32 s3, exec_lo, s3
	s_or_b32 s26, s3, s26
	s_and_not1_b32 s29, s29, exec_lo
	s_and_b32 s33, s2, exec_lo
	s_mov_b64 s[2:3], s[30:31]
	s_or_b32 s29, s29, s33
	s_and_not1_b32 exec_lo, exec_lo, s26
	s_cbranch_execnz .LBB1663_148
; %bb.149:
	s_or_b32 exec_lo, exec_lo, s26
	s_xor_b32 s2, s29, -1
.LBB1663_150:
	s_delay_alu instid0(SALU_CYCLE_1)
	s_and_b32 s26, s2, exec_lo
.LBB1663_151:
	s_or_b32 exec_lo, exec_lo, s28
	v_cndmask_b32_e64 v17, 0, 1, s25
	v_cndmask_b32_e64 v31, 0, 1, s5
	;; [unrolled: 1-line block ×6, first 2 shown]
	v_mov_b32_e32 v16, 1
	s_mov_b32 s2, 0
	s_mov_b32 s4, exec_lo
	s_wait_dscnt 0x0
	s_barrier_signal -1
	s_barrier_wait -1
                                        ; implicit-def: $vgpr21
	v_cmpx_ne_u32_e32 0, v0
	s_cbranch_execz .LBB1663_159
; %bb.152:
	v_lshlrev_b16 v21, 8, v33
	v_lshlrev_b16 v22, 8, v20
	s_mov_b32 s5, exec_lo
	s_delay_alu instid0(VALU_DEP_1) | instskip(NEXT) | instid1(VALU_DEP_1)
	v_or_b32_e32 v22, v32, v22
	v_dual_lshlrev_b32 v22, 16, v22 :: v_dual_bitop2_b32 v21, 1, v21 bitop3:0x54
	s_delay_alu instid0(VALU_DEP_1) | instskip(NEXT) | instid1(VALU_DEP_1)
	v_and_b32_e32 v21, 0xffff, v21
	v_or_b32_e32 v21, v21, v22
	v_cmpx_gt_u32_e64 s21, v19
	s_cbranch_execz .LBB1663_158
; %bb.153:
	s_and_not1_b32 vcc_lo, exec_lo, s7
	s_cbranch_vccnz .LBB1663_157
; %bb.154:
	v_add_nc_u32_e32 v22, -8, v26
	v_mul_u64_e32 v[24:25], s[18:19], v[10:11]
	s_add_nc_u64 s[2:3], s[18:19], -1
	s_mov_b32 s7, 0
	ds_load_b64 v[22:23], v22
	s_wait_dscnt 0x0
	v_mul_u64_e32 v[22:23], s[18:19], v[22:23]
	v_lshl_add_u64 v[24:25], v[24:25], 3, s[8:9]
	s_delay_alu instid0(VALU_DEP_2)
	v_lshl_add_u64 v[22:23], v[22:23], 3, s[8:9]
                                        ; implicit-def: $sgpr8
.LBB1663_155:                           ; =>This Inner Loop Header: Depth=1
	global_load_b64 v[26:27], v[22:23], off
	global_load_b64 v[28:29], v[24:25], off
	s_cmp_eq_u64 s[2:3], 0
	s_add_nc_u64 s[18:19], s[2:3], -1
	s_cselect_b32 s3, -1, 0
	s_wait_xcnt 0x1
	v_add_nc_u64_e32 v[22:23], 8, v[22:23]
	s_wait_xcnt 0x0
	v_add_nc_u64_e32 v[24:25], 8, v[24:25]
	s_wait_loadcnt 0x0
	v_cmp_ne_u64_e32 vcc_lo, v[26:27], v[28:29]
	v_cmp_eq_u64_e64 s2, v[26:27], v[28:29]
	s_or_b32 s3, vcc_lo, s3
	s_delay_alu instid0(SALU_CYCLE_1) | instskip(NEXT) | instid1(SALU_CYCLE_1)
	s_and_b32 s3, exec_lo, s3
	s_or_b32 s7, s3, s7
	s_and_not1_b32 s8, s8, exec_lo
	s_and_b32 s9, s2, exec_lo
	s_mov_b64 s[2:3], s[18:19]
	s_or_b32 s8, s8, s9
	s_and_not1_b32 exec_lo, exec_lo, s7
	s_cbranch_execnz .LBB1663_155
; %bb.156:
	s_or_b32 exec_lo, exec_lo, s7
	s_xor_b32 s2, s8, -1
.LBB1663_157:
	s_delay_alu instid0(SALU_CYCLE_1)
	s_and_b32 s2, s2, exec_lo
.LBB1663_158:
	s_or_b32 exec_lo, exec_lo, s5
	s_delay_alu instid0(VALU_DEP_2)
	v_perm_b32 v21, v21, v21, 0x3020104
	s_or_b32 s6, s6, exec_lo
.LBB1663_159:
	s_or_b32 exec_lo, exec_lo, s4
.LBB1663_160:
	s_and_saveexec_b32 s3, s6
; %bb.161:
	s_delay_alu instid0(VALU_DEP_1)
	v_dual_lshrrev_b32 v20, 24, v21 :: v_dual_lshrrev_b32 v32, 16, v21
	v_lshrrev_b32_e32 v33, 8, v21
	v_cndmask_b32_e64 v16, 0, 1, s2
; %bb.162:
	s_or_b32 exec_lo, exec_lo, s3
	s_delay_alu instid0(SALU_CYCLE_1)
	s_and_not1_b32 vcc_lo, exec_lo, s22
	s_cbranch_vccnz .LBB1663_166
; %bb.163:
	s_delay_alu instid0(VALU_DEP_1)
	v_perm_b32 v16, v16, v33, 0xc0c0004
	v_perm_b32 v20, v32, v20, 0xc0c0004
	v_cmp_gt_u32_e32 vcc_lo, s21, v19
	v_and_b32_e32 v22, 0xff, v30
	v_perm_b32 v17, v17, v31, 0xc0c0004
	v_add_nc_u32_e32 v21, 1, v19
	v_lshl_or_b32 v16, v20, 16, v16
	s_delay_alu instid0(VALU_DEP_1) | instskip(NEXT) | instid1(VALU_DEP_3)
	v_dual_cndmask_b32 v20, 0, v16 :: v_dual_add_nc_u32 v23, 4, v19
	v_cmp_gt_u32_e32 vcc_lo, s21, v21
	v_dual_lshlrev_b32 v21, 16, v22 :: v_dual_add_nc_u32 v22, 2, v19
	s_delay_alu instid0(VALU_DEP_3) | instskip(NEXT) | instid1(VALU_DEP_1)
	v_and_b32_e32 v20, 0xff, v20
	v_cndmask_b32_e32 v20, v20, v16, vcc_lo
	s_delay_alu instid0(VALU_DEP_3) | instskip(NEXT) | instid1(VALU_DEP_2)
	v_cmp_gt_u32_e32 vcc_lo, s21, v22
	v_and_b32_e32 v20, 0xffff, v20
	v_or_b32_e32 v24, v17, v21
	v_bitop3_b32 v17, v17, 0xffff00, v21 bitop3:0xc8
	s_delay_alu instid0(VALU_DEP_3) | instskip(SKIP_1) | instid1(VALU_DEP_2)
	v_dual_cndmask_b32 v20, v20, v16 :: v_dual_add_nc_u32 v21, 5, v19
	v_cmp_gt_u32_e32 vcc_lo, s21, v23
	v_cmp_gt_u32_e64 s2, s21, v21
	s_delay_alu instid0(VALU_DEP_3) | instskip(SKIP_3) | instid1(VALU_DEP_2)
	v_and_b32_e32 v20, 0xffffff, v20
	v_dual_cndmask_b32 v17, v17, v24 :: v_dual_add_nc_u32 v22, 3, v19
	s_or_b32 vcc_lo, s2, vcc_lo
	v_add_nc_u32_e32 v19, 6, v19
	v_cmp_gt_u32_e64 s3, s21, v22
	s_delay_alu instid0(VALU_DEP_3) | instskip(NEXT) | instid1(VALU_DEP_2)
	v_and_b32_e32 v17, 0xffff00ff, v17
	v_cndmask_b32_e64 v20, v20, v16, s3
	s_delay_alu instid0(VALU_DEP_2) | instskip(SKIP_1) | instid1(VALU_DEP_1)
	v_cndmask_b32_e64 v17, v17, v24, s2
	s_mov_b32 s2, exec_lo
	v_dual_cndmask_b32 v16, v20, v16, vcc_lo :: v_dual_lshrrev_b32 v30, 16, v17
	v_lshrrev_b32_e32 v31, 8, v17
	s_delay_alu instid0(VALU_DEP_2)
	v_lshrrev_b64 v[20:21], 24, v[16:17]
	v_dual_lshrrev_b32 v32, 16, v16 :: v_dual_lshrrev_b32 v33, 8, v16
	v_cmpx_le_u32_e64 s21, v19
; %bb.164:
	v_mov_b32_e32 v30, 0
; %bb.165:
	s_or_b32 exec_lo, exec_lo, s2
.LBB1663_166:
	s_delay_alu instid0(VALU_DEP_1)
	v_and_b32_e32 v19, 0xff, v16
	v_and_b32_e32 v21, 0xff, v33
	v_and_b32_e32 v34, 0xff, v32
	v_and_b32_e32 v35, 0xff, v20
	v_and_b32_e32 v36, 0xff, v17
	v_mbcnt_lo_u32_b32 v38, -1, 0
	v_and_b32_e32 v37, 0xff, v31
	v_add3_u32 v22, v21, v19, v34
	v_and_b32_e32 v23, 0xff, v30
	s_delay_alu instid0(VALU_DEP_4) | instskip(SKIP_1) | instid1(VALU_DEP_3)
	v_dual_lshrrev_b32 v39, 5, v0 :: v_dual_bitop2_b32 v24, 15, v38 bitop3:0x40
	s_and_b32 vcc_lo, exec_lo, s23
	v_add3_u32 v22, v22, v35, v36
	s_mov_b32 s8, -1
	s_wait_dscnt 0x0
	v_cmp_eq_u32_e64 s2, 0, v24
	s_wait_kmcnt 0x0
	v_cmp_lt_u32_e64 s4, 1, v24
	v_add3_u32 v40, v22, v37, v23
	v_and_b32_e32 v22, 16, v38
	v_or_b32_e32 v23, 31, v0
	v_cmp_lt_u32_e64 s5, 3, v24
	v_cmp_lt_u32_e64 s3, 7, v24
	s_barrier_signal -1
	v_cmp_eq_u32_e64 s7, 0, v22
	v_cmp_eq_u32_e64 s6, v0, v23
	s_barrier_wait -1
                                        ; implicit-def: $vgpr25
                                        ; implicit-def: $vgpr26
                                        ; implicit-def: $vgpr27
                                        ; implicit-def: $vgpr28
                                        ; implicit-def: $vgpr29
                                        ; implicit-def: $vgpr41
                                        ; implicit-def: $vgpr42
                                        ; implicit-def: $vgpr24
                                        ; implicit-def: $vgpr22
	s_cbranch_vccz .LBB1663_193
; %bb.167:
	v_mov_b32_dpp v22, v40 row_shr:1 row_mask:0xf bank_mask:0xf
	s_delay_alu instid0(VALU_DEP_1) | instskip(NEXT) | instid1(VALU_DEP_1)
	v_cndmask_b32_e64 v22, v22, 0, s2
	v_add_nc_u32_e32 v22, v22, v40
	s_delay_alu instid0(VALU_DEP_1) | instskip(NEXT) | instid1(VALU_DEP_1)
	v_mov_b32_dpp v23, v22 row_shr:2 row_mask:0xf bank_mask:0xf
	v_cndmask_b32_e64 v23, 0, v23, s4
	s_delay_alu instid0(VALU_DEP_1) | instskip(NEXT) | instid1(VALU_DEP_1)
	v_add_nc_u32_e32 v22, v22, v23
	v_mov_b32_dpp v23, v22 row_shr:4 row_mask:0xf bank_mask:0xf
	s_delay_alu instid0(VALU_DEP_1) | instskip(NEXT) | instid1(VALU_DEP_1)
	v_cndmask_b32_e64 v23, 0, v23, s5
	v_add_nc_u32_e32 v22, v22, v23
	s_delay_alu instid0(VALU_DEP_1) | instskip(NEXT) | instid1(VALU_DEP_1)
	v_mov_b32_dpp v23, v22 row_shr:8 row_mask:0xf bank_mask:0xf
	v_cndmask_b32_e64 v23, 0, v23, s3
	s_delay_alu instid0(VALU_DEP_1) | instskip(SKIP_3) | instid1(VALU_DEP_1)
	v_add_nc_u32_e32 v22, v22, v23
	ds_swizzle_b32 v23, v22 offset:swizzle(BROADCAST,32,15)
	s_wait_dscnt 0x0
	v_cndmask_b32_e64 v23, v23, 0, s7
	v_add_nc_u32_e32 v22, v22, v23
	s_and_saveexec_b32 s8, s6
; %bb.168:
	v_lshlrev_b32_e32 v23, 2, v39
	ds_store_b32 v23, v22
; %bb.169:
	s_or_b32 exec_lo, exec_lo, s8
	s_delay_alu instid0(SALU_CYCLE_1)
	s_mov_b32 s8, exec_lo
	s_wait_dscnt 0x0
	s_barrier_signal -1
	s_barrier_wait -1
	v_cmpx_gt_u32_e32 16, v0
	s_cbranch_execz .LBB1663_171
; %bb.170:
	v_lshlrev_b32_e32 v23, 2, v0
	ds_load_b32 v24, v23
	s_wait_dscnt 0x0
	v_mov_b32_dpp v25, v24 row_shr:1 row_mask:0xf bank_mask:0xf
	s_delay_alu instid0(VALU_DEP_1) | instskip(NEXT) | instid1(VALU_DEP_1)
	v_cndmask_b32_e64 v25, v25, 0, s2
	v_add_nc_u32_e32 v24, v25, v24
	s_delay_alu instid0(VALU_DEP_1) | instskip(NEXT) | instid1(VALU_DEP_1)
	v_mov_b32_dpp v25, v24 row_shr:2 row_mask:0xf bank_mask:0xf
	v_cndmask_b32_e64 v25, 0, v25, s4
	s_delay_alu instid0(VALU_DEP_1) | instskip(NEXT) | instid1(VALU_DEP_1)
	v_add_nc_u32_e32 v24, v24, v25
	v_mov_b32_dpp v25, v24 row_shr:4 row_mask:0xf bank_mask:0xf
	s_delay_alu instid0(VALU_DEP_1) | instskip(NEXT) | instid1(VALU_DEP_1)
	v_cndmask_b32_e64 v25, 0, v25, s5
	v_add_nc_u32_e32 v24, v24, v25
	s_delay_alu instid0(VALU_DEP_1) | instskip(NEXT) | instid1(VALU_DEP_1)
	v_mov_b32_dpp v25, v24 row_shr:8 row_mask:0xf bank_mask:0xf
	v_cndmask_b32_e64 v25, 0, v25, s3
	s_delay_alu instid0(VALU_DEP_1)
	v_add_nc_u32_e32 v24, v24, v25
	ds_store_b32 v23, v24
.LBB1663_171:
	s_or_b32 exec_lo, exec_lo, s8
	s_delay_alu instid0(SALU_CYCLE_1)
	s_mov_b32 s9, exec_lo
	v_cmp_gt_u32_e32 vcc_lo, 32, v0
	s_wait_dscnt 0x0
	s_barrier_signal -1
	s_barrier_wait -1
                                        ; implicit-def: $vgpr41
	v_cmpx_lt_u32_e32 31, v0
	s_cbranch_execz .LBB1663_173
; %bb.172:
	v_lshl_add_u32 v23, v39, 2, -4
	ds_load_b32 v41, v23
	s_wait_dscnt 0x0
	v_add_nc_u32_e32 v22, v41, v22
.LBB1663_173:
	s_or_b32 exec_lo, exec_lo, s9
	v_sub_co_u32 v23, s8, v38, 1
	s_delay_alu instid0(VALU_DEP_1) | instskip(NEXT) | instid1(VALU_DEP_1)
	v_cmp_gt_i32_e64 s9, 0, v23
	v_cndmask_b32_e64 v23, v23, v38, s9
	s_delay_alu instid0(VALU_DEP_1)
	v_lshlrev_b32_e32 v23, 2, v23
	ds_bpermute_b32 v42, v23, v22
	s_and_saveexec_b32 s9, vcc_lo
	s_cbranch_execz .LBB1663_192
; %bb.174:
	v_mov_b32_e32 v29, 0
	ds_load_b32 v22, v29 offset:60
	s_and_saveexec_b32 s18, s8
	s_cbranch_execz .LBB1663_176
; %bb.175:
	s_add_co_i32 s19, s20, 32
	s_delay_alu instid0(SALU_CYCLE_1)
	v_dual_mov_b32 v23, 1 :: v_dual_mov_b32 v24, s19
	s_wait_dscnt 0x0
	global_store_b64 v24, v[22:23], s[10:11] scale_offset scope:SCOPE_DEV
.LBB1663_176:
	s_wait_xcnt 0x0
	s_or_b32 exec_lo, exec_lo, s18
	v_xad_u32 v24, v38, -1, s20
	s_mov_b32 s19, 0
	s_mov_b32 s18, exec_lo
	s_delay_alu instid0(VALU_DEP_1) | instskip(SKIP_4) | instid1(VALU_DEP_1)
	v_add_nc_u32_e32 v28, 32, v24
	global_load_b64 v[26:27], v28, s[10:11] scale_offset scope:SCOPE_DEV
	s_wait_loadcnt 0x0
	v_and_b32_e32 v23, 0xff, v27
	s_wait_xcnt 0x0
	v_cmpx_eq_u16_e32 0, v23
	s_cbranch_execz .LBB1663_180
; %bb.177:
	v_lshl_add_u64 v[28:29], v[28:29], 3, s[10:11]
.LBB1663_178:                           ; =>This Inner Loop Header: Depth=1
	global_load_b64 v[26:27], v[28:29], off scope:SCOPE_DEV
	s_wait_loadcnt 0x0
	v_and_b32_e32 v23, 0xff, v27
	s_delay_alu instid0(VALU_DEP_1)
	v_cmp_ne_u16_e32 vcc_lo, 0, v23
	s_or_b32 s19, vcc_lo, s19
	s_wait_xcnt 0x0
	s_and_not1_b32 exec_lo, exec_lo, s19
	s_cbranch_execnz .LBB1663_178
; %bb.179:
	s_or_b32 exec_lo, exec_lo, s19
.LBB1663_180:
	s_delay_alu instid0(SALU_CYCLE_1)
	s_or_b32 exec_lo, exec_lo, s18
	v_cmp_ne_u32_e32 vcc_lo, 31, v38
	v_lshlrev_b32_e64 v44, v38, -1
	v_dual_add_nc_u32 v46, 2, v38 :: v_dual_add_nc_u32 v48, 4, v38
	v_dual_add_nc_u32 v50, 8, v38 :: v_dual_add_nc_u32 v52, 16, v38
	v_add_co_ci_u32_e64 v23, null, 0, v38, vcc_lo
	v_lshl_or_b32 v51, v38, 2, 64
	s_delay_alu instid0(VALU_DEP_2)
	v_lshlrev_b32_e32 v43, 2, v23
	v_and_b32_e32 v23, 0xff, v27
	ds_bpermute_b32 v25, v43, v26
	v_cmp_eq_u16_e32 vcc_lo, 2, v23
	v_and_or_b32 v23, vcc_lo, v44, 0x80000000
	v_cmp_gt_u32_e32 vcc_lo, 30, v38
	s_delay_alu instid0(VALU_DEP_2) | instskip(SKIP_1) | instid1(VALU_DEP_2)
	v_ctz_i32_b32_e32 v23, v23
	v_cndmask_b32_e64 v28, 0, 2, vcc_lo
	v_cmp_lt_u32_e32 vcc_lo, v38, v23
	s_delay_alu instid0(VALU_DEP_2)
	v_add_lshl_u32 v45, v28, v38, 2
	s_wait_dscnt 0x0
	v_cndmask_b32_e32 v25, 0, v25, vcc_lo
	v_cmp_gt_u32_e32 vcc_lo, 28, v38
	v_cndmask_b32_e64 v28, 0, 4, vcc_lo
	v_cmp_le_u32_e32 vcc_lo, v46, v23
	s_delay_alu instid0(VALU_DEP_4) | instskip(NEXT) | instid1(VALU_DEP_3)
	v_add_nc_u32_e32 v25, v25, v26
	v_add_lshl_u32 v47, v28, v38, 2
	ds_bpermute_b32 v26, v45, v25
	s_wait_dscnt 0x0
	v_cndmask_b32_e32 v26, 0, v26, vcc_lo
	v_cmp_gt_u32_e32 vcc_lo, 24, v38
	v_cndmask_b32_e64 v28, 0, 8, vcc_lo
	v_cmp_le_u32_e32 vcc_lo, v48, v23
	s_delay_alu instid0(VALU_DEP_4) | instskip(NEXT) | instid1(VALU_DEP_3)
	v_add_nc_u32_e32 v25, v25, v26
	v_add_lshl_u32 v49, v28, v38, 2
	ds_bpermute_b32 v26, v47, v25
	s_wait_dscnt 0x0
	v_cndmask_b32_e32 v26, 0, v26, vcc_lo
	v_cmp_le_u32_e32 vcc_lo, v50, v23
	s_delay_alu instid0(VALU_DEP_2) | instskip(SKIP_4) | instid1(VALU_DEP_2)
	v_add_nc_u32_e32 v25, v25, v26
	ds_bpermute_b32 v26, v49, v25
	s_wait_dscnt 0x0
	v_cndmask_b32_e32 v26, 0, v26, vcc_lo
	v_cmp_le_u32_e32 vcc_lo, v52, v23
	v_add_nc_u32_e32 v25, v25, v26
	ds_bpermute_b32 v26, v51, v25
	s_wait_dscnt 0x0
	v_cndmask_b32_e32 v23, 0, v26, vcc_lo
	s_delay_alu instid0(VALU_DEP_1)
	v_dual_mov_b32 v25, 0 :: v_dual_add_nc_u32 v26, v25, v23
	s_branch .LBB1663_183
.LBB1663_181:                           ;   in Loop: Header=BB1663_183 Depth=1
	s_or_b32 exec_lo, exec_lo, s18
	v_and_b32_e32 v28, 0xff, v27
	ds_bpermute_b32 v29, v43, v26
	v_subrev_nc_u32_e32 v24, 32, v24
	s_mov_b32 s18, 0
	v_cmp_eq_u16_e32 vcc_lo, 2, v28
	v_and_or_b32 v28, vcc_lo, v44, 0x80000000
	s_delay_alu instid0(VALU_DEP_1) | instskip(NEXT) | instid1(VALU_DEP_1)
	v_ctz_i32_b32_e32 v28, v28
	v_cmp_lt_u32_e32 vcc_lo, v38, v28
	s_wait_dscnt 0x0
	v_cndmask_b32_e32 v29, 0, v29, vcc_lo
	v_cmp_le_u32_e32 vcc_lo, v46, v28
	s_delay_alu instid0(VALU_DEP_2) | instskip(SKIP_4) | instid1(VALU_DEP_2)
	v_add_nc_u32_e32 v26, v29, v26
	ds_bpermute_b32 v29, v45, v26
	s_wait_dscnt 0x0
	v_cndmask_b32_e32 v29, 0, v29, vcc_lo
	v_cmp_le_u32_e32 vcc_lo, v48, v28
	v_add_nc_u32_e32 v26, v26, v29
	ds_bpermute_b32 v29, v47, v26
	s_wait_dscnt 0x0
	v_cndmask_b32_e32 v29, 0, v29, vcc_lo
	v_cmp_le_u32_e32 vcc_lo, v50, v28
	s_delay_alu instid0(VALU_DEP_2) | instskip(SKIP_4) | instid1(VALU_DEP_2)
	v_add_nc_u32_e32 v26, v26, v29
	ds_bpermute_b32 v29, v49, v26
	s_wait_dscnt 0x0
	v_cndmask_b32_e32 v29, 0, v29, vcc_lo
	v_cmp_le_u32_e32 vcc_lo, v52, v28
	v_add_nc_u32_e32 v26, v26, v29
	ds_bpermute_b32 v29, v51, v26
	s_wait_dscnt 0x0
	v_cndmask_b32_e32 v28, 0, v29, vcc_lo
	s_delay_alu instid0(VALU_DEP_1)
	v_add3_u32 v26, v28, v23, v26
.LBB1663_182:                           ;   in Loop: Header=BB1663_183 Depth=1
	s_and_b32 vcc_lo, exec_lo, s18
	s_cbranch_vccnz .LBB1663_188
.LBB1663_183:                           ; =>This Loop Header: Depth=1
                                        ;     Child Loop BB1663_186 Depth 2
	v_and_b32_e32 v23, 0xff, v27
	s_mov_b32 s18, -1
                                        ; implicit-def: $vgpr27
	s_delay_alu instid0(VALU_DEP_1)
	v_cmp_ne_u16_e32 vcc_lo, 2, v23
	v_mov_b32_e32 v23, v26
                                        ; implicit-def: $vgpr26
	s_cmp_lg_u32 vcc_lo, exec_lo
	s_cbranch_scc1 .LBB1663_182
; %bb.184:                              ;   in Loop: Header=BB1663_183 Depth=1
	global_load_b64 v[26:27], v24, s[10:11] scale_offset scope:SCOPE_DEV
	s_mov_b32 s18, exec_lo
	s_wait_loadcnt 0x0
	v_and_b32_e32 v28, 0xff, v27
	s_wait_xcnt 0x0
	s_delay_alu instid0(VALU_DEP_1)
	v_cmpx_eq_u16_e32 0, v28
	s_cbranch_execz .LBB1663_181
; %bb.185:                              ;   in Loop: Header=BB1663_183 Depth=1
	v_lshl_add_u64 v[28:29], v[24:25], 3, s[10:11]
	s_mov_b32 s19, 0
.LBB1663_186:                           ;   Parent Loop BB1663_183 Depth=1
                                        ; =>  This Inner Loop Header: Depth=2
	global_load_b64 v[26:27], v[28:29], off scope:SCOPE_DEV
	s_wait_loadcnt 0x0
	v_and_b32_e32 v53, 0xff, v27
	s_delay_alu instid0(VALU_DEP_1)
	v_cmp_ne_u16_e32 vcc_lo, 0, v53
	s_or_b32 s19, vcc_lo, s19
	s_wait_xcnt 0x0
	s_and_not1_b32 exec_lo, exec_lo, s19
	s_cbranch_execnz .LBB1663_186
; %bb.187:                              ;   in Loop: Header=BB1663_183 Depth=1
	s_or_b32 exec_lo, exec_lo, s19
	s_branch .LBB1663_181
.LBB1663_188:
	s_and_saveexec_b32 s18, s8
	s_cbranch_execz .LBB1663_190
; %bb.189:
	s_add_co_i32 s19, s20, 32
	v_dual_mov_b32 v25, 2 :: v_dual_add_nc_u32 v24, v23, v22
	v_dual_mov_b32 v26, s19 :: v_dual_mov_b32 v27, 0
	global_store_b64 v26, v[24:25], s[10:11] scale_offset scope:SCOPE_DEV
	ds_store_b64 v27, v[22:23] offset:28672
.LBB1663_190:
	s_wait_xcnt 0x0
	s_or_b32 exec_lo, exec_lo, s18
	v_cmp_eq_u32_e32 vcc_lo, 0, v0
	s_and_b32 exec_lo, exec_lo, vcc_lo
; %bb.191:
	v_mov_b32_e32 v22, 0
	ds_store_b32 v22, v23 offset:60
.LBB1663_192:
	s_or_b32 exec_lo, exec_lo, s9
	s_wait_dscnt 0x0
	v_dual_mov_b32 v22, 0 :: v_dual_cndmask_b32 v24, v42, v41, s8
	s_wait_storecnt 0x0
	s_barrier_signal -1
	s_barrier_wait -1
	ds_load_b32 v23, v22 offset:60
	v_cmp_ne_u32_e32 vcc_lo, 0, v0
	s_wait_dscnt 0x0
	s_barrier_signal -1
	s_barrier_wait -1
	v_cndmask_b32_e32 v24, 0, v24, vcc_lo
	s_mov_b32 s8, 0
	s_delay_alu instid0(VALU_DEP_1) | instskip(SKIP_2) | instid1(VALU_DEP_1)
	v_add_nc_u32_e32 v42, v23, v24
	ds_load_b64 v[22:23], v22 offset:28672
	v_add_nc_u32_e32 v41, v42, v19
	v_add_nc_u32_e32 v29, v41, v21
	s_delay_alu instid0(VALU_DEP_1) | instskip(SKIP_1) | instid1(VALU_DEP_1)
	v_add_nc_u32_e32 v28, v29, v34
	s_wait_dscnt 0x0
	v_dual_mov_b32 v24, v23 :: v_dual_add_nc_u32 v27, v28, v35
	s_delay_alu instid0(VALU_DEP_1) | instskip(NEXT) | instid1(VALU_DEP_1)
	v_add_nc_u32_e32 v26, v27, v36
	v_add_nc_u32_e32 v25, v26, v37
.LBB1663_193:
	s_and_b32 vcc_lo, exec_lo, s8
	s_cbranch_vccz .LBB1663_203
; %bb.194:
	v_mov_b32_dpp v22, v40 row_shr:1 row_mask:0xf bank_mask:0xf
	s_delay_alu instid0(VALU_DEP_1) | instskip(NEXT) | instid1(VALU_DEP_1)
	v_cndmask_b32_e64 v22, v22, 0, s2
	v_add_nc_u32_e32 v22, v22, v40
	s_delay_alu instid0(VALU_DEP_1) | instskip(NEXT) | instid1(VALU_DEP_1)
	v_mov_b32_dpp v23, v22 row_shr:2 row_mask:0xf bank_mask:0xf
	v_cndmask_b32_e64 v23, 0, v23, s4
	s_delay_alu instid0(VALU_DEP_1) | instskip(NEXT) | instid1(VALU_DEP_1)
	v_add_nc_u32_e32 v22, v22, v23
	v_mov_b32_dpp v23, v22 row_shr:4 row_mask:0xf bank_mask:0xf
	s_delay_alu instid0(VALU_DEP_1) | instskip(NEXT) | instid1(VALU_DEP_1)
	v_cndmask_b32_e64 v23, 0, v23, s5
	v_add_nc_u32_e32 v22, v22, v23
	s_delay_alu instid0(VALU_DEP_1) | instskip(NEXT) | instid1(VALU_DEP_1)
	v_mov_b32_dpp v23, v22 row_shr:8 row_mask:0xf bank_mask:0xf
	v_cndmask_b32_e64 v23, 0, v23, s3
	s_delay_alu instid0(VALU_DEP_1) | instskip(SKIP_3) | instid1(VALU_DEP_1)
	v_add_nc_u32_e32 v22, v22, v23
	ds_swizzle_b32 v23, v22 offset:swizzle(BROADCAST,32,15)
	s_wait_dscnt 0x0
	v_cndmask_b32_e64 v23, v23, 0, s7
	v_add_nc_u32_e32 v22, v22, v23
	s_and_saveexec_b32 s7, s6
; %bb.195:
	v_lshlrev_b32_e32 v23, 2, v39
	ds_store_b32 v23, v22
; %bb.196:
	s_or_b32 exec_lo, exec_lo, s7
	s_delay_alu instid0(SALU_CYCLE_1)
	s_mov_b32 s6, exec_lo
	s_wait_dscnt 0x0
	s_barrier_signal -1
	s_barrier_wait -1
	v_cmpx_gt_u32_e32 16, v0
	s_cbranch_execz .LBB1663_198
; %bb.197:
	v_lshlrev_b32_e32 v23, 2, v0
	ds_load_b32 v24, v23
	s_wait_dscnt 0x0
	v_mov_b32_dpp v25, v24 row_shr:1 row_mask:0xf bank_mask:0xf
	s_delay_alu instid0(VALU_DEP_1) | instskip(NEXT) | instid1(VALU_DEP_1)
	v_cndmask_b32_e64 v25, v25, 0, s2
	v_add_nc_u32_e32 v24, v25, v24
	s_delay_alu instid0(VALU_DEP_1) | instskip(NEXT) | instid1(VALU_DEP_1)
	v_mov_b32_dpp v25, v24 row_shr:2 row_mask:0xf bank_mask:0xf
	v_cndmask_b32_e64 v25, 0, v25, s4
	s_delay_alu instid0(VALU_DEP_1) | instskip(NEXT) | instid1(VALU_DEP_1)
	v_add_nc_u32_e32 v24, v24, v25
	v_mov_b32_dpp v25, v24 row_shr:4 row_mask:0xf bank_mask:0xf
	s_delay_alu instid0(VALU_DEP_1) | instskip(NEXT) | instid1(VALU_DEP_1)
	v_cndmask_b32_e64 v25, 0, v25, s5
	v_add_nc_u32_e32 v24, v24, v25
	s_delay_alu instid0(VALU_DEP_1) | instskip(NEXT) | instid1(VALU_DEP_1)
	v_mov_b32_dpp v25, v24 row_shr:8 row_mask:0xf bank_mask:0xf
	v_cndmask_b32_e64 v25, 0, v25, s3
	s_delay_alu instid0(VALU_DEP_1)
	v_add_nc_u32_e32 v24, v24, v25
	ds_store_b32 v23, v24
.LBB1663_198:
	s_or_b32 exec_lo, exec_lo, s6
	v_dual_mov_b32 v23, 0 :: v_dual_mov_b32 v24, 0
	s_mov_b32 s2, exec_lo
	s_wait_dscnt 0x0
	s_barrier_signal -1
	s_barrier_wait -1
	v_cmpx_lt_u32_e32 31, v0
; %bb.199:
	v_lshl_add_u32 v24, v39, 2, -4
	ds_load_b32 v24, v24
; %bb.200:
	s_or_b32 exec_lo, exec_lo, s2
	v_sub_co_u32 v25, vcc_lo, v38, 1
	s_delay_alu instid0(VALU_DEP_1) | instskip(NEXT) | instid1(VALU_DEP_1)
	v_cmp_gt_i32_e64 s2, 0, v25
	v_cndmask_b32_e64 v25, v25, v38, s2
	s_wait_dscnt 0x0
	v_add_nc_u32_e32 v22, v24, v22
	v_cmp_eq_u32_e64 s2, 0, v0
	s_delay_alu instid0(VALU_DEP_3)
	v_lshlrev_b32_e32 v25, 2, v25
	ds_bpermute_b32 v25, v25, v22
	ds_load_b32 v22, v23 offset:60
	s_and_saveexec_b32 s3, s2
	s_cbranch_execz .LBB1663_202
; %bb.201:
	v_dual_mov_b32 v26, 0 :: v_dual_mov_b32 v23, 2
	s_wait_dscnt 0x0
	global_store_b64 v26, v[22:23], s[10:11] offset:256 scope:SCOPE_DEV
.LBB1663_202:
	s_wait_xcnt 0x0
	s_or_b32 exec_lo, exec_lo, s3
	s_wait_dscnt 0x1
	v_cndmask_b32_e32 v23, v25, v24, vcc_lo
	s_wait_storecnt_dscnt 0x0
	s_barrier_signal -1
	s_barrier_wait -1
	s_delay_alu instid0(VALU_DEP_1) | instskip(NEXT) | instid1(VALU_DEP_1)
	v_cndmask_b32_e64 v42, v23, 0, s2
	v_dual_mov_b32 v24, 0 :: v_dual_add_nc_u32 v41, v42, v19
	s_delay_alu instid0(VALU_DEP_1) | instskip(NEXT) | instid1(VALU_DEP_1)
	v_add_nc_u32_e32 v29, v41, v21
	v_add_nc_u32_e32 v28, v29, v34
	s_delay_alu instid0(VALU_DEP_1) | instskip(NEXT) | instid1(VALU_DEP_1)
	v_add_nc_u32_e32 v27, v28, v35
	v_add_nc_u32_e32 v26, v27, v36
	s_delay_alu instid0(VALU_DEP_1)
	v_add_nc_u32_e32 v25, v26, v37
.LBB1663_203:
	s_load_b64 s[2:3], s[0:1], 0x28
	v_and_b32_e32 v16, 1, v16
	v_cmp_gt_u32_e32 vcc_lo, 0x201, v22
	s_wait_xcnt 0x0
	s_mov_b32 s1, -1
	s_delay_alu instid0(VALU_DEP_2)
	v_cmp_eq_u32_e64 s0, 1, v16
	s_cbranch_vccnz .LBB1663_207
; %bb.204:
	s_and_b32 vcc_lo, exec_lo, s1
	s_cbranch_vccnz .LBB1663_222
.LBB1663_205:
	v_cmp_eq_u32_e32 vcc_lo, 0, v0
	s_and_b32 s0, vcc_lo, s16
	s_delay_alu instid0(SALU_CYCLE_1)
	s_and_saveexec_b32 s1, s0
	s_cbranch_execnz .LBB1663_239
.LBB1663_206:
	s_endpgm
.LBB1663_207:
	v_add_nc_u32_e32 v19, v24, v22
	s_delay_alu instid0(VALU_DEP_1) | instskip(SKIP_1) | instid1(SALU_CYCLE_1)
	v_cmp_lt_u32_e32 vcc_lo, v42, v19
	s_or_b32 s1, s17, vcc_lo
	s_and_b32 s1, s1, s0
	s_delay_alu instid0(SALU_CYCLE_1)
	s_and_saveexec_b32 s0, s1
	s_cbranch_execz .LBB1663_209
; %bb.208:
	s_lshl_b64 s[4:5], s[14:15], 3
	s_wait_kmcnt 0x0
	s_add_nc_u64 s[4:5], s[2:3], s[4:5]
	global_store_b64 v42, v[10:11], s[4:5] scale_offset
.LBB1663_209:
	s_wait_xcnt 0x0
	s_or_b32 exec_lo, exec_lo, s0
	v_and_b32_e32 v21, 1, v33
	v_cmp_lt_u32_e32 vcc_lo, v41, v19
	s_delay_alu instid0(VALU_DEP_2) | instskip(SKIP_1) | instid1(SALU_CYCLE_1)
	v_cmp_eq_u32_e64 s0, 1, v21
	s_or_b32 s1, s17, vcc_lo
	s_and_b32 s1, s1, s0
	s_delay_alu instid0(SALU_CYCLE_1)
	s_and_saveexec_b32 s0, s1
	s_cbranch_execz .LBB1663_211
; %bb.210:
	s_lshl_b64 s[4:5], s[14:15], 3
	s_wait_kmcnt 0x0
	s_add_nc_u64 s[4:5], s[2:3], s[4:5]
	global_store_b64 v41, v[12:13], s[4:5] scale_offset
.LBB1663_211:
	s_wait_xcnt 0x0
	s_or_b32 exec_lo, exec_lo, s0
	v_and_b32_e32 v21, 1, v32
	v_cmp_lt_u32_e32 vcc_lo, v29, v19
	s_delay_alu instid0(VALU_DEP_2) | instskip(SKIP_1) | instid1(SALU_CYCLE_1)
	v_cmp_eq_u32_e64 s0, 1, v21
	;; [unrolled: 17-line block ×6, first 2 shown]
	s_or_b32 s1, s17, vcc_lo
	s_and_b32 s1, s1, s0
	s_delay_alu instid0(SALU_CYCLE_1)
	s_and_saveexec_b32 s0, s1
	s_cbranch_execz .LBB1663_221
; %bb.220:
	s_lshl_b64 s[4:5], s[14:15], 3
	s_wait_kmcnt 0x0
	s_add_nc_u64 s[4:5], s[2:3], s[4:5]
	global_store_b64 v25, v[14:15], s[4:5] scale_offset
.LBB1663_221:
	s_wait_xcnt 0x0
	s_or_b32 exec_lo, exec_lo, s0
	s_branch .LBB1663_205
.LBB1663_222:
	s_mov_b32 s0, exec_lo
	v_cmpx_eq_u32_e32 1, v16
; %bb.223:
	v_sub_nc_u32_e32 v16, v42, v24
	s_delay_alu instid0(VALU_DEP_1)
	v_lshlrev_b32_e32 v16, 3, v16
	ds_store_b64 v16, v[10:11]
; %bb.224:
	s_or_b32 exec_lo, exec_lo, s0
	v_and_b32_e32 v10, 1, v33
	s_mov_b32 s0, exec_lo
	s_delay_alu instid0(VALU_DEP_1)
	v_cmpx_eq_u32_e32 1, v10
; %bb.225:
	v_sub_nc_u32_e32 v10, v41, v24
	s_delay_alu instid0(VALU_DEP_1)
	v_lshlrev_b32_e32 v10, 3, v10
	ds_store_b64 v10, v[12:13]
; %bb.226:
	s_or_b32 exec_lo, exec_lo, s0
	v_and_b32_e32 v10, 1, v32
	s_mov_b32 s0, exec_lo
	s_delay_alu instid0(VALU_DEP_1)
	;; [unrolled: 11-line block ×6, first 2 shown]
	v_cmpx_eq_u32_e32 1, v2
; %bb.235:
	v_sub_nc_u32_e32 v2, v25, v24
	s_delay_alu instid0(VALU_DEP_1)
	v_lshlrev_b32_e32 v2, 3, v2
	ds_store_b64 v2, v[14:15]
; %bb.236:
	s_or_b32 exec_lo, exec_lo, s0
	v_mov_b32_e32 v25, 0
	s_lshl_b64 s[0:1], s[14:15], 3
	s_wait_storecnt_dscnt 0x0
	s_barrier_signal -1
	s_barrier_wait -1
	v_lshlrev_b64_e32 v[2:3], 3, v[24:25]
	v_mov_b32_e32 v19, v25
	s_delay_alu instid0(VALU_DEP_2) | instskip(SKIP_2) | instid1(VALU_DEP_1)
	v_add_nc_u64_e32 v[2:3], s[0:1], v[2:3]
	s_mov_b32 s0, 0
	s_wait_kmcnt 0x0
	v_add_nc_u64_e32 v[2:3], s[2:3], v[2:3]
	s_delay_alu instid0(VALU_DEP_1)
	v_add_nc_u64_e32 v[2:3], v[2:3], v[18:19]
.LBB1663_237:                           ; =>This Inner Loop Header: Depth=1
	ds_load_b64 v[4:5], v18
	v_add_nc_u32_e32 v1, 0x200, v1
	v_add_nc_u32_e32 v18, 0x1000, v18
	s_delay_alu instid0(VALU_DEP_2)
	v_cmp_ge_u32_e32 vcc_lo, v1, v22
	s_or_b32 s0, vcc_lo, s0
	s_wait_dscnt 0x0
	global_store_b64 v[2:3], v[4:5], off
	s_wait_xcnt 0x0
	v_add_nc_u64_e32 v[2:3], 0x1000, v[2:3]
	s_and_not1_b32 exec_lo, exec_lo, s0
	s_cbranch_execnz .LBB1663_237
; %bb.238:
	s_or_b32 exec_lo, exec_lo, s0
	v_cmp_eq_u32_e32 vcc_lo, 0, v0
	s_and_b32 s0, vcc_lo, s16
	s_delay_alu instid0(SALU_CYCLE_1)
	s_and_saveexec_b32 s1, s0
	s_cbranch_execz .LBB1663_206
.LBB1663_239:
	v_mov_b32_e32 v23, 0
	s_delay_alu instid0(VALU_DEP_1) | instskip(SKIP_1) | instid1(VALU_DEP_1)
	v_add_nc_u64_e32 v[0:1], s[14:15], v[22:23]
	v_mov_b32_e32 v25, v23
	v_add_nc_u64_e32 v[0:1], v[0:1], v[24:25]
	global_store_b64 v23, v[0:1], s[12:13]
	s_endpgm
	.section	.rodata,"a",@progbits
	.p2align	6, 0x0
	.amdhsa_kernel _ZN7rocprim17ROCPRIM_400000_NS6detail17trampoline_kernelINS0_14default_configENS1_25partition_config_selectorILNS1_17partition_subalgoE8ElNS0_10empty_typeEbEEZZNS1_14partition_implILS5_8ELb0ES3_jPlPS6_PKS6_NS0_5tupleIJS9_S6_EEENSD_IJSA_SA_EEENS0_18inequality_wrapperIZN2at6native12_GLOBAL__N_124unique_dim_cuda_templateImEESt5tupleIJNSH_6TensorESM_SM_EERKSM_lbbbEUlllE0_EEPmJS6_EEE10hipError_tPvRmT3_T4_T5_T6_T7_T9_mT8_P12ihipStream_tbDpT10_ENKUlT_T0_E_clISt17integral_constantIbLb0EES1C_EEDaS17_S18_EUlS17_E_NS1_11comp_targetILNS1_3genE0ELNS1_11target_archE4294967295ELNS1_3gpuE0ELNS1_3repE0EEENS1_30default_config_static_selectorELNS0_4arch9wavefront6targetE0EEEvT1_
		.amdhsa_group_segment_fixed_size 28680
		.amdhsa_private_segment_fixed_size 0
		.amdhsa_kernarg_size 120
		.amdhsa_user_sgpr_count 2
		.amdhsa_user_sgpr_dispatch_ptr 0
		.amdhsa_user_sgpr_queue_ptr 0
		.amdhsa_user_sgpr_kernarg_segment_ptr 1
		.amdhsa_user_sgpr_dispatch_id 0
		.amdhsa_user_sgpr_kernarg_preload_length 0
		.amdhsa_user_sgpr_kernarg_preload_offset 0
		.amdhsa_user_sgpr_private_segment_size 0
		.amdhsa_wavefront_size32 1
		.amdhsa_uses_dynamic_stack 0
		.amdhsa_enable_private_segment 0
		.amdhsa_system_sgpr_workgroup_id_x 1
		.amdhsa_system_sgpr_workgroup_id_y 0
		.amdhsa_system_sgpr_workgroup_id_z 0
		.amdhsa_system_sgpr_workgroup_info 0
		.amdhsa_system_vgpr_workitem_id 0
		.amdhsa_next_free_vgpr 54
		.amdhsa_next_free_sgpr 36
		.amdhsa_named_barrier_count 0
		.amdhsa_reserve_vcc 1
		.amdhsa_float_round_mode_32 0
		.amdhsa_float_round_mode_16_64 0
		.amdhsa_float_denorm_mode_32 3
		.amdhsa_float_denorm_mode_16_64 3
		.amdhsa_fp16_overflow 0
		.amdhsa_memory_ordered 1
		.amdhsa_forward_progress 1
		.amdhsa_inst_pref_size 82
		.amdhsa_round_robin_scheduling 0
		.amdhsa_exception_fp_ieee_invalid_op 0
		.amdhsa_exception_fp_denorm_src 0
		.amdhsa_exception_fp_ieee_div_zero 0
		.amdhsa_exception_fp_ieee_overflow 0
		.amdhsa_exception_fp_ieee_underflow 0
		.amdhsa_exception_fp_ieee_inexact 0
		.amdhsa_exception_int_div_zero 0
	.end_amdhsa_kernel
	.section	.text._ZN7rocprim17ROCPRIM_400000_NS6detail17trampoline_kernelINS0_14default_configENS1_25partition_config_selectorILNS1_17partition_subalgoE8ElNS0_10empty_typeEbEEZZNS1_14partition_implILS5_8ELb0ES3_jPlPS6_PKS6_NS0_5tupleIJS9_S6_EEENSD_IJSA_SA_EEENS0_18inequality_wrapperIZN2at6native12_GLOBAL__N_124unique_dim_cuda_templateImEESt5tupleIJNSH_6TensorESM_SM_EERKSM_lbbbEUlllE0_EEPmJS6_EEE10hipError_tPvRmT3_T4_T5_T6_T7_T9_mT8_P12ihipStream_tbDpT10_ENKUlT_T0_E_clISt17integral_constantIbLb0EES1C_EEDaS17_S18_EUlS17_E_NS1_11comp_targetILNS1_3genE0ELNS1_11target_archE4294967295ELNS1_3gpuE0ELNS1_3repE0EEENS1_30default_config_static_selectorELNS0_4arch9wavefront6targetE0EEEvT1_,"axG",@progbits,_ZN7rocprim17ROCPRIM_400000_NS6detail17trampoline_kernelINS0_14default_configENS1_25partition_config_selectorILNS1_17partition_subalgoE8ElNS0_10empty_typeEbEEZZNS1_14partition_implILS5_8ELb0ES3_jPlPS6_PKS6_NS0_5tupleIJS9_S6_EEENSD_IJSA_SA_EEENS0_18inequality_wrapperIZN2at6native12_GLOBAL__N_124unique_dim_cuda_templateImEESt5tupleIJNSH_6TensorESM_SM_EERKSM_lbbbEUlllE0_EEPmJS6_EEE10hipError_tPvRmT3_T4_T5_T6_T7_T9_mT8_P12ihipStream_tbDpT10_ENKUlT_T0_E_clISt17integral_constantIbLb0EES1C_EEDaS17_S18_EUlS17_E_NS1_11comp_targetILNS1_3genE0ELNS1_11target_archE4294967295ELNS1_3gpuE0ELNS1_3repE0EEENS1_30default_config_static_selectorELNS0_4arch9wavefront6targetE0EEEvT1_,comdat
.Lfunc_end1663:
	.size	_ZN7rocprim17ROCPRIM_400000_NS6detail17trampoline_kernelINS0_14default_configENS1_25partition_config_selectorILNS1_17partition_subalgoE8ElNS0_10empty_typeEbEEZZNS1_14partition_implILS5_8ELb0ES3_jPlPS6_PKS6_NS0_5tupleIJS9_S6_EEENSD_IJSA_SA_EEENS0_18inequality_wrapperIZN2at6native12_GLOBAL__N_124unique_dim_cuda_templateImEESt5tupleIJNSH_6TensorESM_SM_EERKSM_lbbbEUlllE0_EEPmJS6_EEE10hipError_tPvRmT3_T4_T5_T6_T7_T9_mT8_P12ihipStream_tbDpT10_ENKUlT_T0_E_clISt17integral_constantIbLb0EES1C_EEDaS17_S18_EUlS17_E_NS1_11comp_targetILNS1_3genE0ELNS1_11target_archE4294967295ELNS1_3gpuE0ELNS1_3repE0EEENS1_30default_config_static_selectorELNS0_4arch9wavefront6targetE0EEEvT1_, .Lfunc_end1663-_ZN7rocprim17ROCPRIM_400000_NS6detail17trampoline_kernelINS0_14default_configENS1_25partition_config_selectorILNS1_17partition_subalgoE8ElNS0_10empty_typeEbEEZZNS1_14partition_implILS5_8ELb0ES3_jPlPS6_PKS6_NS0_5tupleIJS9_S6_EEENSD_IJSA_SA_EEENS0_18inequality_wrapperIZN2at6native12_GLOBAL__N_124unique_dim_cuda_templateImEESt5tupleIJNSH_6TensorESM_SM_EERKSM_lbbbEUlllE0_EEPmJS6_EEE10hipError_tPvRmT3_T4_T5_T6_T7_T9_mT8_P12ihipStream_tbDpT10_ENKUlT_T0_E_clISt17integral_constantIbLb0EES1C_EEDaS17_S18_EUlS17_E_NS1_11comp_targetILNS1_3genE0ELNS1_11target_archE4294967295ELNS1_3gpuE0ELNS1_3repE0EEENS1_30default_config_static_selectorELNS0_4arch9wavefront6targetE0EEEvT1_
                                        ; -- End function
	.set _ZN7rocprim17ROCPRIM_400000_NS6detail17trampoline_kernelINS0_14default_configENS1_25partition_config_selectorILNS1_17partition_subalgoE8ElNS0_10empty_typeEbEEZZNS1_14partition_implILS5_8ELb0ES3_jPlPS6_PKS6_NS0_5tupleIJS9_S6_EEENSD_IJSA_SA_EEENS0_18inequality_wrapperIZN2at6native12_GLOBAL__N_124unique_dim_cuda_templateImEESt5tupleIJNSH_6TensorESM_SM_EERKSM_lbbbEUlllE0_EEPmJS6_EEE10hipError_tPvRmT3_T4_T5_T6_T7_T9_mT8_P12ihipStream_tbDpT10_ENKUlT_T0_E_clISt17integral_constantIbLb0EES1C_EEDaS17_S18_EUlS17_E_NS1_11comp_targetILNS1_3genE0ELNS1_11target_archE4294967295ELNS1_3gpuE0ELNS1_3repE0EEENS1_30default_config_static_selectorELNS0_4arch9wavefront6targetE0EEEvT1_.num_vgpr, 54
	.set _ZN7rocprim17ROCPRIM_400000_NS6detail17trampoline_kernelINS0_14default_configENS1_25partition_config_selectorILNS1_17partition_subalgoE8ElNS0_10empty_typeEbEEZZNS1_14partition_implILS5_8ELb0ES3_jPlPS6_PKS6_NS0_5tupleIJS9_S6_EEENSD_IJSA_SA_EEENS0_18inequality_wrapperIZN2at6native12_GLOBAL__N_124unique_dim_cuda_templateImEESt5tupleIJNSH_6TensorESM_SM_EERKSM_lbbbEUlllE0_EEPmJS6_EEE10hipError_tPvRmT3_T4_T5_T6_T7_T9_mT8_P12ihipStream_tbDpT10_ENKUlT_T0_E_clISt17integral_constantIbLb0EES1C_EEDaS17_S18_EUlS17_E_NS1_11comp_targetILNS1_3genE0ELNS1_11target_archE4294967295ELNS1_3gpuE0ELNS1_3repE0EEENS1_30default_config_static_selectorELNS0_4arch9wavefront6targetE0EEEvT1_.num_agpr, 0
	.set _ZN7rocprim17ROCPRIM_400000_NS6detail17trampoline_kernelINS0_14default_configENS1_25partition_config_selectorILNS1_17partition_subalgoE8ElNS0_10empty_typeEbEEZZNS1_14partition_implILS5_8ELb0ES3_jPlPS6_PKS6_NS0_5tupleIJS9_S6_EEENSD_IJSA_SA_EEENS0_18inequality_wrapperIZN2at6native12_GLOBAL__N_124unique_dim_cuda_templateImEESt5tupleIJNSH_6TensorESM_SM_EERKSM_lbbbEUlllE0_EEPmJS6_EEE10hipError_tPvRmT3_T4_T5_T6_T7_T9_mT8_P12ihipStream_tbDpT10_ENKUlT_T0_E_clISt17integral_constantIbLb0EES1C_EEDaS17_S18_EUlS17_E_NS1_11comp_targetILNS1_3genE0ELNS1_11target_archE4294967295ELNS1_3gpuE0ELNS1_3repE0EEENS1_30default_config_static_selectorELNS0_4arch9wavefront6targetE0EEEvT1_.numbered_sgpr, 36
	.set _ZN7rocprim17ROCPRIM_400000_NS6detail17trampoline_kernelINS0_14default_configENS1_25partition_config_selectorILNS1_17partition_subalgoE8ElNS0_10empty_typeEbEEZZNS1_14partition_implILS5_8ELb0ES3_jPlPS6_PKS6_NS0_5tupleIJS9_S6_EEENSD_IJSA_SA_EEENS0_18inequality_wrapperIZN2at6native12_GLOBAL__N_124unique_dim_cuda_templateImEESt5tupleIJNSH_6TensorESM_SM_EERKSM_lbbbEUlllE0_EEPmJS6_EEE10hipError_tPvRmT3_T4_T5_T6_T7_T9_mT8_P12ihipStream_tbDpT10_ENKUlT_T0_E_clISt17integral_constantIbLb0EES1C_EEDaS17_S18_EUlS17_E_NS1_11comp_targetILNS1_3genE0ELNS1_11target_archE4294967295ELNS1_3gpuE0ELNS1_3repE0EEENS1_30default_config_static_selectorELNS0_4arch9wavefront6targetE0EEEvT1_.num_named_barrier, 0
	.set _ZN7rocprim17ROCPRIM_400000_NS6detail17trampoline_kernelINS0_14default_configENS1_25partition_config_selectorILNS1_17partition_subalgoE8ElNS0_10empty_typeEbEEZZNS1_14partition_implILS5_8ELb0ES3_jPlPS6_PKS6_NS0_5tupleIJS9_S6_EEENSD_IJSA_SA_EEENS0_18inequality_wrapperIZN2at6native12_GLOBAL__N_124unique_dim_cuda_templateImEESt5tupleIJNSH_6TensorESM_SM_EERKSM_lbbbEUlllE0_EEPmJS6_EEE10hipError_tPvRmT3_T4_T5_T6_T7_T9_mT8_P12ihipStream_tbDpT10_ENKUlT_T0_E_clISt17integral_constantIbLb0EES1C_EEDaS17_S18_EUlS17_E_NS1_11comp_targetILNS1_3genE0ELNS1_11target_archE4294967295ELNS1_3gpuE0ELNS1_3repE0EEENS1_30default_config_static_selectorELNS0_4arch9wavefront6targetE0EEEvT1_.private_seg_size, 0
	.set _ZN7rocprim17ROCPRIM_400000_NS6detail17trampoline_kernelINS0_14default_configENS1_25partition_config_selectorILNS1_17partition_subalgoE8ElNS0_10empty_typeEbEEZZNS1_14partition_implILS5_8ELb0ES3_jPlPS6_PKS6_NS0_5tupleIJS9_S6_EEENSD_IJSA_SA_EEENS0_18inequality_wrapperIZN2at6native12_GLOBAL__N_124unique_dim_cuda_templateImEESt5tupleIJNSH_6TensorESM_SM_EERKSM_lbbbEUlllE0_EEPmJS6_EEE10hipError_tPvRmT3_T4_T5_T6_T7_T9_mT8_P12ihipStream_tbDpT10_ENKUlT_T0_E_clISt17integral_constantIbLb0EES1C_EEDaS17_S18_EUlS17_E_NS1_11comp_targetILNS1_3genE0ELNS1_11target_archE4294967295ELNS1_3gpuE0ELNS1_3repE0EEENS1_30default_config_static_selectorELNS0_4arch9wavefront6targetE0EEEvT1_.uses_vcc, 1
	.set _ZN7rocprim17ROCPRIM_400000_NS6detail17trampoline_kernelINS0_14default_configENS1_25partition_config_selectorILNS1_17partition_subalgoE8ElNS0_10empty_typeEbEEZZNS1_14partition_implILS5_8ELb0ES3_jPlPS6_PKS6_NS0_5tupleIJS9_S6_EEENSD_IJSA_SA_EEENS0_18inequality_wrapperIZN2at6native12_GLOBAL__N_124unique_dim_cuda_templateImEESt5tupleIJNSH_6TensorESM_SM_EERKSM_lbbbEUlllE0_EEPmJS6_EEE10hipError_tPvRmT3_T4_T5_T6_T7_T9_mT8_P12ihipStream_tbDpT10_ENKUlT_T0_E_clISt17integral_constantIbLb0EES1C_EEDaS17_S18_EUlS17_E_NS1_11comp_targetILNS1_3genE0ELNS1_11target_archE4294967295ELNS1_3gpuE0ELNS1_3repE0EEENS1_30default_config_static_selectorELNS0_4arch9wavefront6targetE0EEEvT1_.uses_flat_scratch, 0
	.set _ZN7rocprim17ROCPRIM_400000_NS6detail17trampoline_kernelINS0_14default_configENS1_25partition_config_selectorILNS1_17partition_subalgoE8ElNS0_10empty_typeEbEEZZNS1_14partition_implILS5_8ELb0ES3_jPlPS6_PKS6_NS0_5tupleIJS9_S6_EEENSD_IJSA_SA_EEENS0_18inequality_wrapperIZN2at6native12_GLOBAL__N_124unique_dim_cuda_templateImEESt5tupleIJNSH_6TensorESM_SM_EERKSM_lbbbEUlllE0_EEPmJS6_EEE10hipError_tPvRmT3_T4_T5_T6_T7_T9_mT8_P12ihipStream_tbDpT10_ENKUlT_T0_E_clISt17integral_constantIbLb0EES1C_EEDaS17_S18_EUlS17_E_NS1_11comp_targetILNS1_3genE0ELNS1_11target_archE4294967295ELNS1_3gpuE0ELNS1_3repE0EEENS1_30default_config_static_selectorELNS0_4arch9wavefront6targetE0EEEvT1_.has_dyn_sized_stack, 0
	.set _ZN7rocprim17ROCPRIM_400000_NS6detail17trampoline_kernelINS0_14default_configENS1_25partition_config_selectorILNS1_17partition_subalgoE8ElNS0_10empty_typeEbEEZZNS1_14partition_implILS5_8ELb0ES3_jPlPS6_PKS6_NS0_5tupleIJS9_S6_EEENSD_IJSA_SA_EEENS0_18inequality_wrapperIZN2at6native12_GLOBAL__N_124unique_dim_cuda_templateImEESt5tupleIJNSH_6TensorESM_SM_EERKSM_lbbbEUlllE0_EEPmJS6_EEE10hipError_tPvRmT3_T4_T5_T6_T7_T9_mT8_P12ihipStream_tbDpT10_ENKUlT_T0_E_clISt17integral_constantIbLb0EES1C_EEDaS17_S18_EUlS17_E_NS1_11comp_targetILNS1_3genE0ELNS1_11target_archE4294967295ELNS1_3gpuE0ELNS1_3repE0EEENS1_30default_config_static_selectorELNS0_4arch9wavefront6targetE0EEEvT1_.has_recursion, 0
	.set _ZN7rocprim17ROCPRIM_400000_NS6detail17trampoline_kernelINS0_14default_configENS1_25partition_config_selectorILNS1_17partition_subalgoE8ElNS0_10empty_typeEbEEZZNS1_14partition_implILS5_8ELb0ES3_jPlPS6_PKS6_NS0_5tupleIJS9_S6_EEENSD_IJSA_SA_EEENS0_18inequality_wrapperIZN2at6native12_GLOBAL__N_124unique_dim_cuda_templateImEESt5tupleIJNSH_6TensorESM_SM_EERKSM_lbbbEUlllE0_EEPmJS6_EEE10hipError_tPvRmT3_T4_T5_T6_T7_T9_mT8_P12ihipStream_tbDpT10_ENKUlT_T0_E_clISt17integral_constantIbLb0EES1C_EEDaS17_S18_EUlS17_E_NS1_11comp_targetILNS1_3genE0ELNS1_11target_archE4294967295ELNS1_3gpuE0ELNS1_3repE0EEENS1_30default_config_static_selectorELNS0_4arch9wavefront6targetE0EEEvT1_.has_indirect_call, 0
	.section	.AMDGPU.csdata,"",@progbits
; Kernel info:
; codeLenInByte = 10408
; TotalNumSgprs: 38
; NumVgprs: 54
; ScratchSize: 0
; MemoryBound: 0
; FloatMode: 240
; IeeeMode: 1
; LDSByteSize: 28680 bytes/workgroup (compile time only)
; SGPRBlocks: 0
; VGPRBlocks: 3
; NumSGPRsForWavesPerEU: 38
; NumVGPRsForWavesPerEU: 54
; NamedBarCnt: 0
; Occupancy: 16
; WaveLimiterHint : 1
; COMPUTE_PGM_RSRC2:SCRATCH_EN: 0
; COMPUTE_PGM_RSRC2:USER_SGPR: 2
; COMPUTE_PGM_RSRC2:TRAP_HANDLER: 0
; COMPUTE_PGM_RSRC2:TGID_X_EN: 1
; COMPUTE_PGM_RSRC2:TGID_Y_EN: 0
; COMPUTE_PGM_RSRC2:TGID_Z_EN: 0
; COMPUTE_PGM_RSRC2:TIDIG_COMP_CNT: 0
	.section	.text._ZN7rocprim17ROCPRIM_400000_NS6detail17trampoline_kernelINS0_14default_configENS1_25partition_config_selectorILNS1_17partition_subalgoE8ElNS0_10empty_typeEbEEZZNS1_14partition_implILS5_8ELb0ES3_jPlPS6_PKS6_NS0_5tupleIJS9_S6_EEENSD_IJSA_SA_EEENS0_18inequality_wrapperIZN2at6native12_GLOBAL__N_124unique_dim_cuda_templateImEESt5tupleIJNSH_6TensorESM_SM_EERKSM_lbbbEUlllE0_EEPmJS6_EEE10hipError_tPvRmT3_T4_T5_T6_T7_T9_mT8_P12ihipStream_tbDpT10_ENKUlT_T0_E_clISt17integral_constantIbLb0EES1C_EEDaS17_S18_EUlS17_E_NS1_11comp_targetILNS1_3genE5ELNS1_11target_archE942ELNS1_3gpuE9ELNS1_3repE0EEENS1_30default_config_static_selectorELNS0_4arch9wavefront6targetE0EEEvT1_,"axG",@progbits,_ZN7rocprim17ROCPRIM_400000_NS6detail17trampoline_kernelINS0_14default_configENS1_25partition_config_selectorILNS1_17partition_subalgoE8ElNS0_10empty_typeEbEEZZNS1_14partition_implILS5_8ELb0ES3_jPlPS6_PKS6_NS0_5tupleIJS9_S6_EEENSD_IJSA_SA_EEENS0_18inequality_wrapperIZN2at6native12_GLOBAL__N_124unique_dim_cuda_templateImEESt5tupleIJNSH_6TensorESM_SM_EERKSM_lbbbEUlllE0_EEPmJS6_EEE10hipError_tPvRmT3_T4_T5_T6_T7_T9_mT8_P12ihipStream_tbDpT10_ENKUlT_T0_E_clISt17integral_constantIbLb0EES1C_EEDaS17_S18_EUlS17_E_NS1_11comp_targetILNS1_3genE5ELNS1_11target_archE942ELNS1_3gpuE9ELNS1_3repE0EEENS1_30default_config_static_selectorELNS0_4arch9wavefront6targetE0EEEvT1_,comdat
	.globl	_ZN7rocprim17ROCPRIM_400000_NS6detail17trampoline_kernelINS0_14default_configENS1_25partition_config_selectorILNS1_17partition_subalgoE8ElNS0_10empty_typeEbEEZZNS1_14partition_implILS5_8ELb0ES3_jPlPS6_PKS6_NS0_5tupleIJS9_S6_EEENSD_IJSA_SA_EEENS0_18inequality_wrapperIZN2at6native12_GLOBAL__N_124unique_dim_cuda_templateImEESt5tupleIJNSH_6TensorESM_SM_EERKSM_lbbbEUlllE0_EEPmJS6_EEE10hipError_tPvRmT3_T4_T5_T6_T7_T9_mT8_P12ihipStream_tbDpT10_ENKUlT_T0_E_clISt17integral_constantIbLb0EES1C_EEDaS17_S18_EUlS17_E_NS1_11comp_targetILNS1_3genE5ELNS1_11target_archE942ELNS1_3gpuE9ELNS1_3repE0EEENS1_30default_config_static_selectorELNS0_4arch9wavefront6targetE0EEEvT1_ ; -- Begin function _ZN7rocprim17ROCPRIM_400000_NS6detail17trampoline_kernelINS0_14default_configENS1_25partition_config_selectorILNS1_17partition_subalgoE8ElNS0_10empty_typeEbEEZZNS1_14partition_implILS5_8ELb0ES3_jPlPS6_PKS6_NS0_5tupleIJS9_S6_EEENSD_IJSA_SA_EEENS0_18inequality_wrapperIZN2at6native12_GLOBAL__N_124unique_dim_cuda_templateImEESt5tupleIJNSH_6TensorESM_SM_EERKSM_lbbbEUlllE0_EEPmJS6_EEE10hipError_tPvRmT3_T4_T5_T6_T7_T9_mT8_P12ihipStream_tbDpT10_ENKUlT_T0_E_clISt17integral_constantIbLb0EES1C_EEDaS17_S18_EUlS17_E_NS1_11comp_targetILNS1_3genE5ELNS1_11target_archE942ELNS1_3gpuE9ELNS1_3repE0EEENS1_30default_config_static_selectorELNS0_4arch9wavefront6targetE0EEEvT1_
	.p2align	8
	.type	_ZN7rocprim17ROCPRIM_400000_NS6detail17trampoline_kernelINS0_14default_configENS1_25partition_config_selectorILNS1_17partition_subalgoE8ElNS0_10empty_typeEbEEZZNS1_14partition_implILS5_8ELb0ES3_jPlPS6_PKS6_NS0_5tupleIJS9_S6_EEENSD_IJSA_SA_EEENS0_18inequality_wrapperIZN2at6native12_GLOBAL__N_124unique_dim_cuda_templateImEESt5tupleIJNSH_6TensorESM_SM_EERKSM_lbbbEUlllE0_EEPmJS6_EEE10hipError_tPvRmT3_T4_T5_T6_T7_T9_mT8_P12ihipStream_tbDpT10_ENKUlT_T0_E_clISt17integral_constantIbLb0EES1C_EEDaS17_S18_EUlS17_E_NS1_11comp_targetILNS1_3genE5ELNS1_11target_archE942ELNS1_3gpuE9ELNS1_3repE0EEENS1_30default_config_static_selectorELNS0_4arch9wavefront6targetE0EEEvT1_,@function
_ZN7rocprim17ROCPRIM_400000_NS6detail17trampoline_kernelINS0_14default_configENS1_25partition_config_selectorILNS1_17partition_subalgoE8ElNS0_10empty_typeEbEEZZNS1_14partition_implILS5_8ELb0ES3_jPlPS6_PKS6_NS0_5tupleIJS9_S6_EEENSD_IJSA_SA_EEENS0_18inequality_wrapperIZN2at6native12_GLOBAL__N_124unique_dim_cuda_templateImEESt5tupleIJNSH_6TensorESM_SM_EERKSM_lbbbEUlllE0_EEPmJS6_EEE10hipError_tPvRmT3_T4_T5_T6_T7_T9_mT8_P12ihipStream_tbDpT10_ENKUlT_T0_E_clISt17integral_constantIbLb0EES1C_EEDaS17_S18_EUlS17_E_NS1_11comp_targetILNS1_3genE5ELNS1_11target_archE942ELNS1_3gpuE9ELNS1_3repE0EEENS1_30default_config_static_selectorELNS0_4arch9wavefront6targetE0EEEvT1_: ; @_ZN7rocprim17ROCPRIM_400000_NS6detail17trampoline_kernelINS0_14default_configENS1_25partition_config_selectorILNS1_17partition_subalgoE8ElNS0_10empty_typeEbEEZZNS1_14partition_implILS5_8ELb0ES3_jPlPS6_PKS6_NS0_5tupleIJS9_S6_EEENSD_IJSA_SA_EEENS0_18inequality_wrapperIZN2at6native12_GLOBAL__N_124unique_dim_cuda_templateImEESt5tupleIJNSH_6TensorESM_SM_EERKSM_lbbbEUlllE0_EEPmJS6_EEE10hipError_tPvRmT3_T4_T5_T6_T7_T9_mT8_P12ihipStream_tbDpT10_ENKUlT_T0_E_clISt17integral_constantIbLb0EES1C_EEDaS17_S18_EUlS17_E_NS1_11comp_targetILNS1_3genE5ELNS1_11target_archE942ELNS1_3gpuE9ELNS1_3repE0EEENS1_30default_config_static_selectorELNS0_4arch9wavefront6targetE0EEEvT1_
; %bb.0:
	.section	.rodata,"a",@progbits
	.p2align	6, 0x0
	.amdhsa_kernel _ZN7rocprim17ROCPRIM_400000_NS6detail17trampoline_kernelINS0_14default_configENS1_25partition_config_selectorILNS1_17partition_subalgoE8ElNS0_10empty_typeEbEEZZNS1_14partition_implILS5_8ELb0ES3_jPlPS6_PKS6_NS0_5tupleIJS9_S6_EEENSD_IJSA_SA_EEENS0_18inequality_wrapperIZN2at6native12_GLOBAL__N_124unique_dim_cuda_templateImEESt5tupleIJNSH_6TensorESM_SM_EERKSM_lbbbEUlllE0_EEPmJS6_EEE10hipError_tPvRmT3_T4_T5_T6_T7_T9_mT8_P12ihipStream_tbDpT10_ENKUlT_T0_E_clISt17integral_constantIbLb0EES1C_EEDaS17_S18_EUlS17_E_NS1_11comp_targetILNS1_3genE5ELNS1_11target_archE942ELNS1_3gpuE9ELNS1_3repE0EEENS1_30default_config_static_selectorELNS0_4arch9wavefront6targetE0EEEvT1_
		.amdhsa_group_segment_fixed_size 0
		.amdhsa_private_segment_fixed_size 0
		.amdhsa_kernarg_size 120
		.amdhsa_user_sgpr_count 2
		.amdhsa_user_sgpr_dispatch_ptr 0
		.amdhsa_user_sgpr_queue_ptr 0
		.amdhsa_user_sgpr_kernarg_segment_ptr 1
		.amdhsa_user_sgpr_dispatch_id 0
		.amdhsa_user_sgpr_kernarg_preload_length 0
		.amdhsa_user_sgpr_kernarg_preload_offset 0
		.amdhsa_user_sgpr_private_segment_size 0
		.amdhsa_wavefront_size32 1
		.amdhsa_uses_dynamic_stack 0
		.amdhsa_enable_private_segment 0
		.amdhsa_system_sgpr_workgroup_id_x 1
		.amdhsa_system_sgpr_workgroup_id_y 0
		.amdhsa_system_sgpr_workgroup_id_z 0
		.amdhsa_system_sgpr_workgroup_info 0
		.amdhsa_system_vgpr_workitem_id 0
		.amdhsa_next_free_vgpr 1
		.amdhsa_next_free_sgpr 1
		.amdhsa_named_barrier_count 0
		.amdhsa_reserve_vcc 0
		.amdhsa_float_round_mode_32 0
		.amdhsa_float_round_mode_16_64 0
		.amdhsa_float_denorm_mode_32 3
		.amdhsa_float_denorm_mode_16_64 3
		.amdhsa_fp16_overflow 0
		.amdhsa_memory_ordered 1
		.amdhsa_forward_progress 1
		.amdhsa_inst_pref_size 0
		.amdhsa_round_robin_scheduling 0
		.amdhsa_exception_fp_ieee_invalid_op 0
		.amdhsa_exception_fp_denorm_src 0
		.amdhsa_exception_fp_ieee_div_zero 0
		.amdhsa_exception_fp_ieee_overflow 0
		.amdhsa_exception_fp_ieee_underflow 0
		.amdhsa_exception_fp_ieee_inexact 0
		.amdhsa_exception_int_div_zero 0
	.end_amdhsa_kernel
	.section	.text._ZN7rocprim17ROCPRIM_400000_NS6detail17trampoline_kernelINS0_14default_configENS1_25partition_config_selectorILNS1_17partition_subalgoE8ElNS0_10empty_typeEbEEZZNS1_14partition_implILS5_8ELb0ES3_jPlPS6_PKS6_NS0_5tupleIJS9_S6_EEENSD_IJSA_SA_EEENS0_18inequality_wrapperIZN2at6native12_GLOBAL__N_124unique_dim_cuda_templateImEESt5tupleIJNSH_6TensorESM_SM_EERKSM_lbbbEUlllE0_EEPmJS6_EEE10hipError_tPvRmT3_T4_T5_T6_T7_T9_mT8_P12ihipStream_tbDpT10_ENKUlT_T0_E_clISt17integral_constantIbLb0EES1C_EEDaS17_S18_EUlS17_E_NS1_11comp_targetILNS1_3genE5ELNS1_11target_archE942ELNS1_3gpuE9ELNS1_3repE0EEENS1_30default_config_static_selectorELNS0_4arch9wavefront6targetE0EEEvT1_,"axG",@progbits,_ZN7rocprim17ROCPRIM_400000_NS6detail17trampoline_kernelINS0_14default_configENS1_25partition_config_selectorILNS1_17partition_subalgoE8ElNS0_10empty_typeEbEEZZNS1_14partition_implILS5_8ELb0ES3_jPlPS6_PKS6_NS0_5tupleIJS9_S6_EEENSD_IJSA_SA_EEENS0_18inequality_wrapperIZN2at6native12_GLOBAL__N_124unique_dim_cuda_templateImEESt5tupleIJNSH_6TensorESM_SM_EERKSM_lbbbEUlllE0_EEPmJS6_EEE10hipError_tPvRmT3_T4_T5_T6_T7_T9_mT8_P12ihipStream_tbDpT10_ENKUlT_T0_E_clISt17integral_constantIbLb0EES1C_EEDaS17_S18_EUlS17_E_NS1_11comp_targetILNS1_3genE5ELNS1_11target_archE942ELNS1_3gpuE9ELNS1_3repE0EEENS1_30default_config_static_selectorELNS0_4arch9wavefront6targetE0EEEvT1_,comdat
.Lfunc_end1664:
	.size	_ZN7rocprim17ROCPRIM_400000_NS6detail17trampoline_kernelINS0_14default_configENS1_25partition_config_selectorILNS1_17partition_subalgoE8ElNS0_10empty_typeEbEEZZNS1_14partition_implILS5_8ELb0ES3_jPlPS6_PKS6_NS0_5tupleIJS9_S6_EEENSD_IJSA_SA_EEENS0_18inequality_wrapperIZN2at6native12_GLOBAL__N_124unique_dim_cuda_templateImEESt5tupleIJNSH_6TensorESM_SM_EERKSM_lbbbEUlllE0_EEPmJS6_EEE10hipError_tPvRmT3_T4_T5_T6_T7_T9_mT8_P12ihipStream_tbDpT10_ENKUlT_T0_E_clISt17integral_constantIbLb0EES1C_EEDaS17_S18_EUlS17_E_NS1_11comp_targetILNS1_3genE5ELNS1_11target_archE942ELNS1_3gpuE9ELNS1_3repE0EEENS1_30default_config_static_selectorELNS0_4arch9wavefront6targetE0EEEvT1_, .Lfunc_end1664-_ZN7rocprim17ROCPRIM_400000_NS6detail17trampoline_kernelINS0_14default_configENS1_25partition_config_selectorILNS1_17partition_subalgoE8ElNS0_10empty_typeEbEEZZNS1_14partition_implILS5_8ELb0ES3_jPlPS6_PKS6_NS0_5tupleIJS9_S6_EEENSD_IJSA_SA_EEENS0_18inequality_wrapperIZN2at6native12_GLOBAL__N_124unique_dim_cuda_templateImEESt5tupleIJNSH_6TensorESM_SM_EERKSM_lbbbEUlllE0_EEPmJS6_EEE10hipError_tPvRmT3_T4_T5_T6_T7_T9_mT8_P12ihipStream_tbDpT10_ENKUlT_T0_E_clISt17integral_constantIbLb0EES1C_EEDaS17_S18_EUlS17_E_NS1_11comp_targetILNS1_3genE5ELNS1_11target_archE942ELNS1_3gpuE9ELNS1_3repE0EEENS1_30default_config_static_selectorELNS0_4arch9wavefront6targetE0EEEvT1_
                                        ; -- End function
	.set _ZN7rocprim17ROCPRIM_400000_NS6detail17trampoline_kernelINS0_14default_configENS1_25partition_config_selectorILNS1_17partition_subalgoE8ElNS0_10empty_typeEbEEZZNS1_14partition_implILS5_8ELb0ES3_jPlPS6_PKS6_NS0_5tupleIJS9_S6_EEENSD_IJSA_SA_EEENS0_18inequality_wrapperIZN2at6native12_GLOBAL__N_124unique_dim_cuda_templateImEESt5tupleIJNSH_6TensorESM_SM_EERKSM_lbbbEUlllE0_EEPmJS6_EEE10hipError_tPvRmT3_T4_T5_T6_T7_T9_mT8_P12ihipStream_tbDpT10_ENKUlT_T0_E_clISt17integral_constantIbLb0EES1C_EEDaS17_S18_EUlS17_E_NS1_11comp_targetILNS1_3genE5ELNS1_11target_archE942ELNS1_3gpuE9ELNS1_3repE0EEENS1_30default_config_static_selectorELNS0_4arch9wavefront6targetE0EEEvT1_.num_vgpr, 0
	.set _ZN7rocprim17ROCPRIM_400000_NS6detail17trampoline_kernelINS0_14default_configENS1_25partition_config_selectorILNS1_17partition_subalgoE8ElNS0_10empty_typeEbEEZZNS1_14partition_implILS5_8ELb0ES3_jPlPS6_PKS6_NS0_5tupleIJS9_S6_EEENSD_IJSA_SA_EEENS0_18inequality_wrapperIZN2at6native12_GLOBAL__N_124unique_dim_cuda_templateImEESt5tupleIJNSH_6TensorESM_SM_EERKSM_lbbbEUlllE0_EEPmJS6_EEE10hipError_tPvRmT3_T4_T5_T6_T7_T9_mT8_P12ihipStream_tbDpT10_ENKUlT_T0_E_clISt17integral_constantIbLb0EES1C_EEDaS17_S18_EUlS17_E_NS1_11comp_targetILNS1_3genE5ELNS1_11target_archE942ELNS1_3gpuE9ELNS1_3repE0EEENS1_30default_config_static_selectorELNS0_4arch9wavefront6targetE0EEEvT1_.num_agpr, 0
	.set _ZN7rocprim17ROCPRIM_400000_NS6detail17trampoline_kernelINS0_14default_configENS1_25partition_config_selectorILNS1_17partition_subalgoE8ElNS0_10empty_typeEbEEZZNS1_14partition_implILS5_8ELb0ES3_jPlPS6_PKS6_NS0_5tupleIJS9_S6_EEENSD_IJSA_SA_EEENS0_18inequality_wrapperIZN2at6native12_GLOBAL__N_124unique_dim_cuda_templateImEESt5tupleIJNSH_6TensorESM_SM_EERKSM_lbbbEUlllE0_EEPmJS6_EEE10hipError_tPvRmT3_T4_T5_T6_T7_T9_mT8_P12ihipStream_tbDpT10_ENKUlT_T0_E_clISt17integral_constantIbLb0EES1C_EEDaS17_S18_EUlS17_E_NS1_11comp_targetILNS1_3genE5ELNS1_11target_archE942ELNS1_3gpuE9ELNS1_3repE0EEENS1_30default_config_static_selectorELNS0_4arch9wavefront6targetE0EEEvT1_.numbered_sgpr, 0
	.set _ZN7rocprim17ROCPRIM_400000_NS6detail17trampoline_kernelINS0_14default_configENS1_25partition_config_selectorILNS1_17partition_subalgoE8ElNS0_10empty_typeEbEEZZNS1_14partition_implILS5_8ELb0ES3_jPlPS6_PKS6_NS0_5tupleIJS9_S6_EEENSD_IJSA_SA_EEENS0_18inequality_wrapperIZN2at6native12_GLOBAL__N_124unique_dim_cuda_templateImEESt5tupleIJNSH_6TensorESM_SM_EERKSM_lbbbEUlllE0_EEPmJS6_EEE10hipError_tPvRmT3_T4_T5_T6_T7_T9_mT8_P12ihipStream_tbDpT10_ENKUlT_T0_E_clISt17integral_constantIbLb0EES1C_EEDaS17_S18_EUlS17_E_NS1_11comp_targetILNS1_3genE5ELNS1_11target_archE942ELNS1_3gpuE9ELNS1_3repE0EEENS1_30default_config_static_selectorELNS0_4arch9wavefront6targetE0EEEvT1_.num_named_barrier, 0
	.set _ZN7rocprim17ROCPRIM_400000_NS6detail17trampoline_kernelINS0_14default_configENS1_25partition_config_selectorILNS1_17partition_subalgoE8ElNS0_10empty_typeEbEEZZNS1_14partition_implILS5_8ELb0ES3_jPlPS6_PKS6_NS0_5tupleIJS9_S6_EEENSD_IJSA_SA_EEENS0_18inequality_wrapperIZN2at6native12_GLOBAL__N_124unique_dim_cuda_templateImEESt5tupleIJNSH_6TensorESM_SM_EERKSM_lbbbEUlllE0_EEPmJS6_EEE10hipError_tPvRmT3_T4_T5_T6_T7_T9_mT8_P12ihipStream_tbDpT10_ENKUlT_T0_E_clISt17integral_constantIbLb0EES1C_EEDaS17_S18_EUlS17_E_NS1_11comp_targetILNS1_3genE5ELNS1_11target_archE942ELNS1_3gpuE9ELNS1_3repE0EEENS1_30default_config_static_selectorELNS0_4arch9wavefront6targetE0EEEvT1_.private_seg_size, 0
	.set _ZN7rocprim17ROCPRIM_400000_NS6detail17trampoline_kernelINS0_14default_configENS1_25partition_config_selectorILNS1_17partition_subalgoE8ElNS0_10empty_typeEbEEZZNS1_14partition_implILS5_8ELb0ES3_jPlPS6_PKS6_NS0_5tupleIJS9_S6_EEENSD_IJSA_SA_EEENS0_18inequality_wrapperIZN2at6native12_GLOBAL__N_124unique_dim_cuda_templateImEESt5tupleIJNSH_6TensorESM_SM_EERKSM_lbbbEUlllE0_EEPmJS6_EEE10hipError_tPvRmT3_T4_T5_T6_T7_T9_mT8_P12ihipStream_tbDpT10_ENKUlT_T0_E_clISt17integral_constantIbLb0EES1C_EEDaS17_S18_EUlS17_E_NS1_11comp_targetILNS1_3genE5ELNS1_11target_archE942ELNS1_3gpuE9ELNS1_3repE0EEENS1_30default_config_static_selectorELNS0_4arch9wavefront6targetE0EEEvT1_.uses_vcc, 0
	.set _ZN7rocprim17ROCPRIM_400000_NS6detail17trampoline_kernelINS0_14default_configENS1_25partition_config_selectorILNS1_17partition_subalgoE8ElNS0_10empty_typeEbEEZZNS1_14partition_implILS5_8ELb0ES3_jPlPS6_PKS6_NS0_5tupleIJS9_S6_EEENSD_IJSA_SA_EEENS0_18inequality_wrapperIZN2at6native12_GLOBAL__N_124unique_dim_cuda_templateImEESt5tupleIJNSH_6TensorESM_SM_EERKSM_lbbbEUlllE0_EEPmJS6_EEE10hipError_tPvRmT3_T4_T5_T6_T7_T9_mT8_P12ihipStream_tbDpT10_ENKUlT_T0_E_clISt17integral_constantIbLb0EES1C_EEDaS17_S18_EUlS17_E_NS1_11comp_targetILNS1_3genE5ELNS1_11target_archE942ELNS1_3gpuE9ELNS1_3repE0EEENS1_30default_config_static_selectorELNS0_4arch9wavefront6targetE0EEEvT1_.uses_flat_scratch, 0
	.set _ZN7rocprim17ROCPRIM_400000_NS6detail17trampoline_kernelINS0_14default_configENS1_25partition_config_selectorILNS1_17partition_subalgoE8ElNS0_10empty_typeEbEEZZNS1_14partition_implILS5_8ELb0ES3_jPlPS6_PKS6_NS0_5tupleIJS9_S6_EEENSD_IJSA_SA_EEENS0_18inequality_wrapperIZN2at6native12_GLOBAL__N_124unique_dim_cuda_templateImEESt5tupleIJNSH_6TensorESM_SM_EERKSM_lbbbEUlllE0_EEPmJS6_EEE10hipError_tPvRmT3_T4_T5_T6_T7_T9_mT8_P12ihipStream_tbDpT10_ENKUlT_T0_E_clISt17integral_constantIbLb0EES1C_EEDaS17_S18_EUlS17_E_NS1_11comp_targetILNS1_3genE5ELNS1_11target_archE942ELNS1_3gpuE9ELNS1_3repE0EEENS1_30default_config_static_selectorELNS0_4arch9wavefront6targetE0EEEvT1_.has_dyn_sized_stack, 0
	.set _ZN7rocprim17ROCPRIM_400000_NS6detail17trampoline_kernelINS0_14default_configENS1_25partition_config_selectorILNS1_17partition_subalgoE8ElNS0_10empty_typeEbEEZZNS1_14partition_implILS5_8ELb0ES3_jPlPS6_PKS6_NS0_5tupleIJS9_S6_EEENSD_IJSA_SA_EEENS0_18inequality_wrapperIZN2at6native12_GLOBAL__N_124unique_dim_cuda_templateImEESt5tupleIJNSH_6TensorESM_SM_EERKSM_lbbbEUlllE0_EEPmJS6_EEE10hipError_tPvRmT3_T4_T5_T6_T7_T9_mT8_P12ihipStream_tbDpT10_ENKUlT_T0_E_clISt17integral_constantIbLb0EES1C_EEDaS17_S18_EUlS17_E_NS1_11comp_targetILNS1_3genE5ELNS1_11target_archE942ELNS1_3gpuE9ELNS1_3repE0EEENS1_30default_config_static_selectorELNS0_4arch9wavefront6targetE0EEEvT1_.has_recursion, 0
	.set _ZN7rocprim17ROCPRIM_400000_NS6detail17trampoline_kernelINS0_14default_configENS1_25partition_config_selectorILNS1_17partition_subalgoE8ElNS0_10empty_typeEbEEZZNS1_14partition_implILS5_8ELb0ES3_jPlPS6_PKS6_NS0_5tupleIJS9_S6_EEENSD_IJSA_SA_EEENS0_18inequality_wrapperIZN2at6native12_GLOBAL__N_124unique_dim_cuda_templateImEESt5tupleIJNSH_6TensorESM_SM_EERKSM_lbbbEUlllE0_EEPmJS6_EEE10hipError_tPvRmT3_T4_T5_T6_T7_T9_mT8_P12ihipStream_tbDpT10_ENKUlT_T0_E_clISt17integral_constantIbLb0EES1C_EEDaS17_S18_EUlS17_E_NS1_11comp_targetILNS1_3genE5ELNS1_11target_archE942ELNS1_3gpuE9ELNS1_3repE0EEENS1_30default_config_static_selectorELNS0_4arch9wavefront6targetE0EEEvT1_.has_indirect_call, 0
	.section	.AMDGPU.csdata,"",@progbits
; Kernel info:
; codeLenInByte = 0
; TotalNumSgprs: 0
; NumVgprs: 0
; ScratchSize: 0
; MemoryBound: 0
; FloatMode: 240
; IeeeMode: 1
; LDSByteSize: 0 bytes/workgroup (compile time only)
; SGPRBlocks: 0
; VGPRBlocks: 0
; NumSGPRsForWavesPerEU: 1
; NumVGPRsForWavesPerEU: 1
; NamedBarCnt: 0
; Occupancy: 16
; WaveLimiterHint : 0
; COMPUTE_PGM_RSRC2:SCRATCH_EN: 0
; COMPUTE_PGM_RSRC2:USER_SGPR: 2
; COMPUTE_PGM_RSRC2:TRAP_HANDLER: 0
; COMPUTE_PGM_RSRC2:TGID_X_EN: 1
; COMPUTE_PGM_RSRC2:TGID_Y_EN: 0
; COMPUTE_PGM_RSRC2:TGID_Z_EN: 0
; COMPUTE_PGM_RSRC2:TIDIG_COMP_CNT: 0
	.section	.text._ZN7rocprim17ROCPRIM_400000_NS6detail17trampoline_kernelINS0_14default_configENS1_25partition_config_selectorILNS1_17partition_subalgoE8ElNS0_10empty_typeEbEEZZNS1_14partition_implILS5_8ELb0ES3_jPlPS6_PKS6_NS0_5tupleIJS9_S6_EEENSD_IJSA_SA_EEENS0_18inequality_wrapperIZN2at6native12_GLOBAL__N_124unique_dim_cuda_templateImEESt5tupleIJNSH_6TensorESM_SM_EERKSM_lbbbEUlllE0_EEPmJS6_EEE10hipError_tPvRmT3_T4_T5_T6_T7_T9_mT8_P12ihipStream_tbDpT10_ENKUlT_T0_E_clISt17integral_constantIbLb0EES1C_EEDaS17_S18_EUlS17_E_NS1_11comp_targetILNS1_3genE4ELNS1_11target_archE910ELNS1_3gpuE8ELNS1_3repE0EEENS1_30default_config_static_selectorELNS0_4arch9wavefront6targetE0EEEvT1_,"axG",@progbits,_ZN7rocprim17ROCPRIM_400000_NS6detail17trampoline_kernelINS0_14default_configENS1_25partition_config_selectorILNS1_17partition_subalgoE8ElNS0_10empty_typeEbEEZZNS1_14partition_implILS5_8ELb0ES3_jPlPS6_PKS6_NS0_5tupleIJS9_S6_EEENSD_IJSA_SA_EEENS0_18inequality_wrapperIZN2at6native12_GLOBAL__N_124unique_dim_cuda_templateImEESt5tupleIJNSH_6TensorESM_SM_EERKSM_lbbbEUlllE0_EEPmJS6_EEE10hipError_tPvRmT3_T4_T5_T6_T7_T9_mT8_P12ihipStream_tbDpT10_ENKUlT_T0_E_clISt17integral_constantIbLb0EES1C_EEDaS17_S18_EUlS17_E_NS1_11comp_targetILNS1_3genE4ELNS1_11target_archE910ELNS1_3gpuE8ELNS1_3repE0EEENS1_30default_config_static_selectorELNS0_4arch9wavefront6targetE0EEEvT1_,comdat
	.globl	_ZN7rocprim17ROCPRIM_400000_NS6detail17trampoline_kernelINS0_14default_configENS1_25partition_config_selectorILNS1_17partition_subalgoE8ElNS0_10empty_typeEbEEZZNS1_14partition_implILS5_8ELb0ES3_jPlPS6_PKS6_NS0_5tupleIJS9_S6_EEENSD_IJSA_SA_EEENS0_18inequality_wrapperIZN2at6native12_GLOBAL__N_124unique_dim_cuda_templateImEESt5tupleIJNSH_6TensorESM_SM_EERKSM_lbbbEUlllE0_EEPmJS6_EEE10hipError_tPvRmT3_T4_T5_T6_T7_T9_mT8_P12ihipStream_tbDpT10_ENKUlT_T0_E_clISt17integral_constantIbLb0EES1C_EEDaS17_S18_EUlS17_E_NS1_11comp_targetILNS1_3genE4ELNS1_11target_archE910ELNS1_3gpuE8ELNS1_3repE0EEENS1_30default_config_static_selectorELNS0_4arch9wavefront6targetE0EEEvT1_ ; -- Begin function _ZN7rocprim17ROCPRIM_400000_NS6detail17trampoline_kernelINS0_14default_configENS1_25partition_config_selectorILNS1_17partition_subalgoE8ElNS0_10empty_typeEbEEZZNS1_14partition_implILS5_8ELb0ES3_jPlPS6_PKS6_NS0_5tupleIJS9_S6_EEENSD_IJSA_SA_EEENS0_18inequality_wrapperIZN2at6native12_GLOBAL__N_124unique_dim_cuda_templateImEESt5tupleIJNSH_6TensorESM_SM_EERKSM_lbbbEUlllE0_EEPmJS6_EEE10hipError_tPvRmT3_T4_T5_T6_T7_T9_mT8_P12ihipStream_tbDpT10_ENKUlT_T0_E_clISt17integral_constantIbLb0EES1C_EEDaS17_S18_EUlS17_E_NS1_11comp_targetILNS1_3genE4ELNS1_11target_archE910ELNS1_3gpuE8ELNS1_3repE0EEENS1_30default_config_static_selectorELNS0_4arch9wavefront6targetE0EEEvT1_
	.p2align	8
	.type	_ZN7rocprim17ROCPRIM_400000_NS6detail17trampoline_kernelINS0_14default_configENS1_25partition_config_selectorILNS1_17partition_subalgoE8ElNS0_10empty_typeEbEEZZNS1_14partition_implILS5_8ELb0ES3_jPlPS6_PKS6_NS0_5tupleIJS9_S6_EEENSD_IJSA_SA_EEENS0_18inequality_wrapperIZN2at6native12_GLOBAL__N_124unique_dim_cuda_templateImEESt5tupleIJNSH_6TensorESM_SM_EERKSM_lbbbEUlllE0_EEPmJS6_EEE10hipError_tPvRmT3_T4_T5_T6_T7_T9_mT8_P12ihipStream_tbDpT10_ENKUlT_T0_E_clISt17integral_constantIbLb0EES1C_EEDaS17_S18_EUlS17_E_NS1_11comp_targetILNS1_3genE4ELNS1_11target_archE910ELNS1_3gpuE8ELNS1_3repE0EEENS1_30default_config_static_selectorELNS0_4arch9wavefront6targetE0EEEvT1_,@function
_ZN7rocprim17ROCPRIM_400000_NS6detail17trampoline_kernelINS0_14default_configENS1_25partition_config_selectorILNS1_17partition_subalgoE8ElNS0_10empty_typeEbEEZZNS1_14partition_implILS5_8ELb0ES3_jPlPS6_PKS6_NS0_5tupleIJS9_S6_EEENSD_IJSA_SA_EEENS0_18inequality_wrapperIZN2at6native12_GLOBAL__N_124unique_dim_cuda_templateImEESt5tupleIJNSH_6TensorESM_SM_EERKSM_lbbbEUlllE0_EEPmJS6_EEE10hipError_tPvRmT3_T4_T5_T6_T7_T9_mT8_P12ihipStream_tbDpT10_ENKUlT_T0_E_clISt17integral_constantIbLb0EES1C_EEDaS17_S18_EUlS17_E_NS1_11comp_targetILNS1_3genE4ELNS1_11target_archE910ELNS1_3gpuE8ELNS1_3repE0EEENS1_30default_config_static_selectorELNS0_4arch9wavefront6targetE0EEEvT1_: ; @_ZN7rocprim17ROCPRIM_400000_NS6detail17trampoline_kernelINS0_14default_configENS1_25partition_config_selectorILNS1_17partition_subalgoE8ElNS0_10empty_typeEbEEZZNS1_14partition_implILS5_8ELb0ES3_jPlPS6_PKS6_NS0_5tupleIJS9_S6_EEENSD_IJSA_SA_EEENS0_18inequality_wrapperIZN2at6native12_GLOBAL__N_124unique_dim_cuda_templateImEESt5tupleIJNSH_6TensorESM_SM_EERKSM_lbbbEUlllE0_EEPmJS6_EEE10hipError_tPvRmT3_T4_T5_T6_T7_T9_mT8_P12ihipStream_tbDpT10_ENKUlT_T0_E_clISt17integral_constantIbLb0EES1C_EEDaS17_S18_EUlS17_E_NS1_11comp_targetILNS1_3genE4ELNS1_11target_archE910ELNS1_3gpuE8ELNS1_3repE0EEENS1_30default_config_static_selectorELNS0_4arch9wavefront6targetE0EEEvT1_
; %bb.0:
	.section	.rodata,"a",@progbits
	.p2align	6, 0x0
	.amdhsa_kernel _ZN7rocprim17ROCPRIM_400000_NS6detail17trampoline_kernelINS0_14default_configENS1_25partition_config_selectorILNS1_17partition_subalgoE8ElNS0_10empty_typeEbEEZZNS1_14partition_implILS5_8ELb0ES3_jPlPS6_PKS6_NS0_5tupleIJS9_S6_EEENSD_IJSA_SA_EEENS0_18inequality_wrapperIZN2at6native12_GLOBAL__N_124unique_dim_cuda_templateImEESt5tupleIJNSH_6TensorESM_SM_EERKSM_lbbbEUlllE0_EEPmJS6_EEE10hipError_tPvRmT3_T4_T5_T6_T7_T9_mT8_P12ihipStream_tbDpT10_ENKUlT_T0_E_clISt17integral_constantIbLb0EES1C_EEDaS17_S18_EUlS17_E_NS1_11comp_targetILNS1_3genE4ELNS1_11target_archE910ELNS1_3gpuE8ELNS1_3repE0EEENS1_30default_config_static_selectorELNS0_4arch9wavefront6targetE0EEEvT1_
		.amdhsa_group_segment_fixed_size 0
		.amdhsa_private_segment_fixed_size 0
		.amdhsa_kernarg_size 120
		.amdhsa_user_sgpr_count 2
		.amdhsa_user_sgpr_dispatch_ptr 0
		.amdhsa_user_sgpr_queue_ptr 0
		.amdhsa_user_sgpr_kernarg_segment_ptr 1
		.amdhsa_user_sgpr_dispatch_id 0
		.amdhsa_user_sgpr_kernarg_preload_length 0
		.amdhsa_user_sgpr_kernarg_preload_offset 0
		.amdhsa_user_sgpr_private_segment_size 0
		.amdhsa_wavefront_size32 1
		.amdhsa_uses_dynamic_stack 0
		.amdhsa_enable_private_segment 0
		.amdhsa_system_sgpr_workgroup_id_x 1
		.amdhsa_system_sgpr_workgroup_id_y 0
		.amdhsa_system_sgpr_workgroup_id_z 0
		.amdhsa_system_sgpr_workgroup_info 0
		.amdhsa_system_vgpr_workitem_id 0
		.amdhsa_next_free_vgpr 1
		.amdhsa_next_free_sgpr 1
		.amdhsa_named_barrier_count 0
		.amdhsa_reserve_vcc 0
		.amdhsa_float_round_mode_32 0
		.amdhsa_float_round_mode_16_64 0
		.amdhsa_float_denorm_mode_32 3
		.amdhsa_float_denorm_mode_16_64 3
		.amdhsa_fp16_overflow 0
		.amdhsa_memory_ordered 1
		.amdhsa_forward_progress 1
		.amdhsa_inst_pref_size 0
		.amdhsa_round_robin_scheduling 0
		.amdhsa_exception_fp_ieee_invalid_op 0
		.amdhsa_exception_fp_denorm_src 0
		.amdhsa_exception_fp_ieee_div_zero 0
		.amdhsa_exception_fp_ieee_overflow 0
		.amdhsa_exception_fp_ieee_underflow 0
		.amdhsa_exception_fp_ieee_inexact 0
		.amdhsa_exception_int_div_zero 0
	.end_amdhsa_kernel
	.section	.text._ZN7rocprim17ROCPRIM_400000_NS6detail17trampoline_kernelINS0_14default_configENS1_25partition_config_selectorILNS1_17partition_subalgoE8ElNS0_10empty_typeEbEEZZNS1_14partition_implILS5_8ELb0ES3_jPlPS6_PKS6_NS0_5tupleIJS9_S6_EEENSD_IJSA_SA_EEENS0_18inequality_wrapperIZN2at6native12_GLOBAL__N_124unique_dim_cuda_templateImEESt5tupleIJNSH_6TensorESM_SM_EERKSM_lbbbEUlllE0_EEPmJS6_EEE10hipError_tPvRmT3_T4_T5_T6_T7_T9_mT8_P12ihipStream_tbDpT10_ENKUlT_T0_E_clISt17integral_constantIbLb0EES1C_EEDaS17_S18_EUlS17_E_NS1_11comp_targetILNS1_3genE4ELNS1_11target_archE910ELNS1_3gpuE8ELNS1_3repE0EEENS1_30default_config_static_selectorELNS0_4arch9wavefront6targetE0EEEvT1_,"axG",@progbits,_ZN7rocprim17ROCPRIM_400000_NS6detail17trampoline_kernelINS0_14default_configENS1_25partition_config_selectorILNS1_17partition_subalgoE8ElNS0_10empty_typeEbEEZZNS1_14partition_implILS5_8ELb0ES3_jPlPS6_PKS6_NS0_5tupleIJS9_S6_EEENSD_IJSA_SA_EEENS0_18inequality_wrapperIZN2at6native12_GLOBAL__N_124unique_dim_cuda_templateImEESt5tupleIJNSH_6TensorESM_SM_EERKSM_lbbbEUlllE0_EEPmJS6_EEE10hipError_tPvRmT3_T4_T5_T6_T7_T9_mT8_P12ihipStream_tbDpT10_ENKUlT_T0_E_clISt17integral_constantIbLb0EES1C_EEDaS17_S18_EUlS17_E_NS1_11comp_targetILNS1_3genE4ELNS1_11target_archE910ELNS1_3gpuE8ELNS1_3repE0EEENS1_30default_config_static_selectorELNS0_4arch9wavefront6targetE0EEEvT1_,comdat
.Lfunc_end1665:
	.size	_ZN7rocprim17ROCPRIM_400000_NS6detail17trampoline_kernelINS0_14default_configENS1_25partition_config_selectorILNS1_17partition_subalgoE8ElNS0_10empty_typeEbEEZZNS1_14partition_implILS5_8ELb0ES3_jPlPS6_PKS6_NS0_5tupleIJS9_S6_EEENSD_IJSA_SA_EEENS0_18inequality_wrapperIZN2at6native12_GLOBAL__N_124unique_dim_cuda_templateImEESt5tupleIJNSH_6TensorESM_SM_EERKSM_lbbbEUlllE0_EEPmJS6_EEE10hipError_tPvRmT3_T4_T5_T6_T7_T9_mT8_P12ihipStream_tbDpT10_ENKUlT_T0_E_clISt17integral_constantIbLb0EES1C_EEDaS17_S18_EUlS17_E_NS1_11comp_targetILNS1_3genE4ELNS1_11target_archE910ELNS1_3gpuE8ELNS1_3repE0EEENS1_30default_config_static_selectorELNS0_4arch9wavefront6targetE0EEEvT1_, .Lfunc_end1665-_ZN7rocprim17ROCPRIM_400000_NS6detail17trampoline_kernelINS0_14default_configENS1_25partition_config_selectorILNS1_17partition_subalgoE8ElNS0_10empty_typeEbEEZZNS1_14partition_implILS5_8ELb0ES3_jPlPS6_PKS6_NS0_5tupleIJS9_S6_EEENSD_IJSA_SA_EEENS0_18inequality_wrapperIZN2at6native12_GLOBAL__N_124unique_dim_cuda_templateImEESt5tupleIJNSH_6TensorESM_SM_EERKSM_lbbbEUlllE0_EEPmJS6_EEE10hipError_tPvRmT3_T4_T5_T6_T7_T9_mT8_P12ihipStream_tbDpT10_ENKUlT_T0_E_clISt17integral_constantIbLb0EES1C_EEDaS17_S18_EUlS17_E_NS1_11comp_targetILNS1_3genE4ELNS1_11target_archE910ELNS1_3gpuE8ELNS1_3repE0EEENS1_30default_config_static_selectorELNS0_4arch9wavefront6targetE0EEEvT1_
                                        ; -- End function
	.set _ZN7rocprim17ROCPRIM_400000_NS6detail17trampoline_kernelINS0_14default_configENS1_25partition_config_selectorILNS1_17partition_subalgoE8ElNS0_10empty_typeEbEEZZNS1_14partition_implILS5_8ELb0ES3_jPlPS6_PKS6_NS0_5tupleIJS9_S6_EEENSD_IJSA_SA_EEENS0_18inequality_wrapperIZN2at6native12_GLOBAL__N_124unique_dim_cuda_templateImEESt5tupleIJNSH_6TensorESM_SM_EERKSM_lbbbEUlllE0_EEPmJS6_EEE10hipError_tPvRmT3_T4_T5_T6_T7_T9_mT8_P12ihipStream_tbDpT10_ENKUlT_T0_E_clISt17integral_constantIbLb0EES1C_EEDaS17_S18_EUlS17_E_NS1_11comp_targetILNS1_3genE4ELNS1_11target_archE910ELNS1_3gpuE8ELNS1_3repE0EEENS1_30default_config_static_selectorELNS0_4arch9wavefront6targetE0EEEvT1_.num_vgpr, 0
	.set _ZN7rocprim17ROCPRIM_400000_NS6detail17trampoline_kernelINS0_14default_configENS1_25partition_config_selectorILNS1_17partition_subalgoE8ElNS0_10empty_typeEbEEZZNS1_14partition_implILS5_8ELb0ES3_jPlPS6_PKS6_NS0_5tupleIJS9_S6_EEENSD_IJSA_SA_EEENS0_18inequality_wrapperIZN2at6native12_GLOBAL__N_124unique_dim_cuda_templateImEESt5tupleIJNSH_6TensorESM_SM_EERKSM_lbbbEUlllE0_EEPmJS6_EEE10hipError_tPvRmT3_T4_T5_T6_T7_T9_mT8_P12ihipStream_tbDpT10_ENKUlT_T0_E_clISt17integral_constantIbLb0EES1C_EEDaS17_S18_EUlS17_E_NS1_11comp_targetILNS1_3genE4ELNS1_11target_archE910ELNS1_3gpuE8ELNS1_3repE0EEENS1_30default_config_static_selectorELNS0_4arch9wavefront6targetE0EEEvT1_.num_agpr, 0
	.set _ZN7rocprim17ROCPRIM_400000_NS6detail17trampoline_kernelINS0_14default_configENS1_25partition_config_selectorILNS1_17partition_subalgoE8ElNS0_10empty_typeEbEEZZNS1_14partition_implILS5_8ELb0ES3_jPlPS6_PKS6_NS0_5tupleIJS9_S6_EEENSD_IJSA_SA_EEENS0_18inequality_wrapperIZN2at6native12_GLOBAL__N_124unique_dim_cuda_templateImEESt5tupleIJNSH_6TensorESM_SM_EERKSM_lbbbEUlllE0_EEPmJS6_EEE10hipError_tPvRmT3_T4_T5_T6_T7_T9_mT8_P12ihipStream_tbDpT10_ENKUlT_T0_E_clISt17integral_constantIbLb0EES1C_EEDaS17_S18_EUlS17_E_NS1_11comp_targetILNS1_3genE4ELNS1_11target_archE910ELNS1_3gpuE8ELNS1_3repE0EEENS1_30default_config_static_selectorELNS0_4arch9wavefront6targetE0EEEvT1_.numbered_sgpr, 0
	.set _ZN7rocprim17ROCPRIM_400000_NS6detail17trampoline_kernelINS0_14default_configENS1_25partition_config_selectorILNS1_17partition_subalgoE8ElNS0_10empty_typeEbEEZZNS1_14partition_implILS5_8ELb0ES3_jPlPS6_PKS6_NS0_5tupleIJS9_S6_EEENSD_IJSA_SA_EEENS0_18inequality_wrapperIZN2at6native12_GLOBAL__N_124unique_dim_cuda_templateImEESt5tupleIJNSH_6TensorESM_SM_EERKSM_lbbbEUlllE0_EEPmJS6_EEE10hipError_tPvRmT3_T4_T5_T6_T7_T9_mT8_P12ihipStream_tbDpT10_ENKUlT_T0_E_clISt17integral_constantIbLb0EES1C_EEDaS17_S18_EUlS17_E_NS1_11comp_targetILNS1_3genE4ELNS1_11target_archE910ELNS1_3gpuE8ELNS1_3repE0EEENS1_30default_config_static_selectorELNS0_4arch9wavefront6targetE0EEEvT1_.num_named_barrier, 0
	.set _ZN7rocprim17ROCPRIM_400000_NS6detail17trampoline_kernelINS0_14default_configENS1_25partition_config_selectorILNS1_17partition_subalgoE8ElNS0_10empty_typeEbEEZZNS1_14partition_implILS5_8ELb0ES3_jPlPS6_PKS6_NS0_5tupleIJS9_S6_EEENSD_IJSA_SA_EEENS0_18inequality_wrapperIZN2at6native12_GLOBAL__N_124unique_dim_cuda_templateImEESt5tupleIJNSH_6TensorESM_SM_EERKSM_lbbbEUlllE0_EEPmJS6_EEE10hipError_tPvRmT3_T4_T5_T6_T7_T9_mT8_P12ihipStream_tbDpT10_ENKUlT_T0_E_clISt17integral_constantIbLb0EES1C_EEDaS17_S18_EUlS17_E_NS1_11comp_targetILNS1_3genE4ELNS1_11target_archE910ELNS1_3gpuE8ELNS1_3repE0EEENS1_30default_config_static_selectorELNS0_4arch9wavefront6targetE0EEEvT1_.private_seg_size, 0
	.set _ZN7rocprim17ROCPRIM_400000_NS6detail17trampoline_kernelINS0_14default_configENS1_25partition_config_selectorILNS1_17partition_subalgoE8ElNS0_10empty_typeEbEEZZNS1_14partition_implILS5_8ELb0ES3_jPlPS6_PKS6_NS0_5tupleIJS9_S6_EEENSD_IJSA_SA_EEENS0_18inequality_wrapperIZN2at6native12_GLOBAL__N_124unique_dim_cuda_templateImEESt5tupleIJNSH_6TensorESM_SM_EERKSM_lbbbEUlllE0_EEPmJS6_EEE10hipError_tPvRmT3_T4_T5_T6_T7_T9_mT8_P12ihipStream_tbDpT10_ENKUlT_T0_E_clISt17integral_constantIbLb0EES1C_EEDaS17_S18_EUlS17_E_NS1_11comp_targetILNS1_3genE4ELNS1_11target_archE910ELNS1_3gpuE8ELNS1_3repE0EEENS1_30default_config_static_selectorELNS0_4arch9wavefront6targetE0EEEvT1_.uses_vcc, 0
	.set _ZN7rocprim17ROCPRIM_400000_NS6detail17trampoline_kernelINS0_14default_configENS1_25partition_config_selectorILNS1_17partition_subalgoE8ElNS0_10empty_typeEbEEZZNS1_14partition_implILS5_8ELb0ES3_jPlPS6_PKS6_NS0_5tupleIJS9_S6_EEENSD_IJSA_SA_EEENS0_18inequality_wrapperIZN2at6native12_GLOBAL__N_124unique_dim_cuda_templateImEESt5tupleIJNSH_6TensorESM_SM_EERKSM_lbbbEUlllE0_EEPmJS6_EEE10hipError_tPvRmT3_T4_T5_T6_T7_T9_mT8_P12ihipStream_tbDpT10_ENKUlT_T0_E_clISt17integral_constantIbLb0EES1C_EEDaS17_S18_EUlS17_E_NS1_11comp_targetILNS1_3genE4ELNS1_11target_archE910ELNS1_3gpuE8ELNS1_3repE0EEENS1_30default_config_static_selectorELNS0_4arch9wavefront6targetE0EEEvT1_.uses_flat_scratch, 0
	.set _ZN7rocprim17ROCPRIM_400000_NS6detail17trampoline_kernelINS0_14default_configENS1_25partition_config_selectorILNS1_17partition_subalgoE8ElNS0_10empty_typeEbEEZZNS1_14partition_implILS5_8ELb0ES3_jPlPS6_PKS6_NS0_5tupleIJS9_S6_EEENSD_IJSA_SA_EEENS0_18inequality_wrapperIZN2at6native12_GLOBAL__N_124unique_dim_cuda_templateImEESt5tupleIJNSH_6TensorESM_SM_EERKSM_lbbbEUlllE0_EEPmJS6_EEE10hipError_tPvRmT3_T4_T5_T6_T7_T9_mT8_P12ihipStream_tbDpT10_ENKUlT_T0_E_clISt17integral_constantIbLb0EES1C_EEDaS17_S18_EUlS17_E_NS1_11comp_targetILNS1_3genE4ELNS1_11target_archE910ELNS1_3gpuE8ELNS1_3repE0EEENS1_30default_config_static_selectorELNS0_4arch9wavefront6targetE0EEEvT1_.has_dyn_sized_stack, 0
	.set _ZN7rocprim17ROCPRIM_400000_NS6detail17trampoline_kernelINS0_14default_configENS1_25partition_config_selectorILNS1_17partition_subalgoE8ElNS0_10empty_typeEbEEZZNS1_14partition_implILS5_8ELb0ES3_jPlPS6_PKS6_NS0_5tupleIJS9_S6_EEENSD_IJSA_SA_EEENS0_18inequality_wrapperIZN2at6native12_GLOBAL__N_124unique_dim_cuda_templateImEESt5tupleIJNSH_6TensorESM_SM_EERKSM_lbbbEUlllE0_EEPmJS6_EEE10hipError_tPvRmT3_T4_T5_T6_T7_T9_mT8_P12ihipStream_tbDpT10_ENKUlT_T0_E_clISt17integral_constantIbLb0EES1C_EEDaS17_S18_EUlS17_E_NS1_11comp_targetILNS1_3genE4ELNS1_11target_archE910ELNS1_3gpuE8ELNS1_3repE0EEENS1_30default_config_static_selectorELNS0_4arch9wavefront6targetE0EEEvT1_.has_recursion, 0
	.set _ZN7rocprim17ROCPRIM_400000_NS6detail17trampoline_kernelINS0_14default_configENS1_25partition_config_selectorILNS1_17partition_subalgoE8ElNS0_10empty_typeEbEEZZNS1_14partition_implILS5_8ELb0ES3_jPlPS6_PKS6_NS0_5tupleIJS9_S6_EEENSD_IJSA_SA_EEENS0_18inequality_wrapperIZN2at6native12_GLOBAL__N_124unique_dim_cuda_templateImEESt5tupleIJNSH_6TensorESM_SM_EERKSM_lbbbEUlllE0_EEPmJS6_EEE10hipError_tPvRmT3_T4_T5_T6_T7_T9_mT8_P12ihipStream_tbDpT10_ENKUlT_T0_E_clISt17integral_constantIbLb0EES1C_EEDaS17_S18_EUlS17_E_NS1_11comp_targetILNS1_3genE4ELNS1_11target_archE910ELNS1_3gpuE8ELNS1_3repE0EEENS1_30default_config_static_selectorELNS0_4arch9wavefront6targetE0EEEvT1_.has_indirect_call, 0
	.section	.AMDGPU.csdata,"",@progbits
; Kernel info:
; codeLenInByte = 0
; TotalNumSgprs: 0
; NumVgprs: 0
; ScratchSize: 0
; MemoryBound: 0
; FloatMode: 240
; IeeeMode: 1
; LDSByteSize: 0 bytes/workgroup (compile time only)
; SGPRBlocks: 0
; VGPRBlocks: 0
; NumSGPRsForWavesPerEU: 1
; NumVGPRsForWavesPerEU: 1
; NamedBarCnt: 0
; Occupancy: 16
; WaveLimiterHint : 0
; COMPUTE_PGM_RSRC2:SCRATCH_EN: 0
; COMPUTE_PGM_RSRC2:USER_SGPR: 2
; COMPUTE_PGM_RSRC2:TRAP_HANDLER: 0
; COMPUTE_PGM_RSRC2:TGID_X_EN: 1
; COMPUTE_PGM_RSRC2:TGID_Y_EN: 0
; COMPUTE_PGM_RSRC2:TGID_Z_EN: 0
; COMPUTE_PGM_RSRC2:TIDIG_COMP_CNT: 0
	.section	.text._ZN7rocprim17ROCPRIM_400000_NS6detail17trampoline_kernelINS0_14default_configENS1_25partition_config_selectorILNS1_17partition_subalgoE8ElNS0_10empty_typeEbEEZZNS1_14partition_implILS5_8ELb0ES3_jPlPS6_PKS6_NS0_5tupleIJS9_S6_EEENSD_IJSA_SA_EEENS0_18inequality_wrapperIZN2at6native12_GLOBAL__N_124unique_dim_cuda_templateImEESt5tupleIJNSH_6TensorESM_SM_EERKSM_lbbbEUlllE0_EEPmJS6_EEE10hipError_tPvRmT3_T4_T5_T6_T7_T9_mT8_P12ihipStream_tbDpT10_ENKUlT_T0_E_clISt17integral_constantIbLb0EES1C_EEDaS17_S18_EUlS17_E_NS1_11comp_targetILNS1_3genE3ELNS1_11target_archE908ELNS1_3gpuE7ELNS1_3repE0EEENS1_30default_config_static_selectorELNS0_4arch9wavefront6targetE0EEEvT1_,"axG",@progbits,_ZN7rocprim17ROCPRIM_400000_NS6detail17trampoline_kernelINS0_14default_configENS1_25partition_config_selectorILNS1_17partition_subalgoE8ElNS0_10empty_typeEbEEZZNS1_14partition_implILS5_8ELb0ES3_jPlPS6_PKS6_NS0_5tupleIJS9_S6_EEENSD_IJSA_SA_EEENS0_18inequality_wrapperIZN2at6native12_GLOBAL__N_124unique_dim_cuda_templateImEESt5tupleIJNSH_6TensorESM_SM_EERKSM_lbbbEUlllE0_EEPmJS6_EEE10hipError_tPvRmT3_T4_T5_T6_T7_T9_mT8_P12ihipStream_tbDpT10_ENKUlT_T0_E_clISt17integral_constantIbLb0EES1C_EEDaS17_S18_EUlS17_E_NS1_11comp_targetILNS1_3genE3ELNS1_11target_archE908ELNS1_3gpuE7ELNS1_3repE0EEENS1_30default_config_static_selectorELNS0_4arch9wavefront6targetE0EEEvT1_,comdat
	.globl	_ZN7rocprim17ROCPRIM_400000_NS6detail17trampoline_kernelINS0_14default_configENS1_25partition_config_selectorILNS1_17partition_subalgoE8ElNS0_10empty_typeEbEEZZNS1_14partition_implILS5_8ELb0ES3_jPlPS6_PKS6_NS0_5tupleIJS9_S6_EEENSD_IJSA_SA_EEENS0_18inequality_wrapperIZN2at6native12_GLOBAL__N_124unique_dim_cuda_templateImEESt5tupleIJNSH_6TensorESM_SM_EERKSM_lbbbEUlllE0_EEPmJS6_EEE10hipError_tPvRmT3_T4_T5_T6_T7_T9_mT8_P12ihipStream_tbDpT10_ENKUlT_T0_E_clISt17integral_constantIbLb0EES1C_EEDaS17_S18_EUlS17_E_NS1_11comp_targetILNS1_3genE3ELNS1_11target_archE908ELNS1_3gpuE7ELNS1_3repE0EEENS1_30default_config_static_selectorELNS0_4arch9wavefront6targetE0EEEvT1_ ; -- Begin function _ZN7rocprim17ROCPRIM_400000_NS6detail17trampoline_kernelINS0_14default_configENS1_25partition_config_selectorILNS1_17partition_subalgoE8ElNS0_10empty_typeEbEEZZNS1_14partition_implILS5_8ELb0ES3_jPlPS6_PKS6_NS0_5tupleIJS9_S6_EEENSD_IJSA_SA_EEENS0_18inequality_wrapperIZN2at6native12_GLOBAL__N_124unique_dim_cuda_templateImEESt5tupleIJNSH_6TensorESM_SM_EERKSM_lbbbEUlllE0_EEPmJS6_EEE10hipError_tPvRmT3_T4_T5_T6_T7_T9_mT8_P12ihipStream_tbDpT10_ENKUlT_T0_E_clISt17integral_constantIbLb0EES1C_EEDaS17_S18_EUlS17_E_NS1_11comp_targetILNS1_3genE3ELNS1_11target_archE908ELNS1_3gpuE7ELNS1_3repE0EEENS1_30default_config_static_selectorELNS0_4arch9wavefront6targetE0EEEvT1_
	.p2align	8
	.type	_ZN7rocprim17ROCPRIM_400000_NS6detail17trampoline_kernelINS0_14default_configENS1_25partition_config_selectorILNS1_17partition_subalgoE8ElNS0_10empty_typeEbEEZZNS1_14partition_implILS5_8ELb0ES3_jPlPS6_PKS6_NS0_5tupleIJS9_S6_EEENSD_IJSA_SA_EEENS0_18inequality_wrapperIZN2at6native12_GLOBAL__N_124unique_dim_cuda_templateImEESt5tupleIJNSH_6TensorESM_SM_EERKSM_lbbbEUlllE0_EEPmJS6_EEE10hipError_tPvRmT3_T4_T5_T6_T7_T9_mT8_P12ihipStream_tbDpT10_ENKUlT_T0_E_clISt17integral_constantIbLb0EES1C_EEDaS17_S18_EUlS17_E_NS1_11comp_targetILNS1_3genE3ELNS1_11target_archE908ELNS1_3gpuE7ELNS1_3repE0EEENS1_30default_config_static_selectorELNS0_4arch9wavefront6targetE0EEEvT1_,@function
_ZN7rocprim17ROCPRIM_400000_NS6detail17trampoline_kernelINS0_14default_configENS1_25partition_config_selectorILNS1_17partition_subalgoE8ElNS0_10empty_typeEbEEZZNS1_14partition_implILS5_8ELb0ES3_jPlPS6_PKS6_NS0_5tupleIJS9_S6_EEENSD_IJSA_SA_EEENS0_18inequality_wrapperIZN2at6native12_GLOBAL__N_124unique_dim_cuda_templateImEESt5tupleIJNSH_6TensorESM_SM_EERKSM_lbbbEUlllE0_EEPmJS6_EEE10hipError_tPvRmT3_T4_T5_T6_T7_T9_mT8_P12ihipStream_tbDpT10_ENKUlT_T0_E_clISt17integral_constantIbLb0EES1C_EEDaS17_S18_EUlS17_E_NS1_11comp_targetILNS1_3genE3ELNS1_11target_archE908ELNS1_3gpuE7ELNS1_3repE0EEENS1_30default_config_static_selectorELNS0_4arch9wavefront6targetE0EEEvT1_: ; @_ZN7rocprim17ROCPRIM_400000_NS6detail17trampoline_kernelINS0_14default_configENS1_25partition_config_selectorILNS1_17partition_subalgoE8ElNS0_10empty_typeEbEEZZNS1_14partition_implILS5_8ELb0ES3_jPlPS6_PKS6_NS0_5tupleIJS9_S6_EEENSD_IJSA_SA_EEENS0_18inequality_wrapperIZN2at6native12_GLOBAL__N_124unique_dim_cuda_templateImEESt5tupleIJNSH_6TensorESM_SM_EERKSM_lbbbEUlllE0_EEPmJS6_EEE10hipError_tPvRmT3_T4_T5_T6_T7_T9_mT8_P12ihipStream_tbDpT10_ENKUlT_T0_E_clISt17integral_constantIbLb0EES1C_EEDaS17_S18_EUlS17_E_NS1_11comp_targetILNS1_3genE3ELNS1_11target_archE908ELNS1_3gpuE7ELNS1_3repE0EEENS1_30default_config_static_selectorELNS0_4arch9wavefront6targetE0EEEvT1_
; %bb.0:
	.section	.rodata,"a",@progbits
	.p2align	6, 0x0
	.amdhsa_kernel _ZN7rocprim17ROCPRIM_400000_NS6detail17trampoline_kernelINS0_14default_configENS1_25partition_config_selectorILNS1_17partition_subalgoE8ElNS0_10empty_typeEbEEZZNS1_14partition_implILS5_8ELb0ES3_jPlPS6_PKS6_NS0_5tupleIJS9_S6_EEENSD_IJSA_SA_EEENS0_18inequality_wrapperIZN2at6native12_GLOBAL__N_124unique_dim_cuda_templateImEESt5tupleIJNSH_6TensorESM_SM_EERKSM_lbbbEUlllE0_EEPmJS6_EEE10hipError_tPvRmT3_T4_T5_T6_T7_T9_mT8_P12ihipStream_tbDpT10_ENKUlT_T0_E_clISt17integral_constantIbLb0EES1C_EEDaS17_S18_EUlS17_E_NS1_11comp_targetILNS1_3genE3ELNS1_11target_archE908ELNS1_3gpuE7ELNS1_3repE0EEENS1_30default_config_static_selectorELNS0_4arch9wavefront6targetE0EEEvT1_
		.amdhsa_group_segment_fixed_size 0
		.amdhsa_private_segment_fixed_size 0
		.amdhsa_kernarg_size 120
		.amdhsa_user_sgpr_count 2
		.amdhsa_user_sgpr_dispatch_ptr 0
		.amdhsa_user_sgpr_queue_ptr 0
		.amdhsa_user_sgpr_kernarg_segment_ptr 1
		.amdhsa_user_sgpr_dispatch_id 0
		.amdhsa_user_sgpr_kernarg_preload_length 0
		.amdhsa_user_sgpr_kernarg_preload_offset 0
		.amdhsa_user_sgpr_private_segment_size 0
		.amdhsa_wavefront_size32 1
		.amdhsa_uses_dynamic_stack 0
		.amdhsa_enable_private_segment 0
		.amdhsa_system_sgpr_workgroup_id_x 1
		.amdhsa_system_sgpr_workgroup_id_y 0
		.amdhsa_system_sgpr_workgroup_id_z 0
		.amdhsa_system_sgpr_workgroup_info 0
		.amdhsa_system_vgpr_workitem_id 0
		.amdhsa_next_free_vgpr 1
		.amdhsa_next_free_sgpr 1
		.amdhsa_named_barrier_count 0
		.amdhsa_reserve_vcc 0
		.amdhsa_float_round_mode_32 0
		.amdhsa_float_round_mode_16_64 0
		.amdhsa_float_denorm_mode_32 3
		.amdhsa_float_denorm_mode_16_64 3
		.amdhsa_fp16_overflow 0
		.amdhsa_memory_ordered 1
		.amdhsa_forward_progress 1
		.amdhsa_inst_pref_size 0
		.amdhsa_round_robin_scheduling 0
		.amdhsa_exception_fp_ieee_invalid_op 0
		.amdhsa_exception_fp_denorm_src 0
		.amdhsa_exception_fp_ieee_div_zero 0
		.amdhsa_exception_fp_ieee_overflow 0
		.amdhsa_exception_fp_ieee_underflow 0
		.amdhsa_exception_fp_ieee_inexact 0
		.amdhsa_exception_int_div_zero 0
	.end_amdhsa_kernel
	.section	.text._ZN7rocprim17ROCPRIM_400000_NS6detail17trampoline_kernelINS0_14default_configENS1_25partition_config_selectorILNS1_17partition_subalgoE8ElNS0_10empty_typeEbEEZZNS1_14partition_implILS5_8ELb0ES3_jPlPS6_PKS6_NS0_5tupleIJS9_S6_EEENSD_IJSA_SA_EEENS0_18inequality_wrapperIZN2at6native12_GLOBAL__N_124unique_dim_cuda_templateImEESt5tupleIJNSH_6TensorESM_SM_EERKSM_lbbbEUlllE0_EEPmJS6_EEE10hipError_tPvRmT3_T4_T5_T6_T7_T9_mT8_P12ihipStream_tbDpT10_ENKUlT_T0_E_clISt17integral_constantIbLb0EES1C_EEDaS17_S18_EUlS17_E_NS1_11comp_targetILNS1_3genE3ELNS1_11target_archE908ELNS1_3gpuE7ELNS1_3repE0EEENS1_30default_config_static_selectorELNS0_4arch9wavefront6targetE0EEEvT1_,"axG",@progbits,_ZN7rocprim17ROCPRIM_400000_NS6detail17trampoline_kernelINS0_14default_configENS1_25partition_config_selectorILNS1_17partition_subalgoE8ElNS0_10empty_typeEbEEZZNS1_14partition_implILS5_8ELb0ES3_jPlPS6_PKS6_NS0_5tupleIJS9_S6_EEENSD_IJSA_SA_EEENS0_18inequality_wrapperIZN2at6native12_GLOBAL__N_124unique_dim_cuda_templateImEESt5tupleIJNSH_6TensorESM_SM_EERKSM_lbbbEUlllE0_EEPmJS6_EEE10hipError_tPvRmT3_T4_T5_T6_T7_T9_mT8_P12ihipStream_tbDpT10_ENKUlT_T0_E_clISt17integral_constantIbLb0EES1C_EEDaS17_S18_EUlS17_E_NS1_11comp_targetILNS1_3genE3ELNS1_11target_archE908ELNS1_3gpuE7ELNS1_3repE0EEENS1_30default_config_static_selectorELNS0_4arch9wavefront6targetE0EEEvT1_,comdat
.Lfunc_end1666:
	.size	_ZN7rocprim17ROCPRIM_400000_NS6detail17trampoline_kernelINS0_14default_configENS1_25partition_config_selectorILNS1_17partition_subalgoE8ElNS0_10empty_typeEbEEZZNS1_14partition_implILS5_8ELb0ES3_jPlPS6_PKS6_NS0_5tupleIJS9_S6_EEENSD_IJSA_SA_EEENS0_18inequality_wrapperIZN2at6native12_GLOBAL__N_124unique_dim_cuda_templateImEESt5tupleIJNSH_6TensorESM_SM_EERKSM_lbbbEUlllE0_EEPmJS6_EEE10hipError_tPvRmT3_T4_T5_T6_T7_T9_mT8_P12ihipStream_tbDpT10_ENKUlT_T0_E_clISt17integral_constantIbLb0EES1C_EEDaS17_S18_EUlS17_E_NS1_11comp_targetILNS1_3genE3ELNS1_11target_archE908ELNS1_3gpuE7ELNS1_3repE0EEENS1_30default_config_static_selectorELNS0_4arch9wavefront6targetE0EEEvT1_, .Lfunc_end1666-_ZN7rocprim17ROCPRIM_400000_NS6detail17trampoline_kernelINS0_14default_configENS1_25partition_config_selectorILNS1_17partition_subalgoE8ElNS0_10empty_typeEbEEZZNS1_14partition_implILS5_8ELb0ES3_jPlPS6_PKS6_NS0_5tupleIJS9_S6_EEENSD_IJSA_SA_EEENS0_18inequality_wrapperIZN2at6native12_GLOBAL__N_124unique_dim_cuda_templateImEESt5tupleIJNSH_6TensorESM_SM_EERKSM_lbbbEUlllE0_EEPmJS6_EEE10hipError_tPvRmT3_T4_T5_T6_T7_T9_mT8_P12ihipStream_tbDpT10_ENKUlT_T0_E_clISt17integral_constantIbLb0EES1C_EEDaS17_S18_EUlS17_E_NS1_11comp_targetILNS1_3genE3ELNS1_11target_archE908ELNS1_3gpuE7ELNS1_3repE0EEENS1_30default_config_static_selectorELNS0_4arch9wavefront6targetE0EEEvT1_
                                        ; -- End function
	.set _ZN7rocprim17ROCPRIM_400000_NS6detail17trampoline_kernelINS0_14default_configENS1_25partition_config_selectorILNS1_17partition_subalgoE8ElNS0_10empty_typeEbEEZZNS1_14partition_implILS5_8ELb0ES3_jPlPS6_PKS6_NS0_5tupleIJS9_S6_EEENSD_IJSA_SA_EEENS0_18inequality_wrapperIZN2at6native12_GLOBAL__N_124unique_dim_cuda_templateImEESt5tupleIJNSH_6TensorESM_SM_EERKSM_lbbbEUlllE0_EEPmJS6_EEE10hipError_tPvRmT3_T4_T5_T6_T7_T9_mT8_P12ihipStream_tbDpT10_ENKUlT_T0_E_clISt17integral_constantIbLb0EES1C_EEDaS17_S18_EUlS17_E_NS1_11comp_targetILNS1_3genE3ELNS1_11target_archE908ELNS1_3gpuE7ELNS1_3repE0EEENS1_30default_config_static_selectorELNS0_4arch9wavefront6targetE0EEEvT1_.num_vgpr, 0
	.set _ZN7rocprim17ROCPRIM_400000_NS6detail17trampoline_kernelINS0_14default_configENS1_25partition_config_selectorILNS1_17partition_subalgoE8ElNS0_10empty_typeEbEEZZNS1_14partition_implILS5_8ELb0ES3_jPlPS6_PKS6_NS0_5tupleIJS9_S6_EEENSD_IJSA_SA_EEENS0_18inequality_wrapperIZN2at6native12_GLOBAL__N_124unique_dim_cuda_templateImEESt5tupleIJNSH_6TensorESM_SM_EERKSM_lbbbEUlllE0_EEPmJS6_EEE10hipError_tPvRmT3_T4_T5_T6_T7_T9_mT8_P12ihipStream_tbDpT10_ENKUlT_T0_E_clISt17integral_constantIbLb0EES1C_EEDaS17_S18_EUlS17_E_NS1_11comp_targetILNS1_3genE3ELNS1_11target_archE908ELNS1_3gpuE7ELNS1_3repE0EEENS1_30default_config_static_selectorELNS0_4arch9wavefront6targetE0EEEvT1_.num_agpr, 0
	.set _ZN7rocprim17ROCPRIM_400000_NS6detail17trampoline_kernelINS0_14default_configENS1_25partition_config_selectorILNS1_17partition_subalgoE8ElNS0_10empty_typeEbEEZZNS1_14partition_implILS5_8ELb0ES3_jPlPS6_PKS6_NS0_5tupleIJS9_S6_EEENSD_IJSA_SA_EEENS0_18inequality_wrapperIZN2at6native12_GLOBAL__N_124unique_dim_cuda_templateImEESt5tupleIJNSH_6TensorESM_SM_EERKSM_lbbbEUlllE0_EEPmJS6_EEE10hipError_tPvRmT3_T4_T5_T6_T7_T9_mT8_P12ihipStream_tbDpT10_ENKUlT_T0_E_clISt17integral_constantIbLb0EES1C_EEDaS17_S18_EUlS17_E_NS1_11comp_targetILNS1_3genE3ELNS1_11target_archE908ELNS1_3gpuE7ELNS1_3repE0EEENS1_30default_config_static_selectorELNS0_4arch9wavefront6targetE0EEEvT1_.numbered_sgpr, 0
	.set _ZN7rocprim17ROCPRIM_400000_NS6detail17trampoline_kernelINS0_14default_configENS1_25partition_config_selectorILNS1_17partition_subalgoE8ElNS0_10empty_typeEbEEZZNS1_14partition_implILS5_8ELb0ES3_jPlPS6_PKS6_NS0_5tupleIJS9_S6_EEENSD_IJSA_SA_EEENS0_18inequality_wrapperIZN2at6native12_GLOBAL__N_124unique_dim_cuda_templateImEESt5tupleIJNSH_6TensorESM_SM_EERKSM_lbbbEUlllE0_EEPmJS6_EEE10hipError_tPvRmT3_T4_T5_T6_T7_T9_mT8_P12ihipStream_tbDpT10_ENKUlT_T0_E_clISt17integral_constantIbLb0EES1C_EEDaS17_S18_EUlS17_E_NS1_11comp_targetILNS1_3genE3ELNS1_11target_archE908ELNS1_3gpuE7ELNS1_3repE0EEENS1_30default_config_static_selectorELNS0_4arch9wavefront6targetE0EEEvT1_.num_named_barrier, 0
	.set _ZN7rocprim17ROCPRIM_400000_NS6detail17trampoline_kernelINS0_14default_configENS1_25partition_config_selectorILNS1_17partition_subalgoE8ElNS0_10empty_typeEbEEZZNS1_14partition_implILS5_8ELb0ES3_jPlPS6_PKS6_NS0_5tupleIJS9_S6_EEENSD_IJSA_SA_EEENS0_18inequality_wrapperIZN2at6native12_GLOBAL__N_124unique_dim_cuda_templateImEESt5tupleIJNSH_6TensorESM_SM_EERKSM_lbbbEUlllE0_EEPmJS6_EEE10hipError_tPvRmT3_T4_T5_T6_T7_T9_mT8_P12ihipStream_tbDpT10_ENKUlT_T0_E_clISt17integral_constantIbLb0EES1C_EEDaS17_S18_EUlS17_E_NS1_11comp_targetILNS1_3genE3ELNS1_11target_archE908ELNS1_3gpuE7ELNS1_3repE0EEENS1_30default_config_static_selectorELNS0_4arch9wavefront6targetE0EEEvT1_.private_seg_size, 0
	.set _ZN7rocprim17ROCPRIM_400000_NS6detail17trampoline_kernelINS0_14default_configENS1_25partition_config_selectorILNS1_17partition_subalgoE8ElNS0_10empty_typeEbEEZZNS1_14partition_implILS5_8ELb0ES3_jPlPS6_PKS6_NS0_5tupleIJS9_S6_EEENSD_IJSA_SA_EEENS0_18inequality_wrapperIZN2at6native12_GLOBAL__N_124unique_dim_cuda_templateImEESt5tupleIJNSH_6TensorESM_SM_EERKSM_lbbbEUlllE0_EEPmJS6_EEE10hipError_tPvRmT3_T4_T5_T6_T7_T9_mT8_P12ihipStream_tbDpT10_ENKUlT_T0_E_clISt17integral_constantIbLb0EES1C_EEDaS17_S18_EUlS17_E_NS1_11comp_targetILNS1_3genE3ELNS1_11target_archE908ELNS1_3gpuE7ELNS1_3repE0EEENS1_30default_config_static_selectorELNS0_4arch9wavefront6targetE0EEEvT1_.uses_vcc, 0
	.set _ZN7rocprim17ROCPRIM_400000_NS6detail17trampoline_kernelINS0_14default_configENS1_25partition_config_selectorILNS1_17partition_subalgoE8ElNS0_10empty_typeEbEEZZNS1_14partition_implILS5_8ELb0ES3_jPlPS6_PKS6_NS0_5tupleIJS9_S6_EEENSD_IJSA_SA_EEENS0_18inequality_wrapperIZN2at6native12_GLOBAL__N_124unique_dim_cuda_templateImEESt5tupleIJNSH_6TensorESM_SM_EERKSM_lbbbEUlllE0_EEPmJS6_EEE10hipError_tPvRmT3_T4_T5_T6_T7_T9_mT8_P12ihipStream_tbDpT10_ENKUlT_T0_E_clISt17integral_constantIbLb0EES1C_EEDaS17_S18_EUlS17_E_NS1_11comp_targetILNS1_3genE3ELNS1_11target_archE908ELNS1_3gpuE7ELNS1_3repE0EEENS1_30default_config_static_selectorELNS0_4arch9wavefront6targetE0EEEvT1_.uses_flat_scratch, 0
	.set _ZN7rocprim17ROCPRIM_400000_NS6detail17trampoline_kernelINS0_14default_configENS1_25partition_config_selectorILNS1_17partition_subalgoE8ElNS0_10empty_typeEbEEZZNS1_14partition_implILS5_8ELb0ES3_jPlPS6_PKS6_NS0_5tupleIJS9_S6_EEENSD_IJSA_SA_EEENS0_18inequality_wrapperIZN2at6native12_GLOBAL__N_124unique_dim_cuda_templateImEESt5tupleIJNSH_6TensorESM_SM_EERKSM_lbbbEUlllE0_EEPmJS6_EEE10hipError_tPvRmT3_T4_T5_T6_T7_T9_mT8_P12ihipStream_tbDpT10_ENKUlT_T0_E_clISt17integral_constantIbLb0EES1C_EEDaS17_S18_EUlS17_E_NS1_11comp_targetILNS1_3genE3ELNS1_11target_archE908ELNS1_3gpuE7ELNS1_3repE0EEENS1_30default_config_static_selectorELNS0_4arch9wavefront6targetE0EEEvT1_.has_dyn_sized_stack, 0
	.set _ZN7rocprim17ROCPRIM_400000_NS6detail17trampoline_kernelINS0_14default_configENS1_25partition_config_selectorILNS1_17partition_subalgoE8ElNS0_10empty_typeEbEEZZNS1_14partition_implILS5_8ELb0ES3_jPlPS6_PKS6_NS0_5tupleIJS9_S6_EEENSD_IJSA_SA_EEENS0_18inequality_wrapperIZN2at6native12_GLOBAL__N_124unique_dim_cuda_templateImEESt5tupleIJNSH_6TensorESM_SM_EERKSM_lbbbEUlllE0_EEPmJS6_EEE10hipError_tPvRmT3_T4_T5_T6_T7_T9_mT8_P12ihipStream_tbDpT10_ENKUlT_T0_E_clISt17integral_constantIbLb0EES1C_EEDaS17_S18_EUlS17_E_NS1_11comp_targetILNS1_3genE3ELNS1_11target_archE908ELNS1_3gpuE7ELNS1_3repE0EEENS1_30default_config_static_selectorELNS0_4arch9wavefront6targetE0EEEvT1_.has_recursion, 0
	.set _ZN7rocprim17ROCPRIM_400000_NS6detail17trampoline_kernelINS0_14default_configENS1_25partition_config_selectorILNS1_17partition_subalgoE8ElNS0_10empty_typeEbEEZZNS1_14partition_implILS5_8ELb0ES3_jPlPS6_PKS6_NS0_5tupleIJS9_S6_EEENSD_IJSA_SA_EEENS0_18inequality_wrapperIZN2at6native12_GLOBAL__N_124unique_dim_cuda_templateImEESt5tupleIJNSH_6TensorESM_SM_EERKSM_lbbbEUlllE0_EEPmJS6_EEE10hipError_tPvRmT3_T4_T5_T6_T7_T9_mT8_P12ihipStream_tbDpT10_ENKUlT_T0_E_clISt17integral_constantIbLb0EES1C_EEDaS17_S18_EUlS17_E_NS1_11comp_targetILNS1_3genE3ELNS1_11target_archE908ELNS1_3gpuE7ELNS1_3repE0EEENS1_30default_config_static_selectorELNS0_4arch9wavefront6targetE0EEEvT1_.has_indirect_call, 0
	.section	.AMDGPU.csdata,"",@progbits
; Kernel info:
; codeLenInByte = 0
; TotalNumSgprs: 0
; NumVgprs: 0
; ScratchSize: 0
; MemoryBound: 0
; FloatMode: 240
; IeeeMode: 1
; LDSByteSize: 0 bytes/workgroup (compile time only)
; SGPRBlocks: 0
; VGPRBlocks: 0
; NumSGPRsForWavesPerEU: 1
; NumVGPRsForWavesPerEU: 1
; NamedBarCnt: 0
; Occupancy: 16
; WaveLimiterHint : 0
; COMPUTE_PGM_RSRC2:SCRATCH_EN: 0
; COMPUTE_PGM_RSRC2:USER_SGPR: 2
; COMPUTE_PGM_RSRC2:TRAP_HANDLER: 0
; COMPUTE_PGM_RSRC2:TGID_X_EN: 1
; COMPUTE_PGM_RSRC2:TGID_Y_EN: 0
; COMPUTE_PGM_RSRC2:TGID_Z_EN: 0
; COMPUTE_PGM_RSRC2:TIDIG_COMP_CNT: 0
	.section	.text._ZN7rocprim17ROCPRIM_400000_NS6detail17trampoline_kernelINS0_14default_configENS1_25partition_config_selectorILNS1_17partition_subalgoE8ElNS0_10empty_typeEbEEZZNS1_14partition_implILS5_8ELb0ES3_jPlPS6_PKS6_NS0_5tupleIJS9_S6_EEENSD_IJSA_SA_EEENS0_18inequality_wrapperIZN2at6native12_GLOBAL__N_124unique_dim_cuda_templateImEESt5tupleIJNSH_6TensorESM_SM_EERKSM_lbbbEUlllE0_EEPmJS6_EEE10hipError_tPvRmT3_T4_T5_T6_T7_T9_mT8_P12ihipStream_tbDpT10_ENKUlT_T0_E_clISt17integral_constantIbLb0EES1C_EEDaS17_S18_EUlS17_E_NS1_11comp_targetILNS1_3genE2ELNS1_11target_archE906ELNS1_3gpuE6ELNS1_3repE0EEENS1_30default_config_static_selectorELNS0_4arch9wavefront6targetE0EEEvT1_,"axG",@progbits,_ZN7rocprim17ROCPRIM_400000_NS6detail17trampoline_kernelINS0_14default_configENS1_25partition_config_selectorILNS1_17partition_subalgoE8ElNS0_10empty_typeEbEEZZNS1_14partition_implILS5_8ELb0ES3_jPlPS6_PKS6_NS0_5tupleIJS9_S6_EEENSD_IJSA_SA_EEENS0_18inequality_wrapperIZN2at6native12_GLOBAL__N_124unique_dim_cuda_templateImEESt5tupleIJNSH_6TensorESM_SM_EERKSM_lbbbEUlllE0_EEPmJS6_EEE10hipError_tPvRmT3_T4_T5_T6_T7_T9_mT8_P12ihipStream_tbDpT10_ENKUlT_T0_E_clISt17integral_constantIbLb0EES1C_EEDaS17_S18_EUlS17_E_NS1_11comp_targetILNS1_3genE2ELNS1_11target_archE906ELNS1_3gpuE6ELNS1_3repE0EEENS1_30default_config_static_selectorELNS0_4arch9wavefront6targetE0EEEvT1_,comdat
	.globl	_ZN7rocprim17ROCPRIM_400000_NS6detail17trampoline_kernelINS0_14default_configENS1_25partition_config_selectorILNS1_17partition_subalgoE8ElNS0_10empty_typeEbEEZZNS1_14partition_implILS5_8ELb0ES3_jPlPS6_PKS6_NS0_5tupleIJS9_S6_EEENSD_IJSA_SA_EEENS0_18inequality_wrapperIZN2at6native12_GLOBAL__N_124unique_dim_cuda_templateImEESt5tupleIJNSH_6TensorESM_SM_EERKSM_lbbbEUlllE0_EEPmJS6_EEE10hipError_tPvRmT3_T4_T5_T6_T7_T9_mT8_P12ihipStream_tbDpT10_ENKUlT_T0_E_clISt17integral_constantIbLb0EES1C_EEDaS17_S18_EUlS17_E_NS1_11comp_targetILNS1_3genE2ELNS1_11target_archE906ELNS1_3gpuE6ELNS1_3repE0EEENS1_30default_config_static_selectorELNS0_4arch9wavefront6targetE0EEEvT1_ ; -- Begin function _ZN7rocprim17ROCPRIM_400000_NS6detail17trampoline_kernelINS0_14default_configENS1_25partition_config_selectorILNS1_17partition_subalgoE8ElNS0_10empty_typeEbEEZZNS1_14partition_implILS5_8ELb0ES3_jPlPS6_PKS6_NS0_5tupleIJS9_S6_EEENSD_IJSA_SA_EEENS0_18inequality_wrapperIZN2at6native12_GLOBAL__N_124unique_dim_cuda_templateImEESt5tupleIJNSH_6TensorESM_SM_EERKSM_lbbbEUlllE0_EEPmJS6_EEE10hipError_tPvRmT3_T4_T5_T6_T7_T9_mT8_P12ihipStream_tbDpT10_ENKUlT_T0_E_clISt17integral_constantIbLb0EES1C_EEDaS17_S18_EUlS17_E_NS1_11comp_targetILNS1_3genE2ELNS1_11target_archE906ELNS1_3gpuE6ELNS1_3repE0EEENS1_30default_config_static_selectorELNS0_4arch9wavefront6targetE0EEEvT1_
	.p2align	8
	.type	_ZN7rocprim17ROCPRIM_400000_NS6detail17trampoline_kernelINS0_14default_configENS1_25partition_config_selectorILNS1_17partition_subalgoE8ElNS0_10empty_typeEbEEZZNS1_14partition_implILS5_8ELb0ES3_jPlPS6_PKS6_NS0_5tupleIJS9_S6_EEENSD_IJSA_SA_EEENS0_18inequality_wrapperIZN2at6native12_GLOBAL__N_124unique_dim_cuda_templateImEESt5tupleIJNSH_6TensorESM_SM_EERKSM_lbbbEUlllE0_EEPmJS6_EEE10hipError_tPvRmT3_T4_T5_T6_T7_T9_mT8_P12ihipStream_tbDpT10_ENKUlT_T0_E_clISt17integral_constantIbLb0EES1C_EEDaS17_S18_EUlS17_E_NS1_11comp_targetILNS1_3genE2ELNS1_11target_archE906ELNS1_3gpuE6ELNS1_3repE0EEENS1_30default_config_static_selectorELNS0_4arch9wavefront6targetE0EEEvT1_,@function
_ZN7rocprim17ROCPRIM_400000_NS6detail17trampoline_kernelINS0_14default_configENS1_25partition_config_selectorILNS1_17partition_subalgoE8ElNS0_10empty_typeEbEEZZNS1_14partition_implILS5_8ELb0ES3_jPlPS6_PKS6_NS0_5tupleIJS9_S6_EEENSD_IJSA_SA_EEENS0_18inequality_wrapperIZN2at6native12_GLOBAL__N_124unique_dim_cuda_templateImEESt5tupleIJNSH_6TensorESM_SM_EERKSM_lbbbEUlllE0_EEPmJS6_EEE10hipError_tPvRmT3_T4_T5_T6_T7_T9_mT8_P12ihipStream_tbDpT10_ENKUlT_T0_E_clISt17integral_constantIbLb0EES1C_EEDaS17_S18_EUlS17_E_NS1_11comp_targetILNS1_3genE2ELNS1_11target_archE906ELNS1_3gpuE6ELNS1_3repE0EEENS1_30default_config_static_selectorELNS0_4arch9wavefront6targetE0EEEvT1_: ; @_ZN7rocprim17ROCPRIM_400000_NS6detail17trampoline_kernelINS0_14default_configENS1_25partition_config_selectorILNS1_17partition_subalgoE8ElNS0_10empty_typeEbEEZZNS1_14partition_implILS5_8ELb0ES3_jPlPS6_PKS6_NS0_5tupleIJS9_S6_EEENSD_IJSA_SA_EEENS0_18inequality_wrapperIZN2at6native12_GLOBAL__N_124unique_dim_cuda_templateImEESt5tupleIJNSH_6TensorESM_SM_EERKSM_lbbbEUlllE0_EEPmJS6_EEE10hipError_tPvRmT3_T4_T5_T6_T7_T9_mT8_P12ihipStream_tbDpT10_ENKUlT_T0_E_clISt17integral_constantIbLb0EES1C_EEDaS17_S18_EUlS17_E_NS1_11comp_targetILNS1_3genE2ELNS1_11target_archE906ELNS1_3gpuE6ELNS1_3repE0EEENS1_30default_config_static_selectorELNS0_4arch9wavefront6targetE0EEEvT1_
; %bb.0:
	.section	.rodata,"a",@progbits
	.p2align	6, 0x0
	.amdhsa_kernel _ZN7rocprim17ROCPRIM_400000_NS6detail17trampoline_kernelINS0_14default_configENS1_25partition_config_selectorILNS1_17partition_subalgoE8ElNS0_10empty_typeEbEEZZNS1_14partition_implILS5_8ELb0ES3_jPlPS6_PKS6_NS0_5tupleIJS9_S6_EEENSD_IJSA_SA_EEENS0_18inequality_wrapperIZN2at6native12_GLOBAL__N_124unique_dim_cuda_templateImEESt5tupleIJNSH_6TensorESM_SM_EERKSM_lbbbEUlllE0_EEPmJS6_EEE10hipError_tPvRmT3_T4_T5_T6_T7_T9_mT8_P12ihipStream_tbDpT10_ENKUlT_T0_E_clISt17integral_constantIbLb0EES1C_EEDaS17_S18_EUlS17_E_NS1_11comp_targetILNS1_3genE2ELNS1_11target_archE906ELNS1_3gpuE6ELNS1_3repE0EEENS1_30default_config_static_selectorELNS0_4arch9wavefront6targetE0EEEvT1_
		.amdhsa_group_segment_fixed_size 0
		.amdhsa_private_segment_fixed_size 0
		.amdhsa_kernarg_size 120
		.amdhsa_user_sgpr_count 2
		.amdhsa_user_sgpr_dispatch_ptr 0
		.amdhsa_user_sgpr_queue_ptr 0
		.amdhsa_user_sgpr_kernarg_segment_ptr 1
		.amdhsa_user_sgpr_dispatch_id 0
		.amdhsa_user_sgpr_kernarg_preload_length 0
		.amdhsa_user_sgpr_kernarg_preload_offset 0
		.amdhsa_user_sgpr_private_segment_size 0
		.amdhsa_wavefront_size32 1
		.amdhsa_uses_dynamic_stack 0
		.amdhsa_enable_private_segment 0
		.amdhsa_system_sgpr_workgroup_id_x 1
		.amdhsa_system_sgpr_workgroup_id_y 0
		.amdhsa_system_sgpr_workgroup_id_z 0
		.amdhsa_system_sgpr_workgroup_info 0
		.amdhsa_system_vgpr_workitem_id 0
		.amdhsa_next_free_vgpr 1
		.amdhsa_next_free_sgpr 1
		.amdhsa_named_barrier_count 0
		.amdhsa_reserve_vcc 0
		.amdhsa_float_round_mode_32 0
		.amdhsa_float_round_mode_16_64 0
		.amdhsa_float_denorm_mode_32 3
		.amdhsa_float_denorm_mode_16_64 3
		.amdhsa_fp16_overflow 0
		.amdhsa_memory_ordered 1
		.amdhsa_forward_progress 1
		.amdhsa_inst_pref_size 0
		.amdhsa_round_robin_scheduling 0
		.amdhsa_exception_fp_ieee_invalid_op 0
		.amdhsa_exception_fp_denorm_src 0
		.amdhsa_exception_fp_ieee_div_zero 0
		.amdhsa_exception_fp_ieee_overflow 0
		.amdhsa_exception_fp_ieee_underflow 0
		.amdhsa_exception_fp_ieee_inexact 0
		.amdhsa_exception_int_div_zero 0
	.end_amdhsa_kernel
	.section	.text._ZN7rocprim17ROCPRIM_400000_NS6detail17trampoline_kernelINS0_14default_configENS1_25partition_config_selectorILNS1_17partition_subalgoE8ElNS0_10empty_typeEbEEZZNS1_14partition_implILS5_8ELb0ES3_jPlPS6_PKS6_NS0_5tupleIJS9_S6_EEENSD_IJSA_SA_EEENS0_18inequality_wrapperIZN2at6native12_GLOBAL__N_124unique_dim_cuda_templateImEESt5tupleIJNSH_6TensorESM_SM_EERKSM_lbbbEUlllE0_EEPmJS6_EEE10hipError_tPvRmT3_T4_T5_T6_T7_T9_mT8_P12ihipStream_tbDpT10_ENKUlT_T0_E_clISt17integral_constantIbLb0EES1C_EEDaS17_S18_EUlS17_E_NS1_11comp_targetILNS1_3genE2ELNS1_11target_archE906ELNS1_3gpuE6ELNS1_3repE0EEENS1_30default_config_static_selectorELNS0_4arch9wavefront6targetE0EEEvT1_,"axG",@progbits,_ZN7rocprim17ROCPRIM_400000_NS6detail17trampoline_kernelINS0_14default_configENS1_25partition_config_selectorILNS1_17partition_subalgoE8ElNS0_10empty_typeEbEEZZNS1_14partition_implILS5_8ELb0ES3_jPlPS6_PKS6_NS0_5tupleIJS9_S6_EEENSD_IJSA_SA_EEENS0_18inequality_wrapperIZN2at6native12_GLOBAL__N_124unique_dim_cuda_templateImEESt5tupleIJNSH_6TensorESM_SM_EERKSM_lbbbEUlllE0_EEPmJS6_EEE10hipError_tPvRmT3_T4_T5_T6_T7_T9_mT8_P12ihipStream_tbDpT10_ENKUlT_T0_E_clISt17integral_constantIbLb0EES1C_EEDaS17_S18_EUlS17_E_NS1_11comp_targetILNS1_3genE2ELNS1_11target_archE906ELNS1_3gpuE6ELNS1_3repE0EEENS1_30default_config_static_selectorELNS0_4arch9wavefront6targetE0EEEvT1_,comdat
.Lfunc_end1667:
	.size	_ZN7rocprim17ROCPRIM_400000_NS6detail17trampoline_kernelINS0_14default_configENS1_25partition_config_selectorILNS1_17partition_subalgoE8ElNS0_10empty_typeEbEEZZNS1_14partition_implILS5_8ELb0ES3_jPlPS6_PKS6_NS0_5tupleIJS9_S6_EEENSD_IJSA_SA_EEENS0_18inequality_wrapperIZN2at6native12_GLOBAL__N_124unique_dim_cuda_templateImEESt5tupleIJNSH_6TensorESM_SM_EERKSM_lbbbEUlllE0_EEPmJS6_EEE10hipError_tPvRmT3_T4_T5_T6_T7_T9_mT8_P12ihipStream_tbDpT10_ENKUlT_T0_E_clISt17integral_constantIbLb0EES1C_EEDaS17_S18_EUlS17_E_NS1_11comp_targetILNS1_3genE2ELNS1_11target_archE906ELNS1_3gpuE6ELNS1_3repE0EEENS1_30default_config_static_selectorELNS0_4arch9wavefront6targetE0EEEvT1_, .Lfunc_end1667-_ZN7rocprim17ROCPRIM_400000_NS6detail17trampoline_kernelINS0_14default_configENS1_25partition_config_selectorILNS1_17partition_subalgoE8ElNS0_10empty_typeEbEEZZNS1_14partition_implILS5_8ELb0ES3_jPlPS6_PKS6_NS0_5tupleIJS9_S6_EEENSD_IJSA_SA_EEENS0_18inequality_wrapperIZN2at6native12_GLOBAL__N_124unique_dim_cuda_templateImEESt5tupleIJNSH_6TensorESM_SM_EERKSM_lbbbEUlllE0_EEPmJS6_EEE10hipError_tPvRmT3_T4_T5_T6_T7_T9_mT8_P12ihipStream_tbDpT10_ENKUlT_T0_E_clISt17integral_constantIbLb0EES1C_EEDaS17_S18_EUlS17_E_NS1_11comp_targetILNS1_3genE2ELNS1_11target_archE906ELNS1_3gpuE6ELNS1_3repE0EEENS1_30default_config_static_selectorELNS0_4arch9wavefront6targetE0EEEvT1_
                                        ; -- End function
	.set _ZN7rocprim17ROCPRIM_400000_NS6detail17trampoline_kernelINS0_14default_configENS1_25partition_config_selectorILNS1_17partition_subalgoE8ElNS0_10empty_typeEbEEZZNS1_14partition_implILS5_8ELb0ES3_jPlPS6_PKS6_NS0_5tupleIJS9_S6_EEENSD_IJSA_SA_EEENS0_18inequality_wrapperIZN2at6native12_GLOBAL__N_124unique_dim_cuda_templateImEESt5tupleIJNSH_6TensorESM_SM_EERKSM_lbbbEUlllE0_EEPmJS6_EEE10hipError_tPvRmT3_T4_T5_T6_T7_T9_mT8_P12ihipStream_tbDpT10_ENKUlT_T0_E_clISt17integral_constantIbLb0EES1C_EEDaS17_S18_EUlS17_E_NS1_11comp_targetILNS1_3genE2ELNS1_11target_archE906ELNS1_3gpuE6ELNS1_3repE0EEENS1_30default_config_static_selectorELNS0_4arch9wavefront6targetE0EEEvT1_.num_vgpr, 0
	.set _ZN7rocprim17ROCPRIM_400000_NS6detail17trampoline_kernelINS0_14default_configENS1_25partition_config_selectorILNS1_17partition_subalgoE8ElNS0_10empty_typeEbEEZZNS1_14partition_implILS5_8ELb0ES3_jPlPS6_PKS6_NS0_5tupleIJS9_S6_EEENSD_IJSA_SA_EEENS0_18inequality_wrapperIZN2at6native12_GLOBAL__N_124unique_dim_cuda_templateImEESt5tupleIJNSH_6TensorESM_SM_EERKSM_lbbbEUlllE0_EEPmJS6_EEE10hipError_tPvRmT3_T4_T5_T6_T7_T9_mT8_P12ihipStream_tbDpT10_ENKUlT_T0_E_clISt17integral_constantIbLb0EES1C_EEDaS17_S18_EUlS17_E_NS1_11comp_targetILNS1_3genE2ELNS1_11target_archE906ELNS1_3gpuE6ELNS1_3repE0EEENS1_30default_config_static_selectorELNS0_4arch9wavefront6targetE0EEEvT1_.num_agpr, 0
	.set _ZN7rocprim17ROCPRIM_400000_NS6detail17trampoline_kernelINS0_14default_configENS1_25partition_config_selectorILNS1_17partition_subalgoE8ElNS0_10empty_typeEbEEZZNS1_14partition_implILS5_8ELb0ES3_jPlPS6_PKS6_NS0_5tupleIJS9_S6_EEENSD_IJSA_SA_EEENS0_18inequality_wrapperIZN2at6native12_GLOBAL__N_124unique_dim_cuda_templateImEESt5tupleIJNSH_6TensorESM_SM_EERKSM_lbbbEUlllE0_EEPmJS6_EEE10hipError_tPvRmT3_T4_T5_T6_T7_T9_mT8_P12ihipStream_tbDpT10_ENKUlT_T0_E_clISt17integral_constantIbLb0EES1C_EEDaS17_S18_EUlS17_E_NS1_11comp_targetILNS1_3genE2ELNS1_11target_archE906ELNS1_3gpuE6ELNS1_3repE0EEENS1_30default_config_static_selectorELNS0_4arch9wavefront6targetE0EEEvT1_.numbered_sgpr, 0
	.set _ZN7rocprim17ROCPRIM_400000_NS6detail17trampoline_kernelINS0_14default_configENS1_25partition_config_selectorILNS1_17partition_subalgoE8ElNS0_10empty_typeEbEEZZNS1_14partition_implILS5_8ELb0ES3_jPlPS6_PKS6_NS0_5tupleIJS9_S6_EEENSD_IJSA_SA_EEENS0_18inequality_wrapperIZN2at6native12_GLOBAL__N_124unique_dim_cuda_templateImEESt5tupleIJNSH_6TensorESM_SM_EERKSM_lbbbEUlllE0_EEPmJS6_EEE10hipError_tPvRmT3_T4_T5_T6_T7_T9_mT8_P12ihipStream_tbDpT10_ENKUlT_T0_E_clISt17integral_constantIbLb0EES1C_EEDaS17_S18_EUlS17_E_NS1_11comp_targetILNS1_3genE2ELNS1_11target_archE906ELNS1_3gpuE6ELNS1_3repE0EEENS1_30default_config_static_selectorELNS0_4arch9wavefront6targetE0EEEvT1_.num_named_barrier, 0
	.set _ZN7rocprim17ROCPRIM_400000_NS6detail17trampoline_kernelINS0_14default_configENS1_25partition_config_selectorILNS1_17partition_subalgoE8ElNS0_10empty_typeEbEEZZNS1_14partition_implILS5_8ELb0ES3_jPlPS6_PKS6_NS0_5tupleIJS9_S6_EEENSD_IJSA_SA_EEENS0_18inequality_wrapperIZN2at6native12_GLOBAL__N_124unique_dim_cuda_templateImEESt5tupleIJNSH_6TensorESM_SM_EERKSM_lbbbEUlllE0_EEPmJS6_EEE10hipError_tPvRmT3_T4_T5_T6_T7_T9_mT8_P12ihipStream_tbDpT10_ENKUlT_T0_E_clISt17integral_constantIbLb0EES1C_EEDaS17_S18_EUlS17_E_NS1_11comp_targetILNS1_3genE2ELNS1_11target_archE906ELNS1_3gpuE6ELNS1_3repE0EEENS1_30default_config_static_selectorELNS0_4arch9wavefront6targetE0EEEvT1_.private_seg_size, 0
	.set _ZN7rocprim17ROCPRIM_400000_NS6detail17trampoline_kernelINS0_14default_configENS1_25partition_config_selectorILNS1_17partition_subalgoE8ElNS0_10empty_typeEbEEZZNS1_14partition_implILS5_8ELb0ES3_jPlPS6_PKS6_NS0_5tupleIJS9_S6_EEENSD_IJSA_SA_EEENS0_18inequality_wrapperIZN2at6native12_GLOBAL__N_124unique_dim_cuda_templateImEESt5tupleIJNSH_6TensorESM_SM_EERKSM_lbbbEUlllE0_EEPmJS6_EEE10hipError_tPvRmT3_T4_T5_T6_T7_T9_mT8_P12ihipStream_tbDpT10_ENKUlT_T0_E_clISt17integral_constantIbLb0EES1C_EEDaS17_S18_EUlS17_E_NS1_11comp_targetILNS1_3genE2ELNS1_11target_archE906ELNS1_3gpuE6ELNS1_3repE0EEENS1_30default_config_static_selectorELNS0_4arch9wavefront6targetE0EEEvT1_.uses_vcc, 0
	.set _ZN7rocprim17ROCPRIM_400000_NS6detail17trampoline_kernelINS0_14default_configENS1_25partition_config_selectorILNS1_17partition_subalgoE8ElNS0_10empty_typeEbEEZZNS1_14partition_implILS5_8ELb0ES3_jPlPS6_PKS6_NS0_5tupleIJS9_S6_EEENSD_IJSA_SA_EEENS0_18inequality_wrapperIZN2at6native12_GLOBAL__N_124unique_dim_cuda_templateImEESt5tupleIJNSH_6TensorESM_SM_EERKSM_lbbbEUlllE0_EEPmJS6_EEE10hipError_tPvRmT3_T4_T5_T6_T7_T9_mT8_P12ihipStream_tbDpT10_ENKUlT_T0_E_clISt17integral_constantIbLb0EES1C_EEDaS17_S18_EUlS17_E_NS1_11comp_targetILNS1_3genE2ELNS1_11target_archE906ELNS1_3gpuE6ELNS1_3repE0EEENS1_30default_config_static_selectorELNS0_4arch9wavefront6targetE0EEEvT1_.uses_flat_scratch, 0
	.set _ZN7rocprim17ROCPRIM_400000_NS6detail17trampoline_kernelINS0_14default_configENS1_25partition_config_selectorILNS1_17partition_subalgoE8ElNS0_10empty_typeEbEEZZNS1_14partition_implILS5_8ELb0ES3_jPlPS6_PKS6_NS0_5tupleIJS9_S6_EEENSD_IJSA_SA_EEENS0_18inequality_wrapperIZN2at6native12_GLOBAL__N_124unique_dim_cuda_templateImEESt5tupleIJNSH_6TensorESM_SM_EERKSM_lbbbEUlllE0_EEPmJS6_EEE10hipError_tPvRmT3_T4_T5_T6_T7_T9_mT8_P12ihipStream_tbDpT10_ENKUlT_T0_E_clISt17integral_constantIbLb0EES1C_EEDaS17_S18_EUlS17_E_NS1_11comp_targetILNS1_3genE2ELNS1_11target_archE906ELNS1_3gpuE6ELNS1_3repE0EEENS1_30default_config_static_selectorELNS0_4arch9wavefront6targetE0EEEvT1_.has_dyn_sized_stack, 0
	.set _ZN7rocprim17ROCPRIM_400000_NS6detail17trampoline_kernelINS0_14default_configENS1_25partition_config_selectorILNS1_17partition_subalgoE8ElNS0_10empty_typeEbEEZZNS1_14partition_implILS5_8ELb0ES3_jPlPS6_PKS6_NS0_5tupleIJS9_S6_EEENSD_IJSA_SA_EEENS0_18inequality_wrapperIZN2at6native12_GLOBAL__N_124unique_dim_cuda_templateImEESt5tupleIJNSH_6TensorESM_SM_EERKSM_lbbbEUlllE0_EEPmJS6_EEE10hipError_tPvRmT3_T4_T5_T6_T7_T9_mT8_P12ihipStream_tbDpT10_ENKUlT_T0_E_clISt17integral_constantIbLb0EES1C_EEDaS17_S18_EUlS17_E_NS1_11comp_targetILNS1_3genE2ELNS1_11target_archE906ELNS1_3gpuE6ELNS1_3repE0EEENS1_30default_config_static_selectorELNS0_4arch9wavefront6targetE0EEEvT1_.has_recursion, 0
	.set _ZN7rocprim17ROCPRIM_400000_NS6detail17trampoline_kernelINS0_14default_configENS1_25partition_config_selectorILNS1_17partition_subalgoE8ElNS0_10empty_typeEbEEZZNS1_14partition_implILS5_8ELb0ES3_jPlPS6_PKS6_NS0_5tupleIJS9_S6_EEENSD_IJSA_SA_EEENS0_18inequality_wrapperIZN2at6native12_GLOBAL__N_124unique_dim_cuda_templateImEESt5tupleIJNSH_6TensorESM_SM_EERKSM_lbbbEUlllE0_EEPmJS6_EEE10hipError_tPvRmT3_T4_T5_T6_T7_T9_mT8_P12ihipStream_tbDpT10_ENKUlT_T0_E_clISt17integral_constantIbLb0EES1C_EEDaS17_S18_EUlS17_E_NS1_11comp_targetILNS1_3genE2ELNS1_11target_archE906ELNS1_3gpuE6ELNS1_3repE0EEENS1_30default_config_static_selectorELNS0_4arch9wavefront6targetE0EEEvT1_.has_indirect_call, 0
	.section	.AMDGPU.csdata,"",@progbits
; Kernel info:
; codeLenInByte = 0
; TotalNumSgprs: 0
; NumVgprs: 0
; ScratchSize: 0
; MemoryBound: 0
; FloatMode: 240
; IeeeMode: 1
; LDSByteSize: 0 bytes/workgroup (compile time only)
; SGPRBlocks: 0
; VGPRBlocks: 0
; NumSGPRsForWavesPerEU: 1
; NumVGPRsForWavesPerEU: 1
; NamedBarCnt: 0
; Occupancy: 16
; WaveLimiterHint : 0
; COMPUTE_PGM_RSRC2:SCRATCH_EN: 0
; COMPUTE_PGM_RSRC2:USER_SGPR: 2
; COMPUTE_PGM_RSRC2:TRAP_HANDLER: 0
; COMPUTE_PGM_RSRC2:TGID_X_EN: 1
; COMPUTE_PGM_RSRC2:TGID_Y_EN: 0
; COMPUTE_PGM_RSRC2:TGID_Z_EN: 0
; COMPUTE_PGM_RSRC2:TIDIG_COMP_CNT: 0
	.section	.text._ZN7rocprim17ROCPRIM_400000_NS6detail17trampoline_kernelINS0_14default_configENS1_25partition_config_selectorILNS1_17partition_subalgoE8ElNS0_10empty_typeEbEEZZNS1_14partition_implILS5_8ELb0ES3_jPlPS6_PKS6_NS0_5tupleIJS9_S6_EEENSD_IJSA_SA_EEENS0_18inequality_wrapperIZN2at6native12_GLOBAL__N_124unique_dim_cuda_templateImEESt5tupleIJNSH_6TensorESM_SM_EERKSM_lbbbEUlllE0_EEPmJS6_EEE10hipError_tPvRmT3_T4_T5_T6_T7_T9_mT8_P12ihipStream_tbDpT10_ENKUlT_T0_E_clISt17integral_constantIbLb0EES1C_EEDaS17_S18_EUlS17_E_NS1_11comp_targetILNS1_3genE10ELNS1_11target_archE1200ELNS1_3gpuE4ELNS1_3repE0EEENS1_30default_config_static_selectorELNS0_4arch9wavefront6targetE0EEEvT1_,"axG",@progbits,_ZN7rocprim17ROCPRIM_400000_NS6detail17trampoline_kernelINS0_14default_configENS1_25partition_config_selectorILNS1_17partition_subalgoE8ElNS0_10empty_typeEbEEZZNS1_14partition_implILS5_8ELb0ES3_jPlPS6_PKS6_NS0_5tupleIJS9_S6_EEENSD_IJSA_SA_EEENS0_18inequality_wrapperIZN2at6native12_GLOBAL__N_124unique_dim_cuda_templateImEESt5tupleIJNSH_6TensorESM_SM_EERKSM_lbbbEUlllE0_EEPmJS6_EEE10hipError_tPvRmT3_T4_T5_T6_T7_T9_mT8_P12ihipStream_tbDpT10_ENKUlT_T0_E_clISt17integral_constantIbLb0EES1C_EEDaS17_S18_EUlS17_E_NS1_11comp_targetILNS1_3genE10ELNS1_11target_archE1200ELNS1_3gpuE4ELNS1_3repE0EEENS1_30default_config_static_selectorELNS0_4arch9wavefront6targetE0EEEvT1_,comdat
	.globl	_ZN7rocprim17ROCPRIM_400000_NS6detail17trampoline_kernelINS0_14default_configENS1_25partition_config_selectorILNS1_17partition_subalgoE8ElNS0_10empty_typeEbEEZZNS1_14partition_implILS5_8ELb0ES3_jPlPS6_PKS6_NS0_5tupleIJS9_S6_EEENSD_IJSA_SA_EEENS0_18inequality_wrapperIZN2at6native12_GLOBAL__N_124unique_dim_cuda_templateImEESt5tupleIJNSH_6TensorESM_SM_EERKSM_lbbbEUlllE0_EEPmJS6_EEE10hipError_tPvRmT3_T4_T5_T6_T7_T9_mT8_P12ihipStream_tbDpT10_ENKUlT_T0_E_clISt17integral_constantIbLb0EES1C_EEDaS17_S18_EUlS17_E_NS1_11comp_targetILNS1_3genE10ELNS1_11target_archE1200ELNS1_3gpuE4ELNS1_3repE0EEENS1_30default_config_static_selectorELNS0_4arch9wavefront6targetE0EEEvT1_ ; -- Begin function _ZN7rocprim17ROCPRIM_400000_NS6detail17trampoline_kernelINS0_14default_configENS1_25partition_config_selectorILNS1_17partition_subalgoE8ElNS0_10empty_typeEbEEZZNS1_14partition_implILS5_8ELb0ES3_jPlPS6_PKS6_NS0_5tupleIJS9_S6_EEENSD_IJSA_SA_EEENS0_18inequality_wrapperIZN2at6native12_GLOBAL__N_124unique_dim_cuda_templateImEESt5tupleIJNSH_6TensorESM_SM_EERKSM_lbbbEUlllE0_EEPmJS6_EEE10hipError_tPvRmT3_T4_T5_T6_T7_T9_mT8_P12ihipStream_tbDpT10_ENKUlT_T0_E_clISt17integral_constantIbLb0EES1C_EEDaS17_S18_EUlS17_E_NS1_11comp_targetILNS1_3genE10ELNS1_11target_archE1200ELNS1_3gpuE4ELNS1_3repE0EEENS1_30default_config_static_selectorELNS0_4arch9wavefront6targetE0EEEvT1_
	.p2align	8
	.type	_ZN7rocprim17ROCPRIM_400000_NS6detail17trampoline_kernelINS0_14default_configENS1_25partition_config_selectorILNS1_17partition_subalgoE8ElNS0_10empty_typeEbEEZZNS1_14partition_implILS5_8ELb0ES3_jPlPS6_PKS6_NS0_5tupleIJS9_S6_EEENSD_IJSA_SA_EEENS0_18inequality_wrapperIZN2at6native12_GLOBAL__N_124unique_dim_cuda_templateImEESt5tupleIJNSH_6TensorESM_SM_EERKSM_lbbbEUlllE0_EEPmJS6_EEE10hipError_tPvRmT3_T4_T5_T6_T7_T9_mT8_P12ihipStream_tbDpT10_ENKUlT_T0_E_clISt17integral_constantIbLb0EES1C_EEDaS17_S18_EUlS17_E_NS1_11comp_targetILNS1_3genE10ELNS1_11target_archE1200ELNS1_3gpuE4ELNS1_3repE0EEENS1_30default_config_static_selectorELNS0_4arch9wavefront6targetE0EEEvT1_,@function
_ZN7rocprim17ROCPRIM_400000_NS6detail17trampoline_kernelINS0_14default_configENS1_25partition_config_selectorILNS1_17partition_subalgoE8ElNS0_10empty_typeEbEEZZNS1_14partition_implILS5_8ELb0ES3_jPlPS6_PKS6_NS0_5tupleIJS9_S6_EEENSD_IJSA_SA_EEENS0_18inequality_wrapperIZN2at6native12_GLOBAL__N_124unique_dim_cuda_templateImEESt5tupleIJNSH_6TensorESM_SM_EERKSM_lbbbEUlllE0_EEPmJS6_EEE10hipError_tPvRmT3_T4_T5_T6_T7_T9_mT8_P12ihipStream_tbDpT10_ENKUlT_T0_E_clISt17integral_constantIbLb0EES1C_EEDaS17_S18_EUlS17_E_NS1_11comp_targetILNS1_3genE10ELNS1_11target_archE1200ELNS1_3gpuE4ELNS1_3repE0EEENS1_30default_config_static_selectorELNS0_4arch9wavefront6targetE0EEEvT1_: ; @_ZN7rocprim17ROCPRIM_400000_NS6detail17trampoline_kernelINS0_14default_configENS1_25partition_config_selectorILNS1_17partition_subalgoE8ElNS0_10empty_typeEbEEZZNS1_14partition_implILS5_8ELb0ES3_jPlPS6_PKS6_NS0_5tupleIJS9_S6_EEENSD_IJSA_SA_EEENS0_18inequality_wrapperIZN2at6native12_GLOBAL__N_124unique_dim_cuda_templateImEESt5tupleIJNSH_6TensorESM_SM_EERKSM_lbbbEUlllE0_EEPmJS6_EEE10hipError_tPvRmT3_T4_T5_T6_T7_T9_mT8_P12ihipStream_tbDpT10_ENKUlT_T0_E_clISt17integral_constantIbLb0EES1C_EEDaS17_S18_EUlS17_E_NS1_11comp_targetILNS1_3genE10ELNS1_11target_archE1200ELNS1_3gpuE4ELNS1_3repE0EEENS1_30default_config_static_selectorELNS0_4arch9wavefront6targetE0EEEvT1_
; %bb.0:
	.section	.rodata,"a",@progbits
	.p2align	6, 0x0
	.amdhsa_kernel _ZN7rocprim17ROCPRIM_400000_NS6detail17trampoline_kernelINS0_14default_configENS1_25partition_config_selectorILNS1_17partition_subalgoE8ElNS0_10empty_typeEbEEZZNS1_14partition_implILS5_8ELb0ES3_jPlPS6_PKS6_NS0_5tupleIJS9_S6_EEENSD_IJSA_SA_EEENS0_18inequality_wrapperIZN2at6native12_GLOBAL__N_124unique_dim_cuda_templateImEESt5tupleIJNSH_6TensorESM_SM_EERKSM_lbbbEUlllE0_EEPmJS6_EEE10hipError_tPvRmT3_T4_T5_T6_T7_T9_mT8_P12ihipStream_tbDpT10_ENKUlT_T0_E_clISt17integral_constantIbLb0EES1C_EEDaS17_S18_EUlS17_E_NS1_11comp_targetILNS1_3genE10ELNS1_11target_archE1200ELNS1_3gpuE4ELNS1_3repE0EEENS1_30default_config_static_selectorELNS0_4arch9wavefront6targetE0EEEvT1_
		.amdhsa_group_segment_fixed_size 0
		.amdhsa_private_segment_fixed_size 0
		.amdhsa_kernarg_size 120
		.amdhsa_user_sgpr_count 2
		.amdhsa_user_sgpr_dispatch_ptr 0
		.amdhsa_user_sgpr_queue_ptr 0
		.amdhsa_user_sgpr_kernarg_segment_ptr 1
		.amdhsa_user_sgpr_dispatch_id 0
		.amdhsa_user_sgpr_kernarg_preload_length 0
		.amdhsa_user_sgpr_kernarg_preload_offset 0
		.amdhsa_user_sgpr_private_segment_size 0
		.amdhsa_wavefront_size32 1
		.amdhsa_uses_dynamic_stack 0
		.amdhsa_enable_private_segment 0
		.amdhsa_system_sgpr_workgroup_id_x 1
		.amdhsa_system_sgpr_workgroup_id_y 0
		.amdhsa_system_sgpr_workgroup_id_z 0
		.amdhsa_system_sgpr_workgroup_info 0
		.amdhsa_system_vgpr_workitem_id 0
		.amdhsa_next_free_vgpr 1
		.amdhsa_next_free_sgpr 1
		.amdhsa_named_barrier_count 0
		.amdhsa_reserve_vcc 0
		.amdhsa_float_round_mode_32 0
		.amdhsa_float_round_mode_16_64 0
		.amdhsa_float_denorm_mode_32 3
		.amdhsa_float_denorm_mode_16_64 3
		.amdhsa_fp16_overflow 0
		.amdhsa_memory_ordered 1
		.amdhsa_forward_progress 1
		.amdhsa_inst_pref_size 0
		.amdhsa_round_robin_scheduling 0
		.amdhsa_exception_fp_ieee_invalid_op 0
		.amdhsa_exception_fp_denorm_src 0
		.amdhsa_exception_fp_ieee_div_zero 0
		.amdhsa_exception_fp_ieee_overflow 0
		.amdhsa_exception_fp_ieee_underflow 0
		.amdhsa_exception_fp_ieee_inexact 0
		.amdhsa_exception_int_div_zero 0
	.end_amdhsa_kernel
	.section	.text._ZN7rocprim17ROCPRIM_400000_NS6detail17trampoline_kernelINS0_14default_configENS1_25partition_config_selectorILNS1_17partition_subalgoE8ElNS0_10empty_typeEbEEZZNS1_14partition_implILS5_8ELb0ES3_jPlPS6_PKS6_NS0_5tupleIJS9_S6_EEENSD_IJSA_SA_EEENS0_18inequality_wrapperIZN2at6native12_GLOBAL__N_124unique_dim_cuda_templateImEESt5tupleIJNSH_6TensorESM_SM_EERKSM_lbbbEUlllE0_EEPmJS6_EEE10hipError_tPvRmT3_T4_T5_T6_T7_T9_mT8_P12ihipStream_tbDpT10_ENKUlT_T0_E_clISt17integral_constantIbLb0EES1C_EEDaS17_S18_EUlS17_E_NS1_11comp_targetILNS1_3genE10ELNS1_11target_archE1200ELNS1_3gpuE4ELNS1_3repE0EEENS1_30default_config_static_selectorELNS0_4arch9wavefront6targetE0EEEvT1_,"axG",@progbits,_ZN7rocprim17ROCPRIM_400000_NS6detail17trampoline_kernelINS0_14default_configENS1_25partition_config_selectorILNS1_17partition_subalgoE8ElNS0_10empty_typeEbEEZZNS1_14partition_implILS5_8ELb0ES3_jPlPS6_PKS6_NS0_5tupleIJS9_S6_EEENSD_IJSA_SA_EEENS0_18inequality_wrapperIZN2at6native12_GLOBAL__N_124unique_dim_cuda_templateImEESt5tupleIJNSH_6TensorESM_SM_EERKSM_lbbbEUlllE0_EEPmJS6_EEE10hipError_tPvRmT3_T4_T5_T6_T7_T9_mT8_P12ihipStream_tbDpT10_ENKUlT_T0_E_clISt17integral_constantIbLb0EES1C_EEDaS17_S18_EUlS17_E_NS1_11comp_targetILNS1_3genE10ELNS1_11target_archE1200ELNS1_3gpuE4ELNS1_3repE0EEENS1_30default_config_static_selectorELNS0_4arch9wavefront6targetE0EEEvT1_,comdat
.Lfunc_end1668:
	.size	_ZN7rocprim17ROCPRIM_400000_NS6detail17trampoline_kernelINS0_14default_configENS1_25partition_config_selectorILNS1_17partition_subalgoE8ElNS0_10empty_typeEbEEZZNS1_14partition_implILS5_8ELb0ES3_jPlPS6_PKS6_NS0_5tupleIJS9_S6_EEENSD_IJSA_SA_EEENS0_18inequality_wrapperIZN2at6native12_GLOBAL__N_124unique_dim_cuda_templateImEESt5tupleIJNSH_6TensorESM_SM_EERKSM_lbbbEUlllE0_EEPmJS6_EEE10hipError_tPvRmT3_T4_T5_T6_T7_T9_mT8_P12ihipStream_tbDpT10_ENKUlT_T0_E_clISt17integral_constantIbLb0EES1C_EEDaS17_S18_EUlS17_E_NS1_11comp_targetILNS1_3genE10ELNS1_11target_archE1200ELNS1_3gpuE4ELNS1_3repE0EEENS1_30default_config_static_selectorELNS0_4arch9wavefront6targetE0EEEvT1_, .Lfunc_end1668-_ZN7rocprim17ROCPRIM_400000_NS6detail17trampoline_kernelINS0_14default_configENS1_25partition_config_selectorILNS1_17partition_subalgoE8ElNS0_10empty_typeEbEEZZNS1_14partition_implILS5_8ELb0ES3_jPlPS6_PKS6_NS0_5tupleIJS9_S6_EEENSD_IJSA_SA_EEENS0_18inequality_wrapperIZN2at6native12_GLOBAL__N_124unique_dim_cuda_templateImEESt5tupleIJNSH_6TensorESM_SM_EERKSM_lbbbEUlllE0_EEPmJS6_EEE10hipError_tPvRmT3_T4_T5_T6_T7_T9_mT8_P12ihipStream_tbDpT10_ENKUlT_T0_E_clISt17integral_constantIbLb0EES1C_EEDaS17_S18_EUlS17_E_NS1_11comp_targetILNS1_3genE10ELNS1_11target_archE1200ELNS1_3gpuE4ELNS1_3repE0EEENS1_30default_config_static_selectorELNS0_4arch9wavefront6targetE0EEEvT1_
                                        ; -- End function
	.set _ZN7rocprim17ROCPRIM_400000_NS6detail17trampoline_kernelINS0_14default_configENS1_25partition_config_selectorILNS1_17partition_subalgoE8ElNS0_10empty_typeEbEEZZNS1_14partition_implILS5_8ELb0ES3_jPlPS6_PKS6_NS0_5tupleIJS9_S6_EEENSD_IJSA_SA_EEENS0_18inequality_wrapperIZN2at6native12_GLOBAL__N_124unique_dim_cuda_templateImEESt5tupleIJNSH_6TensorESM_SM_EERKSM_lbbbEUlllE0_EEPmJS6_EEE10hipError_tPvRmT3_T4_T5_T6_T7_T9_mT8_P12ihipStream_tbDpT10_ENKUlT_T0_E_clISt17integral_constantIbLb0EES1C_EEDaS17_S18_EUlS17_E_NS1_11comp_targetILNS1_3genE10ELNS1_11target_archE1200ELNS1_3gpuE4ELNS1_3repE0EEENS1_30default_config_static_selectorELNS0_4arch9wavefront6targetE0EEEvT1_.num_vgpr, 0
	.set _ZN7rocprim17ROCPRIM_400000_NS6detail17trampoline_kernelINS0_14default_configENS1_25partition_config_selectorILNS1_17partition_subalgoE8ElNS0_10empty_typeEbEEZZNS1_14partition_implILS5_8ELb0ES3_jPlPS6_PKS6_NS0_5tupleIJS9_S6_EEENSD_IJSA_SA_EEENS0_18inequality_wrapperIZN2at6native12_GLOBAL__N_124unique_dim_cuda_templateImEESt5tupleIJNSH_6TensorESM_SM_EERKSM_lbbbEUlllE0_EEPmJS6_EEE10hipError_tPvRmT3_T4_T5_T6_T7_T9_mT8_P12ihipStream_tbDpT10_ENKUlT_T0_E_clISt17integral_constantIbLb0EES1C_EEDaS17_S18_EUlS17_E_NS1_11comp_targetILNS1_3genE10ELNS1_11target_archE1200ELNS1_3gpuE4ELNS1_3repE0EEENS1_30default_config_static_selectorELNS0_4arch9wavefront6targetE0EEEvT1_.num_agpr, 0
	.set _ZN7rocprim17ROCPRIM_400000_NS6detail17trampoline_kernelINS0_14default_configENS1_25partition_config_selectorILNS1_17partition_subalgoE8ElNS0_10empty_typeEbEEZZNS1_14partition_implILS5_8ELb0ES3_jPlPS6_PKS6_NS0_5tupleIJS9_S6_EEENSD_IJSA_SA_EEENS0_18inequality_wrapperIZN2at6native12_GLOBAL__N_124unique_dim_cuda_templateImEESt5tupleIJNSH_6TensorESM_SM_EERKSM_lbbbEUlllE0_EEPmJS6_EEE10hipError_tPvRmT3_T4_T5_T6_T7_T9_mT8_P12ihipStream_tbDpT10_ENKUlT_T0_E_clISt17integral_constantIbLb0EES1C_EEDaS17_S18_EUlS17_E_NS1_11comp_targetILNS1_3genE10ELNS1_11target_archE1200ELNS1_3gpuE4ELNS1_3repE0EEENS1_30default_config_static_selectorELNS0_4arch9wavefront6targetE0EEEvT1_.numbered_sgpr, 0
	.set _ZN7rocprim17ROCPRIM_400000_NS6detail17trampoline_kernelINS0_14default_configENS1_25partition_config_selectorILNS1_17partition_subalgoE8ElNS0_10empty_typeEbEEZZNS1_14partition_implILS5_8ELb0ES3_jPlPS6_PKS6_NS0_5tupleIJS9_S6_EEENSD_IJSA_SA_EEENS0_18inequality_wrapperIZN2at6native12_GLOBAL__N_124unique_dim_cuda_templateImEESt5tupleIJNSH_6TensorESM_SM_EERKSM_lbbbEUlllE0_EEPmJS6_EEE10hipError_tPvRmT3_T4_T5_T6_T7_T9_mT8_P12ihipStream_tbDpT10_ENKUlT_T0_E_clISt17integral_constantIbLb0EES1C_EEDaS17_S18_EUlS17_E_NS1_11comp_targetILNS1_3genE10ELNS1_11target_archE1200ELNS1_3gpuE4ELNS1_3repE0EEENS1_30default_config_static_selectorELNS0_4arch9wavefront6targetE0EEEvT1_.num_named_barrier, 0
	.set _ZN7rocprim17ROCPRIM_400000_NS6detail17trampoline_kernelINS0_14default_configENS1_25partition_config_selectorILNS1_17partition_subalgoE8ElNS0_10empty_typeEbEEZZNS1_14partition_implILS5_8ELb0ES3_jPlPS6_PKS6_NS0_5tupleIJS9_S6_EEENSD_IJSA_SA_EEENS0_18inequality_wrapperIZN2at6native12_GLOBAL__N_124unique_dim_cuda_templateImEESt5tupleIJNSH_6TensorESM_SM_EERKSM_lbbbEUlllE0_EEPmJS6_EEE10hipError_tPvRmT3_T4_T5_T6_T7_T9_mT8_P12ihipStream_tbDpT10_ENKUlT_T0_E_clISt17integral_constantIbLb0EES1C_EEDaS17_S18_EUlS17_E_NS1_11comp_targetILNS1_3genE10ELNS1_11target_archE1200ELNS1_3gpuE4ELNS1_3repE0EEENS1_30default_config_static_selectorELNS0_4arch9wavefront6targetE0EEEvT1_.private_seg_size, 0
	.set _ZN7rocprim17ROCPRIM_400000_NS6detail17trampoline_kernelINS0_14default_configENS1_25partition_config_selectorILNS1_17partition_subalgoE8ElNS0_10empty_typeEbEEZZNS1_14partition_implILS5_8ELb0ES3_jPlPS6_PKS6_NS0_5tupleIJS9_S6_EEENSD_IJSA_SA_EEENS0_18inequality_wrapperIZN2at6native12_GLOBAL__N_124unique_dim_cuda_templateImEESt5tupleIJNSH_6TensorESM_SM_EERKSM_lbbbEUlllE0_EEPmJS6_EEE10hipError_tPvRmT3_T4_T5_T6_T7_T9_mT8_P12ihipStream_tbDpT10_ENKUlT_T0_E_clISt17integral_constantIbLb0EES1C_EEDaS17_S18_EUlS17_E_NS1_11comp_targetILNS1_3genE10ELNS1_11target_archE1200ELNS1_3gpuE4ELNS1_3repE0EEENS1_30default_config_static_selectorELNS0_4arch9wavefront6targetE0EEEvT1_.uses_vcc, 0
	.set _ZN7rocprim17ROCPRIM_400000_NS6detail17trampoline_kernelINS0_14default_configENS1_25partition_config_selectorILNS1_17partition_subalgoE8ElNS0_10empty_typeEbEEZZNS1_14partition_implILS5_8ELb0ES3_jPlPS6_PKS6_NS0_5tupleIJS9_S6_EEENSD_IJSA_SA_EEENS0_18inequality_wrapperIZN2at6native12_GLOBAL__N_124unique_dim_cuda_templateImEESt5tupleIJNSH_6TensorESM_SM_EERKSM_lbbbEUlllE0_EEPmJS6_EEE10hipError_tPvRmT3_T4_T5_T6_T7_T9_mT8_P12ihipStream_tbDpT10_ENKUlT_T0_E_clISt17integral_constantIbLb0EES1C_EEDaS17_S18_EUlS17_E_NS1_11comp_targetILNS1_3genE10ELNS1_11target_archE1200ELNS1_3gpuE4ELNS1_3repE0EEENS1_30default_config_static_selectorELNS0_4arch9wavefront6targetE0EEEvT1_.uses_flat_scratch, 0
	.set _ZN7rocprim17ROCPRIM_400000_NS6detail17trampoline_kernelINS0_14default_configENS1_25partition_config_selectorILNS1_17partition_subalgoE8ElNS0_10empty_typeEbEEZZNS1_14partition_implILS5_8ELb0ES3_jPlPS6_PKS6_NS0_5tupleIJS9_S6_EEENSD_IJSA_SA_EEENS0_18inequality_wrapperIZN2at6native12_GLOBAL__N_124unique_dim_cuda_templateImEESt5tupleIJNSH_6TensorESM_SM_EERKSM_lbbbEUlllE0_EEPmJS6_EEE10hipError_tPvRmT3_T4_T5_T6_T7_T9_mT8_P12ihipStream_tbDpT10_ENKUlT_T0_E_clISt17integral_constantIbLb0EES1C_EEDaS17_S18_EUlS17_E_NS1_11comp_targetILNS1_3genE10ELNS1_11target_archE1200ELNS1_3gpuE4ELNS1_3repE0EEENS1_30default_config_static_selectorELNS0_4arch9wavefront6targetE0EEEvT1_.has_dyn_sized_stack, 0
	.set _ZN7rocprim17ROCPRIM_400000_NS6detail17trampoline_kernelINS0_14default_configENS1_25partition_config_selectorILNS1_17partition_subalgoE8ElNS0_10empty_typeEbEEZZNS1_14partition_implILS5_8ELb0ES3_jPlPS6_PKS6_NS0_5tupleIJS9_S6_EEENSD_IJSA_SA_EEENS0_18inequality_wrapperIZN2at6native12_GLOBAL__N_124unique_dim_cuda_templateImEESt5tupleIJNSH_6TensorESM_SM_EERKSM_lbbbEUlllE0_EEPmJS6_EEE10hipError_tPvRmT3_T4_T5_T6_T7_T9_mT8_P12ihipStream_tbDpT10_ENKUlT_T0_E_clISt17integral_constantIbLb0EES1C_EEDaS17_S18_EUlS17_E_NS1_11comp_targetILNS1_3genE10ELNS1_11target_archE1200ELNS1_3gpuE4ELNS1_3repE0EEENS1_30default_config_static_selectorELNS0_4arch9wavefront6targetE0EEEvT1_.has_recursion, 0
	.set _ZN7rocprim17ROCPRIM_400000_NS6detail17trampoline_kernelINS0_14default_configENS1_25partition_config_selectorILNS1_17partition_subalgoE8ElNS0_10empty_typeEbEEZZNS1_14partition_implILS5_8ELb0ES3_jPlPS6_PKS6_NS0_5tupleIJS9_S6_EEENSD_IJSA_SA_EEENS0_18inequality_wrapperIZN2at6native12_GLOBAL__N_124unique_dim_cuda_templateImEESt5tupleIJNSH_6TensorESM_SM_EERKSM_lbbbEUlllE0_EEPmJS6_EEE10hipError_tPvRmT3_T4_T5_T6_T7_T9_mT8_P12ihipStream_tbDpT10_ENKUlT_T0_E_clISt17integral_constantIbLb0EES1C_EEDaS17_S18_EUlS17_E_NS1_11comp_targetILNS1_3genE10ELNS1_11target_archE1200ELNS1_3gpuE4ELNS1_3repE0EEENS1_30default_config_static_selectorELNS0_4arch9wavefront6targetE0EEEvT1_.has_indirect_call, 0
	.section	.AMDGPU.csdata,"",@progbits
; Kernel info:
; codeLenInByte = 0
; TotalNumSgprs: 0
; NumVgprs: 0
; ScratchSize: 0
; MemoryBound: 0
; FloatMode: 240
; IeeeMode: 1
; LDSByteSize: 0 bytes/workgroup (compile time only)
; SGPRBlocks: 0
; VGPRBlocks: 0
; NumSGPRsForWavesPerEU: 1
; NumVGPRsForWavesPerEU: 1
; NamedBarCnt: 0
; Occupancy: 16
; WaveLimiterHint : 0
; COMPUTE_PGM_RSRC2:SCRATCH_EN: 0
; COMPUTE_PGM_RSRC2:USER_SGPR: 2
; COMPUTE_PGM_RSRC2:TRAP_HANDLER: 0
; COMPUTE_PGM_RSRC2:TGID_X_EN: 1
; COMPUTE_PGM_RSRC2:TGID_Y_EN: 0
; COMPUTE_PGM_RSRC2:TGID_Z_EN: 0
; COMPUTE_PGM_RSRC2:TIDIG_COMP_CNT: 0
	.section	.text._ZN7rocprim17ROCPRIM_400000_NS6detail17trampoline_kernelINS0_14default_configENS1_25partition_config_selectorILNS1_17partition_subalgoE8ElNS0_10empty_typeEbEEZZNS1_14partition_implILS5_8ELb0ES3_jPlPS6_PKS6_NS0_5tupleIJS9_S6_EEENSD_IJSA_SA_EEENS0_18inequality_wrapperIZN2at6native12_GLOBAL__N_124unique_dim_cuda_templateImEESt5tupleIJNSH_6TensorESM_SM_EERKSM_lbbbEUlllE0_EEPmJS6_EEE10hipError_tPvRmT3_T4_T5_T6_T7_T9_mT8_P12ihipStream_tbDpT10_ENKUlT_T0_E_clISt17integral_constantIbLb0EES1C_EEDaS17_S18_EUlS17_E_NS1_11comp_targetILNS1_3genE9ELNS1_11target_archE1100ELNS1_3gpuE3ELNS1_3repE0EEENS1_30default_config_static_selectorELNS0_4arch9wavefront6targetE0EEEvT1_,"axG",@progbits,_ZN7rocprim17ROCPRIM_400000_NS6detail17trampoline_kernelINS0_14default_configENS1_25partition_config_selectorILNS1_17partition_subalgoE8ElNS0_10empty_typeEbEEZZNS1_14partition_implILS5_8ELb0ES3_jPlPS6_PKS6_NS0_5tupleIJS9_S6_EEENSD_IJSA_SA_EEENS0_18inequality_wrapperIZN2at6native12_GLOBAL__N_124unique_dim_cuda_templateImEESt5tupleIJNSH_6TensorESM_SM_EERKSM_lbbbEUlllE0_EEPmJS6_EEE10hipError_tPvRmT3_T4_T5_T6_T7_T9_mT8_P12ihipStream_tbDpT10_ENKUlT_T0_E_clISt17integral_constantIbLb0EES1C_EEDaS17_S18_EUlS17_E_NS1_11comp_targetILNS1_3genE9ELNS1_11target_archE1100ELNS1_3gpuE3ELNS1_3repE0EEENS1_30default_config_static_selectorELNS0_4arch9wavefront6targetE0EEEvT1_,comdat
	.globl	_ZN7rocprim17ROCPRIM_400000_NS6detail17trampoline_kernelINS0_14default_configENS1_25partition_config_selectorILNS1_17partition_subalgoE8ElNS0_10empty_typeEbEEZZNS1_14partition_implILS5_8ELb0ES3_jPlPS6_PKS6_NS0_5tupleIJS9_S6_EEENSD_IJSA_SA_EEENS0_18inequality_wrapperIZN2at6native12_GLOBAL__N_124unique_dim_cuda_templateImEESt5tupleIJNSH_6TensorESM_SM_EERKSM_lbbbEUlllE0_EEPmJS6_EEE10hipError_tPvRmT3_T4_T5_T6_T7_T9_mT8_P12ihipStream_tbDpT10_ENKUlT_T0_E_clISt17integral_constantIbLb0EES1C_EEDaS17_S18_EUlS17_E_NS1_11comp_targetILNS1_3genE9ELNS1_11target_archE1100ELNS1_3gpuE3ELNS1_3repE0EEENS1_30default_config_static_selectorELNS0_4arch9wavefront6targetE0EEEvT1_ ; -- Begin function _ZN7rocprim17ROCPRIM_400000_NS6detail17trampoline_kernelINS0_14default_configENS1_25partition_config_selectorILNS1_17partition_subalgoE8ElNS0_10empty_typeEbEEZZNS1_14partition_implILS5_8ELb0ES3_jPlPS6_PKS6_NS0_5tupleIJS9_S6_EEENSD_IJSA_SA_EEENS0_18inequality_wrapperIZN2at6native12_GLOBAL__N_124unique_dim_cuda_templateImEESt5tupleIJNSH_6TensorESM_SM_EERKSM_lbbbEUlllE0_EEPmJS6_EEE10hipError_tPvRmT3_T4_T5_T6_T7_T9_mT8_P12ihipStream_tbDpT10_ENKUlT_T0_E_clISt17integral_constantIbLb0EES1C_EEDaS17_S18_EUlS17_E_NS1_11comp_targetILNS1_3genE9ELNS1_11target_archE1100ELNS1_3gpuE3ELNS1_3repE0EEENS1_30default_config_static_selectorELNS0_4arch9wavefront6targetE0EEEvT1_
	.p2align	8
	.type	_ZN7rocprim17ROCPRIM_400000_NS6detail17trampoline_kernelINS0_14default_configENS1_25partition_config_selectorILNS1_17partition_subalgoE8ElNS0_10empty_typeEbEEZZNS1_14partition_implILS5_8ELb0ES3_jPlPS6_PKS6_NS0_5tupleIJS9_S6_EEENSD_IJSA_SA_EEENS0_18inequality_wrapperIZN2at6native12_GLOBAL__N_124unique_dim_cuda_templateImEESt5tupleIJNSH_6TensorESM_SM_EERKSM_lbbbEUlllE0_EEPmJS6_EEE10hipError_tPvRmT3_T4_T5_T6_T7_T9_mT8_P12ihipStream_tbDpT10_ENKUlT_T0_E_clISt17integral_constantIbLb0EES1C_EEDaS17_S18_EUlS17_E_NS1_11comp_targetILNS1_3genE9ELNS1_11target_archE1100ELNS1_3gpuE3ELNS1_3repE0EEENS1_30default_config_static_selectorELNS0_4arch9wavefront6targetE0EEEvT1_,@function
_ZN7rocprim17ROCPRIM_400000_NS6detail17trampoline_kernelINS0_14default_configENS1_25partition_config_selectorILNS1_17partition_subalgoE8ElNS0_10empty_typeEbEEZZNS1_14partition_implILS5_8ELb0ES3_jPlPS6_PKS6_NS0_5tupleIJS9_S6_EEENSD_IJSA_SA_EEENS0_18inequality_wrapperIZN2at6native12_GLOBAL__N_124unique_dim_cuda_templateImEESt5tupleIJNSH_6TensorESM_SM_EERKSM_lbbbEUlllE0_EEPmJS6_EEE10hipError_tPvRmT3_T4_T5_T6_T7_T9_mT8_P12ihipStream_tbDpT10_ENKUlT_T0_E_clISt17integral_constantIbLb0EES1C_EEDaS17_S18_EUlS17_E_NS1_11comp_targetILNS1_3genE9ELNS1_11target_archE1100ELNS1_3gpuE3ELNS1_3repE0EEENS1_30default_config_static_selectorELNS0_4arch9wavefront6targetE0EEEvT1_: ; @_ZN7rocprim17ROCPRIM_400000_NS6detail17trampoline_kernelINS0_14default_configENS1_25partition_config_selectorILNS1_17partition_subalgoE8ElNS0_10empty_typeEbEEZZNS1_14partition_implILS5_8ELb0ES3_jPlPS6_PKS6_NS0_5tupleIJS9_S6_EEENSD_IJSA_SA_EEENS0_18inequality_wrapperIZN2at6native12_GLOBAL__N_124unique_dim_cuda_templateImEESt5tupleIJNSH_6TensorESM_SM_EERKSM_lbbbEUlllE0_EEPmJS6_EEE10hipError_tPvRmT3_T4_T5_T6_T7_T9_mT8_P12ihipStream_tbDpT10_ENKUlT_T0_E_clISt17integral_constantIbLb0EES1C_EEDaS17_S18_EUlS17_E_NS1_11comp_targetILNS1_3genE9ELNS1_11target_archE1100ELNS1_3gpuE3ELNS1_3repE0EEENS1_30default_config_static_selectorELNS0_4arch9wavefront6targetE0EEEvT1_
; %bb.0:
	.section	.rodata,"a",@progbits
	.p2align	6, 0x0
	.amdhsa_kernel _ZN7rocprim17ROCPRIM_400000_NS6detail17trampoline_kernelINS0_14default_configENS1_25partition_config_selectorILNS1_17partition_subalgoE8ElNS0_10empty_typeEbEEZZNS1_14partition_implILS5_8ELb0ES3_jPlPS6_PKS6_NS0_5tupleIJS9_S6_EEENSD_IJSA_SA_EEENS0_18inequality_wrapperIZN2at6native12_GLOBAL__N_124unique_dim_cuda_templateImEESt5tupleIJNSH_6TensorESM_SM_EERKSM_lbbbEUlllE0_EEPmJS6_EEE10hipError_tPvRmT3_T4_T5_T6_T7_T9_mT8_P12ihipStream_tbDpT10_ENKUlT_T0_E_clISt17integral_constantIbLb0EES1C_EEDaS17_S18_EUlS17_E_NS1_11comp_targetILNS1_3genE9ELNS1_11target_archE1100ELNS1_3gpuE3ELNS1_3repE0EEENS1_30default_config_static_selectorELNS0_4arch9wavefront6targetE0EEEvT1_
		.amdhsa_group_segment_fixed_size 0
		.amdhsa_private_segment_fixed_size 0
		.amdhsa_kernarg_size 120
		.amdhsa_user_sgpr_count 2
		.amdhsa_user_sgpr_dispatch_ptr 0
		.amdhsa_user_sgpr_queue_ptr 0
		.amdhsa_user_sgpr_kernarg_segment_ptr 1
		.amdhsa_user_sgpr_dispatch_id 0
		.amdhsa_user_sgpr_kernarg_preload_length 0
		.amdhsa_user_sgpr_kernarg_preload_offset 0
		.amdhsa_user_sgpr_private_segment_size 0
		.amdhsa_wavefront_size32 1
		.amdhsa_uses_dynamic_stack 0
		.amdhsa_enable_private_segment 0
		.amdhsa_system_sgpr_workgroup_id_x 1
		.amdhsa_system_sgpr_workgroup_id_y 0
		.amdhsa_system_sgpr_workgroup_id_z 0
		.amdhsa_system_sgpr_workgroup_info 0
		.amdhsa_system_vgpr_workitem_id 0
		.amdhsa_next_free_vgpr 1
		.amdhsa_next_free_sgpr 1
		.amdhsa_named_barrier_count 0
		.amdhsa_reserve_vcc 0
		.amdhsa_float_round_mode_32 0
		.amdhsa_float_round_mode_16_64 0
		.amdhsa_float_denorm_mode_32 3
		.amdhsa_float_denorm_mode_16_64 3
		.amdhsa_fp16_overflow 0
		.amdhsa_memory_ordered 1
		.amdhsa_forward_progress 1
		.amdhsa_inst_pref_size 0
		.amdhsa_round_robin_scheduling 0
		.amdhsa_exception_fp_ieee_invalid_op 0
		.amdhsa_exception_fp_denorm_src 0
		.amdhsa_exception_fp_ieee_div_zero 0
		.amdhsa_exception_fp_ieee_overflow 0
		.amdhsa_exception_fp_ieee_underflow 0
		.amdhsa_exception_fp_ieee_inexact 0
		.amdhsa_exception_int_div_zero 0
	.end_amdhsa_kernel
	.section	.text._ZN7rocprim17ROCPRIM_400000_NS6detail17trampoline_kernelINS0_14default_configENS1_25partition_config_selectorILNS1_17partition_subalgoE8ElNS0_10empty_typeEbEEZZNS1_14partition_implILS5_8ELb0ES3_jPlPS6_PKS6_NS0_5tupleIJS9_S6_EEENSD_IJSA_SA_EEENS0_18inequality_wrapperIZN2at6native12_GLOBAL__N_124unique_dim_cuda_templateImEESt5tupleIJNSH_6TensorESM_SM_EERKSM_lbbbEUlllE0_EEPmJS6_EEE10hipError_tPvRmT3_T4_T5_T6_T7_T9_mT8_P12ihipStream_tbDpT10_ENKUlT_T0_E_clISt17integral_constantIbLb0EES1C_EEDaS17_S18_EUlS17_E_NS1_11comp_targetILNS1_3genE9ELNS1_11target_archE1100ELNS1_3gpuE3ELNS1_3repE0EEENS1_30default_config_static_selectorELNS0_4arch9wavefront6targetE0EEEvT1_,"axG",@progbits,_ZN7rocprim17ROCPRIM_400000_NS6detail17trampoline_kernelINS0_14default_configENS1_25partition_config_selectorILNS1_17partition_subalgoE8ElNS0_10empty_typeEbEEZZNS1_14partition_implILS5_8ELb0ES3_jPlPS6_PKS6_NS0_5tupleIJS9_S6_EEENSD_IJSA_SA_EEENS0_18inequality_wrapperIZN2at6native12_GLOBAL__N_124unique_dim_cuda_templateImEESt5tupleIJNSH_6TensorESM_SM_EERKSM_lbbbEUlllE0_EEPmJS6_EEE10hipError_tPvRmT3_T4_T5_T6_T7_T9_mT8_P12ihipStream_tbDpT10_ENKUlT_T0_E_clISt17integral_constantIbLb0EES1C_EEDaS17_S18_EUlS17_E_NS1_11comp_targetILNS1_3genE9ELNS1_11target_archE1100ELNS1_3gpuE3ELNS1_3repE0EEENS1_30default_config_static_selectorELNS0_4arch9wavefront6targetE0EEEvT1_,comdat
.Lfunc_end1669:
	.size	_ZN7rocprim17ROCPRIM_400000_NS6detail17trampoline_kernelINS0_14default_configENS1_25partition_config_selectorILNS1_17partition_subalgoE8ElNS0_10empty_typeEbEEZZNS1_14partition_implILS5_8ELb0ES3_jPlPS6_PKS6_NS0_5tupleIJS9_S6_EEENSD_IJSA_SA_EEENS0_18inequality_wrapperIZN2at6native12_GLOBAL__N_124unique_dim_cuda_templateImEESt5tupleIJNSH_6TensorESM_SM_EERKSM_lbbbEUlllE0_EEPmJS6_EEE10hipError_tPvRmT3_T4_T5_T6_T7_T9_mT8_P12ihipStream_tbDpT10_ENKUlT_T0_E_clISt17integral_constantIbLb0EES1C_EEDaS17_S18_EUlS17_E_NS1_11comp_targetILNS1_3genE9ELNS1_11target_archE1100ELNS1_3gpuE3ELNS1_3repE0EEENS1_30default_config_static_selectorELNS0_4arch9wavefront6targetE0EEEvT1_, .Lfunc_end1669-_ZN7rocprim17ROCPRIM_400000_NS6detail17trampoline_kernelINS0_14default_configENS1_25partition_config_selectorILNS1_17partition_subalgoE8ElNS0_10empty_typeEbEEZZNS1_14partition_implILS5_8ELb0ES3_jPlPS6_PKS6_NS0_5tupleIJS9_S6_EEENSD_IJSA_SA_EEENS0_18inequality_wrapperIZN2at6native12_GLOBAL__N_124unique_dim_cuda_templateImEESt5tupleIJNSH_6TensorESM_SM_EERKSM_lbbbEUlllE0_EEPmJS6_EEE10hipError_tPvRmT3_T4_T5_T6_T7_T9_mT8_P12ihipStream_tbDpT10_ENKUlT_T0_E_clISt17integral_constantIbLb0EES1C_EEDaS17_S18_EUlS17_E_NS1_11comp_targetILNS1_3genE9ELNS1_11target_archE1100ELNS1_3gpuE3ELNS1_3repE0EEENS1_30default_config_static_selectorELNS0_4arch9wavefront6targetE0EEEvT1_
                                        ; -- End function
	.set _ZN7rocprim17ROCPRIM_400000_NS6detail17trampoline_kernelINS0_14default_configENS1_25partition_config_selectorILNS1_17partition_subalgoE8ElNS0_10empty_typeEbEEZZNS1_14partition_implILS5_8ELb0ES3_jPlPS6_PKS6_NS0_5tupleIJS9_S6_EEENSD_IJSA_SA_EEENS0_18inequality_wrapperIZN2at6native12_GLOBAL__N_124unique_dim_cuda_templateImEESt5tupleIJNSH_6TensorESM_SM_EERKSM_lbbbEUlllE0_EEPmJS6_EEE10hipError_tPvRmT3_T4_T5_T6_T7_T9_mT8_P12ihipStream_tbDpT10_ENKUlT_T0_E_clISt17integral_constantIbLb0EES1C_EEDaS17_S18_EUlS17_E_NS1_11comp_targetILNS1_3genE9ELNS1_11target_archE1100ELNS1_3gpuE3ELNS1_3repE0EEENS1_30default_config_static_selectorELNS0_4arch9wavefront6targetE0EEEvT1_.num_vgpr, 0
	.set _ZN7rocprim17ROCPRIM_400000_NS6detail17trampoline_kernelINS0_14default_configENS1_25partition_config_selectorILNS1_17partition_subalgoE8ElNS0_10empty_typeEbEEZZNS1_14partition_implILS5_8ELb0ES3_jPlPS6_PKS6_NS0_5tupleIJS9_S6_EEENSD_IJSA_SA_EEENS0_18inequality_wrapperIZN2at6native12_GLOBAL__N_124unique_dim_cuda_templateImEESt5tupleIJNSH_6TensorESM_SM_EERKSM_lbbbEUlllE0_EEPmJS6_EEE10hipError_tPvRmT3_T4_T5_T6_T7_T9_mT8_P12ihipStream_tbDpT10_ENKUlT_T0_E_clISt17integral_constantIbLb0EES1C_EEDaS17_S18_EUlS17_E_NS1_11comp_targetILNS1_3genE9ELNS1_11target_archE1100ELNS1_3gpuE3ELNS1_3repE0EEENS1_30default_config_static_selectorELNS0_4arch9wavefront6targetE0EEEvT1_.num_agpr, 0
	.set _ZN7rocprim17ROCPRIM_400000_NS6detail17trampoline_kernelINS0_14default_configENS1_25partition_config_selectorILNS1_17partition_subalgoE8ElNS0_10empty_typeEbEEZZNS1_14partition_implILS5_8ELb0ES3_jPlPS6_PKS6_NS0_5tupleIJS9_S6_EEENSD_IJSA_SA_EEENS0_18inequality_wrapperIZN2at6native12_GLOBAL__N_124unique_dim_cuda_templateImEESt5tupleIJNSH_6TensorESM_SM_EERKSM_lbbbEUlllE0_EEPmJS6_EEE10hipError_tPvRmT3_T4_T5_T6_T7_T9_mT8_P12ihipStream_tbDpT10_ENKUlT_T0_E_clISt17integral_constantIbLb0EES1C_EEDaS17_S18_EUlS17_E_NS1_11comp_targetILNS1_3genE9ELNS1_11target_archE1100ELNS1_3gpuE3ELNS1_3repE0EEENS1_30default_config_static_selectorELNS0_4arch9wavefront6targetE0EEEvT1_.numbered_sgpr, 0
	.set _ZN7rocprim17ROCPRIM_400000_NS6detail17trampoline_kernelINS0_14default_configENS1_25partition_config_selectorILNS1_17partition_subalgoE8ElNS0_10empty_typeEbEEZZNS1_14partition_implILS5_8ELb0ES3_jPlPS6_PKS6_NS0_5tupleIJS9_S6_EEENSD_IJSA_SA_EEENS0_18inequality_wrapperIZN2at6native12_GLOBAL__N_124unique_dim_cuda_templateImEESt5tupleIJNSH_6TensorESM_SM_EERKSM_lbbbEUlllE0_EEPmJS6_EEE10hipError_tPvRmT3_T4_T5_T6_T7_T9_mT8_P12ihipStream_tbDpT10_ENKUlT_T0_E_clISt17integral_constantIbLb0EES1C_EEDaS17_S18_EUlS17_E_NS1_11comp_targetILNS1_3genE9ELNS1_11target_archE1100ELNS1_3gpuE3ELNS1_3repE0EEENS1_30default_config_static_selectorELNS0_4arch9wavefront6targetE0EEEvT1_.num_named_barrier, 0
	.set _ZN7rocprim17ROCPRIM_400000_NS6detail17trampoline_kernelINS0_14default_configENS1_25partition_config_selectorILNS1_17partition_subalgoE8ElNS0_10empty_typeEbEEZZNS1_14partition_implILS5_8ELb0ES3_jPlPS6_PKS6_NS0_5tupleIJS9_S6_EEENSD_IJSA_SA_EEENS0_18inequality_wrapperIZN2at6native12_GLOBAL__N_124unique_dim_cuda_templateImEESt5tupleIJNSH_6TensorESM_SM_EERKSM_lbbbEUlllE0_EEPmJS6_EEE10hipError_tPvRmT3_T4_T5_T6_T7_T9_mT8_P12ihipStream_tbDpT10_ENKUlT_T0_E_clISt17integral_constantIbLb0EES1C_EEDaS17_S18_EUlS17_E_NS1_11comp_targetILNS1_3genE9ELNS1_11target_archE1100ELNS1_3gpuE3ELNS1_3repE0EEENS1_30default_config_static_selectorELNS0_4arch9wavefront6targetE0EEEvT1_.private_seg_size, 0
	.set _ZN7rocprim17ROCPRIM_400000_NS6detail17trampoline_kernelINS0_14default_configENS1_25partition_config_selectorILNS1_17partition_subalgoE8ElNS0_10empty_typeEbEEZZNS1_14partition_implILS5_8ELb0ES3_jPlPS6_PKS6_NS0_5tupleIJS9_S6_EEENSD_IJSA_SA_EEENS0_18inequality_wrapperIZN2at6native12_GLOBAL__N_124unique_dim_cuda_templateImEESt5tupleIJNSH_6TensorESM_SM_EERKSM_lbbbEUlllE0_EEPmJS6_EEE10hipError_tPvRmT3_T4_T5_T6_T7_T9_mT8_P12ihipStream_tbDpT10_ENKUlT_T0_E_clISt17integral_constantIbLb0EES1C_EEDaS17_S18_EUlS17_E_NS1_11comp_targetILNS1_3genE9ELNS1_11target_archE1100ELNS1_3gpuE3ELNS1_3repE0EEENS1_30default_config_static_selectorELNS0_4arch9wavefront6targetE0EEEvT1_.uses_vcc, 0
	.set _ZN7rocprim17ROCPRIM_400000_NS6detail17trampoline_kernelINS0_14default_configENS1_25partition_config_selectorILNS1_17partition_subalgoE8ElNS0_10empty_typeEbEEZZNS1_14partition_implILS5_8ELb0ES3_jPlPS6_PKS6_NS0_5tupleIJS9_S6_EEENSD_IJSA_SA_EEENS0_18inequality_wrapperIZN2at6native12_GLOBAL__N_124unique_dim_cuda_templateImEESt5tupleIJNSH_6TensorESM_SM_EERKSM_lbbbEUlllE0_EEPmJS6_EEE10hipError_tPvRmT3_T4_T5_T6_T7_T9_mT8_P12ihipStream_tbDpT10_ENKUlT_T0_E_clISt17integral_constantIbLb0EES1C_EEDaS17_S18_EUlS17_E_NS1_11comp_targetILNS1_3genE9ELNS1_11target_archE1100ELNS1_3gpuE3ELNS1_3repE0EEENS1_30default_config_static_selectorELNS0_4arch9wavefront6targetE0EEEvT1_.uses_flat_scratch, 0
	.set _ZN7rocprim17ROCPRIM_400000_NS6detail17trampoline_kernelINS0_14default_configENS1_25partition_config_selectorILNS1_17partition_subalgoE8ElNS0_10empty_typeEbEEZZNS1_14partition_implILS5_8ELb0ES3_jPlPS6_PKS6_NS0_5tupleIJS9_S6_EEENSD_IJSA_SA_EEENS0_18inequality_wrapperIZN2at6native12_GLOBAL__N_124unique_dim_cuda_templateImEESt5tupleIJNSH_6TensorESM_SM_EERKSM_lbbbEUlllE0_EEPmJS6_EEE10hipError_tPvRmT3_T4_T5_T6_T7_T9_mT8_P12ihipStream_tbDpT10_ENKUlT_T0_E_clISt17integral_constantIbLb0EES1C_EEDaS17_S18_EUlS17_E_NS1_11comp_targetILNS1_3genE9ELNS1_11target_archE1100ELNS1_3gpuE3ELNS1_3repE0EEENS1_30default_config_static_selectorELNS0_4arch9wavefront6targetE0EEEvT1_.has_dyn_sized_stack, 0
	.set _ZN7rocprim17ROCPRIM_400000_NS6detail17trampoline_kernelINS0_14default_configENS1_25partition_config_selectorILNS1_17partition_subalgoE8ElNS0_10empty_typeEbEEZZNS1_14partition_implILS5_8ELb0ES3_jPlPS6_PKS6_NS0_5tupleIJS9_S6_EEENSD_IJSA_SA_EEENS0_18inequality_wrapperIZN2at6native12_GLOBAL__N_124unique_dim_cuda_templateImEESt5tupleIJNSH_6TensorESM_SM_EERKSM_lbbbEUlllE0_EEPmJS6_EEE10hipError_tPvRmT3_T4_T5_T6_T7_T9_mT8_P12ihipStream_tbDpT10_ENKUlT_T0_E_clISt17integral_constantIbLb0EES1C_EEDaS17_S18_EUlS17_E_NS1_11comp_targetILNS1_3genE9ELNS1_11target_archE1100ELNS1_3gpuE3ELNS1_3repE0EEENS1_30default_config_static_selectorELNS0_4arch9wavefront6targetE0EEEvT1_.has_recursion, 0
	.set _ZN7rocprim17ROCPRIM_400000_NS6detail17trampoline_kernelINS0_14default_configENS1_25partition_config_selectorILNS1_17partition_subalgoE8ElNS0_10empty_typeEbEEZZNS1_14partition_implILS5_8ELb0ES3_jPlPS6_PKS6_NS0_5tupleIJS9_S6_EEENSD_IJSA_SA_EEENS0_18inequality_wrapperIZN2at6native12_GLOBAL__N_124unique_dim_cuda_templateImEESt5tupleIJNSH_6TensorESM_SM_EERKSM_lbbbEUlllE0_EEPmJS6_EEE10hipError_tPvRmT3_T4_T5_T6_T7_T9_mT8_P12ihipStream_tbDpT10_ENKUlT_T0_E_clISt17integral_constantIbLb0EES1C_EEDaS17_S18_EUlS17_E_NS1_11comp_targetILNS1_3genE9ELNS1_11target_archE1100ELNS1_3gpuE3ELNS1_3repE0EEENS1_30default_config_static_selectorELNS0_4arch9wavefront6targetE0EEEvT1_.has_indirect_call, 0
	.section	.AMDGPU.csdata,"",@progbits
; Kernel info:
; codeLenInByte = 0
; TotalNumSgprs: 0
; NumVgprs: 0
; ScratchSize: 0
; MemoryBound: 0
; FloatMode: 240
; IeeeMode: 1
; LDSByteSize: 0 bytes/workgroup (compile time only)
; SGPRBlocks: 0
; VGPRBlocks: 0
; NumSGPRsForWavesPerEU: 1
; NumVGPRsForWavesPerEU: 1
; NamedBarCnt: 0
; Occupancy: 16
; WaveLimiterHint : 0
; COMPUTE_PGM_RSRC2:SCRATCH_EN: 0
; COMPUTE_PGM_RSRC2:USER_SGPR: 2
; COMPUTE_PGM_RSRC2:TRAP_HANDLER: 0
; COMPUTE_PGM_RSRC2:TGID_X_EN: 1
; COMPUTE_PGM_RSRC2:TGID_Y_EN: 0
; COMPUTE_PGM_RSRC2:TGID_Z_EN: 0
; COMPUTE_PGM_RSRC2:TIDIG_COMP_CNT: 0
	.section	.text._ZN7rocprim17ROCPRIM_400000_NS6detail17trampoline_kernelINS0_14default_configENS1_25partition_config_selectorILNS1_17partition_subalgoE8ElNS0_10empty_typeEbEEZZNS1_14partition_implILS5_8ELb0ES3_jPlPS6_PKS6_NS0_5tupleIJS9_S6_EEENSD_IJSA_SA_EEENS0_18inequality_wrapperIZN2at6native12_GLOBAL__N_124unique_dim_cuda_templateImEESt5tupleIJNSH_6TensorESM_SM_EERKSM_lbbbEUlllE0_EEPmJS6_EEE10hipError_tPvRmT3_T4_T5_T6_T7_T9_mT8_P12ihipStream_tbDpT10_ENKUlT_T0_E_clISt17integral_constantIbLb0EES1C_EEDaS17_S18_EUlS17_E_NS1_11comp_targetILNS1_3genE8ELNS1_11target_archE1030ELNS1_3gpuE2ELNS1_3repE0EEENS1_30default_config_static_selectorELNS0_4arch9wavefront6targetE0EEEvT1_,"axG",@progbits,_ZN7rocprim17ROCPRIM_400000_NS6detail17trampoline_kernelINS0_14default_configENS1_25partition_config_selectorILNS1_17partition_subalgoE8ElNS0_10empty_typeEbEEZZNS1_14partition_implILS5_8ELb0ES3_jPlPS6_PKS6_NS0_5tupleIJS9_S6_EEENSD_IJSA_SA_EEENS0_18inequality_wrapperIZN2at6native12_GLOBAL__N_124unique_dim_cuda_templateImEESt5tupleIJNSH_6TensorESM_SM_EERKSM_lbbbEUlllE0_EEPmJS6_EEE10hipError_tPvRmT3_T4_T5_T6_T7_T9_mT8_P12ihipStream_tbDpT10_ENKUlT_T0_E_clISt17integral_constantIbLb0EES1C_EEDaS17_S18_EUlS17_E_NS1_11comp_targetILNS1_3genE8ELNS1_11target_archE1030ELNS1_3gpuE2ELNS1_3repE0EEENS1_30default_config_static_selectorELNS0_4arch9wavefront6targetE0EEEvT1_,comdat
	.globl	_ZN7rocprim17ROCPRIM_400000_NS6detail17trampoline_kernelINS0_14default_configENS1_25partition_config_selectorILNS1_17partition_subalgoE8ElNS0_10empty_typeEbEEZZNS1_14partition_implILS5_8ELb0ES3_jPlPS6_PKS6_NS0_5tupleIJS9_S6_EEENSD_IJSA_SA_EEENS0_18inequality_wrapperIZN2at6native12_GLOBAL__N_124unique_dim_cuda_templateImEESt5tupleIJNSH_6TensorESM_SM_EERKSM_lbbbEUlllE0_EEPmJS6_EEE10hipError_tPvRmT3_T4_T5_T6_T7_T9_mT8_P12ihipStream_tbDpT10_ENKUlT_T0_E_clISt17integral_constantIbLb0EES1C_EEDaS17_S18_EUlS17_E_NS1_11comp_targetILNS1_3genE8ELNS1_11target_archE1030ELNS1_3gpuE2ELNS1_3repE0EEENS1_30default_config_static_selectorELNS0_4arch9wavefront6targetE0EEEvT1_ ; -- Begin function _ZN7rocprim17ROCPRIM_400000_NS6detail17trampoline_kernelINS0_14default_configENS1_25partition_config_selectorILNS1_17partition_subalgoE8ElNS0_10empty_typeEbEEZZNS1_14partition_implILS5_8ELb0ES3_jPlPS6_PKS6_NS0_5tupleIJS9_S6_EEENSD_IJSA_SA_EEENS0_18inequality_wrapperIZN2at6native12_GLOBAL__N_124unique_dim_cuda_templateImEESt5tupleIJNSH_6TensorESM_SM_EERKSM_lbbbEUlllE0_EEPmJS6_EEE10hipError_tPvRmT3_T4_T5_T6_T7_T9_mT8_P12ihipStream_tbDpT10_ENKUlT_T0_E_clISt17integral_constantIbLb0EES1C_EEDaS17_S18_EUlS17_E_NS1_11comp_targetILNS1_3genE8ELNS1_11target_archE1030ELNS1_3gpuE2ELNS1_3repE0EEENS1_30default_config_static_selectorELNS0_4arch9wavefront6targetE0EEEvT1_
	.p2align	8
	.type	_ZN7rocprim17ROCPRIM_400000_NS6detail17trampoline_kernelINS0_14default_configENS1_25partition_config_selectorILNS1_17partition_subalgoE8ElNS0_10empty_typeEbEEZZNS1_14partition_implILS5_8ELb0ES3_jPlPS6_PKS6_NS0_5tupleIJS9_S6_EEENSD_IJSA_SA_EEENS0_18inequality_wrapperIZN2at6native12_GLOBAL__N_124unique_dim_cuda_templateImEESt5tupleIJNSH_6TensorESM_SM_EERKSM_lbbbEUlllE0_EEPmJS6_EEE10hipError_tPvRmT3_T4_T5_T6_T7_T9_mT8_P12ihipStream_tbDpT10_ENKUlT_T0_E_clISt17integral_constantIbLb0EES1C_EEDaS17_S18_EUlS17_E_NS1_11comp_targetILNS1_3genE8ELNS1_11target_archE1030ELNS1_3gpuE2ELNS1_3repE0EEENS1_30default_config_static_selectorELNS0_4arch9wavefront6targetE0EEEvT1_,@function
_ZN7rocprim17ROCPRIM_400000_NS6detail17trampoline_kernelINS0_14default_configENS1_25partition_config_selectorILNS1_17partition_subalgoE8ElNS0_10empty_typeEbEEZZNS1_14partition_implILS5_8ELb0ES3_jPlPS6_PKS6_NS0_5tupleIJS9_S6_EEENSD_IJSA_SA_EEENS0_18inequality_wrapperIZN2at6native12_GLOBAL__N_124unique_dim_cuda_templateImEESt5tupleIJNSH_6TensorESM_SM_EERKSM_lbbbEUlllE0_EEPmJS6_EEE10hipError_tPvRmT3_T4_T5_T6_T7_T9_mT8_P12ihipStream_tbDpT10_ENKUlT_T0_E_clISt17integral_constantIbLb0EES1C_EEDaS17_S18_EUlS17_E_NS1_11comp_targetILNS1_3genE8ELNS1_11target_archE1030ELNS1_3gpuE2ELNS1_3repE0EEENS1_30default_config_static_selectorELNS0_4arch9wavefront6targetE0EEEvT1_: ; @_ZN7rocprim17ROCPRIM_400000_NS6detail17trampoline_kernelINS0_14default_configENS1_25partition_config_selectorILNS1_17partition_subalgoE8ElNS0_10empty_typeEbEEZZNS1_14partition_implILS5_8ELb0ES3_jPlPS6_PKS6_NS0_5tupleIJS9_S6_EEENSD_IJSA_SA_EEENS0_18inequality_wrapperIZN2at6native12_GLOBAL__N_124unique_dim_cuda_templateImEESt5tupleIJNSH_6TensorESM_SM_EERKSM_lbbbEUlllE0_EEPmJS6_EEE10hipError_tPvRmT3_T4_T5_T6_T7_T9_mT8_P12ihipStream_tbDpT10_ENKUlT_T0_E_clISt17integral_constantIbLb0EES1C_EEDaS17_S18_EUlS17_E_NS1_11comp_targetILNS1_3genE8ELNS1_11target_archE1030ELNS1_3gpuE2ELNS1_3repE0EEENS1_30default_config_static_selectorELNS0_4arch9wavefront6targetE0EEEvT1_
; %bb.0:
	.section	.rodata,"a",@progbits
	.p2align	6, 0x0
	.amdhsa_kernel _ZN7rocprim17ROCPRIM_400000_NS6detail17trampoline_kernelINS0_14default_configENS1_25partition_config_selectorILNS1_17partition_subalgoE8ElNS0_10empty_typeEbEEZZNS1_14partition_implILS5_8ELb0ES3_jPlPS6_PKS6_NS0_5tupleIJS9_S6_EEENSD_IJSA_SA_EEENS0_18inequality_wrapperIZN2at6native12_GLOBAL__N_124unique_dim_cuda_templateImEESt5tupleIJNSH_6TensorESM_SM_EERKSM_lbbbEUlllE0_EEPmJS6_EEE10hipError_tPvRmT3_T4_T5_T6_T7_T9_mT8_P12ihipStream_tbDpT10_ENKUlT_T0_E_clISt17integral_constantIbLb0EES1C_EEDaS17_S18_EUlS17_E_NS1_11comp_targetILNS1_3genE8ELNS1_11target_archE1030ELNS1_3gpuE2ELNS1_3repE0EEENS1_30default_config_static_selectorELNS0_4arch9wavefront6targetE0EEEvT1_
		.amdhsa_group_segment_fixed_size 0
		.amdhsa_private_segment_fixed_size 0
		.amdhsa_kernarg_size 120
		.amdhsa_user_sgpr_count 2
		.amdhsa_user_sgpr_dispatch_ptr 0
		.amdhsa_user_sgpr_queue_ptr 0
		.amdhsa_user_sgpr_kernarg_segment_ptr 1
		.amdhsa_user_sgpr_dispatch_id 0
		.amdhsa_user_sgpr_kernarg_preload_length 0
		.amdhsa_user_sgpr_kernarg_preload_offset 0
		.amdhsa_user_sgpr_private_segment_size 0
		.amdhsa_wavefront_size32 1
		.amdhsa_uses_dynamic_stack 0
		.amdhsa_enable_private_segment 0
		.amdhsa_system_sgpr_workgroup_id_x 1
		.amdhsa_system_sgpr_workgroup_id_y 0
		.amdhsa_system_sgpr_workgroup_id_z 0
		.amdhsa_system_sgpr_workgroup_info 0
		.amdhsa_system_vgpr_workitem_id 0
		.amdhsa_next_free_vgpr 1
		.amdhsa_next_free_sgpr 1
		.amdhsa_named_barrier_count 0
		.amdhsa_reserve_vcc 0
		.amdhsa_float_round_mode_32 0
		.amdhsa_float_round_mode_16_64 0
		.amdhsa_float_denorm_mode_32 3
		.amdhsa_float_denorm_mode_16_64 3
		.amdhsa_fp16_overflow 0
		.amdhsa_memory_ordered 1
		.amdhsa_forward_progress 1
		.amdhsa_inst_pref_size 0
		.amdhsa_round_robin_scheduling 0
		.amdhsa_exception_fp_ieee_invalid_op 0
		.amdhsa_exception_fp_denorm_src 0
		.amdhsa_exception_fp_ieee_div_zero 0
		.amdhsa_exception_fp_ieee_overflow 0
		.amdhsa_exception_fp_ieee_underflow 0
		.amdhsa_exception_fp_ieee_inexact 0
		.amdhsa_exception_int_div_zero 0
	.end_amdhsa_kernel
	.section	.text._ZN7rocprim17ROCPRIM_400000_NS6detail17trampoline_kernelINS0_14default_configENS1_25partition_config_selectorILNS1_17partition_subalgoE8ElNS0_10empty_typeEbEEZZNS1_14partition_implILS5_8ELb0ES3_jPlPS6_PKS6_NS0_5tupleIJS9_S6_EEENSD_IJSA_SA_EEENS0_18inequality_wrapperIZN2at6native12_GLOBAL__N_124unique_dim_cuda_templateImEESt5tupleIJNSH_6TensorESM_SM_EERKSM_lbbbEUlllE0_EEPmJS6_EEE10hipError_tPvRmT3_T4_T5_T6_T7_T9_mT8_P12ihipStream_tbDpT10_ENKUlT_T0_E_clISt17integral_constantIbLb0EES1C_EEDaS17_S18_EUlS17_E_NS1_11comp_targetILNS1_3genE8ELNS1_11target_archE1030ELNS1_3gpuE2ELNS1_3repE0EEENS1_30default_config_static_selectorELNS0_4arch9wavefront6targetE0EEEvT1_,"axG",@progbits,_ZN7rocprim17ROCPRIM_400000_NS6detail17trampoline_kernelINS0_14default_configENS1_25partition_config_selectorILNS1_17partition_subalgoE8ElNS0_10empty_typeEbEEZZNS1_14partition_implILS5_8ELb0ES3_jPlPS6_PKS6_NS0_5tupleIJS9_S6_EEENSD_IJSA_SA_EEENS0_18inequality_wrapperIZN2at6native12_GLOBAL__N_124unique_dim_cuda_templateImEESt5tupleIJNSH_6TensorESM_SM_EERKSM_lbbbEUlllE0_EEPmJS6_EEE10hipError_tPvRmT3_T4_T5_T6_T7_T9_mT8_P12ihipStream_tbDpT10_ENKUlT_T0_E_clISt17integral_constantIbLb0EES1C_EEDaS17_S18_EUlS17_E_NS1_11comp_targetILNS1_3genE8ELNS1_11target_archE1030ELNS1_3gpuE2ELNS1_3repE0EEENS1_30default_config_static_selectorELNS0_4arch9wavefront6targetE0EEEvT1_,comdat
.Lfunc_end1670:
	.size	_ZN7rocprim17ROCPRIM_400000_NS6detail17trampoline_kernelINS0_14default_configENS1_25partition_config_selectorILNS1_17partition_subalgoE8ElNS0_10empty_typeEbEEZZNS1_14partition_implILS5_8ELb0ES3_jPlPS6_PKS6_NS0_5tupleIJS9_S6_EEENSD_IJSA_SA_EEENS0_18inequality_wrapperIZN2at6native12_GLOBAL__N_124unique_dim_cuda_templateImEESt5tupleIJNSH_6TensorESM_SM_EERKSM_lbbbEUlllE0_EEPmJS6_EEE10hipError_tPvRmT3_T4_T5_T6_T7_T9_mT8_P12ihipStream_tbDpT10_ENKUlT_T0_E_clISt17integral_constantIbLb0EES1C_EEDaS17_S18_EUlS17_E_NS1_11comp_targetILNS1_3genE8ELNS1_11target_archE1030ELNS1_3gpuE2ELNS1_3repE0EEENS1_30default_config_static_selectorELNS0_4arch9wavefront6targetE0EEEvT1_, .Lfunc_end1670-_ZN7rocprim17ROCPRIM_400000_NS6detail17trampoline_kernelINS0_14default_configENS1_25partition_config_selectorILNS1_17partition_subalgoE8ElNS0_10empty_typeEbEEZZNS1_14partition_implILS5_8ELb0ES3_jPlPS6_PKS6_NS0_5tupleIJS9_S6_EEENSD_IJSA_SA_EEENS0_18inequality_wrapperIZN2at6native12_GLOBAL__N_124unique_dim_cuda_templateImEESt5tupleIJNSH_6TensorESM_SM_EERKSM_lbbbEUlllE0_EEPmJS6_EEE10hipError_tPvRmT3_T4_T5_T6_T7_T9_mT8_P12ihipStream_tbDpT10_ENKUlT_T0_E_clISt17integral_constantIbLb0EES1C_EEDaS17_S18_EUlS17_E_NS1_11comp_targetILNS1_3genE8ELNS1_11target_archE1030ELNS1_3gpuE2ELNS1_3repE0EEENS1_30default_config_static_selectorELNS0_4arch9wavefront6targetE0EEEvT1_
                                        ; -- End function
	.set _ZN7rocprim17ROCPRIM_400000_NS6detail17trampoline_kernelINS0_14default_configENS1_25partition_config_selectorILNS1_17partition_subalgoE8ElNS0_10empty_typeEbEEZZNS1_14partition_implILS5_8ELb0ES3_jPlPS6_PKS6_NS0_5tupleIJS9_S6_EEENSD_IJSA_SA_EEENS0_18inequality_wrapperIZN2at6native12_GLOBAL__N_124unique_dim_cuda_templateImEESt5tupleIJNSH_6TensorESM_SM_EERKSM_lbbbEUlllE0_EEPmJS6_EEE10hipError_tPvRmT3_T4_T5_T6_T7_T9_mT8_P12ihipStream_tbDpT10_ENKUlT_T0_E_clISt17integral_constantIbLb0EES1C_EEDaS17_S18_EUlS17_E_NS1_11comp_targetILNS1_3genE8ELNS1_11target_archE1030ELNS1_3gpuE2ELNS1_3repE0EEENS1_30default_config_static_selectorELNS0_4arch9wavefront6targetE0EEEvT1_.num_vgpr, 0
	.set _ZN7rocprim17ROCPRIM_400000_NS6detail17trampoline_kernelINS0_14default_configENS1_25partition_config_selectorILNS1_17partition_subalgoE8ElNS0_10empty_typeEbEEZZNS1_14partition_implILS5_8ELb0ES3_jPlPS6_PKS6_NS0_5tupleIJS9_S6_EEENSD_IJSA_SA_EEENS0_18inequality_wrapperIZN2at6native12_GLOBAL__N_124unique_dim_cuda_templateImEESt5tupleIJNSH_6TensorESM_SM_EERKSM_lbbbEUlllE0_EEPmJS6_EEE10hipError_tPvRmT3_T4_T5_T6_T7_T9_mT8_P12ihipStream_tbDpT10_ENKUlT_T0_E_clISt17integral_constantIbLb0EES1C_EEDaS17_S18_EUlS17_E_NS1_11comp_targetILNS1_3genE8ELNS1_11target_archE1030ELNS1_3gpuE2ELNS1_3repE0EEENS1_30default_config_static_selectorELNS0_4arch9wavefront6targetE0EEEvT1_.num_agpr, 0
	.set _ZN7rocprim17ROCPRIM_400000_NS6detail17trampoline_kernelINS0_14default_configENS1_25partition_config_selectorILNS1_17partition_subalgoE8ElNS0_10empty_typeEbEEZZNS1_14partition_implILS5_8ELb0ES3_jPlPS6_PKS6_NS0_5tupleIJS9_S6_EEENSD_IJSA_SA_EEENS0_18inequality_wrapperIZN2at6native12_GLOBAL__N_124unique_dim_cuda_templateImEESt5tupleIJNSH_6TensorESM_SM_EERKSM_lbbbEUlllE0_EEPmJS6_EEE10hipError_tPvRmT3_T4_T5_T6_T7_T9_mT8_P12ihipStream_tbDpT10_ENKUlT_T0_E_clISt17integral_constantIbLb0EES1C_EEDaS17_S18_EUlS17_E_NS1_11comp_targetILNS1_3genE8ELNS1_11target_archE1030ELNS1_3gpuE2ELNS1_3repE0EEENS1_30default_config_static_selectorELNS0_4arch9wavefront6targetE0EEEvT1_.numbered_sgpr, 0
	.set _ZN7rocprim17ROCPRIM_400000_NS6detail17trampoline_kernelINS0_14default_configENS1_25partition_config_selectorILNS1_17partition_subalgoE8ElNS0_10empty_typeEbEEZZNS1_14partition_implILS5_8ELb0ES3_jPlPS6_PKS6_NS0_5tupleIJS9_S6_EEENSD_IJSA_SA_EEENS0_18inequality_wrapperIZN2at6native12_GLOBAL__N_124unique_dim_cuda_templateImEESt5tupleIJNSH_6TensorESM_SM_EERKSM_lbbbEUlllE0_EEPmJS6_EEE10hipError_tPvRmT3_T4_T5_T6_T7_T9_mT8_P12ihipStream_tbDpT10_ENKUlT_T0_E_clISt17integral_constantIbLb0EES1C_EEDaS17_S18_EUlS17_E_NS1_11comp_targetILNS1_3genE8ELNS1_11target_archE1030ELNS1_3gpuE2ELNS1_3repE0EEENS1_30default_config_static_selectorELNS0_4arch9wavefront6targetE0EEEvT1_.num_named_barrier, 0
	.set _ZN7rocprim17ROCPRIM_400000_NS6detail17trampoline_kernelINS0_14default_configENS1_25partition_config_selectorILNS1_17partition_subalgoE8ElNS0_10empty_typeEbEEZZNS1_14partition_implILS5_8ELb0ES3_jPlPS6_PKS6_NS0_5tupleIJS9_S6_EEENSD_IJSA_SA_EEENS0_18inequality_wrapperIZN2at6native12_GLOBAL__N_124unique_dim_cuda_templateImEESt5tupleIJNSH_6TensorESM_SM_EERKSM_lbbbEUlllE0_EEPmJS6_EEE10hipError_tPvRmT3_T4_T5_T6_T7_T9_mT8_P12ihipStream_tbDpT10_ENKUlT_T0_E_clISt17integral_constantIbLb0EES1C_EEDaS17_S18_EUlS17_E_NS1_11comp_targetILNS1_3genE8ELNS1_11target_archE1030ELNS1_3gpuE2ELNS1_3repE0EEENS1_30default_config_static_selectorELNS0_4arch9wavefront6targetE0EEEvT1_.private_seg_size, 0
	.set _ZN7rocprim17ROCPRIM_400000_NS6detail17trampoline_kernelINS0_14default_configENS1_25partition_config_selectorILNS1_17partition_subalgoE8ElNS0_10empty_typeEbEEZZNS1_14partition_implILS5_8ELb0ES3_jPlPS6_PKS6_NS0_5tupleIJS9_S6_EEENSD_IJSA_SA_EEENS0_18inequality_wrapperIZN2at6native12_GLOBAL__N_124unique_dim_cuda_templateImEESt5tupleIJNSH_6TensorESM_SM_EERKSM_lbbbEUlllE0_EEPmJS6_EEE10hipError_tPvRmT3_T4_T5_T6_T7_T9_mT8_P12ihipStream_tbDpT10_ENKUlT_T0_E_clISt17integral_constantIbLb0EES1C_EEDaS17_S18_EUlS17_E_NS1_11comp_targetILNS1_3genE8ELNS1_11target_archE1030ELNS1_3gpuE2ELNS1_3repE0EEENS1_30default_config_static_selectorELNS0_4arch9wavefront6targetE0EEEvT1_.uses_vcc, 0
	.set _ZN7rocprim17ROCPRIM_400000_NS6detail17trampoline_kernelINS0_14default_configENS1_25partition_config_selectorILNS1_17partition_subalgoE8ElNS0_10empty_typeEbEEZZNS1_14partition_implILS5_8ELb0ES3_jPlPS6_PKS6_NS0_5tupleIJS9_S6_EEENSD_IJSA_SA_EEENS0_18inequality_wrapperIZN2at6native12_GLOBAL__N_124unique_dim_cuda_templateImEESt5tupleIJNSH_6TensorESM_SM_EERKSM_lbbbEUlllE0_EEPmJS6_EEE10hipError_tPvRmT3_T4_T5_T6_T7_T9_mT8_P12ihipStream_tbDpT10_ENKUlT_T0_E_clISt17integral_constantIbLb0EES1C_EEDaS17_S18_EUlS17_E_NS1_11comp_targetILNS1_3genE8ELNS1_11target_archE1030ELNS1_3gpuE2ELNS1_3repE0EEENS1_30default_config_static_selectorELNS0_4arch9wavefront6targetE0EEEvT1_.uses_flat_scratch, 0
	.set _ZN7rocprim17ROCPRIM_400000_NS6detail17trampoline_kernelINS0_14default_configENS1_25partition_config_selectorILNS1_17partition_subalgoE8ElNS0_10empty_typeEbEEZZNS1_14partition_implILS5_8ELb0ES3_jPlPS6_PKS6_NS0_5tupleIJS9_S6_EEENSD_IJSA_SA_EEENS0_18inequality_wrapperIZN2at6native12_GLOBAL__N_124unique_dim_cuda_templateImEESt5tupleIJNSH_6TensorESM_SM_EERKSM_lbbbEUlllE0_EEPmJS6_EEE10hipError_tPvRmT3_T4_T5_T6_T7_T9_mT8_P12ihipStream_tbDpT10_ENKUlT_T0_E_clISt17integral_constantIbLb0EES1C_EEDaS17_S18_EUlS17_E_NS1_11comp_targetILNS1_3genE8ELNS1_11target_archE1030ELNS1_3gpuE2ELNS1_3repE0EEENS1_30default_config_static_selectorELNS0_4arch9wavefront6targetE0EEEvT1_.has_dyn_sized_stack, 0
	.set _ZN7rocprim17ROCPRIM_400000_NS6detail17trampoline_kernelINS0_14default_configENS1_25partition_config_selectorILNS1_17partition_subalgoE8ElNS0_10empty_typeEbEEZZNS1_14partition_implILS5_8ELb0ES3_jPlPS6_PKS6_NS0_5tupleIJS9_S6_EEENSD_IJSA_SA_EEENS0_18inequality_wrapperIZN2at6native12_GLOBAL__N_124unique_dim_cuda_templateImEESt5tupleIJNSH_6TensorESM_SM_EERKSM_lbbbEUlllE0_EEPmJS6_EEE10hipError_tPvRmT3_T4_T5_T6_T7_T9_mT8_P12ihipStream_tbDpT10_ENKUlT_T0_E_clISt17integral_constantIbLb0EES1C_EEDaS17_S18_EUlS17_E_NS1_11comp_targetILNS1_3genE8ELNS1_11target_archE1030ELNS1_3gpuE2ELNS1_3repE0EEENS1_30default_config_static_selectorELNS0_4arch9wavefront6targetE0EEEvT1_.has_recursion, 0
	.set _ZN7rocprim17ROCPRIM_400000_NS6detail17trampoline_kernelINS0_14default_configENS1_25partition_config_selectorILNS1_17partition_subalgoE8ElNS0_10empty_typeEbEEZZNS1_14partition_implILS5_8ELb0ES3_jPlPS6_PKS6_NS0_5tupleIJS9_S6_EEENSD_IJSA_SA_EEENS0_18inequality_wrapperIZN2at6native12_GLOBAL__N_124unique_dim_cuda_templateImEESt5tupleIJNSH_6TensorESM_SM_EERKSM_lbbbEUlllE0_EEPmJS6_EEE10hipError_tPvRmT3_T4_T5_T6_T7_T9_mT8_P12ihipStream_tbDpT10_ENKUlT_T0_E_clISt17integral_constantIbLb0EES1C_EEDaS17_S18_EUlS17_E_NS1_11comp_targetILNS1_3genE8ELNS1_11target_archE1030ELNS1_3gpuE2ELNS1_3repE0EEENS1_30default_config_static_selectorELNS0_4arch9wavefront6targetE0EEEvT1_.has_indirect_call, 0
	.section	.AMDGPU.csdata,"",@progbits
; Kernel info:
; codeLenInByte = 0
; TotalNumSgprs: 0
; NumVgprs: 0
; ScratchSize: 0
; MemoryBound: 0
; FloatMode: 240
; IeeeMode: 1
; LDSByteSize: 0 bytes/workgroup (compile time only)
; SGPRBlocks: 0
; VGPRBlocks: 0
; NumSGPRsForWavesPerEU: 1
; NumVGPRsForWavesPerEU: 1
; NamedBarCnt: 0
; Occupancy: 16
; WaveLimiterHint : 0
; COMPUTE_PGM_RSRC2:SCRATCH_EN: 0
; COMPUTE_PGM_RSRC2:USER_SGPR: 2
; COMPUTE_PGM_RSRC2:TRAP_HANDLER: 0
; COMPUTE_PGM_RSRC2:TGID_X_EN: 1
; COMPUTE_PGM_RSRC2:TGID_Y_EN: 0
; COMPUTE_PGM_RSRC2:TGID_Z_EN: 0
; COMPUTE_PGM_RSRC2:TIDIG_COMP_CNT: 0
	.section	.text._ZN7rocprim17ROCPRIM_400000_NS6detail17trampoline_kernelINS0_14default_configENS1_25partition_config_selectorILNS1_17partition_subalgoE8ElNS0_10empty_typeEbEEZZNS1_14partition_implILS5_8ELb0ES3_jPlPS6_PKS6_NS0_5tupleIJS9_S6_EEENSD_IJSA_SA_EEENS0_18inequality_wrapperIZN2at6native12_GLOBAL__N_124unique_dim_cuda_templateImEESt5tupleIJNSH_6TensorESM_SM_EERKSM_lbbbEUlllE0_EEPmJS6_EEE10hipError_tPvRmT3_T4_T5_T6_T7_T9_mT8_P12ihipStream_tbDpT10_ENKUlT_T0_E_clISt17integral_constantIbLb1EES1C_EEDaS17_S18_EUlS17_E_NS1_11comp_targetILNS1_3genE0ELNS1_11target_archE4294967295ELNS1_3gpuE0ELNS1_3repE0EEENS1_30default_config_static_selectorELNS0_4arch9wavefront6targetE0EEEvT1_,"axG",@progbits,_ZN7rocprim17ROCPRIM_400000_NS6detail17trampoline_kernelINS0_14default_configENS1_25partition_config_selectorILNS1_17partition_subalgoE8ElNS0_10empty_typeEbEEZZNS1_14partition_implILS5_8ELb0ES3_jPlPS6_PKS6_NS0_5tupleIJS9_S6_EEENSD_IJSA_SA_EEENS0_18inequality_wrapperIZN2at6native12_GLOBAL__N_124unique_dim_cuda_templateImEESt5tupleIJNSH_6TensorESM_SM_EERKSM_lbbbEUlllE0_EEPmJS6_EEE10hipError_tPvRmT3_T4_T5_T6_T7_T9_mT8_P12ihipStream_tbDpT10_ENKUlT_T0_E_clISt17integral_constantIbLb1EES1C_EEDaS17_S18_EUlS17_E_NS1_11comp_targetILNS1_3genE0ELNS1_11target_archE4294967295ELNS1_3gpuE0ELNS1_3repE0EEENS1_30default_config_static_selectorELNS0_4arch9wavefront6targetE0EEEvT1_,comdat
	.globl	_ZN7rocprim17ROCPRIM_400000_NS6detail17trampoline_kernelINS0_14default_configENS1_25partition_config_selectorILNS1_17partition_subalgoE8ElNS0_10empty_typeEbEEZZNS1_14partition_implILS5_8ELb0ES3_jPlPS6_PKS6_NS0_5tupleIJS9_S6_EEENSD_IJSA_SA_EEENS0_18inequality_wrapperIZN2at6native12_GLOBAL__N_124unique_dim_cuda_templateImEESt5tupleIJNSH_6TensorESM_SM_EERKSM_lbbbEUlllE0_EEPmJS6_EEE10hipError_tPvRmT3_T4_T5_T6_T7_T9_mT8_P12ihipStream_tbDpT10_ENKUlT_T0_E_clISt17integral_constantIbLb1EES1C_EEDaS17_S18_EUlS17_E_NS1_11comp_targetILNS1_3genE0ELNS1_11target_archE4294967295ELNS1_3gpuE0ELNS1_3repE0EEENS1_30default_config_static_selectorELNS0_4arch9wavefront6targetE0EEEvT1_ ; -- Begin function _ZN7rocprim17ROCPRIM_400000_NS6detail17trampoline_kernelINS0_14default_configENS1_25partition_config_selectorILNS1_17partition_subalgoE8ElNS0_10empty_typeEbEEZZNS1_14partition_implILS5_8ELb0ES3_jPlPS6_PKS6_NS0_5tupleIJS9_S6_EEENSD_IJSA_SA_EEENS0_18inequality_wrapperIZN2at6native12_GLOBAL__N_124unique_dim_cuda_templateImEESt5tupleIJNSH_6TensorESM_SM_EERKSM_lbbbEUlllE0_EEPmJS6_EEE10hipError_tPvRmT3_T4_T5_T6_T7_T9_mT8_P12ihipStream_tbDpT10_ENKUlT_T0_E_clISt17integral_constantIbLb1EES1C_EEDaS17_S18_EUlS17_E_NS1_11comp_targetILNS1_3genE0ELNS1_11target_archE4294967295ELNS1_3gpuE0ELNS1_3repE0EEENS1_30default_config_static_selectorELNS0_4arch9wavefront6targetE0EEEvT1_
	.p2align	8
	.type	_ZN7rocprim17ROCPRIM_400000_NS6detail17trampoline_kernelINS0_14default_configENS1_25partition_config_selectorILNS1_17partition_subalgoE8ElNS0_10empty_typeEbEEZZNS1_14partition_implILS5_8ELb0ES3_jPlPS6_PKS6_NS0_5tupleIJS9_S6_EEENSD_IJSA_SA_EEENS0_18inequality_wrapperIZN2at6native12_GLOBAL__N_124unique_dim_cuda_templateImEESt5tupleIJNSH_6TensorESM_SM_EERKSM_lbbbEUlllE0_EEPmJS6_EEE10hipError_tPvRmT3_T4_T5_T6_T7_T9_mT8_P12ihipStream_tbDpT10_ENKUlT_T0_E_clISt17integral_constantIbLb1EES1C_EEDaS17_S18_EUlS17_E_NS1_11comp_targetILNS1_3genE0ELNS1_11target_archE4294967295ELNS1_3gpuE0ELNS1_3repE0EEENS1_30default_config_static_selectorELNS0_4arch9wavefront6targetE0EEEvT1_,@function
_ZN7rocprim17ROCPRIM_400000_NS6detail17trampoline_kernelINS0_14default_configENS1_25partition_config_selectorILNS1_17partition_subalgoE8ElNS0_10empty_typeEbEEZZNS1_14partition_implILS5_8ELb0ES3_jPlPS6_PKS6_NS0_5tupleIJS9_S6_EEENSD_IJSA_SA_EEENS0_18inequality_wrapperIZN2at6native12_GLOBAL__N_124unique_dim_cuda_templateImEESt5tupleIJNSH_6TensorESM_SM_EERKSM_lbbbEUlllE0_EEPmJS6_EEE10hipError_tPvRmT3_T4_T5_T6_T7_T9_mT8_P12ihipStream_tbDpT10_ENKUlT_T0_E_clISt17integral_constantIbLb1EES1C_EEDaS17_S18_EUlS17_E_NS1_11comp_targetILNS1_3genE0ELNS1_11target_archE4294967295ELNS1_3gpuE0ELNS1_3repE0EEENS1_30default_config_static_selectorELNS0_4arch9wavefront6targetE0EEEvT1_: ; @_ZN7rocprim17ROCPRIM_400000_NS6detail17trampoline_kernelINS0_14default_configENS1_25partition_config_selectorILNS1_17partition_subalgoE8ElNS0_10empty_typeEbEEZZNS1_14partition_implILS5_8ELb0ES3_jPlPS6_PKS6_NS0_5tupleIJS9_S6_EEENSD_IJSA_SA_EEENS0_18inequality_wrapperIZN2at6native12_GLOBAL__N_124unique_dim_cuda_templateImEESt5tupleIJNSH_6TensorESM_SM_EERKSM_lbbbEUlllE0_EEPmJS6_EEE10hipError_tPvRmT3_T4_T5_T6_T7_T9_mT8_P12ihipStream_tbDpT10_ENKUlT_T0_E_clISt17integral_constantIbLb1EES1C_EEDaS17_S18_EUlS17_E_NS1_11comp_targetILNS1_3genE0ELNS1_11target_archE4294967295ELNS1_3gpuE0ELNS1_3repE0EEENS1_30default_config_static_selectorELNS0_4arch9wavefront6targetE0EEEvT1_
; %bb.0:
	s_endpgm
	.section	.rodata,"a",@progbits
	.p2align	6, 0x0
	.amdhsa_kernel _ZN7rocprim17ROCPRIM_400000_NS6detail17trampoline_kernelINS0_14default_configENS1_25partition_config_selectorILNS1_17partition_subalgoE8ElNS0_10empty_typeEbEEZZNS1_14partition_implILS5_8ELb0ES3_jPlPS6_PKS6_NS0_5tupleIJS9_S6_EEENSD_IJSA_SA_EEENS0_18inequality_wrapperIZN2at6native12_GLOBAL__N_124unique_dim_cuda_templateImEESt5tupleIJNSH_6TensorESM_SM_EERKSM_lbbbEUlllE0_EEPmJS6_EEE10hipError_tPvRmT3_T4_T5_T6_T7_T9_mT8_P12ihipStream_tbDpT10_ENKUlT_T0_E_clISt17integral_constantIbLb1EES1C_EEDaS17_S18_EUlS17_E_NS1_11comp_targetILNS1_3genE0ELNS1_11target_archE4294967295ELNS1_3gpuE0ELNS1_3repE0EEENS1_30default_config_static_selectorELNS0_4arch9wavefront6targetE0EEEvT1_
		.amdhsa_group_segment_fixed_size 0
		.amdhsa_private_segment_fixed_size 0
		.amdhsa_kernarg_size 136
		.amdhsa_user_sgpr_count 2
		.amdhsa_user_sgpr_dispatch_ptr 0
		.amdhsa_user_sgpr_queue_ptr 0
		.amdhsa_user_sgpr_kernarg_segment_ptr 1
		.amdhsa_user_sgpr_dispatch_id 0
		.amdhsa_user_sgpr_kernarg_preload_length 0
		.amdhsa_user_sgpr_kernarg_preload_offset 0
		.amdhsa_user_sgpr_private_segment_size 0
		.amdhsa_wavefront_size32 1
		.amdhsa_uses_dynamic_stack 0
		.amdhsa_enable_private_segment 0
		.amdhsa_system_sgpr_workgroup_id_x 1
		.amdhsa_system_sgpr_workgroup_id_y 0
		.amdhsa_system_sgpr_workgroup_id_z 0
		.amdhsa_system_sgpr_workgroup_info 0
		.amdhsa_system_vgpr_workitem_id 0
		.amdhsa_next_free_vgpr 1
		.amdhsa_next_free_sgpr 1
		.amdhsa_named_barrier_count 0
		.amdhsa_reserve_vcc 0
		.amdhsa_float_round_mode_32 0
		.amdhsa_float_round_mode_16_64 0
		.amdhsa_float_denorm_mode_32 3
		.amdhsa_float_denorm_mode_16_64 3
		.amdhsa_fp16_overflow 0
		.amdhsa_memory_ordered 1
		.amdhsa_forward_progress 1
		.amdhsa_inst_pref_size 1
		.amdhsa_round_robin_scheduling 0
		.amdhsa_exception_fp_ieee_invalid_op 0
		.amdhsa_exception_fp_denorm_src 0
		.amdhsa_exception_fp_ieee_div_zero 0
		.amdhsa_exception_fp_ieee_overflow 0
		.amdhsa_exception_fp_ieee_underflow 0
		.amdhsa_exception_fp_ieee_inexact 0
		.amdhsa_exception_int_div_zero 0
	.end_amdhsa_kernel
	.section	.text._ZN7rocprim17ROCPRIM_400000_NS6detail17trampoline_kernelINS0_14default_configENS1_25partition_config_selectorILNS1_17partition_subalgoE8ElNS0_10empty_typeEbEEZZNS1_14partition_implILS5_8ELb0ES3_jPlPS6_PKS6_NS0_5tupleIJS9_S6_EEENSD_IJSA_SA_EEENS0_18inequality_wrapperIZN2at6native12_GLOBAL__N_124unique_dim_cuda_templateImEESt5tupleIJNSH_6TensorESM_SM_EERKSM_lbbbEUlllE0_EEPmJS6_EEE10hipError_tPvRmT3_T4_T5_T6_T7_T9_mT8_P12ihipStream_tbDpT10_ENKUlT_T0_E_clISt17integral_constantIbLb1EES1C_EEDaS17_S18_EUlS17_E_NS1_11comp_targetILNS1_3genE0ELNS1_11target_archE4294967295ELNS1_3gpuE0ELNS1_3repE0EEENS1_30default_config_static_selectorELNS0_4arch9wavefront6targetE0EEEvT1_,"axG",@progbits,_ZN7rocprim17ROCPRIM_400000_NS6detail17trampoline_kernelINS0_14default_configENS1_25partition_config_selectorILNS1_17partition_subalgoE8ElNS0_10empty_typeEbEEZZNS1_14partition_implILS5_8ELb0ES3_jPlPS6_PKS6_NS0_5tupleIJS9_S6_EEENSD_IJSA_SA_EEENS0_18inequality_wrapperIZN2at6native12_GLOBAL__N_124unique_dim_cuda_templateImEESt5tupleIJNSH_6TensorESM_SM_EERKSM_lbbbEUlllE0_EEPmJS6_EEE10hipError_tPvRmT3_T4_T5_T6_T7_T9_mT8_P12ihipStream_tbDpT10_ENKUlT_T0_E_clISt17integral_constantIbLb1EES1C_EEDaS17_S18_EUlS17_E_NS1_11comp_targetILNS1_3genE0ELNS1_11target_archE4294967295ELNS1_3gpuE0ELNS1_3repE0EEENS1_30default_config_static_selectorELNS0_4arch9wavefront6targetE0EEEvT1_,comdat
.Lfunc_end1671:
	.size	_ZN7rocprim17ROCPRIM_400000_NS6detail17trampoline_kernelINS0_14default_configENS1_25partition_config_selectorILNS1_17partition_subalgoE8ElNS0_10empty_typeEbEEZZNS1_14partition_implILS5_8ELb0ES3_jPlPS6_PKS6_NS0_5tupleIJS9_S6_EEENSD_IJSA_SA_EEENS0_18inequality_wrapperIZN2at6native12_GLOBAL__N_124unique_dim_cuda_templateImEESt5tupleIJNSH_6TensorESM_SM_EERKSM_lbbbEUlllE0_EEPmJS6_EEE10hipError_tPvRmT3_T4_T5_T6_T7_T9_mT8_P12ihipStream_tbDpT10_ENKUlT_T0_E_clISt17integral_constantIbLb1EES1C_EEDaS17_S18_EUlS17_E_NS1_11comp_targetILNS1_3genE0ELNS1_11target_archE4294967295ELNS1_3gpuE0ELNS1_3repE0EEENS1_30default_config_static_selectorELNS0_4arch9wavefront6targetE0EEEvT1_, .Lfunc_end1671-_ZN7rocprim17ROCPRIM_400000_NS6detail17trampoline_kernelINS0_14default_configENS1_25partition_config_selectorILNS1_17partition_subalgoE8ElNS0_10empty_typeEbEEZZNS1_14partition_implILS5_8ELb0ES3_jPlPS6_PKS6_NS0_5tupleIJS9_S6_EEENSD_IJSA_SA_EEENS0_18inequality_wrapperIZN2at6native12_GLOBAL__N_124unique_dim_cuda_templateImEESt5tupleIJNSH_6TensorESM_SM_EERKSM_lbbbEUlllE0_EEPmJS6_EEE10hipError_tPvRmT3_T4_T5_T6_T7_T9_mT8_P12ihipStream_tbDpT10_ENKUlT_T0_E_clISt17integral_constantIbLb1EES1C_EEDaS17_S18_EUlS17_E_NS1_11comp_targetILNS1_3genE0ELNS1_11target_archE4294967295ELNS1_3gpuE0ELNS1_3repE0EEENS1_30default_config_static_selectorELNS0_4arch9wavefront6targetE0EEEvT1_
                                        ; -- End function
	.set _ZN7rocprim17ROCPRIM_400000_NS6detail17trampoline_kernelINS0_14default_configENS1_25partition_config_selectorILNS1_17partition_subalgoE8ElNS0_10empty_typeEbEEZZNS1_14partition_implILS5_8ELb0ES3_jPlPS6_PKS6_NS0_5tupleIJS9_S6_EEENSD_IJSA_SA_EEENS0_18inequality_wrapperIZN2at6native12_GLOBAL__N_124unique_dim_cuda_templateImEESt5tupleIJNSH_6TensorESM_SM_EERKSM_lbbbEUlllE0_EEPmJS6_EEE10hipError_tPvRmT3_T4_T5_T6_T7_T9_mT8_P12ihipStream_tbDpT10_ENKUlT_T0_E_clISt17integral_constantIbLb1EES1C_EEDaS17_S18_EUlS17_E_NS1_11comp_targetILNS1_3genE0ELNS1_11target_archE4294967295ELNS1_3gpuE0ELNS1_3repE0EEENS1_30default_config_static_selectorELNS0_4arch9wavefront6targetE0EEEvT1_.num_vgpr, 0
	.set _ZN7rocprim17ROCPRIM_400000_NS6detail17trampoline_kernelINS0_14default_configENS1_25partition_config_selectorILNS1_17partition_subalgoE8ElNS0_10empty_typeEbEEZZNS1_14partition_implILS5_8ELb0ES3_jPlPS6_PKS6_NS0_5tupleIJS9_S6_EEENSD_IJSA_SA_EEENS0_18inequality_wrapperIZN2at6native12_GLOBAL__N_124unique_dim_cuda_templateImEESt5tupleIJNSH_6TensorESM_SM_EERKSM_lbbbEUlllE0_EEPmJS6_EEE10hipError_tPvRmT3_T4_T5_T6_T7_T9_mT8_P12ihipStream_tbDpT10_ENKUlT_T0_E_clISt17integral_constantIbLb1EES1C_EEDaS17_S18_EUlS17_E_NS1_11comp_targetILNS1_3genE0ELNS1_11target_archE4294967295ELNS1_3gpuE0ELNS1_3repE0EEENS1_30default_config_static_selectorELNS0_4arch9wavefront6targetE0EEEvT1_.num_agpr, 0
	.set _ZN7rocprim17ROCPRIM_400000_NS6detail17trampoline_kernelINS0_14default_configENS1_25partition_config_selectorILNS1_17partition_subalgoE8ElNS0_10empty_typeEbEEZZNS1_14partition_implILS5_8ELb0ES3_jPlPS6_PKS6_NS0_5tupleIJS9_S6_EEENSD_IJSA_SA_EEENS0_18inequality_wrapperIZN2at6native12_GLOBAL__N_124unique_dim_cuda_templateImEESt5tupleIJNSH_6TensorESM_SM_EERKSM_lbbbEUlllE0_EEPmJS6_EEE10hipError_tPvRmT3_T4_T5_T6_T7_T9_mT8_P12ihipStream_tbDpT10_ENKUlT_T0_E_clISt17integral_constantIbLb1EES1C_EEDaS17_S18_EUlS17_E_NS1_11comp_targetILNS1_3genE0ELNS1_11target_archE4294967295ELNS1_3gpuE0ELNS1_3repE0EEENS1_30default_config_static_selectorELNS0_4arch9wavefront6targetE0EEEvT1_.numbered_sgpr, 0
	.set _ZN7rocprim17ROCPRIM_400000_NS6detail17trampoline_kernelINS0_14default_configENS1_25partition_config_selectorILNS1_17partition_subalgoE8ElNS0_10empty_typeEbEEZZNS1_14partition_implILS5_8ELb0ES3_jPlPS6_PKS6_NS0_5tupleIJS9_S6_EEENSD_IJSA_SA_EEENS0_18inequality_wrapperIZN2at6native12_GLOBAL__N_124unique_dim_cuda_templateImEESt5tupleIJNSH_6TensorESM_SM_EERKSM_lbbbEUlllE0_EEPmJS6_EEE10hipError_tPvRmT3_T4_T5_T6_T7_T9_mT8_P12ihipStream_tbDpT10_ENKUlT_T0_E_clISt17integral_constantIbLb1EES1C_EEDaS17_S18_EUlS17_E_NS1_11comp_targetILNS1_3genE0ELNS1_11target_archE4294967295ELNS1_3gpuE0ELNS1_3repE0EEENS1_30default_config_static_selectorELNS0_4arch9wavefront6targetE0EEEvT1_.num_named_barrier, 0
	.set _ZN7rocprim17ROCPRIM_400000_NS6detail17trampoline_kernelINS0_14default_configENS1_25partition_config_selectorILNS1_17partition_subalgoE8ElNS0_10empty_typeEbEEZZNS1_14partition_implILS5_8ELb0ES3_jPlPS6_PKS6_NS0_5tupleIJS9_S6_EEENSD_IJSA_SA_EEENS0_18inequality_wrapperIZN2at6native12_GLOBAL__N_124unique_dim_cuda_templateImEESt5tupleIJNSH_6TensorESM_SM_EERKSM_lbbbEUlllE0_EEPmJS6_EEE10hipError_tPvRmT3_T4_T5_T6_T7_T9_mT8_P12ihipStream_tbDpT10_ENKUlT_T0_E_clISt17integral_constantIbLb1EES1C_EEDaS17_S18_EUlS17_E_NS1_11comp_targetILNS1_3genE0ELNS1_11target_archE4294967295ELNS1_3gpuE0ELNS1_3repE0EEENS1_30default_config_static_selectorELNS0_4arch9wavefront6targetE0EEEvT1_.private_seg_size, 0
	.set _ZN7rocprim17ROCPRIM_400000_NS6detail17trampoline_kernelINS0_14default_configENS1_25partition_config_selectorILNS1_17partition_subalgoE8ElNS0_10empty_typeEbEEZZNS1_14partition_implILS5_8ELb0ES3_jPlPS6_PKS6_NS0_5tupleIJS9_S6_EEENSD_IJSA_SA_EEENS0_18inequality_wrapperIZN2at6native12_GLOBAL__N_124unique_dim_cuda_templateImEESt5tupleIJNSH_6TensorESM_SM_EERKSM_lbbbEUlllE0_EEPmJS6_EEE10hipError_tPvRmT3_T4_T5_T6_T7_T9_mT8_P12ihipStream_tbDpT10_ENKUlT_T0_E_clISt17integral_constantIbLb1EES1C_EEDaS17_S18_EUlS17_E_NS1_11comp_targetILNS1_3genE0ELNS1_11target_archE4294967295ELNS1_3gpuE0ELNS1_3repE0EEENS1_30default_config_static_selectorELNS0_4arch9wavefront6targetE0EEEvT1_.uses_vcc, 0
	.set _ZN7rocprim17ROCPRIM_400000_NS6detail17trampoline_kernelINS0_14default_configENS1_25partition_config_selectorILNS1_17partition_subalgoE8ElNS0_10empty_typeEbEEZZNS1_14partition_implILS5_8ELb0ES3_jPlPS6_PKS6_NS0_5tupleIJS9_S6_EEENSD_IJSA_SA_EEENS0_18inequality_wrapperIZN2at6native12_GLOBAL__N_124unique_dim_cuda_templateImEESt5tupleIJNSH_6TensorESM_SM_EERKSM_lbbbEUlllE0_EEPmJS6_EEE10hipError_tPvRmT3_T4_T5_T6_T7_T9_mT8_P12ihipStream_tbDpT10_ENKUlT_T0_E_clISt17integral_constantIbLb1EES1C_EEDaS17_S18_EUlS17_E_NS1_11comp_targetILNS1_3genE0ELNS1_11target_archE4294967295ELNS1_3gpuE0ELNS1_3repE0EEENS1_30default_config_static_selectorELNS0_4arch9wavefront6targetE0EEEvT1_.uses_flat_scratch, 0
	.set _ZN7rocprim17ROCPRIM_400000_NS6detail17trampoline_kernelINS0_14default_configENS1_25partition_config_selectorILNS1_17partition_subalgoE8ElNS0_10empty_typeEbEEZZNS1_14partition_implILS5_8ELb0ES3_jPlPS6_PKS6_NS0_5tupleIJS9_S6_EEENSD_IJSA_SA_EEENS0_18inequality_wrapperIZN2at6native12_GLOBAL__N_124unique_dim_cuda_templateImEESt5tupleIJNSH_6TensorESM_SM_EERKSM_lbbbEUlllE0_EEPmJS6_EEE10hipError_tPvRmT3_T4_T5_T6_T7_T9_mT8_P12ihipStream_tbDpT10_ENKUlT_T0_E_clISt17integral_constantIbLb1EES1C_EEDaS17_S18_EUlS17_E_NS1_11comp_targetILNS1_3genE0ELNS1_11target_archE4294967295ELNS1_3gpuE0ELNS1_3repE0EEENS1_30default_config_static_selectorELNS0_4arch9wavefront6targetE0EEEvT1_.has_dyn_sized_stack, 0
	.set _ZN7rocprim17ROCPRIM_400000_NS6detail17trampoline_kernelINS0_14default_configENS1_25partition_config_selectorILNS1_17partition_subalgoE8ElNS0_10empty_typeEbEEZZNS1_14partition_implILS5_8ELb0ES3_jPlPS6_PKS6_NS0_5tupleIJS9_S6_EEENSD_IJSA_SA_EEENS0_18inequality_wrapperIZN2at6native12_GLOBAL__N_124unique_dim_cuda_templateImEESt5tupleIJNSH_6TensorESM_SM_EERKSM_lbbbEUlllE0_EEPmJS6_EEE10hipError_tPvRmT3_T4_T5_T6_T7_T9_mT8_P12ihipStream_tbDpT10_ENKUlT_T0_E_clISt17integral_constantIbLb1EES1C_EEDaS17_S18_EUlS17_E_NS1_11comp_targetILNS1_3genE0ELNS1_11target_archE4294967295ELNS1_3gpuE0ELNS1_3repE0EEENS1_30default_config_static_selectorELNS0_4arch9wavefront6targetE0EEEvT1_.has_recursion, 0
	.set _ZN7rocprim17ROCPRIM_400000_NS6detail17trampoline_kernelINS0_14default_configENS1_25partition_config_selectorILNS1_17partition_subalgoE8ElNS0_10empty_typeEbEEZZNS1_14partition_implILS5_8ELb0ES3_jPlPS6_PKS6_NS0_5tupleIJS9_S6_EEENSD_IJSA_SA_EEENS0_18inequality_wrapperIZN2at6native12_GLOBAL__N_124unique_dim_cuda_templateImEESt5tupleIJNSH_6TensorESM_SM_EERKSM_lbbbEUlllE0_EEPmJS6_EEE10hipError_tPvRmT3_T4_T5_T6_T7_T9_mT8_P12ihipStream_tbDpT10_ENKUlT_T0_E_clISt17integral_constantIbLb1EES1C_EEDaS17_S18_EUlS17_E_NS1_11comp_targetILNS1_3genE0ELNS1_11target_archE4294967295ELNS1_3gpuE0ELNS1_3repE0EEENS1_30default_config_static_selectorELNS0_4arch9wavefront6targetE0EEEvT1_.has_indirect_call, 0
	.section	.AMDGPU.csdata,"",@progbits
; Kernel info:
; codeLenInByte = 4
; TotalNumSgprs: 0
; NumVgprs: 0
; ScratchSize: 0
; MemoryBound: 0
; FloatMode: 240
; IeeeMode: 1
; LDSByteSize: 0 bytes/workgroup (compile time only)
; SGPRBlocks: 0
; VGPRBlocks: 0
; NumSGPRsForWavesPerEU: 1
; NumVGPRsForWavesPerEU: 1
; NamedBarCnt: 0
; Occupancy: 16
; WaveLimiterHint : 0
; COMPUTE_PGM_RSRC2:SCRATCH_EN: 0
; COMPUTE_PGM_RSRC2:USER_SGPR: 2
; COMPUTE_PGM_RSRC2:TRAP_HANDLER: 0
; COMPUTE_PGM_RSRC2:TGID_X_EN: 1
; COMPUTE_PGM_RSRC2:TGID_Y_EN: 0
; COMPUTE_PGM_RSRC2:TGID_Z_EN: 0
; COMPUTE_PGM_RSRC2:TIDIG_COMP_CNT: 0
	.section	.text._ZN7rocprim17ROCPRIM_400000_NS6detail17trampoline_kernelINS0_14default_configENS1_25partition_config_selectorILNS1_17partition_subalgoE8ElNS0_10empty_typeEbEEZZNS1_14partition_implILS5_8ELb0ES3_jPlPS6_PKS6_NS0_5tupleIJS9_S6_EEENSD_IJSA_SA_EEENS0_18inequality_wrapperIZN2at6native12_GLOBAL__N_124unique_dim_cuda_templateImEESt5tupleIJNSH_6TensorESM_SM_EERKSM_lbbbEUlllE0_EEPmJS6_EEE10hipError_tPvRmT3_T4_T5_T6_T7_T9_mT8_P12ihipStream_tbDpT10_ENKUlT_T0_E_clISt17integral_constantIbLb1EES1C_EEDaS17_S18_EUlS17_E_NS1_11comp_targetILNS1_3genE5ELNS1_11target_archE942ELNS1_3gpuE9ELNS1_3repE0EEENS1_30default_config_static_selectorELNS0_4arch9wavefront6targetE0EEEvT1_,"axG",@progbits,_ZN7rocprim17ROCPRIM_400000_NS6detail17trampoline_kernelINS0_14default_configENS1_25partition_config_selectorILNS1_17partition_subalgoE8ElNS0_10empty_typeEbEEZZNS1_14partition_implILS5_8ELb0ES3_jPlPS6_PKS6_NS0_5tupleIJS9_S6_EEENSD_IJSA_SA_EEENS0_18inequality_wrapperIZN2at6native12_GLOBAL__N_124unique_dim_cuda_templateImEESt5tupleIJNSH_6TensorESM_SM_EERKSM_lbbbEUlllE0_EEPmJS6_EEE10hipError_tPvRmT3_T4_T5_T6_T7_T9_mT8_P12ihipStream_tbDpT10_ENKUlT_T0_E_clISt17integral_constantIbLb1EES1C_EEDaS17_S18_EUlS17_E_NS1_11comp_targetILNS1_3genE5ELNS1_11target_archE942ELNS1_3gpuE9ELNS1_3repE0EEENS1_30default_config_static_selectorELNS0_4arch9wavefront6targetE0EEEvT1_,comdat
	.globl	_ZN7rocprim17ROCPRIM_400000_NS6detail17trampoline_kernelINS0_14default_configENS1_25partition_config_selectorILNS1_17partition_subalgoE8ElNS0_10empty_typeEbEEZZNS1_14partition_implILS5_8ELb0ES3_jPlPS6_PKS6_NS0_5tupleIJS9_S6_EEENSD_IJSA_SA_EEENS0_18inequality_wrapperIZN2at6native12_GLOBAL__N_124unique_dim_cuda_templateImEESt5tupleIJNSH_6TensorESM_SM_EERKSM_lbbbEUlllE0_EEPmJS6_EEE10hipError_tPvRmT3_T4_T5_T6_T7_T9_mT8_P12ihipStream_tbDpT10_ENKUlT_T0_E_clISt17integral_constantIbLb1EES1C_EEDaS17_S18_EUlS17_E_NS1_11comp_targetILNS1_3genE5ELNS1_11target_archE942ELNS1_3gpuE9ELNS1_3repE0EEENS1_30default_config_static_selectorELNS0_4arch9wavefront6targetE0EEEvT1_ ; -- Begin function _ZN7rocprim17ROCPRIM_400000_NS6detail17trampoline_kernelINS0_14default_configENS1_25partition_config_selectorILNS1_17partition_subalgoE8ElNS0_10empty_typeEbEEZZNS1_14partition_implILS5_8ELb0ES3_jPlPS6_PKS6_NS0_5tupleIJS9_S6_EEENSD_IJSA_SA_EEENS0_18inequality_wrapperIZN2at6native12_GLOBAL__N_124unique_dim_cuda_templateImEESt5tupleIJNSH_6TensorESM_SM_EERKSM_lbbbEUlllE0_EEPmJS6_EEE10hipError_tPvRmT3_T4_T5_T6_T7_T9_mT8_P12ihipStream_tbDpT10_ENKUlT_T0_E_clISt17integral_constantIbLb1EES1C_EEDaS17_S18_EUlS17_E_NS1_11comp_targetILNS1_3genE5ELNS1_11target_archE942ELNS1_3gpuE9ELNS1_3repE0EEENS1_30default_config_static_selectorELNS0_4arch9wavefront6targetE0EEEvT1_
	.p2align	8
	.type	_ZN7rocprim17ROCPRIM_400000_NS6detail17trampoline_kernelINS0_14default_configENS1_25partition_config_selectorILNS1_17partition_subalgoE8ElNS0_10empty_typeEbEEZZNS1_14partition_implILS5_8ELb0ES3_jPlPS6_PKS6_NS0_5tupleIJS9_S6_EEENSD_IJSA_SA_EEENS0_18inequality_wrapperIZN2at6native12_GLOBAL__N_124unique_dim_cuda_templateImEESt5tupleIJNSH_6TensorESM_SM_EERKSM_lbbbEUlllE0_EEPmJS6_EEE10hipError_tPvRmT3_T4_T5_T6_T7_T9_mT8_P12ihipStream_tbDpT10_ENKUlT_T0_E_clISt17integral_constantIbLb1EES1C_EEDaS17_S18_EUlS17_E_NS1_11comp_targetILNS1_3genE5ELNS1_11target_archE942ELNS1_3gpuE9ELNS1_3repE0EEENS1_30default_config_static_selectorELNS0_4arch9wavefront6targetE0EEEvT1_,@function
_ZN7rocprim17ROCPRIM_400000_NS6detail17trampoline_kernelINS0_14default_configENS1_25partition_config_selectorILNS1_17partition_subalgoE8ElNS0_10empty_typeEbEEZZNS1_14partition_implILS5_8ELb0ES3_jPlPS6_PKS6_NS0_5tupleIJS9_S6_EEENSD_IJSA_SA_EEENS0_18inequality_wrapperIZN2at6native12_GLOBAL__N_124unique_dim_cuda_templateImEESt5tupleIJNSH_6TensorESM_SM_EERKSM_lbbbEUlllE0_EEPmJS6_EEE10hipError_tPvRmT3_T4_T5_T6_T7_T9_mT8_P12ihipStream_tbDpT10_ENKUlT_T0_E_clISt17integral_constantIbLb1EES1C_EEDaS17_S18_EUlS17_E_NS1_11comp_targetILNS1_3genE5ELNS1_11target_archE942ELNS1_3gpuE9ELNS1_3repE0EEENS1_30default_config_static_selectorELNS0_4arch9wavefront6targetE0EEEvT1_: ; @_ZN7rocprim17ROCPRIM_400000_NS6detail17trampoline_kernelINS0_14default_configENS1_25partition_config_selectorILNS1_17partition_subalgoE8ElNS0_10empty_typeEbEEZZNS1_14partition_implILS5_8ELb0ES3_jPlPS6_PKS6_NS0_5tupleIJS9_S6_EEENSD_IJSA_SA_EEENS0_18inequality_wrapperIZN2at6native12_GLOBAL__N_124unique_dim_cuda_templateImEESt5tupleIJNSH_6TensorESM_SM_EERKSM_lbbbEUlllE0_EEPmJS6_EEE10hipError_tPvRmT3_T4_T5_T6_T7_T9_mT8_P12ihipStream_tbDpT10_ENKUlT_T0_E_clISt17integral_constantIbLb1EES1C_EEDaS17_S18_EUlS17_E_NS1_11comp_targetILNS1_3genE5ELNS1_11target_archE942ELNS1_3gpuE9ELNS1_3repE0EEENS1_30default_config_static_selectorELNS0_4arch9wavefront6targetE0EEEvT1_
; %bb.0:
	.section	.rodata,"a",@progbits
	.p2align	6, 0x0
	.amdhsa_kernel _ZN7rocprim17ROCPRIM_400000_NS6detail17trampoline_kernelINS0_14default_configENS1_25partition_config_selectorILNS1_17partition_subalgoE8ElNS0_10empty_typeEbEEZZNS1_14partition_implILS5_8ELb0ES3_jPlPS6_PKS6_NS0_5tupleIJS9_S6_EEENSD_IJSA_SA_EEENS0_18inequality_wrapperIZN2at6native12_GLOBAL__N_124unique_dim_cuda_templateImEESt5tupleIJNSH_6TensorESM_SM_EERKSM_lbbbEUlllE0_EEPmJS6_EEE10hipError_tPvRmT3_T4_T5_T6_T7_T9_mT8_P12ihipStream_tbDpT10_ENKUlT_T0_E_clISt17integral_constantIbLb1EES1C_EEDaS17_S18_EUlS17_E_NS1_11comp_targetILNS1_3genE5ELNS1_11target_archE942ELNS1_3gpuE9ELNS1_3repE0EEENS1_30default_config_static_selectorELNS0_4arch9wavefront6targetE0EEEvT1_
		.amdhsa_group_segment_fixed_size 0
		.amdhsa_private_segment_fixed_size 0
		.amdhsa_kernarg_size 136
		.amdhsa_user_sgpr_count 2
		.amdhsa_user_sgpr_dispatch_ptr 0
		.amdhsa_user_sgpr_queue_ptr 0
		.amdhsa_user_sgpr_kernarg_segment_ptr 1
		.amdhsa_user_sgpr_dispatch_id 0
		.amdhsa_user_sgpr_kernarg_preload_length 0
		.amdhsa_user_sgpr_kernarg_preload_offset 0
		.amdhsa_user_sgpr_private_segment_size 0
		.amdhsa_wavefront_size32 1
		.amdhsa_uses_dynamic_stack 0
		.amdhsa_enable_private_segment 0
		.amdhsa_system_sgpr_workgroup_id_x 1
		.amdhsa_system_sgpr_workgroup_id_y 0
		.amdhsa_system_sgpr_workgroup_id_z 0
		.amdhsa_system_sgpr_workgroup_info 0
		.amdhsa_system_vgpr_workitem_id 0
		.amdhsa_next_free_vgpr 1
		.amdhsa_next_free_sgpr 1
		.amdhsa_named_barrier_count 0
		.amdhsa_reserve_vcc 0
		.amdhsa_float_round_mode_32 0
		.amdhsa_float_round_mode_16_64 0
		.amdhsa_float_denorm_mode_32 3
		.amdhsa_float_denorm_mode_16_64 3
		.amdhsa_fp16_overflow 0
		.amdhsa_memory_ordered 1
		.amdhsa_forward_progress 1
		.amdhsa_inst_pref_size 0
		.amdhsa_round_robin_scheduling 0
		.amdhsa_exception_fp_ieee_invalid_op 0
		.amdhsa_exception_fp_denorm_src 0
		.amdhsa_exception_fp_ieee_div_zero 0
		.amdhsa_exception_fp_ieee_overflow 0
		.amdhsa_exception_fp_ieee_underflow 0
		.amdhsa_exception_fp_ieee_inexact 0
		.amdhsa_exception_int_div_zero 0
	.end_amdhsa_kernel
	.section	.text._ZN7rocprim17ROCPRIM_400000_NS6detail17trampoline_kernelINS0_14default_configENS1_25partition_config_selectorILNS1_17partition_subalgoE8ElNS0_10empty_typeEbEEZZNS1_14partition_implILS5_8ELb0ES3_jPlPS6_PKS6_NS0_5tupleIJS9_S6_EEENSD_IJSA_SA_EEENS0_18inequality_wrapperIZN2at6native12_GLOBAL__N_124unique_dim_cuda_templateImEESt5tupleIJNSH_6TensorESM_SM_EERKSM_lbbbEUlllE0_EEPmJS6_EEE10hipError_tPvRmT3_T4_T5_T6_T7_T9_mT8_P12ihipStream_tbDpT10_ENKUlT_T0_E_clISt17integral_constantIbLb1EES1C_EEDaS17_S18_EUlS17_E_NS1_11comp_targetILNS1_3genE5ELNS1_11target_archE942ELNS1_3gpuE9ELNS1_3repE0EEENS1_30default_config_static_selectorELNS0_4arch9wavefront6targetE0EEEvT1_,"axG",@progbits,_ZN7rocprim17ROCPRIM_400000_NS6detail17trampoline_kernelINS0_14default_configENS1_25partition_config_selectorILNS1_17partition_subalgoE8ElNS0_10empty_typeEbEEZZNS1_14partition_implILS5_8ELb0ES3_jPlPS6_PKS6_NS0_5tupleIJS9_S6_EEENSD_IJSA_SA_EEENS0_18inequality_wrapperIZN2at6native12_GLOBAL__N_124unique_dim_cuda_templateImEESt5tupleIJNSH_6TensorESM_SM_EERKSM_lbbbEUlllE0_EEPmJS6_EEE10hipError_tPvRmT3_T4_T5_T6_T7_T9_mT8_P12ihipStream_tbDpT10_ENKUlT_T0_E_clISt17integral_constantIbLb1EES1C_EEDaS17_S18_EUlS17_E_NS1_11comp_targetILNS1_3genE5ELNS1_11target_archE942ELNS1_3gpuE9ELNS1_3repE0EEENS1_30default_config_static_selectorELNS0_4arch9wavefront6targetE0EEEvT1_,comdat
.Lfunc_end1672:
	.size	_ZN7rocprim17ROCPRIM_400000_NS6detail17trampoline_kernelINS0_14default_configENS1_25partition_config_selectorILNS1_17partition_subalgoE8ElNS0_10empty_typeEbEEZZNS1_14partition_implILS5_8ELb0ES3_jPlPS6_PKS6_NS0_5tupleIJS9_S6_EEENSD_IJSA_SA_EEENS0_18inequality_wrapperIZN2at6native12_GLOBAL__N_124unique_dim_cuda_templateImEESt5tupleIJNSH_6TensorESM_SM_EERKSM_lbbbEUlllE0_EEPmJS6_EEE10hipError_tPvRmT3_T4_T5_T6_T7_T9_mT8_P12ihipStream_tbDpT10_ENKUlT_T0_E_clISt17integral_constantIbLb1EES1C_EEDaS17_S18_EUlS17_E_NS1_11comp_targetILNS1_3genE5ELNS1_11target_archE942ELNS1_3gpuE9ELNS1_3repE0EEENS1_30default_config_static_selectorELNS0_4arch9wavefront6targetE0EEEvT1_, .Lfunc_end1672-_ZN7rocprim17ROCPRIM_400000_NS6detail17trampoline_kernelINS0_14default_configENS1_25partition_config_selectorILNS1_17partition_subalgoE8ElNS0_10empty_typeEbEEZZNS1_14partition_implILS5_8ELb0ES3_jPlPS6_PKS6_NS0_5tupleIJS9_S6_EEENSD_IJSA_SA_EEENS0_18inequality_wrapperIZN2at6native12_GLOBAL__N_124unique_dim_cuda_templateImEESt5tupleIJNSH_6TensorESM_SM_EERKSM_lbbbEUlllE0_EEPmJS6_EEE10hipError_tPvRmT3_T4_T5_T6_T7_T9_mT8_P12ihipStream_tbDpT10_ENKUlT_T0_E_clISt17integral_constantIbLb1EES1C_EEDaS17_S18_EUlS17_E_NS1_11comp_targetILNS1_3genE5ELNS1_11target_archE942ELNS1_3gpuE9ELNS1_3repE0EEENS1_30default_config_static_selectorELNS0_4arch9wavefront6targetE0EEEvT1_
                                        ; -- End function
	.set _ZN7rocprim17ROCPRIM_400000_NS6detail17trampoline_kernelINS0_14default_configENS1_25partition_config_selectorILNS1_17partition_subalgoE8ElNS0_10empty_typeEbEEZZNS1_14partition_implILS5_8ELb0ES3_jPlPS6_PKS6_NS0_5tupleIJS9_S6_EEENSD_IJSA_SA_EEENS0_18inequality_wrapperIZN2at6native12_GLOBAL__N_124unique_dim_cuda_templateImEESt5tupleIJNSH_6TensorESM_SM_EERKSM_lbbbEUlllE0_EEPmJS6_EEE10hipError_tPvRmT3_T4_T5_T6_T7_T9_mT8_P12ihipStream_tbDpT10_ENKUlT_T0_E_clISt17integral_constantIbLb1EES1C_EEDaS17_S18_EUlS17_E_NS1_11comp_targetILNS1_3genE5ELNS1_11target_archE942ELNS1_3gpuE9ELNS1_3repE0EEENS1_30default_config_static_selectorELNS0_4arch9wavefront6targetE0EEEvT1_.num_vgpr, 0
	.set _ZN7rocprim17ROCPRIM_400000_NS6detail17trampoline_kernelINS0_14default_configENS1_25partition_config_selectorILNS1_17partition_subalgoE8ElNS0_10empty_typeEbEEZZNS1_14partition_implILS5_8ELb0ES3_jPlPS6_PKS6_NS0_5tupleIJS9_S6_EEENSD_IJSA_SA_EEENS0_18inequality_wrapperIZN2at6native12_GLOBAL__N_124unique_dim_cuda_templateImEESt5tupleIJNSH_6TensorESM_SM_EERKSM_lbbbEUlllE0_EEPmJS6_EEE10hipError_tPvRmT3_T4_T5_T6_T7_T9_mT8_P12ihipStream_tbDpT10_ENKUlT_T0_E_clISt17integral_constantIbLb1EES1C_EEDaS17_S18_EUlS17_E_NS1_11comp_targetILNS1_3genE5ELNS1_11target_archE942ELNS1_3gpuE9ELNS1_3repE0EEENS1_30default_config_static_selectorELNS0_4arch9wavefront6targetE0EEEvT1_.num_agpr, 0
	.set _ZN7rocprim17ROCPRIM_400000_NS6detail17trampoline_kernelINS0_14default_configENS1_25partition_config_selectorILNS1_17partition_subalgoE8ElNS0_10empty_typeEbEEZZNS1_14partition_implILS5_8ELb0ES3_jPlPS6_PKS6_NS0_5tupleIJS9_S6_EEENSD_IJSA_SA_EEENS0_18inequality_wrapperIZN2at6native12_GLOBAL__N_124unique_dim_cuda_templateImEESt5tupleIJNSH_6TensorESM_SM_EERKSM_lbbbEUlllE0_EEPmJS6_EEE10hipError_tPvRmT3_T4_T5_T6_T7_T9_mT8_P12ihipStream_tbDpT10_ENKUlT_T0_E_clISt17integral_constantIbLb1EES1C_EEDaS17_S18_EUlS17_E_NS1_11comp_targetILNS1_3genE5ELNS1_11target_archE942ELNS1_3gpuE9ELNS1_3repE0EEENS1_30default_config_static_selectorELNS0_4arch9wavefront6targetE0EEEvT1_.numbered_sgpr, 0
	.set _ZN7rocprim17ROCPRIM_400000_NS6detail17trampoline_kernelINS0_14default_configENS1_25partition_config_selectorILNS1_17partition_subalgoE8ElNS0_10empty_typeEbEEZZNS1_14partition_implILS5_8ELb0ES3_jPlPS6_PKS6_NS0_5tupleIJS9_S6_EEENSD_IJSA_SA_EEENS0_18inequality_wrapperIZN2at6native12_GLOBAL__N_124unique_dim_cuda_templateImEESt5tupleIJNSH_6TensorESM_SM_EERKSM_lbbbEUlllE0_EEPmJS6_EEE10hipError_tPvRmT3_T4_T5_T6_T7_T9_mT8_P12ihipStream_tbDpT10_ENKUlT_T0_E_clISt17integral_constantIbLb1EES1C_EEDaS17_S18_EUlS17_E_NS1_11comp_targetILNS1_3genE5ELNS1_11target_archE942ELNS1_3gpuE9ELNS1_3repE0EEENS1_30default_config_static_selectorELNS0_4arch9wavefront6targetE0EEEvT1_.num_named_barrier, 0
	.set _ZN7rocprim17ROCPRIM_400000_NS6detail17trampoline_kernelINS0_14default_configENS1_25partition_config_selectorILNS1_17partition_subalgoE8ElNS0_10empty_typeEbEEZZNS1_14partition_implILS5_8ELb0ES3_jPlPS6_PKS6_NS0_5tupleIJS9_S6_EEENSD_IJSA_SA_EEENS0_18inequality_wrapperIZN2at6native12_GLOBAL__N_124unique_dim_cuda_templateImEESt5tupleIJNSH_6TensorESM_SM_EERKSM_lbbbEUlllE0_EEPmJS6_EEE10hipError_tPvRmT3_T4_T5_T6_T7_T9_mT8_P12ihipStream_tbDpT10_ENKUlT_T0_E_clISt17integral_constantIbLb1EES1C_EEDaS17_S18_EUlS17_E_NS1_11comp_targetILNS1_3genE5ELNS1_11target_archE942ELNS1_3gpuE9ELNS1_3repE0EEENS1_30default_config_static_selectorELNS0_4arch9wavefront6targetE0EEEvT1_.private_seg_size, 0
	.set _ZN7rocprim17ROCPRIM_400000_NS6detail17trampoline_kernelINS0_14default_configENS1_25partition_config_selectorILNS1_17partition_subalgoE8ElNS0_10empty_typeEbEEZZNS1_14partition_implILS5_8ELb0ES3_jPlPS6_PKS6_NS0_5tupleIJS9_S6_EEENSD_IJSA_SA_EEENS0_18inequality_wrapperIZN2at6native12_GLOBAL__N_124unique_dim_cuda_templateImEESt5tupleIJNSH_6TensorESM_SM_EERKSM_lbbbEUlllE0_EEPmJS6_EEE10hipError_tPvRmT3_T4_T5_T6_T7_T9_mT8_P12ihipStream_tbDpT10_ENKUlT_T0_E_clISt17integral_constantIbLb1EES1C_EEDaS17_S18_EUlS17_E_NS1_11comp_targetILNS1_3genE5ELNS1_11target_archE942ELNS1_3gpuE9ELNS1_3repE0EEENS1_30default_config_static_selectorELNS0_4arch9wavefront6targetE0EEEvT1_.uses_vcc, 0
	.set _ZN7rocprim17ROCPRIM_400000_NS6detail17trampoline_kernelINS0_14default_configENS1_25partition_config_selectorILNS1_17partition_subalgoE8ElNS0_10empty_typeEbEEZZNS1_14partition_implILS5_8ELb0ES3_jPlPS6_PKS6_NS0_5tupleIJS9_S6_EEENSD_IJSA_SA_EEENS0_18inequality_wrapperIZN2at6native12_GLOBAL__N_124unique_dim_cuda_templateImEESt5tupleIJNSH_6TensorESM_SM_EERKSM_lbbbEUlllE0_EEPmJS6_EEE10hipError_tPvRmT3_T4_T5_T6_T7_T9_mT8_P12ihipStream_tbDpT10_ENKUlT_T0_E_clISt17integral_constantIbLb1EES1C_EEDaS17_S18_EUlS17_E_NS1_11comp_targetILNS1_3genE5ELNS1_11target_archE942ELNS1_3gpuE9ELNS1_3repE0EEENS1_30default_config_static_selectorELNS0_4arch9wavefront6targetE0EEEvT1_.uses_flat_scratch, 0
	.set _ZN7rocprim17ROCPRIM_400000_NS6detail17trampoline_kernelINS0_14default_configENS1_25partition_config_selectorILNS1_17partition_subalgoE8ElNS0_10empty_typeEbEEZZNS1_14partition_implILS5_8ELb0ES3_jPlPS6_PKS6_NS0_5tupleIJS9_S6_EEENSD_IJSA_SA_EEENS0_18inequality_wrapperIZN2at6native12_GLOBAL__N_124unique_dim_cuda_templateImEESt5tupleIJNSH_6TensorESM_SM_EERKSM_lbbbEUlllE0_EEPmJS6_EEE10hipError_tPvRmT3_T4_T5_T6_T7_T9_mT8_P12ihipStream_tbDpT10_ENKUlT_T0_E_clISt17integral_constantIbLb1EES1C_EEDaS17_S18_EUlS17_E_NS1_11comp_targetILNS1_3genE5ELNS1_11target_archE942ELNS1_3gpuE9ELNS1_3repE0EEENS1_30default_config_static_selectorELNS0_4arch9wavefront6targetE0EEEvT1_.has_dyn_sized_stack, 0
	.set _ZN7rocprim17ROCPRIM_400000_NS6detail17trampoline_kernelINS0_14default_configENS1_25partition_config_selectorILNS1_17partition_subalgoE8ElNS0_10empty_typeEbEEZZNS1_14partition_implILS5_8ELb0ES3_jPlPS6_PKS6_NS0_5tupleIJS9_S6_EEENSD_IJSA_SA_EEENS0_18inequality_wrapperIZN2at6native12_GLOBAL__N_124unique_dim_cuda_templateImEESt5tupleIJNSH_6TensorESM_SM_EERKSM_lbbbEUlllE0_EEPmJS6_EEE10hipError_tPvRmT3_T4_T5_T6_T7_T9_mT8_P12ihipStream_tbDpT10_ENKUlT_T0_E_clISt17integral_constantIbLb1EES1C_EEDaS17_S18_EUlS17_E_NS1_11comp_targetILNS1_3genE5ELNS1_11target_archE942ELNS1_3gpuE9ELNS1_3repE0EEENS1_30default_config_static_selectorELNS0_4arch9wavefront6targetE0EEEvT1_.has_recursion, 0
	.set _ZN7rocprim17ROCPRIM_400000_NS6detail17trampoline_kernelINS0_14default_configENS1_25partition_config_selectorILNS1_17partition_subalgoE8ElNS0_10empty_typeEbEEZZNS1_14partition_implILS5_8ELb0ES3_jPlPS6_PKS6_NS0_5tupleIJS9_S6_EEENSD_IJSA_SA_EEENS0_18inequality_wrapperIZN2at6native12_GLOBAL__N_124unique_dim_cuda_templateImEESt5tupleIJNSH_6TensorESM_SM_EERKSM_lbbbEUlllE0_EEPmJS6_EEE10hipError_tPvRmT3_T4_T5_T6_T7_T9_mT8_P12ihipStream_tbDpT10_ENKUlT_T0_E_clISt17integral_constantIbLb1EES1C_EEDaS17_S18_EUlS17_E_NS1_11comp_targetILNS1_3genE5ELNS1_11target_archE942ELNS1_3gpuE9ELNS1_3repE0EEENS1_30default_config_static_selectorELNS0_4arch9wavefront6targetE0EEEvT1_.has_indirect_call, 0
	.section	.AMDGPU.csdata,"",@progbits
; Kernel info:
; codeLenInByte = 0
; TotalNumSgprs: 0
; NumVgprs: 0
; ScratchSize: 0
; MemoryBound: 0
; FloatMode: 240
; IeeeMode: 1
; LDSByteSize: 0 bytes/workgroup (compile time only)
; SGPRBlocks: 0
; VGPRBlocks: 0
; NumSGPRsForWavesPerEU: 1
; NumVGPRsForWavesPerEU: 1
; NamedBarCnt: 0
; Occupancy: 16
; WaveLimiterHint : 0
; COMPUTE_PGM_RSRC2:SCRATCH_EN: 0
; COMPUTE_PGM_RSRC2:USER_SGPR: 2
; COMPUTE_PGM_RSRC2:TRAP_HANDLER: 0
; COMPUTE_PGM_RSRC2:TGID_X_EN: 1
; COMPUTE_PGM_RSRC2:TGID_Y_EN: 0
; COMPUTE_PGM_RSRC2:TGID_Z_EN: 0
; COMPUTE_PGM_RSRC2:TIDIG_COMP_CNT: 0
	.section	.text._ZN7rocprim17ROCPRIM_400000_NS6detail17trampoline_kernelINS0_14default_configENS1_25partition_config_selectorILNS1_17partition_subalgoE8ElNS0_10empty_typeEbEEZZNS1_14partition_implILS5_8ELb0ES3_jPlPS6_PKS6_NS0_5tupleIJS9_S6_EEENSD_IJSA_SA_EEENS0_18inequality_wrapperIZN2at6native12_GLOBAL__N_124unique_dim_cuda_templateImEESt5tupleIJNSH_6TensorESM_SM_EERKSM_lbbbEUlllE0_EEPmJS6_EEE10hipError_tPvRmT3_T4_T5_T6_T7_T9_mT8_P12ihipStream_tbDpT10_ENKUlT_T0_E_clISt17integral_constantIbLb1EES1C_EEDaS17_S18_EUlS17_E_NS1_11comp_targetILNS1_3genE4ELNS1_11target_archE910ELNS1_3gpuE8ELNS1_3repE0EEENS1_30default_config_static_selectorELNS0_4arch9wavefront6targetE0EEEvT1_,"axG",@progbits,_ZN7rocprim17ROCPRIM_400000_NS6detail17trampoline_kernelINS0_14default_configENS1_25partition_config_selectorILNS1_17partition_subalgoE8ElNS0_10empty_typeEbEEZZNS1_14partition_implILS5_8ELb0ES3_jPlPS6_PKS6_NS0_5tupleIJS9_S6_EEENSD_IJSA_SA_EEENS0_18inequality_wrapperIZN2at6native12_GLOBAL__N_124unique_dim_cuda_templateImEESt5tupleIJNSH_6TensorESM_SM_EERKSM_lbbbEUlllE0_EEPmJS6_EEE10hipError_tPvRmT3_T4_T5_T6_T7_T9_mT8_P12ihipStream_tbDpT10_ENKUlT_T0_E_clISt17integral_constantIbLb1EES1C_EEDaS17_S18_EUlS17_E_NS1_11comp_targetILNS1_3genE4ELNS1_11target_archE910ELNS1_3gpuE8ELNS1_3repE0EEENS1_30default_config_static_selectorELNS0_4arch9wavefront6targetE0EEEvT1_,comdat
	.globl	_ZN7rocprim17ROCPRIM_400000_NS6detail17trampoline_kernelINS0_14default_configENS1_25partition_config_selectorILNS1_17partition_subalgoE8ElNS0_10empty_typeEbEEZZNS1_14partition_implILS5_8ELb0ES3_jPlPS6_PKS6_NS0_5tupleIJS9_S6_EEENSD_IJSA_SA_EEENS0_18inequality_wrapperIZN2at6native12_GLOBAL__N_124unique_dim_cuda_templateImEESt5tupleIJNSH_6TensorESM_SM_EERKSM_lbbbEUlllE0_EEPmJS6_EEE10hipError_tPvRmT3_T4_T5_T6_T7_T9_mT8_P12ihipStream_tbDpT10_ENKUlT_T0_E_clISt17integral_constantIbLb1EES1C_EEDaS17_S18_EUlS17_E_NS1_11comp_targetILNS1_3genE4ELNS1_11target_archE910ELNS1_3gpuE8ELNS1_3repE0EEENS1_30default_config_static_selectorELNS0_4arch9wavefront6targetE0EEEvT1_ ; -- Begin function _ZN7rocprim17ROCPRIM_400000_NS6detail17trampoline_kernelINS0_14default_configENS1_25partition_config_selectorILNS1_17partition_subalgoE8ElNS0_10empty_typeEbEEZZNS1_14partition_implILS5_8ELb0ES3_jPlPS6_PKS6_NS0_5tupleIJS9_S6_EEENSD_IJSA_SA_EEENS0_18inequality_wrapperIZN2at6native12_GLOBAL__N_124unique_dim_cuda_templateImEESt5tupleIJNSH_6TensorESM_SM_EERKSM_lbbbEUlllE0_EEPmJS6_EEE10hipError_tPvRmT3_T4_T5_T6_T7_T9_mT8_P12ihipStream_tbDpT10_ENKUlT_T0_E_clISt17integral_constantIbLb1EES1C_EEDaS17_S18_EUlS17_E_NS1_11comp_targetILNS1_3genE4ELNS1_11target_archE910ELNS1_3gpuE8ELNS1_3repE0EEENS1_30default_config_static_selectorELNS0_4arch9wavefront6targetE0EEEvT1_
	.p2align	8
	.type	_ZN7rocprim17ROCPRIM_400000_NS6detail17trampoline_kernelINS0_14default_configENS1_25partition_config_selectorILNS1_17partition_subalgoE8ElNS0_10empty_typeEbEEZZNS1_14partition_implILS5_8ELb0ES3_jPlPS6_PKS6_NS0_5tupleIJS9_S6_EEENSD_IJSA_SA_EEENS0_18inequality_wrapperIZN2at6native12_GLOBAL__N_124unique_dim_cuda_templateImEESt5tupleIJNSH_6TensorESM_SM_EERKSM_lbbbEUlllE0_EEPmJS6_EEE10hipError_tPvRmT3_T4_T5_T6_T7_T9_mT8_P12ihipStream_tbDpT10_ENKUlT_T0_E_clISt17integral_constantIbLb1EES1C_EEDaS17_S18_EUlS17_E_NS1_11comp_targetILNS1_3genE4ELNS1_11target_archE910ELNS1_3gpuE8ELNS1_3repE0EEENS1_30default_config_static_selectorELNS0_4arch9wavefront6targetE0EEEvT1_,@function
_ZN7rocprim17ROCPRIM_400000_NS6detail17trampoline_kernelINS0_14default_configENS1_25partition_config_selectorILNS1_17partition_subalgoE8ElNS0_10empty_typeEbEEZZNS1_14partition_implILS5_8ELb0ES3_jPlPS6_PKS6_NS0_5tupleIJS9_S6_EEENSD_IJSA_SA_EEENS0_18inequality_wrapperIZN2at6native12_GLOBAL__N_124unique_dim_cuda_templateImEESt5tupleIJNSH_6TensorESM_SM_EERKSM_lbbbEUlllE0_EEPmJS6_EEE10hipError_tPvRmT3_T4_T5_T6_T7_T9_mT8_P12ihipStream_tbDpT10_ENKUlT_T0_E_clISt17integral_constantIbLb1EES1C_EEDaS17_S18_EUlS17_E_NS1_11comp_targetILNS1_3genE4ELNS1_11target_archE910ELNS1_3gpuE8ELNS1_3repE0EEENS1_30default_config_static_selectorELNS0_4arch9wavefront6targetE0EEEvT1_: ; @_ZN7rocprim17ROCPRIM_400000_NS6detail17trampoline_kernelINS0_14default_configENS1_25partition_config_selectorILNS1_17partition_subalgoE8ElNS0_10empty_typeEbEEZZNS1_14partition_implILS5_8ELb0ES3_jPlPS6_PKS6_NS0_5tupleIJS9_S6_EEENSD_IJSA_SA_EEENS0_18inequality_wrapperIZN2at6native12_GLOBAL__N_124unique_dim_cuda_templateImEESt5tupleIJNSH_6TensorESM_SM_EERKSM_lbbbEUlllE0_EEPmJS6_EEE10hipError_tPvRmT3_T4_T5_T6_T7_T9_mT8_P12ihipStream_tbDpT10_ENKUlT_T0_E_clISt17integral_constantIbLb1EES1C_EEDaS17_S18_EUlS17_E_NS1_11comp_targetILNS1_3genE4ELNS1_11target_archE910ELNS1_3gpuE8ELNS1_3repE0EEENS1_30default_config_static_selectorELNS0_4arch9wavefront6targetE0EEEvT1_
; %bb.0:
	.section	.rodata,"a",@progbits
	.p2align	6, 0x0
	.amdhsa_kernel _ZN7rocprim17ROCPRIM_400000_NS6detail17trampoline_kernelINS0_14default_configENS1_25partition_config_selectorILNS1_17partition_subalgoE8ElNS0_10empty_typeEbEEZZNS1_14partition_implILS5_8ELb0ES3_jPlPS6_PKS6_NS0_5tupleIJS9_S6_EEENSD_IJSA_SA_EEENS0_18inequality_wrapperIZN2at6native12_GLOBAL__N_124unique_dim_cuda_templateImEESt5tupleIJNSH_6TensorESM_SM_EERKSM_lbbbEUlllE0_EEPmJS6_EEE10hipError_tPvRmT3_T4_T5_T6_T7_T9_mT8_P12ihipStream_tbDpT10_ENKUlT_T0_E_clISt17integral_constantIbLb1EES1C_EEDaS17_S18_EUlS17_E_NS1_11comp_targetILNS1_3genE4ELNS1_11target_archE910ELNS1_3gpuE8ELNS1_3repE0EEENS1_30default_config_static_selectorELNS0_4arch9wavefront6targetE0EEEvT1_
		.amdhsa_group_segment_fixed_size 0
		.amdhsa_private_segment_fixed_size 0
		.amdhsa_kernarg_size 136
		.amdhsa_user_sgpr_count 2
		.amdhsa_user_sgpr_dispatch_ptr 0
		.amdhsa_user_sgpr_queue_ptr 0
		.amdhsa_user_sgpr_kernarg_segment_ptr 1
		.amdhsa_user_sgpr_dispatch_id 0
		.amdhsa_user_sgpr_kernarg_preload_length 0
		.amdhsa_user_sgpr_kernarg_preload_offset 0
		.amdhsa_user_sgpr_private_segment_size 0
		.amdhsa_wavefront_size32 1
		.amdhsa_uses_dynamic_stack 0
		.amdhsa_enable_private_segment 0
		.amdhsa_system_sgpr_workgroup_id_x 1
		.amdhsa_system_sgpr_workgroup_id_y 0
		.amdhsa_system_sgpr_workgroup_id_z 0
		.amdhsa_system_sgpr_workgroup_info 0
		.amdhsa_system_vgpr_workitem_id 0
		.amdhsa_next_free_vgpr 1
		.amdhsa_next_free_sgpr 1
		.amdhsa_named_barrier_count 0
		.amdhsa_reserve_vcc 0
		.amdhsa_float_round_mode_32 0
		.amdhsa_float_round_mode_16_64 0
		.amdhsa_float_denorm_mode_32 3
		.amdhsa_float_denorm_mode_16_64 3
		.amdhsa_fp16_overflow 0
		.amdhsa_memory_ordered 1
		.amdhsa_forward_progress 1
		.amdhsa_inst_pref_size 0
		.amdhsa_round_robin_scheduling 0
		.amdhsa_exception_fp_ieee_invalid_op 0
		.amdhsa_exception_fp_denorm_src 0
		.amdhsa_exception_fp_ieee_div_zero 0
		.amdhsa_exception_fp_ieee_overflow 0
		.amdhsa_exception_fp_ieee_underflow 0
		.amdhsa_exception_fp_ieee_inexact 0
		.amdhsa_exception_int_div_zero 0
	.end_amdhsa_kernel
	.section	.text._ZN7rocprim17ROCPRIM_400000_NS6detail17trampoline_kernelINS0_14default_configENS1_25partition_config_selectorILNS1_17partition_subalgoE8ElNS0_10empty_typeEbEEZZNS1_14partition_implILS5_8ELb0ES3_jPlPS6_PKS6_NS0_5tupleIJS9_S6_EEENSD_IJSA_SA_EEENS0_18inequality_wrapperIZN2at6native12_GLOBAL__N_124unique_dim_cuda_templateImEESt5tupleIJNSH_6TensorESM_SM_EERKSM_lbbbEUlllE0_EEPmJS6_EEE10hipError_tPvRmT3_T4_T5_T6_T7_T9_mT8_P12ihipStream_tbDpT10_ENKUlT_T0_E_clISt17integral_constantIbLb1EES1C_EEDaS17_S18_EUlS17_E_NS1_11comp_targetILNS1_3genE4ELNS1_11target_archE910ELNS1_3gpuE8ELNS1_3repE0EEENS1_30default_config_static_selectorELNS0_4arch9wavefront6targetE0EEEvT1_,"axG",@progbits,_ZN7rocprim17ROCPRIM_400000_NS6detail17trampoline_kernelINS0_14default_configENS1_25partition_config_selectorILNS1_17partition_subalgoE8ElNS0_10empty_typeEbEEZZNS1_14partition_implILS5_8ELb0ES3_jPlPS6_PKS6_NS0_5tupleIJS9_S6_EEENSD_IJSA_SA_EEENS0_18inequality_wrapperIZN2at6native12_GLOBAL__N_124unique_dim_cuda_templateImEESt5tupleIJNSH_6TensorESM_SM_EERKSM_lbbbEUlllE0_EEPmJS6_EEE10hipError_tPvRmT3_T4_T5_T6_T7_T9_mT8_P12ihipStream_tbDpT10_ENKUlT_T0_E_clISt17integral_constantIbLb1EES1C_EEDaS17_S18_EUlS17_E_NS1_11comp_targetILNS1_3genE4ELNS1_11target_archE910ELNS1_3gpuE8ELNS1_3repE0EEENS1_30default_config_static_selectorELNS0_4arch9wavefront6targetE0EEEvT1_,comdat
.Lfunc_end1673:
	.size	_ZN7rocprim17ROCPRIM_400000_NS6detail17trampoline_kernelINS0_14default_configENS1_25partition_config_selectorILNS1_17partition_subalgoE8ElNS0_10empty_typeEbEEZZNS1_14partition_implILS5_8ELb0ES3_jPlPS6_PKS6_NS0_5tupleIJS9_S6_EEENSD_IJSA_SA_EEENS0_18inequality_wrapperIZN2at6native12_GLOBAL__N_124unique_dim_cuda_templateImEESt5tupleIJNSH_6TensorESM_SM_EERKSM_lbbbEUlllE0_EEPmJS6_EEE10hipError_tPvRmT3_T4_T5_T6_T7_T9_mT8_P12ihipStream_tbDpT10_ENKUlT_T0_E_clISt17integral_constantIbLb1EES1C_EEDaS17_S18_EUlS17_E_NS1_11comp_targetILNS1_3genE4ELNS1_11target_archE910ELNS1_3gpuE8ELNS1_3repE0EEENS1_30default_config_static_selectorELNS0_4arch9wavefront6targetE0EEEvT1_, .Lfunc_end1673-_ZN7rocprim17ROCPRIM_400000_NS6detail17trampoline_kernelINS0_14default_configENS1_25partition_config_selectorILNS1_17partition_subalgoE8ElNS0_10empty_typeEbEEZZNS1_14partition_implILS5_8ELb0ES3_jPlPS6_PKS6_NS0_5tupleIJS9_S6_EEENSD_IJSA_SA_EEENS0_18inequality_wrapperIZN2at6native12_GLOBAL__N_124unique_dim_cuda_templateImEESt5tupleIJNSH_6TensorESM_SM_EERKSM_lbbbEUlllE0_EEPmJS6_EEE10hipError_tPvRmT3_T4_T5_T6_T7_T9_mT8_P12ihipStream_tbDpT10_ENKUlT_T0_E_clISt17integral_constantIbLb1EES1C_EEDaS17_S18_EUlS17_E_NS1_11comp_targetILNS1_3genE4ELNS1_11target_archE910ELNS1_3gpuE8ELNS1_3repE0EEENS1_30default_config_static_selectorELNS0_4arch9wavefront6targetE0EEEvT1_
                                        ; -- End function
	.set _ZN7rocprim17ROCPRIM_400000_NS6detail17trampoline_kernelINS0_14default_configENS1_25partition_config_selectorILNS1_17partition_subalgoE8ElNS0_10empty_typeEbEEZZNS1_14partition_implILS5_8ELb0ES3_jPlPS6_PKS6_NS0_5tupleIJS9_S6_EEENSD_IJSA_SA_EEENS0_18inequality_wrapperIZN2at6native12_GLOBAL__N_124unique_dim_cuda_templateImEESt5tupleIJNSH_6TensorESM_SM_EERKSM_lbbbEUlllE0_EEPmJS6_EEE10hipError_tPvRmT3_T4_T5_T6_T7_T9_mT8_P12ihipStream_tbDpT10_ENKUlT_T0_E_clISt17integral_constantIbLb1EES1C_EEDaS17_S18_EUlS17_E_NS1_11comp_targetILNS1_3genE4ELNS1_11target_archE910ELNS1_3gpuE8ELNS1_3repE0EEENS1_30default_config_static_selectorELNS0_4arch9wavefront6targetE0EEEvT1_.num_vgpr, 0
	.set _ZN7rocprim17ROCPRIM_400000_NS6detail17trampoline_kernelINS0_14default_configENS1_25partition_config_selectorILNS1_17partition_subalgoE8ElNS0_10empty_typeEbEEZZNS1_14partition_implILS5_8ELb0ES3_jPlPS6_PKS6_NS0_5tupleIJS9_S6_EEENSD_IJSA_SA_EEENS0_18inequality_wrapperIZN2at6native12_GLOBAL__N_124unique_dim_cuda_templateImEESt5tupleIJNSH_6TensorESM_SM_EERKSM_lbbbEUlllE0_EEPmJS6_EEE10hipError_tPvRmT3_T4_T5_T6_T7_T9_mT8_P12ihipStream_tbDpT10_ENKUlT_T0_E_clISt17integral_constantIbLb1EES1C_EEDaS17_S18_EUlS17_E_NS1_11comp_targetILNS1_3genE4ELNS1_11target_archE910ELNS1_3gpuE8ELNS1_3repE0EEENS1_30default_config_static_selectorELNS0_4arch9wavefront6targetE0EEEvT1_.num_agpr, 0
	.set _ZN7rocprim17ROCPRIM_400000_NS6detail17trampoline_kernelINS0_14default_configENS1_25partition_config_selectorILNS1_17partition_subalgoE8ElNS0_10empty_typeEbEEZZNS1_14partition_implILS5_8ELb0ES3_jPlPS6_PKS6_NS0_5tupleIJS9_S6_EEENSD_IJSA_SA_EEENS0_18inequality_wrapperIZN2at6native12_GLOBAL__N_124unique_dim_cuda_templateImEESt5tupleIJNSH_6TensorESM_SM_EERKSM_lbbbEUlllE0_EEPmJS6_EEE10hipError_tPvRmT3_T4_T5_T6_T7_T9_mT8_P12ihipStream_tbDpT10_ENKUlT_T0_E_clISt17integral_constantIbLb1EES1C_EEDaS17_S18_EUlS17_E_NS1_11comp_targetILNS1_3genE4ELNS1_11target_archE910ELNS1_3gpuE8ELNS1_3repE0EEENS1_30default_config_static_selectorELNS0_4arch9wavefront6targetE0EEEvT1_.numbered_sgpr, 0
	.set _ZN7rocprim17ROCPRIM_400000_NS6detail17trampoline_kernelINS0_14default_configENS1_25partition_config_selectorILNS1_17partition_subalgoE8ElNS0_10empty_typeEbEEZZNS1_14partition_implILS5_8ELb0ES3_jPlPS6_PKS6_NS0_5tupleIJS9_S6_EEENSD_IJSA_SA_EEENS0_18inequality_wrapperIZN2at6native12_GLOBAL__N_124unique_dim_cuda_templateImEESt5tupleIJNSH_6TensorESM_SM_EERKSM_lbbbEUlllE0_EEPmJS6_EEE10hipError_tPvRmT3_T4_T5_T6_T7_T9_mT8_P12ihipStream_tbDpT10_ENKUlT_T0_E_clISt17integral_constantIbLb1EES1C_EEDaS17_S18_EUlS17_E_NS1_11comp_targetILNS1_3genE4ELNS1_11target_archE910ELNS1_3gpuE8ELNS1_3repE0EEENS1_30default_config_static_selectorELNS0_4arch9wavefront6targetE0EEEvT1_.num_named_barrier, 0
	.set _ZN7rocprim17ROCPRIM_400000_NS6detail17trampoline_kernelINS0_14default_configENS1_25partition_config_selectorILNS1_17partition_subalgoE8ElNS0_10empty_typeEbEEZZNS1_14partition_implILS5_8ELb0ES3_jPlPS6_PKS6_NS0_5tupleIJS9_S6_EEENSD_IJSA_SA_EEENS0_18inequality_wrapperIZN2at6native12_GLOBAL__N_124unique_dim_cuda_templateImEESt5tupleIJNSH_6TensorESM_SM_EERKSM_lbbbEUlllE0_EEPmJS6_EEE10hipError_tPvRmT3_T4_T5_T6_T7_T9_mT8_P12ihipStream_tbDpT10_ENKUlT_T0_E_clISt17integral_constantIbLb1EES1C_EEDaS17_S18_EUlS17_E_NS1_11comp_targetILNS1_3genE4ELNS1_11target_archE910ELNS1_3gpuE8ELNS1_3repE0EEENS1_30default_config_static_selectorELNS0_4arch9wavefront6targetE0EEEvT1_.private_seg_size, 0
	.set _ZN7rocprim17ROCPRIM_400000_NS6detail17trampoline_kernelINS0_14default_configENS1_25partition_config_selectorILNS1_17partition_subalgoE8ElNS0_10empty_typeEbEEZZNS1_14partition_implILS5_8ELb0ES3_jPlPS6_PKS6_NS0_5tupleIJS9_S6_EEENSD_IJSA_SA_EEENS0_18inequality_wrapperIZN2at6native12_GLOBAL__N_124unique_dim_cuda_templateImEESt5tupleIJNSH_6TensorESM_SM_EERKSM_lbbbEUlllE0_EEPmJS6_EEE10hipError_tPvRmT3_T4_T5_T6_T7_T9_mT8_P12ihipStream_tbDpT10_ENKUlT_T0_E_clISt17integral_constantIbLb1EES1C_EEDaS17_S18_EUlS17_E_NS1_11comp_targetILNS1_3genE4ELNS1_11target_archE910ELNS1_3gpuE8ELNS1_3repE0EEENS1_30default_config_static_selectorELNS0_4arch9wavefront6targetE0EEEvT1_.uses_vcc, 0
	.set _ZN7rocprim17ROCPRIM_400000_NS6detail17trampoline_kernelINS0_14default_configENS1_25partition_config_selectorILNS1_17partition_subalgoE8ElNS0_10empty_typeEbEEZZNS1_14partition_implILS5_8ELb0ES3_jPlPS6_PKS6_NS0_5tupleIJS9_S6_EEENSD_IJSA_SA_EEENS0_18inequality_wrapperIZN2at6native12_GLOBAL__N_124unique_dim_cuda_templateImEESt5tupleIJNSH_6TensorESM_SM_EERKSM_lbbbEUlllE0_EEPmJS6_EEE10hipError_tPvRmT3_T4_T5_T6_T7_T9_mT8_P12ihipStream_tbDpT10_ENKUlT_T0_E_clISt17integral_constantIbLb1EES1C_EEDaS17_S18_EUlS17_E_NS1_11comp_targetILNS1_3genE4ELNS1_11target_archE910ELNS1_3gpuE8ELNS1_3repE0EEENS1_30default_config_static_selectorELNS0_4arch9wavefront6targetE0EEEvT1_.uses_flat_scratch, 0
	.set _ZN7rocprim17ROCPRIM_400000_NS6detail17trampoline_kernelINS0_14default_configENS1_25partition_config_selectorILNS1_17partition_subalgoE8ElNS0_10empty_typeEbEEZZNS1_14partition_implILS5_8ELb0ES3_jPlPS6_PKS6_NS0_5tupleIJS9_S6_EEENSD_IJSA_SA_EEENS0_18inequality_wrapperIZN2at6native12_GLOBAL__N_124unique_dim_cuda_templateImEESt5tupleIJNSH_6TensorESM_SM_EERKSM_lbbbEUlllE0_EEPmJS6_EEE10hipError_tPvRmT3_T4_T5_T6_T7_T9_mT8_P12ihipStream_tbDpT10_ENKUlT_T0_E_clISt17integral_constantIbLb1EES1C_EEDaS17_S18_EUlS17_E_NS1_11comp_targetILNS1_3genE4ELNS1_11target_archE910ELNS1_3gpuE8ELNS1_3repE0EEENS1_30default_config_static_selectorELNS0_4arch9wavefront6targetE0EEEvT1_.has_dyn_sized_stack, 0
	.set _ZN7rocprim17ROCPRIM_400000_NS6detail17trampoline_kernelINS0_14default_configENS1_25partition_config_selectorILNS1_17partition_subalgoE8ElNS0_10empty_typeEbEEZZNS1_14partition_implILS5_8ELb0ES3_jPlPS6_PKS6_NS0_5tupleIJS9_S6_EEENSD_IJSA_SA_EEENS0_18inequality_wrapperIZN2at6native12_GLOBAL__N_124unique_dim_cuda_templateImEESt5tupleIJNSH_6TensorESM_SM_EERKSM_lbbbEUlllE0_EEPmJS6_EEE10hipError_tPvRmT3_T4_T5_T6_T7_T9_mT8_P12ihipStream_tbDpT10_ENKUlT_T0_E_clISt17integral_constantIbLb1EES1C_EEDaS17_S18_EUlS17_E_NS1_11comp_targetILNS1_3genE4ELNS1_11target_archE910ELNS1_3gpuE8ELNS1_3repE0EEENS1_30default_config_static_selectorELNS0_4arch9wavefront6targetE0EEEvT1_.has_recursion, 0
	.set _ZN7rocprim17ROCPRIM_400000_NS6detail17trampoline_kernelINS0_14default_configENS1_25partition_config_selectorILNS1_17partition_subalgoE8ElNS0_10empty_typeEbEEZZNS1_14partition_implILS5_8ELb0ES3_jPlPS6_PKS6_NS0_5tupleIJS9_S6_EEENSD_IJSA_SA_EEENS0_18inequality_wrapperIZN2at6native12_GLOBAL__N_124unique_dim_cuda_templateImEESt5tupleIJNSH_6TensorESM_SM_EERKSM_lbbbEUlllE0_EEPmJS6_EEE10hipError_tPvRmT3_T4_T5_T6_T7_T9_mT8_P12ihipStream_tbDpT10_ENKUlT_T0_E_clISt17integral_constantIbLb1EES1C_EEDaS17_S18_EUlS17_E_NS1_11comp_targetILNS1_3genE4ELNS1_11target_archE910ELNS1_3gpuE8ELNS1_3repE0EEENS1_30default_config_static_selectorELNS0_4arch9wavefront6targetE0EEEvT1_.has_indirect_call, 0
	.section	.AMDGPU.csdata,"",@progbits
; Kernel info:
; codeLenInByte = 0
; TotalNumSgprs: 0
; NumVgprs: 0
; ScratchSize: 0
; MemoryBound: 0
; FloatMode: 240
; IeeeMode: 1
; LDSByteSize: 0 bytes/workgroup (compile time only)
; SGPRBlocks: 0
; VGPRBlocks: 0
; NumSGPRsForWavesPerEU: 1
; NumVGPRsForWavesPerEU: 1
; NamedBarCnt: 0
; Occupancy: 16
; WaveLimiterHint : 0
; COMPUTE_PGM_RSRC2:SCRATCH_EN: 0
; COMPUTE_PGM_RSRC2:USER_SGPR: 2
; COMPUTE_PGM_RSRC2:TRAP_HANDLER: 0
; COMPUTE_PGM_RSRC2:TGID_X_EN: 1
; COMPUTE_PGM_RSRC2:TGID_Y_EN: 0
; COMPUTE_PGM_RSRC2:TGID_Z_EN: 0
; COMPUTE_PGM_RSRC2:TIDIG_COMP_CNT: 0
	.section	.text._ZN7rocprim17ROCPRIM_400000_NS6detail17trampoline_kernelINS0_14default_configENS1_25partition_config_selectorILNS1_17partition_subalgoE8ElNS0_10empty_typeEbEEZZNS1_14partition_implILS5_8ELb0ES3_jPlPS6_PKS6_NS0_5tupleIJS9_S6_EEENSD_IJSA_SA_EEENS0_18inequality_wrapperIZN2at6native12_GLOBAL__N_124unique_dim_cuda_templateImEESt5tupleIJNSH_6TensorESM_SM_EERKSM_lbbbEUlllE0_EEPmJS6_EEE10hipError_tPvRmT3_T4_T5_T6_T7_T9_mT8_P12ihipStream_tbDpT10_ENKUlT_T0_E_clISt17integral_constantIbLb1EES1C_EEDaS17_S18_EUlS17_E_NS1_11comp_targetILNS1_3genE3ELNS1_11target_archE908ELNS1_3gpuE7ELNS1_3repE0EEENS1_30default_config_static_selectorELNS0_4arch9wavefront6targetE0EEEvT1_,"axG",@progbits,_ZN7rocprim17ROCPRIM_400000_NS6detail17trampoline_kernelINS0_14default_configENS1_25partition_config_selectorILNS1_17partition_subalgoE8ElNS0_10empty_typeEbEEZZNS1_14partition_implILS5_8ELb0ES3_jPlPS6_PKS6_NS0_5tupleIJS9_S6_EEENSD_IJSA_SA_EEENS0_18inequality_wrapperIZN2at6native12_GLOBAL__N_124unique_dim_cuda_templateImEESt5tupleIJNSH_6TensorESM_SM_EERKSM_lbbbEUlllE0_EEPmJS6_EEE10hipError_tPvRmT3_T4_T5_T6_T7_T9_mT8_P12ihipStream_tbDpT10_ENKUlT_T0_E_clISt17integral_constantIbLb1EES1C_EEDaS17_S18_EUlS17_E_NS1_11comp_targetILNS1_3genE3ELNS1_11target_archE908ELNS1_3gpuE7ELNS1_3repE0EEENS1_30default_config_static_selectorELNS0_4arch9wavefront6targetE0EEEvT1_,comdat
	.globl	_ZN7rocprim17ROCPRIM_400000_NS6detail17trampoline_kernelINS0_14default_configENS1_25partition_config_selectorILNS1_17partition_subalgoE8ElNS0_10empty_typeEbEEZZNS1_14partition_implILS5_8ELb0ES3_jPlPS6_PKS6_NS0_5tupleIJS9_S6_EEENSD_IJSA_SA_EEENS0_18inequality_wrapperIZN2at6native12_GLOBAL__N_124unique_dim_cuda_templateImEESt5tupleIJNSH_6TensorESM_SM_EERKSM_lbbbEUlllE0_EEPmJS6_EEE10hipError_tPvRmT3_T4_T5_T6_T7_T9_mT8_P12ihipStream_tbDpT10_ENKUlT_T0_E_clISt17integral_constantIbLb1EES1C_EEDaS17_S18_EUlS17_E_NS1_11comp_targetILNS1_3genE3ELNS1_11target_archE908ELNS1_3gpuE7ELNS1_3repE0EEENS1_30default_config_static_selectorELNS0_4arch9wavefront6targetE0EEEvT1_ ; -- Begin function _ZN7rocprim17ROCPRIM_400000_NS6detail17trampoline_kernelINS0_14default_configENS1_25partition_config_selectorILNS1_17partition_subalgoE8ElNS0_10empty_typeEbEEZZNS1_14partition_implILS5_8ELb0ES3_jPlPS6_PKS6_NS0_5tupleIJS9_S6_EEENSD_IJSA_SA_EEENS0_18inequality_wrapperIZN2at6native12_GLOBAL__N_124unique_dim_cuda_templateImEESt5tupleIJNSH_6TensorESM_SM_EERKSM_lbbbEUlllE0_EEPmJS6_EEE10hipError_tPvRmT3_T4_T5_T6_T7_T9_mT8_P12ihipStream_tbDpT10_ENKUlT_T0_E_clISt17integral_constantIbLb1EES1C_EEDaS17_S18_EUlS17_E_NS1_11comp_targetILNS1_3genE3ELNS1_11target_archE908ELNS1_3gpuE7ELNS1_3repE0EEENS1_30default_config_static_selectorELNS0_4arch9wavefront6targetE0EEEvT1_
	.p2align	8
	.type	_ZN7rocprim17ROCPRIM_400000_NS6detail17trampoline_kernelINS0_14default_configENS1_25partition_config_selectorILNS1_17partition_subalgoE8ElNS0_10empty_typeEbEEZZNS1_14partition_implILS5_8ELb0ES3_jPlPS6_PKS6_NS0_5tupleIJS9_S6_EEENSD_IJSA_SA_EEENS0_18inequality_wrapperIZN2at6native12_GLOBAL__N_124unique_dim_cuda_templateImEESt5tupleIJNSH_6TensorESM_SM_EERKSM_lbbbEUlllE0_EEPmJS6_EEE10hipError_tPvRmT3_T4_T5_T6_T7_T9_mT8_P12ihipStream_tbDpT10_ENKUlT_T0_E_clISt17integral_constantIbLb1EES1C_EEDaS17_S18_EUlS17_E_NS1_11comp_targetILNS1_3genE3ELNS1_11target_archE908ELNS1_3gpuE7ELNS1_3repE0EEENS1_30default_config_static_selectorELNS0_4arch9wavefront6targetE0EEEvT1_,@function
_ZN7rocprim17ROCPRIM_400000_NS6detail17trampoline_kernelINS0_14default_configENS1_25partition_config_selectorILNS1_17partition_subalgoE8ElNS0_10empty_typeEbEEZZNS1_14partition_implILS5_8ELb0ES3_jPlPS6_PKS6_NS0_5tupleIJS9_S6_EEENSD_IJSA_SA_EEENS0_18inequality_wrapperIZN2at6native12_GLOBAL__N_124unique_dim_cuda_templateImEESt5tupleIJNSH_6TensorESM_SM_EERKSM_lbbbEUlllE0_EEPmJS6_EEE10hipError_tPvRmT3_T4_T5_T6_T7_T9_mT8_P12ihipStream_tbDpT10_ENKUlT_T0_E_clISt17integral_constantIbLb1EES1C_EEDaS17_S18_EUlS17_E_NS1_11comp_targetILNS1_3genE3ELNS1_11target_archE908ELNS1_3gpuE7ELNS1_3repE0EEENS1_30default_config_static_selectorELNS0_4arch9wavefront6targetE0EEEvT1_: ; @_ZN7rocprim17ROCPRIM_400000_NS6detail17trampoline_kernelINS0_14default_configENS1_25partition_config_selectorILNS1_17partition_subalgoE8ElNS0_10empty_typeEbEEZZNS1_14partition_implILS5_8ELb0ES3_jPlPS6_PKS6_NS0_5tupleIJS9_S6_EEENSD_IJSA_SA_EEENS0_18inequality_wrapperIZN2at6native12_GLOBAL__N_124unique_dim_cuda_templateImEESt5tupleIJNSH_6TensorESM_SM_EERKSM_lbbbEUlllE0_EEPmJS6_EEE10hipError_tPvRmT3_T4_T5_T6_T7_T9_mT8_P12ihipStream_tbDpT10_ENKUlT_T0_E_clISt17integral_constantIbLb1EES1C_EEDaS17_S18_EUlS17_E_NS1_11comp_targetILNS1_3genE3ELNS1_11target_archE908ELNS1_3gpuE7ELNS1_3repE0EEENS1_30default_config_static_selectorELNS0_4arch9wavefront6targetE0EEEvT1_
; %bb.0:
	.section	.rodata,"a",@progbits
	.p2align	6, 0x0
	.amdhsa_kernel _ZN7rocprim17ROCPRIM_400000_NS6detail17trampoline_kernelINS0_14default_configENS1_25partition_config_selectorILNS1_17partition_subalgoE8ElNS0_10empty_typeEbEEZZNS1_14partition_implILS5_8ELb0ES3_jPlPS6_PKS6_NS0_5tupleIJS9_S6_EEENSD_IJSA_SA_EEENS0_18inequality_wrapperIZN2at6native12_GLOBAL__N_124unique_dim_cuda_templateImEESt5tupleIJNSH_6TensorESM_SM_EERKSM_lbbbEUlllE0_EEPmJS6_EEE10hipError_tPvRmT3_T4_T5_T6_T7_T9_mT8_P12ihipStream_tbDpT10_ENKUlT_T0_E_clISt17integral_constantIbLb1EES1C_EEDaS17_S18_EUlS17_E_NS1_11comp_targetILNS1_3genE3ELNS1_11target_archE908ELNS1_3gpuE7ELNS1_3repE0EEENS1_30default_config_static_selectorELNS0_4arch9wavefront6targetE0EEEvT1_
		.amdhsa_group_segment_fixed_size 0
		.amdhsa_private_segment_fixed_size 0
		.amdhsa_kernarg_size 136
		.amdhsa_user_sgpr_count 2
		.amdhsa_user_sgpr_dispatch_ptr 0
		.amdhsa_user_sgpr_queue_ptr 0
		.amdhsa_user_sgpr_kernarg_segment_ptr 1
		.amdhsa_user_sgpr_dispatch_id 0
		.amdhsa_user_sgpr_kernarg_preload_length 0
		.amdhsa_user_sgpr_kernarg_preload_offset 0
		.amdhsa_user_sgpr_private_segment_size 0
		.amdhsa_wavefront_size32 1
		.amdhsa_uses_dynamic_stack 0
		.amdhsa_enable_private_segment 0
		.amdhsa_system_sgpr_workgroup_id_x 1
		.amdhsa_system_sgpr_workgroup_id_y 0
		.amdhsa_system_sgpr_workgroup_id_z 0
		.amdhsa_system_sgpr_workgroup_info 0
		.amdhsa_system_vgpr_workitem_id 0
		.amdhsa_next_free_vgpr 1
		.amdhsa_next_free_sgpr 1
		.amdhsa_named_barrier_count 0
		.amdhsa_reserve_vcc 0
		.amdhsa_float_round_mode_32 0
		.amdhsa_float_round_mode_16_64 0
		.amdhsa_float_denorm_mode_32 3
		.amdhsa_float_denorm_mode_16_64 3
		.amdhsa_fp16_overflow 0
		.amdhsa_memory_ordered 1
		.amdhsa_forward_progress 1
		.amdhsa_inst_pref_size 0
		.amdhsa_round_robin_scheduling 0
		.amdhsa_exception_fp_ieee_invalid_op 0
		.amdhsa_exception_fp_denorm_src 0
		.amdhsa_exception_fp_ieee_div_zero 0
		.amdhsa_exception_fp_ieee_overflow 0
		.amdhsa_exception_fp_ieee_underflow 0
		.amdhsa_exception_fp_ieee_inexact 0
		.amdhsa_exception_int_div_zero 0
	.end_amdhsa_kernel
	.section	.text._ZN7rocprim17ROCPRIM_400000_NS6detail17trampoline_kernelINS0_14default_configENS1_25partition_config_selectorILNS1_17partition_subalgoE8ElNS0_10empty_typeEbEEZZNS1_14partition_implILS5_8ELb0ES3_jPlPS6_PKS6_NS0_5tupleIJS9_S6_EEENSD_IJSA_SA_EEENS0_18inequality_wrapperIZN2at6native12_GLOBAL__N_124unique_dim_cuda_templateImEESt5tupleIJNSH_6TensorESM_SM_EERKSM_lbbbEUlllE0_EEPmJS6_EEE10hipError_tPvRmT3_T4_T5_T6_T7_T9_mT8_P12ihipStream_tbDpT10_ENKUlT_T0_E_clISt17integral_constantIbLb1EES1C_EEDaS17_S18_EUlS17_E_NS1_11comp_targetILNS1_3genE3ELNS1_11target_archE908ELNS1_3gpuE7ELNS1_3repE0EEENS1_30default_config_static_selectorELNS0_4arch9wavefront6targetE0EEEvT1_,"axG",@progbits,_ZN7rocprim17ROCPRIM_400000_NS6detail17trampoline_kernelINS0_14default_configENS1_25partition_config_selectorILNS1_17partition_subalgoE8ElNS0_10empty_typeEbEEZZNS1_14partition_implILS5_8ELb0ES3_jPlPS6_PKS6_NS0_5tupleIJS9_S6_EEENSD_IJSA_SA_EEENS0_18inequality_wrapperIZN2at6native12_GLOBAL__N_124unique_dim_cuda_templateImEESt5tupleIJNSH_6TensorESM_SM_EERKSM_lbbbEUlllE0_EEPmJS6_EEE10hipError_tPvRmT3_T4_T5_T6_T7_T9_mT8_P12ihipStream_tbDpT10_ENKUlT_T0_E_clISt17integral_constantIbLb1EES1C_EEDaS17_S18_EUlS17_E_NS1_11comp_targetILNS1_3genE3ELNS1_11target_archE908ELNS1_3gpuE7ELNS1_3repE0EEENS1_30default_config_static_selectorELNS0_4arch9wavefront6targetE0EEEvT1_,comdat
.Lfunc_end1674:
	.size	_ZN7rocprim17ROCPRIM_400000_NS6detail17trampoline_kernelINS0_14default_configENS1_25partition_config_selectorILNS1_17partition_subalgoE8ElNS0_10empty_typeEbEEZZNS1_14partition_implILS5_8ELb0ES3_jPlPS6_PKS6_NS0_5tupleIJS9_S6_EEENSD_IJSA_SA_EEENS0_18inequality_wrapperIZN2at6native12_GLOBAL__N_124unique_dim_cuda_templateImEESt5tupleIJNSH_6TensorESM_SM_EERKSM_lbbbEUlllE0_EEPmJS6_EEE10hipError_tPvRmT3_T4_T5_T6_T7_T9_mT8_P12ihipStream_tbDpT10_ENKUlT_T0_E_clISt17integral_constantIbLb1EES1C_EEDaS17_S18_EUlS17_E_NS1_11comp_targetILNS1_3genE3ELNS1_11target_archE908ELNS1_3gpuE7ELNS1_3repE0EEENS1_30default_config_static_selectorELNS0_4arch9wavefront6targetE0EEEvT1_, .Lfunc_end1674-_ZN7rocprim17ROCPRIM_400000_NS6detail17trampoline_kernelINS0_14default_configENS1_25partition_config_selectorILNS1_17partition_subalgoE8ElNS0_10empty_typeEbEEZZNS1_14partition_implILS5_8ELb0ES3_jPlPS6_PKS6_NS0_5tupleIJS9_S6_EEENSD_IJSA_SA_EEENS0_18inequality_wrapperIZN2at6native12_GLOBAL__N_124unique_dim_cuda_templateImEESt5tupleIJNSH_6TensorESM_SM_EERKSM_lbbbEUlllE0_EEPmJS6_EEE10hipError_tPvRmT3_T4_T5_T6_T7_T9_mT8_P12ihipStream_tbDpT10_ENKUlT_T0_E_clISt17integral_constantIbLb1EES1C_EEDaS17_S18_EUlS17_E_NS1_11comp_targetILNS1_3genE3ELNS1_11target_archE908ELNS1_3gpuE7ELNS1_3repE0EEENS1_30default_config_static_selectorELNS0_4arch9wavefront6targetE0EEEvT1_
                                        ; -- End function
	.set _ZN7rocprim17ROCPRIM_400000_NS6detail17trampoline_kernelINS0_14default_configENS1_25partition_config_selectorILNS1_17partition_subalgoE8ElNS0_10empty_typeEbEEZZNS1_14partition_implILS5_8ELb0ES3_jPlPS6_PKS6_NS0_5tupleIJS9_S6_EEENSD_IJSA_SA_EEENS0_18inequality_wrapperIZN2at6native12_GLOBAL__N_124unique_dim_cuda_templateImEESt5tupleIJNSH_6TensorESM_SM_EERKSM_lbbbEUlllE0_EEPmJS6_EEE10hipError_tPvRmT3_T4_T5_T6_T7_T9_mT8_P12ihipStream_tbDpT10_ENKUlT_T0_E_clISt17integral_constantIbLb1EES1C_EEDaS17_S18_EUlS17_E_NS1_11comp_targetILNS1_3genE3ELNS1_11target_archE908ELNS1_3gpuE7ELNS1_3repE0EEENS1_30default_config_static_selectorELNS0_4arch9wavefront6targetE0EEEvT1_.num_vgpr, 0
	.set _ZN7rocprim17ROCPRIM_400000_NS6detail17trampoline_kernelINS0_14default_configENS1_25partition_config_selectorILNS1_17partition_subalgoE8ElNS0_10empty_typeEbEEZZNS1_14partition_implILS5_8ELb0ES3_jPlPS6_PKS6_NS0_5tupleIJS9_S6_EEENSD_IJSA_SA_EEENS0_18inequality_wrapperIZN2at6native12_GLOBAL__N_124unique_dim_cuda_templateImEESt5tupleIJNSH_6TensorESM_SM_EERKSM_lbbbEUlllE0_EEPmJS6_EEE10hipError_tPvRmT3_T4_T5_T6_T7_T9_mT8_P12ihipStream_tbDpT10_ENKUlT_T0_E_clISt17integral_constantIbLb1EES1C_EEDaS17_S18_EUlS17_E_NS1_11comp_targetILNS1_3genE3ELNS1_11target_archE908ELNS1_3gpuE7ELNS1_3repE0EEENS1_30default_config_static_selectorELNS0_4arch9wavefront6targetE0EEEvT1_.num_agpr, 0
	.set _ZN7rocprim17ROCPRIM_400000_NS6detail17trampoline_kernelINS0_14default_configENS1_25partition_config_selectorILNS1_17partition_subalgoE8ElNS0_10empty_typeEbEEZZNS1_14partition_implILS5_8ELb0ES3_jPlPS6_PKS6_NS0_5tupleIJS9_S6_EEENSD_IJSA_SA_EEENS0_18inequality_wrapperIZN2at6native12_GLOBAL__N_124unique_dim_cuda_templateImEESt5tupleIJNSH_6TensorESM_SM_EERKSM_lbbbEUlllE0_EEPmJS6_EEE10hipError_tPvRmT3_T4_T5_T6_T7_T9_mT8_P12ihipStream_tbDpT10_ENKUlT_T0_E_clISt17integral_constantIbLb1EES1C_EEDaS17_S18_EUlS17_E_NS1_11comp_targetILNS1_3genE3ELNS1_11target_archE908ELNS1_3gpuE7ELNS1_3repE0EEENS1_30default_config_static_selectorELNS0_4arch9wavefront6targetE0EEEvT1_.numbered_sgpr, 0
	.set _ZN7rocprim17ROCPRIM_400000_NS6detail17trampoline_kernelINS0_14default_configENS1_25partition_config_selectorILNS1_17partition_subalgoE8ElNS0_10empty_typeEbEEZZNS1_14partition_implILS5_8ELb0ES3_jPlPS6_PKS6_NS0_5tupleIJS9_S6_EEENSD_IJSA_SA_EEENS0_18inequality_wrapperIZN2at6native12_GLOBAL__N_124unique_dim_cuda_templateImEESt5tupleIJNSH_6TensorESM_SM_EERKSM_lbbbEUlllE0_EEPmJS6_EEE10hipError_tPvRmT3_T4_T5_T6_T7_T9_mT8_P12ihipStream_tbDpT10_ENKUlT_T0_E_clISt17integral_constantIbLb1EES1C_EEDaS17_S18_EUlS17_E_NS1_11comp_targetILNS1_3genE3ELNS1_11target_archE908ELNS1_3gpuE7ELNS1_3repE0EEENS1_30default_config_static_selectorELNS0_4arch9wavefront6targetE0EEEvT1_.num_named_barrier, 0
	.set _ZN7rocprim17ROCPRIM_400000_NS6detail17trampoline_kernelINS0_14default_configENS1_25partition_config_selectorILNS1_17partition_subalgoE8ElNS0_10empty_typeEbEEZZNS1_14partition_implILS5_8ELb0ES3_jPlPS6_PKS6_NS0_5tupleIJS9_S6_EEENSD_IJSA_SA_EEENS0_18inequality_wrapperIZN2at6native12_GLOBAL__N_124unique_dim_cuda_templateImEESt5tupleIJNSH_6TensorESM_SM_EERKSM_lbbbEUlllE0_EEPmJS6_EEE10hipError_tPvRmT3_T4_T5_T6_T7_T9_mT8_P12ihipStream_tbDpT10_ENKUlT_T0_E_clISt17integral_constantIbLb1EES1C_EEDaS17_S18_EUlS17_E_NS1_11comp_targetILNS1_3genE3ELNS1_11target_archE908ELNS1_3gpuE7ELNS1_3repE0EEENS1_30default_config_static_selectorELNS0_4arch9wavefront6targetE0EEEvT1_.private_seg_size, 0
	.set _ZN7rocprim17ROCPRIM_400000_NS6detail17trampoline_kernelINS0_14default_configENS1_25partition_config_selectorILNS1_17partition_subalgoE8ElNS0_10empty_typeEbEEZZNS1_14partition_implILS5_8ELb0ES3_jPlPS6_PKS6_NS0_5tupleIJS9_S6_EEENSD_IJSA_SA_EEENS0_18inequality_wrapperIZN2at6native12_GLOBAL__N_124unique_dim_cuda_templateImEESt5tupleIJNSH_6TensorESM_SM_EERKSM_lbbbEUlllE0_EEPmJS6_EEE10hipError_tPvRmT3_T4_T5_T6_T7_T9_mT8_P12ihipStream_tbDpT10_ENKUlT_T0_E_clISt17integral_constantIbLb1EES1C_EEDaS17_S18_EUlS17_E_NS1_11comp_targetILNS1_3genE3ELNS1_11target_archE908ELNS1_3gpuE7ELNS1_3repE0EEENS1_30default_config_static_selectorELNS0_4arch9wavefront6targetE0EEEvT1_.uses_vcc, 0
	.set _ZN7rocprim17ROCPRIM_400000_NS6detail17trampoline_kernelINS0_14default_configENS1_25partition_config_selectorILNS1_17partition_subalgoE8ElNS0_10empty_typeEbEEZZNS1_14partition_implILS5_8ELb0ES3_jPlPS6_PKS6_NS0_5tupleIJS9_S6_EEENSD_IJSA_SA_EEENS0_18inequality_wrapperIZN2at6native12_GLOBAL__N_124unique_dim_cuda_templateImEESt5tupleIJNSH_6TensorESM_SM_EERKSM_lbbbEUlllE0_EEPmJS6_EEE10hipError_tPvRmT3_T4_T5_T6_T7_T9_mT8_P12ihipStream_tbDpT10_ENKUlT_T0_E_clISt17integral_constantIbLb1EES1C_EEDaS17_S18_EUlS17_E_NS1_11comp_targetILNS1_3genE3ELNS1_11target_archE908ELNS1_3gpuE7ELNS1_3repE0EEENS1_30default_config_static_selectorELNS0_4arch9wavefront6targetE0EEEvT1_.uses_flat_scratch, 0
	.set _ZN7rocprim17ROCPRIM_400000_NS6detail17trampoline_kernelINS0_14default_configENS1_25partition_config_selectorILNS1_17partition_subalgoE8ElNS0_10empty_typeEbEEZZNS1_14partition_implILS5_8ELb0ES3_jPlPS6_PKS6_NS0_5tupleIJS9_S6_EEENSD_IJSA_SA_EEENS0_18inequality_wrapperIZN2at6native12_GLOBAL__N_124unique_dim_cuda_templateImEESt5tupleIJNSH_6TensorESM_SM_EERKSM_lbbbEUlllE0_EEPmJS6_EEE10hipError_tPvRmT3_T4_T5_T6_T7_T9_mT8_P12ihipStream_tbDpT10_ENKUlT_T0_E_clISt17integral_constantIbLb1EES1C_EEDaS17_S18_EUlS17_E_NS1_11comp_targetILNS1_3genE3ELNS1_11target_archE908ELNS1_3gpuE7ELNS1_3repE0EEENS1_30default_config_static_selectorELNS0_4arch9wavefront6targetE0EEEvT1_.has_dyn_sized_stack, 0
	.set _ZN7rocprim17ROCPRIM_400000_NS6detail17trampoline_kernelINS0_14default_configENS1_25partition_config_selectorILNS1_17partition_subalgoE8ElNS0_10empty_typeEbEEZZNS1_14partition_implILS5_8ELb0ES3_jPlPS6_PKS6_NS0_5tupleIJS9_S6_EEENSD_IJSA_SA_EEENS0_18inequality_wrapperIZN2at6native12_GLOBAL__N_124unique_dim_cuda_templateImEESt5tupleIJNSH_6TensorESM_SM_EERKSM_lbbbEUlllE0_EEPmJS6_EEE10hipError_tPvRmT3_T4_T5_T6_T7_T9_mT8_P12ihipStream_tbDpT10_ENKUlT_T0_E_clISt17integral_constantIbLb1EES1C_EEDaS17_S18_EUlS17_E_NS1_11comp_targetILNS1_3genE3ELNS1_11target_archE908ELNS1_3gpuE7ELNS1_3repE0EEENS1_30default_config_static_selectorELNS0_4arch9wavefront6targetE0EEEvT1_.has_recursion, 0
	.set _ZN7rocprim17ROCPRIM_400000_NS6detail17trampoline_kernelINS0_14default_configENS1_25partition_config_selectorILNS1_17partition_subalgoE8ElNS0_10empty_typeEbEEZZNS1_14partition_implILS5_8ELb0ES3_jPlPS6_PKS6_NS0_5tupleIJS9_S6_EEENSD_IJSA_SA_EEENS0_18inequality_wrapperIZN2at6native12_GLOBAL__N_124unique_dim_cuda_templateImEESt5tupleIJNSH_6TensorESM_SM_EERKSM_lbbbEUlllE0_EEPmJS6_EEE10hipError_tPvRmT3_T4_T5_T6_T7_T9_mT8_P12ihipStream_tbDpT10_ENKUlT_T0_E_clISt17integral_constantIbLb1EES1C_EEDaS17_S18_EUlS17_E_NS1_11comp_targetILNS1_3genE3ELNS1_11target_archE908ELNS1_3gpuE7ELNS1_3repE0EEENS1_30default_config_static_selectorELNS0_4arch9wavefront6targetE0EEEvT1_.has_indirect_call, 0
	.section	.AMDGPU.csdata,"",@progbits
; Kernel info:
; codeLenInByte = 0
; TotalNumSgprs: 0
; NumVgprs: 0
; ScratchSize: 0
; MemoryBound: 0
; FloatMode: 240
; IeeeMode: 1
; LDSByteSize: 0 bytes/workgroup (compile time only)
; SGPRBlocks: 0
; VGPRBlocks: 0
; NumSGPRsForWavesPerEU: 1
; NumVGPRsForWavesPerEU: 1
; NamedBarCnt: 0
; Occupancy: 16
; WaveLimiterHint : 0
; COMPUTE_PGM_RSRC2:SCRATCH_EN: 0
; COMPUTE_PGM_RSRC2:USER_SGPR: 2
; COMPUTE_PGM_RSRC2:TRAP_HANDLER: 0
; COMPUTE_PGM_RSRC2:TGID_X_EN: 1
; COMPUTE_PGM_RSRC2:TGID_Y_EN: 0
; COMPUTE_PGM_RSRC2:TGID_Z_EN: 0
; COMPUTE_PGM_RSRC2:TIDIG_COMP_CNT: 0
	.section	.text._ZN7rocprim17ROCPRIM_400000_NS6detail17trampoline_kernelINS0_14default_configENS1_25partition_config_selectorILNS1_17partition_subalgoE8ElNS0_10empty_typeEbEEZZNS1_14partition_implILS5_8ELb0ES3_jPlPS6_PKS6_NS0_5tupleIJS9_S6_EEENSD_IJSA_SA_EEENS0_18inequality_wrapperIZN2at6native12_GLOBAL__N_124unique_dim_cuda_templateImEESt5tupleIJNSH_6TensorESM_SM_EERKSM_lbbbEUlllE0_EEPmJS6_EEE10hipError_tPvRmT3_T4_T5_T6_T7_T9_mT8_P12ihipStream_tbDpT10_ENKUlT_T0_E_clISt17integral_constantIbLb1EES1C_EEDaS17_S18_EUlS17_E_NS1_11comp_targetILNS1_3genE2ELNS1_11target_archE906ELNS1_3gpuE6ELNS1_3repE0EEENS1_30default_config_static_selectorELNS0_4arch9wavefront6targetE0EEEvT1_,"axG",@progbits,_ZN7rocprim17ROCPRIM_400000_NS6detail17trampoline_kernelINS0_14default_configENS1_25partition_config_selectorILNS1_17partition_subalgoE8ElNS0_10empty_typeEbEEZZNS1_14partition_implILS5_8ELb0ES3_jPlPS6_PKS6_NS0_5tupleIJS9_S6_EEENSD_IJSA_SA_EEENS0_18inequality_wrapperIZN2at6native12_GLOBAL__N_124unique_dim_cuda_templateImEESt5tupleIJNSH_6TensorESM_SM_EERKSM_lbbbEUlllE0_EEPmJS6_EEE10hipError_tPvRmT3_T4_T5_T6_T7_T9_mT8_P12ihipStream_tbDpT10_ENKUlT_T0_E_clISt17integral_constantIbLb1EES1C_EEDaS17_S18_EUlS17_E_NS1_11comp_targetILNS1_3genE2ELNS1_11target_archE906ELNS1_3gpuE6ELNS1_3repE0EEENS1_30default_config_static_selectorELNS0_4arch9wavefront6targetE0EEEvT1_,comdat
	.globl	_ZN7rocprim17ROCPRIM_400000_NS6detail17trampoline_kernelINS0_14default_configENS1_25partition_config_selectorILNS1_17partition_subalgoE8ElNS0_10empty_typeEbEEZZNS1_14partition_implILS5_8ELb0ES3_jPlPS6_PKS6_NS0_5tupleIJS9_S6_EEENSD_IJSA_SA_EEENS0_18inequality_wrapperIZN2at6native12_GLOBAL__N_124unique_dim_cuda_templateImEESt5tupleIJNSH_6TensorESM_SM_EERKSM_lbbbEUlllE0_EEPmJS6_EEE10hipError_tPvRmT3_T4_T5_T6_T7_T9_mT8_P12ihipStream_tbDpT10_ENKUlT_T0_E_clISt17integral_constantIbLb1EES1C_EEDaS17_S18_EUlS17_E_NS1_11comp_targetILNS1_3genE2ELNS1_11target_archE906ELNS1_3gpuE6ELNS1_3repE0EEENS1_30default_config_static_selectorELNS0_4arch9wavefront6targetE0EEEvT1_ ; -- Begin function _ZN7rocprim17ROCPRIM_400000_NS6detail17trampoline_kernelINS0_14default_configENS1_25partition_config_selectorILNS1_17partition_subalgoE8ElNS0_10empty_typeEbEEZZNS1_14partition_implILS5_8ELb0ES3_jPlPS6_PKS6_NS0_5tupleIJS9_S6_EEENSD_IJSA_SA_EEENS0_18inequality_wrapperIZN2at6native12_GLOBAL__N_124unique_dim_cuda_templateImEESt5tupleIJNSH_6TensorESM_SM_EERKSM_lbbbEUlllE0_EEPmJS6_EEE10hipError_tPvRmT3_T4_T5_T6_T7_T9_mT8_P12ihipStream_tbDpT10_ENKUlT_T0_E_clISt17integral_constantIbLb1EES1C_EEDaS17_S18_EUlS17_E_NS1_11comp_targetILNS1_3genE2ELNS1_11target_archE906ELNS1_3gpuE6ELNS1_3repE0EEENS1_30default_config_static_selectorELNS0_4arch9wavefront6targetE0EEEvT1_
	.p2align	8
	.type	_ZN7rocprim17ROCPRIM_400000_NS6detail17trampoline_kernelINS0_14default_configENS1_25partition_config_selectorILNS1_17partition_subalgoE8ElNS0_10empty_typeEbEEZZNS1_14partition_implILS5_8ELb0ES3_jPlPS6_PKS6_NS0_5tupleIJS9_S6_EEENSD_IJSA_SA_EEENS0_18inequality_wrapperIZN2at6native12_GLOBAL__N_124unique_dim_cuda_templateImEESt5tupleIJNSH_6TensorESM_SM_EERKSM_lbbbEUlllE0_EEPmJS6_EEE10hipError_tPvRmT3_T4_T5_T6_T7_T9_mT8_P12ihipStream_tbDpT10_ENKUlT_T0_E_clISt17integral_constantIbLb1EES1C_EEDaS17_S18_EUlS17_E_NS1_11comp_targetILNS1_3genE2ELNS1_11target_archE906ELNS1_3gpuE6ELNS1_3repE0EEENS1_30default_config_static_selectorELNS0_4arch9wavefront6targetE0EEEvT1_,@function
_ZN7rocprim17ROCPRIM_400000_NS6detail17trampoline_kernelINS0_14default_configENS1_25partition_config_selectorILNS1_17partition_subalgoE8ElNS0_10empty_typeEbEEZZNS1_14partition_implILS5_8ELb0ES3_jPlPS6_PKS6_NS0_5tupleIJS9_S6_EEENSD_IJSA_SA_EEENS0_18inequality_wrapperIZN2at6native12_GLOBAL__N_124unique_dim_cuda_templateImEESt5tupleIJNSH_6TensorESM_SM_EERKSM_lbbbEUlllE0_EEPmJS6_EEE10hipError_tPvRmT3_T4_T5_T6_T7_T9_mT8_P12ihipStream_tbDpT10_ENKUlT_T0_E_clISt17integral_constantIbLb1EES1C_EEDaS17_S18_EUlS17_E_NS1_11comp_targetILNS1_3genE2ELNS1_11target_archE906ELNS1_3gpuE6ELNS1_3repE0EEENS1_30default_config_static_selectorELNS0_4arch9wavefront6targetE0EEEvT1_: ; @_ZN7rocprim17ROCPRIM_400000_NS6detail17trampoline_kernelINS0_14default_configENS1_25partition_config_selectorILNS1_17partition_subalgoE8ElNS0_10empty_typeEbEEZZNS1_14partition_implILS5_8ELb0ES3_jPlPS6_PKS6_NS0_5tupleIJS9_S6_EEENSD_IJSA_SA_EEENS0_18inequality_wrapperIZN2at6native12_GLOBAL__N_124unique_dim_cuda_templateImEESt5tupleIJNSH_6TensorESM_SM_EERKSM_lbbbEUlllE0_EEPmJS6_EEE10hipError_tPvRmT3_T4_T5_T6_T7_T9_mT8_P12ihipStream_tbDpT10_ENKUlT_T0_E_clISt17integral_constantIbLb1EES1C_EEDaS17_S18_EUlS17_E_NS1_11comp_targetILNS1_3genE2ELNS1_11target_archE906ELNS1_3gpuE6ELNS1_3repE0EEENS1_30default_config_static_selectorELNS0_4arch9wavefront6targetE0EEEvT1_
; %bb.0:
	.section	.rodata,"a",@progbits
	.p2align	6, 0x0
	.amdhsa_kernel _ZN7rocprim17ROCPRIM_400000_NS6detail17trampoline_kernelINS0_14default_configENS1_25partition_config_selectorILNS1_17partition_subalgoE8ElNS0_10empty_typeEbEEZZNS1_14partition_implILS5_8ELb0ES3_jPlPS6_PKS6_NS0_5tupleIJS9_S6_EEENSD_IJSA_SA_EEENS0_18inequality_wrapperIZN2at6native12_GLOBAL__N_124unique_dim_cuda_templateImEESt5tupleIJNSH_6TensorESM_SM_EERKSM_lbbbEUlllE0_EEPmJS6_EEE10hipError_tPvRmT3_T4_T5_T6_T7_T9_mT8_P12ihipStream_tbDpT10_ENKUlT_T0_E_clISt17integral_constantIbLb1EES1C_EEDaS17_S18_EUlS17_E_NS1_11comp_targetILNS1_3genE2ELNS1_11target_archE906ELNS1_3gpuE6ELNS1_3repE0EEENS1_30default_config_static_selectorELNS0_4arch9wavefront6targetE0EEEvT1_
		.amdhsa_group_segment_fixed_size 0
		.amdhsa_private_segment_fixed_size 0
		.amdhsa_kernarg_size 136
		.amdhsa_user_sgpr_count 2
		.amdhsa_user_sgpr_dispatch_ptr 0
		.amdhsa_user_sgpr_queue_ptr 0
		.amdhsa_user_sgpr_kernarg_segment_ptr 1
		.amdhsa_user_sgpr_dispatch_id 0
		.amdhsa_user_sgpr_kernarg_preload_length 0
		.amdhsa_user_sgpr_kernarg_preload_offset 0
		.amdhsa_user_sgpr_private_segment_size 0
		.amdhsa_wavefront_size32 1
		.amdhsa_uses_dynamic_stack 0
		.amdhsa_enable_private_segment 0
		.amdhsa_system_sgpr_workgroup_id_x 1
		.amdhsa_system_sgpr_workgroup_id_y 0
		.amdhsa_system_sgpr_workgroup_id_z 0
		.amdhsa_system_sgpr_workgroup_info 0
		.amdhsa_system_vgpr_workitem_id 0
		.amdhsa_next_free_vgpr 1
		.amdhsa_next_free_sgpr 1
		.amdhsa_named_barrier_count 0
		.amdhsa_reserve_vcc 0
		.amdhsa_float_round_mode_32 0
		.amdhsa_float_round_mode_16_64 0
		.amdhsa_float_denorm_mode_32 3
		.amdhsa_float_denorm_mode_16_64 3
		.amdhsa_fp16_overflow 0
		.amdhsa_memory_ordered 1
		.amdhsa_forward_progress 1
		.amdhsa_inst_pref_size 0
		.amdhsa_round_robin_scheduling 0
		.amdhsa_exception_fp_ieee_invalid_op 0
		.amdhsa_exception_fp_denorm_src 0
		.amdhsa_exception_fp_ieee_div_zero 0
		.amdhsa_exception_fp_ieee_overflow 0
		.amdhsa_exception_fp_ieee_underflow 0
		.amdhsa_exception_fp_ieee_inexact 0
		.amdhsa_exception_int_div_zero 0
	.end_amdhsa_kernel
	.section	.text._ZN7rocprim17ROCPRIM_400000_NS6detail17trampoline_kernelINS0_14default_configENS1_25partition_config_selectorILNS1_17partition_subalgoE8ElNS0_10empty_typeEbEEZZNS1_14partition_implILS5_8ELb0ES3_jPlPS6_PKS6_NS0_5tupleIJS9_S6_EEENSD_IJSA_SA_EEENS0_18inequality_wrapperIZN2at6native12_GLOBAL__N_124unique_dim_cuda_templateImEESt5tupleIJNSH_6TensorESM_SM_EERKSM_lbbbEUlllE0_EEPmJS6_EEE10hipError_tPvRmT3_T4_T5_T6_T7_T9_mT8_P12ihipStream_tbDpT10_ENKUlT_T0_E_clISt17integral_constantIbLb1EES1C_EEDaS17_S18_EUlS17_E_NS1_11comp_targetILNS1_3genE2ELNS1_11target_archE906ELNS1_3gpuE6ELNS1_3repE0EEENS1_30default_config_static_selectorELNS0_4arch9wavefront6targetE0EEEvT1_,"axG",@progbits,_ZN7rocprim17ROCPRIM_400000_NS6detail17trampoline_kernelINS0_14default_configENS1_25partition_config_selectorILNS1_17partition_subalgoE8ElNS0_10empty_typeEbEEZZNS1_14partition_implILS5_8ELb0ES3_jPlPS6_PKS6_NS0_5tupleIJS9_S6_EEENSD_IJSA_SA_EEENS0_18inequality_wrapperIZN2at6native12_GLOBAL__N_124unique_dim_cuda_templateImEESt5tupleIJNSH_6TensorESM_SM_EERKSM_lbbbEUlllE0_EEPmJS6_EEE10hipError_tPvRmT3_T4_T5_T6_T7_T9_mT8_P12ihipStream_tbDpT10_ENKUlT_T0_E_clISt17integral_constantIbLb1EES1C_EEDaS17_S18_EUlS17_E_NS1_11comp_targetILNS1_3genE2ELNS1_11target_archE906ELNS1_3gpuE6ELNS1_3repE0EEENS1_30default_config_static_selectorELNS0_4arch9wavefront6targetE0EEEvT1_,comdat
.Lfunc_end1675:
	.size	_ZN7rocprim17ROCPRIM_400000_NS6detail17trampoline_kernelINS0_14default_configENS1_25partition_config_selectorILNS1_17partition_subalgoE8ElNS0_10empty_typeEbEEZZNS1_14partition_implILS5_8ELb0ES3_jPlPS6_PKS6_NS0_5tupleIJS9_S6_EEENSD_IJSA_SA_EEENS0_18inequality_wrapperIZN2at6native12_GLOBAL__N_124unique_dim_cuda_templateImEESt5tupleIJNSH_6TensorESM_SM_EERKSM_lbbbEUlllE0_EEPmJS6_EEE10hipError_tPvRmT3_T4_T5_T6_T7_T9_mT8_P12ihipStream_tbDpT10_ENKUlT_T0_E_clISt17integral_constantIbLb1EES1C_EEDaS17_S18_EUlS17_E_NS1_11comp_targetILNS1_3genE2ELNS1_11target_archE906ELNS1_3gpuE6ELNS1_3repE0EEENS1_30default_config_static_selectorELNS0_4arch9wavefront6targetE0EEEvT1_, .Lfunc_end1675-_ZN7rocprim17ROCPRIM_400000_NS6detail17trampoline_kernelINS0_14default_configENS1_25partition_config_selectorILNS1_17partition_subalgoE8ElNS0_10empty_typeEbEEZZNS1_14partition_implILS5_8ELb0ES3_jPlPS6_PKS6_NS0_5tupleIJS9_S6_EEENSD_IJSA_SA_EEENS0_18inequality_wrapperIZN2at6native12_GLOBAL__N_124unique_dim_cuda_templateImEESt5tupleIJNSH_6TensorESM_SM_EERKSM_lbbbEUlllE0_EEPmJS6_EEE10hipError_tPvRmT3_T4_T5_T6_T7_T9_mT8_P12ihipStream_tbDpT10_ENKUlT_T0_E_clISt17integral_constantIbLb1EES1C_EEDaS17_S18_EUlS17_E_NS1_11comp_targetILNS1_3genE2ELNS1_11target_archE906ELNS1_3gpuE6ELNS1_3repE0EEENS1_30default_config_static_selectorELNS0_4arch9wavefront6targetE0EEEvT1_
                                        ; -- End function
	.set _ZN7rocprim17ROCPRIM_400000_NS6detail17trampoline_kernelINS0_14default_configENS1_25partition_config_selectorILNS1_17partition_subalgoE8ElNS0_10empty_typeEbEEZZNS1_14partition_implILS5_8ELb0ES3_jPlPS6_PKS6_NS0_5tupleIJS9_S6_EEENSD_IJSA_SA_EEENS0_18inequality_wrapperIZN2at6native12_GLOBAL__N_124unique_dim_cuda_templateImEESt5tupleIJNSH_6TensorESM_SM_EERKSM_lbbbEUlllE0_EEPmJS6_EEE10hipError_tPvRmT3_T4_T5_T6_T7_T9_mT8_P12ihipStream_tbDpT10_ENKUlT_T0_E_clISt17integral_constantIbLb1EES1C_EEDaS17_S18_EUlS17_E_NS1_11comp_targetILNS1_3genE2ELNS1_11target_archE906ELNS1_3gpuE6ELNS1_3repE0EEENS1_30default_config_static_selectorELNS0_4arch9wavefront6targetE0EEEvT1_.num_vgpr, 0
	.set _ZN7rocprim17ROCPRIM_400000_NS6detail17trampoline_kernelINS0_14default_configENS1_25partition_config_selectorILNS1_17partition_subalgoE8ElNS0_10empty_typeEbEEZZNS1_14partition_implILS5_8ELb0ES3_jPlPS6_PKS6_NS0_5tupleIJS9_S6_EEENSD_IJSA_SA_EEENS0_18inequality_wrapperIZN2at6native12_GLOBAL__N_124unique_dim_cuda_templateImEESt5tupleIJNSH_6TensorESM_SM_EERKSM_lbbbEUlllE0_EEPmJS6_EEE10hipError_tPvRmT3_T4_T5_T6_T7_T9_mT8_P12ihipStream_tbDpT10_ENKUlT_T0_E_clISt17integral_constantIbLb1EES1C_EEDaS17_S18_EUlS17_E_NS1_11comp_targetILNS1_3genE2ELNS1_11target_archE906ELNS1_3gpuE6ELNS1_3repE0EEENS1_30default_config_static_selectorELNS0_4arch9wavefront6targetE0EEEvT1_.num_agpr, 0
	.set _ZN7rocprim17ROCPRIM_400000_NS6detail17trampoline_kernelINS0_14default_configENS1_25partition_config_selectorILNS1_17partition_subalgoE8ElNS0_10empty_typeEbEEZZNS1_14partition_implILS5_8ELb0ES3_jPlPS6_PKS6_NS0_5tupleIJS9_S6_EEENSD_IJSA_SA_EEENS0_18inequality_wrapperIZN2at6native12_GLOBAL__N_124unique_dim_cuda_templateImEESt5tupleIJNSH_6TensorESM_SM_EERKSM_lbbbEUlllE0_EEPmJS6_EEE10hipError_tPvRmT3_T4_T5_T6_T7_T9_mT8_P12ihipStream_tbDpT10_ENKUlT_T0_E_clISt17integral_constantIbLb1EES1C_EEDaS17_S18_EUlS17_E_NS1_11comp_targetILNS1_3genE2ELNS1_11target_archE906ELNS1_3gpuE6ELNS1_3repE0EEENS1_30default_config_static_selectorELNS0_4arch9wavefront6targetE0EEEvT1_.numbered_sgpr, 0
	.set _ZN7rocprim17ROCPRIM_400000_NS6detail17trampoline_kernelINS0_14default_configENS1_25partition_config_selectorILNS1_17partition_subalgoE8ElNS0_10empty_typeEbEEZZNS1_14partition_implILS5_8ELb0ES3_jPlPS6_PKS6_NS0_5tupleIJS9_S6_EEENSD_IJSA_SA_EEENS0_18inequality_wrapperIZN2at6native12_GLOBAL__N_124unique_dim_cuda_templateImEESt5tupleIJNSH_6TensorESM_SM_EERKSM_lbbbEUlllE0_EEPmJS6_EEE10hipError_tPvRmT3_T4_T5_T6_T7_T9_mT8_P12ihipStream_tbDpT10_ENKUlT_T0_E_clISt17integral_constantIbLb1EES1C_EEDaS17_S18_EUlS17_E_NS1_11comp_targetILNS1_3genE2ELNS1_11target_archE906ELNS1_3gpuE6ELNS1_3repE0EEENS1_30default_config_static_selectorELNS0_4arch9wavefront6targetE0EEEvT1_.num_named_barrier, 0
	.set _ZN7rocprim17ROCPRIM_400000_NS6detail17trampoline_kernelINS0_14default_configENS1_25partition_config_selectorILNS1_17partition_subalgoE8ElNS0_10empty_typeEbEEZZNS1_14partition_implILS5_8ELb0ES3_jPlPS6_PKS6_NS0_5tupleIJS9_S6_EEENSD_IJSA_SA_EEENS0_18inequality_wrapperIZN2at6native12_GLOBAL__N_124unique_dim_cuda_templateImEESt5tupleIJNSH_6TensorESM_SM_EERKSM_lbbbEUlllE0_EEPmJS6_EEE10hipError_tPvRmT3_T4_T5_T6_T7_T9_mT8_P12ihipStream_tbDpT10_ENKUlT_T0_E_clISt17integral_constantIbLb1EES1C_EEDaS17_S18_EUlS17_E_NS1_11comp_targetILNS1_3genE2ELNS1_11target_archE906ELNS1_3gpuE6ELNS1_3repE0EEENS1_30default_config_static_selectorELNS0_4arch9wavefront6targetE0EEEvT1_.private_seg_size, 0
	.set _ZN7rocprim17ROCPRIM_400000_NS6detail17trampoline_kernelINS0_14default_configENS1_25partition_config_selectorILNS1_17partition_subalgoE8ElNS0_10empty_typeEbEEZZNS1_14partition_implILS5_8ELb0ES3_jPlPS6_PKS6_NS0_5tupleIJS9_S6_EEENSD_IJSA_SA_EEENS0_18inequality_wrapperIZN2at6native12_GLOBAL__N_124unique_dim_cuda_templateImEESt5tupleIJNSH_6TensorESM_SM_EERKSM_lbbbEUlllE0_EEPmJS6_EEE10hipError_tPvRmT3_T4_T5_T6_T7_T9_mT8_P12ihipStream_tbDpT10_ENKUlT_T0_E_clISt17integral_constantIbLb1EES1C_EEDaS17_S18_EUlS17_E_NS1_11comp_targetILNS1_3genE2ELNS1_11target_archE906ELNS1_3gpuE6ELNS1_3repE0EEENS1_30default_config_static_selectorELNS0_4arch9wavefront6targetE0EEEvT1_.uses_vcc, 0
	.set _ZN7rocprim17ROCPRIM_400000_NS6detail17trampoline_kernelINS0_14default_configENS1_25partition_config_selectorILNS1_17partition_subalgoE8ElNS0_10empty_typeEbEEZZNS1_14partition_implILS5_8ELb0ES3_jPlPS6_PKS6_NS0_5tupleIJS9_S6_EEENSD_IJSA_SA_EEENS0_18inequality_wrapperIZN2at6native12_GLOBAL__N_124unique_dim_cuda_templateImEESt5tupleIJNSH_6TensorESM_SM_EERKSM_lbbbEUlllE0_EEPmJS6_EEE10hipError_tPvRmT3_T4_T5_T6_T7_T9_mT8_P12ihipStream_tbDpT10_ENKUlT_T0_E_clISt17integral_constantIbLb1EES1C_EEDaS17_S18_EUlS17_E_NS1_11comp_targetILNS1_3genE2ELNS1_11target_archE906ELNS1_3gpuE6ELNS1_3repE0EEENS1_30default_config_static_selectorELNS0_4arch9wavefront6targetE0EEEvT1_.uses_flat_scratch, 0
	.set _ZN7rocprim17ROCPRIM_400000_NS6detail17trampoline_kernelINS0_14default_configENS1_25partition_config_selectorILNS1_17partition_subalgoE8ElNS0_10empty_typeEbEEZZNS1_14partition_implILS5_8ELb0ES3_jPlPS6_PKS6_NS0_5tupleIJS9_S6_EEENSD_IJSA_SA_EEENS0_18inequality_wrapperIZN2at6native12_GLOBAL__N_124unique_dim_cuda_templateImEESt5tupleIJNSH_6TensorESM_SM_EERKSM_lbbbEUlllE0_EEPmJS6_EEE10hipError_tPvRmT3_T4_T5_T6_T7_T9_mT8_P12ihipStream_tbDpT10_ENKUlT_T0_E_clISt17integral_constantIbLb1EES1C_EEDaS17_S18_EUlS17_E_NS1_11comp_targetILNS1_3genE2ELNS1_11target_archE906ELNS1_3gpuE6ELNS1_3repE0EEENS1_30default_config_static_selectorELNS0_4arch9wavefront6targetE0EEEvT1_.has_dyn_sized_stack, 0
	.set _ZN7rocprim17ROCPRIM_400000_NS6detail17trampoline_kernelINS0_14default_configENS1_25partition_config_selectorILNS1_17partition_subalgoE8ElNS0_10empty_typeEbEEZZNS1_14partition_implILS5_8ELb0ES3_jPlPS6_PKS6_NS0_5tupleIJS9_S6_EEENSD_IJSA_SA_EEENS0_18inequality_wrapperIZN2at6native12_GLOBAL__N_124unique_dim_cuda_templateImEESt5tupleIJNSH_6TensorESM_SM_EERKSM_lbbbEUlllE0_EEPmJS6_EEE10hipError_tPvRmT3_T4_T5_T6_T7_T9_mT8_P12ihipStream_tbDpT10_ENKUlT_T0_E_clISt17integral_constantIbLb1EES1C_EEDaS17_S18_EUlS17_E_NS1_11comp_targetILNS1_3genE2ELNS1_11target_archE906ELNS1_3gpuE6ELNS1_3repE0EEENS1_30default_config_static_selectorELNS0_4arch9wavefront6targetE0EEEvT1_.has_recursion, 0
	.set _ZN7rocprim17ROCPRIM_400000_NS6detail17trampoline_kernelINS0_14default_configENS1_25partition_config_selectorILNS1_17partition_subalgoE8ElNS0_10empty_typeEbEEZZNS1_14partition_implILS5_8ELb0ES3_jPlPS6_PKS6_NS0_5tupleIJS9_S6_EEENSD_IJSA_SA_EEENS0_18inequality_wrapperIZN2at6native12_GLOBAL__N_124unique_dim_cuda_templateImEESt5tupleIJNSH_6TensorESM_SM_EERKSM_lbbbEUlllE0_EEPmJS6_EEE10hipError_tPvRmT3_T4_T5_T6_T7_T9_mT8_P12ihipStream_tbDpT10_ENKUlT_T0_E_clISt17integral_constantIbLb1EES1C_EEDaS17_S18_EUlS17_E_NS1_11comp_targetILNS1_3genE2ELNS1_11target_archE906ELNS1_3gpuE6ELNS1_3repE0EEENS1_30default_config_static_selectorELNS0_4arch9wavefront6targetE0EEEvT1_.has_indirect_call, 0
	.section	.AMDGPU.csdata,"",@progbits
; Kernel info:
; codeLenInByte = 0
; TotalNumSgprs: 0
; NumVgprs: 0
; ScratchSize: 0
; MemoryBound: 0
; FloatMode: 240
; IeeeMode: 1
; LDSByteSize: 0 bytes/workgroup (compile time only)
; SGPRBlocks: 0
; VGPRBlocks: 0
; NumSGPRsForWavesPerEU: 1
; NumVGPRsForWavesPerEU: 1
; NamedBarCnt: 0
; Occupancy: 16
; WaveLimiterHint : 0
; COMPUTE_PGM_RSRC2:SCRATCH_EN: 0
; COMPUTE_PGM_RSRC2:USER_SGPR: 2
; COMPUTE_PGM_RSRC2:TRAP_HANDLER: 0
; COMPUTE_PGM_RSRC2:TGID_X_EN: 1
; COMPUTE_PGM_RSRC2:TGID_Y_EN: 0
; COMPUTE_PGM_RSRC2:TGID_Z_EN: 0
; COMPUTE_PGM_RSRC2:TIDIG_COMP_CNT: 0
	.section	.text._ZN7rocprim17ROCPRIM_400000_NS6detail17trampoline_kernelINS0_14default_configENS1_25partition_config_selectorILNS1_17partition_subalgoE8ElNS0_10empty_typeEbEEZZNS1_14partition_implILS5_8ELb0ES3_jPlPS6_PKS6_NS0_5tupleIJS9_S6_EEENSD_IJSA_SA_EEENS0_18inequality_wrapperIZN2at6native12_GLOBAL__N_124unique_dim_cuda_templateImEESt5tupleIJNSH_6TensorESM_SM_EERKSM_lbbbEUlllE0_EEPmJS6_EEE10hipError_tPvRmT3_T4_T5_T6_T7_T9_mT8_P12ihipStream_tbDpT10_ENKUlT_T0_E_clISt17integral_constantIbLb1EES1C_EEDaS17_S18_EUlS17_E_NS1_11comp_targetILNS1_3genE10ELNS1_11target_archE1200ELNS1_3gpuE4ELNS1_3repE0EEENS1_30default_config_static_selectorELNS0_4arch9wavefront6targetE0EEEvT1_,"axG",@progbits,_ZN7rocprim17ROCPRIM_400000_NS6detail17trampoline_kernelINS0_14default_configENS1_25partition_config_selectorILNS1_17partition_subalgoE8ElNS0_10empty_typeEbEEZZNS1_14partition_implILS5_8ELb0ES3_jPlPS6_PKS6_NS0_5tupleIJS9_S6_EEENSD_IJSA_SA_EEENS0_18inequality_wrapperIZN2at6native12_GLOBAL__N_124unique_dim_cuda_templateImEESt5tupleIJNSH_6TensorESM_SM_EERKSM_lbbbEUlllE0_EEPmJS6_EEE10hipError_tPvRmT3_T4_T5_T6_T7_T9_mT8_P12ihipStream_tbDpT10_ENKUlT_T0_E_clISt17integral_constantIbLb1EES1C_EEDaS17_S18_EUlS17_E_NS1_11comp_targetILNS1_3genE10ELNS1_11target_archE1200ELNS1_3gpuE4ELNS1_3repE0EEENS1_30default_config_static_selectorELNS0_4arch9wavefront6targetE0EEEvT1_,comdat
	.globl	_ZN7rocprim17ROCPRIM_400000_NS6detail17trampoline_kernelINS0_14default_configENS1_25partition_config_selectorILNS1_17partition_subalgoE8ElNS0_10empty_typeEbEEZZNS1_14partition_implILS5_8ELb0ES3_jPlPS6_PKS6_NS0_5tupleIJS9_S6_EEENSD_IJSA_SA_EEENS0_18inequality_wrapperIZN2at6native12_GLOBAL__N_124unique_dim_cuda_templateImEESt5tupleIJNSH_6TensorESM_SM_EERKSM_lbbbEUlllE0_EEPmJS6_EEE10hipError_tPvRmT3_T4_T5_T6_T7_T9_mT8_P12ihipStream_tbDpT10_ENKUlT_T0_E_clISt17integral_constantIbLb1EES1C_EEDaS17_S18_EUlS17_E_NS1_11comp_targetILNS1_3genE10ELNS1_11target_archE1200ELNS1_3gpuE4ELNS1_3repE0EEENS1_30default_config_static_selectorELNS0_4arch9wavefront6targetE0EEEvT1_ ; -- Begin function _ZN7rocprim17ROCPRIM_400000_NS6detail17trampoline_kernelINS0_14default_configENS1_25partition_config_selectorILNS1_17partition_subalgoE8ElNS0_10empty_typeEbEEZZNS1_14partition_implILS5_8ELb0ES3_jPlPS6_PKS6_NS0_5tupleIJS9_S6_EEENSD_IJSA_SA_EEENS0_18inequality_wrapperIZN2at6native12_GLOBAL__N_124unique_dim_cuda_templateImEESt5tupleIJNSH_6TensorESM_SM_EERKSM_lbbbEUlllE0_EEPmJS6_EEE10hipError_tPvRmT3_T4_T5_T6_T7_T9_mT8_P12ihipStream_tbDpT10_ENKUlT_T0_E_clISt17integral_constantIbLb1EES1C_EEDaS17_S18_EUlS17_E_NS1_11comp_targetILNS1_3genE10ELNS1_11target_archE1200ELNS1_3gpuE4ELNS1_3repE0EEENS1_30default_config_static_selectorELNS0_4arch9wavefront6targetE0EEEvT1_
	.p2align	8
	.type	_ZN7rocprim17ROCPRIM_400000_NS6detail17trampoline_kernelINS0_14default_configENS1_25partition_config_selectorILNS1_17partition_subalgoE8ElNS0_10empty_typeEbEEZZNS1_14partition_implILS5_8ELb0ES3_jPlPS6_PKS6_NS0_5tupleIJS9_S6_EEENSD_IJSA_SA_EEENS0_18inequality_wrapperIZN2at6native12_GLOBAL__N_124unique_dim_cuda_templateImEESt5tupleIJNSH_6TensorESM_SM_EERKSM_lbbbEUlllE0_EEPmJS6_EEE10hipError_tPvRmT3_T4_T5_T6_T7_T9_mT8_P12ihipStream_tbDpT10_ENKUlT_T0_E_clISt17integral_constantIbLb1EES1C_EEDaS17_S18_EUlS17_E_NS1_11comp_targetILNS1_3genE10ELNS1_11target_archE1200ELNS1_3gpuE4ELNS1_3repE0EEENS1_30default_config_static_selectorELNS0_4arch9wavefront6targetE0EEEvT1_,@function
_ZN7rocprim17ROCPRIM_400000_NS6detail17trampoline_kernelINS0_14default_configENS1_25partition_config_selectorILNS1_17partition_subalgoE8ElNS0_10empty_typeEbEEZZNS1_14partition_implILS5_8ELb0ES3_jPlPS6_PKS6_NS0_5tupleIJS9_S6_EEENSD_IJSA_SA_EEENS0_18inequality_wrapperIZN2at6native12_GLOBAL__N_124unique_dim_cuda_templateImEESt5tupleIJNSH_6TensorESM_SM_EERKSM_lbbbEUlllE0_EEPmJS6_EEE10hipError_tPvRmT3_T4_T5_T6_T7_T9_mT8_P12ihipStream_tbDpT10_ENKUlT_T0_E_clISt17integral_constantIbLb1EES1C_EEDaS17_S18_EUlS17_E_NS1_11comp_targetILNS1_3genE10ELNS1_11target_archE1200ELNS1_3gpuE4ELNS1_3repE0EEENS1_30default_config_static_selectorELNS0_4arch9wavefront6targetE0EEEvT1_: ; @_ZN7rocprim17ROCPRIM_400000_NS6detail17trampoline_kernelINS0_14default_configENS1_25partition_config_selectorILNS1_17partition_subalgoE8ElNS0_10empty_typeEbEEZZNS1_14partition_implILS5_8ELb0ES3_jPlPS6_PKS6_NS0_5tupleIJS9_S6_EEENSD_IJSA_SA_EEENS0_18inequality_wrapperIZN2at6native12_GLOBAL__N_124unique_dim_cuda_templateImEESt5tupleIJNSH_6TensorESM_SM_EERKSM_lbbbEUlllE0_EEPmJS6_EEE10hipError_tPvRmT3_T4_T5_T6_T7_T9_mT8_P12ihipStream_tbDpT10_ENKUlT_T0_E_clISt17integral_constantIbLb1EES1C_EEDaS17_S18_EUlS17_E_NS1_11comp_targetILNS1_3genE10ELNS1_11target_archE1200ELNS1_3gpuE4ELNS1_3repE0EEENS1_30default_config_static_selectorELNS0_4arch9wavefront6targetE0EEEvT1_
; %bb.0:
	.section	.rodata,"a",@progbits
	.p2align	6, 0x0
	.amdhsa_kernel _ZN7rocprim17ROCPRIM_400000_NS6detail17trampoline_kernelINS0_14default_configENS1_25partition_config_selectorILNS1_17partition_subalgoE8ElNS0_10empty_typeEbEEZZNS1_14partition_implILS5_8ELb0ES3_jPlPS6_PKS6_NS0_5tupleIJS9_S6_EEENSD_IJSA_SA_EEENS0_18inequality_wrapperIZN2at6native12_GLOBAL__N_124unique_dim_cuda_templateImEESt5tupleIJNSH_6TensorESM_SM_EERKSM_lbbbEUlllE0_EEPmJS6_EEE10hipError_tPvRmT3_T4_T5_T6_T7_T9_mT8_P12ihipStream_tbDpT10_ENKUlT_T0_E_clISt17integral_constantIbLb1EES1C_EEDaS17_S18_EUlS17_E_NS1_11comp_targetILNS1_3genE10ELNS1_11target_archE1200ELNS1_3gpuE4ELNS1_3repE0EEENS1_30default_config_static_selectorELNS0_4arch9wavefront6targetE0EEEvT1_
		.amdhsa_group_segment_fixed_size 0
		.amdhsa_private_segment_fixed_size 0
		.amdhsa_kernarg_size 136
		.amdhsa_user_sgpr_count 2
		.amdhsa_user_sgpr_dispatch_ptr 0
		.amdhsa_user_sgpr_queue_ptr 0
		.amdhsa_user_sgpr_kernarg_segment_ptr 1
		.amdhsa_user_sgpr_dispatch_id 0
		.amdhsa_user_sgpr_kernarg_preload_length 0
		.amdhsa_user_sgpr_kernarg_preload_offset 0
		.amdhsa_user_sgpr_private_segment_size 0
		.amdhsa_wavefront_size32 1
		.amdhsa_uses_dynamic_stack 0
		.amdhsa_enable_private_segment 0
		.amdhsa_system_sgpr_workgroup_id_x 1
		.amdhsa_system_sgpr_workgroup_id_y 0
		.amdhsa_system_sgpr_workgroup_id_z 0
		.amdhsa_system_sgpr_workgroup_info 0
		.amdhsa_system_vgpr_workitem_id 0
		.amdhsa_next_free_vgpr 1
		.amdhsa_next_free_sgpr 1
		.amdhsa_named_barrier_count 0
		.amdhsa_reserve_vcc 0
		.amdhsa_float_round_mode_32 0
		.amdhsa_float_round_mode_16_64 0
		.amdhsa_float_denorm_mode_32 3
		.amdhsa_float_denorm_mode_16_64 3
		.amdhsa_fp16_overflow 0
		.amdhsa_memory_ordered 1
		.amdhsa_forward_progress 1
		.amdhsa_inst_pref_size 0
		.amdhsa_round_robin_scheduling 0
		.amdhsa_exception_fp_ieee_invalid_op 0
		.amdhsa_exception_fp_denorm_src 0
		.amdhsa_exception_fp_ieee_div_zero 0
		.amdhsa_exception_fp_ieee_overflow 0
		.amdhsa_exception_fp_ieee_underflow 0
		.amdhsa_exception_fp_ieee_inexact 0
		.amdhsa_exception_int_div_zero 0
	.end_amdhsa_kernel
	.section	.text._ZN7rocprim17ROCPRIM_400000_NS6detail17trampoline_kernelINS0_14default_configENS1_25partition_config_selectorILNS1_17partition_subalgoE8ElNS0_10empty_typeEbEEZZNS1_14partition_implILS5_8ELb0ES3_jPlPS6_PKS6_NS0_5tupleIJS9_S6_EEENSD_IJSA_SA_EEENS0_18inequality_wrapperIZN2at6native12_GLOBAL__N_124unique_dim_cuda_templateImEESt5tupleIJNSH_6TensorESM_SM_EERKSM_lbbbEUlllE0_EEPmJS6_EEE10hipError_tPvRmT3_T4_T5_T6_T7_T9_mT8_P12ihipStream_tbDpT10_ENKUlT_T0_E_clISt17integral_constantIbLb1EES1C_EEDaS17_S18_EUlS17_E_NS1_11comp_targetILNS1_3genE10ELNS1_11target_archE1200ELNS1_3gpuE4ELNS1_3repE0EEENS1_30default_config_static_selectorELNS0_4arch9wavefront6targetE0EEEvT1_,"axG",@progbits,_ZN7rocprim17ROCPRIM_400000_NS6detail17trampoline_kernelINS0_14default_configENS1_25partition_config_selectorILNS1_17partition_subalgoE8ElNS0_10empty_typeEbEEZZNS1_14partition_implILS5_8ELb0ES3_jPlPS6_PKS6_NS0_5tupleIJS9_S6_EEENSD_IJSA_SA_EEENS0_18inequality_wrapperIZN2at6native12_GLOBAL__N_124unique_dim_cuda_templateImEESt5tupleIJNSH_6TensorESM_SM_EERKSM_lbbbEUlllE0_EEPmJS6_EEE10hipError_tPvRmT3_T4_T5_T6_T7_T9_mT8_P12ihipStream_tbDpT10_ENKUlT_T0_E_clISt17integral_constantIbLb1EES1C_EEDaS17_S18_EUlS17_E_NS1_11comp_targetILNS1_3genE10ELNS1_11target_archE1200ELNS1_3gpuE4ELNS1_3repE0EEENS1_30default_config_static_selectorELNS0_4arch9wavefront6targetE0EEEvT1_,comdat
.Lfunc_end1676:
	.size	_ZN7rocprim17ROCPRIM_400000_NS6detail17trampoline_kernelINS0_14default_configENS1_25partition_config_selectorILNS1_17partition_subalgoE8ElNS0_10empty_typeEbEEZZNS1_14partition_implILS5_8ELb0ES3_jPlPS6_PKS6_NS0_5tupleIJS9_S6_EEENSD_IJSA_SA_EEENS0_18inequality_wrapperIZN2at6native12_GLOBAL__N_124unique_dim_cuda_templateImEESt5tupleIJNSH_6TensorESM_SM_EERKSM_lbbbEUlllE0_EEPmJS6_EEE10hipError_tPvRmT3_T4_T5_T6_T7_T9_mT8_P12ihipStream_tbDpT10_ENKUlT_T0_E_clISt17integral_constantIbLb1EES1C_EEDaS17_S18_EUlS17_E_NS1_11comp_targetILNS1_3genE10ELNS1_11target_archE1200ELNS1_3gpuE4ELNS1_3repE0EEENS1_30default_config_static_selectorELNS0_4arch9wavefront6targetE0EEEvT1_, .Lfunc_end1676-_ZN7rocprim17ROCPRIM_400000_NS6detail17trampoline_kernelINS0_14default_configENS1_25partition_config_selectorILNS1_17partition_subalgoE8ElNS0_10empty_typeEbEEZZNS1_14partition_implILS5_8ELb0ES3_jPlPS6_PKS6_NS0_5tupleIJS9_S6_EEENSD_IJSA_SA_EEENS0_18inequality_wrapperIZN2at6native12_GLOBAL__N_124unique_dim_cuda_templateImEESt5tupleIJNSH_6TensorESM_SM_EERKSM_lbbbEUlllE0_EEPmJS6_EEE10hipError_tPvRmT3_T4_T5_T6_T7_T9_mT8_P12ihipStream_tbDpT10_ENKUlT_T0_E_clISt17integral_constantIbLb1EES1C_EEDaS17_S18_EUlS17_E_NS1_11comp_targetILNS1_3genE10ELNS1_11target_archE1200ELNS1_3gpuE4ELNS1_3repE0EEENS1_30default_config_static_selectorELNS0_4arch9wavefront6targetE0EEEvT1_
                                        ; -- End function
	.set _ZN7rocprim17ROCPRIM_400000_NS6detail17trampoline_kernelINS0_14default_configENS1_25partition_config_selectorILNS1_17partition_subalgoE8ElNS0_10empty_typeEbEEZZNS1_14partition_implILS5_8ELb0ES3_jPlPS6_PKS6_NS0_5tupleIJS9_S6_EEENSD_IJSA_SA_EEENS0_18inequality_wrapperIZN2at6native12_GLOBAL__N_124unique_dim_cuda_templateImEESt5tupleIJNSH_6TensorESM_SM_EERKSM_lbbbEUlllE0_EEPmJS6_EEE10hipError_tPvRmT3_T4_T5_T6_T7_T9_mT8_P12ihipStream_tbDpT10_ENKUlT_T0_E_clISt17integral_constantIbLb1EES1C_EEDaS17_S18_EUlS17_E_NS1_11comp_targetILNS1_3genE10ELNS1_11target_archE1200ELNS1_3gpuE4ELNS1_3repE0EEENS1_30default_config_static_selectorELNS0_4arch9wavefront6targetE0EEEvT1_.num_vgpr, 0
	.set _ZN7rocprim17ROCPRIM_400000_NS6detail17trampoline_kernelINS0_14default_configENS1_25partition_config_selectorILNS1_17partition_subalgoE8ElNS0_10empty_typeEbEEZZNS1_14partition_implILS5_8ELb0ES3_jPlPS6_PKS6_NS0_5tupleIJS9_S6_EEENSD_IJSA_SA_EEENS0_18inequality_wrapperIZN2at6native12_GLOBAL__N_124unique_dim_cuda_templateImEESt5tupleIJNSH_6TensorESM_SM_EERKSM_lbbbEUlllE0_EEPmJS6_EEE10hipError_tPvRmT3_T4_T5_T6_T7_T9_mT8_P12ihipStream_tbDpT10_ENKUlT_T0_E_clISt17integral_constantIbLb1EES1C_EEDaS17_S18_EUlS17_E_NS1_11comp_targetILNS1_3genE10ELNS1_11target_archE1200ELNS1_3gpuE4ELNS1_3repE0EEENS1_30default_config_static_selectorELNS0_4arch9wavefront6targetE0EEEvT1_.num_agpr, 0
	.set _ZN7rocprim17ROCPRIM_400000_NS6detail17trampoline_kernelINS0_14default_configENS1_25partition_config_selectorILNS1_17partition_subalgoE8ElNS0_10empty_typeEbEEZZNS1_14partition_implILS5_8ELb0ES3_jPlPS6_PKS6_NS0_5tupleIJS9_S6_EEENSD_IJSA_SA_EEENS0_18inequality_wrapperIZN2at6native12_GLOBAL__N_124unique_dim_cuda_templateImEESt5tupleIJNSH_6TensorESM_SM_EERKSM_lbbbEUlllE0_EEPmJS6_EEE10hipError_tPvRmT3_T4_T5_T6_T7_T9_mT8_P12ihipStream_tbDpT10_ENKUlT_T0_E_clISt17integral_constantIbLb1EES1C_EEDaS17_S18_EUlS17_E_NS1_11comp_targetILNS1_3genE10ELNS1_11target_archE1200ELNS1_3gpuE4ELNS1_3repE0EEENS1_30default_config_static_selectorELNS0_4arch9wavefront6targetE0EEEvT1_.numbered_sgpr, 0
	.set _ZN7rocprim17ROCPRIM_400000_NS6detail17trampoline_kernelINS0_14default_configENS1_25partition_config_selectorILNS1_17partition_subalgoE8ElNS0_10empty_typeEbEEZZNS1_14partition_implILS5_8ELb0ES3_jPlPS6_PKS6_NS0_5tupleIJS9_S6_EEENSD_IJSA_SA_EEENS0_18inequality_wrapperIZN2at6native12_GLOBAL__N_124unique_dim_cuda_templateImEESt5tupleIJNSH_6TensorESM_SM_EERKSM_lbbbEUlllE0_EEPmJS6_EEE10hipError_tPvRmT3_T4_T5_T6_T7_T9_mT8_P12ihipStream_tbDpT10_ENKUlT_T0_E_clISt17integral_constantIbLb1EES1C_EEDaS17_S18_EUlS17_E_NS1_11comp_targetILNS1_3genE10ELNS1_11target_archE1200ELNS1_3gpuE4ELNS1_3repE0EEENS1_30default_config_static_selectorELNS0_4arch9wavefront6targetE0EEEvT1_.num_named_barrier, 0
	.set _ZN7rocprim17ROCPRIM_400000_NS6detail17trampoline_kernelINS0_14default_configENS1_25partition_config_selectorILNS1_17partition_subalgoE8ElNS0_10empty_typeEbEEZZNS1_14partition_implILS5_8ELb0ES3_jPlPS6_PKS6_NS0_5tupleIJS9_S6_EEENSD_IJSA_SA_EEENS0_18inequality_wrapperIZN2at6native12_GLOBAL__N_124unique_dim_cuda_templateImEESt5tupleIJNSH_6TensorESM_SM_EERKSM_lbbbEUlllE0_EEPmJS6_EEE10hipError_tPvRmT3_T4_T5_T6_T7_T9_mT8_P12ihipStream_tbDpT10_ENKUlT_T0_E_clISt17integral_constantIbLb1EES1C_EEDaS17_S18_EUlS17_E_NS1_11comp_targetILNS1_3genE10ELNS1_11target_archE1200ELNS1_3gpuE4ELNS1_3repE0EEENS1_30default_config_static_selectorELNS0_4arch9wavefront6targetE0EEEvT1_.private_seg_size, 0
	.set _ZN7rocprim17ROCPRIM_400000_NS6detail17trampoline_kernelINS0_14default_configENS1_25partition_config_selectorILNS1_17partition_subalgoE8ElNS0_10empty_typeEbEEZZNS1_14partition_implILS5_8ELb0ES3_jPlPS6_PKS6_NS0_5tupleIJS9_S6_EEENSD_IJSA_SA_EEENS0_18inequality_wrapperIZN2at6native12_GLOBAL__N_124unique_dim_cuda_templateImEESt5tupleIJNSH_6TensorESM_SM_EERKSM_lbbbEUlllE0_EEPmJS6_EEE10hipError_tPvRmT3_T4_T5_T6_T7_T9_mT8_P12ihipStream_tbDpT10_ENKUlT_T0_E_clISt17integral_constantIbLb1EES1C_EEDaS17_S18_EUlS17_E_NS1_11comp_targetILNS1_3genE10ELNS1_11target_archE1200ELNS1_3gpuE4ELNS1_3repE0EEENS1_30default_config_static_selectorELNS0_4arch9wavefront6targetE0EEEvT1_.uses_vcc, 0
	.set _ZN7rocprim17ROCPRIM_400000_NS6detail17trampoline_kernelINS0_14default_configENS1_25partition_config_selectorILNS1_17partition_subalgoE8ElNS0_10empty_typeEbEEZZNS1_14partition_implILS5_8ELb0ES3_jPlPS6_PKS6_NS0_5tupleIJS9_S6_EEENSD_IJSA_SA_EEENS0_18inequality_wrapperIZN2at6native12_GLOBAL__N_124unique_dim_cuda_templateImEESt5tupleIJNSH_6TensorESM_SM_EERKSM_lbbbEUlllE0_EEPmJS6_EEE10hipError_tPvRmT3_T4_T5_T6_T7_T9_mT8_P12ihipStream_tbDpT10_ENKUlT_T0_E_clISt17integral_constantIbLb1EES1C_EEDaS17_S18_EUlS17_E_NS1_11comp_targetILNS1_3genE10ELNS1_11target_archE1200ELNS1_3gpuE4ELNS1_3repE0EEENS1_30default_config_static_selectorELNS0_4arch9wavefront6targetE0EEEvT1_.uses_flat_scratch, 0
	.set _ZN7rocprim17ROCPRIM_400000_NS6detail17trampoline_kernelINS0_14default_configENS1_25partition_config_selectorILNS1_17partition_subalgoE8ElNS0_10empty_typeEbEEZZNS1_14partition_implILS5_8ELb0ES3_jPlPS6_PKS6_NS0_5tupleIJS9_S6_EEENSD_IJSA_SA_EEENS0_18inequality_wrapperIZN2at6native12_GLOBAL__N_124unique_dim_cuda_templateImEESt5tupleIJNSH_6TensorESM_SM_EERKSM_lbbbEUlllE0_EEPmJS6_EEE10hipError_tPvRmT3_T4_T5_T6_T7_T9_mT8_P12ihipStream_tbDpT10_ENKUlT_T0_E_clISt17integral_constantIbLb1EES1C_EEDaS17_S18_EUlS17_E_NS1_11comp_targetILNS1_3genE10ELNS1_11target_archE1200ELNS1_3gpuE4ELNS1_3repE0EEENS1_30default_config_static_selectorELNS0_4arch9wavefront6targetE0EEEvT1_.has_dyn_sized_stack, 0
	.set _ZN7rocprim17ROCPRIM_400000_NS6detail17trampoline_kernelINS0_14default_configENS1_25partition_config_selectorILNS1_17partition_subalgoE8ElNS0_10empty_typeEbEEZZNS1_14partition_implILS5_8ELb0ES3_jPlPS6_PKS6_NS0_5tupleIJS9_S6_EEENSD_IJSA_SA_EEENS0_18inequality_wrapperIZN2at6native12_GLOBAL__N_124unique_dim_cuda_templateImEESt5tupleIJNSH_6TensorESM_SM_EERKSM_lbbbEUlllE0_EEPmJS6_EEE10hipError_tPvRmT3_T4_T5_T6_T7_T9_mT8_P12ihipStream_tbDpT10_ENKUlT_T0_E_clISt17integral_constantIbLb1EES1C_EEDaS17_S18_EUlS17_E_NS1_11comp_targetILNS1_3genE10ELNS1_11target_archE1200ELNS1_3gpuE4ELNS1_3repE0EEENS1_30default_config_static_selectorELNS0_4arch9wavefront6targetE0EEEvT1_.has_recursion, 0
	.set _ZN7rocprim17ROCPRIM_400000_NS6detail17trampoline_kernelINS0_14default_configENS1_25partition_config_selectorILNS1_17partition_subalgoE8ElNS0_10empty_typeEbEEZZNS1_14partition_implILS5_8ELb0ES3_jPlPS6_PKS6_NS0_5tupleIJS9_S6_EEENSD_IJSA_SA_EEENS0_18inequality_wrapperIZN2at6native12_GLOBAL__N_124unique_dim_cuda_templateImEESt5tupleIJNSH_6TensorESM_SM_EERKSM_lbbbEUlllE0_EEPmJS6_EEE10hipError_tPvRmT3_T4_T5_T6_T7_T9_mT8_P12ihipStream_tbDpT10_ENKUlT_T0_E_clISt17integral_constantIbLb1EES1C_EEDaS17_S18_EUlS17_E_NS1_11comp_targetILNS1_3genE10ELNS1_11target_archE1200ELNS1_3gpuE4ELNS1_3repE0EEENS1_30default_config_static_selectorELNS0_4arch9wavefront6targetE0EEEvT1_.has_indirect_call, 0
	.section	.AMDGPU.csdata,"",@progbits
; Kernel info:
; codeLenInByte = 0
; TotalNumSgprs: 0
; NumVgprs: 0
; ScratchSize: 0
; MemoryBound: 0
; FloatMode: 240
; IeeeMode: 1
; LDSByteSize: 0 bytes/workgroup (compile time only)
; SGPRBlocks: 0
; VGPRBlocks: 0
; NumSGPRsForWavesPerEU: 1
; NumVGPRsForWavesPerEU: 1
; NamedBarCnt: 0
; Occupancy: 16
; WaveLimiterHint : 0
; COMPUTE_PGM_RSRC2:SCRATCH_EN: 0
; COMPUTE_PGM_RSRC2:USER_SGPR: 2
; COMPUTE_PGM_RSRC2:TRAP_HANDLER: 0
; COMPUTE_PGM_RSRC2:TGID_X_EN: 1
; COMPUTE_PGM_RSRC2:TGID_Y_EN: 0
; COMPUTE_PGM_RSRC2:TGID_Z_EN: 0
; COMPUTE_PGM_RSRC2:TIDIG_COMP_CNT: 0
	.section	.text._ZN7rocprim17ROCPRIM_400000_NS6detail17trampoline_kernelINS0_14default_configENS1_25partition_config_selectorILNS1_17partition_subalgoE8ElNS0_10empty_typeEbEEZZNS1_14partition_implILS5_8ELb0ES3_jPlPS6_PKS6_NS0_5tupleIJS9_S6_EEENSD_IJSA_SA_EEENS0_18inequality_wrapperIZN2at6native12_GLOBAL__N_124unique_dim_cuda_templateImEESt5tupleIJNSH_6TensorESM_SM_EERKSM_lbbbEUlllE0_EEPmJS6_EEE10hipError_tPvRmT3_T4_T5_T6_T7_T9_mT8_P12ihipStream_tbDpT10_ENKUlT_T0_E_clISt17integral_constantIbLb1EES1C_EEDaS17_S18_EUlS17_E_NS1_11comp_targetILNS1_3genE9ELNS1_11target_archE1100ELNS1_3gpuE3ELNS1_3repE0EEENS1_30default_config_static_selectorELNS0_4arch9wavefront6targetE0EEEvT1_,"axG",@progbits,_ZN7rocprim17ROCPRIM_400000_NS6detail17trampoline_kernelINS0_14default_configENS1_25partition_config_selectorILNS1_17partition_subalgoE8ElNS0_10empty_typeEbEEZZNS1_14partition_implILS5_8ELb0ES3_jPlPS6_PKS6_NS0_5tupleIJS9_S6_EEENSD_IJSA_SA_EEENS0_18inequality_wrapperIZN2at6native12_GLOBAL__N_124unique_dim_cuda_templateImEESt5tupleIJNSH_6TensorESM_SM_EERKSM_lbbbEUlllE0_EEPmJS6_EEE10hipError_tPvRmT3_T4_T5_T6_T7_T9_mT8_P12ihipStream_tbDpT10_ENKUlT_T0_E_clISt17integral_constantIbLb1EES1C_EEDaS17_S18_EUlS17_E_NS1_11comp_targetILNS1_3genE9ELNS1_11target_archE1100ELNS1_3gpuE3ELNS1_3repE0EEENS1_30default_config_static_selectorELNS0_4arch9wavefront6targetE0EEEvT1_,comdat
	.globl	_ZN7rocprim17ROCPRIM_400000_NS6detail17trampoline_kernelINS0_14default_configENS1_25partition_config_selectorILNS1_17partition_subalgoE8ElNS0_10empty_typeEbEEZZNS1_14partition_implILS5_8ELb0ES3_jPlPS6_PKS6_NS0_5tupleIJS9_S6_EEENSD_IJSA_SA_EEENS0_18inequality_wrapperIZN2at6native12_GLOBAL__N_124unique_dim_cuda_templateImEESt5tupleIJNSH_6TensorESM_SM_EERKSM_lbbbEUlllE0_EEPmJS6_EEE10hipError_tPvRmT3_T4_T5_T6_T7_T9_mT8_P12ihipStream_tbDpT10_ENKUlT_T0_E_clISt17integral_constantIbLb1EES1C_EEDaS17_S18_EUlS17_E_NS1_11comp_targetILNS1_3genE9ELNS1_11target_archE1100ELNS1_3gpuE3ELNS1_3repE0EEENS1_30default_config_static_selectorELNS0_4arch9wavefront6targetE0EEEvT1_ ; -- Begin function _ZN7rocprim17ROCPRIM_400000_NS6detail17trampoline_kernelINS0_14default_configENS1_25partition_config_selectorILNS1_17partition_subalgoE8ElNS0_10empty_typeEbEEZZNS1_14partition_implILS5_8ELb0ES3_jPlPS6_PKS6_NS0_5tupleIJS9_S6_EEENSD_IJSA_SA_EEENS0_18inequality_wrapperIZN2at6native12_GLOBAL__N_124unique_dim_cuda_templateImEESt5tupleIJNSH_6TensorESM_SM_EERKSM_lbbbEUlllE0_EEPmJS6_EEE10hipError_tPvRmT3_T4_T5_T6_T7_T9_mT8_P12ihipStream_tbDpT10_ENKUlT_T0_E_clISt17integral_constantIbLb1EES1C_EEDaS17_S18_EUlS17_E_NS1_11comp_targetILNS1_3genE9ELNS1_11target_archE1100ELNS1_3gpuE3ELNS1_3repE0EEENS1_30default_config_static_selectorELNS0_4arch9wavefront6targetE0EEEvT1_
	.p2align	8
	.type	_ZN7rocprim17ROCPRIM_400000_NS6detail17trampoline_kernelINS0_14default_configENS1_25partition_config_selectorILNS1_17partition_subalgoE8ElNS0_10empty_typeEbEEZZNS1_14partition_implILS5_8ELb0ES3_jPlPS6_PKS6_NS0_5tupleIJS9_S6_EEENSD_IJSA_SA_EEENS0_18inequality_wrapperIZN2at6native12_GLOBAL__N_124unique_dim_cuda_templateImEESt5tupleIJNSH_6TensorESM_SM_EERKSM_lbbbEUlllE0_EEPmJS6_EEE10hipError_tPvRmT3_T4_T5_T6_T7_T9_mT8_P12ihipStream_tbDpT10_ENKUlT_T0_E_clISt17integral_constantIbLb1EES1C_EEDaS17_S18_EUlS17_E_NS1_11comp_targetILNS1_3genE9ELNS1_11target_archE1100ELNS1_3gpuE3ELNS1_3repE0EEENS1_30default_config_static_selectorELNS0_4arch9wavefront6targetE0EEEvT1_,@function
_ZN7rocprim17ROCPRIM_400000_NS6detail17trampoline_kernelINS0_14default_configENS1_25partition_config_selectorILNS1_17partition_subalgoE8ElNS0_10empty_typeEbEEZZNS1_14partition_implILS5_8ELb0ES3_jPlPS6_PKS6_NS0_5tupleIJS9_S6_EEENSD_IJSA_SA_EEENS0_18inequality_wrapperIZN2at6native12_GLOBAL__N_124unique_dim_cuda_templateImEESt5tupleIJNSH_6TensorESM_SM_EERKSM_lbbbEUlllE0_EEPmJS6_EEE10hipError_tPvRmT3_T4_T5_T6_T7_T9_mT8_P12ihipStream_tbDpT10_ENKUlT_T0_E_clISt17integral_constantIbLb1EES1C_EEDaS17_S18_EUlS17_E_NS1_11comp_targetILNS1_3genE9ELNS1_11target_archE1100ELNS1_3gpuE3ELNS1_3repE0EEENS1_30default_config_static_selectorELNS0_4arch9wavefront6targetE0EEEvT1_: ; @_ZN7rocprim17ROCPRIM_400000_NS6detail17trampoline_kernelINS0_14default_configENS1_25partition_config_selectorILNS1_17partition_subalgoE8ElNS0_10empty_typeEbEEZZNS1_14partition_implILS5_8ELb0ES3_jPlPS6_PKS6_NS0_5tupleIJS9_S6_EEENSD_IJSA_SA_EEENS0_18inequality_wrapperIZN2at6native12_GLOBAL__N_124unique_dim_cuda_templateImEESt5tupleIJNSH_6TensorESM_SM_EERKSM_lbbbEUlllE0_EEPmJS6_EEE10hipError_tPvRmT3_T4_T5_T6_T7_T9_mT8_P12ihipStream_tbDpT10_ENKUlT_T0_E_clISt17integral_constantIbLb1EES1C_EEDaS17_S18_EUlS17_E_NS1_11comp_targetILNS1_3genE9ELNS1_11target_archE1100ELNS1_3gpuE3ELNS1_3repE0EEENS1_30default_config_static_selectorELNS0_4arch9wavefront6targetE0EEEvT1_
; %bb.0:
	.section	.rodata,"a",@progbits
	.p2align	6, 0x0
	.amdhsa_kernel _ZN7rocprim17ROCPRIM_400000_NS6detail17trampoline_kernelINS0_14default_configENS1_25partition_config_selectorILNS1_17partition_subalgoE8ElNS0_10empty_typeEbEEZZNS1_14partition_implILS5_8ELb0ES3_jPlPS6_PKS6_NS0_5tupleIJS9_S6_EEENSD_IJSA_SA_EEENS0_18inequality_wrapperIZN2at6native12_GLOBAL__N_124unique_dim_cuda_templateImEESt5tupleIJNSH_6TensorESM_SM_EERKSM_lbbbEUlllE0_EEPmJS6_EEE10hipError_tPvRmT3_T4_T5_T6_T7_T9_mT8_P12ihipStream_tbDpT10_ENKUlT_T0_E_clISt17integral_constantIbLb1EES1C_EEDaS17_S18_EUlS17_E_NS1_11comp_targetILNS1_3genE9ELNS1_11target_archE1100ELNS1_3gpuE3ELNS1_3repE0EEENS1_30default_config_static_selectorELNS0_4arch9wavefront6targetE0EEEvT1_
		.amdhsa_group_segment_fixed_size 0
		.amdhsa_private_segment_fixed_size 0
		.amdhsa_kernarg_size 136
		.amdhsa_user_sgpr_count 2
		.amdhsa_user_sgpr_dispatch_ptr 0
		.amdhsa_user_sgpr_queue_ptr 0
		.amdhsa_user_sgpr_kernarg_segment_ptr 1
		.amdhsa_user_sgpr_dispatch_id 0
		.amdhsa_user_sgpr_kernarg_preload_length 0
		.amdhsa_user_sgpr_kernarg_preload_offset 0
		.amdhsa_user_sgpr_private_segment_size 0
		.amdhsa_wavefront_size32 1
		.amdhsa_uses_dynamic_stack 0
		.amdhsa_enable_private_segment 0
		.amdhsa_system_sgpr_workgroup_id_x 1
		.amdhsa_system_sgpr_workgroup_id_y 0
		.amdhsa_system_sgpr_workgroup_id_z 0
		.amdhsa_system_sgpr_workgroup_info 0
		.amdhsa_system_vgpr_workitem_id 0
		.amdhsa_next_free_vgpr 1
		.amdhsa_next_free_sgpr 1
		.amdhsa_named_barrier_count 0
		.amdhsa_reserve_vcc 0
		.amdhsa_float_round_mode_32 0
		.amdhsa_float_round_mode_16_64 0
		.amdhsa_float_denorm_mode_32 3
		.amdhsa_float_denorm_mode_16_64 3
		.amdhsa_fp16_overflow 0
		.amdhsa_memory_ordered 1
		.amdhsa_forward_progress 1
		.amdhsa_inst_pref_size 0
		.amdhsa_round_robin_scheduling 0
		.amdhsa_exception_fp_ieee_invalid_op 0
		.amdhsa_exception_fp_denorm_src 0
		.amdhsa_exception_fp_ieee_div_zero 0
		.amdhsa_exception_fp_ieee_overflow 0
		.amdhsa_exception_fp_ieee_underflow 0
		.amdhsa_exception_fp_ieee_inexact 0
		.amdhsa_exception_int_div_zero 0
	.end_amdhsa_kernel
	.section	.text._ZN7rocprim17ROCPRIM_400000_NS6detail17trampoline_kernelINS0_14default_configENS1_25partition_config_selectorILNS1_17partition_subalgoE8ElNS0_10empty_typeEbEEZZNS1_14partition_implILS5_8ELb0ES3_jPlPS6_PKS6_NS0_5tupleIJS9_S6_EEENSD_IJSA_SA_EEENS0_18inequality_wrapperIZN2at6native12_GLOBAL__N_124unique_dim_cuda_templateImEESt5tupleIJNSH_6TensorESM_SM_EERKSM_lbbbEUlllE0_EEPmJS6_EEE10hipError_tPvRmT3_T4_T5_T6_T7_T9_mT8_P12ihipStream_tbDpT10_ENKUlT_T0_E_clISt17integral_constantIbLb1EES1C_EEDaS17_S18_EUlS17_E_NS1_11comp_targetILNS1_3genE9ELNS1_11target_archE1100ELNS1_3gpuE3ELNS1_3repE0EEENS1_30default_config_static_selectorELNS0_4arch9wavefront6targetE0EEEvT1_,"axG",@progbits,_ZN7rocprim17ROCPRIM_400000_NS6detail17trampoline_kernelINS0_14default_configENS1_25partition_config_selectorILNS1_17partition_subalgoE8ElNS0_10empty_typeEbEEZZNS1_14partition_implILS5_8ELb0ES3_jPlPS6_PKS6_NS0_5tupleIJS9_S6_EEENSD_IJSA_SA_EEENS0_18inequality_wrapperIZN2at6native12_GLOBAL__N_124unique_dim_cuda_templateImEESt5tupleIJNSH_6TensorESM_SM_EERKSM_lbbbEUlllE0_EEPmJS6_EEE10hipError_tPvRmT3_T4_T5_T6_T7_T9_mT8_P12ihipStream_tbDpT10_ENKUlT_T0_E_clISt17integral_constantIbLb1EES1C_EEDaS17_S18_EUlS17_E_NS1_11comp_targetILNS1_3genE9ELNS1_11target_archE1100ELNS1_3gpuE3ELNS1_3repE0EEENS1_30default_config_static_selectorELNS0_4arch9wavefront6targetE0EEEvT1_,comdat
.Lfunc_end1677:
	.size	_ZN7rocprim17ROCPRIM_400000_NS6detail17trampoline_kernelINS0_14default_configENS1_25partition_config_selectorILNS1_17partition_subalgoE8ElNS0_10empty_typeEbEEZZNS1_14partition_implILS5_8ELb0ES3_jPlPS6_PKS6_NS0_5tupleIJS9_S6_EEENSD_IJSA_SA_EEENS0_18inequality_wrapperIZN2at6native12_GLOBAL__N_124unique_dim_cuda_templateImEESt5tupleIJNSH_6TensorESM_SM_EERKSM_lbbbEUlllE0_EEPmJS6_EEE10hipError_tPvRmT3_T4_T5_T6_T7_T9_mT8_P12ihipStream_tbDpT10_ENKUlT_T0_E_clISt17integral_constantIbLb1EES1C_EEDaS17_S18_EUlS17_E_NS1_11comp_targetILNS1_3genE9ELNS1_11target_archE1100ELNS1_3gpuE3ELNS1_3repE0EEENS1_30default_config_static_selectorELNS0_4arch9wavefront6targetE0EEEvT1_, .Lfunc_end1677-_ZN7rocprim17ROCPRIM_400000_NS6detail17trampoline_kernelINS0_14default_configENS1_25partition_config_selectorILNS1_17partition_subalgoE8ElNS0_10empty_typeEbEEZZNS1_14partition_implILS5_8ELb0ES3_jPlPS6_PKS6_NS0_5tupleIJS9_S6_EEENSD_IJSA_SA_EEENS0_18inequality_wrapperIZN2at6native12_GLOBAL__N_124unique_dim_cuda_templateImEESt5tupleIJNSH_6TensorESM_SM_EERKSM_lbbbEUlllE0_EEPmJS6_EEE10hipError_tPvRmT3_T4_T5_T6_T7_T9_mT8_P12ihipStream_tbDpT10_ENKUlT_T0_E_clISt17integral_constantIbLb1EES1C_EEDaS17_S18_EUlS17_E_NS1_11comp_targetILNS1_3genE9ELNS1_11target_archE1100ELNS1_3gpuE3ELNS1_3repE0EEENS1_30default_config_static_selectorELNS0_4arch9wavefront6targetE0EEEvT1_
                                        ; -- End function
	.set _ZN7rocprim17ROCPRIM_400000_NS6detail17trampoline_kernelINS0_14default_configENS1_25partition_config_selectorILNS1_17partition_subalgoE8ElNS0_10empty_typeEbEEZZNS1_14partition_implILS5_8ELb0ES3_jPlPS6_PKS6_NS0_5tupleIJS9_S6_EEENSD_IJSA_SA_EEENS0_18inequality_wrapperIZN2at6native12_GLOBAL__N_124unique_dim_cuda_templateImEESt5tupleIJNSH_6TensorESM_SM_EERKSM_lbbbEUlllE0_EEPmJS6_EEE10hipError_tPvRmT3_T4_T5_T6_T7_T9_mT8_P12ihipStream_tbDpT10_ENKUlT_T0_E_clISt17integral_constantIbLb1EES1C_EEDaS17_S18_EUlS17_E_NS1_11comp_targetILNS1_3genE9ELNS1_11target_archE1100ELNS1_3gpuE3ELNS1_3repE0EEENS1_30default_config_static_selectorELNS0_4arch9wavefront6targetE0EEEvT1_.num_vgpr, 0
	.set _ZN7rocprim17ROCPRIM_400000_NS6detail17trampoline_kernelINS0_14default_configENS1_25partition_config_selectorILNS1_17partition_subalgoE8ElNS0_10empty_typeEbEEZZNS1_14partition_implILS5_8ELb0ES3_jPlPS6_PKS6_NS0_5tupleIJS9_S6_EEENSD_IJSA_SA_EEENS0_18inequality_wrapperIZN2at6native12_GLOBAL__N_124unique_dim_cuda_templateImEESt5tupleIJNSH_6TensorESM_SM_EERKSM_lbbbEUlllE0_EEPmJS6_EEE10hipError_tPvRmT3_T4_T5_T6_T7_T9_mT8_P12ihipStream_tbDpT10_ENKUlT_T0_E_clISt17integral_constantIbLb1EES1C_EEDaS17_S18_EUlS17_E_NS1_11comp_targetILNS1_3genE9ELNS1_11target_archE1100ELNS1_3gpuE3ELNS1_3repE0EEENS1_30default_config_static_selectorELNS0_4arch9wavefront6targetE0EEEvT1_.num_agpr, 0
	.set _ZN7rocprim17ROCPRIM_400000_NS6detail17trampoline_kernelINS0_14default_configENS1_25partition_config_selectorILNS1_17partition_subalgoE8ElNS0_10empty_typeEbEEZZNS1_14partition_implILS5_8ELb0ES3_jPlPS6_PKS6_NS0_5tupleIJS9_S6_EEENSD_IJSA_SA_EEENS0_18inequality_wrapperIZN2at6native12_GLOBAL__N_124unique_dim_cuda_templateImEESt5tupleIJNSH_6TensorESM_SM_EERKSM_lbbbEUlllE0_EEPmJS6_EEE10hipError_tPvRmT3_T4_T5_T6_T7_T9_mT8_P12ihipStream_tbDpT10_ENKUlT_T0_E_clISt17integral_constantIbLb1EES1C_EEDaS17_S18_EUlS17_E_NS1_11comp_targetILNS1_3genE9ELNS1_11target_archE1100ELNS1_3gpuE3ELNS1_3repE0EEENS1_30default_config_static_selectorELNS0_4arch9wavefront6targetE0EEEvT1_.numbered_sgpr, 0
	.set _ZN7rocprim17ROCPRIM_400000_NS6detail17trampoline_kernelINS0_14default_configENS1_25partition_config_selectorILNS1_17partition_subalgoE8ElNS0_10empty_typeEbEEZZNS1_14partition_implILS5_8ELb0ES3_jPlPS6_PKS6_NS0_5tupleIJS9_S6_EEENSD_IJSA_SA_EEENS0_18inequality_wrapperIZN2at6native12_GLOBAL__N_124unique_dim_cuda_templateImEESt5tupleIJNSH_6TensorESM_SM_EERKSM_lbbbEUlllE0_EEPmJS6_EEE10hipError_tPvRmT3_T4_T5_T6_T7_T9_mT8_P12ihipStream_tbDpT10_ENKUlT_T0_E_clISt17integral_constantIbLb1EES1C_EEDaS17_S18_EUlS17_E_NS1_11comp_targetILNS1_3genE9ELNS1_11target_archE1100ELNS1_3gpuE3ELNS1_3repE0EEENS1_30default_config_static_selectorELNS0_4arch9wavefront6targetE0EEEvT1_.num_named_barrier, 0
	.set _ZN7rocprim17ROCPRIM_400000_NS6detail17trampoline_kernelINS0_14default_configENS1_25partition_config_selectorILNS1_17partition_subalgoE8ElNS0_10empty_typeEbEEZZNS1_14partition_implILS5_8ELb0ES3_jPlPS6_PKS6_NS0_5tupleIJS9_S6_EEENSD_IJSA_SA_EEENS0_18inequality_wrapperIZN2at6native12_GLOBAL__N_124unique_dim_cuda_templateImEESt5tupleIJNSH_6TensorESM_SM_EERKSM_lbbbEUlllE0_EEPmJS6_EEE10hipError_tPvRmT3_T4_T5_T6_T7_T9_mT8_P12ihipStream_tbDpT10_ENKUlT_T0_E_clISt17integral_constantIbLb1EES1C_EEDaS17_S18_EUlS17_E_NS1_11comp_targetILNS1_3genE9ELNS1_11target_archE1100ELNS1_3gpuE3ELNS1_3repE0EEENS1_30default_config_static_selectorELNS0_4arch9wavefront6targetE0EEEvT1_.private_seg_size, 0
	.set _ZN7rocprim17ROCPRIM_400000_NS6detail17trampoline_kernelINS0_14default_configENS1_25partition_config_selectorILNS1_17partition_subalgoE8ElNS0_10empty_typeEbEEZZNS1_14partition_implILS5_8ELb0ES3_jPlPS6_PKS6_NS0_5tupleIJS9_S6_EEENSD_IJSA_SA_EEENS0_18inequality_wrapperIZN2at6native12_GLOBAL__N_124unique_dim_cuda_templateImEESt5tupleIJNSH_6TensorESM_SM_EERKSM_lbbbEUlllE0_EEPmJS6_EEE10hipError_tPvRmT3_T4_T5_T6_T7_T9_mT8_P12ihipStream_tbDpT10_ENKUlT_T0_E_clISt17integral_constantIbLb1EES1C_EEDaS17_S18_EUlS17_E_NS1_11comp_targetILNS1_3genE9ELNS1_11target_archE1100ELNS1_3gpuE3ELNS1_3repE0EEENS1_30default_config_static_selectorELNS0_4arch9wavefront6targetE0EEEvT1_.uses_vcc, 0
	.set _ZN7rocprim17ROCPRIM_400000_NS6detail17trampoline_kernelINS0_14default_configENS1_25partition_config_selectorILNS1_17partition_subalgoE8ElNS0_10empty_typeEbEEZZNS1_14partition_implILS5_8ELb0ES3_jPlPS6_PKS6_NS0_5tupleIJS9_S6_EEENSD_IJSA_SA_EEENS0_18inequality_wrapperIZN2at6native12_GLOBAL__N_124unique_dim_cuda_templateImEESt5tupleIJNSH_6TensorESM_SM_EERKSM_lbbbEUlllE0_EEPmJS6_EEE10hipError_tPvRmT3_T4_T5_T6_T7_T9_mT8_P12ihipStream_tbDpT10_ENKUlT_T0_E_clISt17integral_constantIbLb1EES1C_EEDaS17_S18_EUlS17_E_NS1_11comp_targetILNS1_3genE9ELNS1_11target_archE1100ELNS1_3gpuE3ELNS1_3repE0EEENS1_30default_config_static_selectorELNS0_4arch9wavefront6targetE0EEEvT1_.uses_flat_scratch, 0
	.set _ZN7rocprim17ROCPRIM_400000_NS6detail17trampoline_kernelINS0_14default_configENS1_25partition_config_selectorILNS1_17partition_subalgoE8ElNS0_10empty_typeEbEEZZNS1_14partition_implILS5_8ELb0ES3_jPlPS6_PKS6_NS0_5tupleIJS9_S6_EEENSD_IJSA_SA_EEENS0_18inequality_wrapperIZN2at6native12_GLOBAL__N_124unique_dim_cuda_templateImEESt5tupleIJNSH_6TensorESM_SM_EERKSM_lbbbEUlllE0_EEPmJS6_EEE10hipError_tPvRmT3_T4_T5_T6_T7_T9_mT8_P12ihipStream_tbDpT10_ENKUlT_T0_E_clISt17integral_constantIbLb1EES1C_EEDaS17_S18_EUlS17_E_NS1_11comp_targetILNS1_3genE9ELNS1_11target_archE1100ELNS1_3gpuE3ELNS1_3repE0EEENS1_30default_config_static_selectorELNS0_4arch9wavefront6targetE0EEEvT1_.has_dyn_sized_stack, 0
	.set _ZN7rocprim17ROCPRIM_400000_NS6detail17trampoline_kernelINS0_14default_configENS1_25partition_config_selectorILNS1_17partition_subalgoE8ElNS0_10empty_typeEbEEZZNS1_14partition_implILS5_8ELb0ES3_jPlPS6_PKS6_NS0_5tupleIJS9_S6_EEENSD_IJSA_SA_EEENS0_18inequality_wrapperIZN2at6native12_GLOBAL__N_124unique_dim_cuda_templateImEESt5tupleIJNSH_6TensorESM_SM_EERKSM_lbbbEUlllE0_EEPmJS6_EEE10hipError_tPvRmT3_T4_T5_T6_T7_T9_mT8_P12ihipStream_tbDpT10_ENKUlT_T0_E_clISt17integral_constantIbLb1EES1C_EEDaS17_S18_EUlS17_E_NS1_11comp_targetILNS1_3genE9ELNS1_11target_archE1100ELNS1_3gpuE3ELNS1_3repE0EEENS1_30default_config_static_selectorELNS0_4arch9wavefront6targetE0EEEvT1_.has_recursion, 0
	.set _ZN7rocprim17ROCPRIM_400000_NS6detail17trampoline_kernelINS0_14default_configENS1_25partition_config_selectorILNS1_17partition_subalgoE8ElNS0_10empty_typeEbEEZZNS1_14partition_implILS5_8ELb0ES3_jPlPS6_PKS6_NS0_5tupleIJS9_S6_EEENSD_IJSA_SA_EEENS0_18inequality_wrapperIZN2at6native12_GLOBAL__N_124unique_dim_cuda_templateImEESt5tupleIJNSH_6TensorESM_SM_EERKSM_lbbbEUlllE0_EEPmJS6_EEE10hipError_tPvRmT3_T4_T5_T6_T7_T9_mT8_P12ihipStream_tbDpT10_ENKUlT_T0_E_clISt17integral_constantIbLb1EES1C_EEDaS17_S18_EUlS17_E_NS1_11comp_targetILNS1_3genE9ELNS1_11target_archE1100ELNS1_3gpuE3ELNS1_3repE0EEENS1_30default_config_static_selectorELNS0_4arch9wavefront6targetE0EEEvT1_.has_indirect_call, 0
	.section	.AMDGPU.csdata,"",@progbits
; Kernel info:
; codeLenInByte = 0
; TotalNumSgprs: 0
; NumVgprs: 0
; ScratchSize: 0
; MemoryBound: 0
; FloatMode: 240
; IeeeMode: 1
; LDSByteSize: 0 bytes/workgroup (compile time only)
; SGPRBlocks: 0
; VGPRBlocks: 0
; NumSGPRsForWavesPerEU: 1
; NumVGPRsForWavesPerEU: 1
; NamedBarCnt: 0
; Occupancy: 16
; WaveLimiterHint : 0
; COMPUTE_PGM_RSRC2:SCRATCH_EN: 0
; COMPUTE_PGM_RSRC2:USER_SGPR: 2
; COMPUTE_PGM_RSRC2:TRAP_HANDLER: 0
; COMPUTE_PGM_RSRC2:TGID_X_EN: 1
; COMPUTE_PGM_RSRC2:TGID_Y_EN: 0
; COMPUTE_PGM_RSRC2:TGID_Z_EN: 0
; COMPUTE_PGM_RSRC2:TIDIG_COMP_CNT: 0
	.section	.text._ZN7rocprim17ROCPRIM_400000_NS6detail17trampoline_kernelINS0_14default_configENS1_25partition_config_selectorILNS1_17partition_subalgoE8ElNS0_10empty_typeEbEEZZNS1_14partition_implILS5_8ELb0ES3_jPlPS6_PKS6_NS0_5tupleIJS9_S6_EEENSD_IJSA_SA_EEENS0_18inequality_wrapperIZN2at6native12_GLOBAL__N_124unique_dim_cuda_templateImEESt5tupleIJNSH_6TensorESM_SM_EERKSM_lbbbEUlllE0_EEPmJS6_EEE10hipError_tPvRmT3_T4_T5_T6_T7_T9_mT8_P12ihipStream_tbDpT10_ENKUlT_T0_E_clISt17integral_constantIbLb1EES1C_EEDaS17_S18_EUlS17_E_NS1_11comp_targetILNS1_3genE8ELNS1_11target_archE1030ELNS1_3gpuE2ELNS1_3repE0EEENS1_30default_config_static_selectorELNS0_4arch9wavefront6targetE0EEEvT1_,"axG",@progbits,_ZN7rocprim17ROCPRIM_400000_NS6detail17trampoline_kernelINS0_14default_configENS1_25partition_config_selectorILNS1_17partition_subalgoE8ElNS0_10empty_typeEbEEZZNS1_14partition_implILS5_8ELb0ES3_jPlPS6_PKS6_NS0_5tupleIJS9_S6_EEENSD_IJSA_SA_EEENS0_18inequality_wrapperIZN2at6native12_GLOBAL__N_124unique_dim_cuda_templateImEESt5tupleIJNSH_6TensorESM_SM_EERKSM_lbbbEUlllE0_EEPmJS6_EEE10hipError_tPvRmT3_T4_T5_T6_T7_T9_mT8_P12ihipStream_tbDpT10_ENKUlT_T0_E_clISt17integral_constantIbLb1EES1C_EEDaS17_S18_EUlS17_E_NS1_11comp_targetILNS1_3genE8ELNS1_11target_archE1030ELNS1_3gpuE2ELNS1_3repE0EEENS1_30default_config_static_selectorELNS0_4arch9wavefront6targetE0EEEvT1_,comdat
	.globl	_ZN7rocprim17ROCPRIM_400000_NS6detail17trampoline_kernelINS0_14default_configENS1_25partition_config_selectorILNS1_17partition_subalgoE8ElNS0_10empty_typeEbEEZZNS1_14partition_implILS5_8ELb0ES3_jPlPS6_PKS6_NS0_5tupleIJS9_S6_EEENSD_IJSA_SA_EEENS0_18inequality_wrapperIZN2at6native12_GLOBAL__N_124unique_dim_cuda_templateImEESt5tupleIJNSH_6TensorESM_SM_EERKSM_lbbbEUlllE0_EEPmJS6_EEE10hipError_tPvRmT3_T4_T5_T6_T7_T9_mT8_P12ihipStream_tbDpT10_ENKUlT_T0_E_clISt17integral_constantIbLb1EES1C_EEDaS17_S18_EUlS17_E_NS1_11comp_targetILNS1_3genE8ELNS1_11target_archE1030ELNS1_3gpuE2ELNS1_3repE0EEENS1_30default_config_static_selectorELNS0_4arch9wavefront6targetE0EEEvT1_ ; -- Begin function _ZN7rocprim17ROCPRIM_400000_NS6detail17trampoline_kernelINS0_14default_configENS1_25partition_config_selectorILNS1_17partition_subalgoE8ElNS0_10empty_typeEbEEZZNS1_14partition_implILS5_8ELb0ES3_jPlPS6_PKS6_NS0_5tupleIJS9_S6_EEENSD_IJSA_SA_EEENS0_18inequality_wrapperIZN2at6native12_GLOBAL__N_124unique_dim_cuda_templateImEESt5tupleIJNSH_6TensorESM_SM_EERKSM_lbbbEUlllE0_EEPmJS6_EEE10hipError_tPvRmT3_T4_T5_T6_T7_T9_mT8_P12ihipStream_tbDpT10_ENKUlT_T0_E_clISt17integral_constantIbLb1EES1C_EEDaS17_S18_EUlS17_E_NS1_11comp_targetILNS1_3genE8ELNS1_11target_archE1030ELNS1_3gpuE2ELNS1_3repE0EEENS1_30default_config_static_selectorELNS0_4arch9wavefront6targetE0EEEvT1_
	.p2align	8
	.type	_ZN7rocprim17ROCPRIM_400000_NS6detail17trampoline_kernelINS0_14default_configENS1_25partition_config_selectorILNS1_17partition_subalgoE8ElNS0_10empty_typeEbEEZZNS1_14partition_implILS5_8ELb0ES3_jPlPS6_PKS6_NS0_5tupleIJS9_S6_EEENSD_IJSA_SA_EEENS0_18inequality_wrapperIZN2at6native12_GLOBAL__N_124unique_dim_cuda_templateImEESt5tupleIJNSH_6TensorESM_SM_EERKSM_lbbbEUlllE0_EEPmJS6_EEE10hipError_tPvRmT3_T4_T5_T6_T7_T9_mT8_P12ihipStream_tbDpT10_ENKUlT_T0_E_clISt17integral_constantIbLb1EES1C_EEDaS17_S18_EUlS17_E_NS1_11comp_targetILNS1_3genE8ELNS1_11target_archE1030ELNS1_3gpuE2ELNS1_3repE0EEENS1_30default_config_static_selectorELNS0_4arch9wavefront6targetE0EEEvT1_,@function
_ZN7rocprim17ROCPRIM_400000_NS6detail17trampoline_kernelINS0_14default_configENS1_25partition_config_selectorILNS1_17partition_subalgoE8ElNS0_10empty_typeEbEEZZNS1_14partition_implILS5_8ELb0ES3_jPlPS6_PKS6_NS0_5tupleIJS9_S6_EEENSD_IJSA_SA_EEENS0_18inequality_wrapperIZN2at6native12_GLOBAL__N_124unique_dim_cuda_templateImEESt5tupleIJNSH_6TensorESM_SM_EERKSM_lbbbEUlllE0_EEPmJS6_EEE10hipError_tPvRmT3_T4_T5_T6_T7_T9_mT8_P12ihipStream_tbDpT10_ENKUlT_T0_E_clISt17integral_constantIbLb1EES1C_EEDaS17_S18_EUlS17_E_NS1_11comp_targetILNS1_3genE8ELNS1_11target_archE1030ELNS1_3gpuE2ELNS1_3repE0EEENS1_30default_config_static_selectorELNS0_4arch9wavefront6targetE0EEEvT1_: ; @_ZN7rocprim17ROCPRIM_400000_NS6detail17trampoline_kernelINS0_14default_configENS1_25partition_config_selectorILNS1_17partition_subalgoE8ElNS0_10empty_typeEbEEZZNS1_14partition_implILS5_8ELb0ES3_jPlPS6_PKS6_NS0_5tupleIJS9_S6_EEENSD_IJSA_SA_EEENS0_18inequality_wrapperIZN2at6native12_GLOBAL__N_124unique_dim_cuda_templateImEESt5tupleIJNSH_6TensorESM_SM_EERKSM_lbbbEUlllE0_EEPmJS6_EEE10hipError_tPvRmT3_T4_T5_T6_T7_T9_mT8_P12ihipStream_tbDpT10_ENKUlT_T0_E_clISt17integral_constantIbLb1EES1C_EEDaS17_S18_EUlS17_E_NS1_11comp_targetILNS1_3genE8ELNS1_11target_archE1030ELNS1_3gpuE2ELNS1_3repE0EEENS1_30default_config_static_selectorELNS0_4arch9wavefront6targetE0EEEvT1_
; %bb.0:
	.section	.rodata,"a",@progbits
	.p2align	6, 0x0
	.amdhsa_kernel _ZN7rocprim17ROCPRIM_400000_NS6detail17trampoline_kernelINS0_14default_configENS1_25partition_config_selectorILNS1_17partition_subalgoE8ElNS0_10empty_typeEbEEZZNS1_14partition_implILS5_8ELb0ES3_jPlPS6_PKS6_NS0_5tupleIJS9_S6_EEENSD_IJSA_SA_EEENS0_18inequality_wrapperIZN2at6native12_GLOBAL__N_124unique_dim_cuda_templateImEESt5tupleIJNSH_6TensorESM_SM_EERKSM_lbbbEUlllE0_EEPmJS6_EEE10hipError_tPvRmT3_T4_T5_T6_T7_T9_mT8_P12ihipStream_tbDpT10_ENKUlT_T0_E_clISt17integral_constantIbLb1EES1C_EEDaS17_S18_EUlS17_E_NS1_11comp_targetILNS1_3genE8ELNS1_11target_archE1030ELNS1_3gpuE2ELNS1_3repE0EEENS1_30default_config_static_selectorELNS0_4arch9wavefront6targetE0EEEvT1_
		.amdhsa_group_segment_fixed_size 0
		.amdhsa_private_segment_fixed_size 0
		.amdhsa_kernarg_size 136
		.amdhsa_user_sgpr_count 2
		.amdhsa_user_sgpr_dispatch_ptr 0
		.amdhsa_user_sgpr_queue_ptr 0
		.amdhsa_user_sgpr_kernarg_segment_ptr 1
		.amdhsa_user_sgpr_dispatch_id 0
		.amdhsa_user_sgpr_kernarg_preload_length 0
		.amdhsa_user_sgpr_kernarg_preload_offset 0
		.amdhsa_user_sgpr_private_segment_size 0
		.amdhsa_wavefront_size32 1
		.amdhsa_uses_dynamic_stack 0
		.amdhsa_enable_private_segment 0
		.amdhsa_system_sgpr_workgroup_id_x 1
		.amdhsa_system_sgpr_workgroup_id_y 0
		.amdhsa_system_sgpr_workgroup_id_z 0
		.amdhsa_system_sgpr_workgroup_info 0
		.amdhsa_system_vgpr_workitem_id 0
		.amdhsa_next_free_vgpr 1
		.amdhsa_next_free_sgpr 1
		.amdhsa_named_barrier_count 0
		.amdhsa_reserve_vcc 0
		.amdhsa_float_round_mode_32 0
		.amdhsa_float_round_mode_16_64 0
		.amdhsa_float_denorm_mode_32 3
		.amdhsa_float_denorm_mode_16_64 3
		.amdhsa_fp16_overflow 0
		.amdhsa_memory_ordered 1
		.amdhsa_forward_progress 1
		.amdhsa_inst_pref_size 0
		.amdhsa_round_robin_scheduling 0
		.amdhsa_exception_fp_ieee_invalid_op 0
		.amdhsa_exception_fp_denorm_src 0
		.amdhsa_exception_fp_ieee_div_zero 0
		.amdhsa_exception_fp_ieee_overflow 0
		.amdhsa_exception_fp_ieee_underflow 0
		.amdhsa_exception_fp_ieee_inexact 0
		.amdhsa_exception_int_div_zero 0
	.end_amdhsa_kernel
	.section	.text._ZN7rocprim17ROCPRIM_400000_NS6detail17trampoline_kernelINS0_14default_configENS1_25partition_config_selectorILNS1_17partition_subalgoE8ElNS0_10empty_typeEbEEZZNS1_14partition_implILS5_8ELb0ES3_jPlPS6_PKS6_NS0_5tupleIJS9_S6_EEENSD_IJSA_SA_EEENS0_18inequality_wrapperIZN2at6native12_GLOBAL__N_124unique_dim_cuda_templateImEESt5tupleIJNSH_6TensorESM_SM_EERKSM_lbbbEUlllE0_EEPmJS6_EEE10hipError_tPvRmT3_T4_T5_T6_T7_T9_mT8_P12ihipStream_tbDpT10_ENKUlT_T0_E_clISt17integral_constantIbLb1EES1C_EEDaS17_S18_EUlS17_E_NS1_11comp_targetILNS1_3genE8ELNS1_11target_archE1030ELNS1_3gpuE2ELNS1_3repE0EEENS1_30default_config_static_selectorELNS0_4arch9wavefront6targetE0EEEvT1_,"axG",@progbits,_ZN7rocprim17ROCPRIM_400000_NS6detail17trampoline_kernelINS0_14default_configENS1_25partition_config_selectorILNS1_17partition_subalgoE8ElNS0_10empty_typeEbEEZZNS1_14partition_implILS5_8ELb0ES3_jPlPS6_PKS6_NS0_5tupleIJS9_S6_EEENSD_IJSA_SA_EEENS0_18inequality_wrapperIZN2at6native12_GLOBAL__N_124unique_dim_cuda_templateImEESt5tupleIJNSH_6TensorESM_SM_EERKSM_lbbbEUlllE0_EEPmJS6_EEE10hipError_tPvRmT3_T4_T5_T6_T7_T9_mT8_P12ihipStream_tbDpT10_ENKUlT_T0_E_clISt17integral_constantIbLb1EES1C_EEDaS17_S18_EUlS17_E_NS1_11comp_targetILNS1_3genE8ELNS1_11target_archE1030ELNS1_3gpuE2ELNS1_3repE0EEENS1_30default_config_static_selectorELNS0_4arch9wavefront6targetE0EEEvT1_,comdat
.Lfunc_end1678:
	.size	_ZN7rocprim17ROCPRIM_400000_NS6detail17trampoline_kernelINS0_14default_configENS1_25partition_config_selectorILNS1_17partition_subalgoE8ElNS0_10empty_typeEbEEZZNS1_14partition_implILS5_8ELb0ES3_jPlPS6_PKS6_NS0_5tupleIJS9_S6_EEENSD_IJSA_SA_EEENS0_18inequality_wrapperIZN2at6native12_GLOBAL__N_124unique_dim_cuda_templateImEESt5tupleIJNSH_6TensorESM_SM_EERKSM_lbbbEUlllE0_EEPmJS6_EEE10hipError_tPvRmT3_T4_T5_T6_T7_T9_mT8_P12ihipStream_tbDpT10_ENKUlT_T0_E_clISt17integral_constantIbLb1EES1C_EEDaS17_S18_EUlS17_E_NS1_11comp_targetILNS1_3genE8ELNS1_11target_archE1030ELNS1_3gpuE2ELNS1_3repE0EEENS1_30default_config_static_selectorELNS0_4arch9wavefront6targetE0EEEvT1_, .Lfunc_end1678-_ZN7rocprim17ROCPRIM_400000_NS6detail17trampoline_kernelINS0_14default_configENS1_25partition_config_selectorILNS1_17partition_subalgoE8ElNS0_10empty_typeEbEEZZNS1_14partition_implILS5_8ELb0ES3_jPlPS6_PKS6_NS0_5tupleIJS9_S6_EEENSD_IJSA_SA_EEENS0_18inequality_wrapperIZN2at6native12_GLOBAL__N_124unique_dim_cuda_templateImEESt5tupleIJNSH_6TensorESM_SM_EERKSM_lbbbEUlllE0_EEPmJS6_EEE10hipError_tPvRmT3_T4_T5_T6_T7_T9_mT8_P12ihipStream_tbDpT10_ENKUlT_T0_E_clISt17integral_constantIbLb1EES1C_EEDaS17_S18_EUlS17_E_NS1_11comp_targetILNS1_3genE8ELNS1_11target_archE1030ELNS1_3gpuE2ELNS1_3repE0EEENS1_30default_config_static_selectorELNS0_4arch9wavefront6targetE0EEEvT1_
                                        ; -- End function
	.set _ZN7rocprim17ROCPRIM_400000_NS6detail17trampoline_kernelINS0_14default_configENS1_25partition_config_selectorILNS1_17partition_subalgoE8ElNS0_10empty_typeEbEEZZNS1_14partition_implILS5_8ELb0ES3_jPlPS6_PKS6_NS0_5tupleIJS9_S6_EEENSD_IJSA_SA_EEENS0_18inequality_wrapperIZN2at6native12_GLOBAL__N_124unique_dim_cuda_templateImEESt5tupleIJNSH_6TensorESM_SM_EERKSM_lbbbEUlllE0_EEPmJS6_EEE10hipError_tPvRmT3_T4_T5_T6_T7_T9_mT8_P12ihipStream_tbDpT10_ENKUlT_T0_E_clISt17integral_constantIbLb1EES1C_EEDaS17_S18_EUlS17_E_NS1_11comp_targetILNS1_3genE8ELNS1_11target_archE1030ELNS1_3gpuE2ELNS1_3repE0EEENS1_30default_config_static_selectorELNS0_4arch9wavefront6targetE0EEEvT1_.num_vgpr, 0
	.set _ZN7rocprim17ROCPRIM_400000_NS6detail17trampoline_kernelINS0_14default_configENS1_25partition_config_selectorILNS1_17partition_subalgoE8ElNS0_10empty_typeEbEEZZNS1_14partition_implILS5_8ELb0ES3_jPlPS6_PKS6_NS0_5tupleIJS9_S6_EEENSD_IJSA_SA_EEENS0_18inequality_wrapperIZN2at6native12_GLOBAL__N_124unique_dim_cuda_templateImEESt5tupleIJNSH_6TensorESM_SM_EERKSM_lbbbEUlllE0_EEPmJS6_EEE10hipError_tPvRmT3_T4_T5_T6_T7_T9_mT8_P12ihipStream_tbDpT10_ENKUlT_T0_E_clISt17integral_constantIbLb1EES1C_EEDaS17_S18_EUlS17_E_NS1_11comp_targetILNS1_3genE8ELNS1_11target_archE1030ELNS1_3gpuE2ELNS1_3repE0EEENS1_30default_config_static_selectorELNS0_4arch9wavefront6targetE0EEEvT1_.num_agpr, 0
	.set _ZN7rocprim17ROCPRIM_400000_NS6detail17trampoline_kernelINS0_14default_configENS1_25partition_config_selectorILNS1_17partition_subalgoE8ElNS0_10empty_typeEbEEZZNS1_14partition_implILS5_8ELb0ES3_jPlPS6_PKS6_NS0_5tupleIJS9_S6_EEENSD_IJSA_SA_EEENS0_18inequality_wrapperIZN2at6native12_GLOBAL__N_124unique_dim_cuda_templateImEESt5tupleIJNSH_6TensorESM_SM_EERKSM_lbbbEUlllE0_EEPmJS6_EEE10hipError_tPvRmT3_T4_T5_T6_T7_T9_mT8_P12ihipStream_tbDpT10_ENKUlT_T0_E_clISt17integral_constantIbLb1EES1C_EEDaS17_S18_EUlS17_E_NS1_11comp_targetILNS1_3genE8ELNS1_11target_archE1030ELNS1_3gpuE2ELNS1_3repE0EEENS1_30default_config_static_selectorELNS0_4arch9wavefront6targetE0EEEvT1_.numbered_sgpr, 0
	.set _ZN7rocprim17ROCPRIM_400000_NS6detail17trampoline_kernelINS0_14default_configENS1_25partition_config_selectorILNS1_17partition_subalgoE8ElNS0_10empty_typeEbEEZZNS1_14partition_implILS5_8ELb0ES3_jPlPS6_PKS6_NS0_5tupleIJS9_S6_EEENSD_IJSA_SA_EEENS0_18inequality_wrapperIZN2at6native12_GLOBAL__N_124unique_dim_cuda_templateImEESt5tupleIJNSH_6TensorESM_SM_EERKSM_lbbbEUlllE0_EEPmJS6_EEE10hipError_tPvRmT3_T4_T5_T6_T7_T9_mT8_P12ihipStream_tbDpT10_ENKUlT_T0_E_clISt17integral_constantIbLb1EES1C_EEDaS17_S18_EUlS17_E_NS1_11comp_targetILNS1_3genE8ELNS1_11target_archE1030ELNS1_3gpuE2ELNS1_3repE0EEENS1_30default_config_static_selectorELNS0_4arch9wavefront6targetE0EEEvT1_.num_named_barrier, 0
	.set _ZN7rocprim17ROCPRIM_400000_NS6detail17trampoline_kernelINS0_14default_configENS1_25partition_config_selectorILNS1_17partition_subalgoE8ElNS0_10empty_typeEbEEZZNS1_14partition_implILS5_8ELb0ES3_jPlPS6_PKS6_NS0_5tupleIJS9_S6_EEENSD_IJSA_SA_EEENS0_18inequality_wrapperIZN2at6native12_GLOBAL__N_124unique_dim_cuda_templateImEESt5tupleIJNSH_6TensorESM_SM_EERKSM_lbbbEUlllE0_EEPmJS6_EEE10hipError_tPvRmT3_T4_T5_T6_T7_T9_mT8_P12ihipStream_tbDpT10_ENKUlT_T0_E_clISt17integral_constantIbLb1EES1C_EEDaS17_S18_EUlS17_E_NS1_11comp_targetILNS1_3genE8ELNS1_11target_archE1030ELNS1_3gpuE2ELNS1_3repE0EEENS1_30default_config_static_selectorELNS0_4arch9wavefront6targetE0EEEvT1_.private_seg_size, 0
	.set _ZN7rocprim17ROCPRIM_400000_NS6detail17trampoline_kernelINS0_14default_configENS1_25partition_config_selectorILNS1_17partition_subalgoE8ElNS0_10empty_typeEbEEZZNS1_14partition_implILS5_8ELb0ES3_jPlPS6_PKS6_NS0_5tupleIJS9_S6_EEENSD_IJSA_SA_EEENS0_18inequality_wrapperIZN2at6native12_GLOBAL__N_124unique_dim_cuda_templateImEESt5tupleIJNSH_6TensorESM_SM_EERKSM_lbbbEUlllE0_EEPmJS6_EEE10hipError_tPvRmT3_T4_T5_T6_T7_T9_mT8_P12ihipStream_tbDpT10_ENKUlT_T0_E_clISt17integral_constantIbLb1EES1C_EEDaS17_S18_EUlS17_E_NS1_11comp_targetILNS1_3genE8ELNS1_11target_archE1030ELNS1_3gpuE2ELNS1_3repE0EEENS1_30default_config_static_selectorELNS0_4arch9wavefront6targetE0EEEvT1_.uses_vcc, 0
	.set _ZN7rocprim17ROCPRIM_400000_NS6detail17trampoline_kernelINS0_14default_configENS1_25partition_config_selectorILNS1_17partition_subalgoE8ElNS0_10empty_typeEbEEZZNS1_14partition_implILS5_8ELb0ES3_jPlPS6_PKS6_NS0_5tupleIJS9_S6_EEENSD_IJSA_SA_EEENS0_18inequality_wrapperIZN2at6native12_GLOBAL__N_124unique_dim_cuda_templateImEESt5tupleIJNSH_6TensorESM_SM_EERKSM_lbbbEUlllE0_EEPmJS6_EEE10hipError_tPvRmT3_T4_T5_T6_T7_T9_mT8_P12ihipStream_tbDpT10_ENKUlT_T0_E_clISt17integral_constantIbLb1EES1C_EEDaS17_S18_EUlS17_E_NS1_11comp_targetILNS1_3genE8ELNS1_11target_archE1030ELNS1_3gpuE2ELNS1_3repE0EEENS1_30default_config_static_selectorELNS0_4arch9wavefront6targetE0EEEvT1_.uses_flat_scratch, 0
	.set _ZN7rocprim17ROCPRIM_400000_NS6detail17trampoline_kernelINS0_14default_configENS1_25partition_config_selectorILNS1_17partition_subalgoE8ElNS0_10empty_typeEbEEZZNS1_14partition_implILS5_8ELb0ES3_jPlPS6_PKS6_NS0_5tupleIJS9_S6_EEENSD_IJSA_SA_EEENS0_18inequality_wrapperIZN2at6native12_GLOBAL__N_124unique_dim_cuda_templateImEESt5tupleIJNSH_6TensorESM_SM_EERKSM_lbbbEUlllE0_EEPmJS6_EEE10hipError_tPvRmT3_T4_T5_T6_T7_T9_mT8_P12ihipStream_tbDpT10_ENKUlT_T0_E_clISt17integral_constantIbLb1EES1C_EEDaS17_S18_EUlS17_E_NS1_11comp_targetILNS1_3genE8ELNS1_11target_archE1030ELNS1_3gpuE2ELNS1_3repE0EEENS1_30default_config_static_selectorELNS0_4arch9wavefront6targetE0EEEvT1_.has_dyn_sized_stack, 0
	.set _ZN7rocprim17ROCPRIM_400000_NS6detail17trampoline_kernelINS0_14default_configENS1_25partition_config_selectorILNS1_17partition_subalgoE8ElNS0_10empty_typeEbEEZZNS1_14partition_implILS5_8ELb0ES3_jPlPS6_PKS6_NS0_5tupleIJS9_S6_EEENSD_IJSA_SA_EEENS0_18inequality_wrapperIZN2at6native12_GLOBAL__N_124unique_dim_cuda_templateImEESt5tupleIJNSH_6TensorESM_SM_EERKSM_lbbbEUlllE0_EEPmJS6_EEE10hipError_tPvRmT3_T4_T5_T6_T7_T9_mT8_P12ihipStream_tbDpT10_ENKUlT_T0_E_clISt17integral_constantIbLb1EES1C_EEDaS17_S18_EUlS17_E_NS1_11comp_targetILNS1_3genE8ELNS1_11target_archE1030ELNS1_3gpuE2ELNS1_3repE0EEENS1_30default_config_static_selectorELNS0_4arch9wavefront6targetE0EEEvT1_.has_recursion, 0
	.set _ZN7rocprim17ROCPRIM_400000_NS6detail17trampoline_kernelINS0_14default_configENS1_25partition_config_selectorILNS1_17partition_subalgoE8ElNS0_10empty_typeEbEEZZNS1_14partition_implILS5_8ELb0ES3_jPlPS6_PKS6_NS0_5tupleIJS9_S6_EEENSD_IJSA_SA_EEENS0_18inequality_wrapperIZN2at6native12_GLOBAL__N_124unique_dim_cuda_templateImEESt5tupleIJNSH_6TensorESM_SM_EERKSM_lbbbEUlllE0_EEPmJS6_EEE10hipError_tPvRmT3_T4_T5_T6_T7_T9_mT8_P12ihipStream_tbDpT10_ENKUlT_T0_E_clISt17integral_constantIbLb1EES1C_EEDaS17_S18_EUlS17_E_NS1_11comp_targetILNS1_3genE8ELNS1_11target_archE1030ELNS1_3gpuE2ELNS1_3repE0EEENS1_30default_config_static_selectorELNS0_4arch9wavefront6targetE0EEEvT1_.has_indirect_call, 0
	.section	.AMDGPU.csdata,"",@progbits
; Kernel info:
; codeLenInByte = 0
; TotalNumSgprs: 0
; NumVgprs: 0
; ScratchSize: 0
; MemoryBound: 0
; FloatMode: 240
; IeeeMode: 1
; LDSByteSize: 0 bytes/workgroup (compile time only)
; SGPRBlocks: 0
; VGPRBlocks: 0
; NumSGPRsForWavesPerEU: 1
; NumVGPRsForWavesPerEU: 1
; NamedBarCnt: 0
; Occupancy: 16
; WaveLimiterHint : 0
; COMPUTE_PGM_RSRC2:SCRATCH_EN: 0
; COMPUTE_PGM_RSRC2:USER_SGPR: 2
; COMPUTE_PGM_RSRC2:TRAP_HANDLER: 0
; COMPUTE_PGM_RSRC2:TGID_X_EN: 1
; COMPUTE_PGM_RSRC2:TGID_Y_EN: 0
; COMPUTE_PGM_RSRC2:TGID_Z_EN: 0
; COMPUTE_PGM_RSRC2:TIDIG_COMP_CNT: 0
	.section	.text._ZN7rocprim17ROCPRIM_400000_NS6detail17trampoline_kernelINS0_14default_configENS1_25partition_config_selectorILNS1_17partition_subalgoE8ElNS0_10empty_typeEbEEZZNS1_14partition_implILS5_8ELb0ES3_jPlPS6_PKS6_NS0_5tupleIJS9_S6_EEENSD_IJSA_SA_EEENS0_18inequality_wrapperIZN2at6native12_GLOBAL__N_124unique_dim_cuda_templateImEESt5tupleIJNSH_6TensorESM_SM_EERKSM_lbbbEUlllE0_EEPmJS6_EEE10hipError_tPvRmT3_T4_T5_T6_T7_T9_mT8_P12ihipStream_tbDpT10_ENKUlT_T0_E_clISt17integral_constantIbLb1EES1B_IbLb0EEEEDaS17_S18_EUlS17_E_NS1_11comp_targetILNS1_3genE0ELNS1_11target_archE4294967295ELNS1_3gpuE0ELNS1_3repE0EEENS1_30default_config_static_selectorELNS0_4arch9wavefront6targetE0EEEvT1_,"axG",@progbits,_ZN7rocprim17ROCPRIM_400000_NS6detail17trampoline_kernelINS0_14default_configENS1_25partition_config_selectorILNS1_17partition_subalgoE8ElNS0_10empty_typeEbEEZZNS1_14partition_implILS5_8ELb0ES3_jPlPS6_PKS6_NS0_5tupleIJS9_S6_EEENSD_IJSA_SA_EEENS0_18inequality_wrapperIZN2at6native12_GLOBAL__N_124unique_dim_cuda_templateImEESt5tupleIJNSH_6TensorESM_SM_EERKSM_lbbbEUlllE0_EEPmJS6_EEE10hipError_tPvRmT3_T4_T5_T6_T7_T9_mT8_P12ihipStream_tbDpT10_ENKUlT_T0_E_clISt17integral_constantIbLb1EES1B_IbLb0EEEEDaS17_S18_EUlS17_E_NS1_11comp_targetILNS1_3genE0ELNS1_11target_archE4294967295ELNS1_3gpuE0ELNS1_3repE0EEENS1_30default_config_static_selectorELNS0_4arch9wavefront6targetE0EEEvT1_,comdat
	.globl	_ZN7rocprim17ROCPRIM_400000_NS6detail17trampoline_kernelINS0_14default_configENS1_25partition_config_selectorILNS1_17partition_subalgoE8ElNS0_10empty_typeEbEEZZNS1_14partition_implILS5_8ELb0ES3_jPlPS6_PKS6_NS0_5tupleIJS9_S6_EEENSD_IJSA_SA_EEENS0_18inequality_wrapperIZN2at6native12_GLOBAL__N_124unique_dim_cuda_templateImEESt5tupleIJNSH_6TensorESM_SM_EERKSM_lbbbEUlllE0_EEPmJS6_EEE10hipError_tPvRmT3_T4_T5_T6_T7_T9_mT8_P12ihipStream_tbDpT10_ENKUlT_T0_E_clISt17integral_constantIbLb1EES1B_IbLb0EEEEDaS17_S18_EUlS17_E_NS1_11comp_targetILNS1_3genE0ELNS1_11target_archE4294967295ELNS1_3gpuE0ELNS1_3repE0EEENS1_30default_config_static_selectorELNS0_4arch9wavefront6targetE0EEEvT1_ ; -- Begin function _ZN7rocprim17ROCPRIM_400000_NS6detail17trampoline_kernelINS0_14default_configENS1_25partition_config_selectorILNS1_17partition_subalgoE8ElNS0_10empty_typeEbEEZZNS1_14partition_implILS5_8ELb0ES3_jPlPS6_PKS6_NS0_5tupleIJS9_S6_EEENSD_IJSA_SA_EEENS0_18inequality_wrapperIZN2at6native12_GLOBAL__N_124unique_dim_cuda_templateImEESt5tupleIJNSH_6TensorESM_SM_EERKSM_lbbbEUlllE0_EEPmJS6_EEE10hipError_tPvRmT3_T4_T5_T6_T7_T9_mT8_P12ihipStream_tbDpT10_ENKUlT_T0_E_clISt17integral_constantIbLb1EES1B_IbLb0EEEEDaS17_S18_EUlS17_E_NS1_11comp_targetILNS1_3genE0ELNS1_11target_archE4294967295ELNS1_3gpuE0ELNS1_3repE0EEENS1_30default_config_static_selectorELNS0_4arch9wavefront6targetE0EEEvT1_
	.p2align	8
	.type	_ZN7rocprim17ROCPRIM_400000_NS6detail17trampoline_kernelINS0_14default_configENS1_25partition_config_selectorILNS1_17partition_subalgoE8ElNS0_10empty_typeEbEEZZNS1_14partition_implILS5_8ELb0ES3_jPlPS6_PKS6_NS0_5tupleIJS9_S6_EEENSD_IJSA_SA_EEENS0_18inequality_wrapperIZN2at6native12_GLOBAL__N_124unique_dim_cuda_templateImEESt5tupleIJNSH_6TensorESM_SM_EERKSM_lbbbEUlllE0_EEPmJS6_EEE10hipError_tPvRmT3_T4_T5_T6_T7_T9_mT8_P12ihipStream_tbDpT10_ENKUlT_T0_E_clISt17integral_constantIbLb1EES1B_IbLb0EEEEDaS17_S18_EUlS17_E_NS1_11comp_targetILNS1_3genE0ELNS1_11target_archE4294967295ELNS1_3gpuE0ELNS1_3repE0EEENS1_30default_config_static_selectorELNS0_4arch9wavefront6targetE0EEEvT1_,@function
_ZN7rocprim17ROCPRIM_400000_NS6detail17trampoline_kernelINS0_14default_configENS1_25partition_config_selectorILNS1_17partition_subalgoE8ElNS0_10empty_typeEbEEZZNS1_14partition_implILS5_8ELb0ES3_jPlPS6_PKS6_NS0_5tupleIJS9_S6_EEENSD_IJSA_SA_EEENS0_18inequality_wrapperIZN2at6native12_GLOBAL__N_124unique_dim_cuda_templateImEESt5tupleIJNSH_6TensorESM_SM_EERKSM_lbbbEUlllE0_EEPmJS6_EEE10hipError_tPvRmT3_T4_T5_T6_T7_T9_mT8_P12ihipStream_tbDpT10_ENKUlT_T0_E_clISt17integral_constantIbLb1EES1B_IbLb0EEEEDaS17_S18_EUlS17_E_NS1_11comp_targetILNS1_3genE0ELNS1_11target_archE4294967295ELNS1_3gpuE0ELNS1_3repE0EEENS1_30default_config_static_selectorELNS0_4arch9wavefront6targetE0EEEvT1_: ; @_ZN7rocprim17ROCPRIM_400000_NS6detail17trampoline_kernelINS0_14default_configENS1_25partition_config_selectorILNS1_17partition_subalgoE8ElNS0_10empty_typeEbEEZZNS1_14partition_implILS5_8ELb0ES3_jPlPS6_PKS6_NS0_5tupleIJS9_S6_EEENSD_IJSA_SA_EEENS0_18inequality_wrapperIZN2at6native12_GLOBAL__N_124unique_dim_cuda_templateImEESt5tupleIJNSH_6TensorESM_SM_EERKSM_lbbbEUlllE0_EEPmJS6_EEE10hipError_tPvRmT3_T4_T5_T6_T7_T9_mT8_P12ihipStream_tbDpT10_ENKUlT_T0_E_clISt17integral_constantIbLb1EES1B_IbLb0EEEEDaS17_S18_EUlS17_E_NS1_11comp_targetILNS1_3genE0ELNS1_11target_archE4294967295ELNS1_3gpuE0ELNS1_3repE0EEENS1_30default_config_static_selectorELNS0_4arch9wavefront6targetE0EEEvT1_
; %bb.0:
	s_endpgm
	.section	.rodata,"a",@progbits
	.p2align	6, 0x0
	.amdhsa_kernel _ZN7rocprim17ROCPRIM_400000_NS6detail17trampoline_kernelINS0_14default_configENS1_25partition_config_selectorILNS1_17partition_subalgoE8ElNS0_10empty_typeEbEEZZNS1_14partition_implILS5_8ELb0ES3_jPlPS6_PKS6_NS0_5tupleIJS9_S6_EEENSD_IJSA_SA_EEENS0_18inequality_wrapperIZN2at6native12_GLOBAL__N_124unique_dim_cuda_templateImEESt5tupleIJNSH_6TensorESM_SM_EERKSM_lbbbEUlllE0_EEPmJS6_EEE10hipError_tPvRmT3_T4_T5_T6_T7_T9_mT8_P12ihipStream_tbDpT10_ENKUlT_T0_E_clISt17integral_constantIbLb1EES1B_IbLb0EEEEDaS17_S18_EUlS17_E_NS1_11comp_targetILNS1_3genE0ELNS1_11target_archE4294967295ELNS1_3gpuE0ELNS1_3repE0EEENS1_30default_config_static_selectorELNS0_4arch9wavefront6targetE0EEEvT1_
		.amdhsa_group_segment_fixed_size 0
		.amdhsa_private_segment_fixed_size 0
		.amdhsa_kernarg_size 120
		.amdhsa_user_sgpr_count 2
		.amdhsa_user_sgpr_dispatch_ptr 0
		.amdhsa_user_sgpr_queue_ptr 0
		.amdhsa_user_sgpr_kernarg_segment_ptr 1
		.amdhsa_user_sgpr_dispatch_id 0
		.amdhsa_user_sgpr_kernarg_preload_length 0
		.amdhsa_user_sgpr_kernarg_preload_offset 0
		.amdhsa_user_sgpr_private_segment_size 0
		.amdhsa_wavefront_size32 1
		.amdhsa_uses_dynamic_stack 0
		.amdhsa_enable_private_segment 0
		.amdhsa_system_sgpr_workgroup_id_x 1
		.amdhsa_system_sgpr_workgroup_id_y 0
		.amdhsa_system_sgpr_workgroup_id_z 0
		.amdhsa_system_sgpr_workgroup_info 0
		.amdhsa_system_vgpr_workitem_id 0
		.amdhsa_next_free_vgpr 1
		.amdhsa_next_free_sgpr 1
		.amdhsa_named_barrier_count 0
		.amdhsa_reserve_vcc 0
		.amdhsa_float_round_mode_32 0
		.amdhsa_float_round_mode_16_64 0
		.amdhsa_float_denorm_mode_32 3
		.amdhsa_float_denorm_mode_16_64 3
		.amdhsa_fp16_overflow 0
		.amdhsa_memory_ordered 1
		.amdhsa_forward_progress 1
		.amdhsa_inst_pref_size 1
		.amdhsa_round_robin_scheduling 0
		.amdhsa_exception_fp_ieee_invalid_op 0
		.amdhsa_exception_fp_denorm_src 0
		.amdhsa_exception_fp_ieee_div_zero 0
		.amdhsa_exception_fp_ieee_overflow 0
		.amdhsa_exception_fp_ieee_underflow 0
		.amdhsa_exception_fp_ieee_inexact 0
		.amdhsa_exception_int_div_zero 0
	.end_amdhsa_kernel
	.section	.text._ZN7rocprim17ROCPRIM_400000_NS6detail17trampoline_kernelINS0_14default_configENS1_25partition_config_selectorILNS1_17partition_subalgoE8ElNS0_10empty_typeEbEEZZNS1_14partition_implILS5_8ELb0ES3_jPlPS6_PKS6_NS0_5tupleIJS9_S6_EEENSD_IJSA_SA_EEENS0_18inequality_wrapperIZN2at6native12_GLOBAL__N_124unique_dim_cuda_templateImEESt5tupleIJNSH_6TensorESM_SM_EERKSM_lbbbEUlllE0_EEPmJS6_EEE10hipError_tPvRmT3_T4_T5_T6_T7_T9_mT8_P12ihipStream_tbDpT10_ENKUlT_T0_E_clISt17integral_constantIbLb1EES1B_IbLb0EEEEDaS17_S18_EUlS17_E_NS1_11comp_targetILNS1_3genE0ELNS1_11target_archE4294967295ELNS1_3gpuE0ELNS1_3repE0EEENS1_30default_config_static_selectorELNS0_4arch9wavefront6targetE0EEEvT1_,"axG",@progbits,_ZN7rocprim17ROCPRIM_400000_NS6detail17trampoline_kernelINS0_14default_configENS1_25partition_config_selectorILNS1_17partition_subalgoE8ElNS0_10empty_typeEbEEZZNS1_14partition_implILS5_8ELb0ES3_jPlPS6_PKS6_NS0_5tupleIJS9_S6_EEENSD_IJSA_SA_EEENS0_18inequality_wrapperIZN2at6native12_GLOBAL__N_124unique_dim_cuda_templateImEESt5tupleIJNSH_6TensorESM_SM_EERKSM_lbbbEUlllE0_EEPmJS6_EEE10hipError_tPvRmT3_T4_T5_T6_T7_T9_mT8_P12ihipStream_tbDpT10_ENKUlT_T0_E_clISt17integral_constantIbLb1EES1B_IbLb0EEEEDaS17_S18_EUlS17_E_NS1_11comp_targetILNS1_3genE0ELNS1_11target_archE4294967295ELNS1_3gpuE0ELNS1_3repE0EEENS1_30default_config_static_selectorELNS0_4arch9wavefront6targetE0EEEvT1_,comdat
.Lfunc_end1679:
	.size	_ZN7rocprim17ROCPRIM_400000_NS6detail17trampoline_kernelINS0_14default_configENS1_25partition_config_selectorILNS1_17partition_subalgoE8ElNS0_10empty_typeEbEEZZNS1_14partition_implILS5_8ELb0ES3_jPlPS6_PKS6_NS0_5tupleIJS9_S6_EEENSD_IJSA_SA_EEENS0_18inequality_wrapperIZN2at6native12_GLOBAL__N_124unique_dim_cuda_templateImEESt5tupleIJNSH_6TensorESM_SM_EERKSM_lbbbEUlllE0_EEPmJS6_EEE10hipError_tPvRmT3_T4_T5_T6_T7_T9_mT8_P12ihipStream_tbDpT10_ENKUlT_T0_E_clISt17integral_constantIbLb1EES1B_IbLb0EEEEDaS17_S18_EUlS17_E_NS1_11comp_targetILNS1_3genE0ELNS1_11target_archE4294967295ELNS1_3gpuE0ELNS1_3repE0EEENS1_30default_config_static_selectorELNS0_4arch9wavefront6targetE0EEEvT1_, .Lfunc_end1679-_ZN7rocprim17ROCPRIM_400000_NS6detail17trampoline_kernelINS0_14default_configENS1_25partition_config_selectorILNS1_17partition_subalgoE8ElNS0_10empty_typeEbEEZZNS1_14partition_implILS5_8ELb0ES3_jPlPS6_PKS6_NS0_5tupleIJS9_S6_EEENSD_IJSA_SA_EEENS0_18inequality_wrapperIZN2at6native12_GLOBAL__N_124unique_dim_cuda_templateImEESt5tupleIJNSH_6TensorESM_SM_EERKSM_lbbbEUlllE0_EEPmJS6_EEE10hipError_tPvRmT3_T4_T5_T6_T7_T9_mT8_P12ihipStream_tbDpT10_ENKUlT_T0_E_clISt17integral_constantIbLb1EES1B_IbLb0EEEEDaS17_S18_EUlS17_E_NS1_11comp_targetILNS1_3genE0ELNS1_11target_archE4294967295ELNS1_3gpuE0ELNS1_3repE0EEENS1_30default_config_static_selectorELNS0_4arch9wavefront6targetE0EEEvT1_
                                        ; -- End function
	.set _ZN7rocprim17ROCPRIM_400000_NS6detail17trampoline_kernelINS0_14default_configENS1_25partition_config_selectorILNS1_17partition_subalgoE8ElNS0_10empty_typeEbEEZZNS1_14partition_implILS5_8ELb0ES3_jPlPS6_PKS6_NS0_5tupleIJS9_S6_EEENSD_IJSA_SA_EEENS0_18inequality_wrapperIZN2at6native12_GLOBAL__N_124unique_dim_cuda_templateImEESt5tupleIJNSH_6TensorESM_SM_EERKSM_lbbbEUlllE0_EEPmJS6_EEE10hipError_tPvRmT3_T4_T5_T6_T7_T9_mT8_P12ihipStream_tbDpT10_ENKUlT_T0_E_clISt17integral_constantIbLb1EES1B_IbLb0EEEEDaS17_S18_EUlS17_E_NS1_11comp_targetILNS1_3genE0ELNS1_11target_archE4294967295ELNS1_3gpuE0ELNS1_3repE0EEENS1_30default_config_static_selectorELNS0_4arch9wavefront6targetE0EEEvT1_.num_vgpr, 0
	.set _ZN7rocprim17ROCPRIM_400000_NS6detail17trampoline_kernelINS0_14default_configENS1_25partition_config_selectorILNS1_17partition_subalgoE8ElNS0_10empty_typeEbEEZZNS1_14partition_implILS5_8ELb0ES3_jPlPS6_PKS6_NS0_5tupleIJS9_S6_EEENSD_IJSA_SA_EEENS0_18inequality_wrapperIZN2at6native12_GLOBAL__N_124unique_dim_cuda_templateImEESt5tupleIJNSH_6TensorESM_SM_EERKSM_lbbbEUlllE0_EEPmJS6_EEE10hipError_tPvRmT3_T4_T5_T6_T7_T9_mT8_P12ihipStream_tbDpT10_ENKUlT_T0_E_clISt17integral_constantIbLb1EES1B_IbLb0EEEEDaS17_S18_EUlS17_E_NS1_11comp_targetILNS1_3genE0ELNS1_11target_archE4294967295ELNS1_3gpuE0ELNS1_3repE0EEENS1_30default_config_static_selectorELNS0_4arch9wavefront6targetE0EEEvT1_.num_agpr, 0
	.set _ZN7rocprim17ROCPRIM_400000_NS6detail17trampoline_kernelINS0_14default_configENS1_25partition_config_selectorILNS1_17partition_subalgoE8ElNS0_10empty_typeEbEEZZNS1_14partition_implILS5_8ELb0ES3_jPlPS6_PKS6_NS0_5tupleIJS9_S6_EEENSD_IJSA_SA_EEENS0_18inequality_wrapperIZN2at6native12_GLOBAL__N_124unique_dim_cuda_templateImEESt5tupleIJNSH_6TensorESM_SM_EERKSM_lbbbEUlllE0_EEPmJS6_EEE10hipError_tPvRmT3_T4_T5_T6_T7_T9_mT8_P12ihipStream_tbDpT10_ENKUlT_T0_E_clISt17integral_constantIbLb1EES1B_IbLb0EEEEDaS17_S18_EUlS17_E_NS1_11comp_targetILNS1_3genE0ELNS1_11target_archE4294967295ELNS1_3gpuE0ELNS1_3repE0EEENS1_30default_config_static_selectorELNS0_4arch9wavefront6targetE0EEEvT1_.numbered_sgpr, 0
	.set _ZN7rocprim17ROCPRIM_400000_NS6detail17trampoline_kernelINS0_14default_configENS1_25partition_config_selectorILNS1_17partition_subalgoE8ElNS0_10empty_typeEbEEZZNS1_14partition_implILS5_8ELb0ES3_jPlPS6_PKS6_NS0_5tupleIJS9_S6_EEENSD_IJSA_SA_EEENS0_18inequality_wrapperIZN2at6native12_GLOBAL__N_124unique_dim_cuda_templateImEESt5tupleIJNSH_6TensorESM_SM_EERKSM_lbbbEUlllE0_EEPmJS6_EEE10hipError_tPvRmT3_T4_T5_T6_T7_T9_mT8_P12ihipStream_tbDpT10_ENKUlT_T0_E_clISt17integral_constantIbLb1EES1B_IbLb0EEEEDaS17_S18_EUlS17_E_NS1_11comp_targetILNS1_3genE0ELNS1_11target_archE4294967295ELNS1_3gpuE0ELNS1_3repE0EEENS1_30default_config_static_selectorELNS0_4arch9wavefront6targetE0EEEvT1_.num_named_barrier, 0
	.set _ZN7rocprim17ROCPRIM_400000_NS6detail17trampoline_kernelINS0_14default_configENS1_25partition_config_selectorILNS1_17partition_subalgoE8ElNS0_10empty_typeEbEEZZNS1_14partition_implILS5_8ELb0ES3_jPlPS6_PKS6_NS0_5tupleIJS9_S6_EEENSD_IJSA_SA_EEENS0_18inequality_wrapperIZN2at6native12_GLOBAL__N_124unique_dim_cuda_templateImEESt5tupleIJNSH_6TensorESM_SM_EERKSM_lbbbEUlllE0_EEPmJS6_EEE10hipError_tPvRmT3_T4_T5_T6_T7_T9_mT8_P12ihipStream_tbDpT10_ENKUlT_T0_E_clISt17integral_constantIbLb1EES1B_IbLb0EEEEDaS17_S18_EUlS17_E_NS1_11comp_targetILNS1_3genE0ELNS1_11target_archE4294967295ELNS1_3gpuE0ELNS1_3repE0EEENS1_30default_config_static_selectorELNS0_4arch9wavefront6targetE0EEEvT1_.private_seg_size, 0
	.set _ZN7rocprim17ROCPRIM_400000_NS6detail17trampoline_kernelINS0_14default_configENS1_25partition_config_selectorILNS1_17partition_subalgoE8ElNS0_10empty_typeEbEEZZNS1_14partition_implILS5_8ELb0ES3_jPlPS6_PKS6_NS0_5tupleIJS9_S6_EEENSD_IJSA_SA_EEENS0_18inequality_wrapperIZN2at6native12_GLOBAL__N_124unique_dim_cuda_templateImEESt5tupleIJNSH_6TensorESM_SM_EERKSM_lbbbEUlllE0_EEPmJS6_EEE10hipError_tPvRmT3_T4_T5_T6_T7_T9_mT8_P12ihipStream_tbDpT10_ENKUlT_T0_E_clISt17integral_constantIbLb1EES1B_IbLb0EEEEDaS17_S18_EUlS17_E_NS1_11comp_targetILNS1_3genE0ELNS1_11target_archE4294967295ELNS1_3gpuE0ELNS1_3repE0EEENS1_30default_config_static_selectorELNS0_4arch9wavefront6targetE0EEEvT1_.uses_vcc, 0
	.set _ZN7rocprim17ROCPRIM_400000_NS6detail17trampoline_kernelINS0_14default_configENS1_25partition_config_selectorILNS1_17partition_subalgoE8ElNS0_10empty_typeEbEEZZNS1_14partition_implILS5_8ELb0ES3_jPlPS6_PKS6_NS0_5tupleIJS9_S6_EEENSD_IJSA_SA_EEENS0_18inequality_wrapperIZN2at6native12_GLOBAL__N_124unique_dim_cuda_templateImEESt5tupleIJNSH_6TensorESM_SM_EERKSM_lbbbEUlllE0_EEPmJS6_EEE10hipError_tPvRmT3_T4_T5_T6_T7_T9_mT8_P12ihipStream_tbDpT10_ENKUlT_T0_E_clISt17integral_constantIbLb1EES1B_IbLb0EEEEDaS17_S18_EUlS17_E_NS1_11comp_targetILNS1_3genE0ELNS1_11target_archE4294967295ELNS1_3gpuE0ELNS1_3repE0EEENS1_30default_config_static_selectorELNS0_4arch9wavefront6targetE0EEEvT1_.uses_flat_scratch, 0
	.set _ZN7rocprim17ROCPRIM_400000_NS6detail17trampoline_kernelINS0_14default_configENS1_25partition_config_selectorILNS1_17partition_subalgoE8ElNS0_10empty_typeEbEEZZNS1_14partition_implILS5_8ELb0ES3_jPlPS6_PKS6_NS0_5tupleIJS9_S6_EEENSD_IJSA_SA_EEENS0_18inequality_wrapperIZN2at6native12_GLOBAL__N_124unique_dim_cuda_templateImEESt5tupleIJNSH_6TensorESM_SM_EERKSM_lbbbEUlllE0_EEPmJS6_EEE10hipError_tPvRmT3_T4_T5_T6_T7_T9_mT8_P12ihipStream_tbDpT10_ENKUlT_T0_E_clISt17integral_constantIbLb1EES1B_IbLb0EEEEDaS17_S18_EUlS17_E_NS1_11comp_targetILNS1_3genE0ELNS1_11target_archE4294967295ELNS1_3gpuE0ELNS1_3repE0EEENS1_30default_config_static_selectorELNS0_4arch9wavefront6targetE0EEEvT1_.has_dyn_sized_stack, 0
	.set _ZN7rocprim17ROCPRIM_400000_NS6detail17trampoline_kernelINS0_14default_configENS1_25partition_config_selectorILNS1_17partition_subalgoE8ElNS0_10empty_typeEbEEZZNS1_14partition_implILS5_8ELb0ES3_jPlPS6_PKS6_NS0_5tupleIJS9_S6_EEENSD_IJSA_SA_EEENS0_18inequality_wrapperIZN2at6native12_GLOBAL__N_124unique_dim_cuda_templateImEESt5tupleIJNSH_6TensorESM_SM_EERKSM_lbbbEUlllE0_EEPmJS6_EEE10hipError_tPvRmT3_T4_T5_T6_T7_T9_mT8_P12ihipStream_tbDpT10_ENKUlT_T0_E_clISt17integral_constantIbLb1EES1B_IbLb0EEEEDaS17_S18_EUlS17_E_NS1_11comp_targetILNS1_3genE0ELNS1_11target_archE4294967295ELNS1_3gpuE0ELNS1_3repE0EEENS1_30default_config_static_selectorELNS0_4arch9wavefront6targetE0EEEvT1_.has_recursion, 0
	.set _ZN7rocprim17ROCPRIM_400000_NS6detail17trampoline_kernelINS0_14default_configENS1_25partition_config_selectorILNS1_17partition_subalgoE8ElNS0_10empty_typeEbEEZZNS1_14partition_implILS5_8ELb0ES3_jPlPS6_PKS6_NS0_5tupleIJS9_S6_EEENSD_IJSA_SA_EEENS0_18inequality_wrapperIZN2at6native12_GLOBAL__N_124unique_dim_cuda_templateImEESt5tupleIJNSH_6TensorESM_SM_EERKSM_lbbbEUlllE0_EEPmJS6_EEE10hipError_tPvRmT3_T4_T5_T6_T7_T9_mT8_P12ihipStream_tbDpT10_ENKUlT_T0_E_clISt17integral_constantIbLb1EES1B_IbLb0EEEEDaS17_S18_EUlS17_E_NS1_11comp_targetILNS1_3genE0ELNS1_11target_archE4294967295ELNS1_3gpuE0ELNS1_3repE0EEENS1_30default_config_static_selectorELNS0_4arch9wavefront6targetE0EEEvT1_.has_indirect_call, 0
	.section	.AMDGPU.csdata,"",@progbits
; Kernel info:
; codeLenInByte = 4
; TotalNumSgprs: 0
; NumVgprs: 0
; ScratchSize: 0
; MemoryBound: 0
; FloatMode: 240
; IeeeMode: 1
; LDSByteSize: 0 bytes/workgroup (compile time only)
; SGPRBlocks: 0
; VGPRBlocks: 0
; NumSGPRsForWavesPerEU: 1
; NumVGPRsForWavesPerEU: 1
; NamedBarCnt: 0
; Occupancy: 16
; WaveLimiterHint : 0
; COMPUTE_PGM_RSRC2:SCRATCH_EN: 0
; COMPUTE_PGM_RSRC2:USER_SGPR: 2
; COMPUTE_PGM_RSRC2:TRAP_HANDLER: 0
; COMPUTE_PGM_RSRC2:TGID_X_EN: 1
; COMPUTE_PGM_RSRC2:TGID_Y_EN: 0
; COMPUTE_PGM_RSRC2:TGID_Z_EN: 0
; COMPUTE_PGM_RSRC2:TIDIG_COMP_CNT: 0
	.section	.text._ZN7rocprim17ROCPRIM_400000_NS6detail17trampoline_kernelINS0_14default_configENS1_25partition_config_selectorILNS1_17partition_subalgoE8ElNS0_10empty_typeEbEEZZNS1_14partition_implILS5_8ELb0ES3_jPlPS6_PKS6_NS0_5tupleIJS9_S6_EEENSD_IJSA_SA_EEENS0_18inequality_wrapperIZN2at6native12_GLOBAL__N_124unique_dim_cuda_templateImEESt5tupleIJNSH_6TensorESM_SM_EERKSM_lbbbEUlllE0_EEPmJS6_EEE10hipError_tPvRmT3_T4_T5_T6_T7_T9_mT8_P12ihipStream_tbDpT10_ENKUlT_T0_E_clISt17integral_constantIbLb1EES1B_IbLb0EEEEDaS17_S18_EUlS17_E_NS1_11comp_targetILNS1_3genE5ELNS1_11target_archE942ELNS1_3gpuE9ELNS1_3repE0EEENS1_30default_config_static_selectorELNS0_4arch9wavefront6targetE0EEEvT1_,"axG",@progbits,_ZN7rocprim17ROCPRIM_400000_NS6detail17trampoline_kernelINS0_14default_configENS1_25partition_config_selectorILNS1_17partition_subalgoE8ElNS0_10empty_typeEbEEZZNS1_14partition_implILS5_8ELb0ES3_jPlPS6_PKS6_NS0_5tupleIJS9_S6_EEENSD_IJSA_SA_EEENS0_18inequality_wrapperIZN2at6native12_GLOBAL__N_124unique_dim_cuda_templateImEESt5tupleIJNSH_6TensorESM_SM_EERKSM_lbbbEUlllE0_EEPmJS6_EEE10hipError_tPvRmT3_T4_T5_T6_T7_T9_mT8_P12ihipStream_tbDpT10_ENKUlT_T0_E_clISt17integral_constantIbLb1EES1B_IbLb0EEEEDaS17_S18_EUlS17_E_NS1_11comp_targetILNS1_3genE5ELNS1_11target_archE942ELNS1_3gpuE9ELNS1_3repE0EEENS1_30default_config_static_selectorELNS0_4arch9wavefront6targetE0EEEvT1_,comdat
	.globl	_ZN7rocprim17ROCPRIM_400000_NS6detail17trampoline_kernelINS0_14default_configENS1_25partition_config_selectorILNS1_17partition_subalgoE8ElNS0_10empty_typeEbEEZZNS1_14partition_implILS5_8ELb0ES3_jPlPS6_PKS6_NS0_5tupleIJS9_S6_EEENSD_IJSA_SA_EEENS0_18inequality_wrapperIZN2at6native12_GLOBAL__N_124unique_dim_cuda_templateImEESt5tupleIJNSH_6TensorESM_SM_EERKSM_lbbbEUlllE0_EEPmJS6_EEE10hipError_tPvRmT3_T4_T5_T6_T7_T9_mT8_P12ihipStream_tbDpT10_ENKUlT_T0_E_clISt17integral_constantIbLb1EES1B_IbLb0EEEEDaS17_S18_EUlS17_E_NS1_11comp_targetILNS1_3genE5ELNS1_11target_archE942ELNS1_3gpuE9ELNS1_3repE0EEENS1_30default_config_static_selectorELNS0_4arch9wavefront6targetE0EEEvT1_ ; -- Begin function _ZN7rocprim17ROCPRIM_400000_NS6detail17trampoline_kernelINS0_14default_configENS1_25partition_config_selectorILNS1_17partition_subalgoE8ElNS0_10empty_typeEbEEZZNS1_14partition_implILS5_8ELb0ES3_jPlPS6_PKS6_NS0_5tupleIJS9_S6_EEENSD_IJSA_SA_EEENS0_18inequality_wrapperIZN2at6native12_GLOBAL__N_124unique_dim_cuda_templateImEESt5tupleIJNSH_6TensorESM_SM_EERKSM_lbbbEUlllE0_EEPmJS6_EEE10hipError_tPvRmT3_T4_T5_T6_T7_T9_mT8_P12ihipStream_tbDpT10_ENKUlT_T0_E_clISt17integral_constantIbLb1EES1B_IbLb0EEEEDaS17_S18_EUlS17_E_NS1_11comp_targetILNS1_3genE5ELNS1_11target_archE942ELNS1_3gpuE9ELNS1_3repE0EEENS1_30default_config_static_selectorELNS0_4arch9wavefront6targetE0EEEvT1_
	.p2align	8
	.type	_ZN7rocprim17ROCPRIM_400000_NS6detail17trampoline_kernelINS0_14default_configENS1_25partition_config_selectorILNS1_17partition_subalgoE8ElNS0_10empty_typeEbEEZZNS1_14partition_implILS5_8ELb0ES3_jPlPS6_PKS6_NS0_5tupleIJS9_S6_EEENSD_IJSA_SA_EEENS0_18inequality_wrapperIZN2at6native12_GLOBAL__N_124unique_dim_cuda_templateImEESt5tupleIJNSH_6TensorESM_SM_EERKSM_lbbbEUlllE0_EEPmJS6_EEE10hipError_tPvRmT3_T4_T5_T6_T7_T9_mT8_P12ihipStream_tbDpT10_ENKUlT_T0_E_clISt17integral_constantIbLb1EES1B_IbLb0EEEEDaS17_S18_EUlS17_E_NS1_11comp_targetILNS1_3genE5ELNS1_11target_archE942ELNS1_3gpuE9ELNS1_3repE0EEENS1_30default_config_static_selectorELNS0_4arch9wavefront6targetE0EEEvT1_,@function
_ZN7rocprim17ROCPRIM_400000_NS6detail17trampoline_kernelINS0_14default_configENS1_25partition_config_selectorILNS1_17partition_subalgoE8ElNS0_10empty_typeEbEEZZNS1_14partition_implILS5_8ELb0ES3_jPlPS6_PKS6_NS0_5tupleIJS9_S6_EEENSD_IJSA_SA_EEENS0_18inequality_wrapperIZN2at6native12_GLOBAL__N_124unique_dim_cuda_templateImEESt5tupleIJNSH_6TensorESM_SM_EERKSM_lbbbEUlllE0_EEPmJS6_EEE10hipError_tPvRmT3_T4_T5_T6_T7_T9_mT8_P12ihipStream_tbDpT10_ENKUlT_T0_E_clISt17integral_constantIbLb1EES1B_IbLb0EEEEDaS17_S18_EUlS17_E_NS1_11comp_targetILNS1_3genE5ELNS1_11target_archE942ELNS1_3gpuE9ELNS1_3repE0EEENS1_30default_config_static_selectorELNS0_4arch9wavefront6targetE0EEEvT1_: ; @_ZN7rocprim17ROCPRIM_400000_NS6detail17trampoline_kernelINS0_14default_configENS1_25partition_config_selectorILNS1_17partition_subalgoE8ElNS0_10empty_typeEbEEZZNS1_14partition_implILS5_8ELb0ES3_jPlPS6_PKS6_NS0_5tupleIJS9_S6_EEENSD_IJSA_SA_EEENS0_18inequality_wrapperIZN2at6native12_GLOBAL__N_124unique_dim_cuda_templateImEESt5tupleIJNSH_6TensorESM_SM_EERKSM_lbbbEUlllE0_EEPmJS6_EEE10hipError_tPvRmT3_T4_T5_T6_T7_T9_mT8_P12ihipStream_tbDpT10_ENKUlT_T0_E_clISt17integral_constantIbLb1EES1B_IbLb0EEEEDaS17_S18_EUlS17_E_NS1_11comp_targetILNS1_3genE5ELNS1_11target_archE942ELNS1_3gpuE9ELNS1_3repE0EEENS1_30default_config_static_selectorELNS0_4arch9wavefront6targetE0EEEvT1_
; %bb.0:
	.section	.rodata,"a",@progbits
	.p2align	6, 0x0
	.amdhsa_kernel _ZN7rocprim17ROCPRIM_400000_NS6detail17trampoline_kernelINS0_14default_configENS1_25partition_config_selectorILNS1_17partition_subalgoE8ElNS0_10empty_typeEbEEZZNS1_14partition_implILS5_8ELb0ES3_jPlPS6_PKS6_NS0_5tupleIJS9_S6_EEENSD_IJSA_SA_EEENS0_18inequality_wrapperIZN2at6native12_GLOBAL__N_124unique_dim_cuda_templateImEESt5tupleIJNSH_6TensorESM_SM_EERKSM_lbbbEUlllE0_EEPmJS6_EEE10hipError_tPvRmT3_T4_T5_T6_T7_T9_mT8_P12ihipStream_tbDpT10_ENKUlT_T0_E_clISt17integral_constantIbLb1EES1B_IbLb0EEEEDaS17_S18_EUlS17_E_NS1_11comp_targetILNS1_3genE5ELNS1_11target_archE942ELNS1_3gpuE9ELNS1_3repE0EEENS1_30default_config_static_selectorELNS0_4arch9wavefront6targetE0EEEvT1_
		.amdhsa_group_segment_fixed_size 0
		.amdhsa_private_segment_fixed_size 0
		.amdhsa_kernarg_size 120
		.amdhsa_user_sgpr_count 2
		.amdhsa_user_sgpr_dispatch_ptr 0
		.amdhsa_user_sgpr_queue_ptr 0
		.amdhsa_user_sgpr_kernarg_segment_ptr 1
		.amdhsa_user_sgpr_dispatch_id 0
		.amdhsa_user_sgpr_kernarg_preload_length 0
		.amdhsa_user_sgpr_kernarg_preload_offset 0
		.amdhsa_user_sgpr_private_segment_size 0
		.amdhsa_wavefront_size32 1
		.amdhsa_uses_dynamic_stack 0
		.amdhsa_enable_private_segment 0
		.amdhsa_system_sgpr_workgroup_id_x 1
		.amdhsa_system_sgpr_workgroup_id_y 0
		.amdhsa_system_sgpr_workgroup_id_z 0
		.amdhsa_system_sgpr_workgroup_info 0
		.amdhsa_system_vgpr_workitem_id 0
		.amdhsa_next_free_vgpr 1
		.amdhsa_next_free_sgpr 1
		.amdhsa_named_barrier_count 0
		.amdhsa_reserve_vcc 0
		.amdhsa_float_round_mode_32 0
		.amdhsa_float_round_mode_16_64 0
		.amdhsa_float_denorm_mode_32 3
		.amdhsa_float_denorm_mode_16_64 3
		.amdhsa_fp16_overflow 0
		.amdhsa_memory_ordered 1
		.amdhsa_forward_progress 1
		.amdhsa_inst_pref_size 0
		.amdhsa_round_robin_scheduling 0
		.amdhsa_exception_fp_ieee_invalid_op 0
		.amdhsa_exception_fp_denorm_src 0
		.amdhsa_exception_fp_ieee_div_zero 0
		.amdhsa_exception_fp_ieee_overflow 0
		.amdhsa_exception_fp_ieee_underflow 0
		.amdhsa_exception_fp_ieee_inexact 0
		.amdhsa_exception_int_div_zero 0
	.end_amdhsa_kernel
	.section	.text._ZN7rocprim17ROCPRIM_400000_NS6detail17trampoline_kernelINS0_14default_configENS1_25partition_config_selectorILNS1_17partition_subalgoE8ElNS0_10empty_typeEbEEZZNS1_14partition_implILS5_8ELb0ES3_jPlPS6_PKS6_NS0_5tupleIJS9_S6_EEENSD_IJSA_SA_EEENS0_18inequality_wrapperIZN2at6native12_GLOBAL__N_124unique_dim_cuda_templateImEESt5tupleIJNSH_6TensorESM_SM_EERKSM_lbbbEUlllE0_EEPmJS6_EEE10hipError_tPvRmT3_T4_T5_T6_T7_T9_mT8_P12ihipStream_tbDpT10_ENKUlT_T0_E_clISt17integral_constantIbLb1EES1B_IbLb0EEEEDaS17_S18_EUlS17_E_NS1_11comp_targetILNS1_3genE5ELNS1_11target_archE942ELNS1_3gpuE9ELNS1_3repE0EEENS1_30default_config_static_selectorELNS0_4arch9wavefront6targetE0EEEvT1_,"axG",@progbits,_ZN7rocprim17ROCPRIM_400000_NS6detail17trampoline_kernelINS0_14default_configENS1_25partition_config_selectorILNS1_17partition_subalgoE8ElNS0_10empty_typeEbEEZZNS1_14partition_implILS5_8ELb0ES3_jPlPS6_PKS6_NS0_5tupleIJS9_S6_EEENSD_IJSA_SA_EEENS0_18inequality_wrapperIZN2at6native12_GLOBAL__N_124unique_dim_cuda_templateImEESt5tupleIJNSH_6TensorESM_SM_EERKSM_lbbbEUlllE0_EEPmJS6_EEE10hipError_tPvRmT3_T4_T5_T6_T7_T9_mT8_P12ihipStream_tbDpT10_ENKUlT_T0_E_clISt17integral_constantIbLb1EES1B_IbLb0EEEEDaS17_S18_EUlS17_E_NS1_11comp_targetILNS1_3genE5ELNS1_11target_archE942ELNS1_3gpuE9ELNS1_3repE0EEENS1_30default_config_static_selectorELNS0_4arch9wavefront6targetE0EEEvT1_,comdat
.Lfunc_end1680:
	.size	_ZN7rocprim17ROCPRIM_400000_NS6detail17trampoline_kernelINS0_14default_configENS1_25partition_config_selectorILNS1_17partition_subalgoE8ElNS0_10empty_typeEbEEZZNS1_14partition_implILS5_8ELb0ES3_jPlPS6_PKS6_NS0_5tupleIJS9_S6_EEENSD_IJSA_SA_EEENS0_18inequality_wrapperIZN2at6native12_GLOBAL__N_124unique_dim_cuda_templateImEESt5tupleIJNSH_6TensorESM_SM_EERKSM_lbbbEUlllE0_EEPmJS6_EEE10hipError_tPvRmT3_T4_T5_T6_T7_T9_mT8_P12ihipStream_tbDpT10_ENKUlT_T0_E_clISt17integral_constantIbLb1EES1B_IbLb0EEEEDaS17_S18_EUlS17_E_NS1_11comp_targetILNS1_3genE5ELNS1_11target_archE942ELNS1_3gpuE9ELNS1_3repE0EEENS1_30default_config_static_selectorELNS0_4arch9wavefront6targetE0EEEvT1_, .Lfunc_end1680-_ZN7rocprim17ROCPRIM_400000_NS6detail17trampoline_kernelINS0_14default_configENS1_25partition_config_selectorILNS1_17partition_subalgoE8ElNS0_10empty_typeEbEEZZNS1_14partition_implILS5_8ELb0ES3_jPlPS6_PKS6_NS0_5tupleIJS9_S6_EEENSD_IJSA_SA_EEENS0_18inequality_wrapperIZN2at6native12_GLOBAL__N_124unique_dim_cuda_templateImEESt5tupleIJNSH_6TensorESM_SM_EERKSM_lbbbEUlllE0_EEPmJS6_EEE10hipError_tPvRmT3_T4_T5_T6_T7_T9_mT8_P12ihipStream_tbDpT10_ENKUlT_T0_E_clISt17integral_constantIbLb1EES1B_IbLb0EEEEDaS17_S18_EUlS17_E_NS1_11comp_targetILNS1_3genE5ELNS1_11target_archE942ELNS1_3gpuE9ELNS1_3repE0EEENS1_30default_config_static_selectorELNS0_4arch9wavefront6targetE0EEEvT1_
                                        ; -- End function
	.set _ZN7rocprim17ROCPRIM_400000_NS6detail17trampoline_kernelINS0_14default_configENS1_25partition_config_selectorILNS1_17partition_subalgoE8ElNS0_10empty_typeEbEEZZNS1_14partition_implILS5_8ELb0ES3_jPlPS6_PKS6_NS0_5tupleIJS9_S6_EEENSD_IJSA_SA_EEENS0_18inequality_wrapperIZN2at6native12_GLOBAL__N_124unique_dim_cuda_templateImEESt5tupleIJNSH_6TensorESM_SM_EERKSM_lbbbEUlllE0_EEPmJS6_EEE10hipError_tPvRmT3_T4_T5_T6_T7_T9_mT8_P12ihipStream_tbDpT10_ENKUlT_T0_E_clISt17integral_constantIbLb1EES1B_IbLb0EEEEDaS17_S18_EUlS17_E_NS1_11comp_targetILNS1_3genE5ELNS1_11target_archE942ELNS1_3gpuE9ELNS1_3repE0EEENS1_30default_config_static_selectorELNS0_4arch9wavefront6targetE0EEEvT1_.num_vgpr, 0
	.set _ZN7rocprim17ROCPRIM_400000_NS6detail17trampoline_kernelINS0_14default_configENS1_25partition_config_selectorILNS1_17partition_subalgoE8ElNS0_10empty_typeEbEEZZNS1_14partition_implILS5_8ELb0ES3_jPlPS6_PKS6_NS0_5tupleIJS9_S6_EEENSD_IJSA_SA_EEENS0_18inequality_wrapperIZN2at6native12_GLOBAL__N_124unique_dim_cuda_templateImEESt5tupleIJNSH_6TensorESM_SM_EERKSM_lbbbEUlllE0_EEPmJS6_EEE10hipError_tPvRmT3_T4_T5_T6_T7_T9_mT8_P12ihipStream_tbDpT10_ENKUlT_T0_E_clISt17integral_constantIbLb1EES1B_IbLb0EEEEDaS17_S18_EUlS17_E_NS1_11comp_targetILNS1_3genE5ELNS1_11target_archE942ELNS1_3gpuE9ELNS1_3repE0EEENS1_30default_config_static_selectorELNS0_4arch9wavefront6targetE0EEEvT1_.num_agpr, 0
	.set _ZN7rocprim17ROCPRIM_400000_NS6detail17trampoline_kernelINS0_14default_configENS1_25partition_config_selectorILNS1_17partition_subalgoE8ElNS0_10empty_typeEbEEZZNS1_14partition_implILS5_8ELb0ES3_jPlPS6_PKS6_NS0_5tupleIJS9_S6_EEENSD_IJSA_SA_EEENS0_18inequality_wrapperIZN2at6native12_GLOBAL__N_124unique_dim_cuda_templateImEESt5tupleIJNSH_6TensorESM_SM_EERKSM_lbbbEUlllE0_EEPmJS6_EEE10hipError_tPvRmT3_T4_T5_T6_T7_T9_mT8_P12ihipStream_tbDpT10_ENKUlT_T0_E_clISt17integral_constantIbLb1EES1B_IbLb0EEEEDaS17_S18_EUlS17_E_NS1_11comp_targetILNS1_3genE5ELNS1_11target_archE942ELNS1_3gpuE9ELNS1_3repE0EEENS1_30default_config_static_selectorELNS0_4arch9wavefront6targetE0EEEvT1_.numbered_sgpr, 0
	.set _ZN7rocprim17ROCPRIM_400000_NS6detail17trampoline_kernelINS0_14default_configENS1_25partition_config_selectorILNS1_17partition_subalgoE8ElNS0_10empty_typeEbEEZZNS1_14partition_implILS5_8ELb0ES3_jPlPS6_PKS6_NS0_5tupleIJS9_S6_EEENSD_IJSA_SA_EEENS0_18inequality_wrapperIZN2at6native12_GLOBAL__N_124unique_dim_cuda_templateImEESt5tupleIJNSH_6TensorESM_SM_EERKSM_lbbbEUlllE0_EEPmJS6_EEE10hipError_tPvRmT3_T4_T5_T6_T7_T9_mT8_P12ihipStream_tbDpT10_ENKUlT_T0_E_clISt17integral_constantIbLb1EES1B_IbLb0EEEEDaS17_S18_EUlS17_E_NS1_11comp_targetILNS1_3genE5ELNS1_11target_archE942ELNS1_3gpuE9ELNS1_3repE0EEENS1_30default_config_static_selectorELNS0_4arch9wavefront6targetE0EEEvT1_.num_named_barrier, 0
	.set _ZN7rocprim17ROCPRIM_400000_NS6detail17trampoline_kernelINS0_14default_configENS1_25partition_config_selectorILNS1_17partition_subalgoE8ElNS0_10empty_typeEbEEZZNS1_14partition_implILS5_8ELb0ES3_jPlPS6_PKS6_NS0_5tupleIJS9_S6_EEENSD_IJSA_SA_EEENS0_18inequality_wrapperIZN2at6native12_GLOBAL__N_124unique_dim_cuda_templateImEESt5tupleIJNSH_6TensorESM_SM_EERKSM_lbbbEUlllE0_EEPmJS6_EEE10hipError_tPvRmT3_T4_T5_T6_T7_T9_mT8_P12ihipStream_tbDpT10_ENKUlT_T0_E_clISt17integral_constantIbLb1EES1B_IbLb0EEEEDaS17_S18_EUlS17_E_NS1_11comp_targetILNS1_3genE5ELNS1_11target_archE942ELNS1_3gpuE9ELNS1_3repE0EEENS1_30default_config_static_selectorELNS0_4arch9wavefront6targetE0EEEvT1_.private_seg_size, 0
	.set _ZN7rocprim17ROCPRIM_400000_NS6detail17trampoline_kernelINS0_14default_configENS1_25partition_config_selectorILNS1_17partition_subalgoE8ElNS0_10empty_typeEbEEZZNS1_14partition_implILS5_8ELb0ES3_jPlPS6_PKS6_NS0_5tupleIJS9_S6_EEENSD_IJSA_SA_EEENS0_18inequality_wrapperIZN2at6native12_GLOBAL__N_124unique_dim_cuda_templateImEESt5tupleIJNSH_6TensorESM_SM_EERKSM_lbbbEUlllE0_EEPmJS6_EEE10hipError_tPvRmT3_T4_T5_T6_T7_T9_mT8_P12ihipStream_tbDpT10_ENKUlT_T0_E_clISt17integral_constantIbLb1EES1B_IbLb0EEEEDaS17_S18_EUlS17_E_NS1_11comp_targetILNS1_3genE5ELNS1_11target_archE942ELNS1_3gpuE9ELNS1_3repE0EEENS1_30default_config_static_selectorELNS0_4arch9wavefront6targetE0EEEvT1_.uses_vcc, 0
	.set _ZN7rocprim17ROCPRIM_400000_NS6detail17trampoline_kernelINS0_14default_configENS1_25partition_config_selectorILNS1_17partition_subalgoE8ElNS0_10empty_typeEbEEZZNS1_14partition_implILS5_8ELb0ES3_jPlPS6_PKS6_NS0_5tupleIJS9_S6_EEENSD_IJSA_SA_EEENS0_18inequality_wrapperIZN2at6native12_GLOBAL__N_124unique_dim_cuda_templateImEESt5tupleIJNSH_6TensorESM_SM_EERKSM_lbbbEUlllE0_EEPmJS6_EEE10hipError_tPvRmT3_T4_T5_T6_T7_T9_mT8_P12ihipStream_tbDpT10_ENKUlT_T0_E_clISt17integral_constantIbLb1EES1B_IbLb0EEEEDaS17_S18_EUlS17_E_NS1_11comp_targetILNS1_3genE5ELNS1_11target_archE942ELNS1_3gpuE9ELNS1_3repE0EEENS1_30default_config_static_selectorELNS0_4arch9wavefront6targetE0EEEvT1_.uses_flat_scratch, 0
	.set _ZN7rocprim17ROCPRIM_400000_NS6detail17trampoline_kernelINS0_14default_configENS1_25partition_config_selectorILNS1_17partition_subalgoE8ElNS0_10empty_typeEbEEZZNS1_14partition_implILS5_8ELb0ES3_jPlPS6_PKS6_NS0_5tupleIJS9_S6_EEENSD_IJSA_SA_EEENS0_18inequality_wrapperIZN2at6native12_GLOBAL__N_124unique_dim_cuda_templateImEESt5tupleIJNSH_6TensorESM_SM_EERKSM_lbbbEUlllE0_EEPmJS6_EEE10hipError_tPvRmT3_T4_T5_T6_T7_T9_mT8_P12ihipStream_tbDpT10_ENKUlT_T0_E_clISt17integral_constantIbLb1EES1B_IbLb0EEEEDaS17_S18_EUlS17_E_NS1_11comp_targetILNS1_3genE5ELNS1_11target_archE942ELNS1_3gpuE9ELNS1_3repE0EEENS1_30default_config_static_selectorELNS0_4arch9wavefront6targetE0EEEvT1_.has_dyn_sized_stack, 0
	.set _ZN7rocprim17ROCPRIM_400000_NS6detail17trampoline_kernelINS0_14default_configENS1_25partition_config_selectorILNS1_17partition_subalgoE8ElNS0_10empty_typeEbEEZZNS1_14partition_implILS5_8ELb0ES3_jPlPS6_PKS6_NS0_5tupleIJS9_S6_EEENSD_IJSA_SA_EEENS0_18inequality_wrapperIZN2at6native12_GLOBAL__N_124unique_dim_cuda_templateImEESt5tupleIJNSH_6TensorESM_SM_EERKSM_lbbbEUlllE0_EEPmJS6_EEE10hipError_tPvRmT3_T4_T5_T6_T7_T9_mT8_P12ihipStream_tbDpT10_ENKUlT_T0_E_clISt17integral_constantIbLb1EES1B_IbLb0EEEEDaS17_S18_EUlS17_E_NS1_11comp_targetILNS1_3genE5ELNS1_11target_archE942ELNS1_3gpuE9ELNS1_3repE0EEENS1_30default_config_static_selectorELNS0_4arch9wavefront6targetE0EEEvT1_.has_recursion, 0
	.set _ZN7rocprim17ROCPRIM_400000_NS6detail17trampoline_kernelINS0_14default_configENS1_25partition_config_selectorILNS1_17partition_subalgoE8ElNS0_10empty_typeEbEEZZNS1_14partition_implILS5_8ELb0ES3_jPlPS6_PKS6_NS0_5tupleIJS9_S6_EEENSD_IJSA_SA_EEENS0_18inequality_wrapperIZN2at6native12_GLOBAL__N_124unique_dim_cuda_templateImEESt5tupleIJNSH_6TensorESM_SM_EERKSM_lbbbEUlllE0_EEPmJS6_EEE10hipError_tPvRmT3_T4_T5_T6_T7_T9_mT8_P12ihipStream_tbDpT10_ENKUlT_T0_E_clISt17integral_constantIbLb1EES1B_IbLb0EEEEDaS17_S18_EUlS17_E_NS1_11comp_targetILNS1_3genE5ELNS1_11target_archE942ELNS1_3gpuE9ELNS1_3repE0EEENS1_30default_config_static_selectorELNS0_4arch9wavefront6targetE0EEEvT1_.has_indirect_call, 0
	.section	.AMDGPU.csdata,"",@progbits
; Kernel info:
; codeLenInByte = 0
; TotalNumSgprs: 0
; NumVgprs: 0
; ScratchSize: 0
; MemoryBound: 0
; FloatMode: 240
; IeeeMode: 1
; LDSByteSize: 0 bytes/workgroup (compile time only)
; SGPRBlocks: 0
; VGPRBlocks: 0
; NumSGPRsForWavesPerEU: 1
; NumVGPRsForWavesPerEU: 1
; NamedBarCnt: 0
; Occupancy: 16
; WaveLimiterHint : 0
; COMPUTE_PGM_RSRC2:SCRATCH_EN: 0
; COMPUTE_PGM_RSRC2:USER_SGPR: 2
; COMPUTE_PGM_RSRC2:TRAP_HANDLER: 0
; COMPUTE_PGM_RSRC2:TGID_X_EN: 1
; COMPUTE_PGM_RSRC2:TGID_Y_EN: 0
; COMPUTE_PGM_RSRC2:TGID_Z_EN: 0
; COMPUTE_PGM_RSRC2:TIDIG_COMP_CNT: 0
	.section	.text._ZN7rocprim17ROCPRIM_400000_NS6detail17trampoline_kernelINS0_14default_configENS1_25partition_config_selectorILNS1_17partition_subalgoE8ElNS0_10empty_typeEbEEZZNS1_14partition_implILS5_8ELb0ES3_jPlPS6_PKS6_NS0_5tupleIJS9_S6_EEENSD_IJSA_SA_EEENS0_18inequality_wrapperIZN2at6native12_GLOBAL__N_124unique_dim_cuda_templateImEESt5tupleIJNSH_6TensorESM_SM_EERKSM_lbbbEUlllE0_EEPmJS6_EEE10hipError_tPvRmT3_T4_T5_T6_T7_T9_mT8_P12ihipStream_tbDpT10_ENKUlT_T0_E_clISt17integral_constantIbLb1EES1B_IbLb0EEEEDaS17_S18_EUlS17_E_NS1_11comp_targetILNS1_3genE4ELNS1_11target_archE910ELNS1_3gpuE8ELNS1_3repE0EEENS1_30default_config_static_selectorELNS0_4arch9wavefront6targetE0EEEvT1_,"axG",@progbits,_ZN7rocprim17ROCPRIM_400000_NS6detail17trampoline_kernelINS0_14default_configENS1_25partition_config_selectorILNS1_17partition_subalgoE8ElNS0_10empty_typeEbEEZZNS1_14partition_implILS5_8ELb0ES3_jPlPS6_PKS6_NS0_5tupleIJS9_S6_EEENSD_IJSA_SA_EEENS0_18inequality_wrapperIZN2at6native12_GLOBAL__N_124unique_dim_cuda_templateImEESt5tupleIJNSH_6TensorESM_SM_EERKSM_lbbbEUlllE0_EEPmJS6_EEE10hipError_tPvRmT3_T4_T5_T6_T7_T9_mT8_P12ihipStream_tbDpT10_ENKUlT_T0_E_clISt17integral_constantIbLb1EES1B_IbLb0EEEEDaS17_S18_EUlS17_E_NS1_11comp_targetILNS1_3genE4ELNS1_11target_archE910ELNS1_3gpuE8ELNS1_3repE0EEENS1_30default_config_static_selectorELNS0_4arch9wavefront6targetE0EEEvT1_,comdat
	.globl	_ZN7rocprim17ROCPRIM_400000_NS6detail17trampoline_kernelINS0_14default_configENS1_25partition_config_selectorILNS1_17partition_subalgoE8ElNS0_10empty_typeEbEEZZNS1_14partition_implILS5_8ELb0ES3_jPlPS6_PKS6_NS0_5tupleIJS9_S6_EEENSD_IJSA_SA_EEENS0_18inequality_wrapperIZN2at6native12_GLOBAL__N_124unique_dim_cuda_templateImEESt5tupleIJNSH_6TensorESM_SM_EERKSM_lbbbEUlllE0_EEPmJS6_EEE10hipError_tPvRmT3_T4_T5_T6_T7_T9_mT8_P12ihipStream_tbDpT10_ENKUlT_T0_E_clISt17integral_constantIbLb1EES1B_IbLb0EEEEDaS17_S18_EUlS17_E_NS1_11comp_targetILNS1_3genE4ELNS1_11target_archE910ELNS1_3gpuE8ELNS1_3repE0EEENS1_30default_config_static_selectorELNS0_4arch9wavefront6targetE0EEEvT1_ ; -- Begin function _ZN7rocprim17ROCPRIM_400000_NS6detail17trampoline_kernelINS0_14default_configENS1_25partition_config_selectorILNS1_17partition_subalgoE8ElNS0_10empty_typeEbEEZZNS1_14partition_implILS5_8ELb0ES3_jPlPS6_PKS6_NS0_5tupleIJS9_S6_EEENSD_IJSA_SA_EEENS0_18inequality_wrapperIZN2at6native12_GLOBAL__N_124unique_dim_cuda_templateImEESt5tupleIJNSH_6TensorESM_SM_EERKSM_lbbbEUlllE0_EEPmJS6_EEE10hipError_tPvRmT3_T4_T5_T6_T7_T9_mT8_P12ihipStream_tbDpT10_ENKUlT_T0_E_clISt17integral_constantIbLb1EES1B_IbLb0EEEEDaS17_S18_EUlS17_E_NS1_11comp_targetILNS1_3genE4ELNS1_11target_archE910ELNS1_3gpuE8ELNS1_3repE0EEENS1_30default_config_static_selectorELNS0_4arch9wavefront6targetE0EEEvT1_
	.p2align	8
	.type	_ZN7rocprim17ROCPRIM_400000_NS6detail17trampoline_kernelINS0_14default_configENS1_25partition_config_selectorILNS1_17partition_subalgoE8ElNS0_10empty_typeEbEEZZNS1_14partition_implILS5_8ELb0ES3_jPlPS6_PKS6_NS0_5tupleIJS9_S6_EEENSD_IJSA_SA_EEENS0_18inequality_wrapperIZN2at6native12_GLOBAL__N_124unique_dim_cuda_templateImEESt5tupleIJNSH_6TensorESM_SM_EERKSM_lbbbEUlllE0_EEPmJS6_EEE10hipError_tPvRmT3_T4_T5_T6_T7_T9_mT8_P12ihipStream_tbDpT10_ENKUlT_T0_E_clISt17integral_constantIbLb1EES1B_IbLb0EEEEDaS17_S18_EUlS17_E_NS1_11comp_targetILNS1_3genE4ELNS1_11target_archE910ELNS1_3gpuE8ELNS1_3repE0EEENS1_30default_config_static_selectorELNS0_4arch9wavefront6targetE0EEEvT1_,@function
_ZN7rocprim17ROCPRIM_400000_NS6detail17trampoline_kernelINS0_14default_configENS1_25partition_config_selectorILNS1_17partition_subalgoE8ElNS0_10empty_typeEbEEZZNS1_14partition_implILS5_8ELb0ES3_jPlPS6_PKS6_NS0_5tupleIJS9_S6_EEENSD_IJSA_SA_EEENS0_18inequality_wrapperIZN2at6native12_GLOBAL__N_124unique_dim_cuda_templateImEESt5tupleIJNSH_6TensorESM_SM_EERKSM_lbbbEUlllE0_EEPmJS6_EEE10hipError_tPvRmT3_T4_T5_T6_T7_T9_mT8_P12ihipStream_tbDpT10_ENKUlT_T0_E_clISt17integral_constantIbLb1EES1B_IbLb0EEEEDaS17_S18_EUlS17_E_NS1_11comp_targetILNS1_3genE4ELNS1_11target_archE910ELNS1_3gpuE8ELNS1_3repE0EEENS1_30default_config_static_selectorELNS0_4arch9wavefront6targetE0EEEvT1_: ; @_ZN7rocprim17ROCPRIM_400000_NS6detail17trampoline_kernelINS0_14default_configENS1_25partition_config_selectorILNS1_17partition_subalgoE8ElNS0_10empty_typeEbEEZZNS1_14partition_implILS5_8ELb0ES3_jPlPS6_PKS6_NS0_5tupleIJS9_S6_EEENSD_IJSA_SA_EEENS0_18inequality_wrapperIZN2at6native12_GLOBAL__N_124unique_dim_cuda_templateImEESt5tupleIJNSH_6TensorESM_SM_EERKSM_lbbbEUlllE0_EEPmJS6_EEE10hipError_tPvRmT3_T4_T5_T6_T7_T9_mT8_P12ihipStream_tbDpT10_ENKUlT_T0_E_clISt17integral_constantIbLb1EES1B_IbLb0EEEEDaS17_S18_EUlS17_E_NS1_11comp_targetILNS1_3genE4ELNS1_11target_archE910ELNS1_3gpuE8ELNS1_3repE0EEENS1_30default_config_static_selectorELNS0_4arch9wavefront6targetE0EEEvT1_
; %bb.0:
	.section	.rodata,"a",@progbits
	.p2align	6, 0x0
	.amdhsa_kernel _ZN7rocprim17ROCPRIM_400000_NS6detail17trampoline_kernelINS0_14default_configENS1_25partition_config_selectorILNS1_17partition_subalgoE8ElNS0_10empty_typeEbEEZZNS1_14partition_implILS5_8ELb0ES3_jPlPS6_PKS6_NS0_5tupleIJS9_S6_EEENSD_IJSA_SA_EEENS0_18inequality_wrapperIZN2at6native12_GLOBAL__N_124unique_dim_cuda_templateImEESt5tupleIJNSH_6TensorESM_SM_EERKSM_lbbbEUlllE0_EEPmJS6_EEE10hipError_tPvRmT3_T4_T5_T6_T7_T9_mT8_P12ihipStream_tbDpT10_ENKUlT_T0_E_clISt17integral_constantIbLb1EES1B_IbLb0EEEEDaS17_S18_EUlS17_E_NS1_11comp_targetILNS1_3genE4ELNS1_11target_archE910ELNS1_3gpuE8ELNS1_3repE0EEENS1_30default_config_static_selectorELNS0_4arch9wavefront6targetE0EEEvT1_
		.amdhsa_group_segment_fixed_size 0
		.amdhsa_private_segment_fixed_size 0
		.amdhsa_kernarg_size 120
		.amdhsa_user_sgpr_count 2
		.amdhsa_user_sgpr_dispatch_ptr 0
		.amdhsa_user_sgpr_queue_ptr 0
		.amdhsa_user_sgpr_kernarg_segment_ptr 1
		.amdhsa_user_sgpr_dispatch_id 0
		.amdhsa_user_sgpr_kernarg_preload_length 0
		.amdhsa_user_sgpr_kernarg_preload_offset 0
		.amdhsa_user_sgpr_private_segment_size 0
		.amdhsa_wavefront_size32 1
		.amdhsa_uses_dynamic_stack 0
		.amdhsa_enable_private_segment 0
		.amdhsa_system_sgpr_workgroup_id_x 1
		.amdhsa_system_sgpr_workgroup_id_y 0
		.amdhsa_system_sgpr_workgroup_id_z 0
		.amdhsa_system_sgpr_workgroup_info 0
		.amdhsa_system_vgpr_workitem_id 0
		.amdhsa_next_free_vgpr 1
		.amdhsa_next_free_sgpr 1
		.amdhsa_named_barrier_count 0
		.amdhsa_reserve_vcc 0
		.amdhsa_float_round_mode_32 0
		.amdhsa_float_round_mode_16_64 0
		.amdhsa_float_denorm_mode_32 3
		.amdhsa_float_denorm_mode_16_64 3
		.amdhsa_fp16_overflow 0
		.amdhsa_memory_ordered 1
		.amdhsa_forward_progress 1
		.amdhsa_inst_pref_size 0
		.amdhsa_round_robin_scheduling 0
		.amdhsa_exception_fp_ieee_invalid_op 0
		.amdhsa_exception_fp_denorm_src 0
		.amdhsa_exception_fp_ieee_div_zero 0
		.amdhsa_exception_fp_ieee_overflow 0
		.amdhsa_exception_fp_ieee_underflow 0
		.amdhsa_exception_fp_ieee_inexact 0
		.amdhsa_exception_int_div_zero 0
	.end_amdhsa_kernel
	.section	.text._ZN7rocprim17ROCPRIM_400000_NS6detail17trampoline_kernelINS0_14default_configENS1_25partition_config_selectorILNS1_17partition_subalgoE8ElNS0_10empty_typeEbEEZZNS1_14partition_implILS5_8ELb0ES3_jPlPS6_PKS6_NS0_5tupleIJS9_S6_EEENSD_IJSA_SA_EEENS0_18inequality_wrapperIZN2at6native12_GLOBAL__N_124unique_dim_cuda_templateImEESt5tupleIJNSH_6TensorESM_SM_EERKSM_lbbbEUlllE0_EEPmJS6_EEE10hipError_tPvRmT3_T4_T5_T6_T7_T9_mT8_P12ihipStream_tbDpT10_ENKUlT_T0_E_clISt17integral_constantIbLb1EES1B_IbLb0EEEEDaS17_S18_EUlS17_E_NS1_11comp_targetILNS1_3genE4ELNS1_11target_archE910ELNS1_3gpuE8ELNS1_3repE0EEENS1_30default_config_static_selectorELNS0_4arch9wavefront6targetE0EEEvT1_,"axG",@progbits,_ZN7rocprim17ROCPRIM_400000_NS6detail17trampoline_kernelINS0_14default_configENS1_25partition_config_selectorILNS1_17partition_subalgoE8ElNS0_10empty_typeEbEEZZNS1_14partition_implILS5_8ELb0ES3_jPlPS6_PKS6_NS0_5tupleIJS9_S6_EEENSD_IJSA_SA_EEENS0_18inequality_wrapperIZN2at6native12_GLOBAL__N_124unique_dim_cuda_templateImEESt5tupleIJNSH_6TensorESM_SM_EERKSM_lbbbEUlllE0_EEPmJS6_EEE10hipError_tPvRmT3_T4_T5_T6_T7_T9_mT8_P12ihipStream_tbDpT10_ENKUlT_T0_E_clISt17integral_constantIbLb1EES1B_IbLb0EEEEDaS17_S18_EUlS17_E_NS1_11comp_targetILNS1_3genE4ELNS1_11target_archE910ELNS1_3gpuE8ELNS1_3repE0EEENS1_30default_config_static_selectorELNS0_4arch9wavefront6targetE0EEEvT1_,comdat
.Lfunc_end1681:
	.size	_ZN7rocprim17ROCPRIM_400000_NS6detail17trampoline_kernelINS0_14default_configENS1_25partition_config_selectorILNS1_17partition_subalgoE8ElNS0_10empty_typeEbEEZZNS1_14partition_implILS5_8ELb0ES3_jPlPS6_PKS6_NS0_5tupleIJS9_S6_EEENSD_IJSA_SA_EEENS0_18inequality_wrapperIZN2at6native12_GLOBAL__N_124unique_dim_cuda_templateImEESt5tupleIJNSH_6TensorESM_SM_EERKSM_lbbbEUlllE0_EEPmJS6_EEE10hipError_tPvRmT3_T4_T5_T6_T7_T9_mT8_P12ihipStream_tbDpT10_ENKUlT_T0_E_clISt17integral_constantIbLb1EES1B_IbLb0EEEEDaS17_S18_EUlS17_E_NS1_11comp_targetILNS1_3genE4ELNS1_11target_archE910ELNS1_3gpuE8ELNS1_3repE0EEENS1_30default_config_static_selectorELNS0_4arch9wavefront6targetE0EEEvT1_, .Lfunc_end1681-_ZN7rocprim17ROCPRIM_400000_NS6detail17trampoline_kernelINS0_14default_configENS1_25partition_config_selectorILNS1_17partition_subalgoE8ElNS0_10empty_typeEbEEZZNS1_14partition_implILS5_8ELb0ES3_jPlPS6_PKS6_NS0_5tupleIJS9_S6_EEENSD_IJSA_SA_EEENS0_18inequality_wrapperIZN2at6native12_GLOBAL__N_124unique_dim_cuda_templateImEESt5tupleIJNSH_6TensorESM_SM_EERKSM_lbbbEUlllE0_EEPmJS6_EEE10hipError_tPvRmT3_T4_T5_T6_T7_T9_mT8_P12ihipStream_tbDpT10_ENKUlT_T0_E_clISt17integral_constantIbLb1EES1B_IbLb0EEEEDaS17_S18_EUlS17_E_NS1_11comp_targetILNS1_3genE4ELNS1_11target_archE910ELNS1_3gpuE8ELNS1_3repE0EEENS1_30default_config_static_selectorELNS0_4arch9wavefront6targetE0EEEvT1_
                                        ; -- End function
	.set _ZN7rocprim17ROCPRIM_400000_NS6detail17trampoline_kernelINS0_14default_configENS1_25partition_config_selectorILNS1_17partition_subalgoE8ElNS0_10empty_typeEbEEZZNS1_14partition_implILS5_8ELb0ES3_jPlPS6_PKS6_NS0_5tupleIJS9_S6_EEENSD_IJSA_SA_EEENS0_18inequality_wrapperIZN2at6native12_GLOBAL__N_124unique_dim_cuda_templateImEESt5tupleIJNSH_6TensorESM_SM_EERKSM_lbbbEUlllE0_EEPmJS6_EEE10hipError_tPvRmT3_T4_T5_T6_T7_T9_mT8_P12ihipStream_tbDpT10_ENKUlT_T0_E_clISt17integral_constantIbLb1EES1B_IbLb0EEEEDaS17_S18_EUlS17_E_NS1_11comp_targetILNS1_3genE4ELNS1_11target_archE910ELNS1_3gpuE8ELNS1_3repE0EEENS1_30default_config_static_selectorELNS0_4arch9wavefront6targetE0EEEvT1_.num_vgpr, 0
	.set _ZN7rocprim17ROCPRIM_400000_NS6detail17trampoline_kernelINS0_14default_configENS1_25partition_config_selectorILNS1_17partition_subalgoE8ElNS0_10empty_typeEbEEZZNS1_14partition_implILS5_8ELb0ES3_jPlPS6_PKS6_NS0_5tupleIJS9_S6_EEENSD_IJSA_SA_EEENS0_18inequality_wrapperIZN2at6native12_GLOBAL__N_124unique_dim_cuda_templateImEESt5tupleIJNSH_6TensorESM_SM_EERKSM_lbbbEUlllE0_EEPmJS6_EEE10hipError_tPvRmT3_T4_T5_T6_T7_T9_mT8_P12ihipStream_tbDpT10_ENKUlT_T0_E_clISt17integral_constantIbLb1EES1B_IbLb0EEEEDaS17_S18_EUlS17_E_NS1_11comp_targetILNS1_3genE4ELNS1_11target_archE910ELNS1_3gpuE8ELNS1_3repE0EEENS1_30default_config_static_selectorELNS0_4arch9wavefront6targetE0EEEvT1_.num_agpr, 0
	.set _ZN7rocprim17ROCPRIM_400000_NS6detail17trampoline_kernelINS0_14default_configENS1_25partition_config_selectorILNS1_17partition_subalgoE8ElNS0_10empty_typeEbEEZZNS1_14partition_implILS5_8ELb0ES3_jPlPS6_PKS6_NS0_5tupleIJS9_S6_EEENSD_IJSA_SA_EEENS0_18inequality_wrapperIZN2at6native12_GLOBAL__N_124unique_dim_cuda_templateImEESt5tupleIJNSH_6TensorESM_SM_EERKSM_lbbbEUlllE0_EEPmJS6_EEE10hipError_tPvRmT3_T4_T5_T6_T7_T9_mT8_P12ihipStream_tbDpT10_ENKUlT_T0_E_clISt17integral_constantIbLb1EES1B_IbLb0EEEEDaS17_S18_EUlS17_E_NS1_11comp_targetILNS1_3genE4ELNS1_11target_archE910ELNS1_3gpuE8ELNS1_3repE0EEENS1_30default_config_static_selectorELNS0_4arch9wavefront6targetE0EEEvT1_.numbered_sgpr, 0
	.set _ZN7rocprim17ROCPRIM_400000_NS6detail17trampoline_kernelINS0_14default_configENS1_25partition_config_selectorILNS1_17partition_subalgoE8ElNS0_10empty_typeEbEEZZNS1_14partition_implILS5_8ELb0ES3_jPlPS6_PKS6_NS0_5tupleIJS9_S6_EEENSD_IJSA_SA_EEENS0_18inequality_wrapperIZN2at6native12_GLOBAL__N_124unique_dim_cuda_templateImEESt5tupleIJNSH_6TensorESM_SM_EERKSM_lbbbEUlllE0_EEPmJS6_EEE10hipError_tPvRmT3_T4_T5_T6_T7_T9_mT8_P12ihipStream_tbDpT10_ENKUlT_T0_E_clISt17integral_constantIbLb1EES1B_IbLb0EEEEDaS17_S18_EUlS17_E_NS1_11comp_targetILNS1_3genE4ELNS1_11target_archE910ELNS1_3gpuE8ELNS1_3repE0EEENS1_30default_config_static_selectorELNS0_4arch9wavefront6targetE0EEEvT1_.num_named_barrier, 0
	.set _ZN7rocprim17ROCPRIM_400000_NS6detail17trampoline_kernelINS0_14default_configENS1_25partition_config_selectorILNS1_17partition_subalgoE8ElNS0_10empty_typeEbEEZZNS1_14partition_implILS5_8ELb0ES3_jPlPS6_PKS6_NS0_5tupleIJS9_S6_EEENSD_IJSA_SA_EEENS0_18inequality_wrapperIZN2at6native12_GLOBAL__N_124unique_dim_cuda_templateImEESt5tupleIJNSH_6TensorESM_SM_EERKSM_lbbbEUlllE0_EEPmJS6_EEE10hipError_tPvRmT3_T4_T5_T6_T7_T9_mT8_P12ihipStream_tbDpT10_ENKUlT_T0_E_clISt17integral_constantIbLb1EES1B_IbLb0EEEEDaS17_S18_EUlS17_E_NS1_11comp_targetILNS1_3genE4ELNS1_11target_archE910ELNS1_3gpuE8ELNS1_3repE0EEENS1_30default_config_static_selectorELNS0_4arch9wavefront6targetE0EEEvT1_.private_seg_size, 0
	.set _ZN7rocprim17ROCPRIM_400000_NS6detail17trampoline_kernelINS0_14default_configENS1_25partition_config_selectorILNS1_17partition_subalgoE8ElNS0_10empty_typeEbEEZZNS1_14partition_implILS5_8ELb0ES3_jPlPS6_PKS6_NS0_5tupleIJS9_S6_EEENSD_IJSA_SA_EEENS0_18inequality_wrapperIZN2at6native12_GLOBAL__N_124unique_dim_cuda_templateImEESt5tupleIJNSH_6TensorESM_SM_EERKSM_lbbbEUlllE0_EEPmJS6_EEE10hipError_tPvRmT3_T4_T5_T6_T7_T9_mT8_P12ihipStream_tbDpT10_ENKUlT_T0_E_clISt17integral_constantIbLb1EES1B_IbLb0EEEEDaS17_S18_EUlS17_E_NS1_11comp_targetILNS1_3genE4ELNS1_11target_archE910ELNS1_3gpuE8ELNS1_3repE0EEENS1_30default_config_static_selectorELNS0_4arch9wavefront6targetE0EEEvT1_.uses_vcc, 0
	.set _ZN7rocprim17ROCPRIM_400000_NS6detail17trampoline_kernelINS0_14default_configENS1_25partition_config_selectorILNS1_17partition_subalgoE8ElNS0_10empty_typeEbEEZZNS1_14partition_implILS5_8ELb0ES3_jPlPS6_PKS6_NS0_5tupleIJS9_S6_EEENSD_IJSA_SA_EEENS0_18inequality_wrapperIZN2at6native12_GLOBAL__N_124unique_dim_cuda_templateImEESt5tupleIJNSH_6TensorESM_SM_EERKSM_lbbbEUlllE0_EEPmJS6_EEE10hipError_tPvRmT3_T4_T5_T6_T7_T9_mT8_P12ihipStream_tbDpT10_ENKUlT_T0_E_clISt17integral_constantIbLb1EES1B_IbLb0EEEEDaS17_S18_EUlS17_E_NS1_11comp_targetILNS1_3genE4ELNS1_11target_archE910ELNS1_3gpuE8ELNS1_3repE0EEENS1_30default_config_static_selectorELNS0_4arch9wavefront6targetE0EEEvT1_.uses_flat_scratch, 0
	.set _ZN7rocprim17ROCPRIM_400000_NS6detail17trampoline_kernelINS0_14default_configENS1_25partition_config_selectorILNS1_17partition_subalgoE8ElNS0_10empty_typeEbEEZZNS1_14partition_implILS5_8ELb0ES3_jPlPS6_PKS6_NS0_5tupleIJS9_S6_EEENSD_IJSA_SA_EEENS0_18inequality_wrapperIZN2at6native12_GLOBAL__N_124unique_dim_cuda_templateImEESt5tupleIJNSH_6TensorESM_SM_EERKSM_lbbbEUlllE0_EEPmJS6_EEE10hipError_tPvRmT3_T4_T5_T6_T7_T9_mT8_P12ihipStream_tbDpT10_ENKUlT_T0_E_clISt17integral_constantIbLb1EES1B_IbLb0EEEEDaS17_S18_EUlS17_E_NS1_11comp_targetILNS1_3genE4ELNS1_11target_archE910ELNS1_3gpuE8ELNS1_3repE0EEENS1_30default_config_static_selectorELNS0_4arch9wavefront6targetE0EEEvT1_.has_dyn_sized_stack, 0
	.set _ZN7rocprim17ROCPRIM_400000_NS6detail17trampoline_kernelINS0_14default_configENS1_25partition_config_selectorILNS1_17partition_subalgoE8ElNS0_10empty_typeEbEEZZNS1_14partition_implILS5_8ELb0ES3_jPlPS6_PKS6_NS0_5tupleIJS9_S6_EEENSD_IJSA_SA_EEENS0_18inequality_wrapperIZN2at6native12_GLOBAL__N_124unique_dim_cuda_templateImEESt5tupleIJNSH_6TensorESM_SM_EERKSM_lbbbEUlllE0_EEPmJS6_EEE10hipError_tPvRmT3_T4_T5_T6_T7_T9_mT8_P12ihipStream_tbDpT10_ENKUlT_T0_E_clISt17integral_constantIbLb1EES1B_IbLb0EEEEDaS17_S18_EUlS17_E_NS1_11comp_targetILNS1_3genE4ELNS1_11target_archE910ELNS1_3gpuE8ELNS1_3repE0EEENS1_30default_config_static_selectorELNS0_4arch9wavefront6targetE0EEEvT1_.has_recursion, 0
	.set _ZN7rocprim17ROCPRIM_400000_NS6detail17trampoline_kernelINS0_14default_configENS1_25partition_config_selectorILNS1_17partition_subalgoE8ElNS0_10empty_typeEbEEZZNS1_14partition_implILS5_8ELb0ES3_jPlPS6_PKS6_NS0_5tupleIJS9_S6_EEENSD_IJSA_SA_EEENS0_18inequality_wrapperIZN2at6native12_GLOBAL__N_124unique_dim_cuda_templateImEESt5tupleIJNSH_6TensorESM_SM_EERKSM_lbbbEUlllE0_EEPmJS6_EEE10hipError_tPvRmT3_T4_T5_T6_T7_T9_mT8_P12ihipStream_tbDpT10_ENKUlT_T0_E_clISt17integral_constantIbLb1EES1B_IbLb0EEEEDaS17_S18_EUlS17_E_NS1_11comp_targetILNS1_3genE4ELNS1_11target_archE910ELNS1_3gpuE8ELNS1_3repE0EEENS1_30default_config_static_selectorELNS0_4arch9wavefront6targetE0EEEvT1_.has_indirect_call, 0
	.section	.AMDGPU.csdata,"",@progbits
; Kernel info:
; codeLenInByte = 0
; TotalNumSgprs: 0
; NumVgprs: 0
; ScratchSize: 0
; MemoryBound: 0
; FloatMode: 240
; IeeeMode: 1
; LDSByteSize: 0 bytes/workgroup (compile time only)
; SGPRBlocks: 0
; VGPRBlocks: 0
; NumSGPRsForWavesPerEU: 1
; NumVGPRsForWavesPerEU: 1
; NamedBarCnt: 0
; Occupancy: 16
; WaveLimiterHint : 0
; COMPUTE_PGM_RSRC2:SCRATCH_EN: 0
; COMPUTE_PGM_RSRC2:USER_SGPR: 2
; COMPUTE_PGM_RSRC2:TRAP_HANDLER: 0
; COMPUTE_PGM_RSRC2:TGID_X_EN: 1
; COMPUTE_PGM_RSRC2:TGID_Y_EN: 0
; COMPUTE_PGM_RSRC2:TGID_Z_EN: 0
; COMPUTE_PGM_RSRC2:TIDIG_COMP_CNT: 0
	.section	.text._ZN7rocprim17ROCPRIM_400000_NS6detail17trampoline_kernelINS0_14default_configENS1_25partition_config_selectorILNS1_17partition_subalgoE8ElNS0_10empty_typeEbEEZZNS1_14partition_implILS5_8ELb0ES3_jPlPS6_PKS6_NS0_5tupleIJS9_S6_EEENSD_IJSA_SA_EEENS0_18inequality_wrapperIZN2at6native12_GLOBAL__N_124unique_dim_cuda_templateImEESt5tupleIJNSH_6TensorESM_SM_EERKSM_lbbbEUlllE0_EEPmJS6_EEE10hipError_tPvRmT3_T4_T5_T6_T7_T9_mT8_P12ihipStream_tbDpT10_ENKUlT_T0_E_clISt17integral_constantIbLb1EES1B_IbLb0EEEEDaS17_S18_EUlS17_E_NS1_11comp_targetILNS1_3genE3ELNS1_11target_archE908ELNS1_3gpuE7ELNS1_3repE0EEENS1_30default_config_static_selectorELNS0_4arch9wavefront6targetE0EEEvT1_,"axG",@progbits,_ZN7rocprim17ROCPRIM_400000_NS6detail17trampoline_kernelINS0_14default_configENS1_25partition_config_selectorILNS1_17partition_subalgoE8ElNS0_10empty_typeEbEEZZNS1_14partition_implILS5_8ELb0ES3_jPlPS6_PKS6_NS0_5tupleIJS9_S6_EEENSD_IJSA_SA_EEENS0_18inequality_wrapperIZN2at6native12_GLOBAL__N_124unique_dim_cuda_templateImEESt5tupleIJNSH_6TensorESM_SM_EERKSM_lbbbEUlllE0_EEPmJS6_EEE10hipError_tPvRmT3_T4_T5_T6_T7_T9_mT8_P12ihipStream_tbDpT10_ENKUlT_T0_E_clISt17integral_constantIbLb1EES1B_IbLb0EEEEDaS17_S18_EUlS17_E_NS1_11comp_targetILNS1_3genE3ELNS1_11target_archE908ELNS1_3gpuE7ELNS1_3repE0EEENS1_30default_config_static_selectorELNS0_4arch9wavefront6targetE0EEEvT1_,comdat
	.globl	_ZN7rocprim17ROCPRIM_400000_NS6detail17trampoline_kernelINS0_14default_configENS1_25partition_config_selectorILNS1_17partition_subalgoE8ElNS0_10empty_typeEbEEZZNS1_14partition_implILS5_8ELb0ES3_jPlPS6_PKS6_NS0_5tupleIJS9_S6_EEENSD_IJSA_SA_EEENS0_18inequality_wrapperIZN2at6native12_GLOBAL__N_124unique_dim_cuda_templateImEESt5tupleIJNSH_6TensorESM_SM_EERKSM_lbbbEUlllE0_EEPmJS6_EEE10hipError_tPvRmT3_T4_T5_T6_T7_T9_mT8_P12ihipStream_tbDpT10_ENKUlT_T0_E_clISt17integral_constantIbLb1EES1B_IbLb0EEEEDaS17_S18_EUlS17_E_NS1_11comp_targetILNS1_3genE3ELNS1_11target_archE908ELNS1_3gpuE7ELNS1_3repE0EEENS1_30default_config_static_selectorELNS0_4arch9wavefront6targetE0EEEvT1_ ; -- Begin function _ZN7rocprim17ROCPRIM_400000_NS6detail17trampoline_kernelINS0_14default_configENS1_25partition_config_selectorILNS1_17partition_subalgoE8ElNS0_10empty_typeEbEEZZNS1_14partition_implILS5_8ELb0ES3_jPlPS6_PKS6_NS0_5tupleIJS9_S6_EEENSD_IJSA_SA_EEENS0_18inequality_wrapperIZN2at6native12_GLOBAL__N_124unique_dim_cuda_templateImEESt5tupleIJNSH_6TensorESM_SM_EERKSM_lbbbEUlllE0_EEPmJS6_EEE10hipError_tPvRmT3_T4_T5_T6_T7_T9_mT8_P12ihipStream_tbDpT10_ENKUlT_T0_E_clISt17integral_constantIbLb1EES1B_IbLb0EEEEDaS17_S18_EUlS17_E_NS1_11comp_targetILNS1_3genE3ELNS1_11target_archE908ELNS1_3gpuE7ELNS1_3repE0EEENS1_30default_config_static_selectorELNS0_4arch9wavefront6targetE0EEEvT1_
	.p2align	8
	.type	_ZN7rocprim17ROCPRIM_400000_NS6detail17trampoline_kernelINS0_14default_configENS1_25partition_config_selectorILNS1_17partition_subalgoE8ElNS0_10empty_typeEbEEZZNS1_14partition_implILS5_8ELb0ES3_jPlPS6_PKS6_NS0_5tupleIJS9_S6_EEENSD_IJSA_SA_EEENS0_18inequality_wrapperIZN2at6native12_GLOBAL__N_124unique_dim_cuda_templateImEESt5tupleIJNSH_6TensorESM_SM_EERKSM_lbbbEUlllE0_EEPmJS6_EEE10hipError_tPvRmT3_T4_T5_T6_T7_T9_mT8_P12ihipStream_tbDpT10_ENKUlT_T0_E_clISt17integral_constantIbLb1EES1B_IbLb0EEEEDaS17_S18_EUlS17_E_NS1_11comp_targetILNS1_3genE3ELNS1_11target_archE908ELNS1_3gpuE7ELNS1_3repE0EEENS1_30default_config_static_selectorELNS0_4arch9wavefront6targetE0EEEvT1_,@function
_ZN7rocprim17ROCPRIM_400000_NS6detail17trampoline_kernelINS0_14default_configENS1_25partition_config_selectorILNS1_17partition_subalgoE8ElNS0_10empty_typeEbEEZZNS1_14partition_implILS5_8ELb0ES3_jPlPS6_PKS6_NS0_5tupleIJS9_S6_EEENSD_IJSA_SA_EEENS0_18inequality_wrapperIZN2at6native12_GLOBAL__N_124unique_dim_cuda_templateImEESt5tupleIJNSH_6TensorESM_SM_EERKSM_lbbbEUlllE0_EEPmJS6_EEE10hipError_tPvRmT3_T4_T5_T6_T7_T9_mT8_P12ihipStream_tbDpT10_ENKUlT_T0_E_clISt17integral_constantIbLb1EES1B_IbLb0EEEEDaS17_S18_EUlS17_E_NS1_11comp_targetILNS1_3genE3ELNS1_11target_archE908ELNS1_3gpuE7ELNS1_3repE0EEENS1_30default_config_static_selectorELNS0_4arch9wavefront6targetE0EEEvT1_: ; @_ZN7rocprim17ROCPRIM_400000_NS6detail17trampoline_kernelINS0_14default_configENS1_25partition_config_selectorILNS1_17partition_subalgoE8ElNS0_10empty_typeEbEEZZNS1_14partition_implILS5_8ELb0ES3_jPlPS6_PKS6_NS0_5tupleIJS9_S6_EEENSD_IJSA_SA_EEENS0_18inequality_wrapperIZN2at6native12_GLOBAL__N_124unique_dim_cuda_templateImEESt5tupleIJNSH_6TensorESM_SM_EERKSM_lbbbEUlllE0_EEPmJS6_EEE10hipError_tPvRmT3_T4_T5_T6_T7_T9_mT8_P12ihipStream_tbDpT10_ENKUlT_T0_E_clISt17integral_constantIbLb1EES1B_IbLb0EEEEDaS17_S18_EUlS17_E_NS1_11comp_targetILNS1_3genE3ELNS1_11target_archE908ELNS1_3gpuE7ELNS1_3repE0EEENS1_30default_config_static_selectorELNS0_4arch9wavefront6targetE0EEEvT1_
; %bb.0:
	.section	.rodata,"a",@progbits
	.p2align	6, 0x0
	.amdhsa_kernel _ZN7rocprim17ROCPRIM_400000_NS6detail17trampoline_kernelINS0_14default_configENS1_25partition_config_selectorILNS1_17partition_subalgoE8ElNS0_10empty_typeEbEEZZNS1_14partition_implILS5_8ELb0ES3_jPlPS6_PKS6_NS0_5tupleIJS9_S6_EEENSD_IJSA_SA_EEENS0_18inequality_wrapperIZN2at6native12_GLOBAL__N_124unique_dim_cuda_templateImEESt5tupleIJNSH_6TensorESM_SM_EERKSM_lbbbEUlllE0_EEPmJS6_EEE10hipError_tPvRmT3_T4_T5_T6_T7_T9_mT8_P12ihipStream_tbDpT10_ENKUlT_T0_E_clISt17integral_constantIbLb1EES1B_IbLb0EEEEDaS17_S18_EUlS17_E_NS1_11comp_targetILNS1_3genE3ELNS1_11target_archE908ELNS1_3gpuE7ELNS1_3repE0EEENS1_30default_config_static_selectorELNS0_4arch9wavefront6targetE0EEEvT1_
		.amdhsa_group_segment_fixed_size 0
		.amdhsa_private_segment_fixed_size 0
		.amdhsa_kernarg_size 120
		.amdhsa_user_sgpr_count 2
		.amdhsa_user_sgpr_dispatch_ptr 0
		.amdhsa_user_sgpr_queue_ptr 0
		.amdhsa_user_sgpr_kernarg_segment_ptr 1
		.amdhsa_user_sgpr_dispatch_id 0
		.amdhsa_user_sgpr_kernarg_preload_length 0
		.amdhsa_user_sgpr_kernarg_preload_offset 0
		.amdhsa_user_sgpr_private_segment_size 0
		.amdhsa_wavefront_size32 1
		.amdhsa_uses_dynamic_stack 0
		.amdhsa_enable_private_segment 0
		.amdhsa_system_sgpr_workgroup_id_x 1
		.amdhsa_system_sgpr_workgroup_id_y 0
		.amdhsa_system_sgpr_workgroup_id_z 0
		.amdhsa_system_sgpr_workgroup_info 0
		.amdhsa_system_vgpr_workitem_id 0
		.amdhsa_next_free_vgpr 1
		.amdhsa_next_free_sgpr 1
		.amdhsa_named_barrier_count 0
		.amdhsa_reserve_vcc 0
		.amdhsa_float_round_mode_32 0
		.amdhsa_float_round_mode_16_64 0
		.amdhsa_float_denorm_mode_32 3
		.amdhsa_float_denorm_mode_16_64 3
		.amdhsa_fp16_overflow 0
		.amdhsa_memory_ordered 1
		.amdhsa_forward_progress 1
		.amdhsa_inst_pref_size 0
		.amdhsa_round_robin_scheduling 0
		.amdhsa_exception_fp_ieee_invalid_op 0
		.amdhsa_exception_fp_denorm_src 0
		.amdhsa_exception_fp_ieee_div_zero 0
		.amdhsa_exception_fp_ieee_overflow 0
		.amdhsa_exception_fp_ieee_underflow 0
		.amdhsa_exception_fp_ieee_inexact 0
		.amdhsa_exception_int_div_zero 0
	.end_amdhsa_kernel
	.section	.text._ZN7rocprim17ROCPRIM_400000_NS6detail17trampoline_kernelINS0_14default_configENS1_25partition_config_selectorILNS1_17partition_subalgoE8ElNS0_10empty_typeEbEEZZNS1_14partition_implILS5_8ELb0ES3_jPlPS6_PKS6_NS0_5tupleIJS9_S6_EEENSD_IJSA_SA_EEENS0_18inequality_wrapperIZN2at6native12_GLOBAL__N_124unique_dim_cuda_templateImEESt5tupleIJNSH_6TensorESM_SM_EERKSM_lbbbEUlllE0_EEPmJS6_EEE10hipError_tPvRmT3_T4_T5_T6_T7_T9_mT8_P12ihipStream_tbDpT10_ENKUlT_T0_E_clISt17integral_constantIbLb1EES1B_IbLb0EEEEDaS17_S18_EUlS17_E_NS1_11comp_targetILNS1_3genE3ELNS1_11target_archE908ELNS1_3gpuE7ELNS1_3repE0EEENS1_30default_config_static_selectorELNS0_4arch9wavefront6targetE0EEEvT1_,"axG",@progbits,_ZN7rocprim17ROCPRIM_400000_NS6detail17trampoline_kernelINS0_14default_configENS1_25partition_config_selectorILNS1_17partition_subalgoE8ElNS0_10empty_typeEbEEZZNS1_14partition_implILS5_8ELb0ES3_jPlPS6_PKS6_NS0_5tupleIJS9_S6_EEENSD_IJSA_SA_EEENS0_18inequality_wrapperIZN2at6native12_GLOBAL__N_124unique_dim_cuda_templateImEESt5tupleIJNSH_6TensorESM_SM_EERKSM_lbbbEUlllE0_EEPmJS6_EEE10hipError_tPvRmT3_T4_T5_T6_T7_T9_mT8_P12ihipStream_tbDpT10_ENKUlT_T0_E_clISt17integral_constantIbLb1EES1B_IbLb0EEEEDaS17_S18_EUlS17_E_NS1_11comp_targetILNS1_3genE3ELNS1_11target_archE908ELNS1_3gpuE7ELNS1_3repE0EEENS1_30default_config_static_selectorELNS0_4arch9wavefront6targetE0EEEvT1_,comdat
.Lfunc_end1682:
	.size	_ZN7rocprim17ROCPRIM_400000_NS6detail17trampoline_kernelINS0_14default_configENS1_25partition_config_selectorILNS1_17partition_subalgoE8ElNS0_10empty_typeEbEEZZNS1_14partition_implILS5_8ELb0ES3_jPlPS6_PKS6_NS0_5tupleIJS9_S6_EEENSD_IJSA_SA_EEENS0_18inequality_wrapperIZN2at6native12_GLOBAL__N_124unique_dim_cuda_templateImEESt5tupleIJNSH_6TensorESM_SM_EERKSM_lbbbEUlllE0_EEPmJS6_EEE10hipError_tPvRmT3_T4_T5_T6_T7_T9_mT8_P12ihipStream_tbDpT10_ENKUlT_T0_E_clISt17integral_constantIbLb1EES1B_IbLb0EEEEDaS17_S18_EUlS17_E_NS1_11comp_targetILNS1_3genE3ELNS1_11target_archE908ELNS1_3gpuE7ELNS1_3repE0EEENS1_30default_config_static_selectorELNS0_4arch9wavefront6targetE0EEEvT1_, .Lfunc_end1682-_ZN7rocprim17ROCPRIM_400000_NS6detail17trampoline_kernelINS0_14default_configENS1_25partition_config_selectorILNS1_17partition_subalgoE8ElNS0_10empty_typeEbEEZZNS1_14partition_implILS5_8ELb0ES3_jPlPS6_PKS6_NS0_5tupleIJS9_S6_EEENSD_IJSA_SA_EEENS0_18inequality_wrapperIZN2at6native12_GLOBAL__N_124unique_dim_cuda_templateImEESt5tupleIJNSH_6TensorESM_SM_EERKSM_lbbbEUlllE0_EEPmJS6_EEE10hipError_tPvRmT3_T4_T5_T6_T7_T9_mT8_P12ihipStream_tbDpT10_ENKUlT_T0_E_clISt17integral_constantIbLb1EES1B_IbLb0EEEEDaS17_S18_EUlS17_E_NS1_11comp_targetILNS1_3genE3ELNS1_11target_archE908ELNS1_3gpuE7ELNS1_3repE0EEENS1_30default_config_static_selectorELNS0_4arch9wavefront6targetE0EEEvT1_
                                        ; -- End function
	.set _ZN7rocprim17ROCPRIM_400000_NS6detail17trampoline_kernelINS0_14default_configENS1_25partition_config_selectorILNS1_17partition_subalgoE8ElNS0_10empty_typeEbEEZZNS1_14partition_implILS5_8ELb0ES3_jPlPS6_PKS6_NS0_5tupleIJS9_S6_EEENSD_IJSA_SA_EEENS0_18inequality_wrapperIZN2at6native12_GLOBAL__N_124unique_dim_cuda_templateImEESt5tupleIJNSH_6TensorESM_SM_EERKSM_lbbbEUlllE0_EEPmJS6_EEE10hipError_tPvRmT3_T4_T5_T6_T7_T9_mT8_P12ihipStream_tbDpT10_ENKUlT_T0_E_clISt17integral_constantIbLb1EES1B_IbLb0EEEEDaS17_S18_EUlS17_E_NS1_11comp_targetILNS1_3genE3ELNS1_11target_archE908ELNS1_3gpuE7ELNS1_3repE0EEENS1_30default_config_static_selectorELNS0_4arch9wavefront6targetE0EEEvT1_.num_vgpr, 0
	.set _ZN7rocprim17ROCPRIM_400000_NS6detail17trampoline_kernelINS0_14default_configENS1_25partition_config_selectorILNS1_17partition_subalgoE8ElNS0_10empty_typeEbEEZZNS1_14partition_implILS5_8ELb0ES3_jPlPS6_PKS6_NS0_5tupleIJS9_S6_EEENSD_IJSA_SA_EEENS0_18inequality_wrapperIZN2at6native12_GLOBAL__N_124unique_dim_cuda_templateImEESt5tupleIJNSH_6TensorESM_SM_EERKSM_lbbbEUlllE0_EEPmJS6_EEE10hipError_tPvRmT3_T4_T5_T6_T7_T9_mT8_P12ihipStream_tbDpT10_ENKUlT_T0_E_clISt17integral_constantIbLb1EES1B_IbLb0EEEEDaS17_S18_EUlS17_E_NS1_11comp_targetILNS1_3genE3ELNS1_11target_archE908ELNS1_3gpuE7ELNS1_3repE0EEENS1_30default_config_static_selectorELNS0_4arch9wavefront6targetE0EEEvT1_.num_agpr, 0
	.set _ZN7rocprim17ROCPRIM_400000_NS6detail17trampoline_kernelINS0_14default_configENS1_25partition_config_selectorILNS1_17partition_subalgoE8ElNS0_10empty_typeEbEEZZNS1_14partition_implILS5_8ELb0ES3_jPlPS6_PKS6_NS0_5tupleIJS9_S6_EEENSD_IJSA_SA_EEENS0_18inequality_wrapperIZN2at6native12_GLOBAL__N_124unique_dim_cuda_templateImEESt5tupleIJNSH_6TensorESM_SM_EERKSM_lbbbEUlllE0_EEPmJS6_EEE10hipError_tPvRmT3_T4_T5_T6_T7_T9_mT8_P12ihipStream_tbDpT10_ENKUlT_T0_E_clISt17integral_constantIbLb1EES1B_IbLb0EEEEDaS17_S18_EUlS17_E_NS1_11comp_targetILNS1_3genE3ELNS1_11target_archE908ELNS1_3gpuE7ELNS1_3repE0EEENS1_30default_config_static_selectorELNS0_4arch9wavefront6targetE0EEEvT1_.numbered_sgpr, 0
	.set _ZN7rocprim17ROCPRIM_400000_NS6detail17trampoline_kernelINS0_14default_configENS1_25partition_config_selectorILNS1_17partition_subalgoE8ElNS0_10empty_typeEbEEZZNS1_14partition_implILS5_8ELb0ES3_jPlPS6_PKS6_NS0_5tupleIJS9_S6_EEENSD_IJSA_SA_EEENS0_18inequality_wrapperIZN2at6native12_GLOBAL__N_124unique_dim_cuda_templateImEESt5tupleIJNSH_6TensorESM_SM_EERKSM_lbbbEUlllE0_EEPmJS6_EEE10hipError_tPvRmT3_T4_T5_T6_T7_T9_mT8_P12ihipStream_tbDpT10_ENKUlT_T0_E_clISt17integral_constantIbLb1EES1B_IbLb0EEEEDaS17_S18_EUlS17_E_NS1_11comp_targetILNS1_3genE3ELNS1_11target_archE908ELNS1_3gpuE7ELNS1_3repE0EEENS1_30default_config_static_selectorELNS0_4arch9wavefront6targetE0EEEvT1_.num_named_barrier, 0
	.set _ZN7rocprim17ROCPRIM_400000_NS6detail17trampoline_kernelINS0_14default_configENS1_25partition_config_selectorILNS1_17partition_subalgoE8ElNS0_10empty_typeEbEEZZNS1_14partition_implILS5_8ELb0ES3_jPlPS6_PKS6_NS0_5tupleIJS9_S6_EEENSD_IJSA_SA_EEENS0_18inequality_wrapperIZN2at6native12_GLOBAL__N_124unique_dim_cuda_templateImEESt5tupleIJNSH_6TensorESM_SM_EERKSM_lbbbEUlllE0_EEPmJS6_EEE10hipError_tPvRmT3_T4_T5_T6_T7_T9_mT8_P12ihipStream_tbDpT10_ENKUlT_T0_E_clISt17integral_constantIbLb1EES1B_IbLb0EEEEDaS17_S18_EUlS17_E_NS1_11comp_targetILNS1_3genE3ELNS1_11target_archE908ELNS1_3gpuE7ELNS1_3repE0EEENS1_30default_config_static_selectorELNS0_4arch9wavefront6targetE0EEEvT1_.private_seg_size, 0
	.set _ZN7rocprim17ROCPRIM_400000_NS6detail17trampoline_kernelINS0_14default_configENS1_25partition_config_selectorILNS1_17partition_subalgoE8ElNS0_10empty_typeEbEEZZNS1_14partition_implILS5_8ELb0ES3_jPlPS6_PKS6_NS0_5tupleIJS9_S6_EEENSD_IJSA_SA_EEENS0_18inequality_wrapperIZN2at6native12_GLOBAL__N_124unique_dim_cuda_templateImEESt5tupleIJNSH_6TensorESM_SM_EERKSM_lbbbEUlllE0_EEPmJS6_EEE10hipError_tPvRmT3_T4_T5_T6_T7_T9_mT8_P12ihipStream_tbDpT10_ENKUlT_T0_E_clISt17integral_constantIbLb1EES1B_IbLb0EEEEDaS17_S18_EUlS17_E_NS1_11comp_targetILNS1_3genE3ELNS1_11target_archE908ELNS1_3gpuE7ELNS1_3repE0EEENS1_30default_config_static_selectorELNS0_4arch9wavefront6targetE0EEEvT1_.uses_vcc, 0
	.set _ZN7rocprim17ROCPRIM_400000_NS6detail17trampoline_kernelINS0_14default_configENS1_25partition_config_selectorILNS1_17partition_subalgoE8ElNS0_10empty_typeEbEEZZNS1_14partition_implILS5_8ELb0ES3_jPlPS6_PKS6_NS0_5tupleIJS9_S6_EEENSD_IJSA_SA_EEENS0_18inequality_wrapperIZN2at6native12_GLOBAL__N_124unique_dim_cuda_templateImEESt5tupleIJNSH_6TensorESM_SM_EERKSM_lbbbEUlllE0_EEPmJS6_EEE10hipError_tPvRmT3_T4_T5_T6_T7_T9_mT8_P12ihipStream_tbDpT10_ENKUlT_T0_E_clISt17integral_constantIbLb1EES1B_IbLb0EEEEDaS17_S18_EUlS17_E_NS1_11comp_targetILNS1_3genE3ELNS1_11target_archE908ELNS1_3gpuE7ELNS1_3repE0EEENS1_30default_config_static_selectorELNS0_4arch9wavefront6targetE0EEEvT1_.uses_flat_scratch, 0
	.set _ZN7rocprim17ROCPRIM_400000_NS6detail17trampoline_kernelINS0_14default_configENS1_25partition_config_selectorILNS1_17partition_subalgoE8ElNS0_10empty_typeEbEEZZNS1_14partition_implILS5_8ELb0ES3_jPlPS6_PKS6_NS0_5tupleIJS9_S6_EEENSD_IJSA_SA_EEENS0_18inequality_wrapperIZN2at6native12_GLOBAL__N_124unique_dim_cuda_templateImEESt5tupleIJNSH_6TensorESM_SM_EERKSM_lbbbEUlllE0_EEPmJS6_EEE10hipError_tPvRmT3_T4_T5_T6_T7_T9_mT8_P12ihipStream_tbDpT10_ENKUlT_T0_E_clISt17integral_constantIbLb1EES1B_IbLb0EEEEDaS17_S18_EUlS17_E_NS1_11comp_targetILNS1_3genE3ELNS1_11target_archE908ELNS1_3gpuE7ELNS1_3repE0EEENS1_30default_config_static_selectorELNS0_4arch9wavefront6targetE0EEEvT1_.has_dyn_sized_stack, 0
	.set _ZN7rocprim17ROCPRIM_400000_NS6detail17trampoline_kernelINS0_14default_configENS1_25partition_config_selectorILNS1_17partition_subalgoE8ElNS0_10empty_typeEbEEZZNS1_14partition_implILS5_8ELb0ES3_jPlPS6_PKS6_NS0_5tupleIJS9_S6_EEENSD_IJSA_SA_EEENS0_18inequality_wrapperIZN2at6native12_GLOBAL__N_124unique_dim_cuda_templateImEESt5tupleIJNSH_6TensorESM_SM_EERKSM_lbbbEUlllE0_EEPmJS6_EEE10hipError_tPvRmT3_T4_T5_T6_T7_T9_mT8_P12ihipStream_tbDpT10_ENKUlT_T0_E_clISt17integral_constantIbLb1EES1B_IbLb0EEEEDaS17_S18_EUlS17_E_NS1_11comp_targetILNS1_3genE3ELNS1_11target_archE908ELNS1_3gpuE7ELNS1_3repE0EEENS1_30default_config_static_selectorELNS0_4arch9wavefront6targetE0EEEvT1_.has_recursion, 0
	.set _ZN7rocprim17ROCPRIM_400000_NS6detail17trampoline_kernelINS0_14default_configENS1_25partition_config_selectorILNS1_17partition_subalgoE8ElNS0_10empty_typeEbEEZZNS1_14partition_implILS5_8ELb0ES3_jPlPS6_PKS6_NS0_5tupleIJS9_S6_EEENSD_IJSA_SA_EEENS0_18inequality_wrapperIZN2at6native12_GLOBAL__N_124unique_dim_cuda_templateImEESt5tupleIJNSH_6TensorESM_SM_EERKSM_lbbbEUlllE0_EEPmJS6_EEE10hipError_tPvRmT3_T4_T5_T6_T7_T9_mT8_P12ihipStream_tbDpT10_ENKUlT_T0_E_clISt17integral_constantIbLb1EES1B_IbLb0EEEEDaS17_S18_EUlS17_E_NS1_11comp_targetILNS1_3genE3ELNS1_11target_archE908ELNS1_3gpuE7ELNS1_3repE0EEENS1_30default_config_static_selectorELNS0_4arch9wavefront6targetE0EEEvT1_.has_indirect_call, 0
	.section	.AMDGPU.csdata,"",@progbits
; Kernel info:
; codeLenInByte = 0
; TotalNumSgprs: 0
; NumVgprs: 0
; ScratchSize: 0
; MemoryBound: 0
; FloatMode: 240
; IeeeMode: 1
; LDSByteSize: 0 bytes/workgroup (compile time only)
; SGPRBlocks: 0
; VGPRBlocks: 0
; NumSGPRsForWavesPerEU: 1
; NumVGPRsForWavesPerEU: 1
; NamedBarCnt: 0
; Occupancy: 16
; WaveLimiterHint : 0
; COMPUTE_PGM_RSRC2:SCRATCH_EN: 0
; COMPUTE_PGM_RSRC2:USER_SGPR: 2
; COMPUTE_PGM_RSRC2:TRAP_HANDLER: 0
; COMPUTE_PGM_RSRC2:TGID_X_EN: 1
; COMPUTE_PGM_RSRC2:TGID_Y_EN: 0
; COMPUTE_PGM_RSRC2:TGID_Z_EN: 0
; COMPUTE_PGM_RSRC2:TIDIG_COMP_CNT: 0
	.section	.text._ZN7rocprim17ROCPRIM_400000_NS6detail17trampoline_kernelINS0_14default_configENS1_25partition_config_selectorILNS1_17partition_subalgoE8ElNS0_10empty_typeEbEEZZNS1_14partition_implILS5_8ELb0ES3_jPlPS6_PKS6_NS0_5tupleIJS9_S6_EEENSD_IJSA_SA_EEENS0_18inequality_wrapperIZN2at6native12_GLOBAL__N_124unique_dim_cuda_templateImEESt5tupleIJNSH_6TensorESM_SM_EERKSM_lbbbEUlllE0_EEPmJS6_EEE10hipError_tPvRmT3_T4_T5_T6_T7_T9_mT8_P12ihipStream_tbDpT10_ENKUlT_T0_E_clISt17integral_constantIbLb1EES1B_IbLb0EEEEDaS17_S18_EUlS17_E_NS1_11comp_targetILNS1_3genE2ELNS1_11target_archE906ELNS1_3gpuE6ELNS1_3repE0EEENS1_30default_config_static_selectorELNS0_4arch9wavefront6targetE0EEEvT1_,"axG",@progbits,_ZN7rocprim17ROCPRIM_400000_NS6detail17trampoline_kernelINS0_14default_configENS1_25partition_config_selectorILNS1_17partition_subalgoE8ElNS0_10empty_typeEbEEZZNS1_14partition_implILS5_8ELb0ES3_jPlPS6_PKS6_NS0_5tupleIJS9_S6_EEENSD_IJSA_SA_EEENS0_18inequality_wrapperIZN2at6native12_GLOBAL__N_124unique_dim_cuda_templateImEESt5tupleIJNSH_6TensorESM_SM_EERKSM_lbbbEUlllE0_EEPmJS6_EEE10hipError_tPvRmT3_T4_T5_T6_T7_T9_mT8_P12ihipStream_tbDpT10_ENKUlT_T0_E_clISt17integral_constantIbLb1EES1B_IbLb0EEEEDaS17_S18_EUlS17_E_NS1_11comp_targetILNS1_3genE2ELNS1_11target_archE906ELNS1_3gpuE6ELNS1_3repE0EEENS1_30default_config_static_selectorELNS0_4arch9wavefront6targetE0EEEvT1_,comdat
	.globl	_ZN7rocprim17ROCPRIM_400000_NS6detail17trampoline_kernelINS0_14default_configENS1_25partition_config_selectorILNS1_17partition_subalgoE8ElNS0_10empty_typeEbEEZZNS1_14partition_implILS5_8ELb0ES3_jPlPS6_PKS6_NS0_5tupleIJS9_S6_EEENSD_IJSA_SA_EEENS0_18inequality_wrapperIZN2at6native12_GLOBAL__N_124unique_dim_cuda_templateImEESt5tupleIJNSH_6TensorESM_SM_EERKSM_lbbbEUlllE0_EEPmJS6_EEE10hipError_tPvRmT3_T4_T5_T6_T7_T9_mT8_P12ihipStream_tbDpT10_ENKUlT_T0_E_clISt17integral_constantIbLb1EES1B_IbLb0EEEEDaS17_S18_EUlS17_E_NS1_11comp_targetILNS1_3genE2ELNS1_11target_archE906ELNS1_3gpuE6ELNS1_3repE0EEENS1_30default_config_static_selectorELNS0_4arch9wavefront6targetE0EEEvT1_ ; -- Begin function _ZN7rocprim17ROCPRIM_400000_NS6detail17trampoline_kernelINS0_14default_configENS1_25partition_config_selectorILNS1_17partition_subalgoE8ElNS0_10empty_typeEbEEZZNS1_14partition_implILS5_8ELb0ES3_jPlPS6_PKS6_NS0_5tupleIJS9_S6_EEENSD_IJSA_SA_EEENS0_18inequality_wrapperIZN2at6native12_GLOBAL__N_124unique_dim_cuda_templateImEESt5tupleIJNSH_6TensorESM_SM_EERKSM_lbbbEUlllE0_EEPmJS6_EEE10hipError_tPvRmT3_T4_T5_T6_T7_T9_mT8_P12ihipStream_tbDpT10_ENKUlT_T0_E_clISt17integral_constantIbLb1EES1B_IbLb0EEEEDaS17_S18_EUlS17_E_NS1_11comp_targetILNS1_3genE2ELNS1_11target_archE906ELNS1_3gpuE6ELNS1_3repE0EEENS1_30default_config_static_selectorELNS0_4arch9wavefront6targetE0EEEvT1_
	.p2align	8
	.type	_ZN7rocprim17ROCPRIM_400000_NS6detail17trampoline_kernelINS0_14default_configENS1_25partition_config_selectorILNS1_17partition_subalgoE8ElNS0_10empty_typeEbEEZZNS1_14partition_implILS5_8ELb0ES3_jPlPS6_PKS6_NS0_5tupleIJS9_S6_EEENSD_IJSA_SA_EEENS0_18inequality_wrapperIZN2at6native12_GLOBAL__N_124unique_dim_cuda_templateImEESt5tupleIJNSH_6TensorESM_SM_EERKSM_lbbbEUlllE0_EEPmJS6_EEE10hipError_tPvRmT3_T4_T5_T6_T7_T9_mT8_P12ihipStream_tbDpT10_ENKUlT_T0_E_clISt17integral_constantIbLb1EES1B_IbLb0EEEEDaS17_S18_EUlS17_E_NS1_11comp_targetILNS1_3genE2ELNS1_11target_archE906ELNS1_3gpuE6ELNS1_3repE0EEENS1_30default_config_static_selectorELNS0_4arch9wavefront6targetE0EEEvT1_,@function
_ZN7rocprim17ROCPRIM_400000_NS6detail17trampoline_kernelINS0_14default_configENS1_25partition_config_selectorILNS1_17partition_subalgoE8ElNS0_10empty_typeEbEEZZNS1_14partition_implILS5_8ELb0ES3_jPlPS6_PKS6_NS0_5tupleIJS9_S6_EEENSD_IJSA_SA_EEENS0_18inequality_wrapperIZN2at6native12_GLOBAL__N_124unique_dim_cuda_templateImEESt5tupleIJNSH_6TensorESM_SM_EERKSM_lbbbEUlllE0_EEPmJS6_EEE10hipError_tPvRmT3_T4_T5_T6_T7_T9_mT8_P12ihipStream_tbDpT10_ENKUlT_T0_E_clISt17integral_constantIbLb1EES1B_IbLb0EEEEDaS17_S18_EUlS17_E_NS1_11comp_targetILNS1_3genE2ELNS1_11target_archE906ELNS1_3gpuE6ELNS1_3repE0EEENS1_30default_config_static_selectorELNS0_4arch9wavefront6targetE0EEEvT1_: ; @_ZN7rocprim17ROCPRIM_400000_NS6detail17trampoline_kernelINS0_14default_configENS1_25partition_config_selectorILNS1_17partition_subalgoE8ElNS0_10empty_typeEbEEZZNS1_14partition_implILS5_8ELb0ES3_jPlPS6_PKS6_NS0_5tupleIJS9_S6_EEENSD_IJSA_SA_EEENS0_18inequality_wrapperIZN2at6native12_GLOBAL__N_124unique_dim_cuda_templateImEESt5tupleIJNSH_6TensorESM_SM_EERKSM_lbbbEUlllE0_EEPmJS6_EEE10hipError_tPvRmT3_T4_T5_T6_T7_T9_mT8_P12ihipStream_tbDpT10_ENKUlT_T0_E_clISt17integral_constantIbLb1EES1B_IbLb0EEEEDaS17_S18_EUlS17_E_NS1_11comp_targetILNS1_3genE2ELNS1_11target_archE906ELNS1_3gpuE6ELNS1_3repE0EEENS1_30default_config_static_selectorELNS0_4arch9wavefront6targetE0EEEvT1_
; %bb.0:
	.section	.rodata,"a",@progbits
	.p2align	6, 0x0
	.amdhsa_kernel _ZN7rocprim17ROCPRIM_400000_NS6detail17trampoline_kernelINS0_14default_configENS1_25partition_config_selectorILNS1_17partition_subalgoE8ElNS0_10empty_typeEbEEZZNS1_14partition_implILS5_8ELb0ES3_jPlPS6_PKS6_NS0_5tupleIJS9_S6_EEENSD_IJSA_SA_EEENS0_18inequality_wrapperIZN2at6native12_GLOBAL__N_124unique_dim_cuda_templateImEESt5tupleIJNSH_6TensorESM_SM_EERKSM_lbbbEUlllE0_EEPmJS6_EEE10hipError_tPvRmT3_T4_T5_T6_T7_T9_mT8_P12ihipStream_tbDpT10_ENKUlT_T0_E_clISt17integral_constantIbLb1EES1B_IbLb0EEEEDaS17_S18_EUlS17_E_NS1_11comp_targetILNS1_3genE2ELNS1_11target_archE906ELNS1_3gpuE6ELNS1_3repE0EEENS1_30default_config_static_selectorELNS0_4arch9wavefront6targetE0EEEvT1_
		.amdhsa_group_segment_fixed_size 0
		.amdhsa_private_segment_fixed_size 0
		.amdhsa_kernarg_size 120
		.amdhsa_user_sgpr_count 2
		.amdhsa_user_sgpr_dispatch_ptr 0
		.amdhsa_user_sgpr_queue_ptr 0
		.amdhsa_user_sgpr_kernarg_segment_ptr 1
		.amdhsa_user_sgpr_dispatch_id 0
		.amdhsa_user_sgpr_kernarg_preload_length 0
		.amdhsa_user_sgpr_kernarg_preload_offset 0
		.amdhsa_user_sgpr_private_segment_size 0
		.amdhsa_wavefront_size32 1
		.amdhsa_uses_dynamic_stack 0
		.amdhsa_enable_private_segment 0
		.amdhsa_system_sgpr_workgroup_id_x 1
		.amdhsa_system_sgpr_workgroup_id_y 0
		.amdhsa_system_sgpr_workgroup_id_z 0
		.amdhsa_system_sgpr_workgroup_info 0
		.amdhsa_system_vgpr_workitem_id 0
		.amdhsa_next_free_vgpr 1
		.amdhsa_next_free_sgpr 1
		.amdhsa_named_barrier_count 0
		.amdhsa_reserve_vcc 0
		.amdhsa_float_round_mode_32 0
		.amdhsa_float_round_mode_16_64 0
		.amdhsa_float_denorm_mode_32 3
		.amdhsa_float_denorm_mode_16_64 3
		.amdhsa_fp16_overflow 0
		.amdhsa_memory_ordered 1
		.amdhsa_forward_progress 1
		.amdhsa_inst_pref_size 0
		.amdhsa_round_robin_scheduling 0
		.amdhsa_exception_fp_ieee_invalid_op 0
		.amdhsa_exception_fp_denorm_src 0
		.amdhsa_exception_fp_ieee_div_zero 0
		.amdhsa_exception_fp_ieee_overflow 0
		.amdhsa_exception_fp_ieee_underflow 0
		.amdhsa_exception_fp_ieee_inexact 0
		.amdhsa_exception_int_div_zero 0
	.end_amdhsa_kernel
	.section	.text._ZN7rocprim17ROCPRIM_400000_NS6detail17trampoline_kernelINS0_14default_configENS1_25partition_config_selectorILNS1_17partition_subalgoE8ElNS0_10empty_typeEbEEZZNS1_14partition_implILS5_8ELb0ES3_jPlPS6_PKS6_NS0_5tupleIJS9_S6_EEENSD_IJSA_SA_EEENS0_18inequality_wrapperIZN2at6native12_GLOBAL__N_124unique_dim_cuda_templateImEESt5tupleIJNSH_6TensorESM_SM_EERKSM_lbbbEUlllE0_EEPmJS6_EEE10hipError_tPvRmT3_T4_T5_T6_T7_T9_mT8_P12ihipStream_tbDpT10_ENKUlT_T0_E_clISt17integral_constantIbLb1EES1B_IbLb0EEEEDaS17_S18_EUlS17_E_NS1_11comp_targetILNS1_3genE2ELNS1_11target_archE906ELNS1_3gpuE6ELNS1_3repE0EEENS1_30default_config_static_selectorELNS0_4arch9wavefront6targetE0EEEvT1_,"axG",@progbits,_ZN7rocprim17ROCPRIM_400000_NS6detail17trampoline_kernelINS0_14default_configENS1_25partition_config_selectorILNS1_17partition_subalgoE8ElNS0_10empty_typeEbEEZZNS1_14partition_implILS5_8ELb0ES3_jPlPS6_PKS6_NS0_5tupleIJS9_S6_EEENSD_IJSA_SA_EEENS0_18inequality_wrapperIZN2at6native12_GLOBAL__N_124unique_dim_cuda_templateImEESt5tupleIJNSH_6TensorESM_SM_EERKSM_lbbbEUlllE0_EEPmJS6_EEE10hipError_tPvRmT3_T4_T5_T6_T7_T9_mT8_P12ihipStream_tbDpT10_ENKUlT_T0_E_clISt17integral_constantIbLb1EES1B_IbLb0EEEEDaS17_S18_EUlS17_E_NS1_11comp_targetILNS1_3genE2ELNS1_11target_archE906ELNS1_3gpuE6ELNS1_3repE0EEENS1_30default_config_static_selectorELNS0_4arch9wavefront6targetE0EEEvT1_,comdat
.Lfunc_end1683:
	.size	_ZN7rocprim17ROCPRIM_400000_NS6detail17trampoline_kernelINS0_14default_configENS1_25partition_config_selectorILNS1_17partition_subalgoE8ElNS0_10empty_typeEbEEZZNS1_14partition_implILS5_8ELb0ES3_jPlPS6_PKS6_NS0_5tupleIJS9_S6_EEENSD_IJSA_SA_EEENS0_18inequality_wrapperIZN2at6native12_GLOBAL__N_124unique_dim_cuda_templateImEESt5tupleIJNSH_6TensorESM_SM_EERKSM_lbbbEUlllE0_EEPmJS6_EEE10hipError_tPvRmT3_T4_T5_T6_T7_T9_mT8_P12ihipStream_tbDpT10_ENKUlT_T0_E_clISt17integral_constantIbLb1EES1B_IbLb0EEEEDaS17_S18_EUlS17_E_NS1_11comp_targetILNS1_3genE2ELNS1_11target_archE906ELNS1_3gpuE6ELNS1_3repE0EEENS1_30default_config_static_selectorELNS0_4arch9wavefront6targetE0EEEvT1_, .Lfunc_end1683-_ZN7rocprim17ROCPRIM_400000_NS6detail17trampoline_kernelINS0_14default_configENS1_25partition_config_selectorILNS1_17partition_subalgoE8ElNS0_10empty_typeEbEEZZNS1_14partition_implILS5_8ELb0ES3_jPlPS6_PKS6_NS0_5tupleIJS9_S6_EEENSD_IJSA_SA_EEENS0_18inequality_wrapperIZN2at6native12_GLOBAL__N_124unique_dim_cuda_templateImEESt5tupleIJNSH_6TensorESM_SM_EERKSM_lbbbEUlllE0_EEPmJS6_EEE10hipError_tPvRmT3_T4_T5_T6_T7_T9_mT8_P12ihipStream_tbDpT10_ENKUlT_T0_E_clISt17integral_constantIbLb1EES1B_IbLb0EEEEDaS17_S18_EUlS17_E_NS1_11comp_targetILNS1_3genE2ELNS1_11target_archE906ELNS1_3gpuE6ELNS1_3repE0EEENS1_30default_config_static_selectorELNS0_4arch9wavefront6targetE0EEEvT1_
                                        ; -- End function
	.set _ZN7rocprim17ROCPRIM_400000_NS6detail17trampoline_kernelINS0_14default_configENS1_25partition_config_selectorILNS1_17partition_subalgoE8ElNS0_10empty_typeEbEEZZNS1_14partition_implILS5_8ELb0ES3_jPlPS6_PKS6_NS0_5tupleIJS9_S6_EEENSD_IJSA_SA_EEENS0_18inequality_wrapperIZN2at6native12_GLOBAL__N_124unique_dim_cuda_templateImEESt5tupleIJNSH_6TensorESM_SM_EERKSM_lbbbEUlllE0_EEPmJS6_EEE10hipError_tPvRmT3_T4_T5_T6_T7_T9_mT8_P12ihipStream_tbDpT10_ENKUlT_T0_E_clISt17integral_constantIbLb1EES1B_IbLb0EEEEDaS17_S18_EUlS17_E_NS1_11comp_targetILNS1_3genE2ELNS1_11target_archE906ELNS1_3gpuE6ELNS1_3repE0EEENS1_30default_config_static_selectorELNS0_4arch9wavefront6targetE0EEEvT1_.num_vgpr, 0
	.set _ZN7rocprim17ROCPRIM_400000_NS6detail17trampoline_kernelINS0_14default_configENS1_25partition_config_selectorILNS1_17partition_subalgoE8ElNS0_10empty_typeEbEEZZNS1_14partition_implILS5_8ELb0ES3_jPlPS6_PKS6_NS0_5tupleIJS9_S6_EEENSD_IJSA_SA_EEENS0_18inequality_wrapperIZN2at6native12_GLOBAL__N_124unique_dim_cuda_templateImEESt5tupleIJNSH_6TensorESM_SM_EERKSM_lbbbEUlllE0_EEPmJS6_EEE10hipError_tPvRmT3_T4_T5_T6_T7_T9_mT8_P12ihipStream_tbDpT10_ENKUlT_T0_E_clISt17integral_constantIbLb1EES1B_IbLb0EEEEDaS17_S18_EUlS17_E_NS1_11comp_targetILNS1_3genE2ELNS1_11target_archE906ELNS1_3gpuE6ELNS1_3repE0EEENS1_30default_config_static_selectorELNS0_4arch9wavefront6targetE0EEEvT1_.num_agpr, 0
	.set _ZN7rocprim17ROCPRIM_400000_NS6detail17trampoline_kernelINS0_14default_configENS1_25partition_config_selectorILNS1_17partition_subalgoE8ElNS0_10empty_typeEbEEZZNS1_14partition_implILS5_8ELb0ES3_jPlPS6_PKS6_NS0_5tupleIJS9_S6_EEENSD_IJSA_SA_EEENS0_18inequality_wrapperIZN2at6native12_GLOBAL__N_124unique_dim_cuda_templateImEESt5tupleIJNSH_6TensorESM_SM_EERKSM_lbbbEUlllE0_EEPmJS6_EEE10hipError_tPvRmT3_T4_T5_T6_T7_T9_mT8_P12ihipStream_tbDpT10_ENKUlT_T0_E_clISt17integral_constantIbLb1EES1B_IbLb0EEEEDaS17_S18_EUlS17_E_NS1_11comp_targetILNS1_3genE2ELNS1_11target_archE906ELNS1_3gpuE6ELNS1_3repE0EEENS1_30default_config_static_selectorELNS0_4arch9wavefront6targetE0EEEvT1_.numbered_sgpr, 0
	.set _ZN7rocprim17ROCPRIM_400000_NS6detail17trampoline_kernelINS0_14default_configENS1_25partition_config_selectorILNS1_17partition_subalgoE8ElNS0_10empty_typeEbEEZZNS1_14partition_implILS5_8ELb0ES3_jPlPS6_PKS6_NS0_5tupleIJS9_S6_EEENSD_IJSA_SA_EEENS0_18inequality_wrapperIZN2at6native12_GLOBAL__N_124unique_dim_cuda_templateImEESt5tupleIJNSH_6TensorESM_SM_EERKSM_lbbbEUlllE0_EEPmJS6_EEE10hipError_tPvRmT3_T4_T5_T6_T7_T9_mT8_P12ihipStream_tbDpT10_ENKUlT_T0_E_clISt17integral_constantIbLb1EES1B_IbLb0EEEEDaS17_S18_EUlS17_E_NS1_11comp_targetILNS1_3genE2ELNS1_11target_archE906ELNS1_3gpuE6ELNS1_3repE0EEENS1_30default_config_static_selectorELNS0_4arch9wavefront6targetE0EEEvT1_.num_named_barrier, 0
	.set _ZN7rocprim17ROCPRIM_400000_NS6detail17trampoline_kernelINS0_14default_configENS1_25partition_config_selectorILNS1_17partition_subalgoE8ElNS0_10empty_typeEbEEZZNS1_14partition_implILS5_8ELb0ES3_jPlPS6_PKS6_NS0_5tupleIJS9_S6_EEENSD_IJSA_SA_EEENS0_18inequality_wrapperIZN2at6native12_GLOBAL__N_124unique_dim_cuda_templateImEESt5tupleIJNSH_6TensorESM_SM_EERKSM_lbbbEUlllE0_EEPmJS6_EEE10hipError_tPvRmT3_T4_T5_T6_T7_T9_mT8_P12ihipStream_tbDpT10_ENKUlT_T0_E_clISt17integral_constantIbLb1EES1B_IbLb0EEEEDaS17_S18_EUlS17_E_NS1_11comp_targetILNS1_3genE2ELNS1_11target_archE906ELNS1_3gpuE6ELNS1_3repE0EEENS1_30default_config_static_selectorELNS0_4arch9wavefront6targetE0EEEvT1_.private_seg_size, 0
	.set _ZN7rocprim17ROCPRIM_400000_NS6detail17trampoline_kernelINS0_14default_configENS1_25partition_config_selectorILNS1_17partition_subalgoE8ElNS0_10empty_typeEbEEZZNS1_14partition_implILS5_8ELb0ES3_jPlPS6_PKS6_NS0_5tupleIJS9_S6_EEENSD_IJSA_SA_EEENS0_18inequality_wrapperIZN2at6native12_GLOBAL__N_124unique_dim_cuda_templateImEESt5tupleIJNSH_6TensorESM_SM_EERKSM_lbbbEUlllE0_EEPmJS6_EEE10hipError_tPvRmT3_T4_T5_T6_T7_T9_mT8_P12ihipStream_tbDpT10_ENKUlT_T0_E_clISt17integral_constantIbLb1EES1B_IbLb0EEEEDaS17_S18_EUlS17_E_NS1_11comp_targetILNS1_3genE2ELNS1_11target_archE906ELNS1_3gpuE6ELNS1_3repE0EEENS1_30default_config_static_selectorELNS0_4arch9wavefront6targetE0EEEvT1_.uses_vcc, 0
	.set _ZN7rocprim17ROCPRIM_400000_NS6detail17trampoline_kernelINS0_14default_configENS1_25partition_config_selectorILNS1_17partition_subalgoE8ElNS0_10empty_typeEbEEZZNS1_14partition_implILS5_8ELb0ES3_jPlPS6_PKS6_NS0_5tupleIJS9_S6_EEENSD_IJSA_SA_EEENS0_18inequality_wrapperIZN2at6native12_GLOBAL__N_124unique_dim_cuda_templateImEESt5tupleIJNSH_6TensorESM_SM_EERKSM_lbbbEUlllE0_EEPmJS6_EEE10hipError_tPvRmT3_T4_T5_T6_T7_T9_mT8_P12ihipStream_tbDpT10_ENKUlT_T0_E_clISt17integral_constantIbLb1EES1B_IbLb0EEEEDaS17_S18_EUlS17_E_NS1_11comp_targetILNS1_3genE2ELNS1_11target_archE906ELNS1_3gpuE6ELNS1_3repE0EEENS1_30default_config_static_selectorELNS0_4arch9wavefront6targetE0EEEvT1_.uses_flat_scratch, 0
	.set _ZN7rocprim17ROCPRIM_400000_NS6detail17trampoline_kernelINS0_14default_configENS1_25partition_config_selectorILNS1_17partition_subalgoE8ElNS0_10empty_typeEbEEZZNS1_14partition_implILS5_8ELb0ES3_jPlPS6_PKS6_NS0_5tupleIJS9_S6_EEENSD_IJSA_SA_EEENS0_18inequality_wrapperIZN2at6native12_GLOBAL__N_124unique_dim_cuda_templateImEESt5tupleIJNSH_6TensorESM_SM_EERKSM_lbbbEUlllE0_EEPmJS6_EEE10hipError_tPvRmT3_T4_T5_T6_T7_T9_mT8_P12ihipStream_tbDpT10_ENKUlT_T0_E_clISt17integral_constantIbLb1EES1B_IbLb0EEEEDaS17_S18_EUlS17_E_NS1_11comp_targetILNS1_3genE2ELNS1_11target_archE906ELNS1_3gpuE6ELNS1_3repE0EEENS1_30default_config_static_selectorELNS0_4arch9wavefront6targetE0EEEvT1_.has_dyn_sized_stack, 0
	.set _ZN7rocprim17ROCPRIM_400000_NS6detail17trampoline_kernelINS0_14default_configENS1_25partition_config_selectorILNS1_17partition_subalgoE8ElNS0_10empty_typeEbEEZZNS1_14partition_implILS5_8ELb0ES3_jPlPS6_PKS6_NS0_5tupleIJS9_S6_EEENSD_IJSA_SA_EEENS0_18inequality_wrapperIZN2at6native12_GLOBAL__N_124unique_dim_cuda_templateImEESt5tupleIJNSH_6TensorESM_SM_EERKSM_lbbbEUlllE0_EEPmJS6_EEE10hipError_tPvRmT3_T4_T5_T6_T7_T9_mT8_P12ihipStream_tbDpT10_ENKUlT_T0_E_clISt17integral_constantIbLb1EES1B_IbLb0EEEEDaS17_S18_EUlS17_E_NS1_11comp_targetILNS1_3genE2ELNS1_11target_archE906ELNS1_3gpuE6ELNS1_3repE0EEENS1_30default_config_static_selectorELNS0_4arch9wavefront6targetE0EEEvT1_.has_recursion, 0
	.set _ZN7rocprim17ROCPRIM_400000_NS6detail17trampoline_kernelINS0_14default_configENS1_25partition_config_selectorILNS1_17partition_subalgoE8ElNS0_10empty_typeEbEEZZNS1_14partition_implILS5_8ELb0ES3_jPlPS6_PKS6_NS0_5tupleIJS9_S6_EEENSD_IJSA_SA_EEENS0_18inequality_wrapperIZN2at6native12_GLOBAL__N_124unique_dim_cuda_templateImEESt5tupleIJNSH_6TensorESM_SM_EERKSM_lbbbEUlllE0_EEPmJS6_EEE10hipError_tPvRmT3_T4_T5_T6_T7_T9_mT8_P12ihipStream_tbDpT10_ENKUlT_T0_E_clISt17integral_constantIbLb1EES1B_IbLb0EEEEDaS17_S18_EUlS17_E_NS1_11comp_targetILNS1_3genE2ELNS1_11target_archE906ELNS1_3gpuE6ELNS1_3repE0EEENS1_30default_config_static_selectorELNS0_4arch9wavefront6targetE0EEEvT1_.has_indirect_call, 0
	.section	.AMDGPU.csdata,"",@progbits
; Kernel info:
; codeLenInByte = 0
; TotalNumSgprs: 0
; NumVgprs: 0
; ScratchSize: 0
; MemoryBound: 0
; FloatMode: 240
; IeeeMode: 1
; LDSByteSize: 0 bytes/workgroup (compile time only)
; SGPRBlocks: 0
; VGPRBlocks: 0
; NumSGPRsForWavesPerEU: 1
; NumVGPRsForWavesPerEU: 1
; NamedBarCnt: 0
; Occupancy: 16
; WaveLimiterHint : 0
; COMPUTE_PGM_RSRC2:SCRATCH_EN: 0
; COMPUTE_PGM_RSRC2:USER_SGPR: 2
; COMPUTE_PGM_RSRC2:TRAP_HANDLER: 0
; COMPUTE_PGM_RSRC2:TGID_X_EN: 1
; COMPUTE_PGM_RSRC2:TGID_Y_EN: 0
; COMPUTE_PGM_RSRC2:TGID_Z_EN: 0
; COMPUTE_PGM_RSRC2:TIDIG_COMP_CNT: 0
	.section	.text._ZN7rocprim17ROCPRIM_400000_NS6detail17trampoline_kernelINS0_14default_configENS1_25partition_config_selectorILNS1_17partition_subalgoE8ElNS0_10empty_typeEbEEZZNS1_14partition_implILS5_8ELb0ES3_jPlPS6_PKS6_NS0_5tupleIJS9_S6_EEENSD_IJSA_SA_EEENS0_18inequality_wrapperIZN2at6native12_GLOBAL__N_124unique_dim_cuda_templateImEESt5tupleIJNSH_6TensorESM_SM_EERKSM_lbbbEUlllE0_EEPmJS6_EEE10hipError_tPvRmT3_T4_T5_T6_T7_T9_mT8_P12ihipStream_tbDpT10_ENKUlT_T0_E_clISt17integral_constantIbLb1EES1B_IbLb0EEEEDaS17_S18_EUlS17_E_NS1_11comp_targetILNS1_3genE10ELNS1_11target_archE1200ELNS1_3gpuE4ELNS1_3repE0EEENS1_30default_config_static_selectorELNS0_4arch9wavefront6targetE0EEEvT1_,"axG",@progbits,_ZN7rocprim17ROCPRIM_400000_NS6detail17trampoline_kernelINS0_14default_configENS1_25partition_config_selectorILNS1_17partition_subalgoE8ElNS0_10empty_typeEbEEZZNS1_14partition_implILS5_8ELb0ES3_jPlPS6_PKS6_NS0_5tupleIJS9_S6_EEENSD_IJSA_SA_EEENS0_18inequality_wrapperIZN2at6native12_GLOBAL__N_124unique_dim_cuda_templateImEESt5tupleIJNSH_6TensorESM_SM_EERKSM_lbbbEUlllE0_EEPmJS6_EEE10hipError_tPvRmT3_T4_T5_T6_T7_T9_mT8_P12ihipStream_tbDpT10_ENKUlT_T0_E_clISt17integral_constantIbLb1EES1B_IbLb0EEEEDaS17_S18_EUlS17_E_NS1_11comp_targetILNS1_3genE10ELNS1_11target_archE1200ELNS1_3gpuE4ELNS1_3repE0EEENS1_30default_config_static_selectorELNS0_4arch9wavefront6targetE0EEEvT1_,comdat
	.globl	_ZN7rocprim17ROCPRIM_400000_NS6detail17trampoline_kernelINS0_14default_configENS1_25partition_config_selectorILNS1_17partition_subalgoE8ElNS0_10empty_typeEbEEZZNS1_14partition_implILS5_8ELb0ES3_jPlPS6_PKS6_NS0_5tupleIJS9_S6_EEENSD_IJSA_SA_EEENS0_18inequality_wrapperIZN2at6native12_GLOBAL__N_124unique_dim_cuda_templateImEESt5tupleIJNSH_6TensorESM_SM_EERKSM_lbbbEUlllE0_EEPmJS6_EEE10hipError_tPvRmT3_T4_T5_T6_T7_T9_mT8_P12ihipStream_tbDpT10_ENKUlT_T0_E_clISt17integral_constantIbLb1EES1B_IbLb0EEEEDaS17_S18_EUlS17_E_NS1_11comp_targetILNS1_3genE10ELNS1_11target_archE1200ELNS1_3gpuE4ELNS1_3repE0EEENS1_30default_config_static_selectorELNS0_4arch9wavefront6targetE0EEEvT1_ ; -- Begin function _ZN7rocprim17ROCPRIM_400000_NS6detail17trampoline_kernelINS0_14default_configENS1_25partition_config_selectorILNS1_17partition_subalgoE8ElNS0_10empty_typeEbEEZZNS1_14partition_implILS5_8ELb0ES3_jPlPS6_PKS6_NS0_5tupleIJS9_S6_EEENSD_IJSA_SA_EEENS0_18inequality_wrapperIZN2at6native12_GLOBAL__N_124unique_dim_cuda_templateImEESt5tupleIJNSH_6TensorESM_SM_EERKSM_lbbbEUlllE0_EEPmJS6_EEE10hipError_tPvRmT3_T4_T5_T6_T7_T9_mT8_P12ihipStream_tbDpT10_ENKUlT_T0_E_clISt17integral_constantIbLb1EES1B_IbLb0EEEEDaS17_S18_EUlS17_E_NS1_11comp_targetILNS1_3genE10ELNS1_11target_archE1200ELNS1_3gpuE4ELNS1_3repE0EEENS1_30default_config_static_selectorELNS0_4arch9wavefront6targetE0EEEvT1_
	.p2align	8
	.type	_ZN7rocprim17ROCPRIM_400000_NS6detail17trampoline_kernelINS0_14default_configENS1_25partition_config_selectorILNS1_17partition_subalgoE8ElNS0_10empty_typeEbEEZZNS1_14partition_implILS5_8ELb0ES3_jPlPS6_PKS6_NS0_5tupleIJS9_S6_EEENSD_IJSA_SA_EEENS0_18inequality_wrapperIZN2at6native12_GLOBAL__N_124unique_dim_cuda_templateImEESt5tupleIJNSH_6TensorESM_SM_EERKSM_lbbbEUlllE0_EEPmJS6_EEE10hipError_tPvRmT3_T4_T5_T6_T7_T9_mT8_P12ihipStream_tbDpT10_ENKUlT_T0_E_clISt17integral_constantIbLb1EES1B_IbLb0EEEEDaS17_S18_EUlS17_E_NS1_11comp_targetILNS1_3genE10ELNS1_11target_archE1200ELNS1_3gpuE4ELNS1_3repE0EEENS1_30default_config_static_selectorELNS0_4arch9wavefront6targetE0EEEvT1_,@function
_ZN7rocprim17ROCPRIM_400000_NS6detail17trampoline_kernelINS0_14default_configENS1_25partition_config_selectorILNS1_17partition_subalgoE8ElNS0_10empty_typeEbEEZZNS1_14partition_implILS5_8ELb0ES3_jPlPS6_PKS6_NS0_5tupleIJS9_S6_EEENSD_IJSA_SA_EEENS0_18inequality_wrapperIZN2at6native12_GLOBAL__N_124unique_dim_cuda_templateImEESt5tupleIJNSH_6TensorESM_SM_EERKSM_lbbbEUlllE0_EEPmJS6_EEE10hipError_tPvRmT3_T4_T5_T6_T7_T9_mT8_P12ihipStream_tbDpT10_ENKUlT_T0_E_clISt17integral_constantIbLb1EES1B_IbLb0EEEEDaS17_S18_EUlS17_E_NS1_11comp_targetILNS1_3genE10ELNS1_11target_archE1200ELNS1_3gpuE4ELNS1_3repE0EEENS1_30default_config_static_selectorELNS0_4arch9wavefront6targetE0EEEvT1_: ; @_ZN7rocprim17ROCPRIM_400000_NS6detail17trampoline_kernelINS0_14default_configENS1_25partition_config_selectorILNS1_17partition_subalgoE8ElNS0_10empty_typeEbEEZZNS1_14partition_implILS5_8ELb0ES3_jPlPS6_PKS6_NS0_5tupleIJS9_S6_EEENSD_IJSA_SA_EEENS0_18inequality_wrapperIZN2at6native12_GLOBAL__N_124unique_dim_cuda_templateImEESt5tupleIJNSH_6TensorESM_SM_EERKSM_lbbbEUlllE0_EEPmJS6_EEE10hipError_tPvRmT3_T4_T5_T6_T7_T9_mT8_P12ihipStream_tbDpT10_ENKUlT_T0_E_clISt17integral_constantIbLb1EES1B_IbLb0EEEEDaS17_S18_EUlS17_E_NS1_11comp_targetILNS1_3genE10ELNS1_11target_archE1200ELNS1_3gpuE4ELNS1_3repE0EEENS1_30default_config_static_selectorELNS0_4arch9wavefront6targetE0EEEvT1_
; %bb.0:
	.section	.rodata,"a",@progbits
	.p2align	6, 0x0
	.amdhsa_kernel _ZN7rocprim17ROCPRIM_400000_NS6detail17trampoline_kernelINS0_14default_configENS1_25partition_config_selectorILNS1_17partition_subalgoE8ElNS0_10empty_typeEbEEZZNS1_14partition_implILS5_8ELb0ES3_jPlPS6_PKS6_NS0_5tupleIJS9_S6_EEENSD_IJSA_SA_EEENS0_18inequality_wrapperIZN2at6native12_GLOBAL__N_124unique_dim_cuda_templateImEESt5tupleIJNSH_6TensorESM_SM_EERKSM_lbbbEUlllE0_EEPmJS6_EEE10hipError_tPvRmT3_T4_T5_T6_T7_T9_mT8_P12ihipStream_tbDpT10_ENKUlT_T0_E_clISt17integral_constantIbLb1EES1B_IbLb0EEEEDaS17_S18_EUlS17_E_NS1_11comp_targetILNS1_3genE10ELNS1_11target_archE1200ELNS1_3gpuE4ELNS1_3repE0EEENS1_30default_config_static_selectorELNS0_4arch9wavefront6targetE0EEEvT1_
		.amdhsa_group_segment_fixed_size 0
		.amdhsa_private_segment_fixed_size 0
		.amdhsa_kernarg_size 120
		.amdhsa_user_sgpr_count 2
		.amdhsa_user_sgpr_dispatch_ptr 0
		.amdhsa_user_sgpr_queue_ptr 0
		.amdhsa_user_sgpr_kernarg_segment_ptr 1
		.amdhsa_user_sgpr_dispatch_id 0
		.amdhsa_user_sgpr_kernarg_preload_length 0
		.amdhsa_user_sgpr_kernarg_preload_offset 0
		.amdhsa_user_sgpr_private_segment_size 0
		.amdhsa_wavefront_size32 1
		.amdhsa_uses_dynamic_stack 0
		.amdhsa_enable_private_segment 0
		.amdhsa_system_sgpr_workgroup_id_x 1
		.amdhsa_system_sgpr_workgroup_id_y 0
		.amdhsa_system_sgpr_workgroup_id_z 0
		.amdhsa_system_sgpr_workgroup_info 0
		.amdhsa_system_vgpr_workitem_id 0
		.amdhsa_next_free_vgpr 1
		.amdhsa_next_free_sgpr 1
		.amdhsa_named_barrier_count 0
		.amdhsa_reserve_vcc 0
		.amdhsa_float_round_mode_32 0
		.amdhsa_float_round_mode_16_64 0
		.amdhsa_float_denorm_mode_32 3
		.amdhsa_float_denorm_mode_16_64 3
		.amdhsa_fp16_overflow 0
		.amdhsa_memory_ordered 1
		.amdhsa_forward_progress 1
		.amdhsa_inst_pref_size 0
		.amdhsa_round_robin_scheduling 0
		.amdhsa_exception_fp_ieee_invalid_op 0
		.amdhsa_exception_fp_denorm_src 0
		.amdhsa_exception_fp_ieee_div_zero 0
		.amdhsa_exception_fp_ieee_overflow 0
		.amdhsa_exception_fp_ieee_underflow 0
		.amdhsa_exception_fp_ieee_inexact 0
		.amdhsa_exception_int_div_zero 0
	.end_amdhsa_kernel
	.section	.text._ZN7rocprim17ROCPRIM_400000_NS6detail17trampoline_kernelINS0_14default_configENS1_25partition_config_selectorILNS1_17partition_subalgoE8ElNS0_10empty_typeEbEEZZNS1_14partition_implILS5_8ELb0ES3_jPlPS6_PKS6_NS0_5tupleIJS9_S6_EEENSD_IJSA_SA_EEENS0_18inequality_wrapperIZN2at6native12_GLOBAL__N_124unique_dim_cuda_templateImEESt5tupleIJNSH_6TensorESM_SM_EERKSM_lbbbEUlllE0_EEPmJS6_EEE10hipError_tPvRmT3_T4_T5_T6_T7_T9_mT8_P12ihipStream_tbDpT10_ENKUlT_T0_E_clISt17integral_constantIbLb1EES1B_IbLb0EEEEDaS17_S18_EUlS17_E_NS1_11comp_targetILNS1_3genE10ELNS1_11target_archE1200ELNS1_3gpuE4ELNS1_3repE0EEENS1_30default_config_static_selectorELNS0_4arch9wavefront6targetE0EEEvT1_,"axG",@progbits,_ZN7rocprim17ROCPRIM_400000_NS6detail17trampoline_kernelINS0_14default_configENS1_25partition_config_selectorILNS1_17partition_subalgoE8ElNS0_10empty_typeEbEEZZNS1_14partition_implILS5_8ELb0ES3_jPlPS6_PKS6_NS0_5tupleIJS9_S6_EEENSD_IJSA_SA_EEENS0_18inequality_wrapperIZN2at6native12_GLOBAL__N_124unique_dim_cuda_templateImEESt5tupleIJNSH_6TensorESM_SM_EERKSM_lbbbEUlllE0_EEPmJS6_EEE10hipError_tPvRmT3_T4_T5_T6_T7_T9_mT8_P12ihipStream_tbDpT10_ENKUlT_T0_E_clISt17integral_constantIbLb1EES1B_IbLb0EEEEDaS17_S18_EUlS17_E_NS1_11comp_targetILNS1_3genE10ELNS1_11target_archE1200ELNS1_3gpuE4ELNS1_3repE0EEENS1_30default_config_static_selectorELNS0_4arch9wavefront6targetE0EEEvT1_,comdat
.Lfunc_end1684:
	.size	_ZN7rocprim17ROCPRIM_400000_NS6detail17trampoline_kernelINS0_14default_configENS1_25partition_config_selectorILNS1_17partition_subalgoE8ElNS0_10empty_typeEbEEZZNS1_14partition_implILS5_8ELb0ES3_jPlPS6_PKS6_NS0_5tupleIJS9_S6_EEENSD_IJSA_SA_EEENS0_18inequality_wrapperIZN2at6native12_GLOBAL__N_124unique_dim_cuda_templateImEESt5tupleIJNSH_6TensorESM_SM_EERKSM_lbbbEUlllE0_EEPmJS6_EEE10hipError_tPvRmT3_T4_T5_T6_T7_T9_mT8_P12ihipStream_tbDpT10_ENKUlT_T0_E_clISt17integral_constantIbLb1EES1B_IbLb0EEEEDaS17_S18_EUlS17_E_NS1_11comp_targetILNS1_3genE10ELNS1_11target_archE1200ELNS1_3gpuE4ELNS1_3repE0EEENS1_30default_config_static_selectorELNS0_4arch9wavefront6targetE0EEEvT1_, .Lfunc_end1684-_ZN7rocprim17ROCPRIM_400000_NS6detail17trampoline_kernelINS0_14default_configENS1_25partition_config_selectorILNS1_17partition_subalgoE8ElNS0_10empty_typeEbEEZZNS1_14partition_implILS5_8ELb0ES3_jPlPS6_PKS6_NS0_5tupleIJS9_S6_EEENSD_IJSA_SA_EEENS0_18inequality_wrapperIZN2at6native12_GLOBAL__N_124unique_dim_cuda_templateImEESt5tupleIJNSH_6TensorESM_SM_EERKSM_lbbbEUlllE0_EEPmJS6_EEE10hipError_tPvRmT3_T4_T5_T6_T7_T9_mT8_P12ihipStream_tbDpT10_ENKUlT_T0_E_clISt17integral_constantIbLb1EES1B_IbLb0EEEEDaS17_S18_EUlS17_E_NS1_11comp_targetILNS1_3genE10ELNS1_11target_archE1200ELNS1_3gpuE4ELNS1_3repE0EEENS1_30default_config_static_selectorELNS0_4arch9wavefront6targetE0EEEvT1_
                                        ; -- End function
	.set _ZN7rocprim17ROCPRIM_400000_NS6detail17trampoline_kernelINS0_14default_configENS1_25partition_config_selectorILNS1_17partition_subalgoE8ElNS0_10empty_typeEbEEZZNS1_14partition_implILS5_8ELb0ES3_jPlPS6_PKS6_NS0_5tupleIJS9_S6_EEENSD_IJSA_SA_EEENS0_18inequality_wrapperIZN2at6native12_GLOBAL__N_124unique_dim_cuda_templateImEESt5tupleIJNSH_6TensorESM_SM_EERKSM_lbbbEUlllE0_EEPmJS6_EEE10hipError_tPvRmT3_T4_T5_T6_T7_T9_mT8_P12ihipStream_tbDpT10_ENKUlT_T0_E_clISt17integral_constantIbLb1EES1B_IbLb0EEEEDaS17_S18_EUlS17_E_NS1_11comp_targetILNS1_3genE10ELNS1_11target_archE1200ELNS1_3gpuE4ELNS1_3repE0EEENS1_30default_config_static_selectorELNS0_4arch9wavefront6targetE0EEEvT1_.num_vgpr, 0
	.set _ZN7rocprim17ROCPRIM_400000_NS6detail17trampoline_kernelINS0_14default_configENS1_25partition_config_selectorILNS1_17partition_subalgoE8ElNS0_10empty_typeEbEEZZNS1_14partition_implILS5_8ELb0ES3_jPlPS6_PKS6_NS0_5tupleIJS9_S6_EEENSD_IJSA_SA_EEENS0_18inequality_wrapperIZN2at6native12_GLOBAL__N_124unique_dim_cuda_templateImEESt5tupleIJNSH_6TensorESM_SM_EERKSM_lbbbEUlllE0_EEPmJS6_EEE10hipError_tPvRmT3_T4_T5_T6_T7_T9_mT8_P12ihipStream_tbDpT10_ENKUlT_T0_E_clISt17integral_constantIbLb1EES1B_IbLb0EEEEDaS17_S18_EUlS17_E_NS1_11comp_targetILNS1_3genE10ELNS1_11target_archE1200ELNS1_3gpuE4ELNS1_3repE0EEENS1_30default_config_static_selectorELNS0_4arch9wavefront6targetE0EEEvT1_.num_agpr, 0
	.set _ZN7rocprim17ROCPRIM_400000_NS6detail17trampoline_kernelINS0_14default_configENS1_25partition_config_selectorILNS1_17partition_subalgoE8ElNS0_10empty_typeEbEEZZNS1_14partition_implILS5_8ELb0ES3_jPlPS6_PKS6_NS0_5tupleIJS9_S6_EEENSD_IJSA_SA_EEENS0_18inequality_wrapperIZN2at6native12_GLOBAL__N_124unique_dim_cuda_templateImEESt5tupleIJNSH_6TensorESM_SM_EERKSM_lbbbEUlllE0_EEPmJS6_EEE10hipError_tPvRmT3_T4_T5_T6_T7_T9_mT8_P12ihipStream_tbDpT10_ENKUlT_T0_E_clISt17integral_constantIbLb1EES1B_IbLb0EEEEDaS17_S18_EUlS17_E_NS1_11comp_targetILNS1_3genE10ELNS1_11target_archE1200ELNS1_3gpuE4ELNS1_3repE0EEENS1_30default_config_static_selectorELNS0_4arch9wavefront6targetE0EEEvT1_.numbered_sgpr, 0
	.set _ZN7rocprim17ROCPRIM_400000_NS6detail17trampoline_kernelINS0_14default_configENS1_25partition_config_selectorILNS1_17partition_subalgoE8ElNS0_10empty_typeEbEEZZNS1_14partition_implILS5_8ELb0ES3_jPlPS6_PKS6_NS0_5tupleIJS9_S6_EEENSD_IJSA_SA_EEENS0_18inequality_wrapperIZN2at6native12_GLOBAL__N_124unique_dim_cuda_templateImEESt5tupleIJNSH_6TensorESM_SM_EERKSM_lbbbEUlllE0_EEPmJS6_EEE10hipError_tPvRmT3_T4_T5_T6_T7_T9_mT8_P12ihipStream_tbDpT10_ENKUlT_T0_E_clISt17integral_constantIbLb1EES1B_IbLb0EEEEDaS17_S18_EUlS17_E_NS1_11comp_targetILNS1_3genE10ELNS1_11target_archE1200ELNS1_3gpuE4ELNS1_3repE0EEENS1_30default_config_static_selectorELNS0_4arch9wavefront6targetE0EEEvT1_.num_named_barrier, 0
	.set _ZN7rocprim17ROCPRIM_400000_NS6detail17trampoline_kernelINS0_14default_configENS1_25partition_config_selectorILNS1_17partition_subalgoE8ElNS0_10empty_typeEbEEZZNS1_14partition_implILS5_8ELb0ES3_jPlPS6_PKS6_NS0_5tupleIJS9_S6_EEENSD_IJSA_SA_EEENS0_18inequality_wrapperIZN2at6native12_GLOBAL__N_124unique_dim_cuda_templateImEESt5tupleIJNSH_6TensorESM_SM_EERKSM_lbbbEUlllE0_EEPmJS6_EEE10hipError_tPvRmT3_T4_T5_T6_T7_T9_mT8_P12ihipStream_tbDpT10_ENKUlT_T0_E_clISt17integral_constantIbLb1EES1B_IbLb0EEEEDaS17_S18_EUlS17_E_NS1_11comp_targetILNS1_3genE10ELNS1_11target_archE1200ELNS1_3gpuE4ELNS1_3repE0EEENS1_30default_config_static_selectorELNS0_4arch9wavefront6targetE0EEEvT1_.private_seg_size, 0
	.set _ZN7rocprim17ROCPRIM_400000_NS6detail17trampoline_kernelINS0_14default_configENS1_25partition_config_selectorILNS1_17partition_subalgoE8ElNS0_10empty_typeEbEEZZNS1_14partition_implILS5_8ELb0ES3_jPlPS6_PKS6_NS0_5tupleIJS9_S6_EEENSD_IJSA_SA_EEENS0_18inequality_wrapperIZN2at6native12_GLOBAL__N_124unique_dim_cuda_templateImEESt5tupleIJNSH_6TensorESM_SM_EERKSM_lbbbEUlllE0_EEPmJS6_EEE10hipError_tPvRmT3_T4_T5_T6_T7_T9_mT8_P12ihipStream_tbDpT10_ENKUlT_T0_E_clISt17integral_constantIbLb1EES1B_IbLb0EEEEDaS17_S18_EUlS17_E_NS1_11comp_targetILNS1_3genE10ELNS1_11target_archE1200ELNS1_3gpuE4ELNS1_3repE0EEENS1_30default_config_static_selectorELNS0_4arch9wavefront6targetE0EEEvT1_.uses_vcc, 0
	.set _ZN7rocprim17ROCPRIM_400000_NS6detail17trampoline_kernelINS0_14default_configENS1_25partition_config_selectorILNS1_17partition_subalgoE8ElNS0_10empty_typeEbEEZZNS1_14partition_implILS5_8ELb0ES3_jPlPS6_PKS6_NS0_5tupleIJS9_S6_EEENSD_IJSA_SA_EEENS0_18inequality_wrapperIZN2at6native12_GLOBAL__N_124unique_dim_cuda_templateImEESt5tupleIJNSH_6TensorESM_SM_EERKSM_lbbbEUlllE0_EEPmJS6_EEE10hipError_tPvRmT3_T4_T5_T6_T7_T9_mT8_P12ihipStream_tbDpT10_ENKUlT_T0_E_clISt17integral_constantIbLb1EES1B_IbLb0EEEEDaS17_S18_EUlS17_E_NS1_11comp_targetILNS1_3genE10ELNS1_11target_archE1200ELNS1_3gpuE4ELNS1_3repE0EEENS1_30default_config_static_selectorELNS0_4arch9wavefront6targetE0EEEvT1_.uses_flat_scratch, 0
	.set _ZN7rocprim17ROCPRIM_400000_NS6detail17trampoline_kernelINS0_14default_configENS1_25partition_config_selectorILNS1_17partition_subalgoE8ElNS0_10empty_typeEbEEZZNS1_14partition_implILS5_8ELb0ES3_jPlPS6_PKS6_NS0_5tupleIJS9_S6_EEENSD_IJSA_SA_EEENS0_18inequality_wrapperIZN2at6native12_GLOBAL__N_124unique_dim_cuda_templateImEESt5tupleIJNSH_6TensorESM_SM_EERKSM_lbbbEUlllE0_EEPmJS6_EEE10hipError_tPvRmT3_T4_T5_T6_T7_T9_mT8_P12ihipStream_tbDpT10_ENKUlT_T0_E_clISt17integral_constantIbLb1EES1B_IbLb0EEEEDaS17_S18_EUlS17_E_NS1_11comp_targetILNS1_3genE10ELNS1_11target_archE1200ELNS1_3gpuE4ELNS1_3repE0EEENS1_30default_config_static_selectorELNS0_4arch9wavefront6targetE0EEEvT1_.has_dyn_sized_stack, 0
	.set _ZN7rocprim17ROCPRIM_400000_NS6detail17trampoline_kernelINS0_14default_configENS1_25partition_config_selectorILNS1_17partition_subalgoE8ElNS0_10empty_typeEbEEZZNS1_14partition_implILS5_8ELb0ES3_jPlPS6_PKS6_NS0_5tupleIJS9_S6_EEENSD_IJSA_SA_EEENS0_18inequality_wrapperIZN2at6native12_GLOBAL__N_124unique_dim_cuda_templateImEESt5tupleIJNSH_6TensorESM_SM_EERKSM_lbbbEUlllE0_EEPmJS6_EEE10hipError_tPvRmT3_T4_T5_T6_T7_T9_mT8_P12ihipStream_tbDpT10_ENKUlT_T0_E_clISt17integral_constantIbLb1EES1B_IbLb0EEEEDaS17_S18_EUlS17_E_NS1_11comp_targetILNS1_3genE10ELNS1_11target_archE1200ELNS1_3gpuE4ELNS1_3repE0EEENS1_30default_config_static_selectorELNS0_4arch9wavefront6targetE0EEEvT1_.has_recursion, 0
	.set _ZN7rocprim17ROCPRIM_400000_NS6detail17trampoline_kernelINS0_14default_configENS1_25partition_config_selectorILNS1_17partition_subalgoE8ElNS0_10empty_typeEbEEZZNS1_14partition_implILS5_8ELb0ES3_jPlPS6_PKS6_NS0_5tupleIJS9_S6_EEENSD_IJSA_SA_EEENS0_18inequality_wrapperIZN2at6native12_GLOBAL__N_124unique_dim_cuda_templateImEESt5tupleIJNSH_6TensorESM_SM_EERKSM_lbbbEUlllE0_EEPmJS6_EEE10hipError_tPvRmT3_T4_T5_T6_T7_T9_mT8_P12ihipStream_tbDpT10_ENKUlT_T0_E_clISt17integral_constantIbLb1EES1B_IbLb0EEEEDaS17_S18_EUlS17_E_NS1_11comp_targetILNS1_3genE10ELNS1_11target_archE1200ELNS1_3gpuE4ELNS1_3repE0EEENS1_30default_config_static_selectorELNS0_4arch9wavefront6targetE0EEEvT1_.has_indirect_call, 0
	.section	.AMDGPU.csdata,"",@progbits
; Kernel info:
; codeLenInByte = 0
; TotalNumSgprs: 0
; NumVgprs: 0
; ScratchSize: 0
; MemoryBound: 0
; FloatMode: 240
; IeeeMode: 1
; LDSByteSize: 0 bytes/workgroup (compile time only)
; SGPRBlocks: 0
; VGPRBlocks: 0
; NumSGPRsForWavesPerEU: 1
; NumVGPRsForWavesPerEU: 1
; NamedBarCnt: 0
; Occupancy: 16
; WaveLimiterHint : 0
; COMPUTE_PGM_RSRC2:SCRATCH_EN: 0
; COMPUTE_PGM_RSRC2:USER_SGPR: 2
; COMPUTE_PGM_RSRC2:TRAP_HANDLER: 0
; COMPUTE_PGM_RSRC2:TGID_X_EN: 1
; COMPUTE_PGM_RSRC2:TGID_Y_EN: 0
; COMPUTE_PGM_RSRC2:TGID_Z_EN: 0
; COMPUTE_PGM_RSRC2:TIDIG_COMP_CNT: 0
	.section	.text._ZN7rocprim17ROCPRIM_400000_NS6detail17trampoline_kernelINS0_14default_configENS1_25partition_config_selectorILNS1_17partition_subalgoE8ElNS0_10empty_typeEbEEZZNS1_14partition_implILS5_8ELb0ES3_jPlPS6_PKS6_NS0_5tupleIJS9_S6_EEENSD_IJSA_SA_EEENS0_18inequality_wrapperIZN2at6native12_GLOBAL__N_124unique_dim_cuda_templateImEESt5tupleIJNSH_6TensorESM_SM_EERKSM_lbbbEUlllE0_EEPmJS6_EEE10hipError_tPvRmT3_T4_T5_T6_T7_T9_mT8_P12ihipStream_tbDpT10_ENKUlT_T0_E_clISt17integral_constantIbLb1EES1B_IbLb0EEEEDaS17_S18_EUlS17_E_NS1_11comp_targetILNS1_3genE9ELNS1_11target_archE1100ELNS1_3gpuE3ELNS1_3repE0EEENS1_30default_config_static_selectorELNS0_4arch9wavefront6targetE0EEEvT1_,"axG",@progbits,_ZN7rocprim17ROCPRIM_400000_NS6detail17trampoline_kernelINS0_14default_configENS1_25partition_config_selectorILNS1_17partition_subalgoE8ElNS0_10empty_typeEbEEZZNS1_14partition_implILS5_8ELb0ES3_jPlPS6_PKS6_NS0_5tupleIJS9_S6_EEENSD_IJSA_SA_EEENS0_18inequality_wrapperIZN2at6native12_GLOBAL__N_124unique_dim_cuda_templateImEESt5tupleIJNSH_6TensorESM_SM_EERKSM_lbbbEUlllE0_EEPmJS6_EEE10hipError_tPvRmT3_T4_T5_T6_T7_T9_mT8_P12ihipStream_tbDpT10_ENKUlT_T0_E_clISt17integral_constantIbLb1EES1B_IbLb0EEEEDaS17_S18_EUlS17_E_NS1_11comp_targetILNS1_3genE9ELNS1_11target_archE1100ELNS1_3gpuE3ELNS1_3repE0EEENS1_30default_config_static_selectorELNS0_4arch9wavefront6targetE0EEEvT1_,comdat
	.globl	_ZN7rocprim17ROCPRIM_400000_NS6detail17trampoline_kernelINS0_14default_configENS1_25partition_config_selectorILNS1_17partition_subalgoE8ElNS0_10empty_typeEbEEZZNS1_14partition_implILS5_8ELb0ES3_jPlPS6_PKS6_NS0_5tupleIJS9_S6_EEENSD_IJSA_SA_EEENS0_18inequality_wrapperIZN2at6native12_GLOBAL__N_124unique_dim_cuda_templateImEESt5tupleIJNSH_6TensorESM_SM_EERKSM_lbbbEUlllE0_EEPmJS6_EEE10hipError_tPvRmT3_T4_T5_T6_T7_T9_mT8_P12ihipStream_tbDpT10_ENKUlT_T0_E_clISt17integral_constantIbLb1EES1B_IbLb0EEEEDaS17_S18_EUlS17_E_NS1_11comp_targetILNS1_3genE9ELNS1_11target_archE1100ELNS1_3gpuE3ELNS1_3repE0EEENS1_30default_config_static_selectorELNS0_4arch9wavefront6targetE0EEEvT1_ ; -- Begin function _ZN7rocprim17ROCPRIM_400000_NS6detail17trampoline_kernelINS0_14default_configENS1_25partition_config_selectorILNS1_17partition_subalgoE8ElNS0_10empty_typeEbEEZZNS1_14partition_implILS5_8ELb0ES3_jPlPS6_PKS6_NS0_5tupleIJS9_S6_EEENSD_IJSA_SA_EEENS0_18inequality_wrapperIZN2at6native12_GLOBAL__N_124unique_dim_cuda_templateImEESt5tupleIJNSH_6TensorESM_SM_EERKSM_lbbbEUlllE0_EEPmJS6_EEE10hipError_tPvRmT3_T4_T5_T6_T7_T9_mT8_P12ihipStream_tbDpT10_ENKUlT_T0_E_clISt17integral_constantIbLb1EES1B_IbLb0EEEEDaS17_S18_EUlS17_E_NS1_11comp_targetILNS1_3genE9ELNS1_11target_archE1100ELNS1_3gpuE3ELNS1_3repE0EEENS1_30default_config_static_selectorELNS0_4arch9wavefront6targetE0EEEvT1_
	.p2align	8
	.type	_ZN7rocprim17ROCPRIM_400000_NS6detail17trampoline_kernelINS0_14default_configENS1_25partition_config_selectorILNS1_17partition_subalgoE8ElNS0_10empty_typeEbEEZZNS1_14partition_implILS5_8ELb0ES3_jPlPS6_PKS6_NS0_5tupleIJS9_S6_EEENSD_IJSA_SA_EEENS0_18inequality_wrapperIZN2at6native12_GLOBAL__N_124unique_dim_cuda_templateImEESt5tupleIJNSH_6TensorESM_SM_EERKSM_lbbbEUlllE0_EEPmJS6_EEE10hipError_tPvRmT3_T4_T5_T6_T7_T9_mT8_P12ihipStream_tbDpT10_ENKUlT_T0_E_clISt17integral_constantIbLb1EES1B_IbLb0EEEEDaS17_S18_EUlS17_E_NS1_11comp_targetILNS1_3genE9ELNS1_11target_archE1100ELNS1_3gpuE3ELNS1_3repE0EEENS1_30default_config_static_selectorELNS0_4arch9wavefront6targetE0EEEvT1_,@function
_ZN7rocprim17ROCPRIM_400000_NS6detail17trampoline_kernelINS0_14default_configENS1_25partition_config_selectorILNS1_17partition_subalgoE8ElNS0_10empty_typeEbEEZZNS1_14partition_implILS5_8ELb0ES3_jPlPS6_PKS6_NS0_5tupleIJS9_S6_EEENSD_IJSA_SA_EEENS0_18inequality_wrapperIZN2at6native12_GLOBAL__N_124unique_dim_cuda_templateImEESt5tupleIJNSH_6TensorESM_SM_EERKSM_lbbbEUlllE0_EEPmJS6_EEE10hipError_tPvRmT3_T4_T5_T6_T7_T9_mT8_P12ihipStream_tbDpT10_ENKUlT_T0_E_clISt17integral_constantIbLb1EES1B_IbLb0EEEEDaS17_S18_EUlS17_E_NS1_11comp_targetILNS1_3genE9ELNS1_11target_archE1100ELNS1_3gpuE3ELNS1_3repE0EEENS1_30default_config_static_selectorELNS0_4arch9wavefront6targetE0EEEvT1_: ; @_ZN7rocprim17ROCPRIM_400000_NS6detail17trampoline_kernelINS0_14default_configENS1_25partition_config_selectorILNS1_17partition_subalgoE8ElNS0_10empty_typeEbEEZZNS1_14partition_implILS5_8ELb0ES3_jPlPS6_PKS6_NS0_5tupleIJS9_S6_EEENSD_IJSA_SA_EEENS0_18inequality_wrapperIZN2at6native12_GLOBAL__N_124unique_dim_cuda_templateImEESt5tupleIJNSH_6TensorESM_SM_EERKSM_lbbbEUlllE0_EEPmJS6_EEE10hipError_tPvRmT3_T4_T5_T6_T7_T9_mT8_P12ihipStream_tbDpT10_ENKUlT_T0_E_clISt17integral_constantIbLb1EES1B_IbLb0EEEEDaS17_S18_EUlS17_E_NS1_11comp_targetILNS1_3genE9ELNS1_11target_archE1100ELNS1_3gpuE3ELNS1_3repE0EEENS1_30default_config_static_selectorELNS0_4arch9wavefront6targetE0EEEvT1_
; %bb.0:
	.section	.rodata,"a",@progbits
	.p2align	6, 0x0
	.amdhsa_kernel _ZN7rocprim17ROCPRIM_400000_NS6detail17trampoline_kernelINS0_14default_configENS1_25partition_config_selectorILNS1_17partition_subalgoE8ElNS0_10empty_typeEbEEZZNS1_14partition_implILS5_8ELb0ES3_jPlPS6_PKS6_NS0_5tupleIJS9_S6_EEENSD_IJSA_SA_EEENS0_18inequality_wrapperIZN2at6native12_GLOBAL__N_124unique_dim_cuda_templateImEESt5tupleIJNSH_6TensorESM_SM_EERKSM_lbbbEUlllE0_EEPmJS6_EEE10hipError_tPvRmT3_T4_T5_T6_T7_T9_mT8_P12ihipStream_tbDpT10_ENKUlT_T0_E_clISt17integral_constantIbLb1EES1B_IbLb0EEEEDaS17_S18_EUlS17_E_NS1_11comp_targetILNS1_3genE9ELNS1_11target_archE1100ELNS1_3gpuE3ELNS1_3repE0EEENS1_30default_config_static_selectorELNS0_4arch9wavefront6targetE0EEEvT1_
		.amdhsa_group_segment_fixed_size 0
		.amdhsa_private_segment_fixed_size 0
		.amdhsa_kernarg_size 120
		.amdhsa_user_sgpr_count 2
		.amdhsa_user_sgpr_dispatch_ptr 0
		.amdhsa_user_sgpr_queue_ptr 0
		.amdhsa_user_sgpr_kernarg_segment_ptr 1
		.amdhsa_user_sgpr_dispatch_id 0
		.amdhsa_user_sgpr_kernarg_preload_length 0
		.amdhsa_user_sgpr_kernarg_preload_offset 0
		.amdhsa_user_sgpr_private_segment_size 0
		.amdhsa_wavefront_size32 1
		.amdhsa_uses_dynamic_stack 0
		.amdhsa_enable_private_segment 0
		.amdhsa_system_sgpr_workgroup_id_x 1
		.amdhsa_system_sgpr_workgroup_id_y 0
		.amdhsa_system_sgpr_workgroup_id_z 0
		.amdhsa_system_sgpr_workgroup_info 0
		.amdhsa_system_vgpr_workitem_id 0
		.amdhsa_next_free_vgpr 1
		.amdhsa_next_free_sgpr 1
		.amdhsa_named_barrier_count 0
		.amdhsa_reserve_vcc 0
		.amdhsa_float_round_mode_32 0
		.amdhsa_float_round_mode_16_64 0
		.amdhsa_float_denorm_mode_32 3
		.amdhsa_float_denorm_mode_16_64 3
		.amdhsa_fp16_overflow 0
		.amdhsa_memory_ordered 1
		.amdhsa_forward_progress 1
		.amdhsa_inst_pref_size 0
		.amdhsa_round_robin_scheduling 0
		.amdhsa_exception_fp_ieee_invalid_op 0
		.amdhsa_exception_fp_denorm_src 0
		.amdhsa_exception_fp_ieee_div_zero 0
		.amdhsa_exception_fp_ieee_overflow 0
		.amdhsa_exception_fp_ieee_underflow 0
		.amdhsa_exception_fp_ieee_inexact 0
		.amdhsa_exception_int_div_zero 0
	.end_amdhsa_kernel
	.section	.text._ZN7rocprim17ROCPRIM_400000_NS6detail17trampoline_kernelINS0_14default_configENS1_25partition_config_selectorILNS1_17partition_subalgoE8ElNS0_10empty_typeEbEEZZNS1_14partition_implILS5_8ELb0ES3_jPlPS6_PKS6_NS0_5tupleIJS9_S6_EEENSD_IJSA_SA_EEENS0_18inequality_wrapperIZN2at6native12_GLOBAL__N_124unique_dim_cuda_templateImEESt5tupleIJNSH_6TensorESM_SM_EERKSM_lbbbEUlllE0_EEPmJS6_EEE10hipError_tPvRmT3_T4_T5_T6_T7_T9_mT8_P12ihipStream_tbDpT10_ENKUlT_T0_E_clISt17integral_constantIbLb1EES1B_IbLb0EEEEDaS17_S18_EUlS17_E_NS1_11comp_targetILNS1_3genE9ELNS1_11target_archE1100ELNS1_3gpuE3ELNS1_3repE0EEENS1_30default_config_static_selectorELNS0_4arch9wavefront6targetE0EEEvT1_,"axG",@progbits,_ZN7rocprim17ROCPRIM_400000_NS6detail17trampoline_kernelINS0_14default_configENS1_25partition_config_selectorILNS1_17partition_subalgoE8ElNS0_10empty_typeEbEEZZNS1_14partition_implILS5_8ELb0ES3_jPlPS6_PKS6_NS0_5tupleIJS9_S6_EEENSD_IJSA_SA_EEENS0_18inequality_wrapperIZN2at6native12_GLOBAL__N_124unique_dim_cuda_templateImEESt5tupleIJNSH_6TensorESM_SM_EERKSM_lbbbEUlllE0_EEPmJS6_EEE10hipError_tPvRmT3_T4_T5_T6_T7_T9_mT8_P12ihipStream_tbDpT10_ENKUlT_T0_E_clISt17integral_constantIbLb1EES1B_IbLb0EEEEDaS17_S18_EUlS17_E_NS1_11comp_targetILNS1_3genE9ELNS1_11target_archE1100ELNS1_3gpuE3ELNS1_3repE0EEENS1_30default_config_static_selectorELNS0_4arch9wavefront6targetE0EEEvT1_,comdat
.Lfunc_end1685:
	.size	_ZN7rocprim17ROCPRIM_400000_NS6detail17trampoline_kernelINS0_14default_configENS1_25partition_config_selectorILNS1_17partition_subalgoE8ElNS0_10empty_typeEbEEZZNS1_14partition_implILS5_8ELb0ES3_jPlPS6_PKS6_NS0_5tupleIJS9_S6_EEENSD_IJSA_SA_EEENS0_18inequality_wrapperIZN2at6native12_GLOBAL__N_124unique_dim_cuda_templateImEESt5tupleIJNSH_6TensorESM_SM_EERKSM_lbbbEUlllE0_EEPmJS6_EEE10hipError_tPvRmT3_T4_T5_T6_T7_T9_mT8_P12ihipStream_tbDpT10_ENKUlT_T0_E_clISt17integral_constantIbLb1EES1B_IbLb0EEEEDaS17_S18_EUlS17_E_NS1_11comp_targetILNS1_3genE9ELNS1_11target_archE1100ELNS1_3gpuE3ELNS1_3repE0EEENS1_30default_config_static_selectorELNS0_4arch9wavefront6targetE0EEEvT1_, .Lfunc_end1685-_ZN7rocprim17ROCPRIM_400000_NS6detail17trampoline_kernelINS0_14default_configENS1_25partition_config_selectorILNS1_17partition_subalgoE8ElNS0_10empty_typeEbEEZZNS1_14partition_implILS5_8ELb0ES3_jPlPS6_PKS6_NS0_5tupleIJS9_S6_EEENSD_IJSA_SA_EEENS0_18inequality_wrapperIZN2at6native12_GLOBAL__N_124unique_dim_cuda_templateImEESt5tupleIJNSH_6TensorESM_SM_EERKSM_lbbbEUlllE0_EEPmJS6_EEE10hipError_tPvRmT3_T4_T5_T6_T7_T9_mT8_P12ihipStream_tbDpT10_ENKUlT_T0_E_clISt17integral_constantIbLb1EES1B_IbLb0EEEEDaS17_S18_EUlS17_E_NS1_11comp_targetILNS1_3genE9ELNS1_11target_archE1100ELNS1_3gpuE3ELNS1_3repE0EEENS1_30default_config_static_selectorELNS0_4arch9wavefront6targetE0EEEvT1_
                                        ; -- End function
	.set _ZN7rocprim17ROCPRIM_400000_NS6detail17trampoline_kernelINS0_14default_configENS1_25partition_config_selectorILNS1_17partition_subalgoE8ElNS0_10empty_typeEbEEZZNS1_14partition_implILS5_8ELb0ES3_jPlPS6_PKS6_NS0_5tupleIJS9_S6_EEENSD_IJSA_SA_EEENS0_18inequality_wrapperIZN2at6native12_GLOBAL__N_124unique_dim_cuda_templateImEESt5tupleIJNSH_6TensorESM_SM_EERKSM_lbbbEUlllE0_EEPmJS6_EEE10hipError_tPvRmT3_T4_T5_T6_T7_T9_mT8_P12ihipStream_tbDpT10_ENKUlT_T0_E_clISt17integral_constantIbLb1EES1B_IbLb0EEEEDaS17_S18_EUlS17_E_NS1_11comp_targetILNS1_3genE9ELNS1_11target_archE1100ELNS1_3gpuE3ELNS1_3repE0EEENS1_30default_config_static_selectorELNS0_4arch9wavefront6targetE0EEEvT1_.num_vgpr, 0
	.set _ZN7rocprim17ROCPRIM_400000_NS6detail17trampoline_kernelINS0_14default_configENS1_25partition_config_selectorILNS1_17partition_subalgoE8ElNS0_10empty_typeEbEEZZNS1_14partition_implILS5_8ELb0ES3_jPlPS6_PKS6_NS0_5tupleIJS9_S6_EEENSD_IJSA_SA_EEENS0_18inequality_wrapperIZN2at6native12_GLOBAL__N_124unique_dim_cuda_templateImEESt5tupleIJNSH_6TensorESM_SM_EERKSM_lbbbEUlllE0_EEPmJS6_EEE10hipError_tPvRmT3_T4_T5_T6_T7_T9_mT8_P12ihipStream_tbDpT10_ENKUlT_T0_E_clISt17integral_constantIbLb1EES1B_IbLb0EEEEDaS17_S18_EUlS17_E_NS1_11comp_targetILNS1_3genE9ELNS1_11target_archE1100ELNS1_3gpuE3ELNS1_3repE0EEENS1_30default_config_static_selectorELNS0_4arch9wavefront6targetE0EEEvT1_.num_agpr, 0
	.set _ZN7rocprim17ROCPRIM_400000_NS6detail17trampoline_kernelINS0_14default_configENS1_25partition_config_selectorILNS1_17partition_subalgoE8ElNS0_10empty_typeEbEEZZNS1_14partition_implILS5_8ELb0ES3_jPlPS6_PKS6_NS0_5tupleIJS9_S6_EEENSD_IJSA_SA_EEENS0_18inequality_wrapperIZN2at6native12_GLOBAL__N_124unique_dim_cuda_templateImEESt5tupleIJNSH_6TensorESM_SM_EERKSM_lbbbEUlllE0_EEPmJS6_EEE10hipError_tPvRmT3_T4_T5_T6_T7_T9_mT8_P12ihipStream_tbDpT10_ENKUlT_T0_E_clISt17integral_constantIbLb1EES1B_IbLb0EEEEDaS17_S18_EUlS17_E_NS1_11comp_targetILNS1_3genE9ELNS1_11target_archE1100ELNS1_3gpuE3ELNS1_3repE0EEENS1_30default_config_static_selectorELNS0_4arch9wavefront6targetE0EEEvT1_.numbered_sgpr, 0
	.set _ZN7rocprim17ROCPRIM_400000_NS6detail17trampoline_kernelINS0_14default_configENS1_25partition_config_selectorILNS1_17partition_subalgoE8ElNS0_10empty_typeEbEEZZNS1_14partition_implILS5_8ELb0ES3_jPlPS6_PKS6_NS0_5tupleIJS9_S6_EEENSD_IJSA_SA_EEENS0_18inequality_wrapperIZN2at6native12_GLOBAL__N_124unique_dim_cuda_templateImEESt5tupleIJNSH_6TensorESM_SM_EERKSM_lbbbEUlllE0_EEPmJS6_EEE10hipError_tPvRmT3_T4_T5_T6_T7_T9_mT8_P12ihipStream_tbDpT10_ENKUlT_T0_E_clISt17integral_constantIbLb1EES1B_IbLb0EEEEDaS17_S18_EUlS17_E_NS1_11comp_targetILNS1_3genE9ELNS1_11target_archE1100ELNS1_3gpuE3ELNS1_3repE0EEENS1_30default_config_static_selectorELNS0_4arch9wavefront6targetE0EEEvT1_.num_named_barrier, 0
	.set _ZN7rocprim17ROCPRIM_400000_NS6detail17trampoline_kernelINS0_14default_configENS1_25partition_config_selectorILNS1_17partition_subalgoE8ElNS0_10empty_typeEbEEZZNS1_14partition_implILS5_8ELb0ES3_jPlPS6_PKS6_NS0_5tupleIJS9_S6_EEENSD_IJSA_SA_EEENS0_18inequality_wrapperIZN2at6native12_GLOBAL__N_124unique_dim_cuda_templateImEESt5tupleIJNSH_6TensorESM_SM_EERKSM_lbbbEUlllE0_EEPmJS6_EEE10hipError_tPvRmT3_T4_T5_T6_T7_T9_mT8_P12ihipStream_tbDpT10_ENKUlT_T0_E_clISt17integral_constantIbLb1EES1B_IbLb0EEEEDaS17_S18_EUlS17_E_NS1_11comp_targetILNS1_3genE9ELNS1_11target_archE1100ELNS1_3gpuE3ELNS1_3repE0EEENS1_30default_config_static_selectorELNS0_4arch9wavefront6targetE0EEEvT1_.private_seg_size, 0
	.set _ZN7rocprim17ROCPRIM_400000_NS6detail17trampoline_kernelINS0_14default_configENS1_25partition_config_selectorILNS1_17partition_subalgoE8ElNS0_10empty_typeEbEEZZNS1_14partition_implILS5_8ELb0ES3_jPlPS6_PKS6_NS0_5tupleIJS9_S6_EEENSD_IJSA_SA_EEENS0_18inequality_wrapperIZN2at6native12_GLOBAL__N_124unique_dim_cuda_templateImEESt5tupleIJNSH_6TensorESM_SM_EERKSM_lbbbEUlllE0_EEPmJS6_EEE10hipError_tPvRmT3_T4_T5_T6_T7_T9_mT8_P12ihipStream_tbDpT10_ENKUlT_T0_E_clISt17integral_constantIbLb1EES1B_IbLb0EEEEDaS17_S18_EUlS17_E_NS1_11comp_targetILNS1_3genE9ELNS1_11target_archE1100ELNS1_3gpuE3ELNS1_3repE0EEENS1_30default_config_static_selectorELNS0_4arch9wavefront6targetE0EEEvT1_.uses_vcc, 0
	.set _ZN7rocprim17ROCPRIM_400000_NS6detail17trampoline_kernelINS0_14default_configENS1_25partition_config_selectorILNS1_17partition_subalgoE8ElNS0_10empty_typeEbEEZZNS1_14partition_implILS5_8ELb0ES3_jPlPS6_PKS6_NS0_5tupleIJS9_S6_EEENSD_IJSA_SA_EEENS0_18inequality_wrapperIZN2at6native12_GLOBAL__N_124unique_dim_cuda_templateImEESt5tupleIJNSH_6TensorESM_SM_EERKSM_lbbbEUlllE0_EEPmJS6_EEE10hipError_tPvRmT3_T4_T5_T6_T7_T9_mT8_P12ihipStream_tbDpT10_ENKUlT_T0_E_clISt17integral_constantIbLb1EES1B_IbLb0EEEEDaS17_S18_EUlS17_E_NS1_11comp_targetILNS1_3genE9ELNS1_11target_archE1100ELNS1_3gpuE3ELNS1_3repE0EEENS1_30default_config_static_selectorELNS0_4arch9wavefront6targetE0EEEvT1_.uses_flat_scratch, 0
	.set _ZN7rocprim17ROCPRIM_400000_NS6detail17trampoline_kernelINS0_14default_configENS1_25partition_config_selectorILNS1_17partition_subalgoE8ElNS0_10empty_typeEbEEZZNS1_14partition_implILS5_8ELb0ES3_jPlPS6_PKS6_NS0_5tupleIJS9_S6_EEENSD_IJSA_SA_EEENS0_18inequality_wrapperIZN2at6native12_GLOBAL__N_124unique_dim_cuda_templateImEESt5tupleIJNSH_6TensorESM_SM_EERKSM_lbbbEUlllE0_EEPmJS6_EEE10hipError_tPvRmT3_T4_T5_T6_T7_T9_mT8_P12ihipStream_tbDpT10_ENKUlT_T0_E_clISt17integral_constantIbLb1EES1B_IbLb0EEEEDaS17_S18_EUlS17_E_NS1_11comp_targetILNS1_3genE9ELNS1_11target_archE1100ELNS1_3gpuE3ELNS1_3repE0EEENS1_30default_config_static_selectorELNS0_4arch9wavefront6targetE0EEEvT1_.has_dyn_sized_stack, 0
	.set _ZN7rocprim17ROCPRIM_400000_NS6detail17trampoline_kernelINS0_14default_configENS1_25partition_config_selectorILNS1_17partition_subalgoE8ElNS0_10empty_typeEbEEZZNS1_14partition_implILS5_8ELb0ES3_jPlPS6_PKS6_NS0_5tupleIJS9_S6_EEENSD_IJSA_SA_EEENS0_18inequality_wrapperIZN2at6native12_GLOBAL__N_124unique_dim_cuda_templateImEESt5tupleIJNSH_6TensorESM_SM_EERKSM_lbbbEUlllE0_EEPmJS6_EEE10hipError_tPvRmT3_T4_T5_T6_T7_T9_mT8_P12ihipStream_tbDpT10_ENKUlT_T0_E_clISt17integral_constantIbLb1EES1B_IbLb0EEEEDaS17_S18_EUlS17_E_NS1_11comp_targetILNS1_3genE9ELNS1_11target_archE1100ELNS1_3gpuE3ELNS1_3repE0EEENS1_30default_config_static_selectorELNS0_4arch9wavefront6targetE0EEEvT1_.has_recursion, 0
	.set _ZN7rocprim17ROCPRIM_400000_NS6detail17trampoline_kernelINS0_14default_configENS1_25partition_config_selectorILNS1_17partition_subalgoE8ElNS0_10empty_typeEbEEZZNS1_14partition_implILS5_8ELb0ES3_jPlPS6_PKS6_NS0_5tupleIJS9_S6_EEENSD_IJSA_SA_EEENS0_18inequality_wrapperIZN2at6native12_GLOBAL__N_124unique_dim_cuda_templateImEESt5tupleIJNSH_6TensorESM_SM_EERKSM_lbbbEUlllE0_EEPmJS6_EEE10hipError_tPvRmT3_T4_T5_T6_T7_T9_mT8_P12ihipStream_tbDpT10_ENKUlT_T0_E_clISt17integral_constantIbLb1EES1B_IbLb0EEEEDaS17_S18_EUlS17_E_NS1_11comp_targetILNS1_3genE9ELNS1_11target_archE1100ELNS1_3gpuE3ELNS1_3repE0EEENS1_30default_config_static_selectorELNS0_4arch9wavefront6targetE0EEEvT1_.has_indirect_call, 0
	.section	.AMDGPU.csdata,"",@progbits
; Kernel info:
; codeLenInByte = 0
; TotalNumSgprs: 0
; NumVgprs: 0
; ScratchSize: 0
; MemoryBound: 0
; FloatMode: 240
; IeeeMode: 1
; LDSByteSize: 0 bytes/workgroup (compile time only)
; SGPRBlocks: 0
; VGPRBlocks: 0
; NumSGPRsForWavesPerEU: 1
; NumVGPRsForWavesPerEU: 1
; NamedBarCnt: 0
; Occupancy: 16
; WaveLimiterHint : 0
; COMPUTE_PGM_RSRC2:SCRATCH_EN: 0
; COMPUTE_PGM_RSRC2:USER_SGPR: 2
; COMPUTE_PGM_RSRC2:TRAP_HANDLER: 0
; COMPUTE_PGM_RSRC2:TGID_X_EN: 1
; COMPUTE_PGM_RSRC2:TGID_Y_EN: 0
; COMPUTE_PGM_RSRC2:TGID_Z_EN: 0
; COMPUTE_PGM_RSRC2:TIDIG_COMP_CNT: 0
	.section	.text._ZN7rocprim17ROCPRIM_400000_NS6detail17trampoline_kernelINS0_14default_configENS1_25partition_config_selectorILNS1_17partition_subalgoE8ElNS0_10empty_typeEbEEZZNS1_14partition_implILS5_8ELb0ES3_jPlPS6_PKS6_NS0_5tupleIJS9_S6_EEENSD_IJSA_SA_EEENS0_18inequality_wrapperIZN2at6native12_GLOBAL__N_124unique_dim_cuda_templateImEESt5tupleIJNSH_6TensorESM_SM_EERKSM_lbbbEUlllE0_EEPmJS6_EEE10hipError_tPvRmT3_T4_T5_T6_T7_T9_mT8_P12ihipStream_tbDpT10_ENKUlT_T0_E_clISt17integral_constantIbLb1EES1B_IbLb0EEEEDaS17_S18_EUlS17_E_NS1_11comp_targetILNS1_3genE8ELNS1_11target_archE1030ELNS1_3gpuE2ELNS1_3repE0EEENS1_30default_config_static_selectorELNS0_4arch9wavefront6targetE0EEEvT1_,"axG",@progbits,_ZN7rocprim17ROCPRIM_400000_NS6detail17trampoline_kernelINS0_14default_configENS1_25partition_config_selectorILNS1_17partition_subalgoE8ElNS0_10empty_typeEbEEZZNS1_14partition_implILS5_8ELb0ES3_jPlPS6_PKS6_NS0_5tupleIJS9_S6_EEENSD_IJSA_SA_EEENS0_18inequality_wrapperIZN2at6native12_GLOBAL__N_124unique_dim_cuda_templateImEESt5tupleIJNSH_6TensorESM_SM_EERKSM_lbbbEUlllE0_EEPmJS6_EEE10hipError_tPvRmT3_T4_T5_T6_T7_T9_mT8_P12ihipStream_tbDpT10_ENKUlT_T0_E_clISt17integral_constantIbLb1EES1B_IbLb0EEEEDaS17_S18_EUlS17_E_NS1_11comp_targetILNS1_3genE8ELNS1_11target_archE1030ELNS1_3gpuE2ELNS1_3repE0EEENS1_30default_config_static_selectorELNS0_4arch9wavefront6targetE0EEEvT1_,comdat
	.globl	_ZN7rocprim17ROCPRIM_400000_NS6detail17trampoline_kernelINS0_14default_configENS1_25partition_config_selectorILNS1_17partition_subalgoE8ElNS0_10empty_typeEbEEZZNS1_14partition_implILS5_8ELb0ES3_jPlPS6_PKS6_NS0_5tupleIJS9_S6_EEENSD_IJSA_SA_EEENS0_18inequality_wrapperIZN2at6native12_GLOBAL__N_124unique_dim_cuda_templateImEESt5tupleIJNSH_6TensorESM_SM_EERKSM_lbbbEUlllE0_EEPmJS6_EEE10hipError_tPvRmT3_T4_T5_T6_T7_T9_mT8_P12ihipStream_tbDpT10_ENKUlT_T0_E_clISt17integral_constantIbLb1EES1B_IbLb0EEEEDaS17_S18_EUlS17_E_NS1_11comp_targetILNS1_3genE8ELNS1_11target_archE1030ELNS1_3gpuE2ELNS1_3repE0EEENS1_30default_config_static_selectorELNS0_4arch9wavefront6targetE0EEEvT1_ ; -- Begin function _ZN7rocprim17ROCPRIM_400000_NS6detail17trampoline_kernelINS0_14default_configENS1_25partition_config_selectorILNS1_17partition_subalgoE8ElNS0_10empty_typeEbEEZZNS1_14partition_implILS5_8ELb0ES3_jPlPS6_PKS6_NS0_5tupleIJS9_S6_EEENSD_IJSA_SA_EEENS0_18inequality_wrapperIZN2at6native12_GLOBAL__N_124unique_dim_cuda_templateImEESt5tupleIJNSH_6TensorESM_SM_EERKSM_lbbbEUlllE0_EEPmJS6_EEE10hipError_tPvRmT3_T4_T5_T6_T7_T9_mT8_P12ihipStream_tbDpT10_ENKUlT_T0_E_clISt17integral_constantIbLb1EES1B_IbLb0EEEEDaS17_S18_EUlS17_E_NS1_11comp_targetILNS1_3genE8ELNS1_11target_archE1030ELNS1_3gpuE2ELNS1_3repE0EEENS1_30default_config_static_selectorELNS0_4arch9wavefront6targetE0EEEvT1_
	.p2align	8
	.type	_ZN7rocprim17ROCPRIM_400000_NS6detail17trampoline_kernelINS0_14default_configENS1_25partition_config_selectorILNS1_17partition_subalgoE8ElNS0_10empty_typeEbEEZZNS1_14partition_implILS5_8ELb0ES3_jPlPS6_PKS6_NS0_5tupleIJS9_S6_EEENSD_IJSA_SA_EEENS0_18inequality_wrapperIZN2at6native12_GLOBAL__N_124unique_dim_cuda_templateImEESt5tupleIJNSH_6TensorESM_SM_EERKSM_lbbbEUlllE0_EEPmJS6_EEE10hipError_tPvRmT3_T4_T5_T6_T7_T9_mT8_P12ihipStream_tbDpT10_ENKUlT_T0_E_clISt17integral_constantIbLb1EES1B_IbLb0EEEEDaS17_S18_EUlS17_E_NS1_11comp_targetILNS1_3genE8ELNS1_11target_archE1030ELNS1_3gpuE2ELNS1_3repE0EEENS1_30default_config_static_selectorELNS0_4arch9wavefront6targetE0EEEvT1_,@function
_ZN7rocprim17ROCPRIM_400000_NS6detail17trampoline_kernelINS0_14default_configENS1_25partition_config_selectorILNS1_17partition_subalgoE8ElNS0_10empty_typeEbEEZZNS1_14partition_implILS5_8ELb0ES3_jPlPS6_PKS6_NS0_5tupleIJS9_S6_EEENSD_IJSA_SA_EEENS0_18inequality_wrapperIZN2at6native12_GLOBAL__N_124unique_dim_cuda_templateImEESt5tupleIJNSH_6TensorESM_SM_EERKSM_lbbbEUlllE0_EEPmJS6_EEE10hipError_tPvRmT3_T4_T5_T6_T7_T9_mT8_P12ihipStream_tbDpT10_ENKUlT_T0_E_clISt17integral_constantIbLb1EES1B_IbLb0EEEEDaS17_S18_EUlS17_E_NS1_11comp_targetILNS1_3genE8ELNS1_11target_archE1030ELNS1_3gpuE2ELNS1_3repE0EEENS1_30default_config_static_selectorELNS0_4arch9wavefront6targetE0EEEvT1_: ; @_ZN7rocprim17ROCPRIM_400000_NS6detail17trampoline_kernelINS0_14default_configENS1_25partition_config_selectorILNS1_17partition_subalgoE8ElNS0_10empty_typeEbEEZZNS1_14partition_implILS5_8ELb0ES3_jPlPS6_PKS6_NS0_5tupleIJS9_S6_EEENSD_IJSA_SA_EEENS0_18inequality_wrapperIZN2at6native12_GLOBAL__N_124unique_dim_cuda_templateImEESt5tupleIJNSH_6TensorESM_SM_EERKSM_lbbbEUlllE0_EEPmJS6_EEE10hipError_tPvRmT3_T4_T5_T6_T7_T9_mT8_P12ihipStream_tbDpT10_ENKUlT_T0_E_clISt17integral_constantIbLb1EES1B_IbLb0EEEEDaS17_S18_EUlS17_E_NS1_11comp_targetILNS1_3genE8ELNS1_11target_archE1030ELNS1_3gpuE2ELNS1_3repE0EEENS1_30default_config_static_selectorELNS0_4arch9wavefront6targetE0EEEvT1_
; %bb.0:
	.section	.rodata,"a",@progbits
	.p2align	6, 0x0
	.amdhsa_kernel _ZN7rocprim17ROCPRIM_400000_NS6detail17trampoline_kernelINS0_14default_configENS1_25partition_config_selectorILNS1_17partition_subalgoE8ElNS0_10empty_typeEbEEZZNS1_14partition_implILS5_8ELb0ES3_jPlPS6_PKS6_NS0_5tupleIJS9_S6_EEENSD_IJSA_SA_EEENS0_18inequality_wrapperIZN2at6native12_GLOBAL__N_124unique_dim_cuda_templateImEESt5tupleIJNSH_6TensorESM_SM_EERKSM_lbbbEUlllE0_EEPmJS6_EEE10hipError_tPvRmT3_T4_T5_T6_T7_T9_mT8_P12ihipStream_tbDpT10_ENKUlT_T0_E_clISt17integral_constantIbLb1EES1B_IbLb0EEEEDaS17_S18_EUlS17_E_NS1_11comp_targetILNS1_3genE8ELNS1_11target_archE1030ELNS1_3gpuE2ELNS1_3repE0EEENS1_30default_config_static_selectorELNS0_4arch9wavefront6targetE0EEEvT1_
		.amdhsa_group_segment_fixed_size 0
		.amdhsa_private_segment_fixed_size 0
		.amdhsa_kernarg_size 120
		.amdhsa_user_sgpr_count 2
		.amdhsa_user_sgpr_dispatch_ptr 0
		.amdhsa_user_sgpr_queue_ptr 0
		.amdhsa_user_sgpr_kernarg_segment_ptr 1
		.amdhsa_user_sgpr_dispatch_id 0
		.amdhsa_user_sgpr_kernarg_preload_length 0
		.amdhsa_user_sgpr_kernarg_preload_offset 0
		.amdhsa_user_sgpr_private_segment_size 0
		.amdhsa_wavefront_size32 1
		.amdhsa_uses_dynamic_stack 0
		.amdhsa_enable_private_segment 0
		.amdhsa_system_sgpr_workgroup_id_x 1
		.amdhsa_system_sgpr_workgroup_id_y 0
		.amdhsa_system_sgpr_workgroup_id_z 0
		.amdhsa_system_sgpr_workgroup_info 0
		.amdhsa_system_vgpr_workitem_id 0
		.amdhsa_next_free_vgpr 1
		.amdhsa_next_free_sgpr 1
		.amdhsa_named_barrier_count 0
		.amdhsa_reserve_vcc 0
		.amdhsa_float_round_mode_32 0
		.amdhsa_float_round_mode_16_64 0
		.amdhsa_float_denorm_mode_32 3
		.amdhsa_float_denorm_mode_16_64 3
		.amdhsa_fp16_overflow 0
		.amdhsa_memory_ordered 1
		.amdhsa_forward_progress 1
		.amdhsa_inst_pref_size 0
		.amdhsa_round_robin_scheduling 0
		.amdhsa_exception_fp_ieee_invalid_op 0
		.amdhsa_exception_fp_denorm_src 0
		.amdhsa_exception_fp_ieee_div_zero 0
		.amdhsa_exception_fp_ieee_overflow 0
		.amdhsa_exception_fp_ieee_underflow 0
		.amdhsa_exception_fp_ieee_inexact 0
		.amdhsa_exception_int_div_zero 0
	.end_amdhsa_kernel
	.section	.text._ZN7rocprim17ROCPRIM_400000_NS6detail17trampoline_kernelINS0_14default_configENS1_25partition_config_selectorILNS1_17partition_subalgoE8ElNS0_10empty_typeEbEEZZNS1_14partition_implILS5_8ELb0ES3_jPlPS6_PKS6_NS0_5tupleIJS9_S6_EEENSD_IJSA_SA_EEENS0_18inequality_wrapperIZN2at6native12_GLOBAL__N_124unique_dim_cuda_templateImEESt5tupleIJNSH_6TensorESM_SM_EERKSM_lbbbEUlllE0_EEPmJS6_EEE10hipError_tPvRmT3_T4_T5_T6_T7_T9_mT8_P12ihipStream_tbDpT10_ENKUlT_T0_E_clISt17integral_constantIbLb1EES1B_IbLb0EEEEDaS17_S18_EUlS17_E_NS1_11comp_targetILNS1_3genE8ELNS1_11target_archE1030ELNS1_3gpuE2ELNS1_3repE0EEENS1_30default_config_static_selectorELNS0_4arch9wavefront6targetE0EEEvT1_,"axG",@progbits,_ZN7rocprim17ROCPRIM_400000_NS6detail17trampoline_kernelINS0_14default_configENS1_25partition_config_selectorILNS1_17partition_subalgoE8ElNS0_10empty_typeEbEEZZNS1_14partition_implILS5_8ELb0ES3_jPlPS6_PKS6_NS0_5tupleIJS9_S6_EEENSD_IJSA_SA_EEENS0_18inequality_wrapperIZN2at6native12_GLOBAL__N_124unique_dim_cuda_templateImEESt5tupleIJNSH_6TensorESM_SM_EERKSM_lbbbEUlllE0_EEPmJS6_EEE10hipError_tPvRmT3_T4_T5_T6_T7_T9_mT8_P12ihipStream_tbDpT10_ENKUlT_T0_E_clISt17integral_constantIbLb1EES1B_IbLb0EEEEDaS17_S18_EUlS17_E_NS1_11comp_targetILNS1_3genE8ELNS1_11target_archE1030ELNS1_3gpuE2ELNS1_3repE0EEENS1_30default_config_static_selectorELNS0_4arch9wavefront6targetE0EEEvT1_,comdat
.Lfunc_end1686:
	.size	_ZN7rocprim17ROCPRIM_400000_NS6detail17trampoline_kernelINS0_14default_configENS1_25partition_config_selectorILNS1_17partition_subalgoE8ElNS0_10empty_typeEbEEZZNS1_14partition_implILS5_8ELb0ES3_jPlPS6_PKS6_NS0_5tupleIJS9_S6_EEENSD_IJSA_SA_EEENS0_18inequality_wrapperIZN2at6native12_GLOBAL__N_124unique_dim_cuda_templateImEESt5tupleIJNSH_6TensorESM_SM_EERKSM_lbbbEUlllE0_EEPmJS6_EEE10hipError_tPvRmT3_T4_T5_T6_T7_T9_mT8_P12ihipStream_tbDpT10_ENKUlT_T0_E_clISt17integral_constantIbLb1EES1B_IbLb0EEEEDaS17_S18_EUlS17_E_NS1_11comp_targetILNS1_3genE8ELNS1_11target_archE1030ELNS1_3gpuE2ELNS1_3repE0EEENS1_30default_config_static_selectorELNS0_4arch9wavefront6targetE0EEEvT1_, .Lfunc_end1686-_ZN7rocprim17ROCPRIM_400000_NS6detail17trampoline_kernelINS0_14default_configENS1_25partition_config_selectorILNS1_17partition_subalgoE8ElNS0_10empty_typeEbEEZZNS1_14partition_implILS5_8ELb0ES3_jPlPS6_PKS6_NS0_5tupleIJS9_S6_EEENSD_IJSA_SA_EEENS0_18inequality_wrapperIZN2at6native12_GLOBAL__N_124unique_dim_cuda_templateImEESt5tupleIJNSH_6TensorESM_SM_EERKSM_lbbbEUlllE0_EEPmJS6_EEE10hipError_tPvRmT3_T4_T5_T6_T7_T9_mT8_P12ihipStream_tbDpT10_ENKUlT_T0_E_clISt17integral_constantIbLb1EES1B_IbLb0EEEEDaS17_S18_EUlS17_E_NS1_11comp_targetILNS1_3genE8ELNS1_11target_archE1030ELNS1_3gpuE2ELNS1_3repE0EEENS1_30default_config_static_selectorELNS0_4arch9wavefront6targetE0EEEvT1_
                                        ; -- End function
	.set _ZN7rocprim17ROCPRIM_400000_NS6detail17trampoline_kernelINS0_14default_configENS1_25partition_config_selectorILNS1_17partition_subalgoE8ElNS0_10empty_typeEbEEZZNS1_14partition_implILS5_8ELb0ES3_jPlPS6_PKS6_NS0_5tupleIJS9_S6_EEENSD_IJSA_SA_EEENS0_18inequality_wrapperIZN2at6native12_GLOBAL__N_124unique_dim_cuda_templateImEESt5tupleIJNSH_6TensorESM_SM_EERKSM_lbbbEUlllE0_EEPmJS6_EEE10hipError_tPvRmT3_T4_T5_T6_T7_T9_mT8_P12ihipStream_tbDpT10_ENKUlT_T0_E_clISt17integral_constantIbLb1EES1B_IbLb0EEEEDaS17_S18_EUlS17_E_NS1_11comp_targetILNS1_3genE8ELNS1_11target_archE1030ELNS1_3gpuE2ELNS1_3repE0EEENS1_30default_config_static_selectorELNS0_4arch9wavefront6targetE0EEEvT1_.num_vgpr, 0
	.set _ZN7rocprim17ROCPRIM_400000_NS6detail17trampoline_kernelINS0_14default_configENS1_25partition_config_selectorILNS1_17partition_subalgoE8ElNS0_10empty_typeEbEEZZNS1_14partition_implILS5_8ELb0ES3_jPlPS6_PKS6_NS0_5tupleIJS9_S6_EEENSD_IJSA_SA_EEENS0_18inequality_wrapperIZN2at6native12_GLOBAL__N_124unique_dim_cuda_templateImEESt5tupleIJNSH_6TensorESM_SM_EERKSM_lbbbEUlllE0_EEPmJS6_EEE10hipError_tPvRmT3_T4_T5_T6_T7_T9_mT8_P12ihipStream_tbDpT10_ENKUlT_T0_E_clISt17integral_constantIbLb1EES1B_IbLb0EEEEDaS17_S18_EUlS17_E_NS1_11comp_targetILNS1_3genE8ELNS1_11target_archE1030ELNS1_3gpuE2ELNS1_3repE0EEENS1_30default_config_static_selectorELNS0_4arch9wavefront6targetE0EEEvT1_.num_agpr, 0
	.set _ZN7rocprim17ROCPRIM_400000_NS6detail17trampoline_kernelINS0_14default_configENS1_25partition_config_selectorILNS1_17partition_subalgoE8ElNS0_10empty_typeEbEEZZNS1_14partition_implILS5_8ELb0ES3_jPlPS6_PKS6_NS0_5tupleIJS9_S6_EEENSD_IJSA_SA_EEENS0_18inequality_wrapperIZN2at6native12_GLOBAL__N_124unique_dim_cuda_templateImEESt5tupleIJNSH_6TensorESM_SM_EERKSM_lbbbEUlllE0_EEPmJS6_EEE10hipError_tPvRmT3_T4_T5_T6_T7_T9_mT8_P12ihipStream_tbDpT10_ENKUlT_T0_E_clISt17integral_constantIbLb1EES1B_IbLb0EEEEDaS17_S18_EUlS17_E_NS1_11comp_targetILNS1_3genE8ELNS1_11target_archE1030ELNS1_3gpuE2ELNS1_3repE0EEENS1_30default_config_static_selectorELNS0_4arch9wavefront6targetE0EEEvT1_.numbered_sgpr, 0
	.set _ZN7rocprim17ROCPRIM_400000_NS6detail17trampoline_kernelINS0_14default_configENS1_25partition_config_selectorILNS1_17partition_subalgoE8ElNS0_10empty_typeEbEEZZNS1_14partition_implILS5_8ELb0ES3_jPlPS6_PKS6_NS0_5tupleIJS9_S6_EEENSD_IJSA_SA_EEENS0_18inequality_wrapperIZN2at6native12_GLOBAL__N_124unique_dim_cuda_templateImEESt5tupleIJNSH_6TensorESM_SM_EERKSM_lbbbEUlllE0_EEPmJS6_EEE10hipError_tPvRmT3_T4_T5_T6_T7_T9_mT8_P12ihipStream_tbDpT10_ENKUlT_T0_E_clISt17integral_constantIbLb1EES1B_IbLb0EEEEDaS17_S18_EUlS17_E_NS1_11comp_targetILNS1_3genE8ELNS1_11target_archE1030ELNS1_3gpuE2ELNS1_3repE0EEENS1_30default_config_static_selectorELNS0_4arch9wavefront6targetE0EEEvT1_.num_named_barrier, 0
	.set _ZN7rocprim17ROCPRIM_400000_NS6detail17trampoline_kernelINS0_14default_configENS1_25partition_config_selectorILNS1_17partition_subalgoE8ElNS0_10empty_typeEbEEZZNS1_14partition_implILS5_8ELb0ES3_jPlPS6_PKS6_NS0_5tupleIJS9_S6_EEENSD_IJSA_SA_EEENS0_18inequality_wrapperIZN2at6native12_GLOBAL__N_124unique_dim_cuda_templateImEESt5tupleIJNSH_6TensorESM_SM_EERKSM_lbbbEUlllE0_EEPmJS6_EEE10hipError_tPvRmT3_T4_T5_T6_T7_T9_mT8_P12ihipStream_tbDpT10_ENKUlT_T0_E_clISt17integral_constantIbLb1EES1B_IbLb0EEEEDaS17_S18_EUlS17_E_NS1_11comp_targetILNS1_3genE8ELNS1_11target_archE1030ELNS1_3gpuE2ELNS1_3repE0EEENS1_30default_config_static_selectorELNS0_4arch9wavefront6targetE0EEEvT1_.private_seg_size, 0
	.set _ZN7rocprim17ROCPRIM_400000_NS6detail17trampoline_kernelINS0_14default_configENS1_25partition_config_selectorILNS1_17partition_subalgoE8ElNS0_10empty_typeEbEEZZNS1_14partition_implILS5_8ELb0ES3_jPlPS6_PKS6_NS0_5tupleIJS9_S6_EEENSD_IJSA_SA_EEENS0_18inequality_wrapperIZN2at6native12_GLOBAL__N_124unique_dim_cuda_templateImEESt5tupleIJNSH_6TensorESM_SM_EERKSM_lbbbEUlllE0_EEPmJS6_EEE10hipError_tPvRmT3_T4_T5_T6_T7_T9_mT8_P12ihipStream_tbDpT10_ENKUlT_T0_E_clISt17integral_constantIbLb1EES1B_IbLb0EEEEDaS17_S18_EUlS17_E_NS1_11comp_targetILNS1_3genE8ELNS1_11target_archE1030ELNS1_3gpuE2ELNS1_3repE0EEENS1_30default_config_static_selectorELNS0_4arch9wavefront6targetE0EEEvT1_.uses_vcc, 0
	.set _ZN7rocprim17ROCPRIM_400000_NS6detail17trampoline_kernelINS0_14default_configENS1_25partition_config_selectorILNS1_17partition_subalgoE8ElNS0_10empty_typeEbEEZZNS1_14partition_implILS5_8ELb0ES3_jPlPS6_PKS6_NS0_5tupleIJS9_S6_EEENSD_IJSA_SA_EEENS0_18inequality_wrapperIZN2at6native12_GLOBAL__N_124unique_dim_cuda_templateImEESt5tupleIJNSH_6TensorESM_SM_EERKSM_lbbbEUlllE0_EEPmJS6_EEE10hipError_tPvRmT3_T4_T5_T6_T7_T9_mT8_P12ihipStream_tbDpT10_ENKUlT_T0_E_clISt17integral_constantIbLb1EES1B_IbLb0EEEEDaS17_S18_EUlS17_E_NS1_11comp_targetILNS1_3genE8ELNS1_11target_archE1030ELNS1_3gpuE2ELNS1_3repE0EEENS1_30default_config_static_selectorELNS0_4arch9wavefront6targetE0EEEvT1_.uses_flat_scratch, 0
	.set _ZN7rocprim17ROCPRIM_400000_NS6detail17trampoline_kernelINS0_14default_configENS1_25partition_config_selectorILNS1_17partition_subalgoE8ElNS0_10empty_typeEbEEZZNS1_14partition_implILS5_8ELb0ES3_jPlPS6_PKS6_NS0_5tupleIJS9_S6_EEENSD_IJSA_SA_EEENS0_18inequality_wrapperIZN2at6native12_GLOBAL__N_124unique_dim_cuda_templateImEESt5tupleIJNSH_6TensorESM_SM_EERKSM_lbbbEUlllE0_EEPmJS6_EEE10hipError_tPvRmT3_T4_T5_T6_T7_T9_mT8_P12ihipStream_tbDpT10_ENKUlT_T0_E_clISt17integral_constantIbLb1EES1B_IbLb0EEEEDaS17_S18_EUlS17_E_NS1_11comp_targetILNS1_3genE8ELNS1_11target_archE1030ELNS1_3gpuE2ELNS1_3repE0EEENS1_30default_config_static_selectorELNS0_4arch9wavefront6targetE0EEEvT1_.has_dyn_sized_stack, 0
	.set _ZN7rocprim17ROCPRIM_400000_NS6detail17trampoline_kernelINS0_14default_configENS1_25partition_config_selectorILNS1_17partition_subalgoE8ElNS0_10empty_typeEbEEZZNS1_14partition_implILS5_8ELb0ES3_jPlPS6_PKS6_NS0_5tupleIJS9_S6_EEENSD_IJSA_SA_EEENS0_18inequality_wrapperIZN2at6native12_GLOBAL__N_124unique_dim_cuda_templateImEESt5tupleIJNSH_6TensorESM_SM_EERKSM_lbbbEUlllE0_EEPmJS6_EEE10hipError_tPvRmT3_T4_T5_T6_T7_T9_mT8_P12ihipStream_tbDpT10_ENKUlT_T0_E_clISt17integral_constantIbLb1EES1B_IbLb0EEEEDaS17_S18_EUlS17_E_NS1_11comp_targetILNS1_3genE8ELNS1_11target_archE1030ELNS1_3gpuE2ELNS1_3repE0EEENS1_30default_config_static_selectorELNS0_4arch9wavefront6targetE0EEEvT1_.has_recursion, 0
	.set _ZN7rocprim17ROCPRIM_400000_NS6detail17trampoline_kernelINS0_14default_configENS1_25partition_config_selectorILNS1_17partition_subalgoE8ElNS0_10empty_typeEbEEZZNS1_14partition_implILS5_8ELb0ES3_jPlPS6_PKS6_NS0_5tupleIJS9_S6_EEENSD_IJSA_SA_EEENS0_18inequality_wrapperIZN2at6native12_GLOBAL__N_124unique_dim_cuda_templateImEESt5tupleIJNSH_6TensorESM_SM_EERKSM_lbbbEUlllE0_EEPmJS6_EEE10hipError_tPvRmT3_T4_T5_T6_T7_T9_mT8_P12ihipStream_tbDpT10_ENKUlT_T0_E_clISt17integral_constantIbLb1EES1B_IbLb0EEEEDaS17_S18_EUlS17_E_NS1_11comp_targetILNS1_3genE8ELNS1_11target_archE1030ELNS1_3gpuE2ELNS1_3repE0EEENS1_30default_config_static_selectorELNS0_4arch9wavefront6targetE0EEEvT1_.has_indirect_call, 0
	.section	.AMDGPU.csdata,"",@progbits
; Kernel info:
; codeLenInByte = 0
; TotalNumSgprs: 0
; NumVgprs: 0
; ScratchSize: 0
; MemoryBound: 0
; FloatMode: 240
; IeeeMode: 1
; LDSByteSize: 0 bytes/workgroup (compile time only)
; SGPRBlocks: 0
; VGPRBlocks: 0
; NumSGPRsForWavesPerEU: 1
; NumVGPRsForWavesPerEU: 1
; NamedBarCnt: 0
; Occupancy: 16
; WaveLimiterHint : 0
; COMPUTE_PGM_RSRC2:SCRATCH_EN: 0
; COMPUTE_PGM_RSRC2:USER_SGPR: 2
; COMPUTE_PGM_RSRC2:TRAP_HANDLER: 0
; COMPUTE_PGM_RSRC2:TGID_X_EN: 1
; COMPUTE_PGM_RSRC2:TGID_Y_EN: 0
; COMPUTE_PGM_RSRC2:TGID_Z_EN: 0
; COMPUTE_PGM_RSRC2:TIDIG_COMP_CNT: 0
	.section	.text._ZN7rocprim17ROCPRIM_400000_NS6detail17trampoline_kernelINS0_14default_configENS1_25partition_config_selectorILNS1_17partition_subalgoE8ElNS0_10empty_typeEbEEZZNS1_14partition_implILS5_8ELb0ES3_jPlPS6_PKS6_NS0_5tupleIJS9_S6_EEENSD_IJSA_SA_EEENS0_18inequality_wrapperIZN2at6native12_GLOBAL__N_124unique_dim_cuda_templateImEESt5tupleIJNSH_6TensorESM_SM_EERKSM_lbbbEUlllE0_EEPmJS6_EEE10hipError_tPvRmT3_T4_T5_T6_T7_T9_mT8_P12ihipStream_tbDpT10_ENKUlT_T0_E_clISt17integral_constantIbLb0EES1B_IbLb1EEEEDaS17_S18_EUlS17_E_NS1_11comp_targetILNS1_3genE0ELNS1_11target_archE4294967295ELNS1_3gpuE0ELNS1_3repE0EEENS1_30default_config_static_selectorELNS0_4arch9wavefront6targetE0EEEvT1_,"axG",@progbits,_ZN7rocprim17ROCPRIM_400000_NS6detail17trampoline_kernelINS0_14default_configENS1_25partition_config_selectorILNS1_17partition_subalgoE8ElNS0_10empty_typeEbEEZZNS1_14partition_implILS5_8ELb0ES3_jPlPS6_PKS6_NS0_5tupleIJS9_S6_EEENSD_IJSA_SA_EEENS0_18inequality_wrapperIZN2at6native12_GLOBAL__N_124unique_dim_cuda_templateImEESt5tupleIJNSH_6TensorESM_SM_EERKSM_lbbbEUlllE0_EEPmJS6_EEE10hipError_tPvRmT3_T4_T5_T6_T7_T9_mT8_P12ihipStream_tbDpT10_ENKUlT_T0_E_clISt17integral_constantIbLb0EES1B_IbLb1EEEEDaS17_S18_EUlS17_E_NS1_11comp_targetILNS1_3genE0ELNS1_11target_archE4294967295ELNS1_3gpuE0ELNS1_3repE0EEENS1_30default_config_static_selectorELNS0_4arch9wavefront6targetE0EEEvT1_,comdat
	.globl	_ZN7rocprim17ROCPRIM_400000_NS6detail17trampoline_kernelINS0_14default_configENS1_25partition_config_selectorILNS1_17partition_subalgoE8ElNS0_10empty_typeEbEEZZNS1_14partition_implILS5_8ELb0ES3_jPlPS6_PKS6_NS0_5tupleIJS9_S6_EEENSD_IJSA_SA_EEENS0_18inequality_wrapperIZN2at6native12_GLOBAL__N_124unique_dim_cuda_templateImEESt5tupleIJNSH_6TensorESM_SM_EERKSM_lbbbEUlllE0_EEPmJS6_EEE10hipError_tPvRmT3_T4_T5_T6_T7_T9_mT8_P12ihipStream_tbDpT10_ENKUlT_T0_E_clISt17integral_constantIbLb0EES1B_IbLb1EEEEDaS17_S18_EUlS17_E_NS1_11comp_targetILNS1_3genE0ELNS1_11target_archE4294967295ELNS1_3gpuE0ELNS1_3repE0EEENS1_30default_config_static_selectorELNS0_4arch9wavefront6targetE0EEEvT1_ ; -- Begin function _ZN7rocprim17ROCPRIM_400000_NS6detail17trampoline_kernelINS0_14default_configENS1_25partition_config_selectorILNS1_17partition_subalgoE8ElNS0_10empty_typeEbEEZZNS1_14partition_implILS5_8ELb0ES3_jPlPS6_PKS6_NS0_5tupleIJS9_S6_EEENSD_IJSA_SA_EEENS0_18inequality_wrapperIZN2at6native12_GLOBAL__N_124unique_dim_cuda_templateImEESt5tupleIJNSH_6TensorESM_SM_EERKSM_lbbbEUlllE0_EEPmJS6_EEE10hipError_tPvRmT3_T4_T5_T6_T7_T9_mT8_P12ihipStream_tbDpT10_ENKUlT_T0_E_clISt17integral_constantIbLb0EES1B_IbLb1EEEEDaS17_S18_EUlS17_E_NS1_11comp_targetILNS1_3genE0ELNS1_11target_archE4294967295ELNS1_3gpuE0ELNS1_3repE0EEENS1_30default_config_static_selectorELNS0_4arch9wavefront6targetE0EEEvT1_
	.p2align	8
	.type	_ZN7rocprim17ROCPRIM_400000_NS6detail17trampoline_kernelINS0_14default_configENS1_25partition_config_selectorILNS1_17partition_subalgoE8ElNS0_10empty_typeEbEEZZNS1_14partition_implILS5_8ELb0ES3_jPlPS6_PKS6_NS0_5tupleIJS9_S6_EEENSD_IJSA_SA_EEENS0_18inequality_wrapperIZN2at6native12_GLOBAL__N_124unique_dim_cuda_templateImEESt5tupleIJNSH_6TensorESM_SM_EERKSM_lbbbEUlllE0_EEPmJS6_EEE10hipError_tPvRmT3_T4_T5_T6_T7_T9_mT8_P12ihipStream_tbDpT10_ENKUlT_T0_E_clISt17integral_constantIbLb0EES1B_IbLb1EEEEDaS17_S18_EUlS17_E_NS1_11comp_targetILNS1_3genE0ELNS1_11target_archE4294967295ELNS1_3gpuE0ELNS1_3repE0EEENS1_30default_config_static_selectorELNS0_4arch9wavefront6targetE0EEEvT1_,@function
_ZN7rocprim17ROCPRIM_400000_NS6detail17trampoline_kernelINS0_14default_configENS1_25partition_config_selectorILNS1_17partition_subalgoE8ElNS0_10empty_typeEbEEZZNS1_14partition_implILS5_8ELb0ES3_jPlPS6_PKS6_NS0_5tupleIJS9_S6_EEENSD_IJSA_SA_EEENS0_18inequality_wrapperIZN2at6native12_GLOBAL__N_124unique_dim_cuda_templateImEESt5tupleIJNSH_6TensorESM_SM_EERKSM_lbbbEUlllE0_EEPmJS6_EEE10hipError_tPvRmT3_T4_T5_T6_T7_T9_mT8_P12ihipStream_tbDpT10_ENKUlT_T0_E_clISt17integral_constantIbLb0EES1B_IbLb1EEEEDaS17_S18_EUlS17_E_NS1_11comp_targetILNS1_3genE0ELNS1_11target_archE4294967295ELNS1_3gpuE0ELNS1_3repE0EEENS1_30default_config_static_selectorELNS0_4arch9wavefront6targetE0EEEvT1_: ; @_ZN7rocprim17ROCPRIM_400000_NS6detail17trampoline_kernelINS0_14default_configENS1_25partition_config_selectorILNS1_17partition_subalgoE8ElNS0_10empty_typeEbEEZZNS1_14partition_implILS5_8ELb0ES3_jPlPS6_PKS6_NS0_5tupleIJS9_S6_EEENSD_IJSA_SA_EEENS0_18inequality_wrapperIZN2at6native12_GLOBAL__N_124unique_dim_cuda_templateImEESt5tupleIJNSH_6TensorESM_SM_EERKSM_lbbbEUlllE0_EEPmJS6_EEE10hipError_tPvRmT3_T4_T5_T6_T7_T9_mT8_P12ihipStream_tbDpT10_ENKUlT_T0_E_clISt17integral_constantIbLb0EES1B_IbLb1EEEEDaS17_S18_EUlS17_E_NS1_11comp_targetILNS1_3genE0ELNS1_11target_archE4294967295ELNS1_3gpuE0ELNS1_3repE0EEENS1_30default_config_static_selectorELNS0_4arch9wavefront6targetE0EEEvT1_
; %bb.0:
	s_clause 0x1
	s_load_b256 s[12:19], s[0:1], 0x40
	s_load_b128 s[8:11], s[0:1], 0x60
	v_cmp_ne_u32_e64 s3, 0, v0
	v_cmp_eq_u32_e64 s2, 0, v0
	s_and_saveexec_b32 s4, s2
	s_cbranch_execz .LBB1687_4
; %bb.1:
	s_mov_b32 s6, exec_lo
	s_mov_b32 s5, exec_lo
	v_mbcnt_lo_u32_b32 v1, s6, 0
                                        ; implicit-def: $vgpr2
	s_delay_alu instid0(VALU_DEP_1)
	v_cmpx_eq_u32_e32 0, v1
	s_cbranch_execz .LBB1687_3
; %bb.2:
	s_load_b64 s[20:21], s[0:1], 0x78
	s_bcnt1_i32_b32 s6, s6
	s_delay_alu instid0(SALU_CYCLE_1)
	v_dual_mov_b32 v2, 0 :: v_dual_mov_b32 v3, s6
	s_wait_xcnt 0x0
	s_wait_kmcnt 0x0
	global_atomic_add_u32 v2, v2, v3, s[20:21] th:TH_ATOMIC_RETURN scope:SCOPE_DEV
.LBB1687_3:
	s_wait_xcnt 0x0
	s_or_b32 exec_lo, exec_lo, s5
	s_wait_loadcnt 0x0
	v_readfirstlane_b32 s5, v2
	s_delay_alu instid0(VALU_DEP_1)
	v_dual_mov_b32 v2, 0 :: v_dual_add_nc_u32 v1, s5, v1
	ds_store_b32 v2, v1
.LBB1687_4:
	s_or_b32 exec_lo, exec_lo, s4
	v_dual_mov_b32 v3, 0 :: v_dual_lshlrev_b32 v18, 3, v0
	s_clause 0x2
	s_load_b128 s[4:7], s[0:1], 0x8
	s_load_b64 s[20:21], s[0:1], 0x28
	s_load_b32 s22, s[0:1], 0x70
	s_wait_dscnt 0x0
	s_barrier_signal -1
	s_barrier_wait -1
	ds_load_b32 v1, v3
	s_wait_dscnt 0x0
	s_barrier_signal -1
	s_barrier_wait -1
	s_wait_kmcnt 0x0
	global_load_b64 v[4:5], v3, s[14:15]
	s_wait_xcnt 0x0
	s_mov_b32 s15, 0
	s_lshl_b64 s[0:1], s[6:7], 3
	s_mul_i32 s14, s22, 0xe00
	s_add_co_i32 s26, s22, -1
	s_add_nc_u64 s[24:25], s[6:7], s[14:15]
	s_add_co_i32 s14, s14, s6
	v_cmp_le_u64_e64 s15, s[16:17], s[24:25]
	v_mul_lo_u32 v2, 0xe00, v1
	v_readfirstlane_b32 s22, v1
	s_sub_co_i32 s23, s16, s14
	s_add_nc_u64 s[0:1], s[4:5], s[0:1]
	s_cmp_eq_u32 s22, s26
	s_cselect_b32 s16, -1, 0
	s_delay_alu instid0(SALU_CYCLE_1) | instskip(SKIP_2) | instid1(SALU_CYCLE_1)
	s_and_b32 s24, s15, s16
	v_lshlrev_b64_e32 v[2:3], 3, v[2:3]
	s_xor_b32 s17, s24, -1
	s_and_b32 vcc_lo, exec_lo, s17
	s_delay_alu instid0(VALU_DEP_1)
	v_add_nc_u64_e32 v[20:21], s[0:1], v[2:3]
	s_mov_b32 s0, -1
	s_wait_loadcnt 0x0
	v_readfirstlane_b32 s14, v4
	v_readfirstlane_b32 s15, v5
	s_cbranch_vccz .LBB1687_6
; %bb.5:
	v_readfirstlane_b32 s0, v20
	v_readfirstlane_b32 s1, v21
	v_lshlrev_b32_e32 v1, 3, v0
	s_clause 0x6
	global_load_b64 v[2:3], v0, s[0:1] scale_offset
	global_load_b64 v[4:5], v0, s[0:1] offset:4096 scale_offset
	global_load_b64 v[6:7], v0, s[0:1] offset:8192 scale_offset
	;; [unrolled: 1-line block ×6, first 2 shown]
	s_wait_xcnt 0x0
	s_mov_b32 s0, 0
	s_wait_loadcnt 0x5
	ds_store_2addr_stride64_b64 v1, v[2:3], v[4:5] offset1:8
	s_wait_loadcnt 0x3
	ds_store_2addr_stride64_b64 v1, v[6:7], v[8:9] offset0:16 offset1:24
	s_wait_loadcnt 0x1
	ds_store_2addr_stride64_b64 v1, v[10:11], v[12:13] offset0:32 offset1:40
	s_wait_loadcnt 0x0
	ds_store_b64 v1, v[14:15] offset:24576
	s_wait_dscnt 0x0
	s_barrier_signal -1
	s_barrier_wait -1
.LBB1687_6:
	s_and_not1_b32 vcc_lo, exec_lo, s0
	s_addk_co_i32 s23, 0xe00
	s_cbranch_vccnz .LBB1687_22
; %bb.7:
	v_mov_b32_e32 v2, 0
	s_mov_b32 s0, exec_lo
	s_delay_alu instid0(VALU_DEP_1)
	v_dual_mov_b32 v3, v2 :: v_dual_mov_b32 v4, v2
	v_dual_mov_b32 v5, v2 :: v_dual_mov_b32 v6, v2
	;; [unrolled: 1-line block ×6, first 2 shown]
	v_mov_b32_e32 v15, v2
	v_cmpx_gt_u32_e64 s23, v0
	s_cbranch_execz .LBB1687_9
; %bb.8:
	v_readfirstlane_b32 s4, v20
	v_readfirstlane_b32 s5, v21
	v_dual_mov_b32 v6, v2 :: v_dual_mov_b32 v7, v2
	v_dual_mov_b32 v8, v2 :: v_dual_mov_b32 v9, v2
	global_load_b64 v[4:5], v0, s[4:5] scale_offset
	v_dual_mov_b32 v10, v2 :: v_dual_mov_b32 v11, v2
	v_dual_mov_b32 v12, v2 :: v_dual_mov_b32 v13, v2
	;; [unrolled: 1-line block ×4, first 2 shown]
	s_wait_loadcnt 0x0
	v_mov_b64_e32 v[2:3], v[4:5]
	v_mov_b64_e32 v[4:5], v[6:7]
	;; [unrolled: 1-line block ×8, first 2 shown]
.LBB1687_9:
	s_or_b32 exec_lo, exec_lo, s0
	v_or_b32_e32 v1, 0x200, v0
	s_mov_b32 s0, exec_lo
	s_delay_alu instid0(VALU_DEP_1)
	v_cmpx_gt_u32_e64 s23, v1
	s_cbranch_execz .LBB1687_11
; %bb.10:
	v_readfirstlane_b32 s4, v20
	v_readfirstlane_b32 s5, v21
	global_load_b64 v[4:5], v0, s[4:5] offset:4096 scale_offset
.LBB1687_11:
	s_wait_xcnt 0x0
	s_or_b32 exec_lo, exec_lo, s0
	v_or_b32_e32 v1, 0x400, v0
	s_mov_b32 s0, exec_lo
	s_delay_alu instid0(VALU_DEP_1)
	v_cmpx_gt_u32_e64 s23, v1
	s_cbranch_execz .LBB1687_13
; %bb.12:
	v_readfirstlane_b32 s4, v20
	v_readfirstlane_b32 s5, v21
	global_load_b64 v[6:7], v0, s[4:5] offset:8192 scale_offset
.LBB1687_13:
	s_wait_xcnt 0x0
	s_or_b32 exec_lo, exec_lo, s0
	v_or_b32_e32 v1, 0x600, v0
	s_mov_b32 s0, exec_lo
	s_delay_alu instid0(VALU_DEP_1)
	v_cmpx_gt_u32_e64 s23, v1
	s_cbranch_execz .LBB1687_15
; %bb.14:
	v_readfirstlane_b32 s4, v20
	v_readfirstlane_b32 s5, v21
	global_load_b64 v[8:9], v0, s[4:5] offset:12288 scale_offset
.LBB1687_15:
	s_wait_xcnt 0x0
	s_or_b32 exec_lo, exec_lo, s0
	v_or_b32_e32 v1, 0x800, v0
	s_mov_b32 s0, exec_lo
	s_delay_alu instid0(VALU_DEP_1)
	v_cmpx_gt_u32_e64 s23, v1
	s_cbranch_execz .LBB1687_17
; %bb.16:
	v_readfirstlane_b32 s4, v20
	v_readfirstlane_b32 s5, v21
	global_load_b64 v[10:11], v0, s[4:5] offset:16384 scale_offset
.LBB1687_17:
	s_wait_xcnt 0x0
	s_or_b32 exec_lo, exec_lo, s0
	v_or_b32_e32 v1, 0xa00, v0
	s_mov_b32 s0, exec_lo
	s_delay_alu instid0(VALU_DEP_1)
	v_cmpx_gt_u32_e64 s23, v1
	s_cbranch_execz .LBB1687_19
; %bb.18:
	v_readfirstlane_b32 s4, v20
	v_readfirstlane_b32 s5, v21
	global_load_b64 v[12:13], v0, s[4:5] offset:20480 scale_offset
.LBB1687_19:
	s_wait_xcnt 0x0
	s_or_b32 exec_lo, exec_lo, s0
	v_or_b32_e32 v1, 0xc00, v0
	s_mov_b32 s0, exec_lo
	s_delay_alu instid0(VALU_DEP_1)
	v_cmpx_gt_u32_e64 s23, v1
	s_cbranch_execz .LBB1687_21
; %bb.20:
	v_readfirstlane_b32 s4, v20
	v_readfirstlane_b32 s5, v21
	global_load_b64 v[14:15], v0, s[4:5] offset:24576 scale_offset
.LBB1687_21:
	s_wait_xcnt 0x0
	s_or_b32 exec_lo, exec_lo, s0
	v_lshlrev_b32_e32 v1, 3, v0
	s_wait_loadcnt 0x0
	ds_store_2addr_stride64_b64 v1, v[2:3], v[4:5] offset1:8
	ds_store_2addr_stride64_b64 v1, v[6:7], v[8:9] offset0:16 offset1:24
	ds_store_2addr_stride64_b64 v1, v[10:11], v[12:13] offset0:32 offset1:40
	ds_store_b64 v1, v[14:15] offset:24576
	s_wait_dscnt 0x0
	s_barrier_signal -1
	s_barrier_wait -1
.LBB1687_22:
	v_mul_u32_u24_e32 v1, 7, v0
	s_cmp_lg_u32 s22, 0
	s_cselect_b32 s25, -1, 0
	s_delay_alu instid0(VALU_DEP_1)
	v_lshlrev_b32_e32 v26, 3, v1
	s_cmp_lg_u64 s[6:7], 0
	v_cmp_gt_i64_e64 s7, s[18:19], 0
	s_cselect_b32 s0, -1, 0
	s_mov_b32 s6, 0
	ds_load_2addr_b64 v[10:13], v26 offset1:1
	ds_load_2addr_b64 v[6:9], v26 offset0:2 offset1:3
	ds_load_2addr_b64 v[2:5], v26 offset0:4 offset1:5
	ds_load_b64 v[14:15], v26 offset:48
	s_or_b32 s0, s0, s25
	s_wait_dscnt 0x0
	s_and_b32 vcc_lo, exec_lo, s0
	s_barrier_signal -1
	s_barrier_wait -1
	s_cbranch_vccz .LBB1687_38
; %bb.23:
	global_load_b64 v[20:21], v[20:21], off offset:-8
	v_cndmask_b32_e64 v27, 0, 1, s7
	v_lshlrev_b32_e32 v28, 3, v0
	s_and_b32 vcc_lo, exec_lo, s17
	s_delay_alu instid0(VALU_DEP_2)
	v_cmp_ne_u32_e64 s0, 1, v27
	ds_store_b64 v28, v[14:15]
	s_cbranch_vccz .LBB1687_40
; %bb.24:
	s_and_b32 vcc_lo, exec_lo, s0
	s_cbranch_vccnz .LBB1687_41
; %bb.25:
	v_mul_u64_e32 v[16:17], s[18:19], v[4:5]
	v_mul_u64_e32 v[22:23], s[18:19], v[14:15]
	s_add_nc_u64 s[4:5], s[18:19], -1
	s_mov_b32 s26, 0
	s_mov_b64 s[0:1], s[4:5]
                                        ; implicit-def: $sgpr6
	s_delay_alu instid0(VALU_DEP_2) | instskip(NEXT) | instid1(VALU_DEP_2)
	v_lshl_add_u64 v[16:17], v[16:17], 3, s[8:9]
	v_lshl_add_u64 v[22:23], v[22:23], 3, s[8:9]
	s_delay_alu instid0(VALU_DEP_2)
	v_mov_b64_e32 v[24:25], v[16:17]
.LBB1687_26:                            ; =>This Inner Loop Header: Depth=1
	global_load_b64 v[30:31], v[24:25], off
	global_load_b64 v[32:33], v[22:23], off
	s_cmp_eq_u64 s[0:1], 0
	s_add_nc_u64 s[28:29], s[0:1], -1
	s_cselect_b32 s1, -1, 0
	s_wait_xcnt 0x1
	v_add_nc_u64_e32 v[24:25], 8, v[24:25]
	s_wait_xcnt 0x0
	v_add_nc_u64_e32 v[22:23], 8, v[22:23]
	s_wait_loadcnt 0x0
	v_cmp_ne_u64_e32 vcc_lo, v[30:31], v[32:33]
	v_cmp_eq_u64_e64 s0, v[30:31], v[32:33]
	s_or_b32 s1, vcc_lo, s1
	s_delay_alu instid0(SALU_CYCLE_1) | instskip(NEXT) | instid1(SALU_CYCLE_1)
	s_and_b32 s1, exec_lo, s1
	s_or_b32 s26, s1, s26
	s_and_not1_b32 s6, s6, exec_lo
	s_and_b32 s27, s0, exec_lo
	s_mov_b64 s[0:1], s[28:29]
	s_or_b32 s6, s6, s27
	s_and_not1_b32 exec_lo, exec_lo, s26
	s_cbranch_execnz .LBB1687_26
; %bb.27:
	s_or_b32 exec_lo, exec_lo, s26
	v_mul_u64_e32 v[22:23], s[18:19], v[2:3]
	s_mov_b32 s27, 0
	s_mov_b64 s[0:1], s[4:5]
                                        ; implicit-def: $sgpr26
	s_delay_alu instid0(VALU_DEP_1) | instskip(NEXT) | instid1(VALU_DEP_1)
	v_lshl_add_u64 v[22:23], v[22:23], 3, s[8:9]
	v_mov_b64_e32 v[24:25], v[22:23]
.LBB1687_28:                            ; =>This Inner Loop Header: Depth=1
	global_load_b64 v[30:31], v[24:25], off
	global_load_b64 v[32:33], v[16:17], off
	s_cmp_eq_u64 s[0:1], 0
	s_add_nc_u64 s[28:29], s[0:1], -1
	s_cselect_b32 s1, -1, 0
	s_wait_xcnt 0x1
	v_add_nc_u64_e32 v[24:25], 8, v[24:25]
	s_wait_xcnt 0x0
	v_add_nc_u64_e32 v[16:17], 8, v[16:17]
	s_wait_loadcnt 0x0
	v_cmp_ne_u64_e32 vcc_lo, v[30:31], v[32:33]
	v_cmp_eq_u64_e64 s0, v[30:31], v[32:33]
	s_or_b32 s1, vcc_lo, s1
	s_delay_alu instid0(SALU_CYCLE_1) | instskip(NEXT) | instid1(SALU_CYCLE_1)
	s_and_b32 s1, exec_lo, s1
	s_or_b32 s27, s1, s27
	s_and_not1_b32 s26, s26, exec_lo
	s_and_b32 s30, s0, exec_lo
	s_mov_b64 s[0:1], s[28:29]
	s_or_b32 s26, s26, s30
	s_and_not1_b32 exec_lo, exec_lo, s27
	s_cbranch_execnz .LBB1687_28
; %bb.29:
	s_or_b32 exec_lo, exec_lo, s27
	v_mul_u64_e32 v[16:17], s[18:19], v[8:9]
	s_mov_b32 s28, 0
	s_mov_b64 s[0:1], s[4:5]
                                        ; implicit-def: $sgpr27
	s_delay_alu instid0(VALU_DEP_1) | instskip(NEXT) | instid1(VALU_DEP_1)
	v_lshl_add_u64 v[16:17], v[16:17], 3, s[8:9]
	v_mov_b64_e32 v[24:25], v[16:17]
.LBB1687_30:                            ; =>This Inner Loop Header: Depth=1
	global_load_b64 v[30:31], v[24:25], off
	global_load_b64 v[32:33], v[22:23], off
	s_cmp_eq_u64 s[0:1], 0
	s_add_nc_u64 s[30:31], s[0:1], -1
	s_cselect_b32 s1, -1, 0
	s_wait_xcnt 0x1
	v_add_nc_u64_e32 v[24:25], 8, v[24:25]
	s_wait_xcnt 0x0
	v_add_nc_u64_e32 v[22:23], 8, v[22:23]
	s_wait_loadcnt 0x0
	v_cmp_ne_u64_e32 vcc_lo, v[30:31], v[32:33]
	v_cmp_eq_u64_e64 s0, v[30:31], v[32:33]
	s_or_b32 s1, vcc_lo, s1
	s_delay_alu instid0(SALU_CYCLE_1) | instskip(NEXT) | instid1(SALU_CYCLE_1)
	s_and_b32 s1, exec_lo, s1
	s_or_b32 s28, s1, s28
	s_and_not1_b32 s27, s27, exec_lo
	s_and_b32 s29, s0, exec_lo
	s_mov_b64 s[0:1], s[30:31]
	s_or_b32 s27, s27, s29
	s_and_not1_b32 exec_lo, exec_lo, s28
	s_cbranch_execnz .LBB1687_30
; %bb.31:
	s_or_b32 exec_lo, exec_lo, s28
	v_mul_u64_e32 v[22:23], s[18:19], v[6:7]
	s_mov_b32 s29, 0
	s_mov_b64 s[0:1], s[4:5]
                                        ; implicit-def: $sgpr28
	s_delay_alu instid0(VALU_DEP_1) | instskip(NEXT) | instid1(VALU_DEP_1)
	v_lshl_add_u64 v[22:23], v[22:23], 3, s[8:9]
	v_mov_b64_e32 v[24:25], v[22:23]
.LBB1687_32:                            ; =>This Inner Loop Header: Depth=1
	global_load_b64 v[30:31], v[24:25], off
	global_load_b64 v[32:33], v[16:17], off
	s_cmp_eq_u64 s[0:1], 0
	s_add_nc_u64 s[30:31], s[0:1], -1
	s_cselect_b32 s1, -1, 0
	s_wait_xcnt 0x1
	v_add_nc_u64_e32 v[24:25], 8, v[24:25]
	s_wait_xcnt 0x0
	v_add_nc_u64_e32 v[16:17], 8, v[16:17]
	s_wait_loadcnt 0x0
	v_cmp_ne_u64_e32 vcc_lo, v[30:31], v[32:33]
	v_cmp_eq_u64_e64 s0, v[30:31], v[32:33]
	s_or_b32 s1, vcc_lo, s1
	s_delay_alu instid0(SALU_CYCLE_1) | instskip(NEXT) | instid1(SALU_CYCLE_1)
	s_and_b32 s1, exec_lo, s1
	s_or_b32 s29, s1, s29
	s_and_not1_b32 s28, s28, exec_lo
	s_and_b32 s33, s0, exec_lo
	s_mov_b64 s[0:1], s[30:31]
	s_or_b32 s28, s28, s33
	s_and_not1_b32 exec_lo, exec_lo, s29
	s_cbranch_execnz .LBB1687_32
; %bb.33:
	s_or_b32 exec_lo, exec_lo, s29
	v_mul_u64_e32 v[16:17], s[18:19], v[12:13]
	s_mov_b32 s30, 0
	s_mov_b64 s[0:1], s[4:5]
                                        ; implicit-def: $sgpr29
	s_delay_alu instid0(VALU_DEP_1) | instskip(NEXT) | instid1(VALU_DEP_1)
	v_lshl_add_u64 v[16:17], v[16:17], 3, s[8:9]
	v_mov_b64_e32 v[24:25], v[16:17]
.LBB1687_34:                            ; =>This Inner Loop Header: Depth=1
	global_load_b64 v[30:31], v[24:25], off
	global_load_b64 v[32:33], v[22:23], off
	s_cmp_eq_u64 s[0:1], 0
	s_add_nc_u64 s[34:35], s[0:1], -1
	s_cselect_b32 s1, -1, 0
	s_wait_xcnt 0x1
	v_add_nc_u64_e32 v[24:25], 8, v[24:25]
	s_wait_xcnt 0x0
	v_add_nc_u64_e32 v[22:23], 8, v[22:23]
	s_wait_loadcnt 0x0
	v_cmp_ne_u64_e32 vcc_lo, v[30:31], v[32:33]
	v_cmp_eq_u64_e64 s0, v[30:31], v[32:33]
	s_or_b32 s1, vcc_lo, s1
	s_delay_alu instid0(SALU_CYCLE_1) | instskip(NEXT) | instid1(SALU_CYCLE_1)
	s_and_b32 s1, exec_lo, s1
	s_or_b32 s30, s1, s30
	s_and_not1_b32 s29, s29, exec_lo
	s_and_b32 s31, s0, exec_lo
	s_mov_b64 s[0:1], s[34:35]
	s_or_b32 s29, s29, s31
	s_and_not1_b32 exec_lo, exec_lo, s30
	s_cbranch_execnz .LBB1687_34
; %bb.35:
	s_or_b32 exec_lo, exec_lo, s30
	v_mul_u64_e32 v[22:23], s[18:19], v[10:11]
	s_mov_b32 s30, 0
                                        ; implicit-def: $sgpr1
	s_delay_alu instid0(VALU_DEP_1)
	v_lshl_add_u64 v[22:23], v[22:23], 3, s[8:9]
.LBB1687_36:                            ; =>This Inner Loop Header: Depth=1
	global_load_b64 v[24:25], v[22:23], off
	global_load_b64 v[30:31], v[16:17], off
	s_cmp_eq_u64 s[4:5], 0
	s_add_nc_u64 s[34:35], s[4:5], -1
	s_cselect_b32 s4, -1, 0
	s_wait_xcnt 0x1
	v_add_nc_u64_e32 v[22:23], 8, v[22:23]
	s_wait_xcnt 0x0
	v_add_nc_u64_e32 v[16:17], 8, v[16:17]
	s_wait_loadcnt 0x0
	v_cmp_ne_u64_e32 vcc_lo, v[24:25], v[30:31]
	v_cmp_eq_u64_e64 s0, v[24:25], v[30:31]
	s_or_b32 s4, vcc_lo, s4
	s_delay_alu instid0(SALU_CYCLE_1) | instskip(NEXT) | instid1(SALU_CYCLE_1)
	s_and_b32 s4, exec_lo, s4
	s_or_b32 s30, s4, s30
	s_and_not1_b32 s1, s1, exec_lo
	s_and_b32 s0, s0, exec_lo
	s_mov_b64 s[4:5], s[34:35]
	s_or_b32 s1, s1, s0
	s_and_not1_b32 exec_lo, exec_lo, s30
	s_cbranch_execnz .LBB1687_36
; %bb.37:
	s_or_b32 exec_lo, exec_lo, s30
	s_xor_b32 s0, s28, -1
	s_delay_alu instid0(SALU_CYCLE_1) | instskip(SKIP_1) | instid1(SALU_CYCLE_1)
	v_cndmask_b32_e64 v16, 0, 1, s0
	s_xor_b32 s0, s29, -1
	v_cndmask_b32_e64 v17, 0, 1, s0
	s_xor_b32 s0, s26, -1
	s_delay_alu instid0(VALU_DEP_2) | instskip(SKIP_2) | instid1(SALU_CYCLE_1)
	v_lshlrev_b16 v16, 8, v16
	v_cndmask_b32_e64 v30, 0, 1, s0
	s_xor_b32 s0, s6, -1
	v_cndmask_b32_e64 v19, 0, 1, s0
	s_delay_alu instid0(VALU_DEP_3) | instskip(SKIP_1) | instid1(VALU_DEP_1)
	v_lshrrev_b32_e32 v16, 8, v16
	s_xor_b32 s0, s27, -1
	v_and_b32_e32 v16, 1, v16
	s_delay_alu instid0(VALU_DEP_1) | instskip(NEXT) | instid1(VALU_DEP_1)
	v_lshlrev_b16 v16, 8, v16
	v_or_b32_e32 v16, v17, v16
	v_cndmask_b32_e64 v17, 0, 1, s0
	s_xor_b32 s0, s1, -1
	s_delay_alu instid0(VALU_DEP_2)
	v_lshlrev_b32_e32 v16, 16, v16
	s_branch .LBB1687_42
.LBB1687_38:
                                        ; implicit-def: $sgpr0
                                        ; implicit-def: $vgpr19
                                        ; implicit-def: $vgpr30
                                        ; implicit-def: $vgpr17
                                        ; implicit-def: $vgpr22
	s_branch .LBB1687_95
.LBB1687_39:
                                        ; implicit-def: $vgpr32
                                        ; implicit-def: $vgpr31
                                        ; implicit-def: $vgpr20
	s_branch .LBB1687_164
.LBB1687_40:
                                        ; implicit-def: $sgpr0
                                        ; implicit-def: $vgpr19
                                        ; implicit-def: $vgpr30
                                        ; implicit-def: $vgpr17
                                        ; implicit-def: $vgpr22
	s_cbranch_execnz .LBB1687_49
	s_branch .LBB1687_94
.LBB1687_41:
	v_dual_mov_b32 v16, 0 :: v_dual_mov_b32 v19, 0
	v_dual_mov_b32 v30, 0 :: v_dual_mov_b32 v17, 0
	s_mov_b32 s0, 0
.LBB1687_42:
	s_wait_loadcnt 0x0
	v_mov_b64_e32 v[22:23], v[20:21]
	s_wait_dscnt 0x0
	s_barrier_signal -1
	s_barrier_wait -1
	s_and_saveexec_b32 s1, s3
; %bb.43:
	v_add_nc_u32_e32 v22, -8, v28
	ds_load_b64 v[22:23], v22
; %bb.44:
	s_or_b32 exec_lo, exec_lo, s1
	v_cndmask_b32_e64 v24, 0, 1, s0
	v_lshrrev_b32_e32 v25, 16, v16
	s_mov_b32 s4, 0
	s_and_not1_b32 vcc_lo, exec_lo, s7
	s_mov_b32 s0, 0
	v_lshlrev_b16 v24, 8, v24
	s_delay_alu instid0(VALU_DEP_1) | instskip(SKIP_1) | instid1(VALU_DEP_2)
	v_bitop3_b16 v24, v16, v24, 0xff bitop3:0xec
	v_perm_b32 v16, v25, v16, 0xc0c0304
	v_and_b32_e32 v29, 0xffff, v24
	s_cbranch_vccnz .LBB1687_48
; %bb.45:
	s_wait_dscnt 0x0
	v_mul_u64_e32 v[22:23], s[18:19], v[22:23]
	v_mul_u64_e32 v[24:25], s[18:19], v[10:11]
	s_add_nc_u64 s[0:1], s[18:19], -1
	s_mov_b32 s5, 0
                                        ; implicit-def: $sgpr6
	s_delay_alu instid0(VALU_DEP_2) | instskip(NEXT) | instid1(VALU_DEP_2)
	v_lshl_add_u64 v[22:23], v[22:23], 3, s[8:9]
	v_lshl_add_u64 v[24:25], v[24:25], 3, s[8:9]
.LBB1687_46:                            ; =>This Inner Loop Header: Depth=1
	global_load_b64 v[32:33], v[22:23], off
	global_load_b64 v[34:35], v[24:25], off
	s_cmp_eq_u64 s[0:1], 0
	s_add_nc_u64 s[26:27], s[0:1], -1
	s_cselect_b32 s1, -1, 0
	s_wait_xcnt 0x1
	v_add_nc_u64_e32 v[22:23], 8, v[22:23]
	s_wait_xcnt 0x0
	v_add_nc_u64_e32 v[24:25], 8, v[24:25]
	s_wait_loadcnt 0x0
	v_cmp_ne_u64_e32 vcc_lo, v[32:33], v[34:35]
	v_cmp_eq_u64_e64 s0, v[32:33], v[34:35]
	s_or_b32 s1, vcc_lo, s1
	s_delay_alu instid0(SALU_CYCLE_1) | instskip(NEXT) | instid1(SALU_CYCLE_1)
	s_and_b32 s1, exec_lo, s1
	s_or_b32 s5, s1, s5
	s_and_not1_b32 s6, s6, exec_lo
	s_and_b32 s28, s0, exec_lo
	s_mov_b64 s[0:1], s[26:27]
	s_or_b32 s6, s6, s28
	s_and_not1_b32 exec_lo, exec_lo, s5
	s_cbranch_execnz .LBB1687_46
; %bb.47:
	s_or_b32 exec_lo, exec_lo, s5
	s_xor_b32 s0, s6, -1
.LBB1687_48:
	s_wait_dscnt 0x0
	s_delay_alu instid0(VALU_DEP_1)
	v_lshl_or_b32 v22, v16, 16, v29
	s_and_b32 vcc_lo, exec_lo, s4
	s_cbranch_vccz .LBB1687_94
.LBB1687_49:
	v_add_nc_u32_e32 v16, 6, v1
	s_mov_b32 s5, 0
	s_mov_b32 s4, 0
	s_mov_b32 s6, exec_lo
	s_wait_xcnt 0x0
	v_cmpx_gt_u32_e64 s23, v16
	s_cbranch_execz .LBB1687_55
; %bb.50:
	s_and_not1_b32 vcc_lo, exec_lo, s7
	s_mov_b32 s0, 0
	s_cbranch_vccnz .LBB1687_54
; %bb.51:
	v_mul_u64_e32 v[16:17], s[18:19], v[4:5]
	v_mul_u64_e32 v[22:23], s[18:19], v[14:15]
	s_add_nc_u64 s[0:1], s[18:19], -1
                                        ; implicit-def: $sgpr7
	s_delay_alu instid0(VALU_DEP_2) | instskip(NEXT) | instid1(VALU_DEP_2)
	v_lshl_add_u64 v[16:17], v[16:17], 3, s[8:9]
	v_lshl_add_u64 v[22:23], v[22:23], 3, s[8:9]
.LBB1687_52:                            ; =>This Inner Loop Header: Depth=1
	global_load_b64 v[24:25], v[16:17], off
	global_load_b64 v[30:31], v[22:23], off
	s_cmp_eq_u64 s[0:1], 0
	s_add_nc_u64 s[26:27], s[0:1], -1
	s_cselect_b32 s1, -1, 0
	s_wait_xcnt 0x1
	v_add_nc_u64_e32 v[16:17], 8, v[16:17]
	s_wait_xcnt 0x0
	v_add_nc_u64_e32 v[22:23], 8, v[22:23]
	s_wait_loadcnt 0x0
	v_cmp_ne_u64_e32 vcc_lo, v[24:25], v[30:31]
	v_cmp_eq_u64_e64 s0, v[24:25], v[30:31]
	s_or_b32 s1, vcc_lo, s1
	s_delay_alu instid0(SALU_CYCLE_1) | instskip(NEXT) | instid1(SALU_CYCLE_1)
	s_and_b32 s1, exec_lo, s1
	s_or_b32 s4, s1, s4
	s_and_not1_b32 s7, s7, exec_lo
	s_and_b32 s28, s0, exec_lo
	s_mov_b64 s[0:1], s[26:27]
	s_or_b32 s7, s7, s28
	s_and_not1_b32 exec_lo, exec_lo, s4
	s_cbranch_execnz .LBB1687_52
; %bb.53:
	s_or_b32 exec_lo, exec_lo, s4
	s_xor_b32 s0, s7, -1
.LBB1687_54:
	s_delay_alu instid0(SALU_CYCLE_1)
	s_and_b32 s4, s0, exec_lo
.LBB1687_55:
	s_or_b32 exec_lo, exec_lo, s6
	v_add_nc_u32_e32 v16, 5, v1
	s_mov_b32 s6, exec_lo
	s_delay_alu instid0(VALU_DEP_1)
	v_cmpx_gt_u32_e64 s23, v16
	s_cbranch_execz .LBB1687_61
; %bb.56:
	v_cmp_ne_u32_e32 vcc_lo, 1, v27
	s_mov_b32 s0, 0
	s_cbranch_vccnz .LBB1687_60
; %bb.57:
	v_mul_u64_e32 v[16:17], s[18:19], v[2:3]
	v_mul_u64_e32 v[22:23], s[18:19], v[4:5]
	s_add_nc_u64 s[0:1], s[18:19], -1
	s_mov_b32 s5, 0
                                        ; implicit-def: $sgpr7
	s_delay_alu instid0(VALU_DEP_2) | instskip(NEXT) | instid1(VALU_DEP_2)
	v_lshl_add_u64 v[16:17], v[16:17], 3, s[8:9]
	v_lshl_add_u64 v[22:23], v[22:23], 3, s[8:9]
.LBB1687_58:                            ; =>This Inner Loop Header: Depth=1
	global_load_b64 v[24:25], v[16:17], off
	global_load_b64 v[30:31], v[22:23], off
	s_cmp_eq_u64 s[0:1], 0
	s_add_nc_u64 s[26:27], s[0:1], -1
	s_cselect_b32 s1, -1, 0
	s_wait_xcnt 0x1
	v_add_nc_u64_e32 v[16:17], 8, v[16:17]
	s_wait_xcnt 0x0
	v_add_nc_u64_e32 v[22:23], 8, v[22:23]
	s_wait_loadcnt 0x0
	v_cmp_ne_u64_e32 vcc_lo, v[24:25], v[30:31]
	v_cmp_eq_u64_e64 s0, v[24:25], v[30:31]
	s_or_b32 s1, vcc_lo, s1
	s_delay_alu instid0(SALU_CYCLE_1) | instskip(NEXT) | instid1(SALU_CYCLE_1)
	s_and_b32 s1, exec_lo, s1
	s_or_b32 s5, s1, s5
	s_and_not1_b32 s7, s7, exec_lo
	s_and_b32 s28, s0, exec_lo
	s_mov_b64 s[0:1], s[26:27]
	s_or_b32 s7, s7, s28
	s_and_not1_b32 exec_lo, exec_lo, s5
	s_cbranch_execnz .LBB1687_58
; %bb.59:
	s_or_b32 exec_lo, exec_lo, s5
	s_xor_b32 s0, s7, -1
.LBB1687_60:
	s_delay_alu instid0(SALU_CYCLE_1)
	s_and_b32 s5, s0, exec_lo
.LBB1687_61:
	s_or_b32 exec_lo, exec_lo, s6
	v_add_nc_u32_e32 v16, 4, v1
	s_mov_b32 s7, 0
	s_mov_b32 s6, 0
	s_mov_b32 s26, exec_lo
	s_delay_alu instid0(VALU_DEP_1)
	v_cmpx_gt_u32_e64 s23, v16
	s_cbranch_execz .LBB1687_67
; %bb.62:
	v_cmp_ne_u32_e32 vcc_lo, 1, v27
	s_mov_b32 s0, 0
	s_cbranch_vccnz .LBB1687_66
; %bb.63:
	v_mul_u64_e32 v[16:17], s[18:19], v[8:9]
	v_mul_u64_e32 v[22:23], s[18:19], v[2:3]
	s_add_nc_u64 s[0:1], s[18:19], -1
                                        ; implicit-def: $sgpr27
	s_delay_alu instid0(VALU_DEP_2) | instskip(NEXT) | instid1(VALU_DEP_2)
	v_lshl_add_u64 v[16:17], v[16:17], 3, s[8:9]
	v_lshl_add_u64 v[22:23], v[22:23], 3, s[8:9]
.LBB1687_64:                            ; =>This Inner Loop Header: Depth=1
	global_load_b64 v[24:25], v[16:17], off
	global_load_b64 v[30:31], v[22:23], off
	s_cmp_eq_u64 s[0:1], 0
	s_add_nc_u64 s[28:29], s[0:1], -1
	s_cselect_b32 s1, -1, 0
	s_wait_xcnt 0x1
	v_add_nc_u64_e32 v[16:17], 8, v[16:17]
	s_wait_xcnt 0x0
	v_add_nc_u64_e32 v[22:23], 8, v[22:23]
	s_wait_loadcnt 0x0
	v_cmp_ne_u64_e32 vcc_lo, v[24:25], v[30:31]
	v_cmp_eq_u64_e64 s0, v[24:25], v[30:31]
	s_or_b32 s1, vcc_lo, s1
	s_delay_alu instid0(SALU_CYCLE_1) | instskip(NEXT) | instid1(SALU_CYCLE_1)
	s_and_b32 s1, exec_lo, s1
	s_or_b32 s6, s1, s6
	s_and_not1_b32 s27, s27, exec_lo
	s_and_b32 s30, s0, exec_lo
	s_mov_b64 s[0:1], s[28:29]
	s_or_b32 s27, s27, s30
	s_and_not1_b32 exec_lo, exec_lo, s6
	s_cbranch_execnz .LBB1687_64
; %bb.65:
	s_or_b32 exec_lo, exec_lo, s6
	s_xor_b32 s0, s27, -1
.LBB1687_66:
	s_delay_alu instid0(SALU_CYCLE_1)
	s_and_b32 s6, s0, exec_lo
.LBB1687_67:
	s_or_b32 exec_lo, exec_lo, s26
	v_add_nc_u32_e32 v16, 3, v1
	s_mov_b32 s26, exec_lo
	s_delay_alu instid0(VALU_DEP_1)
	v_cmpx_gt_u32_e64 s23, v16
	s_cbranch_execz .LBB1687_73
; %bb.68:
	v_cmp_ne_u32_e32 vcc_lo, 1, v27
	s_mov_b32 s0, 0
	s_cbranch_vccnz .LBB1687_72
; %bb.69:
	v_mul_u64_e32 v[16:17], s[18:19], v[6:7]
	v_mul_u64_e32 v[22:23], s[18:19], v[8:9]
	s_add_nc_u64 s[0:1], s[18:19], -1
	s_mov_b32 s7, 0
                                        ; implicit-def: $sgpr27
	s_delay_alu instid0(VALU_DEP_2) | instskip(NEXT) | instid1(VALU_DEP_2)
	v_lshl_add_u64 v[16:17], v[16:17], 3, s[8:9]
	v_lshl_add_u64 v[22:23], v[22:23], 3, s[8:9]
.LBB1687_70:                            ; =>This Inner Loop Header: Depth=1
	global_load_b64 v[24:25], v[16:17], off
	global_load_b64 v[30:31], v[22:23], off
	s_cmp_eq_u64 s[0:1], 0
	s_add_nc_u64 s[28:29], s[0:1], -1
	s_cselect_b32 s1, -1, 0
	s_wait_xcnt 0x1
	v_add_nc_u64_e32 v[16:17], 8, v[16:17]
	s_wait_xcnt 0x0
	v_add_nc_u64_e32 v[22:23], 8, v[22:23]
	s_wait_loadcnt 0x0
	v_cmp_ne_u64_e32 vcc_lo, v[24:25], v[30:31]
	v_cmp_eq_u64_e64 s0, v[24:25], v[30:31]
	s_or_b32 s1, vcc_lo, s1
	s_delay_alu instid0(SALU_CYCLE_1) | instskip(NEXT) | instid1(SALU_CYCLE_1)
	s_and_b32 s1, exec_lo, s1
	s_or_b32 s7, s1, s7
	s_and_not1_b32 s27, s27, exec_lo
	s_and_b32 s30, s0, exec_lo
	s_mov_b64 s[0:1], s[28:29]
	s_or_b32 s27, s27, s30
	s_and_not1_b32 exec_lo, exec_lo, s7
	s_cbranch_execnz .LBB1687_70
; %bb.71:
	s_or_b32 exec_lo, exec_lo, s7
	s_xor_b32 s0, s27, -1
.LBB1687_72:
	s_delay_alu instid0(SALU_CYCLE_1)
	s_and_b32 s7, s0, exec_lo
.LBB1687_73:
	s_or_b32 exec_lo, exec_lo, s26
	v_add_nc_u32_e32 v16, 2, v1
	s_mov_b32 s26, 0
	s_mov_b32 s27, 0
	s_mov_b32 s28, exec_lo
	s_delay_alu instid0(VALU_DEP_1)
	v_cmpx_gt_u32_e64 s23, v16
	s_cbranch_execz .LBB1687_79
; %bb.74:
	v_cmp_ne_u32_e32 vcc_lo, 1, v27
	s_mov_b32 s0, 0
	s_cbranch_vccnz .LBB1687_78
; %bb.75:
	v_mul_u64_e32 v[16:17], s[18:19], v[12:13]
	v_mul_u64_e32 v[22:23], s[18:19], v[6:7]
	s_add_nc_u64 s[0:1], s[18:19], -1
                                        ; implicit-def: $sgpr29
	s_delay_alu instid0(VALU_DEP_2) | instskip(NEXT) | instid1(VALU_DEP_2)
	v_lshl_add_u64 v[16:17], v[16:17], 3, s[8:9]
	v_lshl_add_u64 v[22:23], v[22:23], 3, s[8:9]
.LBB1687_76:                            ; =>This Inner Loop Header: Depth=1
	global_load_b64 v[24:25], v[16:17], off
	global_load_b64 v[30:31], v[22:23], off
	s_cmp_eq_u64 s[0:1], 0
	s_add_nc_u64 s[30:31], s[0:1], -1
	s_cselect_b32 s1, -1, 0
	s_wait_xcnt 0x1
	v_add_nc_u64_e32 v[16:17], 8, v[16:17]
	s_wait_xcnt 0x0
	v_add_nc_u64_e32 v[22:23], 8, v[22:23]
	s_wait_loadcnt 0x0
	v_cmp_ne_u64_e32 vcc_lo, v[24:25], v[30:31]
	v_cmp_eq_u64_e64 s0, v[24:25], v[30:31]
	s_or_b32 s1, vcc_lo, s1
	s_delay_alu instid0(SALU_CYCLE_1) | instskip(NEXT) | instid1(SALU_CYCLE_1)
	s_and_b32 s1, exec_lo, s1
	s_or_b32 s27, s1, s27
	s_and_not1_b32 s29, s29, exec_lo
	s_and_b32 s33, s0, exec_lo
	s_mov_b64 s[0:1], s[30:31]
	s_or_b32 s29, s29, s33
	s_and_not1_b32 exec_lo, exec_lo, s27
	s_cbranch_execnz .LBB1687_76
; %bb.77:
	s_or_b32 exec_lo, exec_lo, s27
	s_xor_b32 s0, s29, -1
.LBB1687_78:
	s_delay_alu instid0(SALU_CYCLE_1)
	s_and_b32 s27, s0, exec_lo
.LBB1687_79:
	s_or_b32 exec_lo, exec_lo, s28
	v_add_nc_u32_e32 v16, 1, v1
	s_mov_b32 s28, exec_lo
	s_delay_alu instid0(VALU_DEP_1)
	v_cmpx_gt_u32_e64 s23, v16
	s_cbranch_execz .LBB1687_85
; %bb.80:
	v_cmp_ne_u32_e32 vcc_lo, 1, v27
	s_mov_b32 s0, 0
	s_cbranch_vccnz .LBB1687_84
; %bb.81:
	v_mul_u64_e32 v[16:17], s[18:19], v[10:11]
	v_mul_u64_e32 v[22:23], s[18:19], v[12:13]
	s_add_nc_u64 s[0:1], s[18:19], -1
	s_mov_b32 s26, 0
                                        ; implicit-def: $sgpr29
	s_delay_alu instid0(VALU_DEP_2) | instskip(NEXT) | instid1(VALU_DEP_2)
	v_lshl_add_u64 v[16:17], v[16:17], 3, s[8:9]
	v_lshl_add_u64 v[22:23], v[22:23], 3, s[8:9]
.LBB1687_82:                            ; =>This Inner Loop Header: Depth=1
	global_load_b64 v[24:25], v[16:17], off
	global_load_b64 v[30:31], v[22:23], off
	s_cmp_eq_u64 s[0:1], 0
	s_add_nc_u64 s[30:31], s[0:1], -1
	s_cselect_b32 s1, -1, 0
	s_wait_xcnt 0x1
	v_add_nc_u64_e32 v[16:17], 8, v[16:17]
	s_wait_xcnt 0x0
	v_add_nc_u64_e32 v[22:23], 8, v[22:23]
	s_wait_loadcnt 0x0
	v_cmp_ne_u64_e32 vcc_lo, v[24:25], v[30:31]
	v_cmp_eq_u64_e64 s0, v[24:25], v[30:31]
	s_or_b32 s1, vcc_lo, s1
	s_delay_alu instid0(SALU_CYCLE_1) | instskip(NEXT) | instid1(SALU_CYCLE_1)
	s_and_b32 s1, exec_lo, s1
	s_or_b32 s26, s1, s26
	s_and_not1_b32 s29, s29, exec_lo
	s_and_b32 s33, s0, exec_lo
	s_mov_b64 s[0:1], s[30:31]
	s_or_b32 s29, s29, s33
	s_and_not1_b32 exec_lo, exec_lo, s26
	s_cbranch_execnz .LBB1687_82
; %bb.83:
	s_or_b32 exec_lo, exec_lo, s26
	s_xor_b32 s0, s29, -1
.LBB1687_84:
	s_delay_alu instid0(SALU_CYCLE_1)
	s_and_b32 s26, s0, exec_lo
.LBB1687_85:
	s_or_b32 exec_lo, exec_lo, s28
	s_wait_loadcnt_dscnt 0x0
	s_barrier_signal -1
	s_barrier_wait -1
	s_and_saveexec_b32 s0, s3
; %bb.86:
	v_add_nc_u32_e32 v16, -8, v28
	ds_load_b64 v[20:21], v16
; %bb.87:
	s_or_b32 exec_lo, exec_lo, s0
	v_cndmask_b32_e64 v16, 0, 1, s7
	v_cndmask_b32_e64 v17, 0, 1, s27
	;; [unrolled: 1-line block ×3, first 2 shown]
	s_mov_b32 s0, 0
	s_mov_b32 s7, exec_lo
	v_lshlrev_b16 v16, 8, v16
	s_delay_alu instid0(VALU_DEP_2) | instskip(NEXT) | instid1(VALU_DEP_2)
	v_lshlrev_b16 v19, 8, v19
	v_or_b32_e32 v16, v17, v16
	s_delay_alu instid0(VALU_DEP_2) | instskip(NEXT) | instid1(VALU_DEP_2)
	v_and_b32_e32 v22, 0xffff, v19
	v_lshlrev_b32_e32 v23, 16, v16
	v_cmpx_gt_u32_e64 s23, v1
	s_cbranch_execz .LBB1687_93
; %bb.88:
	v_cmp_ne_u32_e32 vcc_lo, 1, v27
	s_cbranch_vccnz .LBB1687_92
; %bb.89:
	s_wait_dscnt 0x0
	v_mul_u64_e32 v[16:17], s[18:19], v[20:21]
	v_mul_u64_e32 v[20:21], s[18:19], v[10:11]
	s_add_nc_u64 s[0:1], s[18:19], -1
	s_mov_b32 s26, 0
                                        ; implicit-def: $sgpr27
	s_delay_alu instid0(VALU_DEP_2) | instskip(NEXT) | instid1(VALU_DEP_2)
	v_lshl_add_u64 v[16:17], v[16:17], 3, s[8:9]
	v_lshl_add_u64 v[20:21], v[20:21], 3, s[8:9]
.LBB1687_90:                            ; =>This Inner Loop Header: Depth=1
	global_load_b64 v[24:25], v[16:17], off
	global_load_b64 v[28:29], v[20:21], off
	s_cmp_eq_u64 s[0:1], 0
	s_add_nc_u64 s[28:29], s[0:1], -1
	s_cselect_b32 s1, -1, 0
	s_wait_xcnt 0x1
	v_add_nc_u64_e32 v[16:17], 8, v[16:17]
	s_wait_xcnt 0x0
	v_add_nc_u64_e32 v[20:21], 8, v[20:21]
	s_wait_loadcnt 0x0
	v_cmp_ne_u64_e32 vcc_lo, v[24:25], v[28:29]
	v_cmp_eq_u64_e64 s0, v[24:25], v[28:29]
	s_or_b32 s1, vcc_lo, s1
	s_delay_alu instid0(SALU_CYCLE_1) | instskip(NEXT) | instid1(SALU_CYCLE_1)
	s_and_b32 s1, exec_lo, s1
	s_or_b32 s26, s1, s26
	s_and_not1_b32 s27, s27, exec_lo
	s_and_b32 s30, s0, exec_lo
	s_mov_b64 s[0:1], s[28:29]
	s_or_b32 s27, s27, s30
	s_and_not1_b32 exec_lo, exec_lo, s26
	s_cbranch_execnz .LBB1687_90
; %bb.91:
	s_or_b32 exec_lo, exec_lo, s26
	s_xor_b32 s0, s27, -1
.LBB1687_92:
	s_delay_alu instid0(SALU_CYCLE_1)
	s_and_b32 s0, s0, exec_lo
.LBB1687_93:
	s_or_b32 exec_lo, exec_lo, s7
	v_cndmask_b32_e64 v17, 0, 1, s6
	v_cndmask_b32_e64 v30, 0, 1, s5
	;; [unrolled: 1-line block ×3, first 2 shown]
	v_or_b32_e32 v22, v22, v23
.LBB1687_94:
	s_mov_b32 s6, -1
	s_cbranch_execnz .LBB1687_39
.LBB1687_95:
	v_cmp_gt_i64_e64 s7, s[18:19], 0
	v_mad_i32_i24 v26, 0xffffffd0, v0, v26
	s_and_b32 vcc_lo, exec_lo, s17
	ds_store_b64 v26, v[14:15]
	s_cbranch_vccz .LBB1687_110
; %bb.96:
	s_and_not1_b32 vcc_lo, exec_lo, s7
	s_cbranch_vccnz .LBB1687_111
; %bb.97:
	v_mul_u64_e32 v[16:17], s[18:19], v[4:5]
	s_wait_loadcnt_dscnt 0x1
	v_mul_u64_e32 v[20:21], s[18:19], v[14:15]
	s_add_nc_u64 s[4:5], s[18:19], -1
	s_mov_b32 s27, 0
	s_mov_b64 s[0:1], s[4:5]
                                        ; implicit-def: $sgpr26
	s_delay_alu instid0(VALU_DEP_2) | instskip(NEXT) | instid1(VALU_DEP_2)
	v_lshl_add_u64 v[16:17], v[16:17], 3, s[8:9]
	v_lshl_add_u64 v[20:21], v[20:21], 3, s[8:9]
	s_delay_alu instid0(VALU_DEP_2)
	v_mov_b64_e32 v[22:23], v[16:17]
.LBB1687_98:                            ; =>This Inner Loop Header: Depth=1
	global_load_b64 v[24:25], v[22:23], off
	global_load_b64 v[28:29], v[20:21], off
	s_cmp_eq_u64 s[0:1], 0
	s_add_nc_u64 s[28:29], s[0:1], -1
	s_cselect_b32 s1, -1, 0
	s_wait_xcnt 0x1
	v_add_nc_u64_e32 v[22:23], 8, v[22:23]
	s_wait_xcnt 0x0
	v_add_nc_u64_e32 v[20:21], 8, v[20:21]
	s_wait_loadcnt 0x0
	v_cmp_ne_u64_e32 vcc_lo, v[24:25], v[28:29]
	v_cmp_eq_u64_e64 s0, v[24:25], v[28:29]
	s_or_b32 s1, vcc_lo, s1
	s_delay_alu instid0(SALU_CYCLE_1) | instskip(NEXT) | instid1(SALU_CYCLE_1)
	s_and_b32 s1, exec_lo, s1
	s_or_b32 s27, s1, s27
	s_and_not1_b32 s26, s26, exec_lo
	s_and_b32 s30, s0, exec_lo
	s_mov_b64 s[0:1], s[28:29]
	s_or_b32 s26, s26, s30
	s_and_not1_b32 exec_lo, exec_lo, s27
	s_cbranch_execnz .LBB1687_98
; %bb.99:
	s_or_b32 exec_lo, exec_lo, s27
	v_mul_u64_e32 v[20:21], s[18:19], v[2:3]
	s_mov_b32 s28, 0
	s_mov_b64 s[0:1], s[4:5]
                                        ; implicit-def: $sgpr27
	s_delay_alu instid0(VALU_DEP_1) | instskip(NEXT) | instid1(VALU_DEP_1)
	v_lshl_add_u64 v[20:21], v[20:21], 3, s[8:9]
	v_mov_b64_e32 v[22:23], v[20:21]
.LBB1687_100:                           ; =>This Inner Loop Header: Depth=1
	global_load_b64 v[24:25], v[22:23], off
	global_load_b64 v[28:29], v[16:17], off
	s_cmp_eq_u64 s[0:1], 0
	s_add_nc_u64 s[30:31], s[0:1], -1
	s_cselect_b32 s1, -1, 0
	s_wait_xcnt 0x1
	v_add_nc_u64_e32 v[22:23], 8, v[22:23]
	s_wait_xcnt 0x0
	v_add_nc_u64_e32 v[16:17], 8, v[16:17]
	s_wait_loadcnt 0x0
	v_cmp_ne_u64_e32 vcc_lo, v[24:25], v[28:29]
	v_cmp_eq_u64_e64 s0, v[24:25], v[28:29]
	s_or_b32 s1, vcc_lo, s1
	s_delay_alu instid0(SALU_CYCLE_1) | instskip(NEXT) | instid1(SALU_CYCLE_1)
	s_and_b32 s1, exec_lo, s1
	s_or_b32 s28, s1, s28
	s_and_not1_b32 s27, s27, exec_lo
	s_and_b32 s29, s0, exec_lo
	s_mov_b64 s[0:1], s[30:31]
	s_or_b32 s27, s27, s29
	s_and_not1_b32 exec_lo, exec_lo, s28
	s_cbranch_execnz .LBB1687_100
; %bb.101:
	s_or_b32 exec_lo, exec_lo, s28
	v_mul_u64_e32 v[16:17], s[18:19], v[8:9]
	s_mov_b32 s29, 0
	s_mov_b64 s[0:1], s[4:5]
                                        ; implicit-def: $sgpr28
	s_delay_alu instid0(VALU_DEP_1) | instskip(NEXT) | instid1(VALU_DEP_1)
	v_lshl_add_u64 v[16:17], v[16:17], 3, s[8:9]
	v_mov_b64_e32 v[22:23], v[16:17]
.LBB1687_102:                           ; =>This Inner Loop Header: Depth=1
	global_load_b64 v[24:25], v[22:23], off
	global_load_b64 v[28:29], v[20:21], off
	s_cmp_eq_u64 s[0:1], 0
	s_add_nc_u64 s[30:31], s[0:1], -1
	s_cselect_b32 s1, -1, 0
	s_wait_xcnt 0x1
	v_add_nc_u64_e32 v[22:23], 8, v[22:23]
	s_wait_xcnt 0x0
	v_add_nc_u64_e32 v[20:21], 8, v[20:21]
	s_wait_loadcnt 0x0
	v_cmp_ne_u64_e32 vcc_lo, v[24:25], v[28:29]
	v_cmp_eq_u64_e64 s0, v[24:25], v[28:29]
	s_or_b32 s1, vcc_lo, s1
	s_delay_alu instid0(SALU_CYCLE_1) | instskip(NEXT) | instid1(SALU_CYCLE_1)
	s_and_b32 s1, exec_lo, s1
	s_or_b32 s29, s1, s29
	s_and_not1_b32 s28, s28, exec_lo
	s_and_b32 s33, s0, exec_lo
	s_mov_b64 s[0:1], s[30:31]
	s_or_b32 s28, s28, s33
	s_and_not1_b32 exec_lo, exec_lo, s29
	s_cbranch_execnz .LBB1687_102
; %bb.103:
	s_or_b32 exec_lo, exec_lo, s29
	v_mul_u64_e32 v[20:21], s[18:19], v[6:7]
	s_mov_b32 s30, 0
	s_mov_b64 s[0:1], s[4:5]
                                        ; implicit-def: $sgpr29
	s_delay_alu instid0(VALU_DEP_1) | instskip(NEXT) | instid1(VALU_DEP_1)
	v_lshl_add_u64 v[20:21], v[20:21], 3, s[8:9]
	v_mov_b64_e32 v[22:23], v[20:21]
.LBB1687_104:                           ; =>This Inner Loop Header: Depth=1
	global_load_b64 v[24:25], v[22:23], off
	global_load_b64 v[28:29], v[16:17], off
	s_cmp_eq_u64 s[0:1], 0
	s_add_nc_u64 s[34:35], s[0:1], -1
	s_cselect_b32 s1, -1, 0
	s_wait_xcnt 0x1
	v_add_nc_u64_e32 v[22:23], 8, v[22:23]
	s_wait_xcnt 0x0
	v_add_nc_u64_e32 v[16:17], 8, v[16:17]
	s_wait_loadcnt 0x0
	v_cmp_ne_u64_e32 vcc_lo, v[24:25], v[28:29]
	v_cmp_eq_u64_e64 s0, v[24:25], v[28:29]
	s_or_b32 s1, vcc_lo, s1
	s_delay_alu instid0(SALU_CYCLE_1) | instskip(NEXT) | instid1(SALU_CYCLE_1)
	s_and_b32 s1, exec_lo, s1
	s_or_b32 s30, s1, s30
	s_and_not1_b32 s29, s29, exec_lo
	s_and_b32 s31, s0, exec_lo
	s_mov_b64 s[0:1], s[34:35]
	s_or_b32 s29, s29, s31
	s_and_not1_b32 exec_lo, exec_lo, s30
	s_cbranch_execnz .LBB1687_104
; %bb.105:
	s_or_b32 exec_lo, exec_lo, s30
	v_mul_u64_e32 v[16:17], s[18:19], v[12:13]
	s_mov_b32 s31, 0
	s_mov_b64 s[0:1], s[4:5]
                                        ; implicit-def: $sgpr30
	s_delay_alu instid0(VALU_DEP_1) | instskip(NEXT) | instid1(VALU_DEP_1)
	v_lshl_add_u64 v[16:17], v[16:17], 3, s[8:9]
	v_mov_b64_e32 v[22:23], v[16:17]
.LBB1687_106:                           ; =>This Inner Loop Header: Depth=1
	global_load_b64 v[24:25], v[22:23], off
	global_load_b64 v[28:29], v[20:21], off
	s_cmp_eq_u64 s[0:1], 0
	s_add_nc_u64 s[34:35], s[0:1], -1
	s_cselect_b32 s1, -1, 0
	s_wait_xcnt 0x1
	v_add_nc_u64_e32 v[22:23], 8, v[22:23]
	s_wait_xcnt 0x0
	v_add_nc_u64_e32 v[20:21], 8, v[20:21]
	s_wait_loadcnt 0x0
	v_cmp_ne_u64_e32 vcc_lo, v[24:25], v[28:29]
	v_cmp_eq_u64_e64 s0, v[24:25], v[28:29]
	s_or_b32 s1, vcc_lo, s1
	s_delay_alu instid0(SALU_CYCLE_1) | instskip(NEXT) | instid1(SALU_CYCLE_1)
	s_and_b32 s1, exec_lo, s1
	s_or_b32 s31, s1, s31
	s_and_not1_b32 s30, s30, exec_lo
	s_and_b32 s33, s0, exec_lo
	s_mov_b64 s[0:1], s[34:35]
	s_or_b32 s30, s30, s33
	s_and_not1_b32 exec_lo, exec_lo, s31
	s_cbranch_execnz .LBB1687_106
; %bb.107:
	s_or_b32 exec_lo, exec_lo, s31
	v_mul_u64_e32 v[20:21], s[18:19], v[10:11]
	s_mov_b32 s31, 0
                                        ; implicit-def: $sgpr1
	s_delay_alu instid0(VALU_DEP_1)
	v_lshl_add_u64 v[20:21], v[20:21], 3, s[8:9]
.LBB1687_108:                           ; =>This Inner Loop Header: Depth=1
	global_load_b64 v[22:23], v[20:21], off
	global_load_b64 v[24:25], v[16:17], off
	s_cmp_eq_u64 s[4:5], 0
	s_add_nc_u64 s[34:35], s[4:5], -1
	s_cselect_b32 s4, -1, 0
	s_wait_xcnt 0x1
	v_add_nc_u64_e32 v[20:21], 8, v[20:21]
	s_wait_xcnt 0x0
	v_add_nc_u64_e32 v[16:17], 8, v[16:17]
	s_wait_loadcnt 0x0
	v_cmp_ne_u64_e32 vcc_lo, v[22:23], v[24:25]
	v_cmp_eq_u64_e64 s0, v[22:23], v[24:25]
	s_or_b32 s4, vcc_lo, s4
	s_delay_alu instid0(SALU_CYCLE_1) | instskip(NEXT) | instid1(SALU_CYCLE_1)
	s_and_b32 s4, exec_lo, s4
	s_or_b32 s31, s4, s31
	s_and_not1_b32 s1, s1, exec_lo
	s_and_b32 s0, s0, exec_lo
	s_mov_b64 s[4:5], s[34:35]
	s_or_b32 s1, s1, s0
	s_and_not1_b32 exec_lo, exec_lo, s31
	s_cbranch_execnz .LBB1687_108
; %bb.109:
	s_or_b32 exec_lo, exec_lo, s31
	s_xor_b32 s0, s29, -1
	s_delay_alu instid0(SALU_CYCLE_1) | instskip(SKIP_1) | instid1(SALU_CYCLE_1)
	v_cndmask_b32_e64 v16, 0, 1, s0
	s_xor_b32 s0, s30, -1
	v_cndmask_b32_e64 v17, 0, 1, s0
	s_xor_b32 s0, s27, -1
	s_delay_alu instid0(VALU_DEP_2) | instskip(SKIP_2) | instid1(SALU_CYCLE_1)
	v_lshlrev_b16 v16, 8, v16
	v_cndmask_b32_e64 v30, 0, 1, s0
	s_xor_b32 s0, s26, -1
	v_cndmask_b32_e64 v19, 0, 1, s0
	s_delay_alu instid0(VALU_DEP_3) | instskip(SKIP_1) | instid1(VALU_DEP_1)
	v_lshrrev_b32_e32 v16, 8, v16
	s_xor_b32 s0, s28, -1
	v_and_b32_e32 v16, 1, v16
	s_delay_alu instid0(VALU_DEP_1) | instskip(NEXT) | instid1(VALU_DEP_1)
	v_lshlrev_b16 v16, 8, v16
	v_or_b32_e32 v16, v17, v16
	v_cndmask_b32_e64 v17, 0, 1, s0
	s_xor_b32 s0, s1, -1
	s_delay_alu instid0(VALU_DEP_2)
	v_lshlrev_b32_e32 v16, 16, v16
	s_branch .LBB1687_112
.LBB1687_110:
                                        ; implicit-def: $sgpr0
                                        ; implicit-def: $vgpr19
                                        ; implicit-def: $vgpr30
                                        ; implicit-def: $vgpr17
                                        ; implicit-def: $vgpr22
                                        ; implicit-def: $vgpr32
                                        ; implicit-def: $vgpr31
                                        ; implicit-def: $vgpr20
	s_cbranch_execnz .LBB1687_119
	s_branch .LBB1687_164
.LBB1687_111:
	v_dual_mov_b32 v16, 0 :: v_dual_mov_b32 v19, 0
	v_dual_mov_b32 v30, 0 :: v_dual_mov_b32 v17, 0
	s_mov_b32 s0, 0
.LBB1687_112:
	s_wait_loadcnt_dscnt 0x1
	s_delay_alu instid0(VALU_DEP_1)
	v_dual_lshrrev_b32 v31, 16, v16 :: v_dual_lshrrev_b32 v20, 24, v16
	v_cndmask_b32_e64 v32, 0, 1, s0
	v_mov_b32_e32 v16, 1
	s_wait_dscnt 0x0
	s_barrier_signal -1
	s_barrier_wait -1
                                        ; implicit-def: $sgpr0
                                        ; implicit-def: $vgpr22
	s_and_saveexec_b32 s1, s3
	s_delay_alu instid0(SALU_CYCLE_1)
	s_xor_b32 s4, exec_lo, s1
	s_cbranch_execz .LBB1687_118
; %bb.113:
	v_lshlrev_b16 v21, 8, v20
	v_lshlrev_b16 v22, 8, v32
	s_and_not1_b32 vcc_lo, exec_lo, s7
	s_mov_b32 s0, 0
	s_delay_alu instid0(VALU_DEP_2) | instskip(NEXT) | instid1(VALU_DEP_1)
	v_bitop3_b16 v21, v31, v21, 0xff bitop3:0xec
	v_dual_lshlrev_b32 v21, 16, v21 :: v_dual_bitop2_b32 v22, 1, v22 bitop3:0x54
	s_delay_alu instid0(VALU_DEP_1) | instskip(NEXT) | instid1(VALU_DEP_1)
	v_and_b32_e32 v22, 0xffff, v22
	v_or_b32_e32 v21, v22, v21
	s_cbranch_vccnz .LBB1687_117
; %bb.114:
	v_add_nc_u32_e32 v22, -8, v26
	v_mul_u64_e32 v[24:25], s[18:19], v[10:11]
	s_add_nc_u64 s[0:1], s[18:19], -1
	s_mov_b32 s5, 0
                                        ; implicit-def: $sgpr26
	ds_load_b64 v[22:23], v22
	s_wait_dscnt 0x0
	v_mul_u64_e32 v[22:23], s[18:19], v[22:23]
	v_lshl_add_u64 v[24:25], v[24:25], 3, s[8:9]
	s_delay_alu instid0(VALU_DEP_2)
	v_lshl_add_u64 v[22:23], v[22:23], 3, s[8:9]
.LBB1687_115:                           ; =>This Inner Loop Header: Depth=1
	global_load_b64 v[28:29], v[22:23], off
	global_load_b64 v[34:35], v[24:25], off
	s_cmp_eq_u64 s[0:1], 0
	s_add_nc_u64 s[28:29], s[0:1], -1
	s_cselect_b32 s1, -1, 0
	s_wait_xcnt 0x1
	v_add_nc_u64_e32 v[22:23], 8, v[22:23]
	s_wait_xcnt 0x0
	v_add_nc_u64_e32 v[24:25], 8, v[24:25]
	s_wait_loadcnt 0x0
	v_cmp_ne_u64_e32 vcc_lo, v[28:29], v[34:35]
	v_cmp_eq_u64_e64 s0, v[28:29], v[34:35]
	s_or_b32 s1, vcc_lo, s1
	s_delay_alu instid0(SALU_CYCLE_1) | instskip(NEXT) | instid1(SALU_CYCLE_1)
	s_and_b32 s1, exec_lo, s1
	s_or_b32 s5, s1, s5
	s_and_not1_b32 s26, s26, exec_lo
	s_and_b32 s27, s0, exec_lo
	s_mov_b64 s[0:1], s[28:29]
	s_or_b32 s26, s26, s27
	s_and_not1_b32 exec_lo, exec_lo, s5
	s_cbranch_execnz .LBB1687_115
; %bb.116:
	s_or_b32 exec_lo, exec_lo, s5
	s_xor_b32 s0, s26, -1
.LBB1687_117:
	s_delay_alu instid0(VALU_DEP_1)
	v_perm_b32 v22, v21, v21, 0x3020104
	s_or_b32 s6, s6, exec_lo
.LBB1687_118:
	s_or_b32 exec_lo, exec_lo, s4
	s_branch .LBB1687_164
.LBB1687_119:
	v_add_nc_u32_e32 v16, 6, v1
	s_mov_b32 s5, 0
	s_mov_b32 s4, 0
	s_mov_b32 s26, exec_lo
	s_wait_xcnt 0x0
	v_cmpx_gt_u32_e64 s23, v16
	s_cbranch_execz .LBB1687_125
; %bb.120:
	s_and_not1_b32 vcc_lo, exec_lo, s7
	s_mov_b32 s0, 0
	s_cbranch_vccnz .LBB1687_124
; %bb.121:
	v_mul_u64_e32 v[16:17], s[18:19], v[4:5]
	s_wait_loadcnt_dscnt 0x1
	v_mul_u64_e32 v[20:21], s[18:19], v[14:15]
	s_add_nc_u64 s[0:1], s[18:19], -1
                                        ; implicit-def: $sgpr27
	s_delay_alu instid0(VALU_DEP_2) | instskip(NEXT) | instid1(VALU_DEP_2)
	v_lshl_add_u64 v[16:17], v[16:17], 3, s[8:9]
	v_lshl_add_u64 v[20:21], v[20:21], 3, s[8:9]
.LBB1687_122:                           ; =>This Inner Loop Header: Depth=1
	global_load_b64 v[22:23], v[16:17], off
	global_load_b64 v[24:25], v[20:21], off
	s_cmp_eq_u64 s[0:1], 0
	s_add_nc_u64 s[28:29], s[0:1], -1
	s_cselect_b32 s1, -1, 0
	s_wait_xcnt 0x1
	v_add_nc_u64_e32 v[16:17], 8, v[16:17]
	s_wait_xcnt 0x0
	v_add_nc_u64_e32 v[20:21], 8, v[20:21]
	s_wait_loadcnt 0x0
	v_cmp_ne_u64_e32 vcc_lo, v[22:23], v[24:25]
	v_cmp_eq_u64_e64 s0, v[22:23], v[24:25]
	s_or_b32 s1, vcc_lo, s1
	s_delay_alu instid0(SALU_CYCLE_1) | instskip(NEXT) | instid1(SALU_CYCLE_1)
	s_and_b32 s1, exec_lo, s1
	s_or_b32 s4, s1, s4
	s_and_not1_b32 s27, s27, exec_lo
	s_and_b32 s30, s0, exec_lo
	s_mov_b64 s[0:1], s[28:29]
	s_or_b32 s27, s27, s30
	s_and_not1_b32 exec_lo, exec_lo, s4
	s_cbranch_execnz .LBB1687_122
; %bb.123:
	s_or_b32 exec_lo, exec_lo, s4
	s_xor_b32 s0, s27, -1
.LBB1687_124:
	s_delay_alu instid0(SALU_CYCLE_1)
	s_and_b32 s4, s0, exec_lo
.LBB1687_125:
	s_or_b32 exec_lo, exec_lo, s26
	v_add_nc_u32_e32 v16, 5, v1
	s_mov_b32 s26, exec_lo
	s_delay_alu instid0(VALU_DEP_1)
	v_cmpx_gt_u32_e64 s23, v16
	s_cbranch_execz .LBB1687_131
; %bb.126:
	s_and_not1_b32 vcc_lo, exec_lo, s7
	s_mov_b32 s0, 0
	s_cbranch_vccnz .LBB1687_130
; %bb.127:
	v_mul_u64_e32 v[16:17], s[18:19], v[2:3]
	s_wait_loadcnt_dscnt 0x1
	v_mul_u64_e32 v[20:21], s[18:19], v[4:5]
	s_add_nc_u64 s[0:1], s[18:19], -1
	s_mov_b32 s5, 0
                                        ; implicit-def: $sgpr27
	s_delay_alu instid0(VALU_DEP_2) | instskip(NEXT) | instid1(VALU_DEP_2)
	v_lshl_add_u64 v[16:17], v[16:17], 3, s[8:9]
	v_lshl_add_u64 v[20:21], v[20:21], 3, s[8:9]
.LBB1687_128:                           ; =>This Inner Loop Header: Depth=1
	global_load_b64 v[22:23], v[16:17], off
	global_load_b64 v[24:25], v[20:21], off
	s_cmp_eq_u64 s[0:1], 0
	s_add_nc_u64 s[28:29], s[0:1], -1
	s_cselect_b32 s1, -1, 0
	s_wait_xcnt 0x1
	v_add_nc_u64_e32 v[16:17], 8, v[16:17]
	s_wait_xcnt 0x0
	v_add_nc_u64_e32 v[20:21], 8, v[20:21]
	s_wait_loadcnt 0x0
	v_cmp_ne_u64_e32 vcc_lo, v[22:23], v[24:25]
	v_cmp_eq_u64_e64 s0, v[22:23], v[24:25]
	s_or_b32 s1, vcc_lo, s1
	s_delay_alu instid0(SALU_CYCLE_1) | instskip(NEXT) | instid1(SALU_CYCLE_1)
	s_and_b32 s1, exec_lo, s1
	s_or_b32 s5, s1, s5
	s_and_not1_b32 s27, s27, exec_lo
	s_and_b32 s30, s0, exec_lo
	s_mov_b64 s[0:1], s[28:29]
	s_or_b32 s27, s27, s30
	s_and_not1_b32 exec_lo, exec_lo, s5
	s_cbranch_execnz .LBB1687_128
; %bb.129:
	s_or_b32 exec_lo, exec_lo, s5
	s_xor_b32 s0, s27, -1
.LBB1687_130:
	s_delay_alu instid0(SALU_CYCLE_1)
	s_and_b32 s5, s0, exec_lo
.LBB1687_131:
	s_or_b32 exec_lo, exec_lo, s26
	v_add_nc_u32_e32 v16, 4, v1
	s_mov_b32 s26, 0
	s_mov_b32 s27, 0
	s_mov_b32 s28, exec_lo
	s_delay_alu instid0(VALU_DEP_1)
	v_cmpx_gt_u32_e64 s23, v16
	s_cbranch_execz .LBB1687_137
; %bb.132:
	s_and_not1_b32 vcc_lo, exec_lo, s7
	s_mov_b32 s0, 0
	s_cbranch_vccnz .LBB1687_136
; %bb.133:
	v_mul_u64_e32 v[16:17], s[18:19], v[8:9]
	s_wait_loadcnt_dscnt 0x1
	v_mul_u64_e32 v[20:21], s[18:19], v[2:3]
	s_add_nc_u64 s[0:1], s[18:19], -1
                                        ; implicit-def: $sgpr29
	s_delay_alu instid0(VALU_DEP_2) | instskip(NEXT) | instid1(VALU_DEP_2)
	v_lshl_add_u64 v[16:17], v[16:17], 3, s[8:9]
	v_lshl_add_u64 v[20:21], v[20:21], 3, s[8:9]
.LBB1687_134:                           ; =>This Inner Loop Header: Depth=1
	global_load_b64 v[22:23], v[16:17], off
	global_load_b64 v[24:25], v[20:21], off
	s_cmp_eq_u64 s[0:1], 0
	s_add_nc_u64 s[30:31], s[0:1], -1
	s_cselect_b32 s1, -1, 0
	s_wait_xcnt 0x1
	v_add_nc_u64_e32 v[16:17], 8, v[16:17]
	s_wait_xcnt 0x0
	v_add_nc_u64_e32 v[20:21], 8, v[20:21]
	s_wait_loadcnt 0x0
	v_cmp_ne_u64_e32 vcc_lo, v[22:23], v[24:25]
	v_cmp_eq_u64_e64 s0, v[22:23], v[24:25]
	s_or_b32 s1, vcc_lo, s1
	s_delay_alu instid0(SALU_CYCLE_1) | instskip(NEXT) | instid1(SALU_CYCLE_1)
	s_and_b32 s1, exec_lo, s1
	s_or_b32 s27, s1, s27
	s_and_not1_b32 s29, s29, exec_lo
	s_and_b32 s33, s0, exec_lo
	s_mov_b64 s[0:1], s[30:31]
	s_or_b32 s29, s29, s33
	s_and_not1_b32 exec_lo, exec_lo, s27
	s_cbranch_execnz .LBB1687_134
; %bb.135:
	s_or_b32 exec_lo, exec_lo, s27
	s_xor_b32 s0, s29, -1
.LBB1687_136:
	s_delay_alu instid0(SALU_CYCLE_1)
	s_and_b32 s27, s0, exec_lo
.LBB1687_137:
	s_or_b32 exec_lo, exec_lo, s28
	v_add_nc_u32_e32 v16, 3, v1
	s_mov_b32 s28, exec_lo
	s_delay_alu instid0(VALU_DEP_1)
	v_cmpx_gt_u32_e64 s23, v16
	s_cbranch_execz .LBB1687_143
; %bb.138:
	s_and_not1_b32 vcc_lo, exec_lo, s7
	s_mov_b32 s0, 0
	s_cbranch_vccnz .LBB1687_142
; %bb.139:
	v_mul_u64_e32 v[16:17], s[18:19], v[6:7]
	s_wait_loadcnt_dscnt 0x1
	v_mul_u64_e32 v[20:21], s[18:19], v[8:9]
	s_add_nc_u64 s[0:1], s[18:19], -1
	s_mov_b32 s26, 0
                                        ; implicit-def: $sgpr29
	s_delay_alu instid0(VALU_DEP_2) | instskip(NEXT) | instid1(VALU_DEP_2)
	v_lshl_add_u64 v[16:17], v[16:17], 3, s[8:9]
	v_lshl_add_u64 v[20:21], v[20:21], 3, s[8:9]
.LBB1687_140:                           ; =>This Inner Loop Header: Depth=1
	global_load_b64 v[22:23], v[16:17], off
	global_load_b64 v[24:25], v[20:21], off
	s_cmp_eq_u64 s[0:1], 0
	s_add_nc_u64 s[30:31], s[0:1], -1
	s_cselect_b32 s1, -1, 0
	s_wait_xcnt 0x1
	v_add_nc_u64_e32 v[16:17], 8, v[16:17]
	s_wait_xcnt 0x0
	v_add_nc_u64_e32 v[20:21], 8, v[20:21]
	s_wait_loadcnt 0x0
	v_cmp_ne_u64_e32 vcc_lo, v[22:23], v[24:25]
	v_cmp_eq_u64_e64 s0, v[22:23], v[24:25]
	s_or_b32 s1, vcc_lo, s1
	s_delay_alu instid0(SALU_CYCLE_1) | instskip(NEXT) | instid1(SALU_CYCLE_1)
	s_and_b32 s1, exec_lo, s1
	s_or_b32 s26, s1, s26
	s_and_not1_b32 s29, s29, exec_lo
	s_and_b32 s33, s0, exec_lo
	s_mov_b64 s[0:1], s[30:31]
	s_or_b32 s29, s29, s33
	s_and_not1_b32 exec_lo, exec_lo, s26
	s_cbranch_execnz .LBB1687_140
; %bb.141:
	s_or_b32 exec_lo, exec_lo, s26
	s_xor_b32 s0, s29, -1
.LBB1687_142:
	s_delay_alu instid0(SALU_CYCLE_1)
	s_and_b32 s26, s0, exec_lo
.LBB1687_143:
	s_or_b32 exec_lo, exec_lo, s28
	v_add_nc_u32_e32 v16, 2, v1
	s_mov_b32 s28, 0
	s_mov_b32 s29, 0
	s_mov_b32 s30, exec_lo
	s_delay_alu instid0(VALU_DEP_1)
	v_cmpx_gt_u32_e64 s23, v16
	s_cbranch_execz .LBB1687_149
; %bb.144:
	s_and_not1_b32 vcc_lo, exec_lo, s7
	s_mov_b32 s0, 0
	s_cbranch_vccnz .LBB1687_148
; %bb.145:
	v_mul_u64_e32 v[16:17], s[18:19], v[12:13]
	s_wait_loadcnt_dscnt 0x1
	v_mul_u64_e32 v[20:21], s[18:19], v[6:7]
	s_add_nc_u64 s[0:1], s[18:19], -1
                                        ; implicit-def: $sgpr31
	s_delay_alu instid0(VALU_DEP_2) | instskip(NEXT) | instid1(VALU_DEP_2)
	v_lshl_add_u64 v[16:17], v[16:17], 3, s[8:9]
	v_lshl_add_u64 v[20:21], v[20:21], 3, s[8:9]
.LBB1687_146:                           ; =>This Inner Loop Header: Depth=1
	global_load_b64 v[22:23], v[16:17], off
	global_load_b64 v[24:25], v[20:21], off
	s_cmp_eq_u64 s[0:1], 0
	s_add_nc_u64 s[34:35], s[0:1], -1
	s_cselect_b32 s1, -1, 0
	s_wait_xcnt 0x1
	v_add_nc_u64_e32 v[16:17], 8, v[16:17]
	s_wait_xcnt 0x0
	v_add_nc_u64_e32 v[20:21], 8, v[20:21]
	s_wait_loadcnt 0x0
	v_cmp_ne_u64_e32 vcc_lo, v[22:23], v[24:25]
	v_cmp_eq_u64_e64 s0, v[22:23], v[24:25]
	s_or_b32 s1, vcc_lo, s1
	s_delay_alu instid0(SALU_CYCLE_1) | instskip(NEXT) | instid1(SALU_CYCLE_1)
	s_and_b32 s1, exec_lo, s1
	s_or_b32 s29, s1, s29
	s_and_not1_b32 s31, s31, exec_lo
	s_and_b32 s33, s0, exec_lo
	s_mov_b64 s[0:1], s[34:35]
	s_or_b32 s31, s31, s33
	s_and_not1_b32 exec_lo, exec_lo, s29
	s_cbranch_execnz .LBB1687_146
; %bb.147:
	s_or_b32 exec_lo, exec_lo, s29
	s_xor_b32 s0, s31, -1
.LBB1687_148:
	s_delay_alu instid0(SALU_CYCLE_1)
	s_and_b32 s29, s0, exec_lo
.LBB1687_149:
	s_or_b32 exec_lo, exec_lo, s30
	v_add_nc_u32_e32 v16, 1, v1
	s_mov_b32 s30, exec_lo
	s_delay_alu instid0(VALU_DEP_1)
	v_cmpx_gt_u32_e64 s23, v16
	s_cbranch_execz .LBB1687_155
; %bb.150:
	s_and_not1_b32 vcc_lo, exec_lo, s7
	s_mov_b32 s0, 0
	s_cbranch_vccnz .LBB1687_154
; %bb.151:
	v_mul_u64_e32 v[16:17], s[18:19], v[10:11]
	s_wait_loadcnt_dscnt 0x1
	v_mul_u64_e32 v[20:21], s[18:19], v[12:13]
	s_add_nc_u64 s[0:1], s[18:19], -1
	s_mov_b32 s28, 0
                                        ; implicit-def: $sgpr31
	s_delay_alu instid0(VALU_DEP_2) | instskip(NEXT) | instid1(VALU_DEP_2)
	v_lshl_add_u64 v[16:17], v[16:17], 3, s[8:9]
	v_lshl_add_u64 v[20:21], v[20:21], 3, s[8:9]
.LBB1687_152:                           ; =>This Inner Loop Header: Depth=1
	global_load_b64 v[22:23], v[16:17], off
	global_load_b64 v[24:25], v[20:21], off
	s_cmp_eq_u64 s[0:1], 0
	s_add_nc_u64 s[34:35], s[0:1], -1
	s_cselect_b32 s1, -1, 0
	s_wait_xcnt 0x1
	v_add_nc_u64_e32 v[16:17], 8, v[16:17]
	s_wait_xcnt 0x0
	v_add_nc_u64_e32 v[20:21], 8, v[20:21]
	s_wait_loadcnt 0x0
	v_cmp_ne_u64_e32 vcc_lo, v[22:23], v[24:25]
	v_cmp_eq_u64_e64 s0, v[22:23], v[24:25]
	s_or_b32 s1, vcc_lo, s1
	s_delay_alu instid0(SALU_CYCLE_1) | instskip(NEXT) | instid1(SALU_CYCLE_1)
	s_and_b32 s1, exec_lo, s1
	s_or_b32 s28, s1, s28
	s_and_not1_b32 s31, s31, exec_lo
	s_and_b32 s33, s0, exec_lo
	s_mov_b64 s[0:1], s[34:35]
	s_or_b32 s31, s31, s33
	s_and_not1_b32 exec_lo, exec_lo, s28
	s_cbranch_execnz .LBB1687_152
; %bb.153:
	s_or_b32 exec_lo, exec_lo, s28
	s_xor_b32 s0, s31, -1
.LBB1687_154:
	s_delay_alu instid0(SALU_CYCLE_1)
	s_and_b32 s28, s0, exec_lo
.LBB1687_155:
	s_or_b32 exec_lo, exec_lo, s30
	v_cndmask_b32_e64 v17, 0, 1, s27
	v_cndmask_b32_e64 v30, 0, 1, s5
	;; [unrolled: 1-line block ×4, first 2 shown]
	s_wait_loadcnt_dscnt 0x1
	v_cndmask_b32_e64 v20, 0, 1, s26
	v_cndmask_b32_e64 v32, 0, 1, s28
	v_mov_b32_e32 v16, 1
	s_wait_dscnt 0x0
	s_barrier_signal -1
	s_barrier_wait -1
                                        ; implicit-def: $sgpr0
                                        ; implicit-def: $vgpr22
	s_and_saveexec_b32 s4, s3
	s_cbranch_execz .LBB1687_163
; %bb.156:
	v_lshlrev_b16 v21, 8, v32
	v_lshlrev_b16 v22, 8, v20
	s_mov_b32 s0, 0
	s_mov_b32 s3, exec_lo
	s_delay_alu instid0(VALU_DEP_1) | instskip(NEXT) | instid1(VALU_DEP_1)
	v_or_b32_e32 v22, v31, v22
	v_dual_lshlrev_b32 v22, 16, v22 :: v_dual_bitop2_b32 v21, 1, v21 bitop3:0x54
	s_delay_alu instid0(VALU_DEP_1) | instskip(NEXT) | instid1(VALU_DEP_1)
	v_and_b32_e32 v21, 0xffff, v21
	v_or_b32_e32 v21, v21, v22
	v_cmpx_gt_u32_e64 s23, v1
	s_cbranch_execz .LBB1687_162
; %bb.157:
	s_and_not1_b32 vcc_lo, exec_lo, s7
	s_cbranch_vccnz .LBB1687_161
; %bb.158:
	v_add_nc_u32_e32 v22, -8, v26
	v_mul_u64_e32 v[24:25], s[18:19], v[10:11]
	s_add_nc_u64 s[0:1], s[18:19], -1
	s_mov_b32 s5, 0
                                        ; implicit-def: $sgpr7
	ds_load_b64 v[22:23], v22
	s_wait_dscnt 0x0
	v_mul_u64_e32 v[22:23], s[18:19], v[22:23]
	v_lshl_add_u64 v[24:25], v[24:25], 3, s[8:9]
	s_delay_alu instid0(VALU_DEP_2)
	v_lshl_add_u64 v[22:23], v[22:23], 3, s[8:9]
.LBB1687_159:                           ; =>This Inner Loop Header: Depth=1
	global_load_b64 v[26:27], v[22:23], off
	global_load_b64 v[28:29], v[24:25], off
	s_cmp_eq_u64 s[0:1], 0
	s_add_nc_u64 s[8:9], s[0:1], -1
	s_cselect_b32 s1, -1, 0
	s_wait_xcnt 0x1
	v_add_nc_u64_e32 v[22:23], 8, v[22:23]
	s_wait_xcnt 0x0
	v_add_nc_u64_e32 v[24:25], 8, v[24:25]
	s_wait_loadcnt 0x0
	v_cmp_ne_u64_e32 vcc_lo, v[26:27], v[28:29]
	v_cmp_eq_u64_e64 s0, v[26:27], v[28:29]
	s_or_b32 s1, vcc_lo, s1
	s_delay_alu instid0(SALU_CYCLE_1) | instskip(NEXT) | instid1(SALU_CYCLE_1)
	s_and_b32 s1, exec_lo, s1
	s_or_b32 s5, s1, s5
	s_and_not1_b32 s7, s7, exec_lo
	s_and_b32 s18, s0, exec_lo
	s_mov_b64 s[0:1], s[8:9]
	s_or_b32 s7, s7, s18
	s_and_not1_b32 exec_lo, exec_lo, s5
	s_cbranch_execnz .LBB1687_159
; %bb.160:
	s_or_b32 exec_lo, exec_lo, s5
	s_xor_b32 s0, s7, -1
.LBB1687_161:
	s_delay_alu instid0(SALU_CYCLE_1)
	s_and_b32 s0, s0, exec_lo
.LBB1687_162:
	s_or_b32 exec_lo, exec_lo, s3
	s_delay_alu instid0(VALU_DEP_2)
	v_perm_b32 v22, v21, v21, 0x3020104
	s_or_b32 s6, s6, exec_lo
.LBB1687_163:
	s_or_b32 exec_lo, exec_lo, s4
.LBB1687_164:
	s_wait_xcnt 0x0
	s_and_saveexec_b32 s1, s6
	s_cbranch_execz .LBB1687_166
; %bb.165:
	s_wait_loadcnt_dscnt 0x0
	v_dual_lshrrev_b32 v20, 24, v22 :: v_dual_lshrrev_b32 v31, 16, v22
	v_lshrrev_b32_e32 v32, 8, v22
	v_cndmask_b32_e64 v16, 0, 1, s0
.LBB1687_166:
	s_or_b32 exec_lo, exec_lo, s1
	s_delay_alu instid0(SALU_CYCLE_1)
	s_and_not1_b32 vcc_lo, exec_lo, s24
	s_cbranch_vccnz .LBB1687_170
; %bb.167:
	s_delay_alu instid0(VALU_DEP_1)
	v_perm_b32 v16, v16, v32, 0xc0c0004
	s_wait_loadcnt_dscnt 0x0
	v_perm_b32 v20, v31, v20, 0xc0c0004
	v_cmp_gt_u32_e32 vcc_lo, s23, v1
	v_and_b32_e32 v19, 0xff, v19
	v_perm_b32 v17, v17, v30, 0xc0c0004
	v_add_nc_u32_e32 v21, 1, v1
	v_lshl_or_b32 v16, v20, 16, v16
	s_delay_alu instid0(VALU_DEP_4) | instskip(NEXT) | instid1(VALU_DEP_2)
	v_dual_add_nc_u32 v22, 4, v1 :: v_dual_lshlrev_b32 v19, 16, v19
	v_cndmask_b32_e32 v20, 0, v16, vcc_lo
	s_delay_alu instid0(VALU_DEP_4) | instskip(SKIP_1) | instid1(VALU_DEP_3)
	v_cmp_gt_u32_e32 vcc_lo, s23, v21
	v_add_nc_u32_e32 v21, 2, v1
	v_and_b32_e32 v20, 0xff, v20
	s_delay_alu instid0(VALU_DEP_1) | instskip(NEXT) | instid1(VALU_DEP_3)
	v_cndmask_b32_e32 v20, v20, v16, vcc_lo
	v_cmp_gt_u32_e32 vcc_lo, s23, v21
	s_delay_alu instid0(VALU_DEP_2) | instskip(SKIP_2) | instid1(VALU_DEP_3)
	v_and_b32_e32 v20, 0xffff, v20
	v_or_b32_e32 v23, v17, v19
	v_bitop3_b32 v17, v17, 0xffff00, v19 bitop3:0xc8
	v_cndmask_b32_e32 v19, v20, v16, vcc_lo
	v_cmp_gt_u32_e32 vcc_lo, s23, v22
	v_add_nc_u32_e32 v20, 5, v1
	s_delay_alu instid0(VALU_DEP_3) | instskip(SKIP_1) | instid1(VALU_DEP_3)
	v_and_b32_e32 v19, 0xffffff, v19
	v_dual_add_nc_u32 v21, 3, v1 :: v_dual_cndmask_b32 v17, v17, v23, vcc_lo
	v_cmp_gt_u32_e64 s0, s23, v20
	s_delay_alu instid0(VALU_DEP_2) | instskip(NEXT) | instid1(VALU_DEP_3)
	v_cmp_gt_u32_e64 s1, s23, v21
	v_and_b32_e32 v17, 0xffff00ff, v17
	s_or_b32 vcc_lo, s0, vcc_lo
	s_delay_alu instid0(VALU_DEP_1) | instskip(SKIP_1) | instid1(VALU_DEP_1)
	v_dual_cndmask_b32 v19, v19, v16, s1 :: v_dual_cndmask_b32 v17, v17, v23, s0
	s_mov_b32 s0, exec_lo
	v_dual_cndmask_b32 v16, v19, v16 :: v_dual_add_nc_u32 v1, 6, v1
	s_delay_alu instid0(VALU_DEP_2) | instskip(NEXT) | instid1(VALU_DEP_2)
	v_dual_lshrrev_b32 v30, 8, v17 :: v_dual_lshrrev_b32 v19, 16, v17
	v_lshrrev_b32_e32 v32, 8, v16
	v_lshrrev_b64 v[20:21], 24, v[16:17]
	v_lshrrev_b32_e32 v31, 16, v16
	v_cmpx_le_u32_e64 s23, v1
; %bb.168:
	v_mov_b32_e32 v19, 0
; %bb.169:
	s_or_b32 exec_lo, exec_lo, s0
.LBB1687_170:
	s_delay_alu instid0(VALU_DEP_1)
	v_and_b32_e32 v1, 0xff, v16
	s_wait_loadcnt_dscnt 0x0
	v_and_b32_e32 v21, 0xff, v32
	v_and_b32_e32 v33, 0xff, v31
	;; [unrolled: 1-line block ×4, first 2 shown]
	v_mbcnt_lo_u32_b32 v37, -1, 0
	v_and_b32_e32 v36, 0xff, v30
	v_add3_u32 v22, v21, v1, v33
	v_and_b32_e32 v23, 0xff, v19
	s_delay_alu instid0(VALU_DEP_4) | instskip(SKIP_1) | instid1(VALU_DEP_3)
	v_dual_lshrrev_b32 v38, 5, v0 :: v_dual_bitop2_b32 v24, 15, v37 bitop3:0x40
	s_and_b32 vcc_lo, exec_lo, s25
	v_add3_u32 v22, v22, v34, v35
	s_mov_b32 s7, -1
	s_delay_alu instid0(VALU_DEP_2) | instskip(SKIP_1) | instid1(VALU_DEP_3)
	v_cmp_eq_u32_e64 s0, 0, v24
	v_cmp_lt_u32_e64 s3, 1, v24
	v_add3_u32 v39, v22, v36, v23
	v_and_b32_e32 v22, 16, v37
	v_or_b32_e32 v23, 31, v0
	v_cmp_lt_u32_e64 s4, 3, v24
	v_cmp_lt_u32_e64 s1, 7, v24
	s_barrier_signal -1
	v_cmp_eq_u32_e64 s6, 0, v22
	v_cmp_eq_u32_e64 s5, v0, v23
	s_barrier_wait -1
                                        ; implicit-def: $vgpr25
                                        ; implicit-def: $vgpr26
                                        ; implicit-def: $vgpr27
                                        ; implicit-def: $vgpr28
                                        ; implicit-def: $vgpr29
                                        ; implicit-def: $vgpr40
                                        ; implicit-def: $vgpr41
                                        ; implicit-def: $vgpr24
                                        ; implicit-def: $vgpr22
	s_cbranch_vccz .LBB1687_197
; %bb.171:
	v_mov_b32_dpp v22, v39 row_shr:1 row_mask:0xf bank_mask:0xf
	s_delay_alu instid0(VALU_DEP_1) | instskip(NEXT) | instid1(VALU_DEP_1)
	v_cndmask_b32_e64 v22, v22, 0, s0
	v_add_nc_u32_e32 v22, v22, v39
	s_delay_alu instid0(VALU_DEP_1) | instskip(NEXT) | instid1(VALU_DEP_1)
	v_mov_b32_dpp v23, v22 row_shr:2 row_mask:0xf bank_mask:0xf
	v_cndmask_b32_e64 v23, 0, v23, s3
	s_delay_alu instid0(VALU_DEP_1) | instskip(NEXT) | instid1(VALU_DEP_1)
	v_add_nc_u32_e32 v22, v22, v23
	v_mov_b32_dpp v23, v22 row_shr:4 row_mask:0xf bank_mask:0xf
	s_delay_alu instid0(VALU_DEP_1) | instskip(NEXT) | instid1(VALU_DEP_1)
	v_cndmask_b32_e64 v23, 0, v23, s4
	v_add_nc_u32_e32 v22, v22, v23
	s_delay_alu instid0(VALU_DEP_1) | instskip(NEXT) | instid1(VALU_DEP_1)
	v_mov_b32_dpp v23, v22 row_shr:8 row_mask:0xf bank_mask:0xf
	v_cndmask_b32_e64 v23, 0, v23, s1
	s_delay_alu instid0(VALU_DEP_1) | instskip(SKIP_3) | instid1(VALU_DEP_1)
	v_add_nc_u32_e32 v22, v22, v23
	ds_swizzle_b32 v23, v22 offset:swizzle(BROADCAST,32,15)
	s_wait_dscnt 0x0
	v_cndmask_b32_e64 v23, v23, 0, s6
	v_add_nc_u32_e32 v22, v22, v23
	s_and_saveexec_b32 s7, s5
; %bb.172:
	v_lshlrev_b32_e32 v23, 2, v38
	ds_store_b32 v23, v22
; %bb.173:
	s_or_b32 exec_lo, exec_lo, s7
	s_delay_alu instid0(SALU_CYCLE_1)
	s_mov_b32 s7, exec_lo
	s_wait_dscnt 0x0
	s_barrier_signal -1
	s_barrier_wait -1
	v_cmpx_gt_u32_e32 16, v0
	s_cbranch_execz .LBB1687_175
; %bb.174:
	v_lshlrev_b32_e32 v23, 2, v0
	ds_load_b32 v24, v23
	s_wait_dscnt 0x0
	v_mov_b32_dpp v25, v24 row_shr:1 row_mask:0xf bank_mask:0xf
	s_delay_alu instid0(VALU_DEP_1) | instskip(NEXT) | instid1(VALU_DEP_1)
	v_cndmask_b32_e64 v25, v25, 0, s0
	v_add_nc_u32_e32 v24, v25, v24
	s_delay_alu instid0(VALU_DEP_1) | instskip(NEXT) | instid1(VALU_DEP_1)
	v_mov_b32_dpp v25, v24 row_shr:2 row_mask:0xf bank_mask:0xf
	v_cndmask_b32_e64 v25, 0, v25, s3
	s_delay_alu instid0(VALU_DEP_1) | instskip(NEXT) | instid1(VALU_DEP_1)
	v_add_nc_u32_e32 v24, v24, v25
	v_mov_b32_dpp v25, v24 row_shr:4 row_mask:0xf bank_mask:0xf
	s_delay_alu instid0(VALU_DEP_1) | instskip(NEXT) | instid1(VALU_DEP_1)
	v_cndmask_b32_e64 v25, 0, v25, s4
	v_add_nc_u32_e32 v24, v24, v25
	s_delay_alu instid0(VALU_DEP_1) | instskip(NEXT) | instid1(VALU_DEP_1)
	v_mov_b32_dpp v25, v24 row_shr:8 row_mask:0xf bank_mask:0xf
	v_cndmask_b32_e64 v25, 0, v25, s1
	s_delay_alu instid0(VALU_DEP_1)
	v_add_nc_u32_e32 v24, v24, v25
	ds_store_b32 v23, v24
.LBB1687_175:
	s_or_b32 exec_lo, exec_lo, s7
	s_delay_alu instid0(SALU_CYCLE_1)
	s_mov_b32 s8, exec_lo
	v_cmp_gt_u32_e32 vcc_lo, 32, v0
	s_wait_dscnt 0x0
	s_barrier_signal -1
	s_barrier_wait -1
                                        ; implicit-def: $vgpr40
	v_cmpx_lt_u32_e32 31, v0
	s_cbranch_execz .LBB1687_177
; %bb.176:
	v_lshl_add_u32 v23, v38, 2, -4
	ds_load_b32 v40, v23
	s_wait_dscnt 0x0
	v_add_nc_u32_e32 v22, v40, v22
.LBB1687_177:
	s_or_b32 exec_lo, exec_lo, s8
	v_sub_co_u32 v23, s7, v37, 1
	s_delay_alu instid0(VALU_DEP_1) | instskip(NEXT) | instid1(VALU_DEP_1)
	v_cmp_gt_i32_e64 s8, 0, v23
	v_cndmask_b32_e64 v23, v23, v37, s8
	s_delay_alu instid0(VALU_DEP_1)
	v_lshlrev_b32_e32 v23, 2, v23
	ds_bpermute_b32 v41, v23, v22
	s_and_saveexec_b32 s8, vcc_lo
	s_cbranch_execz .LBB1687_196
; %bb.178:
	v_mov_b32_e32 v29, 0
	ds_load_b32 v22, v29 offset:60
	s_and_saveexec_b32 s9, s7
	s_cbranch_execz .LBB1687_180
; %bb.179:
	s_add_co_i32 s18, s22, 32
	s_delay_alu instid0(SALU_CYCLE_1)
	v_dual_mov_b32 v23, 1 :: v_dual_mov_b32 v24, s18
	s_wait_dscnt 0x0
	global_store_b64 v24, v[22:23], s[10:11] scale_offset scope:SCOPE_DEV
.LBB1687_180:
	s_wait_xcnt 0x0
	s_or_b32 exec_lo, exec_lo, s9
	v_xad_u32 v24, v37, -1, s22
	s_mov_b32 s18, 0
	s_mov_b32 s9, exec_lo
	s_delay_alu instid0(VALU_DEP_1) | instskip(SKIP_4) | instid1(VALU_DEP_1)
	v_add_nc_u32_e32 v28, 32, v24
	global_load_b64 v[26:27], v28, s[10:11] scale_offset scope:SCOPE_DEV
	s_wait_loadcnt 0x0
	v_and_b32_e32 v23, 0xff, v27
	s_wait_xcnt 0x0
	v_cmpx_eq_u16_e32 0, v23
	s_cbranch_execz .LBB1687_184
; %bb.181:
	v_lshl_add_u64 v[28:29], v[28:29], 3, s[10:11]
.LBB1687_182:                           ; =>This Inner Loop Header: Depth=1
	global_load_b64 v[26:27], v[28:29], off scope:SCOPE_DEV
	s_wait_loadcnt 0x0
	v_and_b32_e32 v23, 0xff, v27
	s_delay_alu instid0(VALU_DEP_1)
	v_cmp_ne_u16_e32 vcc_lo, 0, v23
	s_or_b32 s18, vcc_lo, s18
	s_wait_xcnt 0x0
	s_and_not1_b32 exec_lo, exec_lo, s18
	s_cbranch_execnz .LBB1687_182
; %bb.183:
	s_or_b32 exec_lo, exec_lo, s18
.LBB1687_184:
	s_delay_alu instid0(SALU_CYCLE_1)
	s_or_b32 exec_lo, exec_lo, s9
	v_cmp_ne_u32_e32 vcc_lo, 31, v37
	v_lshlrev_b32_e64 v43, v37, -1
	v_lshl_or_b32 v50, v37, 2, 64
	v_dual_add_nc_u32 v45, 2, v37 :: v_dual_add_nc_u32 v47, 4, v37
	v_add_co_ci_u32_e64 v23, null, 0, v37, vcc_lo
	v_dual_add_nc_u32 v49, 8, v37 :: v_dual_add_nc_u32 v51, 16, v37
	s_delay_alu instid0(VALU_DEP_2)
	v_lshlrev_b32_e32 v42, 2, v23
	v_and_b32_e32 v23, 0xff, v27
	ds_bpermute_b32 v25, v42, v26
	v_cmp_eq_u16_e32 vcc_lo, 2, v23
	v_and_or_b32 v23, vcc_lo, v43, 0x80000000
	v_cmp_gt_u32_e32 vcc_lo, 30, v37
	s_delay_alu instid0(VALU_DEP_2) | instskip(SKIP_1) | instid1(VALU_DEP_2)
	v_ctz_i32_b32_e32 v23, v23
	v_cndmask_b32_e64 v28, 0, 2, vcc_lo
	v_cmp_lt_u32_e32 vcc_lo, v37, v23
	s_delay_alu instid0(VALU_DEP_2) | instskip(SKIP_3) | instid1(VALU_DEP_2)
	v_add_lshl_u32 v44, v28, v37, 2
	s_wait_dscnt 0x0
	v_cndmask_b32_e32 v25, 0, v25, vcc_lo
	v_cmp_gt_u32_e32 vcc_lo, 28, v37
	v_add_nc_u32_e32 v25, v25, v26
	v_cndmask_b32_e64 v28, 0, 4, vcc_lo
	v_cmp_le_u32_e32 vcc_lo, v45, v23
	ds_bpermute_b32 v26, v44, v25
	v_add_lshl_u32 v46, v28, v37, 2
	s_wait_dscnt 0x0
	v_cndmask_b32_e32 v26, 0, v26, vcc_lo
	v_cmp_gt_u32_e32 vcc_lo, 24, v37
	v_cndmask_b32_e64 v28, 0, 8, vcc_lo
	v_cmp_le_u32_e32 vcc_lo, v47, v23
	s_delay_alu instid0(VALU_DEP_4) | instskip(NEXT) | instid1(VALU_DEP_3)
	v_add_nc_u32_e32 v25, v25, v26
	v_add_lshl_u32 v48, v28, v37, 2
	ds_bpermute_b32 v26, v46, v25
	s_wait_dscnt 0x0
	v_cndmask_b32_e32 v26, 0, v26, vcc_lo
	v_cmp_le_u32_e32 vcc_lo, v49, v23
	s_delay_alu instid0(VALU_DEP_2) | instskip(SKIP_4) | instid1(VALU_DEP_2)
	v_add_nc_u32_e32 v25, v25, v26
	ds_bpermute_b32 v26, v48, v25
	s_wait_dscnt 0x0
	v_cndmask_b32_e32 v26, 0, v26, vcc_lo
	v_cmp_le_u32_e32 vcc_lo, v51, v23
	v_add_nc_u32_e32 v25, v25, v26
	ds_bpermute_b32 v26, v50, v25
	s_wait_dscnt 0x0
	v_cndmask_b32_e32 v23, 0, v26, vcc_lo
	s_delay_alu instid0(VALU_DEP_1)
	v_dual_mov_b32 v25, 0 :: v_dual_add_nc_u32 v26, v25, v23
	s_branch .LBB1687_187
.LBB1687_185:                           ;   in Loop: Header=BB1687_187 Depth=1
	s_or_b32 exec_lo, exec_lo, s9
	v_and_b32_e32 v28, 0xff, v27
	ds_bpermute_b32 v29, v42, v26
	v_subrev_nc_u32_e32 v24, 32, v24
	s_mov_b32 s9, 0
	v_cmp_eq_u16_e32 vcc_lo, 2, v28
	v_and_or_b32 v28, vcc_lo, v43, 0x80000000
	s_delay_alu instid0(VALU_DEP_1) | instskip(NEXT) | instid1(VALU_DEP_1)
	v_ctz_i32_b32_e32 v28, v28
	v_cmp_lt_u32_e32 vcc_lo, v37, v28
	s_wait_dscnt 0x0
	v_cndmask_b32_e32 v29, 0, v29, vcc_lo
	v_cmp_le_u32_e32 vcc_lo, v45, v28
	s_delay_alu instid0(VALU_DEP_2) | instskip(SKIP_4) | instid1(VALU_DEP_2)
	v_add_nc_u32_e32 v26, v29, v26
	ds_bpermute_b32 v29, v44, v26
	s_wait_dscnt 0x0
	v_cndmask_b32_e32 v29, 0, v29, vcc_lo
	v_cmp_le_u32_e32 vcc_lo, v47, v28
	v_add_nc_u32_e32 v26, v26, v29
	ds_bpermute_b32 v29, v46, v26
	s_wait_dscnt 0x0
	v_cndmask_b32_e32 v29, 0, v29, vcc_lo
	v_cmp_le_u32_e32 vcc_lo, v49, v28
	s_delay_alu instid0(VALU_DEP_2) | instskip(SKIP_4) | instid1(VALU_DEP_2)
	v_add_nc_u32_e32 v26, v26, v29
	ds_bpermute_b32 v29, v48, v26
	s_wait_dscnt 0x0
	v_cndmask_b32_e32 v29, 0, v29, vcc_lo
	v_cmp_le_u32_e32 vcc_lo, v51, v28
	v_add_nc_u32_e32 v26, v26, v29
	ds_bpermute_b32 v29, v50, v26
	s_wait_dscnt 0x0
	v_cndmask_b32_e32 v28, 0, v29, vcc_lo
	s_delay_alu instid0(VALU_DEP_1)
	v_add3_u32 v26, v28, v23, v26
.LBB1687_186:                           ;   in Loop: Header=BB1687_187 Depth=1
	s_and_b32 vcc_lo, exec_lo, s9
	s_cbranch_vccnz .LBB1687_192
.LBB1687_187:                           ; =>This Loop Header: Depth=1
                                        ;     Child Loop BB1687_190 Depth 2
	v_and_b32_e32 v23, 0xff, v27
	s_mov_b32 s9, -1
                                        ; implicit-def: $vgpr27
	s_delay_alu instid0(VALU_DEP_1)
	v_cmp_ne_u16_e32 vcc_lo, 2, v23
	v_mov_b32_e32 v23, v26
                                        ; implicit-def: $vgpr26
	s_cmp_lg_u32 vcc_lo, exec_lo
	s_cbranch_scc1 .LBB1687_186
; %bb.188:                              ;   in Loop: Header=BB1687_187 Depth=1
	global_load_b64 v[26:27], v24, s[10:11] scale_offset scope:SCOPE_DEV
	s_mov_b32 s9, exec_lo
	s_wait_loadcnt 0x0
	v_and_b32_e32 v28, 0xff, v27
	s_wait_xcnt 0x0
	s_delay_alu instid0(VALU_DEP_1)
	v_cmpx_eq_u16_e32 0, v28
	s_cbranch_execz .LBB1687_185
; %bb.189:                              ;   in Loop: Header=BB1687_187 Depth=1
	v_lshl_add_u64 v[28:29], v[24:25], 3, s[10:11]
	s_mov_b32 s18, 0
.LBB1687_190:                           ;   Parent Loop BB1687_187 Depth=1
                                        ; =>  This Inner Loop Header: Depth=2
	global_load_b64 v[26:27], v[28:29], off scope:SCOPE_DEV
	s_wait_loadcnt 0x0
	v_and_b32_e32 v52, 0xff, v27
	s_delay_alu instid0(VALU_DEP_1)
	v_cmp_ne_u16_e32 vcc_lo, 0, v52
	s_or_b32 s18, vcc_lo, s18
	s_wait_xcnt 0x0
	s_and_not1_b32 exec_lo, exec_lo, s18
	s_cbranch_execnz .LBB1687_190
; %bb.191:                              ;   in Loop: Header=BB1687_187 Depth=1
	s_or_b32 exec_lo, exec_lo, s18
	s_branch .LBB1687_185
.LBB1687_192:
	s_and_saveexec_b32 s9, s7
	s_cbranch_execz .LBB1687_194
; %bb.193:
	s_add_co_i32 s18, s22, 32
	v_dual_mov_b32 v25, 2 :: v_dual_add_nc_u32 v24, v23, v22
	v_dual_mov_b32 v26, s18 :: v_dual_mov_b32 v27, 0
	global_store_b64 v26, v[24:25], s[10:11] scale_offset scope:SCOPE_DEV
	ds_store_b64 v27, v[22:23] offset:28672
.LBB1687_194:
	s_wait_xcnt 0x0
	s_or_b32 exec_lo, exec_lo, s9
	s_delay_alu instid0(SALU_CYCLE_1)
	s_and_b32 exec_lo, exec_lo, s2
; %bb.195:
	v_mov_b32_e32 v22, 0
	ds_store_b32 v22, v23 offset:60
.LBB1687_196:
	s_or_b32 exec_lo, exec_lo, s8
	s_wait_dscnt 0x0
	v_dual_mov_b32 v22, 0 :: v_dual_cndmask_b32 v24, v41, v40, s7
	s_wait_storecnt 0x0
	s_barrier_signal -1
	s_barrier_wait -1
	ds_load_b32 v23, v22 offset:60
	v_cndmask_b32_e64 v24, v24, 0, s2
	s_wait_dscnt 0x0
	s_barrier_signal -1
	s_barrier_wait -1
	s_mov_b32 s7, 0
	v_add_nc_u32_e32 v41, v23, v24
	ds_load_b64 v[22:23], v22 offset:28672
	v_add_nc_u32_e32 v40, v41, v1
	s_delay_alu instid0(VALU_DEP_1) | instskip(NEXT) | instid1(VALU_DEP_1)
	v_add_nc_u32_e32 v29, v40, v21
	v_add_nc_u32_e32 v28, v29, v33
	s_wait_dscnt 0x0
	s_delay_alu instid0(VALU_DEP_1) | instskip(NEXT) | instid1(VALU_DEP_1)
	v_dual_mov_b32 v24, v23 :: v_dual_add_nc_u32 v27, v28, v34
	v_add_nc_u32_e32 v26, v27, v35
	s_delay_alu instid0(VALU_DEP_1)
	v_add_nc_u32_e32 v25, v26, v36
.LBB1687_197:
	s_and_b32 vcc_lo, exec_lo, s7
	s_cbranch_vccz .LBB1687_207
; %bb.198:
	v_mov_b32_dpp v22, v39 row_shr:1 row_mask:0xf bank_mask:0xf
	s_delay_alu instid0(VALU_DEP_1) | instskip(NEXT) | instid1(VALU_DEP_1)
	v_cndmask_b32_e64 v22, v22, 0, s0
	v_add_nc_u32_e32 v22, v22, v39
	s_delay_alu instid0(VALU_DEP_1) | instskip(NEXT) | instid1(VALU_DEP_1)
	v_mov_b32_dpp v23, v22 row_shr:2 row_mask:0xf bank_mask:0xf
	v_cndmask_b32_e64 v23, 0, v23, s3
	s_delay_alu instid0(VALU_DEP_1) | instskip(NEXT) | instid1(VALU_DEP_1)
	v_add_nc_u32_e32 v22, v22, v23
	v_mov_b32_dpp v23, v22 row_shr:4 row_mask:0xf bank_mask:0xf
	s_delay_alu instid0(VALU_DEP_1) | instskip(NEXT) | instid1(VALU_DEP_1)
	v_cndmask_b32_e64 v23, 0, v23, s4
	v_add_nc_u32_e32 v22, v22, v23
	s_delay_alu instid0(VALU_DEP_1) | instskip(NEXT) | instid1(VALU_DEP_1)
	v_mov_b32_dpp v23, v22 row_shr:8 row_mask:0xf bank_mask:0xf
	v_cndmask_b32_e64 v23, 0, v23, s1
	s_delay_alu instid0(VALU_DEP_1) | instskip(SKIP_3) | instid1(VALU_DEP_1)
	v_add_nc_u32_e32 v22, v22, v23
	ds_swizzle_b32 v23, v22 offset:swizzle(BROADCAST,32,15)
	s_wait_dscnt 0x0
	v_cndmask_b32_e64 v23, v23, 0, s6
	v_add_nc_u32_e32 v22, v22, v23
	s_and_saveexec_b32 s6, s5
; %bb.199:
	v_lshlrev_b32_e32 v23, 2, v38
	ds_store_b32 v23, v22
; %bb.200:
	s_or_b32 exec_lo, exec_lo, s6
	s_delay_alu instid0(SALU_CYCLE_1)
	s_mov_b32 s5, exec_lo
	s_wait_dscnt 0x0
	s_barrier_signal -1
	s_barrier_wait -1
	v_cmpx_gt_u32_e32 16, v0
	s_cbranch_execz .LBB1687_202
; %bb.201:
	v_lshlrev_b32_e32 v23, 2, v0
	ds_load_b32 v24, v23
	s_wait_dscnt 0x0
	v_mov_b32_dpp v25, v24 row_shr:1 row_mask:0xf bank_mask:0xf
	s_delay_alu instid0(VALU_DEP_1) | instskip(NEXT) | instid1(VALU_DEP_1)
	v_cndmask_b32_e64 v25, v25, 0, s0
	v_add_nc_u32_e32 v24, v25, v24
	s_delay_alu instid0(VALU_DEP_1) | instskip(NEXT) | instid1(VALU_DEP_1)
	v_mov_b32_dpp v25, v24 row_shr:2 row_mask:0xf bank_mask:0xf
	v_cndmask_b32_e64 v25, 0, v25, s3
	s_delay_alu instid0(VALU_DEP_1) | instskip(NEXT) | instid1(VALU_DEP_1)
	v_add_nc_u32_e32 v24, v24, v25
	v_mov_b32_dpp v25, v24 row_shr:4 row_mask:0xf bank_mask:0xf
	s_delay_alu instid0(VALU_DEP_1) | instskip(NEXT) | instid1(VALU_DEP_1)
	v_cndmask_b32_e64 v25, 0, v25, s4
	v_add_nc_u32_e32 v24, v24, v25
	s_delay_alu instid0(VALU_DEP_1) | instskip(NEXT) | instid1(VALU_DEP_1)
	v_mov_b32_dpp v25, v24 row_shr:8 row_mask:0xf bank_mask:0xf
	v_cndmask_b32_e64 v25, 0, v25, s1
	s_delay_alu instid0(VALU_DEP_1)
	v_add_nc_u32_e32 v24, v24, v25
	ds_store_b32 v23, v24
.LBB1687_202:
	s_or_b32 exec_lo, exec_lo, s5
	v_dual_mov_b32 v23, 0 :: v_dual_mov_b32 v24, 0
	s_mov_b32 s0, exec_lo
	s_wait_dscnt 0x0
	s_barrier_signal -1
	s_barrier_wait -1
	v_cmpx_lt_u32_e32 31, v0
; %bb.203:
	v_lshl_add_u32 v24, v38, 2, -4
	ds_load_b32 v24, v24
; %bb.204:
	s_or_b32 exec_lo, exec_lo, s0
	v_sub_co_u32 v25, vcc_lo, v37, 1
	s_wait_dscnt 0x0
	v_add_nc_u32_e32 v22, v24, v22
	s_delay_alu instid0(VALU_DEP_2) | instskip(NEXT) | instid1(VALU_DEP_1)
	v_cmp_gt_i32_e64 s0, 0, v25
	v_cndmask_b32_e64 v25, v25, v37, s0
	s_delay_alu instid0(VALU_DEP_1)
	v_lshlrev_b32_e32 v25, 2, v25
	ds_bpermute_b32 v25, v25, v22
	ds_load_b32 v22, v23 offset:60
	s_and_saveexec_b32 s0, s2
	s_cbranch_execz .LBB1687_206
; %bb.205:
	v_dual_mov_b32 v26, 0 :: v_dual_mov_b32 v23, 2
	s_wait_dscnt 0x0
	global_store_b64 v26, v[22:23], s[10:11] offset:256 scope:SCOPE_DEV
.LBB1687_206:
	s_wait_xcnt 0x0
	s_or_b32 exec_lo, exec_lo, s0
	s_wait_dscnt 0x1
	v_cndmask_b32_e32 v23, v25, v24, vcc_lo
	s_wait_storecnt_dscnt 0x0
	s_barrier_signal -1
	s_barrier_wait -1
	s_delay_alu instid0(VALU_DEP_1) | instskip(NEXT) | instid1(VALU_DEP_1)
	v_cndmask_b32_e64 v41, v23, 0, s2
	v_dual_mov_b32 v24, 0 :: v_dual_add_nc_u32 v40, v41, v1
	s_delay_alu instid0(VALU_DEP_1) | instskip(NEXT) | instid1(VALU_DEP_1)
	v_add_nc_u32_e32 v29, v40, v21
	v_add_nc_u32_e32 v28, v29, v33
	s_delay_alu instid0(VALU_DEP_1) | instskip(NEXT) | instid1(VALU_DEP_1)
	v_add_nc_u32_e32 v27, v28, v34
	v_add_nc_u32_e32 v26, v27, v35
	s_delay_alu instid0(VALU_DEP_1)
	v_add_nc_u32_e32 v25, v26, v36
.LBB1687_207:
	v_and_b32_e32 v1, 1, v16
	v_cmp_gt_u32_e32 vcc_lo, 0x201, v22
	s_mov_b32 s1, -1
	s_delay_alu instid0(VALU_DEP_2)
	v_cmp_eq_u32_e64 s0, 1, v1
	s_cbranch_vccnz .LBB1687_211
; %bb.208:
	s_and_b32 vcc_lo, exec_lo, s1
	s_cbranch_vccnz .LBB1687_226
.LBB1687_209:
	s_and_b32 s0, s2, s16
	s_delay_alu instid0(SALU_CYCLE_1)
	s_and_saveexec_b32 s1, s0
	s_cbranch_execnz .LBB1687_243
.LBB1687_210:
	s_endpgm
.LBB1687_211:
	v_add_nc_u32_e32 v16, v24, v22
	s_delay_alu instid0(VALU_DEP_1) | instskip(SKIP_1) | instid1(SALU_CYCLE_1)
	v_cmp_lt_u32_e32 vcc_lo, v41, v16
	s_or_b32 s1, s17, vcc_lo
	s_and_b32 s1, s1, s0
	s_delay_alu instid0(SALU_CYCLE_1)
	s_and_saveexec_b32 s0, s1
	s_cbranch_execz .LBB1687_213
; %bb.212:
	s_lshl_b64 s[4:5], s[14:15], 3
	s_delay_alu instid0(SALU_CYCLE_1)
	s_add_nc_u64 s[4:5], s[20:21], s[4:5]
	global_store_b64 v41, v[10:11], s[4:5] scale_offset
.LBB1687_213:
	s_wait_xcnt 0x0
	s_or_b32 exec_lo, exec_lo, s0
	v_and_b32_e32 v21, 1, v32
	v_cmp_lt_u32_e32 vcc_lo, v40, v16
	s_delay_alu instid0(VALU_DEP_2) | instskip(SKIP_1) | instid1(SALU_CYCLE_1)
	v_cmp_eq_u32_e64 s0, 1, v21
	s_or_b32 s1, s17, vcc_lo
	s_and_b32 s1, s1, s0
	s_delay_alu instid0(SALU_CYCLE_1)
	s_and_saveexec_b32 s0, s1
	s_cbranch_execz .LBB1687_215
; %bb.214:
	s_lshl_b64 s[4:5], s[14:15], 3
	s_delay_alu instid0(SALU_CYCLE_1)
	s_add_nc_u64 s[4:5], s[20:21], s[4:5]
	global_store_b64 v40, v[12:13], s[4:5] scale_offset
.LBB1687_215:
	s_wait_xcnt 0x0
	s_or_b32 exec_lo, exec_lo, s0
	v_and_b32_e32 v21, 1, v31
	v_cmp_lt_u32_e32 vcc_lo, v29, v16
	s_delay_alu instid0(VALU_DEP_2) | instskip(SKIP_1) | instid1(SALU_CYCLE_1)
	v_cmp_eq_u32_e64 s0, 1, v21
	;; [unrolled: 17-line block ×6, first 2 shown]
	s_or_b32 s1, s17, vcc_lo
	s_and_b32 s1, s1, s0
	s_delay_alu instid0(SALU_CYCLE_1)
	s_and_saveexec_b32 s0, s1
	s_cbranch_execz .LBB1687_225
; %bb.224:
	s_lshl_b64 s[4:5], s[14:15], 3
	s_delay_alu instid0(SALU_CYCLE_1)
	s_add_nc_u64 s[4:5], s[20:21], s[4:5]
	global_store_b64 v25, v[14:15], s[4:5] scale_offset
.LBB1687_225:
	s_wait_xcnt 0x0
	s_or_b32 exec_lo, exec_lo, s0
	s_branch .LBB1687_209
.LBB1687_226:
	s_mov_b32 s0, exec_lo
	v_cmpx_eq_u32_e32 1, v1
; %bb.227:
	v_sub_nc_u32_e32 v1, v41, v24
	s_delay_alu instid0(VALU_DEP_1)
	v_lshlrev_b32_e32 v1, 3, v1
	ds_store_b64 v1, v[10:11]
; %bb.228:
	s_or_b32 exec_lo, exec_lo, s0
	v_and_b32_e32 v1, 1, v32
	s_mov_b32 s0, exec_lo
	s_delay_alu instid0(VALU_DEP_1)
	v_cmpx_eq_u32_e32 1, v1
; %bb.229:
	v_sub_nc_u32_e32 v1, v40, v24
	s_delay_alu instid0(VALU_DEP_1)
	v_lshlrev_b32_e32 v1, 3, v1
	ds_store_b64 v1, v[12:13]
; %bb.230:
	s_or_b32 exec_lo, exec_lo, s0
	v_and_b32_e32 v1, 1, v31
	s_mov_b32 s0, exec_lo
	s_delay_alu instid0(VALU_DEP_1)
	;; [unrolled: 11-line block ×6, first 2 shown]
	v_cmpx_eq_u32_e32 1, v1
; %bb.239:
	v_sub_nc_u32_e32 v1, v25, v24
	s_delay_alu instid0(VALU_DEP_1)
	v_lshlrev_b32_e32 v1, 3, v1
	ds_store_b64 v1, v[14:15]
; %bb.240:
	s_or_b32 exec_lo, exec_lo, s0
	v_mov_b32_e32 v25, 0
	s_lshl_b64 s[0:1], s[14:15], 3
	s_wait_storecnt_dscnt 0x0
	s_barrier_signal -1
	s_barrier_wait -1
	v_lshlrev_b64_e32 v[2:3], 3, v[24:25]
	v_mov_b32_e32 v19, v25
	s_delay_alu instid0(VALU_DEP_2) | instskip(SKIP_1) | instid1(VALU_DEP_1)
	v_add_nc_u64_e32 v[2:3], s[0:1], v[2:3]
	s_mov_b32 s0, 0
	v_add_nc_u64_e32 v[2:3], s[20:21], v[2:3]
	s_delay_alu instid0(VALU_DEP_1)
	v_add_nc_u64_e32 v[2:3], v[2:3], v[18:19]
.LBB1687_241:                           ; =>This Inner Loop Header: Depth=1
	ds_load_b64 v[4:5], v18
	v_add_nc_u32_e32 v0, 0x200, v0
	v_add_nc_u32_e32 v18, 0x1000, v18
	s_delay_alu instid0(VALU_DEP_2)
	v_cmp_ge_u32_e32 vcc_lo, v0, v22
	s_or_b32 s0, vcc_lo, s0
	s_wait_dscnt 0x0
	global_store_b64 v[2:3], v[4:5], off
	s_wait_xcnt 0x0
	v_add_nc_u64_e32 v[2:3], 0x1000, v[2:3]
	s_and_not1_b32 exec_lo, exec_lo, s0
	s_cbranch_execnz .LBB1687_241
; %bb.242:
	s_or_b32 exec_lo, exec_lo, s0
	s_and_b32 s0, s2, s16
	s_delay_alu instid0(SALU_CYCLE_1)
	s_and_saveexec_b32 s1, s0
	s_cbranch_execz .LBB1687_210
.LBB1687_243:
	v_mov_b32_e32 v23, 0
	s_delay_alu instid0(VALU_DEP_1) | instskip(SKIP_1) | instid1(VALU_DEP_1)
	v_add_nc_u64_e32 v[0:1], s[14:15], v[22:23]
	v_mov_b32_e32 v25, v23
	v_add_nc_u64_e32 v[0:1], v[0:1], v[24:25]
	global_store_b64 v23, v[0:1], s[12:13]
	s_endpgm
	.section	.rodata,"a",@progbits
	.p2align	6, 0x0
	.amdhsa_kernel _ZN7rocprim17ROCPRIM_400000_NS6detail17trampoline_kernelINS0_14default_configENS1_25partition_config_selectorILNS1_17partition_subalgoE8ElNS0_10empty_typeEbEEZZNS1_14partition_implILS5_8ELb0ES3_jPlPS6_PKS6_NS0_5tupleIJS9_S6_EEENSD_IJSA_SA_EEENS0_18inequality_wrapperIZN2at6native12_GLOBAL__N_124unique_dim_cuda_templateImEESt5tupleIJNSH_6TensorESM_SM_EERKSM_lbbbEUlllE0_EEPmJS6_EEE10hipError_tPvRmT3_T4_T5_T6_T7_T9_mT8_P12ihipStream_tbDpT10_ENKUlT_T0_E_clISt17integral_constantIbLb0EES1B_IbLb1EEEEDaS17_S18_EUlS17_E_NS1_11comp_targetILNS1_3genE0ELNS1_11target_archE4294967295ELNS1_3gpuE0ELNS1_3repE0EEENS1_30default_config_static_selectorELNS0_4arch9wavefront6targetE0EEEvT1_
		.amdhsa_group_segment_fixed_size 28680
		.amdhsa_private_segment_fixed_size 0
		.amdhsa_kernarg_size 136
		.amdhsa_user_sgpr_count 2
		.amdhsa_user_sgpr_dispatch_ptr 0
		.amdhsa_user_sgpr_queue_ptr 0
		.amdhsa_user_sgpr_kernarg_segment_ptr 1
		.amdhsa_user_sgpr_dispatch_id 0
		.amdhsa_user_sgpr_kernarg_preload_length 0
		.amdhsa_user_sgpr_kernarg_preload_offset 0
		.amdhsa_user_sgpr_private_segment_size 0
		.amdhsa_wavefront_size32 1
		.amdhsa_uses_dynamic_stack 0
		.amdhsa_enable_private_segment 0
		.amdhsa_system_sgpr_workgroup_id_x 1
		.amdhsa_system_sgpr_workgroup_id_y 0
		.amdhsa_system_sgpr_workgroup_id_z 0
		.amdhsa_system_sgpr_workgroup_info 0
		.amdhsa_system_vgpr_workitem_id 0
		.amdhsa_next_free_vgpr 53
		.amdhsa_next_free_sgpr 36
		.amdhsa_named_barrier_count 0
		.amdhsa_reserve_vcc 1
		.amdhsa_float_round_mode_32 0
		.amdhsa_float_round_mode_16_64 0
		.amdhsa_float_denorm_mode_32 3
		.amdhsa_float_denorm_mode_16_64 3
		.amdhsa_fp16_overflow 0
		.amdhsa_memory_ordered 1
		.amdhsa_forward_progress 1
		.amdhsa_inst_pref_size 83
		.amdhsa_round_robin_scheduling 0
		.amdhsa_exception_fp_ieee_invalid_op 0
		.amdhsa_exception_fp_denorm_src 0
		.amdhsa_exception_fp_ieee_div_zero 0
		.amdhsa_exception_fp_ieee_overflow 0
		.amdhsa_exception_fp_ieee_underflow 0
		.amdhsa_exception_fp_ieee_inexact 0
		.amdhsa_exception_int_div_zero 0
	.end_amdhsa_kernel
	.section	.text._ZN7rocprim17ROCPRIM_400000_NS6detail17trampoline_kernelINS0_14default_configENS1_25partition_config_selectorILNS1_17partition_subalgoE8ElNS0_10empty_typeEbEEZZNS1_14partition_implILS5_8ELb0ES3_jPlPS6_PKS6_NS0_5tupleIJS9_S6_EEENSD_IJSA_SA_EEENS0_18inequality_wrapperIZN2at6native12_GLOBAL__N_124unique_dim_cuda_templateImEESt5tupleIJNSH_6TensorESM_SM_EERKSM_lbbbEUlllE0_EEPmJS6_EEE10hipError_tPvRmT3_T4_T5_T6_T7_T9_mT8_P12ihipStream_tbDpT10_ENKUlT_T0_E_clISt17integral_constantIbLb0EES1B_IbLb1EEEEDaS17_S18_EUlS17_E_NS1_11comp_targetILNS1_3genE0ELNS1_11target_archE4294967295ELNS1_3gpuE0ELNS1_3repE0EEENS1_30default_config_static_selectorELNS0_4arch9wavefront6targetE0EEEvT1_,"axG",@progbits,_ZN7rocprim17ROCPRIM_400000_NS6detail17trampoline_kernelINS0_14default_configENS1_25partition_config_selectorILNS1_17partition_subalgoE8ElNS0_10empty_typeEbEEZZNS1_14partition_implILS5_8ELb0ES3_jPlPS6_PKS6_NS0_5tupleIJS9_S6_EEENSD_IJSA_SA_EEENS0_18inequality_wrapperIZN2at6native12_GLOBAL__N_124unique_dim_cuda_templateImEESt5tupleIJNSH_6TensorESM_SM_EERKSM_lbbbEUlllE0_EEPmJS6_EEE10hipError_tPvRmT3_T4_T5_T6_T7_T9_mT8_P12ihipStream_tbDpT10_ENKUlT_T0_E_clISt17integral_constantIbLb0EES1B_IbLb1EEEEDaS17_S18_EUlS17_E_NS1_11comp_targetILNS1_3genE0ELNS1_11target_archE4294967295ELNS1_3gpuE0ELNS1_3repE0EEENS1_30default_config_static_selectorELNS0_4arch9wavefront6targetE0EEEvT1_,comdat
.Lfunc_end1687:
	.size	_ZN7rocprim17ROCPRIM_400000_NS6detail17trampoline_kernelINS0_14default_configENS1_25partition_config_selectorILNS1_17partition_subalgoE8ElNS0_10empty_typeEbEEZZNS1_14partition_implILS5_8ELb0ES3_jPlPS6_PKS6_NS0_5tupleIJS9_S6_EEENSD_IJSA_SA_EEENS0_18inequality_wrapperIZN2at6native12_GLOBAL__N_124unique_dim_cuda_templateImEESt5tupleIJNSH_6TensorESM_SM_EERKSM_lbbbEUlllE0_EEPmJS6_EEE10hipError_tPvRmT3_T4_T5_T6_T7_T9_mT8_P12ihipStream_tbDpT10_ENKUlT_T0_E_clISt17integral_constantIbLb0EES1B_IbLb1EEEEDaS17_S18_EUlS17_E_NS1_11comp_targetILNS1_3genE0ELNS1_11target_archE4294967295ELNS1_3gpuE0ELNS1_3repE0EEENS1_30default_config_static_selectorELNS0_4arch9wavefront6targetE0EEEvT1_, .Lfunc_end1687-_ZN7rocprim17ROCPRIM_400000_NS6detail17trampoline_kernelINS0_14default_configENS1_25partition_config_selectorILNS1_17partition_subalgoE8ElNS0_10empty_typeEbEEZZNS1_14partition_implILS5_8ELb0ES3_jPlPS6_PKS6_NS0_5tupleIJS9_S6_EEENSD_IJSA_SA_EEENS0_18inequality_wrapperIZN2at6native12_GLOBAL__N_124unique_dim_cuda_templateImEESt5tupleIJNSH_6TensorESM_SM_EERKSM_lbbbEUlllE0_EEPmJS6_EEE10hipError_tPvRmT3_T4_T5_T6_T7_T9_mT8_P12ihipStream_tbDpT10_ENKUlT_T0_E_clISt17integral_constantIbLb0EES1B_IbLb1EEEEDaS17_S18_EUlS17_E_NS1_11comp_targetILNS1_3genE0ELNS1_11target_archE4294967295ELNS1_3gpuE0ELNS1_3repE0EEENS1_30default_config_static_selectorELNS0_4arch9wavefront6targetE0EEEvT1_
                                        ; -- End function
	.set _ZN7rocprim17ROCPRIM_400000_NS6detail17trampoline_kernelINS0_14default_configENS1_25partition_config_selectorILNS1_17partition_subalgoE8ElNS0_10empty_typeEbEEZZNS1_14partition_implILS5_8ELb0ES3_jPlPS6_PKS6_NS0_5tupleIJS9_S6_EEENSD_IJSA_SA_EEENS0_18inequality_wrapperIZN2at6native12_GLOBAL__N_124unique_dim_cuda_templateImEESt5tupleIJNSH_6TensorESM_SM_EERKSM_lbbbEUlllE0_EEPmJS6_EEE10hipError_tPvRmT3_T4_T5_T6_T7_T9_mT8_P12ihipStream_tbDpT10_ENKUlT_T0_E_clISt17integral_constantIbLb0EES1B_IbLb1EEEEDaS17_S18_EUlS17_E_NS1_11comp_targetILNS1_3genE0ELNS1_11target_archE4294967295ELNS1_3gpuE0ELNS1_3repE0EEENS1_30default_config_static_selectorELNS0_4arch9wavefront6targetE0EEEvT1_.num_vgpr, 53
	.set _ZN7rocprim17ROCPRIM_400000_NS6detail17trampoline_kernelINS0_14default_configENS1_25partition_config_selectorILNS1_17partition_subalgoE8ElNS0_10empty_typeEbEEZZNS1_14partition_implILS5_8ELb0ES3_jPlPS6_PKS6_NS0_5tupleIJS9_S6_EEENSD_IJSA_SA_EEENS0_18inequality_wrapperIZN2at6native12_GLOBAL__N_124unique_dim_cuda_templateImEESt5tupleIJNSH_6TensorESM_SM_EERKSM_lbbbEUlllE0_EEPmJS6_EEE10hipError_tPvRmT3_T4_T5_T6_T7_T9_mT8_P12ihipStream_tbDpT10_ENKUlT_T0_E_clISt17integral_constantIbLb0EES1B_IbLb1EEEEDaS17_S18_EUlS17_E_NS1_11comp_targetILNS1_3genE0ELNS1_11target_archE4294967295ELNS1_3gpuE0ELNS1_3repE0EEENS1_30default_config_static_selectorELNS0_4arch9wavefront6targetE0EEEvT1_.num_agpr, 0
	.set _ZN7rocprim17ROCPRIM_400000_NS6detail17trampoline_kernelINS0_14default_configENS1_25partition_config_selectorILNS1_17partition_subalgoE8ElNS0_10empty_typeEbEEZZNS1_14partition_implILS5_8ELb0ES3_jPlPS6_PKS6_NS0_5tupleIJS9_S6_EEENSD_IJSA_SA_EEENS0_18inequality_wrapperIZN2at6native12_GLOBAL__N_124unique_dim_cuda_templateImEESt5tupleIJNSH_6TensorESM_SM_EERKSM_lbbbEUlllE0_EEPmJS6_EEE10hipError_tPvRmT3_T4_T5_T6_T7_T9_mT8_P12ihipStream_tbDpT10_ENKUlT_T0_E_clISt17integral_constantIbLb0EES1B_IbLb1EEEEDaS17_S18_EUlS17_E_NS1_11comp_targetILNS1_3genE0ELNS1_11target_archE4294967295ELNS1_3gpuE0ELNS1_3repE0EEENS1_30default_config_static_selectorELNS0_4arch9wavefront6targetE0EEEvT1_.numbered_sgpr, 36
	.set _ZN7rocprim17ROCPRIM_400000_NS6detail17trampoline_kernelINS0_14default_configENS1_25partition_config_selectorILNS1_17partition_subalgoE8ElNS0_10empty_typeEbEEZZNS1_14partition_implILS5_8ELb0ES3_jPlPS6_PKS6_NS0_5tupleIJS9_S6_EEENSD_IJSA_SA_EEENS0_18inequality_wrapperIZN2at6native12_GLOBAL__N_124unique_dim_cuda_templateImEESt5tupleIJNSH_6TensorESM_SM_EERKSM_lbbbEUlllE0_EEPmJS6_EEE10hipError_tPvRmT3_T4_T5_T6_T7_T9_mT8_P12ihipStream_tbDpT10_ENKUlT_T0_E_clISt17integral_constantIbLb0EES1B_IbLb1EEEEDaS17_S18_EUlS17_E_NS1_11comp_targetILNS1_3genE0ELNS1_11target_archE4294967295ELNS1_3gpuE0ELNS1_3repE0EEENS1_30default_config_static_selectorELNS0_4arch9wavefront6targetE0EEEvT1_.num_named_barrier, 0
	.set _ZN7rocprim17ROCPRIM_400000_NS6detail17trampoline_kernelINS0_14default_configENS1_25partition_config_selectorILNS1_17partition_subalgoE8ElNS0_10empty_typeEbEEZZNS1_14partition_implILS5_8ELb0ES3_jPlPS6_PKS6_NS0_5tupleIJS9_S6_EEENSD_IJSA_SA_EEENS0_18inequality_wrapperIZN2at6native12_GLOBAL__N_124unique_dim_cuda_templateImEESt5tupleIJNSH_6TensorESM_SM_EERKSM_lbbbEUlllE0_EEPmJS6_EEE10hipError_tPvRmT3_T4_T5_T6_T7_T9_mT8_P12ihipStream_tbDpT10_ENKUlT_T0_E_clISt17integral_constantIbLb0EES1B_IbLb1EEEEDaS17_S18_EUlS17_E_NS1_11comp_targetILNS1_3genE0ELNS1_11target_archE4294967295ELNS1_3gpuE0ELNS1_3repE0EEENS1_30default_config_static_selectorELNS0_4arch9wavefront6targetE0EEEvT1_.private_seg_size, 0
	.set _ZN7rocprim17ROCPRIM_400000_NS6detail17trampoline_kernelINS0_14default_configENS1_25partition_config_selectorILNS1_17partition_subalgoE8ElNS0_10empty_typeEbEEZZNS1_14partition_implILS5_8ELb0ES3_jPlPS6_PKS6_NS0_5tupleIJS9_S6_EEENSD_IJSA_SA_EEENS0_18inequality_wrapperIZN2at6native12_GLOBAL__N_124unique_dim_cuda_templateImEESt5tupleIJNSH_6TensorESM_SM_EERKSM_lbbbEUlllE0_EEPmJS6_EEE10hipError_tPvRmT3_T4_T5_T6_T7_T9_mT8_P12ihipStream_tbDpT10_ENKUlT_T0_E_clISt17integral_constantIbLb0EES1B_IbLb1EEEEDaS17_S18_EUlS17_E_NS1_11comp_targetILNS1_3genE0ELNS1_11target_archE4294967295ELNS1_3gpuE0ELNS1_3repE0EEENS1_30default_config_static_selectorELNS0_4arch9wavefront6targetE0EEEvT1_.uses_vcc, 1
	.set _ZN7rocprim17ROCPRIM_400000_NS6detail17trampoline_kernelINS0_14default_configENS1_25partition_config_selectorILNS1_17partition_subalgoE8ElNS0_10empty_typeEbEEZZNS1_14partition_implILS5_8ELb0ES3_jPlPS6_PKS6_NS0_5tupleIJS9_S6_EEENSD_IJSA_SA_EEENS0_18inequality_wrapperIZN2at6native12_GLOBAL__N_124unique_dim_cuda_templateImEESt5tupleIJNSH_6TensorESM_SM_EERKSM_lbbbEUlllE0_EEPmJS6_EEE10hipError_tPvRmT3_T4_T5_T6_T7_T9_mT8_P12ihipStream_tbDpT10_ENKUlT_T0_E_clISt17integral_constantIbLb0EES1B_IbLb1EEEEDaS17_S18_EUlS17_E_NS1_11comp_targetILNS1_3genE0ELNS1_11target_archE4294967295ELNS1_3gpuE0ELNS1_3repE0EEENS1_30default_config_static_selectorELNS0_4arch9wavefront6targetE0EEEvT1_.uses_flat_scratch, 0
	.set _ZN7rocprim17ROCPRIM_400000_NS6detail17trampoline_kernelINS0_14default_configENS1_25partition_config_selectorILNS1_17partition_subalgoE8ElNS0_10empty_typeEbEEZZNS1_14partition_implILS5_8ELb0ES3_jPlPS6_PKS6_NS0_5tupleIJS9_S6_EEENSD_IJSA_SA_EEENS0_18inequality_wrapperIZN2at6native12_GLOBAL__N_124unique_dim_cuda_templateImEESt5tupleIJNSH_6TensorESM_SM_EERKSM_lbbbEUlllE0_EEPmJS6_EEE10hipError_tPvRmT3_T4_T5_T6_T7_T9_mT8_P12ihipStream_tbDpT10_ENKUlT_T0_E_clISt17integral_constantIbLb0EES1B_IbLb1EEEEDaS17_S18_EUlS17_E_NS1_11comp_targetILNS1_3genE0ELNS1_11target_archE4294967295ELNS1_3gpuE0ELNS1_3repE0EEENS1_30default_config_static_selectorELNS0_4arch9wavefront6targetE0EEEvT1_.has_dyn_sized_stack, 0
	.set _ZN7rocprim17ROCPRIM_400000_NS6detail17trampoline_kernelINS0_14default_configENS1_25partition_config_selectorILNS1_17partition_subalgoE8ElNS0_10empty_typeEbEEZZNS1_14partition_implILS5_8ELb0ES3_jPlPS6_PKS6_NS0_5tupleIJS9_S6_EEENSD_IJSA_SA_EEENS0_18inequality_wrapperIZN2at6native12_GLOBAL__N_124unique_dim_cuda_templateImEESt5tupleIJNSH_6TensorESM_SM_EERKSM_lbbbEUlllE0_EEPmJS6_EEE10hipError_tPvRmT3_T4_T5_T6_T7_T9_mT8_P12ihipStream_tbDpT10_ENKUlT_T0_E_clISt17integral_constantIbLb0EES1B_IbLb1EEEEDaS17_S18_EUlS17_E_NS1_11comp_targetILNS1_3genE0ELNS1_11target_archE4294967295ELNS1_3gpuE0ELNS1_3repE0EEENS1_30default_config_static_selectorELNS0_4arch9wavefront6targetE0EEEvT1_.has_recursion, 0
	.set _ZN7rocprim17ROCPRIM_400000_NS6detail17trampoline_kernelINS0_14default_configENS1_25partition_config_selectorILNS1_17partition_subalgoE8ElNS0_10empty_typeEbEEZZNS1_14partition_implILS5_8ELb0ES3_jPlPS6_PKS6_NS0_5tupleIJS9_S6_EEENSD_IJSA_SA_EEENS0_18inequality_wrapperIZN2at6native12_GLOBAL__N_124unique_dim_cuda_templateImEESt5tupleIJNSH_6TensorESM_SM_EERKSM_lbbbEUlllE0_EEPmJS6_EEE10hipError_tPvRmT3_T4_T5_T6_T7_T9_mT8_P12ihipStream_tbDpT10_ENKUlT_T0_E_clISt17integral_constantIbLb0EES1B_IbLb1EEEEDaS17_S18_EUlS17_E_NS1_11comp_targetILNS1_3genE0ELNS1_11target_archE4294967295ELNS1_3gpuE0ELNS1_3repE0EEENS1_30default_config_static_selectorELNS0_4arch9wavefront6targetE0EEEvT1_.has_indirect_call, 0
	.section	.AMDGPU.csdata,"",@progbits
; Kernel info:
; codeLenInByte = 10604
; TotalNumSgprs: 38
; NumVgprs: 53
; ScratchSize: 0
; MemoryBound: 0
; FloatMode: 240
; IeeeMode: 1
; LDSByteSize: 28680 bytes/workgroup (compile time only)
; SGPRBlocks: 0
; VGPRBlocks: 3
; NumSGPRsForWavesPerEU: 38
; NumVGPRsForWavesPerEU: 53
; NamedBarCnt: 0
; Occupancy: 16
; WaveLimiterHint : 1
; COMPUTE_PGM_RSRC2:SCRATCH_EN: 0
; COMPUTE_PGM_RSRC2:USER_SGPR: 2
; COMPUTE_PGM_RSRC2:TRAP_HANDLER: 0
; COMPUTE_PGM_RSRC2:TGID_X_EN: 1
; COMPUTE_PGM_RSRC2:TGID_Y_EN: 0
; COMPUTE_PGM_RSRC2:TGID_Z_EN: 0
; COMPUTE_PGM_RSRC2:TIDIG_COMP_CNT: 0
	.section	.text._ZN7rocprim17ROCPRIM_400000_NS6detail17trampoline_kernelINS0_14default_configENS1_25partition_config_selectorILNS1_17partition_subalgoE8ElNS0_10empty_typeEbEEZZNS1_14partition_implILS5_8ELb0ES3_jPlPS6_PKS6_NS0_5tupleIJS9_S6_EEENSD_IJSA_SA_EEENS0_18inequality_wrapperIZN2at6native12_GLOBAL__N_124unique_dim_cuda_templateImEESt5tupleIJNSH_6TensorESM_SM_EERKSM_lbbbEUlllE0_EEPmJS6_EEE10hipError_tPvRmT3_T4_T5_T6_T7_T9_mT8_P12ihipStream_tbDpT10_ENKUlT_T0_E_clISt17integral_constantIbLb0EES1B_IbLb1EEEEDaS17_S18_EUlS17_E_NS1_11comp_targetILNS1_3genE5ELNS1_11target_archE942ELNS1_3gpuE9ELNS1_3repE0EEENS1_30default_config_static_selectorELNS0_4arch9wavefront6targetE0EEEvT1_,"axG",@progbits,_ZN7rocprim17ROCPRIM_400000_NS6detail17trampoline_kernelINS0_14default_configENS1_25partition_config_selectorILNS1_17partition_subalgoE8ElNS0_10empty_typeEbEEZZNS1_14partition_implILS5_8ELb0ES3_jPlPS6_PKS6_NS0_5tupleIJS9_S6_EEENSD_IJSA_SA_EEENS0_18inequality_wrapperIZN2at6native12_GLOBAL__N_124unique_dim_cuda_templateImEESt5tupleIJNSH_6TensorESM_SM_EERKSM_lbbbEUlllE0_EEPmJS6_EEE10hipError_tPvRmT3_T4_T5_T6_T7_T9_mT8_P12ihipStream_tbDpT10_ENKUlT_T0_E_clISt17integral_constantIbLb0EES1B_IbLb1EEEEDaS17_S18_EUlS17_E_NS1_11comp_targetILNS1_3genE5ELNS1_11target_archE942ELNS1_3gpuE9ELNS1_3repE0EEENS1_30default_config_static_selectorELNS0_4arch9wavefront6targetE0EEEvT1_,comdat
	.globl	_ZN7rocprim17ROCPRIM_400000_NS6detail17trampoline_kernelINS0_14default_configENS1_25partition_config_selectorILNS1_17partition_subalgoE8ElNS0_10empty_typeEbEEZZNS1_14partition_implILS5_8ELb0ES3_jPlPS6_PKS6_NS0_5tupleIJS9_S6_EEENSD_IJSA_SA_EEENS0_18inequality_wrapperIZN2at6native12_GLOBAL__N_124unique_dim_cuda_templateImEESt5tupleIJNSH_6TensorESM_SM_EERKSM_lbbbEUlllE0_EEPmJS6_EEE10hipError_tPvRmT3_T4_T5_T6_T7_T9_mT8_P12ihipStream_tbDpT10_ENKUlT_T0_E_clISt17integral_constantIbLb0EES1B_IbLb1EEEEDaS17_S18_EUlS17_E_NS1_11comp_targetILNS1_3genE5ELNS1_11target_archE942ELNS1_3gpuE9ELNS1_3repE0EEENS1_30default_config_static_selectorELNS0_4arch9wavefront6targetE0EEEvT1_ ; -- Begin function _ZN7rocprim17ROCPRIM_400000_NS6detail17trampoline_kernelINS0_14default_configENS1_25partition_config_selectorILNS1_17partition_subalgoE8ElNS0_10empty_typeEbEEZZNS1_14partition_implILS5_8ELb0ES3_jPlPS6_PKS6_NS0_5tupleIJS9_S6_EEENSD_IJSA_SA_EEENS0_18inequality_wrapperIZN2at6native12_GLOBAL__N_124unique_dim_cuda_templateImEESt5tupleIJNSH_6TensorESM_SM_EERKSM_lbbbEUlllE0_EEPmJS6_EEE10hipError_tPvRmT3_T4_T5_T6_T7_T9_mT8_P12ihipStream_tbDpT10_ENKUlT_T0_E_clISt17integral_constantIbLb0EES1B_IbLb1EEEEDaS17_S18_EUlS17_E_NS1_11comp_targetILNS1_3genE5ELNS1_11target_archE942ELNS1_3gpuE9ELNS1_3repE0EEENS1_30default_config_static_selectorELNS0_4arch9wavefront6targetE0EEEvT1_
	.p2align	8
	.type	_ZN7rocprim17ROCPRIM_400000_NS6detail17trampoline_kernelINS0_14default_configENS1_25partition_config_selectorILNS1_17partition_subalgoE8ElNS0_10empty_typeEbEEZZNS1_14partition_implILS5_8ELb0ES3_jPlPS6_PKS6_NS0_5tupleIJS9_S6_EEENSD_IJSA_SA_EEENS0_18inequality_wrapperIZN2at6native12_GLOBAL__N_124unique_dim_cuda_templateImEESt5tupleIJNSH_6TensorESM_SM_EERKSM_lbbbEUlllE0_EEPmJS6_EEE10hipError_tPvRmT3_T4_T5_T6_T7_T9_mT8_P12ihipStream_tbDpT10_ENKUlT_T0_E_clISt17integral_constantIbLb0EES1B_IbLb1EEEEDaS17_S18_EUlS17_E_NS1_11comp_targetILNS1_3genE5ELNS1_11target_archE942ELNS1_3gpuE9ELNS1_3repE0EEENS1_30default_config_static_selectorELNS0_4arch9wavefront6targetE0EEEvT1_,@function
_ZN7rocprim17ROCPRIM_400000_NS6detail17trampoline_kernelINS0_14default_configENS1_25partition_config_selectorILNS1_17partition_subalgoE8ElNS0_10empty_typeEbEEZZNS1_14partition_implILS5_8ELb0ES3_jPlPS6_PKS6_NS0_5tupleIJS9_S6_EEENSD_IJSA_SA_EEENS0_18inequality_wrapperIZN2at6native12_GLOBAL__N_124unique_dim_cuda_templateImEESt5tupleIJNSH_6TensorESM_SM_EERKSM_lbbbEUlllE0_EEPmJS6_EEE10hipError_tPvRmT3_T4_T5_T6_T7_T9_mT8_P12ihipStream_tbDpT10_ENKUlT_T0_E_clISt17integral_constantIbLb0EES1B_IbLb1EEEEDaS17_S18_EUlS17_E_NS1_11comp_targetILNS1_3genE5ELNS1_11target_archE942ELNS1_3gpuE9ELNS1_3repE0EEENS1_30default_config_static_selectorELNS0_4arch9wavefront6targetE0EEEvT1_: ; @_ZN7rocprim17ROCPRIM_400000_NS6detail17trampoline_kernelINS0_14default_configENS1_25partition_config_selectorILNS1_17partition_subalgoE8ElNS0_10empty_typeEbEEZZNS1_14partition_implILS5_8ELb0ES3_jPlPS6_PKS6_NS0_5tupleIJS9_S6_EEENSD_IJSA_SA_EEENS0_18inequality_wrapperIZN2at6native12_GLOBAL__N_124unique_dim_cuda_templateImEESt5tupleIJNSH_6TensorESM_SM_EERKSM_lbbbEUlllE0_EEPmJS6_EEE10hipError_tPvRmT3_T4_T5_T6_T7_T9_mT8_P12ihipStream_tbDpT10_ENKUlT_T0_E_clISt17integral_constantIbLb0EES1B_IbLb1EEEEDaS17_S18_EUlS17_E_NS1_11comp_targetILNS1_3genE5ELNS1_11target_archE942ELNS1_3gpuE9ELNS1_3repE0EEENS1_30default_config_static_selectorELNS0_4arch9wavefront6targetE0EEEvT1_
; %bb.0:
	.section	.rodata,"a",@progbits
	.p2align	6, 0x0
	.amdhsa_kernel _ZN7rocprim17ROCPRIM_400000_NS6detail17trampoline_kernelINS0_14default_configENS1_25partition_config_selectorILNS1_17partition_subalgoE8ElNS0_10empty_typeEbEEZZNS1_14partition_implILS5_8ELb0ES3_jPlPS6_PKS6_NS0_5tupleIJS9_S6_EEENSD_IJSA_SA_EEENS0_18inequality_wrapperIZN2at6native12_GLOBAL__N_124unique_dim_cuda_templateImEESt5tupleIJNSH_6TensorESM_SM_EERKSM_lbbbEUlllE0_EEPmJS6_EEE10hipError_tPvRmT3_T4_T5_T6_T7_T9_mT8_P12ihipStream_tbDpT10_ENKUlT_T0_E_clISt17integral_constantIbLb0EES1B_IbLb1EEEEDaS17_S18_EUlS17_E_NS1_11comp_targetILNS1_3genE5ELNS1_11target_archE942ELNS1_3gpuE9ELNS1_3repE0EEENS1_30default_config_static_selectorELNS0_4arch9wavefront6targetE0EEEvT1_
		.amdhsa_group_segment_fixed_size 0
		.amdhsa_private_segment_fixed_size 0
		.amdhsa_kernarg_size 136
		.amdhsa_user_sgpr_count 2
		.amdhsa_user_sgpr_dispatch_ptr 0
		.amdhsa_user_sgpr_queue_ptr 0
		.amdhsa_user_sgpr_kernarg_segment_ptr 1
		.amdhsa_user_sgpr_dispatch_id 0
		.amdhsa_user_sgpr_kernarg_preload_length 0
		.amdhsa_user_sgpr_kernarg_preload_offset 0
		.amdhsa_user_sgpr_private_segment_size 0
		.amdhsa_wavefront_size32 1
		.amdhsa_uses_dynamic_stack 0
		.amdhsa_enable_private_segment 0
		.amdhsa_system_sgpr_workgroup_id_x 1
		.amdhsa_system_sgpr_workgroup_id_y 0
		.amdhsa_system_sgpr_workgroup_id_z 0
		.amdhsa_system_sgpr_workgroup_info 0
		.amdhsa_system_vgpr_workitem_id 0
		.amdhsa_next_free_vgpr 1
		.amdhsa_next_free_sgpr 1
		.amdhsa_named_barrier_count 0
		.amdhsa_reserve_vcc 0
		.amdhsa_float_round_mode_32 0
		.amdhsa_float_round_mode_16_64 0
		.amdhsa_float_denorm_mode_32 3
		.amdhsa_float_denorm_mode_16_64 3
		.amdhsa_fp16_overflow 0
		.amdhsa_memory_ordered 1
		.amdhsa_forward_progress 1
		.amdhsa_inst_pref_size 0
		.amdhsa_round_robin_scheduling 0
		.amdhsa_exception_fp_ieee_invalid_op 0
		.amdhsa_exception_fp_denorm_src 0
		.amdhsa_exception_fp_ieee_div_zero 0
		.amdhsa_exception_fp_ieee_overflow 0
		.amdhsa_exception_fp_ieee_underflow 0
		.amdhsa_exception_fp_ieee_inexact 0
		.amdhsa_exception_int_div_zero 0
	.end_amdhsa_kernel
	.section	.text._ZN7rocprim17ROCPRIM_400000_NS6detail17trampoline_kernelINS0_14default_configENS1_25partition_config_selectorILNS1_17partition_subalgoE8ElNS0_10empty_typeEbEEZZNS1_14partition_implILS5_8ELb0ES3_jPlPS6_PKS6_NS0_5tupleIJS9_S6_EEENSD_IJSA_SA_EEENS0_18inequality_wrapperIZN2at6native12_GLOBAL__N_124unique_dim_cuda_templateImEESt5tupleIJNSH_6TensorESM_SM_EERKSM_lbbbEUlllE0_EEPmJS6_EEE10hipError_tPvRmT3_T4_T5_T6_T7_T9_mT8_P12ihipStream_tbDpT10_ENKUlT_T0_E_clISt17integral_constantIbLb0EES1B_IbLb1EEEEDaS17_S18_EUlS17_E_NS1_11comp_targetILNS1_3genE5ELNS1_11target_archE942ELNS1_3gpuE9ELNS1_3repE0EEENS1_30default_config_static_selectorELNS0_4arch9wavefront6targetE0EEEvT1_,"axG",@progbits,_ZN7rocprim17ROCPRIM_400000_NS6detail17trampoline_kernelINS0_14default_configENS1_25partition_config_selectorILNS1_17partition_subalgoE8ElNS0_10empty_typeEbEEZZNS1_14partition_implILS5_8ELb0ES3_jPlPS6_PKS6_NS0_5tupleIJS9_S6_EEENSD_IJSA_SA_EEENS0_18inequality_wrapperIZN2at6native12_GLOBAL__N_124unique_dim_cuda_templateImEESt5tupleIJNSH_6TensorESM_SM_EERKSM_lbbbEUlllE0_EEPmJS6_EEE10hipError_tPvRmT3_T4_T5_T6_T7_T9_mT8_P12ihipStream_tbDpT10_ENKUlT_T0_E_clISt17integral_constantIbLb0EES1B_IbLb1EEEEDaS17_S18_EUlS17_E_NS1_11comp_targetILNS1_3genE5ELNS1_11target_archE942ELNS1_3gpuE9ELNS1_3repE0EEENS1_30default_config_static_selectorELNS0_4arch9wavefront6targetE0EEEvT1_,comdat
.Lfunc_end1688:
	.size	_ZN7rocprim17ROCPRIM_400000_NS6detail17trampoline_kernelINS0_14default_configENS1_25partition_config_selectorILNS1_17partition_subalgoE8ElNS0_10empty_typeEbEEZZNS1_14partition_implILS5_8ELb0ES3_jPlPS6_PKS6_NS0_5tupleIJS9_S6_EEENSD_IJSA_SA_EEENS0_18inequality_wrapperIZN2at6native12_GLOBAL__N_124unique_dim_cuda_templateImEESt5tupleIJNSH_6TensorESM_SM_EERKSM_lbbbEUlllE0_EEPmJS6_EEE10hipError_tPvRmT3_T4_T5_T6_T7_T9_mT8_P12ihipStream_tbDpT10_ENKUlT_T0_E_clISt17integral_constantIbLb0EES1B_IbLb1EEEEDaS17_S18_EUlS17_E_NS1_11comp_targetILNS1_3genE5ELNS1_11target_archE942ELNS1_3gpuE9ELNS1_3repE0EEENS1_30default_config_static_selectorELNS0_4arch9wavefront6targetE0EEEvT1_, .Lfunc_end1688-_ZN7rocprim17ROCPRIM_400000_NS6detail17trampoline_kernelINS0_14default_configENS1_25partition_config_selectorILNS1_17partition_subalgoE8ElNS0_10empty_typeEbEEZZNS1_14partition_implILS5_8ELb0ES3_jPlPS6_PKS6_NS0_5tupleIJS9_S6_EEENSD_IJSA_SA_EEENS0_18inequality_wrapperIZN2at6native12_GLOBAL__N_124unique_dim_cuda_templateImEESt5tupleIJNSH_6TensorESM_SM_EERKSM_lbbbEUlllE0_EEPmJS6_EEE10hipError_tPvRmT3_T4_T5_T6_T7_T9_mT8_P12ihipStream_tbDpT10_ENKUlT_T0_E_clISt17integral_constantIbLb0EES1B_IbLb1EEEEDaS17_S18_EUlS17_E_NS1_11comp_targetILNS1_3genE5ELNS1_11target_archE942ELNS1_3gpuE9ELNS1_3repE0EEENS1_30default_config_static_selectorELNS0_4arch9wavefront6targetE0EEEvT1_
                                        ; -- End function
	.set _ZN7rocprim17ROCPRIM_400000_NS6detail17trampoline_kernelINS0_14default_configENS1_25partition_config_selectorILNS1_17partition_subalgoE8ElNS0_10empty_typeEbEEZZNS1_14partition_implILS5_8ELb0ES3_jPlPS6_PKS6_NS0_5tupleIJS9_S6_EEENSD_IJSA_SA_EEENS0_18inequality_wrapperIZN2at6native12_GLOBAL__N_124unique_dim_cuda_templateImEESt5tupleIJNSH_6TensorESM_SM_EERKSM_lbbbEUlllE0_EEPmJS6_EEE10hipError_tPvRmT3_T4_T5_T6_T7_T9_mT8_P12ihipStream_tbDpT10_ENKUlT_T0_E_clISt17integral_constantIbLb0EES1B_IbLb1EEEEDaS17_S18_EUlS17_E_NS1_11comp_targetILNS1_3genE5ELNS1_11target_archE942ELNS1_3gpuE9ELNS1_3repE0EEENS1_30default_config_static_selectorELNS0_4arch9wavefront6targetE0EEEvT1_.num_vgpr, 0
	.set _ZN7rocprim17ROCPRIM_400000_NS6detail17trampoline_kernelINS0_14default_configENS1_25partition_config_selectorILNS1_17partition_subalgoE8ElNS0_10empty_typeEbEEZZNS1_14partition_implILS5_8ELb0ES3_jPlPS6_PKS6_NS0_5tupleIJS9_S6_EEENSD_IJSA_SA_EEENS0_18inequality_wrapperIZN2at6native12_GLOBAL__N_124unique_dim_cuda_templateImEESt5tupleIJNSH_6TensorESM_SM_EERKSM_lbbbEUlllE0_EEPmJS6_EEE10hipError_tPvRmT3_T4_T5_T6_T7_T9_mT8_P12ihipStream_tbDpT10_ENKUlT_T0_E_clISt17integral_constantIbLb0EES1B_IbLb1EEEEDaS17_S18_EUlS17_E_NS1_11comp_targetILNS1_3genE5ELNS1_11target_archE942ELNS1_3gpuE9ELNS1_3repE0EEENS1_30default_config_static_selectorELNS0_4arch9wavefront6targetE0EEEvT1_.num_agpr, 0
	.set _ZN7rocprim17ROCPRIM_400000_NS6detail17trampoline_kernelINS0_14default_configENS1_25partition_config_selectorILNS1_17partition_subalgoE8ElNS0_10empty_typeEbEEZZNS1_14partition_implILS5_8ELb0ES3_jPlPS6_PKS6_NS0_5tupleIJS9_S6_EEENSD_IJSA_SA_EEENS0_18inequality_wrapperIZN2at6native12_GLOBAL__N_124unique_dim_cuda_templateImEESt5tupleIJNSH_6TensorESM_SM_EERKSM_lbbbEUlllE0_EEPmJS6_EEE10hipError_tPvRmT3_T4_T5_T6_T7_T9_mT8_P12ihipStream_tbDpT10_ENKUlT_T0_E_clISt17integral_constantIbLb0EES1B_IbLb1EEEEDaS17_S18_EUlS17_E_NS1_11comp_targetILNS1_3genE5ELNS1_11target_archE942ELNS1_3gpuE9ELNS1_3repE0EEENS1_30default_config_static_selectorELNS0_4arch9wavefront6targetE0EEEvT1_.numbered_sgpr, 0
	.set _ZN7rocprim17ROCPRIM_400000_NS6detail17trampoline_kernelINS0_14default_configENS1_25partition_config_selectorILNS1_17partition_subalgoE8ElNS0_10empty_typeEbEEZZNS1_14partition_implILS5_8ELb0ES3_jPlPS6_PKS6_NS0_5tupleIJS9_S6_EEENSD_IJSA_SA_EEENS0_18inequality_wrapperIZN2at6native12_GLOBAL__N_124unique_dim_cuda_templateImEESt5tupleIJNSH_6TensorESM_SM_EERKSM_lbbbEUlllE0_EEPmJS6_EEE10hipError_tPvRmT3_T4_T5_T6_T7_T9_mT8_P12ihipStream_tbDpT10_ENKUlT_T0_E_clISt17integral_constantIbLb0EES1B_IbLb1EEEEDaS17_S18_EUlS17_E_NS1_11comp_targetILNS1_3genE5ELNS1_11target_archE942ELNS1_3gpuE9ELNS1_3repE0EEENS1_30default_config_static_selectorELNS0_4arch9wavefront6targetE0EEEvT1_.num_named_barrier, 0
	.set _ZN7rocprim17ROCPRIM_400000_NS6detail17trampoline_kernelINS0_14default_configENS1_25partition_config_selectorILNS1_17partition_subalgoE8ElNS0_10empty_typeEbEEZZNS1_14partition_implILS5_8ELb0ES3_jPlPS6_PKS6_NS0_5tupleIJS9_S6_EEENSD_IJSA_SA_EEENS0_18inequality_wrapperIZN2at6native12_GLOBAL__N_124unique_dim_cuda_templateImEESt5tupleIJNSH_6TensorESM_SM_EERKSM_lbbbEUlllE0_EEPmJS6_EEE10hipError_tPvRmT3_T4_T5_T6_T7_T9_mT8_P12ihipStream_tbDpT10_ENKUlT_T0_E_clISt17integral_constantIbLb0EES1B_IbLb1EEEEDaS17_S18_EUlS17_E_NS1_11comp_targetILNS1_3genE5ELNS1_11target_archE942ELNS1_3gpuE9ELNS1_3repE0EEENS1_30default_config_static_selectorELNS0_4arch9wavefront6targetE0EEEvT1_.private_seg_size, 0
	.set _ZN7rocprim17ROCPRIM_400000_NS6detail17trampoline_kernelINS0_14default_configENS1_25partition_config_selectorILNS1_17partition_subalgoE8ElNS0_10empty_typeEbEEZZNS1_14partition_implILS5_8ELb0ES3_jPlPS6_PKS6_NS0_5tupleIJS9_S6_EEENSD_IJSA_SA_EEENS0_18inequality_wrapperIZN2at6native12_GLOBAL__N_124unique_dim_cuda_templateImEESt5tupleIJNSH_6TensorESM_SM_EERKSM_lbbbEUlllE0_EEPmJS6_EEE10hipError_tPvRmT3_T4_T5_T6_T7_T9_mT8_P12ihipStream_tbDpT10_ENKUlT_T0_E_clISt17integral_constantIbLb0EES1B_IbLb1EEEEDaS17_S18_EUlS17_E_NS1_11comp_targetILNS1_3genE5ELNS1_11target_archE942ELNS1_3gpuE9ELNS1_3repE0EEENS1_30default_config_static_selectorELNS0_4arch9wavefront6targetE0EEEvT1_.uses_vcc, 0
	.set _ZN7rocprim17ROCPRIM_400000_NS6detail17trampoline_kernelINS0_14default_configENS1_25partition_config_selectorILNS1_17partition_subalgoE8ElNS0_10empty_typeEbEEZZNS1_14partition_implILS5_8ELb0ES3_jPlPS6_PKS6_NS0_5tupleIJS9_S6_EEENSD_IJSA_SA_EEENS0_18inequality_wrapperIZN2at6native12_GLOBAL__N_124unique_dim_cuda_templateImEESt5tupleIJNSH_6TensorESM_SM_EERKSM_lbbbEUlllE0_EEPmJS6_EEE10hipError_tPvRmT3_T4_T5_T6_T7_T9_mT8_P12ihipStream_tbDpT10_ENKUlT_T0_E_clISt17integral_constantIbLb0EES1B_IbLb1EEEEDaS17_S18_EUlS17_E_NS1_11comp_targetILNS1_3genE5ELNS1_11target_archE942ELNS1_3gpuE9ELNS1_3repE0EEENS1_30default_config_static_selectorELNS0_4arch9wavefront6targetE0EEEvT1_.uses_flat_scratch, 0
	.set _ZN7rocprim17ROCPRIM_400000_NS6detail17trampoline_kernelINS0_14default_configENS1_25partition_config_selectorILNS1_17partition_subalgoE8ElNS0_10empty_typeEbEEZZNS1_14partition_implILS5_8ELb0ES3_jPlPS6_PKS6_NS0_5tupleIJS9_S6_EEENSD_IJSA_SA_EEENS0_18inequality_wrapperIZN2at6native12_GLOBAL__N_124unique_dim_cuda_templateImEESt5tupleIJNSH_6TensorESM_SM_EERKSM_lbbbEUlllE0_EEPmJS6_EEE10hipError_tPvRmT3_T4_T5_T6_T7_T9_mT8_P12ihipStream_tbDpT10_ENKUlT_T0_E_clISt17integral_constantIbLb0EES1B_IbLb1EEEEDaS17_S18_EUlS17_E_NS1_11comp_targetILNS1_3genE5ELNS1_11target_archE942ELNS1_3gpuE9ELNS1_3repE0EEENS1_30default_config_static_selectorELNS0_4arch9wavefront6targetE0EEEvT1_.has_dyn_sized_stack, 0
	.set _ZN7rocprim17ROCPRIM_400000_NS6detail17trampoline_kernelINS0_14default_configENS1_25partition_config_selectorILNS1_17partition_subalgoE8ElNS0_10empty_typeEbEEZZNS1_14partition_implILS5_8ELb0ES3_jPlPS6_PKS6_NS0_5tupleIJS9_S6_EEENSD_IJSA_SA_EEENS0_18inequality_wrapperIZN2at6native12_GLOBAL__N_124unique_dim_cuda_templateImEESt5tupleIJNSH_6TensorESM_SM_EERKSM_lbbbEUlllE0_EEPmJS6_EEE10hipError_tPvRmT3_T4_T5_T6_T7_T9_mT8_P12ihipStream_tbDpT10_ENKUlT_T0_E_clISt17integral_constantIbLb0EES1B_IbLb1EEEEDaS17_S18_EUlS17_E_NS1_11comp_targetILNS1_3genE5ELNS1_11target_archE942ELNS1_3gpuE9ELNS1_3repE0EEENS1_30default_config_static_selectorELNS0_4arch9wavefront6targetE0EEEvT1_.has_recursion, 0
	.set _ZN7rocprim17ROCPRIM_400000_NS6detail17trampoline_kernelINS0_14default_configENS1_25partition_config_selectorILNS1_17partition_subalgoE8ElNS0_10empty_typeEbEEZZNS1_14partition_implILS5_8ELb0ES3_jPlPS6_PKS6_NS0_5tupleIJS9_S6_EEENSD_IJSA_SA_EEENS0_18inequality_wrapperIZN2at6native12_GLOBAL__N_124unique_dim_cuda_templateImEESt5tupleIJNSH_6TensorESM_SM_EERKSM_lbbbEUlllE0_EEPmJS6_EEE10hipError_tPvRmT3_T4_T5_T6_T7_T9_mT8_P12ihipStream_tbDpT10_ENKUlT_T0_E_clISt17integral_constantIbLb0EES1B_IbLb1EEEEDaS17_S18_EUlS17_E_NS1_11comp_targetILNS1_3genE5ELNS1_11target_archE942ELNS1_3gpuE9ELNS1_3repE0EEENS1_30default_config_static_selectorELNS0_4arch9wavefront6targetE0EEEvT1_.has_indirect_call, 0
	.section	.AMDGPU.csdata,"",@progbits
; Kernel info:
; codeLenInByte = 0
; TotalNumSgprs: 0
; NumVgprs: 0
; ScratchSize: 0
; MemoryBound: 0
; FloatMode: 240
; IeeeMode: 1
; LDSByteSize: 0 bytes/workgroup (compile time only)
; SGPRBlocks: 0
; VGPRBlocks: 0
; NumSGPRsForWavesPerEU: 1
; NumVGPRsForWavesPerEU: 1
; NamedBarCnt: 0
; Occupancy: 16
; WaveLimiterHint : 0
; COMPUTE_PGM_RSRC2:SCRATCH_EN: 0
; COMPUTE_PGM_RSRC2:USER_SGPR: 2
; COMPUTE_PGM_RSRC2:TRAP_HANDLER: 0
; COMPUTE_PGM_RSRC2:TGID_X_EN: 1
; COMPUTE_PGM_RSRC2:TGID_Y_EN: 0
; COMPUTE_PGM_RSRC2:TGID_Z_EN: 0
; COMPUTE_PGM_RSRC2:TIDIG_COMP_CNT: 0
	.section	.text._ZN7rocprim17ROCPRIM_400000_NS6detail17trampoline_kernelINS0_14default_configENS1_25partition_config_selectorILNS1_17partition_subalgoE8ElNS0_10empty_typeEbEEZZNS1_14partition_implILS5_8ELb0ES3_jPlPS6_PKS6_NS0_5tupleIJS9_S6_EEENSD_IJSA_SA_EEENS0_18inequality_wrapperIZN2at6native12_GLOBAL__N_124unique_dim_cuda_templateImEESt5tupleIJNSH_6TensorESM_SM_EERKSM_lbbbEUlllE0_EEPmJS6_EEE10hipError_tPvRmT3_T4_T5_T6_T7_T9_mT8_P12ihipStream_tbDpT10_ENKUlT_T0_E_clISt17integral_constantIbLb0EES1B_IbLb1EEEEDaS17_S18_EUlS17_E_NS1_11comp_targetILNS1_3genE4ELNS1_11target_archE910ELNS1_3gpuE8ELNS1_3repE0EEENS1_30default_config_static_selectorELNS0_4arch9wavefront6targetE0EEEvT1_,"axG",@progbits,_ZN7rocprim17ROCPRIM_400000_NS6detail17trampoline_kernelINS0_14default_configENS1_25partition_config_selectorILNS1_17partition_subalgoE8ElNS0_10empty_typeEbEEZZNS1_14partition_implILS5_8ELb0ES3_jPlPS6_PKS6_NS0_5tupleIJS9_S6_EEENSD_IJSA_SA_EEENS0_18inequality_wrapperIZN2at6native12_GLOBAL__N_124unique_dim_cuda_templateImEESt5tupleIJNSH_6TensorESM_SM_EERKSM_lbbbEUlllE0_EEPmJS6_EEE10hipError_tPvRmT3_T4_T5_T6_T7_T9_mT8_P12ihipStream_tbDpT10_ENKUlT_T0_E_clISt17integral_constantIbLb0EES1B_IbLb1EEEEDaS17_S18_EUlS17_E_NS1_11comp_targetILNS1_3genE4ELNS1_11target_archE910ELNS1_3gpuE8ELNS1_3repE0EEENS1_30default_config_static_selectorELNS0_4arch9wavefront6targetE0EEEvT1_,comdat
	.globl	_ZN7rocprim17ROCPRIM_400000_NS6detail17trampoline_kernelINS0_14default_configENS1_25partition_config_selectorILNS1_17partition_subalgoE8ElNS0_10empty_typeEbEEZZNS1_14partition_implILS5_8ELb0ES3_jPlPS6_PKS6_NS0_5tupleIJS9_S6_EEENSD_IJSA_SA_EEENS0_18inequality_wrapperIZN2at6native12_GLOBAL__N_124unique_dim_cuda_templateImEESt5tupleIJNSH_6TensorESM_SM_EERKSM_lbbbEUlllE0_EEPmJS6_EEE10hipError_tPvRmT3_T4_T5_T6_T7_T9_mT8_P12ihipStream_tbDpT10_ENKUlT_T0_E_clISt17integral_constantIbLb0EES1B_IbLb1EEEEDaS17_S18_EUlS17_E_NS1_11comp_targetILNS1_3genE4ELNS1_11target_archE910ELNS1_3gpuE8ELNS1_3repE0EEENS1_30default_config_static_selectorELNS0_4arch9wavefront6targetE0EEEvT1_ ; -- Begin function _ZN7rocprim17ROCPRIM_400000_NS6detail17trampoline_kernelINS0_14default_configENS1_25partition_config_selectorILNS1_17partition_subalgoE8ElNS0_10empty_typeEbEEZZNS1_14partition_implILS5_8ELb0ES3_jPlPS6_PKS6_NS0_5tupleIJS9_S6_EEENSD_IJSA_SA_EEENS0_18inequality_wrapperIZN2at6native12_GLOBAL__N_124unique_dim_cuda_templateImEESt5tupleIJNSH_6TensorESM_SM_EERKSM_lbbbEUlllE0_EEPmJS6_EEE10hipError_tPvRmT3_T4_T5_T6_T7_T9_mT8_P12ihipStream_tbDpT10_ENKUlT_T0_E_clISt17integral_constantIbLb0EES1B_IbLb1EEEEDaS17_S18_EUlS17_E_NS1_11comp_targetILNS1_3genE4ELNS1_11target_archE910ELNS1_3gpuE8ELNS1_3repE0EEENS1_30default_config_static_selectorELNS0_4arch9wavefront6targetE0EEEvT1_
	.p2align	8
	.type	_ZN7rocprim17ROCPRIM_400000_NS6detail17trampoline_kernelINS0_14default_configENS1_25partition_config_selectorILNS1_17partition_subalgoE8ElNS0_10empty_typeEbEEZZNS1_14partition_implILS5_8ELb0ES3_jPlPS6_PKS6_NS0_5tupleIJS9_S6_EEENSD_IJSA_SA_EEENS0_18inequality_wrapperIZN2at6native12_GLOBAL__N_124unique_dim_cuda_templateImEESt5tupleIJNSH_6TensorESM_SM_EERKSM_lbbbEUlllE0_EEPmJS6_EEE10hipError_tPvRmT3_T4_T5_T6_T7_T9_mT8_P12ihipStream_tbDpT10_ENKUlT_T0_E_clISt17integral_constantIbLb0EES1B_IbLb1EEEEDaS17_S18_EUlS17_E_NS1_11comp_targetILNS1_3genE4ELNS1_11target_archE910ELNS1_3gpuE8ELNS1_3repE0EEENS1_30default_config_static_selectorELNS0_4arch9wavefront6targetE0EEEvT1_,@function
_ZN7rocprim17ROCPRIM_400000_NS6detail17trampoline_kernelINS0_14default_configENS1_25partition_config_selectorILNS1_17partition_subalgoE8ElNS0_10empty_typeEbEEZZNS1_14partition_implILS5_8ELb0ES3_jPlPS6_PKS6_NS0_5tupleIJS9_S6_EEENSD_IJSA_SA_EEENS0_18inequality_wrapperIZN2at6native12_GLOBAL__N_124unique_dim_cuda_templateImEESt5tupleIJNSH_6TensorESM_SM_EERKSM_lbbbEUlllE0_EEPmJS6_EEE10hipError_tPvRmT3_T4_T5_T6_T7_T9_mT8_P12ihipStream_tbDpT10_ENKUlT_T0_E_clISt17integral_constantIbLb0EES1B_IbLb1EEEEDaS17_S18_EUlS17_E_NS1_11comp_targetILNS1_3genE4ELNS1_11target_archE910ELNS1_3gpuE8ELNS1_3repE0EEENS1_30default_config_static_selectorELNS0_4arch9wavefront6targetE0EEEvT1_: ; @_ZN7rocprim17ROCPRIM_400000_NS6detail17trampoline_kernelINS0_14default_configENS1_25partition_config_selectorILNS1_17partition_subalgoE8ElNS0_10empty_typeEbEEZZNS1_14partition_implILS5_8ELb0ES3_jPlPS6_PKS6_NS0_5tupleIJS9_S6_EEENSD_IJSA_SA_EEENS0_18inequality_wrapperIZN2at6native12_GLOBAL__N_124unique_dim_cuda_templateImEESt5tupleIJNSH_6TensorESM_SM_EERKSM_lbbbEUlllE0_EEPmJS6_EEE10hipError_tPvRmT3_T4_T5_T6_T7_T9_mT8_P12ihipStream_tbDpT10_ENKUlT_T0_E_clISt17integral_constantIbLb0EES1B_IbLb1EEEEDaS17_S18_EUlS17_E_NS1_11comp_targetILNS1_3genE4ELNS1_11target_archE910ELNS1_3gpuE8ELNS1_3repE0EEENS1_30default_config_static_selectorELNS0_4arch9wavefront6targetE0EEEvT1_
; %bb.0:
	.section	.rodata,"a",@progbits
	.p2align	6, 0x0
	.amdhsa_kernel _ZN7rocprim17ROCPRIM_400000_NS6detail17trampoline_kernelINS0_14default_configENS1_25partition_config_selectorILNS1_17partition_subalgoE8ElNS0_10empty_typeEbEEZZNS1_14partition_implILS5_8ELb0ES3_jPlPS6_PKS6_NS0_5tupleIJS9_S6_EEENSD_IJSA_SA_EEENS0_18inequality_wrapperIZN2at6native12_GLOBAL__N_124unique_dim_cuda_templateImEESt5tupleIJNSH_6TensorESM_SM_EERKSM_lbbbEUlllE0_EEPmJS6_EEE10hipError_tPvRmT3_T4_T5_T6_T7_T9_mT8_P12ihipStream_tbDpT10_ENKUlT_T0_E_clISt17integral_constantIbLb0EES1B_IbLb1EEEEDaS17_S18_EUlS17_E_NS1_11comp_targetILNS1_3genE4ELNS1_11target_archE910ELNS1_3gpuE8ELNS1_3repE0EEENS1_30default_config_static_selectorELNS0_4arch9wavefront6targetE0EEEvT1_
		.amdhsa_group_segment_fixed_size 0
		.amdhsa_private_segment_fixed_size 0
		.amdhsa_kernarg_size 136
		.amdhsa_user_sgpr_count 2
		.amdhsa_user_sgpr_dispatch_ptr 0
		.amdhsa_user_sgpr_queue_ptr 0
		.amdhsa_user_sgpr_kernarg_segment_ptr 1
		.amdhsa_user_sgpr_dispatch_id 0
		.amdhsa_user_sgpr_kernarg_preload_length 0
		.amdhsa_user_sgpr_kernarg_preload_offset 0
		.amdhsa_user_sgpr_private_segment_size 0
		.amdhsa_wavefront_size32 1
		.amdhsa_uses_dynamic_stack 0
		.amdhsa_enable_private_segment 0
		.amdhsa_system_sgpr_workgroup_id_x 1
		.amdhsa_system_sgpr_workgroup_id_y 0
		.amdhsa_system_sgpr_workgroup_id_z 0
		.amdhsa_system_sgpr_workgroup_info 0
		.amdhsa_system_vgpr_workitem_id 0
		.amdhsa_next_free_vgpr 1
		.amdhsa_next_free_sgpr 1
		.amdhsa_named_barrier_count 0
		.amdhsa_reserve_vcc 0
		.amdhsa_float_round_mode_32 0
		.amdhsa_float_round_mode_16_64 0
		.amdhsa_float_denorm_mode_32 3
		.amdhsa_float_denorm_mode_16_64 3
		.amdhsa_fp16_overflow 0
		.amdhsa_memory_ordered 1
		.amdhsa_forward_progress 1
		.amdhsa_inst_pref_size 0
		.amdhsa_round_robin_scheduling 0
		.amdhsa_exception_fp_ieee_invalid_op 0
		.amdhsa_exception_fp_denorm_src 0
		.amdhsa_exception_fp_ieee_div_zero 0
		.amdhsa_exception_fp_ieee_overflow 0
		.amdhsa_exception_fp_ieee_underflow 0
		.amdhsa_exception_fp_ieee_inexact 0
		.amdhsa_exception_int_div_zero 0
	.end_amdhsa_kernel
	.section	.text._ZN7rocprim17ROCPRIM_400000_NS6detail17trampoline_kernelINS0_14default_configENS1_25partition_config_selectorILNS1_17partition_subalgoE8ElNS0_10empty_typeEbEEZZNS1_14partition_implILS5_8ELb0ES3_jPlPS6_PKS6_NS0_5tupleIJS9_S6_EEENSD_IJSA_SA_EEENS0_18inequality_wrapperIZN2at6native12_GLOBAL__N_124unique_dim_cuda_templateImEESt5tupleIJNSH_6TensorESM_SM_EERKSM_lbbbEUlllE0_EEPmJS6_EEE10hipError_tPvRmT3_T4_T5_T6_T7_T9_mT8_P12ihipStream_tbDpT10_ENKUlT_T0_E_clISt17integral_constantIbLb0EES1B_IbLb1EEEEDaS17_S18_EUlS17_E_NS1_11comp_targetILNS1_3genE4ELNS1_11target_archE910ELNS1_3gpuE8ELNS1_3repE0EEENS1_30default_config_static_selectorELNS0_4arch9wavefront6targetE0EEEvT1_,"axG",@progbits,_ZN7rocprim17ROCPRIM_400000_NS6detail17trampoline_kernelINS0_14default_configENS1_25partition_config_selectorILNS1_17partition_subalgoE8ElNS0_10empty_typeEbEEZZNS1_14partition_implILS5_8ELb0ES3_jPlPS6_PKS6_NS0_5tupleIJS9_S6_EEENSD_IJSA_SA_EEENS0_18inequality_wrapperIZN2at6native12_GLOBAL__N_124unique_dim_cuda_templateImEESt5tupleIJNSH_6TensorESM_SM_EERKSM_lbbbEUlllE0_EEPmJS6_EEE10hipError_tPvRmT3_T4_T5_T6_T7_T9_mT8_P12ihipStream_tbDpT10_ENKUlT_T0_E_clISt17integral_constantIbLb0EES1B_IbLb1EEEEDaS17_S18_EUlS17_E_NS1_11comp_targetILNS1_3genE4ELNS1_11target_archE910ELNS1_3gpuE8ELNS1_3repE0EEENS1_30default_config_static_selectorELNS0_4arch9wavefront6targetE0EEEvT1_,comdat
.Lfunc_end1689:
	.size	_ZN7rocprim17ROCPRIM_400000_NS6detail17trampoline_kernelINS0_14default_configENS1_25partition_config_selectorILNS1_17partition_subalgoE8ElNS0_10empty_typeEbEEZZNS1_14partition_implILS5_8ELb0ES3_jPlPS6_PKS6_NS0_5tupleIJS9_S6_EEENSD_IJSA_SA_EEENS0_18inequality_wrapperIZN2at6native12_GLOBAL__N_124unique_dim_cuda_templateImEESt5tupleIJNSH_6TensorESM_SM_EERKSM_lbbbEUlllE0_EEPmJS6_EEE10hipError_tPvRmT3_T4_T5_T6_T7_T9_mT8_P12ihipStream_tbDpT10_ENKUlT_T0_E_clISt17integral_constantIbLb0EES1B_IbLb1EEEEDaS17_S18_EUlS17_E_NS1_11comp_targetILNS1_3genE4ELNS1_11target_archE910ELNS1_3gpuE8ELNS1_3repE0EEENS1_30default_config_static_selectorELNS0_4arch9wavefront6targetE0EEEvT1_, .Lfunc_end1689-_ZN7rocprim17ROCPRIM_400000_NS6detail17trampoline_kernelINS0_14default_configENS1_25partition_config_selectorILNS1_17partition_subalgoE8ElNS0_10empty_typeEbEEZZNS1_14partition_implILS5_8ELb0ES3_jPlPS6_PKS6_NS0_5tupleIJS9_S6_EEENSD_IJSA_SA_EEENS0_18inequality_wrapperIZN2at6native12_GLOBAL__N_124unique_dim_cuda_templateImEESt5tupleIJNSH_6TensorESM_SM_EERKSM_lbbbEUlllE0_EEPmJS6_EEE10hipError_tPvRmT3_T4_T5_T6_T7_T9_mT8_P12ihipStream_tbDpT10_ENKUlT_T0_E_clISt17integral_constantIbLb0EES1B_IbLb1EEEEDaS17_S18_EUlS17_E_NS1_11comp_targetILNS1_3genE4ELNS1_11target_archE910ELNS1_3gpuE8ELNS1_3repE0EEENS1_30default_config_static_selectorELNS0_4arch9wavefront6targetE0EEEvT1_
                                        ; -- End function
	.set _ZN7rocprim17ROCPRIM_400000_NS6detail17trampoline_kernelINS0_14default_configENS1_25partition_config_selectorILNS1_17partition_subalgoE8ElNS0_10empty_typeEbEEZZNS1_14partition_implILS5_8ELb0ES3_jPlPS6_PKS6_NS0_5tupleIJS9_S6_EEENSD_IJSA_SA_EEENS0_18inequality_wrapperIZN2at6native12_GLOBAL__N_124unique_dim_cuda_templateImEESt5tupleIJNSH_6TensorESM_SM_EERKSM_lbbbEUlllE0_EEPmJS6_EEE10hipError_tPvRmT3_T4_T5_T6_T7_T9_mT8_P12ihipStream_tbDpT10_ENKUlT_T0_E_clISt17integral_constantIbLb0EES1B_IbLb1EEEEDaS17_S18_EUlS17_E_NS1_11comp_targetILNS1_3genE4ELNS1_11target_archE910ELNS1_3gpuE8ELNS1_3repE0EEENS1_30default_config_static_selectorELNS0_4arch9wavefront6targetE0EEEvT1_.num_vgpr, 0
	.set _ZN7rocprim17ROCPRIM_400000_NS6detail17trampoline_kernelINS0_14default_configENS1_25partition_config_selectorILNS1_17partition_subalgoE8ElNS0_10empty_typeEbEEZZNS1_14partition_implILS5_8ELb0ES3_jPlPS6_PKS6_NS0_5tupleIJS9_S6_EEENSD_IJSA_SA_EEENS0_18inequality_wrapperIZN2at6native12_GLOBAL__N_124unique_dim_cuda_templateImEESt5tupleIJNSH_6TensorESM_SM_EERKSM_lbbbEUlllE0_EEPmJS6_EEE10hipError_tPvRmT3_T4_T5_T6_T7_T9_mT8_P12ihipStream_tbDpT10_ENKUlT_T0_E_clISt17integral_constantIbLb0EES1B_IbLb1EEEEDaS17_S18_EUlS17_E_NS1_11comp_targetILNS1_3genE4ELNS1_11target_archE910ELNS1_3gpuE8ELNS1_3repE0EEENS1_30default_config_static_selectorELNS0_4arch9wavefront6targetE0EEEvT1_.num_agpr, 0
	.set _ZN7rocprim17ROCPRIM_400000_NS6detail17trampoline_kernelINS0_14default_configENS1_25partition_config_selectorILNS1_17partition_subalgoE8ElNS0_10empty_typeEbEEZZNS1_14partition_implILS5_8ELb0ES3_jPlPS6_PKS6_NS0_5tupleIJS9_S6_EEENSD_IJSA_SA_EEENS0_18inequality_wrapperIZN2at6native12_GLOBAL__N_124unique_dim_cuda_templateImEESt5tupleIJNSH_6TensorESM_SM_EERKSM_lbbbEUlllE0_EEPmJS6_EEE10hipError_tPvRmT3_T4_T5_T6_T7_T9_mT8_P12ihipStream_tbDpT10_ENKUlT_T0_E_clISt17integral_constantIbLb0EES1B_IbLb1EEEEDaS17_S18_EUlS17_E_NS1_11comp_targetILNS1_3genE4ELNS1_11target_archE910ELNS1_3gpuE8ELNS1_3repE0EEENS1_30default_config_static_selectorELNS0_4arch9wavefront6targetE0EEEvT1_.numbered_sgpr, 0
	.set _ZN7rocprim17ROCPRIM_400000_NS6detail17trampoline_kernelINS0_14default_configENS1_25partition_config_selectorILNS1_17partition_subalgoE8ElNS0_10empty_typeEbEEZZNS1_14partition_implILS5_8ELb0ES3_jPlPS6_PKS6_NS0_5tupleIJS9_S6_EEENSD_IJSA_SA_EEENS0_18inequality_wrapperIZN2at6native12_GLOBAL__N_124unique_dim_cuda_templateImEESt5tupleIJNSH_6TensorESM_SM_EERKSM_lbbbEUlllE0_EEPmJS6_EEE10hipError_tPvRmT3_T4_T5_T6_T7_T9_mT8_P12ihipStream_tbDpT10_ENKUlT_T0_E_clISt17integral_constantIbLb0EES1B_IbLb1EEEEDaS17_S18_EUlS17_E_NS1_11comp_targetILNS1_3genE4ELNS1_11target_archE910ELNS1_3gpuE8ELNS1_3repE0EEENS1_30default_config_static_selectorELNS0_4arch9wavefront6targetE0EEEvT1_.num_named_barrier, 0
	.set _ZN7rocprim17ROCPRIM_400000_NS6detail17trampoline_kernelINS0_14default_configENS1_25partition_config_selectorILNS1_17partition_subalgoE8ElNS0_10empty_typeEbEEZZNS1_14partition_implILS5_8ELb0ES3_jPlPS6_PKS6_NS0_5tupleIJS9_S6_EEENSD_IJSA_SA_EEENS0_18inequality_wrapperIZN2at6native12_GLOBAL__N_124unique_dim_cuda_templateImEESt5tupleIJNSH_6TensorESM_SM_EERKSM_lbbbEUlllE0_EEPmJS6_EEE10hipError_tPvRmT3_T4_T5_T6_T7_T9_mT8_P12ihipStream_tbDpT10_ENKUlT_T0_E_clISt17integral_constantIbLb0EES1B_IbLb1EEEEDaS17_S18_EUlS17_E_NS1_11comp_targetILNS1_3genE4ELNS1_11target_archE910ELNS1_3gpuE8ELNS1_3repE0EEENS1_30default_config_static_selectorELNS0_4arch9wavefront6targetE0EEEvT1_.private_seg_size, 0
	.set _ZN7rocprim17ROCPRIM_400000_NS6detail17trampoline_kernelINS0_14default_configENS1_25partition_config_selectorILNS1_17partition_subalgoE8ElNS0_10empty_typeEbEEZZNS1_14partition_implILS5_8ELb0ES3_jPlPS6_PKS6_NS0_5tupleIJS9_S6_EEENSD_IJSA_SA_EEENS0_18inequality_wrapperIZN2at6native12_GLOBAL__N_124unique_dim_cuda_templateImEESt5tupleIJNSH_6TensorESM_SM_EERKSM_lbbbEUlllE0_EEPmJS6_EEE10hipError_tPvRmT3_T4_T5_T6_T7_T9_mT8_P12ihipStream_tbDpT10_ENKUlT_T0_E_clISt17integral_constantIbLb0EES1B_IbLb1EEEEDaS17_S18_EUlS17_E_NS1_11comp_targetILNS1_3genE4ELNS1_11target_archE910ELNS1_3gpuE8ELNS1_3repE0EEENS1_30default_config_static_selectorELNS0_4arch9wavefront6targetE0EEEvT1_.uses_vcc, 0
	.set _ZN7rocprim17ROCPRIM_400000_NS6detail17trampoline_kernelINS0_14default_configENS1_25partition_config_selectorILNS1_17partition_subalgoE8ElNS0_10empty_typeEbEEZZNS1_14partition_implILS5_8ELb0ES3_jPlPS6_PKS6_NS0_5tupleIJS9_S6_EEENSD_IJSA_SA_EEENS0_18inequality_wrapperIZN2at6native12_GLOBAL__N_124unique_dim_cuda_templateImEESt5tupleIJNSH_6TensorESM_SM_EERKSM_lbbbEUlllE0_EEPmJS6_EEE10hipError_tPvRmT3_T4_T5_T6_T7_T9_mT8_P12ihipStream_tbDpT10_ENKUlT_T0_E_clISt17integral_constantIbLb0EES1B_IbLb1EEEEDaS17_S18_EUlS17_E_NS1_11comp_targetILNS1_3genE4ELNS1_11target_archE910ELNS1_3gpuE8ELNS1_3repE0EEENS1_30default_config_static_selectorELNS0_4arch9wavefront6targetE0EEEvT1_.uses_flat_scratch, 0
	.set _ZN7rocprim17ROCPRIM_400000_NS6detail17trampoline_kernelINS0_14default_configENS1_25partition_config_selectorILNS1_17partition_subalgoE8ElNS0_10empty_typeEbEEZZNS1_14partition_implILS5_8ELb0ES3_jPlPS6_PKS6_NS0_5tupleIJS9_S6_EEENSD_IJSA_SA_EEENS0_18inequality_wrapperIZN2at6native12_GLOBAL__N_124unique_dim_cuda_templateImEESt5tupleIJNSH_6TensorESM_SM_EERKSM_lbbbEUlllE0_EEPmJS6_EEE10hipError_tPvRmT3_T4_T5_T6_T7_T9_mT8_P12ihipStream_tbDpT10_ENKUlT_T0_E_clISt17integral_constantIbLb0EES1B_IbLb1EEEEDaS17_S18_EUlS17_E_NS1_11comp_targetILNS1_3genE4ELNS1_11target_archE910ELNS1_3gpuE8ELNS1_3repE0EEENS1_30default_config_static_selectorELNS0_4arch9wavefront6targetE0EEEvT1_.has_dyn_sized_stack, 0
	.set _ZN7rocprim17ROCPRIM_400000_NS6detail17trampoline_kernelINS0_14default_configENS1_25partition_config_selectorILNS1_17partition_subalgoE8ElNS0_10empty_typeEbEEZZNS1_14partition_implILS5_8ELb0ES3_jPlPS6_PKS6_NS0_5tupleIJS9_S6_EEENSD_IJSA_SA_EEENS0_18inequality_wrapperIZN2at6native12_GLOBAL__N_124unique_dim_cuda_templateImEESt5tupleIJNSH_6TensorESM_SM_EERKSM_lbbbEUlllE0_EEPmJS6_EEE10hipError_tPvRmT3_T4_T5_T6_T7_T9_mT8_P12ihipStream_tbDpT10_ENKUlT_T0_E_clISt17integral_constantIbLb0EES1B_IbLb1EEEEDaS17_S18_EUlS17_E_NS1_11comp_targetILNS1_3genE4ELNS1_11target_archE910ELNS1_3gpuE8ELNS1_3repE0EEENS1_30default_config_static_selectorELNS0_4arch9wavefront6targetE0EEEvT1_.has_recursion, 0
	.set _ZN7rocprim17ROCPRIM_400000_NS6detail17trampoline_kernelINS0_14default_configENS1_25partition_config_selectorILNS1_17partition_subalgoE8ElNS0_10empty_typeEbEEZZNS1_14partition_implILS5_8ELb0ES3_jPlPS6_PKS6_NS0_5tupleIJS9_S6_EEENSD_IJSA_SA_EEENS0_18inequality_wrapperIZN2at6native12_GLOBAL__N_124unique_dim_cuda_templateImEESt5tupleIJNSH_6TensorESM_SM_EERKSM_lbbbEUlllE0_EEPmJS6_EEE10hipError_tPvRmT3_T4_T5_T6_T7_T9_mT8_P12ihipStream_tbDpT10_ENKUlT_T0_E_clISt17integral_constantIbLb0EES1B_IbLb1EEEEDaS17_S18_EUlS17_E_NS1_11comp_targetILNS1_3genE4ELNS1_11target_archE910ELNS1_3gpuE8ELNS1_3repE0EEENS1_30default_config_static_selectorELNS0_4arch9wavefront6targetE0EEEvT1_.has_indirect_call, 0
	.section	.AMDGPU.csdata,"",@progbits
; Kernel info:
; codeLenInByte = 0
; TotalNumSgprs: 0
; NumVgprs: 0
; ScratchSize: 0
; MemoryBound: 0
; FloatMode: 240
; IeeeMode: 1
; LDSByteSize: 0 bytes/workgroup (compile time only)
; SGPRBlocks: 0
; VGPRBlocks: 0
; NumSGPRsForWavesPerEU: 1
; NumVGPRsForWavesPerEU: 1
; NamedBarCnt: 0
; Occupancy: 16
; WaveLimiterHint : 0
; COMPUTE_PGM_RSRC2:SCRATCH_EN: 0
; COMPUTE_PGM_RSRC2:USER_SGPR: 2
; COMPUTE_PGM_RSRC2:TRAP_HANDLER: 0
; COMPUTE_PGM_RSRC2:TGID_X_EN: 1
; COMPUTE_PGM_RSRC2:TGID_Y_EN: 0
; COMPUTE_PGM_RSRC2:TGID_Z_EN: 0
; COMPUTE_PGM_RSRC2:TIDIG_COMP_CNT: 0
	.section	.text._ZN7rocprim17ROCPRIM_400000_NS6detail17trampoline_kernelINS0_14default_configENS1_25partition_config_selectorILNS1_17partition_subalgoE8ElNS0_10empty_typeEbEEZZNS1_14partition_implILS5_8ELb0ES3_jPlPS6_PKS6_NS0_5tupleIJS9_S6_EEENSD_IJSA_SA_EEENS0_18inequality_wrapperIZN2at6native12_GLOBAL__N_124unique_dim_cuda_templateImEESt5tupleIJNSH_6TensorESM_SM_EERKSM_lbbbEUlllE0_EEPmJS6_EEE10hipError_tPvRmT3_T4_T5_T6_T7_T9_mT8_P12ihipStream_tbDpT10_ENKUlT_T0_E_clISt17integral_constantIbLb0EES1B_IbLb1EEEEDaS17_S18_EUlS17_E_NS1_11comp_targetILNS1_3genE3ELNS1_11target_archE908ELNS1_3gpuE7ELNS1_3repE0EEENS1_30default_config_static_selectorELNS0_4arch9wavefront6targetE0EEEvT1_,"axG",@progbits,_ZN7rocprim17ROCPRIM_400000_NS6detail17trampoline_kernelINS0_14default_configENS1_25partition_config_selectorILNS1_17partition_subalgoE8ElNS0_10empty_typeEbEEZZNS1_14partition_implILS5_8ELb0ES3_jPlPS6_PKS6_NS0_5tupleIJS9_S6_EEENSD_IJSA_SA_EEENS0_18inequality_wrapperIZN2at6native12_GLOBAL__N_124unique_dim_cuda_templateImEESt5tupleIJNSH_6TensorESM_SM_EERKSM_lbbbEUlllE0_EEPmJS6_EEE10hipError_tPvRmT3_T4_T5_T6_T7_T9_mT8_P12ihipStream_tbDpT10_ENKUlT_T0_E_clISt17integral_constantIbLb0EES1B_IbLb1EEEEDaS17_S18_EUlS17_E_NS1_11comp_targetILNS1_3genE3ELNS1_11target_archE908ELNS1_3gpuE7ELNS1_3repE0EEENS1_30default_config_static_selectorELNS0_4arch9wavefront6targetE0EEEvT1_,comdat
	.globl	_ZN7rocprim17ROCPRIM_400000_NS6detail17trampoline_kernelINS0_14default_configENS1_25partition_config_selectorILNS1_17partition_subalgoE8ElNS0_10empty_typeEbEEZZNS1_14partition_implILS5_8ELb0ES3_jPlPS6_PKS6_NS0_5tupleIJS9_S6_EEENSD_IJSA_SA_EEENS0_18inequality_wrapperIZN2at6native12_GLOBAL__N_124unique_dim_cuda_templateImEESt5tupleIJNSH_6TensorESM_SM_EERKSM_lbbbEUlllE0_EEPmJS6_EEE10hipError_tPvRmT3_T4_T5_T6_T7_T9_mT8_P12ihipStream_tbDpT10_ENKUlT_T0_E_clISt17integral_constantIbLb0EES1B_IbLb1EEEEDaS17_S18_EUlS17_E_NS1_11comp_targetILNS1_3genE3ELNS1_11target_archE908ELNS1_3gpuE7ELNS1_3repE0EEENS1_30default_config_static_selectorELNS0_4arch9wavefront6targetE0EEEvT1_ ; -- Begin function _ZN7rocprim17ROCPRIM_400000_NS6detail17trampoline_kernelINS0_14default_configENS1_25partition_config_selectorILNS1_17partition_subalgoE8ElNS0_10empty_typeEbEEZZNS1_14partition_implILS5_8ELb0ES3_jPlPS6_PKS6_NS0_5tupleIJS9_S6_EEENSD_IJSA_SA_EEENS0_18inequality_wrapperIZN2at6native12_GLOBAL__N_124unique_dim_cuda_templateImEESt5tupleIJNSH_6TensorESM_SM_EERKSM_lbbbEUlllE0_EEPmJS6_EEE10hipError_tPvRmT3_T4_T5_T6_T7_T9_mT8_P12ihipStream_tbDpT10_ENKUlT_T0_E_clISt17integral_constantIbLb0EES1B_IbLb1EEEEDaS17_S18_EUlS17_E_NS1_11comp_targetILNS1_3genE3ELNS1_11target_archE908ELNS1_3gpuE7ELNS1_3repE0EEENS1_30default_config_static_selectorELNS0_4arch9wavefront6targetE0EEEvT1_
	.p2align	8
	.type	_ZN7rocprim17ROCPRIM_400000_NS6detail17trampoline_kernelINS0_14default_configENS1_25partition_config_selectorILNS1_17partition_subalgoE8ElNS0_10empty_typeEbEEZZNS1_14partition_implILS5_8ELb0ES3_jPlPS6_PKS6_NS0_5tupleIJS9_S6_EEENSD_IJSA_SA_EEENS0_18inequality_wrapperIZN2at6native12_GLOBAL__N_124unique_dim_cuda_templateImEESt5tupleIJNSH_6TensorESM_SM_EERKSM_lbbbEUlllE0_EEPmJS6_EEE10hipError_tPvRmT3_T4_T5_T6_T7_T9_mT8_P12ihipStream_tbDpT10_ENKUlT_T0_E_clISt17integral_constantIbLb0EES1B_IbLb1EEEEDaS17_S18_EUlS17_E_NS1_11comp_targetILNS1_3genE3ELNS1_11target_archE908ELNS1_3gpuE7ELNS1_3repE0EEENS1_30default_config_static_selectorELNS0_4arch9wavefront6targetE0EEEvT1_,@function
_ZN7rocprim17ROCPRIM_400000_NS6detail17trampoline_kernelINS0_14default_configENS1_25partition_config_selectorILNS1_17partition_subalgoE8ElNS0_10empty_typeEbEEZZNS1_14partition_implILS5_8ELb0ES3_jPlPS6_PKS6_NS0_5tupleIJS9_S6_EEENSD_IJSA_SA_EEENS0_18inequality_wrapperIZN2at6native12_GLOBAL__N_124unique_dim_cuda_templateImEESt5tupleIJNSH_6TensorESM_SM_EERKSM_lbbbEUlllE0_EEPmJS6_EEE10hipError_tPvRmT3_T4_T5_T6_T7_T9_mT8_P12ihipStream_tbDpT10_ENKUlT_T0_E_clISt17integral_constantIbLb0EES1B_IbLb1EEEEDaS17_S18_EUlS17_E_NS1_11comp_targetILNS1_3genE3ELNS1_11target_archE908ELNS1_3gpuE7ELNS1_3repE0EEENS1_30default_config_static_selectorELNS0_4arch9wavefront6targetE0EEEvT1_: ; @_ZN7rocprim17ROCPRIM_400000_NS6detail17trampoline_kernelINS0_14default_configENS1_25partition_config_selectorILNS1_17partition_subalgoE8ElNS0_10empty_typeEbEEZZNS1_14partition_implILS5_8ELb0ES3_jPlPS6_PKS6_NS0_5tupleIJS9_S6_EEENSD_IJSA_SA_EEENS0_18inequality_wrapperIZN2at6native12_GLOBAL__N_124unique_dim_cuda_templateImEESt5tupleIJNSH_6TensorESM_SM_EERKSM_lbbbEUlllE0_EEPmJS6_EEE10hipError_tPvRmT3_T4_T5_T6_T7_T9_mT8_P12ihipStream_tbDpT10_ENKUlT_T0_E_clISt17integral_constantIbLb0EES1B_IbLb1EEEEDaS17_S18_EUlS17_E_NS1_11comp_targetILNS1_3genE3ELNS1_11target_archE908ELNS1_3gpuE7ELNS1_3repE0EEENS1_30default_config_static_selectorELNS0_4arch9wavefront6targetE0EEEvT1_
; %bb.0:
	.section	.rodata,"a",@progbits
	.p2align	6, 0x0
	.amdhsa_kernel _ZN7rocprim17ROCPRIM_400000_NS6detail17trampoline_kernelINS0_14default_configENS1_25partition_config_selectorILNS1_17partition_subalgoE8ElNS0_10empty_typeEbEEZZNS1_14partition_implILS5_8ELb0ES3_jPlPS6_PKS6_NS0_5tupleIJS9_S6_EEENSD_IJSA_SA_EEENS0_18inequality_wrapperIZN2at6native12_GLOBAL__N_124unique_dim_cuda_templateImEESt5tupleIJNSH_6TensorESM_SM_EERKSM_lbbbEUlllE0_EEPmJS6_EEE10hipError_tPvRmT3_T4_T5_T6_T7_T9_mT8_P12ihipStream_tbDpT10_ENKUlT_T0_E_clISt17integral_constantIbLb0EES1B_IbLb1EEEEDaS17_S18_EUlS17_E_NS1_11comp_targetILNS1_3genE3ELNS1_11target_archE908ELNS1_3gpuE7ELNS1_3repE0EEENS1_30default_config_static_selectorELNS0_4arch9wavefront6targetE0EEEvT1_
		.amdhsa_group_segment_fixed_size 0
		.amdhsa_private_segment_fixed_size 0
		.amdhsa_kernarg_size 136
		.amdhsa_user_sgpr_count 2
		.amdhsa_user_sgpr_dispatch_ptr 0
		.amdhsa_user_sgpr_queue_ptr 0
		.amdhsa_user_sgpr_kernarg_segment_ptr 1
		.amdhsa_user_sgpr_dispatch_id 0
		.amdhsa_user_sgpr_kernarg_preload_length 0
		.amdhsa_user_sgpr_kernarg_preload_offset 0
		.amdhsa_user_sgpr_private_segment_size 0
		.amdhsa_wavefront_size32 1
		.amdhsa_uses_dynamic_stack 0
		.amdhsa_enable_private_segment 0
		.amdhsa_system_sgpr_workgroup_id_x 1
		.amdhsa_system_sgpr_workgroup_id_y 0
		.amdhsa_system_sgpr_workgroup_id_z 0
		.amdhsa_system_sgpr_workgroup_info 0
		.amdhsa_system_vgpr_workitem_id 0
		.amdhsa_next_free_vgpr 1
		.amdhsa_next_free_sgpr 1
		.amdhsa_named_barrier_count 0
		.amdhsa_reserve_vcc 0
		.amdhsa_float_round_mode_32 0
		.amdhsa_float_round_mode_16_64 0
		.amdhsa_float_denorm_mode_32 3
		.amdhsa_float_denorm_mode_16_64 3
		.amdhsa_fp16_overflow 0
		.amdhsa_memory_ordered 1
		.amdhsa_forward_progress 1
		.amdhsa_inst_pref_size 0
		.amdhsa_round_robin_scheduling 0
		.amdhsa_exception_fp_ieee_invalid_op 0
		.amdhsa_exception_fp_denorm_src 0
		.amdhsa_exception_fp_ieee_div_zero 0
		.amdhsa_exception_fp_ieee_overflow 0
		.amdhsa_exception_fp_ieee_underflow 0
		.amdhsa_exception_fp_ieee_inexact 0
		.amdhsa_exception_int_div_zero 0
	.end_amdhsa_kernel
	.section	.text._ZN7rocprim17ROCPRIM_400000_NS6detail17trampoline_kernelINS0_14default_configENS1_25partition_config_selectorILNS1_17partition_subalgoE8ElNS0_10empty_typeEbEEZZNS1_14partition_implILS5_8ELb0ES3_jPlPS6_PKS6_NS0_5tupleIJS9_S6_EEENSD_IJSA_SA_EEENS0_18inequality_wrapperIZN2at6native12_GLOBAL__N_124unique_dim_cuda_templateImEESt5tupleIJNSH_6TensorESM_SM_EERKSM_lbbbEUlllE0_EEPmJS6_EEE10hipError_tPvRmT3_T4_T5_T6_T7_T9_mT8_P12ihipStream_tbDpT10_ENKUlT_T0_E_clISt17integral_constantIbLb0EES1B_IbLb1EEEEDaS17_S18_EUlS17_E_NS1_11comp_targetILNS1_3genE3ELNS1_11target_archE908ELNS1_3gpuE7ELNS1_3repE0EEENS1_30default_config_static_selectorELNS0_4arch9wavefront6targetE0EEEvT1_,"axG",@progbits,_ZN7rocprim17ROCPRIM_400000_NS6detail17trampoline_kernelINS0_14default_configENS1_25partition_config_selectorILNS1_17partition_subalgoE8ElNS0_10empty_typeEbEEZZNS1_14partition_implILS5_8ELb0ES3_jPlPS6_PKS6_NS0_5tupleIJS9_S6_EEENSD_IJSA_SA_EEENS0_18inequality_wrapperIZN2at6native12_GLOBAL__N_124unique_dim_cuda_templateImEESt5tupleIJNSH_6TensorESM_SM_EERKSM_lbbbEUlllE0_EEPmJS6_EEE10hipError_tPvRmT3_T4_T5_T6_T7_T9_mT8_P12ihipStream_tbDpT10_ENKUlT_T0_E_clISt17integral_constantIbLb0EES1B_IbLb1EEEEDaS17_S18_EUlS17_E_NS1_11comp_targetILNS1_3genE3ELNS1_11target_archE908ELNS1_3gpuE7ELNS1_3repE0EEENS1_30default_config_static_selectorELNS0_4arch9wavefront6targetE0EEEvT1_,comdat
.Lfunc_end1690:
	.size	_ZN7rocprim17ROCPRIM_400000_NS6detail17trampoline_kernelINS0_14default_configENS1_25partition_config_selectorILNS1_17partition_subalgoE8ElNS0_10empty_typeEbEEZZNS1_14partition_implILS5_8ELb0ES3_jPlPS6_PKS6_NS0_5tupleIJS9_S6_EEENSD_IJSA_SA_EEENS0_18inequality_wrapperIZN2at6native12_GLOBAL__N_124unique_dim_cuda_templateImEESt5tupleIJNSH_6TensorESM_SM_EERKSM_lbbbEUlllE0_EEPmJS6_EEE10hipError_tPvRmT3_T4_T5_T6_T7_T9_mT8_P12ihipStream_tbDpT10_ENKUlT_T0_E_clISt17integral_constantIbLb0EES1B_IbLb1EEEEDaS17_S18_EUlS17_E_NS1_11comp_targetILNS1_3genE3ELNS1_11target_archE908ELNS1_3gpuE7ELNS1_3repE0EEENS1_30default_config_static_selectorELNS0_4arch9wavefront6targetE0EEEvT1_, .Lfunc_end1690-_ZN7rocprim17ROCPRIM_400000_NS6detail17trampoline_kernelINS0_14default_configENS1_25partition_config_selectorILNS1_17partition_subalgoE8ElNS0_10empty_typeEbEEZZNS1_14partition_implILS5_8ELb0ES3_jPlPS6_PKS6_NS0_5tupleIJS9_S6_EEENSD_IJSA_SA_EEENS0_18inequality_wrapperIZN2at6native12_GLOBAL__N_124unique_dim_cuda_templateImEESt5tupleIJNSH_6TensorESM_SM_EERKSM_lbbbEUlllE0_EEPmJS6_EEE10hipError_tPvRmT3_T4_T5_T6_T7_T9_mT8_P12ihipStream_tbDpT10_ENKUlT_T0_E_clISt17integral_constantIbLb0EES1B_IbLb1EEEEDaS17_S18_EUlS17_E_NS1_11comp_targetILNS1_3genE3ELNS1_11target_archE908ELNS1_3gpuE7ELNS1_3repE0EEENS1_30default_config_static_selectorELNS0_4arch9wavefront6targetE0EEEvT1_
                                        ; -- End function
	.set _ZN7rocprim17ROCPRIM_400000_NS6detail17trampoline_kernelINS0_14default_configENS1_25partition_config_selectorILNS1_17partition_subalgoE8ElNS0_10empty_typeEbEEZZNS1_14partition_implILS5_8ELb0ES3_jPlPS6_PKS6_NS0_5tupleIJS9_S6_EEENSD_IJSA_SA_EEENS0_18inequality_wrapperIZN2at6native12_GLOBAL__N_124unique_dim_cuda_templateImEESt5tupleIJNSH_6TensorESM_SM_EERKSM_lbbbEUlllE0_EEPmJS6_EEE10hipError_tPvRmT3_T4_T5_T6_T7_T9_mT8_P12ihipStream_tbDpT10_ENKUlT_T0_E_clISt17integral_constantIbLb0EES1B_IbLb1EEEEDaS17_S18_EUlS17_E_NS1_11comp_targetILNS1_3genE3ELNS1_11target_archE908ELNS1_3gpuE7ELNS1_3repE0EEENS1_30default_config_static_selectorELNS0_4arch9wavefront6targetE0EEEvT1_.num_vgpr, 0
	.set _ZN7rocprim17ROCPRIM_400000_NS6detail17trampoline_kernelINS0_14default_configENS1_25partition_config_selectorILNS1_17partition_subalgoE8ElNS0_10empty_typeEbEEZZNS1_14partition_implILS5_8ELb0ES3_jPlPS6_PKS6_NS0_5tupleIJS9_S6_EEENSD_IJSA_SA_EEENS0_18inequality_wrapperIZN2at6native12_GLOBAL__N_124unique_dim_cuda_templateImEESt5tupleIJNSH_6TensorESM_SM_EERKSM_lbbbEUlllE0_EEPmJS6_EEE10hipError_tPvRmT3_T4_T5_T6_T7_T9_mT8_P12ihipStream_tbDpT10_ENKUlT_T0_E_clISt17integral_constantIbLb0EES1B_IbLb1EEEEDaS17_S18_EUlS17_E_NS1_11comp_targetILNS1_3genE3ELNS1_11target_archE908ELNS1_3gpuE7ELNS1_3repE0EEENS1_30default_config_static_selectorELNS0_4arch9wavefront6targetE0EEEvT1_.num_agpr, 0
	.set _ZN7rocprim17ROCPRIM_400000_NS6detail17trampoline_kernelINS0_14default_configENS1_25partition_config_selectorILNS1_17partition_subalgoE8ElNS0_10empty_typeEbEEZZNS1_14partition_implILS5_8ELb0ES3_jPlPS6_PKS6_NS0_5tupleIJS9_S6_EEENSD_IJSA_SA_EEENS0_18inequality_wrapperIZN2at6native12_GLOBAL__N_124unique_dim_cuda_templateImEESt5tupleIJNSH_6TensorESM_SM_EERKSM_lbbbEUlllE0_EEPmJS6_EEE10hipError_tPvRmT3_T4_T5_T6_T7_T9_mT8_P12ihipStream_tbDpT10_ENKUlT_T0_E_clISt17integral_constantIbLb0EES1B_IbLb1EEEEDaS17_S18_EUlS17_E_NS1_11comp_targetILNS1_3genE3ELNS1_11target_archE908ELNS1_3gpuE7ELNS1_3repE0EEENS1_30default_config_static_selectorELNS0_4arch9wavefront6targetE0EEEvT1_.numbered_sgpr, 0
	.set _ZN7rocprim17ROCPRIM_400000_NS6detail17trampoline_kernelINS0_14default_configENS1_25partition_config_selectorILNS1_17partition_subalgoE8ElNS0_10empty_typeEbEEZZNS1_14partition_implILS5_8ELb0ES3_jPlPS6_PKS6_NS0_5tupleIJS9_S6_EEENSD_IJSA_SA_EEENS0_18inequality_wrapperIZN2at6native12_GLOBAL__N_124unique_dim_cuda_templateImEESt5tupleIJNSH_6TensorESM_SM_EERKSM_lbbbEUlllE0_EEPmJS6_EEE10hipError_tPvRmT3_T4_T5_T6_T7_T9_mT8_P12ihipStream_tbDpT10_ENKUlT_T0_E_clISt17integral_constantIbLb0EES1B_IbLb1EEEEDaS17_S18_EUlS17_E_NS1_11comp_targetILNS1_3genE3ELNS1_11target_archE908ELNS1_3gpuE7ELNS1_3repE0EEENS1_30default_config_static_selectorELNS0_4arch9wavefront6targetE0EEEvT1_.num_named_barrier, 0
	.set _ZN7rocprim17ROCPRIM_400000_NS6detail17trampoline_kernelINS0_14default_configENS1_25partition_config_selectorILNS1_17partition_subalgoE8ElNS0_10empty_typeEbEEZZNS1_14partition_implILS5_8ELb0ES3_jPlPS6_PKS6_NS0_5tupleIJS9_S6_EEENSD_IJSA_SA_EEENS0_18inequality_wrapperIZN2at6native12_GLOBAL__N_124unique_dim_cuda_templateImEESt5tupleIJNSH_6TensorESM_SM_EERKSM_lbbbEUlllE0_EEPmJS6_EEE10hipError_tPvRmT3_T4_T5_T6_T7_T9_mT8_P12ihipStream_tbDpT10_ENKUlT_T0_E_clISt17integral_constantIbLb0EES1B_IbLb1EEEEDaS17_S18_EUlS17_E_NS1_11comp_targetILNS1_3genE3ELNS1_11target_archE908ELNS1_3gpuE7ELNS1_3repE0EEENS1_30default_config_static_selectorELNS0_4arch9wavefront6targetE0EEEvT1_.private_seg_size, 0
	.set _ZN7rocprim17ROCPRIM_400000_NS6detail17trampoline_kernelINS0_14default_configENS1_25partition_config_selectorILNS1_17partition_subalgoE8ElNS0_10empty_typeEbEEZZNS1_14partition_implILS5_8ELb0ES3_jPlPS6_PKS6_NS0_5tupleIJS9_S6_EEENSD_IJSA_SA_EEENS0_18inequality_wrapperIZN2at6native12_GLOBAL__N_124unique_dim_cuda_templateImEESt5tupleIJNSH_6TensorESM_SM_EERKSM_lbbbEUlllE0_EEPmJS6_EEE10hipError_tPvRmT3_T4_T5_T6_T7_T9_mT8_P12ihipStream_tbDpT10_ENKUlT_T0_E_clISt17integral_constantIbLb0EES1B_IbLb1EEEEDaS17_S18_EUlS17_E_NS1_11comp_targetILNS1_3genE3ELNS1_11target_archE908ELNS1_3gpuE7ELNS1_3repE0EEENS1_30default_config_static_selectorELNS0_4arch9wavefront6targetE0EEEvT1_.uses_vcc, 0
	.set _ZN7rocprim17ROCPRIM_400000_NS6detail17trampoline_kernelINS0_14default_configENS1_25partition_config_selectorILNS1_17partition_subalgoE8ElNS0_10empty_typeEbEEZZNS1_14partition_implILS5_8ELb0ES3_jPlPS6_PKS6_NS0_5tupleIJS9_S6_EEENSD_IJSA_SA_EEENS0_18inequality_wrapperIZN2at6native12_GLOBAL__N_124unique_dim_cuda_templateImEESt5tupleIJNSH_6TensorESM_SM_EERKSM_lbbbEUlllE0_EEPmJS6_EEE10hipError_tPvRmT3_T4_T5_T6_T7_T9_mT8_P12ihipStream_tbDpT10_ENKUlT_T0_E_clISt17integral_constantIbLb0EES1B_IbLb1EEEEDaS17_S18_EUlS17_E_NS1_11comp_targetILNS1_3genE3ELNS1_11target_archE908ELNS1_3gpuE7ELNS1_3repE0EEENS1_30default_config_static_selectorELNS0_4arch9wavefront6targetE0EEEvT1_.uses_flat_scratch, 0
	.set _ZN7rocprim17ROCPRIM_400000_NS6detail17trampoline_kernelINS0_14default_configENS1_25partition_config_selectorILNS1_17partition_subalgoE8ElNS0_10empty_typeEbEEZZNS1_14partition_implILS5_8ELb0ES3_jPlPS6_PKS6_NS0_5tupleIJS9_S6_EEENSD_IJSA_SA_EEENS0_18inequality_wrapperIZN2at6native12_GLOBAL__N_124unique_dim_cuda_templateImEESt5tupleIJNSH_6TensorESM_SM_EERKSM_lbbbEUlllE0_EEPmJS6_EEE10hipError_tPvRmT3_T4_T5_T6_T7_T9_mT8_P12ihipStream_tbDpT10_ENKUlT_T0_E_clISt17integral_constantIbLb0EES1B_IbLb1EEEEDaS17_S18_EUlS17_E_NS1_11comp_targetILNS1_3genE3ELNS1_11target_archE908ELNS1_3gpuE7ELNS1_3repE0EEENS1_30default_config_static_selectorELNS0_4arch9wavefront6targetE0EEEvT1_.has_dyn_sized_stack, 0
	.set _ZN7rocprim17ROCPRIM_400000_NS6detail17trampoline_kernelINS0_14default_configENS1_25partition_config_selectorILNS1_17partition_subalgoE8ElNS0_10empty_typeEbEEZZNS1_14partition_implILS5_8ELb0ES3_jPlPS6_PKS6_NS0_5tupleIJS9_S6_EEENSD_IJSA_SA_EEENS0_18inequality_wrapperIZN2at6native12_GLOBAL__N_124unique_dim_cuda_templateImEESt5tupleIJNSH_6TensorESM_SM_EERKSM_lbbbEUlllE0_EEPmJS6_EEE10hipError_tPvRmT3_T4_T5_T6_T7_T9_mT8_P12ihipStream_tbDpT10_ENKUlT_T0_E_clISt17integral_constantIbLb0EES1B_IbLb1EEEEDaS17_S18_EUlS17_E_NS1_11comp_targetILNS1_3genE3ELNS1_11target_archE908ELNS1_3gpuE7ELNS1_3repE0EEENS1_30default_config_static_selectorELNS0_4arch9wavefront6targetE0EEEvT1_.has_recursion, 0
	.set _ZN7rocprim17ROCPRIM_400000_NS6detail17trampoline_kernelINS0_14default_configENS1_25partition_config_selectorILNS1_17partition_subalgoE8ElNS0_10empty_typeEbEEZZNS1_14partition_implILS5_8ELb0ES3_jPlPS6_PKS6_NS0_5tupleIJS9_S6_EEENSD_IJSA_SA_EEENS0_18inequality_wrapperIZN2at6native12_GLOBAL__N_124unique_dim_cuda_templateImEESt5tupleIJNSH_6TensorESM_SM_EERKSM_lbbbEUlllE0_EEPmJS6_EEE10hipError_tPvRmT3_T4_T5_T6_T7_T9_mT8_P12ihipStream_tbDpT10_ENKUlT_T0_E_clISt17integral_constantIbLb0EES1B_IbLb1EEEEDaS17_S18_EUlS17_E_NS1_11comp_targetILNS1_3genE3ELNS1_11target_archE908ELNS1_3gpuE7ELNS1_3repE0EEENS1_30default_config_static_selectorELNS0_4arch9wavefront6targetE0EEEvT1_.has_indirect_call, 0
	.section	.AMDGPU.csdata,"",@progbits
; Kernel info:
; codeLenInByte = 0
; TotalNumSgprs: 0
; NumVgprs: 0
; ScratchSize: 0
; MemoryBound: 0
; FloatMode: 240
; IeeeMode: 1
; LDSByteSize: 0 bytes/workgroup (compile time only)
; SGPRBlocks: 0
; VGPRBlocks: 0
; NumSGPRsForWavesPerEU: 1
; NumVGPRsForWavesPerEU: 1
; NamedBarCnt: 0
; Occupancy: 16
; WaveLimiterHint : 0
; COMPUTE_PGM_RSRC2:SCRATCH_EN: 0
; COMPUTE_PGM_RSRC2:USER_SGPR: 2
; COMPUTE_PGM_RSRC2:TRAP_HANDLER: 0
; COMPUTE_PGM_RSRC2:TGID_X_EN: 1
; COMPUTE_PGM_RSRC2:TGID_Y_EN: 0
; COMPUTE_PGM_RSRC2:TGID_Z_EN: 0
; COMPUTE_PGM_RSRC2:TIDIG_COMP_CNT: 0
	.section	.text._ZN7rocprim17ROCPRIM_400000_NS6detail17trampoline_kernelINS0_14default_configENS1_25partition_config_selectorILNS1_17partition_subalgoE8ElNS0_10empty_typeEbEEZZNS1_14partition_implILS5_8ELb0ES3_jPlPS6_PKS6_NS0_5tupleIJS9_S6_EEENSD_IJSA_SA_EEENS0_18inequality_wrapperIZN2at6native12_GLOBAL__N_124unique_dim_cuda_templateImEESt5tupleIJNSH_6TensorESM_SM_EERKSM_lbbbEUlllE0_EEPmJS6_EEE10hipError_tPvRmT3_T4_T5_T6_T7_T9_mT8_P12ihipStream_tbDpT10_ENKUlT_T0_E_clISt17integral_constantIbLb0EES1B_IbLb1EEEEDaS17_S18_EUlS17_E_NS1_11comp_targetILNS1_3genE2ELNS1_11target_archE906ELNS1_3gpuE6ELNS1_3repE0EEENS1_30default_config_static_selectorELNS0_4arch9wavefront6targetE0EEEvT1_,"axG",@progbits,_ZN7rocprim17ROCPRIM_400000_NS6detail17trampoline_kernelINS0_14default_configENS1_25partition_config_selectorILNS1_17partition_subalgoE8ElNS0_10empty_typeEbEEZZNS1_14partition_implILS5_8ELb0ES3_jPlPS6_PKS6_NS0_5tupleIJS9_S6_EEENSD_IJSA_SA_EEENS0_18inequality_wrapperIZN2at6native12_GLOBAL__N_124unique_dim_cuda_templateImEESt5tupleIJNSH_6TensorESM_SM_EERKSM_lbbbEUlllE0_EEPmJS6_EEE10hipError_tPvRmT3_T4_T5_T6_T7_T9_mT8_P12ihipStream_tbDpT10_ENKUlT_T0_E_clISt17integral_constantIbLb0EES1B_IbLb1EEEEDaS17_S18_EUlS17_E_NS1_11comp_targetILNS1_3genE2ELNS1_11target_archE906ELNS1_3gpuE6ELNS1_3repE0EEENS1_30default_config_static_selectorELNS0_4arch9wavefront6targetE0EEEvT1_,comdat
	.globl	_ZN7rocprim17ROCPRIM_400000_NS6detail17trampoline_kernelINS0_14default_configENS1_25partition_config_selectorILNS1_17partition_subalgoE8ElNS0_10empty_typeEbEEZZNS1_14partition_implILS5_8ELb0ES3_jPlPS6_PKS6_NS0_5tupleIJS9_S6_EEENSD_IJSA_SA_EEENS0_18inequality_wrapperIZN2at6native12_GLOBAL__N_124unique_dim_cuda_templateImEESt5tupleIJNSH_6TensorESM_SM_EERKSM_lbbbEUlllE0_EEPmJS6_EEE10hipError_tPvRmT3_T4_T5_T6_T7_T9_mT8_P12ihipStream_tbDpT10_ENKUlT_T0_E_clISt17integral_constantIbLb0EES1B_IbLb1EEEEDaS17_S18_EUlS17_E_NS1_11comp_targetILNS1_3genE2ELNS1_11target_archE906ELNS1_3gpuE6ELNS1_3repE0EEENS1_30default_config_static_selectorELNS0_4arch9wavefront6targetE0EEEvT1_ ; -- Begin function _ZN7rocprim17ROCPRIM_400000_NS6detail17trampoline_kernelINS0_14default_configENS1_25partition_config_selectorILNS1_17partition_subalgoE8ElNS0_10empty_typeEbEEZZNS1_14partition_implILS5_8ELb0ES3_jPlPS6_PKS6_NS0_5tupleIJS9_S6_EEENSD_IJSA_SA_EEENS0_18inequality_wrapperIZN2at6native12_GLOBAL__N_124unique_dim_cuda_templateImEESt5tupleIJNSH_6TensorESM_SM_EERKSM_lbbbEUlllE0_EEPmJS6_EEE10hipError_tPvRmT3_T4_T5_T6_T7_T9_mT8_P12ihipStream_tbDpT10_ENKUlT_T0_E_clISt17integral_constantIbLb0EES1B_IbLb1EEEEDaS17_S18_EUlS17_E_NS1_11comp_targetILNS1_3genE2ELNS1_11target_archE906ELNS1_3gpuE6ELNS1_3repE0EEENS1_30default_config_static_selectorELNS0_4arch9wavefront6targetE0EEEvT1_
	.p2align	8
	.type	_ZN7rocprim17ROCPRIM_400000_NS6detail17trampoline_kernelINS0_14default_configENS1_25partition_config_selectorILNS1_17partition_subalgoE8ElNS0_10empty_typeEbEEZZNS1_14partition_implILS5_8ELb0ES3_jPlPS6_PKS6_NS0_5tupleIJS9_S6_EEENSD_IJSA_SA_EEENS0_18inequality_wrapperIZN2at6native12_GLOBAL__N_124unique_dim_cuda_templateImEESt5tupleIJNSH_6TensorESM_SM_EERKSM_lbbbEUlllE0_EEPmJS6_EEE10hipError_tPvRmT3_T4_T5_T6_T7_T9_mT8_P12ihipStream_tbDpT10_ENKUlT_T0_E_clISt17integral_constantIbLb0EES1B_IbLb1EEEEDaS17_S18_EUlS17_E_NS1_11comp_targetILNS1_3genE2ELNS1_11target_archE906ELNS1_3gpuE6ELNS1_3repE0EEENS1_30default_config_static_selectorELNS0_4arch9wavefront6targetE0EEEvT1_,@function
_ZN7rocprim17ROCPRIM_400000_NS6detail17trampoline_kernelINS0_14default_configENS1_25partition_config_selectorILNS1_17partition_subalgoE8ElNS0_10empty_typeEbEEZZNS1_14partition_implILS5_8ELb0ES3_jPlPS6_PKS6_NS0_5tupleIJS9_S6_EEENSD_IJSA_SA_EEENS0_18inequality_wrapperIZN2at6native12_GLOBAL__N_124unique_dim_cuda_templateImEESt5tupleIJNSH_6TensorESM_SM_EERKSM_lbbbEUlllE0_EEPmJS6_EEE10hipError_tPvRmT3_T4_T5_T6_T7_T9_mT8_P12ihipStream_tbDpT10_ENKUlT_T0_E_clISt17integral_constantIbLb0EES1B_IbLb1EEEEDaS17_S18_EUlS17_E_NS1_11comp_targetILNS1_3genE2ELNS1_11target_archE906ELNS1_3gpuE6ELNS1_3repE0EEENS1_30default_config_static_selectorELNS0_4arch9wavefront6targetE0EEEvT1_: ; @_ZN7rocprim17ROCPRIM_400000_NS6detail17trampoline_kernelINS0_14default_configENS1_25partition_config_selectorILNS1_17partition_subalgoE8ElNS0_10empty_typeEbEEZZNS1_14partition_implILS5_8ELb0ES3_jPlPS6_PKS6_NS0_5tupleIJS9_S6_EEENSD_IJSA_SA_EEENS0_18inequality_wrapperIZN2at6native12_GLOBAL__N_124unique_dim_cuda_templateImEESt5tupleIJNSH_6TensorESM_SM_EERKSM_lbbbEUlllE0_EEPmJS6_EEE10hipError_tPvRmT3_T4_T5_T6_T7_T9_mT8_P12ihipStream_tbDpT10_ENKUlT_T0_E_clISt17integral_constantIbLb0EES1B_IbLb1EEEEDaS17_S18_EUlS17_E_NS1_11comp_targetILNS1_3genE2ELNS1_11target_archE906ELNS1_3gpuE6ELNS1_3repE0EEENS1_30default_config_static_selectorELNS0_4arch9wavefront6targetE0EEEvT1_
; %bb.0:
	.section	.rodata,"a",@progbits
	.p2align	6, 0x0
	.amdhsa_kernel _ZN7rocprim17ROCPRIM_400000_NS6detail17trampoline_kernelINS0_14default_configENS1_25partition_config_selectorILNS1_17partition_subalgoE8ElNS0_10empty_typeEbEEZZNS1_14partition_implILS5_8ELb0ES3_jPlPS6_PKS6_NS0_5tupleIJS9_S6_EEENSD_IJSA_SA_EEENS0_18inequality_wrapperIZN2at6native12_GLOBAL__N_124unique_dim_cuda_templateImEESt5tupleIJNSH_6TensorESM_SM_EERKSM_lbbbEUlllE0_EEPmJS6_EEE10hipError_tPvRmT3_T4_T5_T6_T7_T9_mT8_P12ihipStream_tbDpT10_ENKUlT_T0_E_clISt17integral_constantIbLb0EES1B_IbLb1EEEEDaS17_S18_EUlS17_E_NS1_11comp_targetILNS1_3genE2ELNS1_11target_archE906ELNS1_3gpuE6ELNS1_3repE0EEENS1_30default_config_static_selectorELNS0_4arch9wavefront6targetE0EEEvT1_
		.amdhsa_group_segment_fixed_size 0
		.amdhsa_private_segment_fixed_size 0
		.amdhsa_kernarg_size 136
		.amdhsa_user_sgpr_count 2
		.amdhsa_user_sgpr_dispatch_ptr 0
		.amdhsa_user_sgpr_queue_ptr 0
		.amdhsa_user_sgpr_kernarg_segment_ptr 1
		.amdhsa_user_sgpr_dispatch_id 0
		.amdhsa_user_sgpr_kernarg_preload_length 0
		.amdhsa_user_sgpr_kernarg_preload_offset 0
		.amdhsa_user_sgpr_private_segment_size 0
		.amdhsa_wavefront_size32 1
		.amdhsa_uses_dynamic_stack 0
		.amdhsa_enable_private_segment 0
		.amdhsa_system_sgpr_workgroup_id_x 1
		.amdhsa_system_sgpr_workgroup_id_y 0
		.amdhsa_system_sgpr_workgroup_id_z 0
		.amdhsa_system_sgpr_workgroup_info 0
		.amdhsa_system_vgpr_workitem_id 0
		.amdhsa_next_free_vgpr 1
		.amdhsa_next_free_sgpr 1
		.amdhsa_named_barrier_count 0
		.amdhsa_reserve_vcc 0
		.amdhsa_float_round_mode_32 0
		.amdhsa_float_round_mode_16_64 0
		.amdhsa_float_denorm_mode_32 3
		.amdhsa_float_denorm_mode_16_64 3
		.amdhsa_fp16_overflow 0
		.amdhsa_memory_ordered 1
		.amdhsa_forward_progress 1
		.amdhsa_inst_pref_size 0
		.amdhsa_round_robin_scheduling 0
		.amdhsa_exception_fp_ieee_invalid_op 0
		.amdhsa_exception_fp_denorm_src 0
		.amdhsa_exception_fp_ieee_div_zero 0
		.amdhsa_exception_fp_ieee_overflow 0
		.amdhsa_exception_fp_ieee_underflow 0
		.amdhsa_exception_fp_ieee_inexact 0
		.amdhsa_exception_int_div_zero 0
	.end_amdhsa_kernel
	.section	.text._ZN7rocprim17ROCPRIM_400000_NS6detail17trampoline_kernelINS0_14default_configENS1_25partition_config_selectorILNS1_17partition_subalgoE8ElNS0_10empty_typeEbEEZZNS1_14partition_implILS5_8ELb0ES3_jPlPS6_PKS6_NS0_5tupleIJS9_S6_EEENSD_IJSA_SA_EEENS0_18inequality_wrapperIZN2at6native12_GLOBAL__N_124unique_dim_cuda_templateImEESt5tupleIJNSH_6TensorESM_SM_EERKSM_lbbbEUlllE0_EEPmJS6_EEE10hipError_tPvRmT3_T4_T5_T6_T7_T9_mT8_P12ihipStream_tbDpT10_ENKUlT_T0_E_clISt17integral_constantIbLb0EES1B_IbLb1EEEEDaS17_S18_EUlS17_E_NS1_11comp_targetILNS1_3genE2ELNS1_11target_archE906ELNS1_3gpuE6ELNS1_3repE0EEENS1_30default_config_static_selectorELNS0_4arch9wavefront6targetE0EEEvT1_,"axG",@progbits,_ZN7rocprim17ROCPRIM_400000_NS6detail17trampoline_kernelINS0_14default_configENS1_25partition_config_selectorILNS1_17partition_subalgoE8ElNS0_10empty_typeEbEEZZNS1_14partition_implILS5_8ELb0ES3_jPlPS6_PKS6_NS0_5tupleIJS9_S6_EEENSD_IJSA_SA_EEENS0_18inequality_wrapperIZN2at6native12_GLOBAL__N_124unique_dim_cuda_templateImEESt5tupleIJNSH_6TensorESM_SM_EERKSM_lbbbEUlllE0_EEPmJS6_EEE10hipError_tPvRmT3_T4_T5_T6_T7_T9_mT8_P12ihipStream_tbDpT10_ENKUlT_T0_E_clISt17integral_constantIbLb0EES1B_IbLb1EEEEDaS17_S18_EUlS17_E_NS1_11comp_targetILNS1_3genE2ELNS1_11target_archE906ELNS1_3gpuE6ELNS1_3repE0EEENS1_30default_config_static_selectorELNS0_4arch9wavefront6targetE0EEEvT1_,comdat
.Lfunc_end1691:
	.size	_ZN7rocprim17ROCPRIM_400000_NS6detail17trampoline_kernelINS0_14default_configENS1_25partition_config_selectorILNS1_17partition_subalgoE8ElNS0_10empty_typeEbEEZZNS1_14partition_implILS5_8ELb0ES3_jPlPS6_PKS6_NS0_5tupleIJS9_S6_EEENSD_IJSA_SA_EEENS0_18inequality_wrapperIZN2at6native12_GLOBAL__N_124unique_dim_cuda_templateImEESt5tupleIJNSH_6TensorESM_SM_EERKSM_lbbbEUlllE0_EEPmJS6_EEE10hipError_tPvRmT3_T4_T5_T6_T7_T9_mT8_P12ihipStream_tbDpT10_ENKUlT_T0_E_clISt17integral_constantIbLb0EES1B_IbLb1EEEEDaS17_S18_EUlS17_E_NS1_11comp_targetILNS1_3genE2ELNS1_11target_archE906ELNS1_3gpuE6ELNS1_3repE0EEENS1_30default_config_static_selectorELNS0_4arch9wavefront6targetE0EEEvT1_, .Lfunc_end1691-_ZN7rocprim17ROCPRIM_400000_NS6detail17trampoline_kernelINS0_14default_configENS1_25partition_config_selectorILNS1_17partition_subalgoE8ElNS0_10empty_typeEbEEZZNS1_14partition_implILS5_8ELb0ES3_jPlPS6_PKS6_NS0_5tupleIJS9_S6_EEENSD_IJSA_SA_EEENS0_18inequality_wrapperIZN2at6native12_GLOBAL__N_124unique_dim_cuda_templateImEESt5tupleIJNSH_6TensorESM_SM_EERKSM_lbbbEUlllE0_EEPmJS6_EEE10hipError_tPvRmT3_T4_T5_T6_T7_T9_mT8_P12ihipStream_tbDpT10_ENKUlT_T0_E_clISt17integral_constantIbLb0EES1B_IbLb1EEEEDaS17_S18_EUlS17_E_NS1_11comp_targetILNS1_3genE2ELNS1_11target_archE906ELNS1_3gpuE6ELNS1_3repE0EEENS1_30default_config_static_selectorELNS0_4arch9wavefront6targetE0EEEvT1_
                                        ; -- End function
	.set _ZN7rocprim17ROCPRIM_400000_NS6detail17trampoline_kernelINS0_14default_configENS1_25partition_config_selectorILNS1_17partition_subalgoE8ElNS0_10empty_typeEbEEZZNS1_14partition_implILS5_8ELb0ES3_jPlPS6_PKS6_NS0_5tupleIJS9_S6_EEENSD_IJSA_SA_EEENS0_18inequality_wrapperIZN2at6native12_GLOBAL__N_124unique_dim_cuda_templateImEESt5tupleIJNSH_6TensorESM_SM_EERKSM_lbbbEUlllE0_EEPmJS6_EEE10hipError_tPvRmT3_T4_T5_T6_T7_T9_mT8_P12ihipStream_tbDpT10_ENKUlT_T0_E_clISt17integral_constantIbLb0EES1B_IbLb1EEEEDaS17_S18_EUlS17_E_NS1_11comp_targetILNS1_3genE2ELNS1_11target_archE906ELNS1_3gpuE6ELNS1_3repE0EEENS1_30default_config_static_selectorELNS0_4arch9wavefront6targetE0EEEvT1_.num_vgpr, 0
	.set _ZN7rocprim17ROCPRIM_400000_NS6detail17trampoline_kernelINS0_14default_configENS1_25partition_config_selectorILNS1_17partition_subalgoE8ElNS0_10empty_typeEbEEZZNS1_14partition_implILS5_8ELb0ES3_jPlPS6_PKS6_NS0_5tupleIJS9_S6_EEENSD_IJSA_SA_EEENS0_18inequality_wrapperIZN2at6native12_GLOBAL__N_124unique_dim_cuda_templateImEESt5tupleIJNSH_6TensorESM_SM_EERKSM_lbbbEUlllE0_EEPmJS6_EEE10hipError_tPvRmT3_T4_T5_T6_T7_T9_mT8_P12ihipStream_tbDpT10_ENKUlT_T0_E_clISt17integral_constantIbLb0EES1B_IbLb1EEEEDaS17_S18_EUlS17_E_NS1_11comp_targetILNS1_3genE2ELNS1_11target_archE906ELNS1_3gpuE6ELNS1_3repE0EEENS1_30default_config_static_selectorELNS0_4arch9wavefront6targetE0EEEvT1_.num_agpr, 0
	.set _ZN7rocprim17ROCPRIM_400000_NS6detail17trampoline_kernelINS0_14default_configENS1_25partition_config_selectorILNS1_17partition_subalgoE8ElNS0_10empty_typeEbEEZZNS1_14partition_implILS5_8ELb0ES3_jPlPS6_PKS6_NS0_5tupleIJS9_S6_EEENSD_IJSA_SA_EEENS0_18inequality_wrapperIZN2at6native12_GLOBAL__N_124unique_dim_cuda_templateImEESt5tupleIJNSH_6TensorESM_SM_EERKSM_lbbbEUlllE0_EEPmJS6_EEE10hipError_tPvRmT3_T4_T5_T6_T7_T9_mT8_P12ihipStream_tbDpT10_ENKUlT_T0_E_clISt17integral_constantIbLb0EES1B_IbLb1EEEEDaS17_S18_EUlS17_E_NS1_11comp_targetILNS1_3genE2ELNS1_11target_archE906ELNS1_3gpuE6ELNS1_3repE0EEENS1_30default_config_static_selectorELNS0_4arch9wavefront6targetE0EEEvT1_.numbered_sgpr, 0
	.set _ZN7rocprim17ROCPRIM_400000_NS6detail17trampoline_kernelINS0_14default_configENS1_25partition_config_selectorILNS1_17partition_subalgoE8ElNS0_10empty_typeEbEEZZNS1_14partition_implILS5_8ELb0ES3_jPlPS6_PKS6_NS0_5tupleIJS9_S6_EEENSD_IJSA_SA_EEENS0_18inequality_wrapperIZN2at6native12_GLOBAL__N_124unique_dim_cuda_templateImEESt5tupleIJNSH_6TensorESM_SM_EERKSM_lbbbEUlllE0_EEPmJS6_EEE10hipError_tPvRmT3_T4_T5_T6_T7_T9_mT8_P12ihipStream_tbDpT10_ENKUlT_T0_E_clISt17integral_constantIbLb0EES1B_IbLb1EEEEDaS17_S18_EUlS17_E_NS1_11comp_targetILNS1_3genE2ELNS1_11target_archE906ELNS1_3gpuE6ELNS1_3repE0EEENS1_30default_config_static_selectorELNS0_4arch9wavefront6targetE0EEEvT1_.num_named_barrier, 0
	.set _ZN7rocprim17ROCPRIM_400000_NS6detail17trampoline_kernelINS0_14default_configENS1_25partition_config_selectorILNS1_17partition_subalgoE8ElNS0_10empty_typeEbEEZZNS1_14partition_implILS5_8ELb0ES3_jPlPS6_PKS6_NS0_5tupleIJS9_S6_EEENSD_IJSA_SA_EEENS0_18inequality_wrapperIZN2at6native12_GLOBAL__N_124unique_dim_cuda_templateImEESt5tupleIJNSH_6TensorESM_SM_EERKSM_lbbbEUlllE0_EEPmJS6_EEE10hipError_tPvRmT3_T4_T5_T6_T7_T9_mT8_P12ihipStream_tbDpT10_ENKUlT_T0_E_clISt17integral_constantIbLb0EES1B_IbLb1EEEEDaS17_S18_EUlS17_E_NS1_11comp_targetILNS1_3genE2ELNS1_11target_archE906ELNS1_3gpuE6ELNS1_3repE0EEENS1_30default_config_static_selectorELNS0_4arch9wavefront6targetE0EEEvT1_.private_seg_size, 0
	.set _ZN7rocprim17ROCPRIM_400000_NS6detail17trampoline_kernelINS0_14default_configENS1_25partition_config_selectorILNS1_17partition_subalgoE8ElNS0_10empty_typeEbEEZZNS1_14partition_implILS5_8ELb0ES3_jPlPS6_PKS6_NS0_5tupleIJS9_S6_EEENSD_IJSA_SA_EEENS0_18inequality_wrapperIZN2at6native12_GLOBAL__N_124unique_dim_cuda_templateImEESt5tupleIJNSH_6TensorESM_SM_EERKSM_lbbbEUlllE0_EEPmJS6_EEE10hipError_tPvRmT3_T4_T5_T6_T7_T9_mT8_P12ihipStream_tbDpT10_ENKUlT_T0_E_clISt17integral_constantIbLb0EES1B_IbLb1EEEEDaS17_S18_EUlS17_E_NS1_11comp_targetILNS1_3genE2ELNS1_11target_archE906ELNS1_3gpuE6ELNS1_3repE0EEENS1_30default_config_static_selectorELNS0_4arch9wavefront6targetE0EEEvT1_.uses_vcc, 0
	.set _ZN7rocprim17ROCPRIM_400000_NS6detail17trampoline_kernelINS0_14default_configENS1_25partition_config_selectorILNS1_17partition_subalgoE8ElNS0_10empty_typeEbEEZZNS1_14partition_implILS5_8ELb0ES3_jPlPS6_PKS6_NS0_5tupleIJS9_S6_EEENSD_IJSA_SA_EEENS0_18inequality_wrapperIZN2at6native12_GLOBAL__N_124unique_dim_cuda_templateImEESt5tupleIJNSH_6TensorESM_SM_EERKSM_lbbbEUlllE0_EEPmJS6_EEE10hipError_tPvRmT3_T4_T5_T6_T7_T9_mT8_P12ihipStream_tbDpT10_ENKUlT_T0_E_clISt17integral_constantIbLb0EES1B_IbLb1EEEEDaS17_S18_EUlS17_E_NS1_11comp_targetILNS1_3genE2ELNS1_11target_archE906ELNS1_3gpuE6ELNS1_3repE0EEENS1_30default_config_static_selectorELNS0_4arch9wavefront6targetE0EEEvT1_.uses_flat_scratch, 0
	.set _ZN7rocprim17ROCPRIM_400000_NS6detail17trampoline_kernelINS0_14default_configENS1_25partition_config_selectorILNS1_17partition_subalgoE8ElNS0_10empty_typeEbEEZZNS1_14partition_implILS5_8ELb0ES3_jPlPS6_PKS6_NS0_5tupleIJS9_S6_EEENSD_IJSA_SA_EEENS0_18inequality_wrapperIZN2at6native12_GLOBAL__N_124unique_dim_cuda_templateImEESt5tupleIJNSH_6TensorESM_SM_EERKSM_lbbbEUlllE0_EEPmJS6_EEE10hipError_tPvRmT3_T4_T5_T6_T7_T9_mT8_P12ihipStream_tbDpT10_ENKUlT_T0_E_clISt17integral_constantIbLb0EES1B_IbLb1EEEEDaS17_S18_EUlS17_E_NS1_11comp_targetILNS1_3genE2ELNS1_11target_archE906ELNS1_3gpuE6ELNS1_3repE0EEENS1_30default_config_static_selectorELNS0_4arch9wavefront6targetE0EEEvT1_.has_dyn_sized_stack, 0
	.set _ZN7rocprim17ROCPRIM_400000_NS6detail17trampoline_kernelINS0_14default_configENS1_25partition_config_selectorILNS1_17partition_subalgoE8ElNS0_10empty_typeEbEEZZNS1_14partition_implILS5_8ELb0ES3_jPlPS6_PKS6_NS0_5tupleIJS9_S6_EEENSD_IJSA_SA_EEENS0_18inequality_wrapperIZN2at6native12_GLOBAL__N_124unique_dim_cuda_templateImEESt5tupleIJNSH_6TensorESM_SM_EERKSM_lbbbEUlllE0_EEPmJS6_EEE10hipError_tPvRmT3_T4_T5_T6_T7_T9_mT8_P12ihipStream_tbDpT10_ENKUlT_T0_E_clISt17integral_constantIbLb0EES1B_IbLb1EEEEDaS17_S18_EUlS17_E_NS1_11comp_targetILNS1_3genE2ELNS1_11target_archE906ELNS1_3gpuE6ELNS1_3repE0EEENS1_30default_config_static_selectorELNS0_4arch9wavefront6targetE0EEEvT1_.has_recursion, 0
	.set _ZN7rocprim17ROCPRIM_400000_NS6detail17trampoline_kernelINS0_14default_configENS1_25partition_config_selectorILNS1_17partition_subalgoE8ElNS0_10empty_typeEbEEZZNS1_14partition_implILS5_8ELb0ES3_jPlPS6_PKS6_NS0_5tupleIJS9_S6_EEENSD_IJSA_SA_EEENS0_18inequality_wrapperIZN2at6native12_GLOBAL__N_124unique_dim_cuda_templateImEESt5tupleIJNSH_6TensorESM_SM_EERKSM_lbbbEUlllE0_EEPmJS6_EEE10hipError_tPvRmT3_T4_T5_T6_T7_T9_mT8_P12ihipStream_tbDpT10_ENKUlT_T0_E_clISt17integral_constantIbLb0EES1B_IbLb1EEEEDaS17_S18_EUlS17_E_NS1_11comp_targetILNS1_3genE2ELNS1_11target_archE906ELNS1_3gpuE6ELNS1_3repE0EEENS1_30default_config_static_selectorELNS0_4arch9wavefront6targetE0EEEvT1_.has_indirect_call, 0
	.section	.AMDGPU.csdata,"",@progbits
; Kernel info:
; codeLenInByte = 0
; TotalNumSgprs: 0
; NumVgprs: 0
; ScratchSize: 0
; MemoryBound: 0
; FloatMode: 240
; IeeeMode: 1
; LDSByteSize: 0 bytes/workgroup (compile time only)
; SGPRBlocks: 0
; VGPRBlocks: 0
; NumSGPRsForWavesPerEU: 1
; NumVGPRsForWavesPerEU: 1
; NamedBarCnt: 0
; Occupancy: 16
; WaveLimiterHint : 0
; COMPUTE_PGM_RSRC2:SCRATCH_EN: 0
; COMPUTE_PGM_RSRC2:USER_SGPR: 2
; COMPUTE_PGM_RSRC2:TRAP_HANDLER: 0
; COMPUTE_PGM_RSRC2:TGID_X_EN: 1
; COMPUTE_PGM_RSRC2:TGID_Y_EN: 0
; COMPUTE_PGM_RSRC2:TGID_Z_EN: 0
; COMPUTE_PGM_RSRC2:TIDIG_COMP_CNT: 0
	.section	.text._ZN7rocprim17ROCPRIM_400000_NS6detail17trampoline_kernelINS0_14default_configENS1_25partition_config_selectorILNS1_17partition_subalgoE8ElNS0_10empty_typeEbEEZZNS1_14partition_implILS5_8ELb0ES3_jPlPS6_PKS6_NS0_5tupleIJS9_S6_EEENSD_IJSA_SA_EEENS0_18inequality_wrapperIZN2at6native12_GLOBAL__N_124unique_dim_cuda_templateImEESt5tupleIJNSH_6TensorESM_SM_EERKSM_lbbbEUlllE0_EEPmJS6_EEE10hipError_tPvRmT3_T4_T5_T6_T7_T9_mT8_P12ihipStream_tbDpT10_ENKUlT_T0_E_clISt17integral_constantIbLb0EES1B_IbLb1EEEEDaS17_S18_EUlS17_E_NS1_11comp_targetILNS1_3genE10ELNS1_11target_archE1200ELNS1_3gpuE4ELNS1_3repE0EEENS1_30default_config_static_selectorELNS0_4arch9wavefront6targetE0EEEvT1_,"axG",@progbits,_ZN7rocprim17ROCPRIM_400000_NS6detail17trampoline_kernelINS0_14default_configENS1_25partition_config_selectorILNS1_17partition_subalgoE8ElNS0_10empty_typeEbEEZZNS1_14partition_implILS5_8ELb0ES3_jPlPS6_PKS6_NS0_5tupleIJS9_S6_EEENSD_IJSA_SA_EEENS0_18inequality_wrapperIZN2at6native12_GLOBAL__N_124unique_dim_cuda_templateImEESt5tupleIJNSH_6TensorESM_SM_EERKSM_lbbbEUlllE0_EEPmJS6_EEE10hipError_tPvRmT3_T4_T5_T6_T7_T9_mT8_P12ihipStream_tbDpT10_ENKUlT_T0_E_clISt17integral_constantIbLb0EES1B_IbLb1EEEEDaS17_S18_EUlS17_E_NS1_11comp_targetILNS1_3genE10ELNS1_11target_archE1200ELNS1_3gpuE4ELNS1_3repE0EEENS1_30default_config_static_selectorELNS0_4arch9wavefront6targetE0EEEvT1_,comdat
	.globl	_ZN7rocprim17ROCPRIM_400000_NS6detail17trampoline_kernelINS0_14default_configENS1_25partition_config_selectorILNS1_17partition_subalgoE8ElNS0_10empty_typeEbEEZZNS1_14partition_implILS5_8ELb0ES3_jPlPS6_PKS6_NS0_5tupleIJS9_S6_EEENSD_IJSA_SA_EEENS0_18inequality_wrapperIZN2at6native12_GLOBAL__N_124unique_dim_cuda_templateImEESt5tupleIJNSH_6TensorESM_SM_EERKSM_lbbbEUlllE0_EEPmJS6_EEE10hipError_tPvRmT3_T4_T5_T6_T7_T9_mT8_P12ihipStream_tbDpT10_ENKUlT_T0_E_clISt17integral_constantIbLb0EES1B_IbLb1EEEEDaS17_S18_EUlS17_E_NS1_11comp_targetILNS1_3genE10ELNS1_11target_archE1200ELNS1_3gpuE4ELNS1_3repE0EEENS1_30default_config_static_selectorELNS0_4arch9wavefront6targetE0EEEvT1_ ; -- Begin function _ZN7rocprim17ROCPRIM_400000_NS6detail17trampoline_kernelINS0_14default_configENS1_25partition_config_selectorILNS1_17partition_subalgoE8ElNS0_10empty_typeEbEEZZNS1_14partition_implILS5_8ELb0ES3_jPlPS6_PKS6_NS0_5tupleIJS9_S6_EEENSD_IJSA_SA_EEENS0_18inequality_wrapperIZN2at6native12_GLOBAL__N_124unique_dim_cuda_templateImEESt5tupleIJNSH_6TensorESM_SM_EERKSM_lbbbEUlllE0_EEPmJS6_EEE10hipError_tPvRmT3_T4_T5_T6_T7_T9_mT8_P12ihipStream_tbDpT10_ENKUlT_T0_E_clISt17integral_constantIbLb0EES1B_IbLb1EEEEDaS17_S18_EUlS17_E_NS1_11comp_targetILNS1_3genE10ELNS1_11target_archE1200ELNS1_3gpuE4ELNS1_3repE0EEENS1_30default_config_static_selectorELNS0_4arch9wavefront6targetE0EEEvT1_
	.p2align	8
	.type	_ZN7rocprim17ROCPRIM_400000_NS6detail17trampoline_kernelINS0_14default_configENS1_25partition_config_selectorILNS1_17partition_subalgoE8ElNS0_10empty_typeEbEEZZNS1_14partition_implILS5_8ELb0ES3_jPlPS6_PKS6_NS0_5tupleIJS9_S6_EEENSD_IJSA_SA_EEENS0_18inequality_wrapperIZN2at6native12_GLOBAL__N_124unique_dim_cuda_templateImEESt5tupleIJNSH_6TensorESM_SM_EERKSM_lbbbEUlllE0_EEPmJS6_EEE10hipError_tPvRmT3_T4_T5_T6_T7_T9_mT8_P12ihipStream_tbDpT10_ENKUlT_T0_E_clISt17integral_constantIbLb0EES1B_IbLb1EEEEDaS17_S18_EUlS17_E_NS1_11comp_targetILNS1_3genE10ELNS1_11target_archE1200ELNS1_3gpuE4ELNS1_3repE0EEENS1_30default_config_static_selectorELNS0_4arch9wavefront6targetE0EEEvT1_,@function
_ZN7rocprim17ROCPRIM_400000_NS6detail17trampoline_kernelINS0_14default_configENS1_25partition_config_selectorILNS1_17partition_subalgoE8ElNS0_10empty_typeEbEEZZNS1_14partition_implILS5_8ELb0ES3_jPlPS6_PKS6_NS0_5tupleIJS9_S6_EEENSD_IJSA_SA_EEENS0_18inequality_wrapperIZN2at6native12_GLOBAL__N_124unique_dim_cuda_templateImEESt5tupleIJNSH_6TensorESM_SM_EERKSM_lbbbEUlllE0_EEPmJS6_EEE10hipError_tPvRmT3_T4_T5_T6_T7_T9_mT8_P12ihipStream_tbDpT10_ENKUlT_T0_E_clISt17integral_constantIbLb0EES1B_IbLb1EEEEDaS17_S18_EUlS17_E_NS1_11comp_targetILNS1_3genE10ELNS1_11target_archE1200ELNS1_3gpuE4ELNS1_3repE0EEENS1_30default_config_static_selectorELNS0_4arch9wavefront6targetE0EEEvT1_: ; @_ZN7rocprim17ROCPRIM_400000_NS6detail17trampoline_kernelINS0_14default_configENS1_25partition_config_selectorILNS1_17partition_subalgoE8ElNS0_10empty_typeEbEEZZNS1_14partition_implILS5_8ELb0ES3_jPlPS6_PKS6_NS0_5tupleIJS9_S6_EEENSD_IJSA_SA_EEENS0_18inequality_wrapperIZN2at6native12_GLOBAL__N_124unique_dim_cuda_templateImEESt5tupleIJNSH_6TensorESM_SM_EERKSM_lbbbEUlllE0_EEPmJS6_EEE10hipError_tPvRmT3_T4_T5_T6_T7_T9_mT8_P12ihipStream_tbDpT10_ENKUlT_T0_E_clISt17integral_constantIbLb0EES1B_IbLb1EEEEDaS17_S18_EUlS17_E_NS1_11comp_targetILNS1_3genE10ELNS1_11target_archE1200ELNS1_3gpuE4ELNS1_3repE0EEENS1_30default_config_static_selectorELNS0_4arch9wavefront6targetE0EEEvT1_
; %bb.0:
	.section	.rodata,"a",@progbits
	.p2align	6, 0x0
	.amdhsa_kernel _ZN7rocprim17ROCPRIM_400000_NS6detail17trampoline_kernelINS0_14default_configENS1_25partition_config_selectorILNS1_17partition_subalgoE8ElNS0_10empty_typeEbEEZZNS1_14partition_implILS5_8ELb0ES3_jPlPS6_PKS6_NS0_5tupleIJS9_S6_EEENSD_IJSA_SA_EEENS0_18inequality_wrapperIZN2at6native12_GLOBAL__N_124unique_dim_cuda_templateImEESt5tupleIJNSH_6TensorESM_SM_EERKSM_lbbbEUlllE0_EEPmJS6_EEE10hipError_tPvRmT3_T4_T5_T6_T7_T9_mT8_P12ihipStream_tbDpT10_ENKUlT_T0_E_clISt17integral_constantIbLb0EES1B_IbLb1EEEEDaS17_S18_EUlS17_E_NS1_11comp_targetILNS1_3genE10ELNS1_11target_archE1200ELNS1_3gpuE4ELNS1_3repE0EEENS1_30default_config_static_selectorELNS0_4arch9wavefront6targetE0EEEvT1_
		.amdhsa_group_segment_fixed_size 0
		.amdhsa_private_segment_fixed_size 0
		.amdhsa_kernarg_size 136
		.amdhsa_user_sgpr_count 2
		.amdhsa_user_sgpr_dispatch_ptr 0
		.amdhsa_user_sgpr_queue_ptr 0
		.amdhsa_user_sgpr_kernarg_segment_ptr 1
		.amdhsa_user_sgpr_dispatch_id 0
		.amdhsa_user_sgpr_kernarg_preload_length 0
		.amdhsa_user_sgpr_kernarg_preload_offset 0
		.amdhsa_user_sgpr_private_segment_size 0
		.amdhsa_wavefront_size32 1
		.amdhsa_uses_dynamic_stack 0
		.amdhsa_enable_private_segment 0
		.amdhsa_system_sgpr_workgroup_id_x 1
		.amdhsa_system_sgpr_workgroup_id_y 0
		.amdhsa_system_sgpr_workgroup_id_z 0
		.amdhsa_system_sgpr_workgroup_info 0
		.amdhsa_system_vgpr_workitem_id 0
		.amdhsa_next_free_vgpr 1
		.amdhsa_next_free_sgpr 1
		.amdhsa_named_barrier_count 0
		.amdhsa_reserve_vcc 0
		.amdhsa_float_round_mode_32 0
		.amdhsa_float_round_mode_16_64 0
		.amdhsa_float_denorm_mode_32 3
		.amdhsa_float_denorm_mode_16_64 3
		.amdhsa_fp16_overflow 0
		.amdhsa_memory_ordered 1
		.amdhsa_forward_progress 1
		.amdhsa_inst_pref_size 0
		.amdhsa_round_robin_scheduling 0
		.amdhsa_exception_fp_ieee_invalid_op 0
		.amdhsa_exception_fp_denorm_src 0
		.amdhsa_exception_fp_ieee_div_zero 0
		.amdhsa_exception_fp_ieee_overflow 0
		.amdhsa_exception_fp_ieee_underflow 0
		.amdhsa_exception_fp_ieee_inexact 0
		.amdhsa_exception_int_div_zero 0
	.end_amdhsa_kernel
	.section	.text._ZN7rocprim17ROCPRIM_400000_NS6detail17trampoline_kernelINS0_14default_configENS1_25partition_config_selectorILNS1_17partition_subalgoE8ElNS0_10empty_typeEbEEZZNS1_14partition_implILS5_8ELb0ES3_jPlPS6_PKS6_NS0_5tupleIJS9_S6_EEENSD_IJSA_SA_EEENS0_18inequality_wrapperIZN2at6native12_GLOBAL__N_124unique_dim_cuda_templateImEESt5tupleIJNSH_6TensorESM_SM_EERKSM_lbbbEUlllE0_EEPmJS6_EEE10hipError_tPvRmT3_T4_T5_T6_T7_T9_mT8_P12ihipStream_tbDpT10_ENKUlT_T0_E_clISt17integral_constantIbLb0EES1B_IbLb1EEEEDaS17_S18_EUlS17_E_NS1_11comp_targetILNS1_3genE10ELNS1_11target_archE1200ELNS1_3gpuE4ELNS1_3repE0EEENS1_30default_config_static_selectorELNS0_4arch9wavefront6targetE0EEEvT1_,"axG",@progbits,_ZN7rocprim17ROCPRIM_400000_NS6detail17trampoline_kernelINS0_14default_configENS1_25partition_config_selectorILNS1_17partition_subalgoE8ElNS0_10empty_typeEbEEZZNS1_14partition_implILS5_8ELb0ES3_jPlPS6_PKS6_NS0_5tupleIJS9_S6_EEENSD_IJSA_SA_EEENS0_18inequality_wrapperIZN2at6native12_GLOBAL__N_124unique_dim_cuda_templateImEESt5tupleIJNSH_6TensorESM_SM_EERKSM_lbbbEUlllE0_EEPmJS6_EEE10hipError_tPvRmT3_T4_T5_T6_T7_T9_mT8_P12ihipStream_tbDpT10_ENKUlT_T0_E_clISt17integral_constantIbLb0EES1B_IbLb1EEEEDaS17_S18_EUlS17_E_NS1_11comp_targetILNS1_3genE10ELNS1_11target_archE1200ELNS1_3gpuE4ELNS1_3repE0EEENS1_30default_config_static_selectorELNS0_4arch9wavefront6targetE0EEEvT1_,comdat
.Lfunc_end1692:
	.size	_ZN7rocprim17ROCPRIM_400000_NS6detail17trampoline_kernelINS0_14default_configENS1_25partition_config_selectorILNS1_17partition_subalgoE8ElNS0_10empty_typeEbEEZZNS1_14partition_implILS5_8ELb0ES3_jPlPS6_PKS6_NS0_5tupleIJS9_S6_EEENSD_IJSA_SA_EEENS0_18inequality_wrapperIZN2at6native12_GLOBAL__N_124unique_dim_cuda_templateImEESt5tupleIJNSH_6TensorESM_SM_EERKSM_lbbbEUlllE0_EEPmJS6_EEE10hipError_tPvRmT3_T4_T5_T6_T7_T9_mT8_P12ihipStream_tbDpT10_ENKUlT_T0_E_clISt17integral_constantIbLb0EES1B_IbLb1EEEEDaS17_S18_EUlS17_E_NS1_11comp_targetILNS1_3genE10ELNS1_11target_archE1200ELNS1_3gpuE4ELNS1_3repE0EEENS1_30default_config_static_selectorELNS0_4arch9wavefront6targetE0EEEvT1_, .Lfunc_end1692-_ZN7rocprim17ROCPRIM_400000_NS6detail17trampoline_kernelINS0_14default_configENS1_25partition_config_selectorILNS1_17partition_subalgoE8ElNS0_10empty_typeEbEEZZNS1_14partition_implILS5_8ELb0ES3_jPlPS6_PKS6_NS0_5tupleIJS9_S6_EEENSD_IJSA_SA_EEENS0_18inequality_wrapperIZN2at6native12_GLOBAL__N_124unique_dim_cuda_templateImEESt5tupleIJNSH_6TensorESM_SM_EERKSM_lbbbEUlllE0_EEPmJS6_EEE10hipError_tPvRmT3_T4_T5_T6_T7_T9_mT8_P12ihipStream_tbDpT10_ENKUlT_T0_E_clISt17integral_constantIbLb0EES1B_IbLb1EEEEDaS17_S18_EUlS17_E_NS1_11comp_targetILNS1_3genE10ELNS1_11target_archE1200ELNS1_3gpuE4ELNS1_3repE0EEENS1_30default_config_static_selectorELNS0_4arch9wavefront6targetE0EEEvT1_
                                        ; -- End function
	.set _ZN7rocprim17ROCPRIM_400000_NS6detail17trampoline_kernelINS0_14default_configENS1_25partition_config_selectorILNS1_17partition_subalgoE8ElNS0_10empty_typeEbEEZZNS1_14partition_implILS5_8ELb0ES3_jPlPS6_PKS6_NS0_5tupleIJS9_S6_EEENSD_IJSA_SA_EEENS0_18inequality_wrapperIZN2at6native12_GLOBAL__N_124unique_dim_cuda_templateImEESt5tupleIJNSH_6TensorESM_SM_EERKSM_lbbbEUlllE0_EEPmJS6_EEE10hipError_tPvRmT3_T4_T5_T6_T7_T9_mT8_P12ihipStream_tbDpT10_ENKUlT_T0_E_clISt17integral_constantIbLb0EES1B_IbLb1EEEEDaS17_S18_EUlS17_E_NS1_11comp_targetILNS1_3genE10ELNS1_11target_archE1200ELNS1_3gpuE4ELNS1_3repE0EEENS1_30default_config_static_selectorELNS0_4arch9wavefront6targetE0EEEvT1_.num_vgpr, 0
	.set _ZN7rocprim17ROCPRIM_400000_NS6detail17trampoline_kernelINS0_14default_configENS1_25partition_config_selectorILNS1_17partition_subalgoE8ElNS0_10empty_typeEbEEZZNS1_14partition_implILS5_8ELb0ES3_jPlPS6_PKS6_NS0_5tupleIJS9_S6_EEENSD_IJSA_SA_EEENS0_18inequality_wrapperIZN2at6native12_GLOBAL__N_124unique_dim_cuda_templateImEESt5tupleIJNSH_6TensorESM_SM_EERKSM_lbbbEUlllE0_EEPmJS6_EEE10hipError_tPvRmT3_T4_T5_T6_T7_T9_mT8_P12ihipStream_tbDpT10_ENKUlT_T0_E_clISt17integral_constantIbLb0EES1B_IbLb1EEEEDaS17_S18_EUlS17_E_NS1_11comp_targetILNS1_3genE10ELNS1_11target_archE1200ELNS1_3gpuE4ELNS1_3repE0EEENS1_30default_config_static_selectorELNS0_4arch9wavefront6targetE0EEEvT1_.num_agpr, 0
	.set _ZN7rocprim17ROCPRIM_400000_NS6detail17trampoline_kernelINS0_14default_configENS1_25partition_config_selectorILNS1_17partition_subalgoE8ElNS0_10empty_typeEbEEZZNS1_14partition_implILS5_8ELb0ES3_jPlPS6_PKS6_NS0_5tupleIJS9_S6_EEENSD_IJSA_SA_EEENS0_18inequality_wrapperIZN2at6native12_GLOBAL__N_124unique_dim_cuda_templateImEESt5tupleIJNSH_6TensorESM_SM_EERKSM_lbbbEUlllE0_EEPmJS6_EEE10hipError_tPvRmT3_T4_T5_T6_T7_T9_mT8_P12ihipStream_tbDpT10_ENKUlT_T0_E_clISt17integral_constantIbLb0EES1B_IbLb1EEEEDaS17_S18_EUlS17_E_NS1_11comp_targetILNS1_3genE10ELNS1_11target_archE1200ELNS1_3gpuE4ELNS1_3repE0EEENS1_30default_config_static_selectorELNS0_4arch9wavefront6targetE0EEEvT1_.numbered_sgpr, 0
	.set _ZN7rocprim17ROCPRIM_400000_NS6detail17trampoline_kernelINS0_14default_configENS1_25partition_config_selectorILNS1_17partition_subalgoE8ElNS0_10empty_typeEbEEZZNS1_14partition_implILS5_8ELb0ES3_jPlPS6_PKS6_NS0_5tupleIJS9_S6_EEENSD_IJSA_SA_EEENS0_18inequality_wrapperIZN2at6native12_GLOBAL__N_124unique_dim_cuda_templateImEESt5tupleIJNSH_6TensorESM_SM_EERKSM_lbbbEUlllE0_EEPmJS6_EEE10hipError_tPvRmT3_T4_T5_T6_T7_T9_mT8_P12ihipStream_tbDpT10_ENKUlT_T0_E_clISt17integral_constantIbLb0EES1B_IbLb1EEEEDaS17_S18_EUlS17_E_NS1_11comp_targetILNS1_3genE10ELNS1_11target_archE1200ELNS1_3gpuE4ELNS1_3repE0EEENS1_30default_config_static_selectorELNS0_4arch9wavefront6targetE0EEEvT1_.num_named_barrier, 0
	.set _ZN7rocprim17ROCPRIM_400000_NS6detail17trampoline_kernelINS0_14default_configENS1_25partition_config_selectorILNS1_17partition_subalgoE8ElNS0_10empty_typeEbEEZZNS1_14partition_implILS5_8ELb0ES3_jPlPS6_PKS6_NS0_5tupleIJS9_S6_EEENSD_IJSA_SA_EEENS0_18inequality_wrapperIZN2at6native12_GLOBAL__N_124unique_dim_cuda_templateImEESt5tupleIJNSH_6TensorESM_SM_EERKSM_lbbbEUlllE0_EEPmJS6_EEE10hipError_tPvRmT3_T4_T5_T6_T7_T9_mT8_P12ihipStream_tbDpT10_ENKUlT_T0_E_clISt17integral_constantIbLb0EES1B_IbLb1EEEEDaS17_S18_EUlS17_E_NS1_11comp_targetILNS1_3genE10ELNS1_11target_archE1200ELNS1_3gpuE4ELNS1_3repE0EEENS1_30default_config_static_selectorELNS0_4arch9wavefront6targetE0EEEvT1_.private_seg_size, 0
	.set _ZN7rocprim17ROCPRIM_400000_NS6detail17trampoline_kernelINS0_14default_configENS1_25partition_config_selectorILNS1_17partition_subalgoE8ElNS0_10empty_typeEbEEZZNS1_14partition_implILS5_8ELb0ES3_jPlPS6_PKS6_NS0_5tupleIJS9_S6_EEENSD_IJSA_SA_EEENS0_18inequality_wrapperIZN2at6native12_GLOBAL__N_124unique_dim_cuda_templateImEESt5tupleIJNSH_6TensorESM_SM_EERKSM_lbbbEUlllE0_EEPmJS6_EEE10hipError_tPvRmT3_T4_T5_T6_T7_T9_mT8_P12ihipStream_tbDpT10_ENKUlT_T0_E_clISt17integral_constantIbLb0EES1B_IbLb1EEEEDaS17_S18_EUlS17_E_NS1_11comp_targetILNS1_3genE10ELNS1_11target_archE1200ELNS1_3gpuE4ELNS1_3repE0EEENS1_30default_config_static_selectorELNS0_4arch9wavefront6targetE0EEEvT1_.uses_vcc, 0
	.set _ZN7rocprim17ROCPRIM_400000_NS6detail17trampoline_kernelINS0_14default_configENS1_25partition_config_selectorILNS1_17partition_subalgoE8ElNS0_10empty_typeEbEEZZNS1_14partition_implILS5_8ELb0ES3_jPlPS6_PKS6_NS0_5tupleIJS9_S6_EEENSD_IJSA_SA_EEENS0_18inequality_wrapperIZN2at6native12_GLOBAL__N_124unique_dim_cuda_templateImEESt5tupleIJNSH_6TensorESM_SM_EERKSM_lbbbEUlllE0_EEPmJS6_EEE10hipError_tPvRmT3_T4_T5_T6_T7_T9_mT8_P12ihipStream_tbDpT10_ENKUlT_T0_E_clISt17integral_constantIbLb0EES1B_IbLb1EEEEDaS17_S18_EUlS17_E_NS1_11comp_targetILNS1_3genE10ELNS1_11target_archE1200ELNS1_3gpuE4ELNS1_3repE0EEENS1_30default_config_static_selectorELNS0_4arch9wavefront6targetE0EEEvT1_.uses_flat_scratch, 0
	.set _ZN7rocprim17ROCPRIM_400000_NS6detail17trampoline_kernelINS0_14default_configENS1_25partition_config_selectorILNS1_17partition_subalgoE8ElNS0_10empty_typeEbEEZZNS1_14partition_implILS5_8ELb0ES3_jPlPS6_PKS6_NS0_5tupleIJS9_S6_EEENSD_IJSA_SA_EEENS0_18inequality_wrapperIZN2at6native12_GLOBAL__N_124unique_dim_cuda_templateImEESt5tupleIJNSH_6TensorESM_SM_EERKSM_lbbbEUlllE0_EEPmJS6_EEE10hipError_tPvRmT3_T4_T5_T6_T7_T9_mT8_P12ihipStream_tbDpT10_ENKUlT_T0_E_clISt17integral_constantIbLb0EES1B_IbLb1EEEEDaS17_S18_EUlS17_E_NS1_11comp_targetILNS1_3genE10ELNS1_11target_archE1200ELNS1_3gpuE4ELNS1_3repE0EEENS1_30default_config_static_selectorELNS0_4arch9wavefront6targetE0EEEvT1_.has_dyn_sized_stack, 0
	.set _ZN7rocprim17ROCPRIM_400000_NS6detail17trampoline_kernelINS0_14default_configENS1_25partition_config_selectorILNS1_17partition_subalgoE8ElNS0_10empty_typeEbEEZZNS1_14partition_implILS5_8ELb0ES3_jPlPS6_PKS6_NS0_5tupleIJS9_S6_EEENSD_IJSA_SA_EEENS0_18inequality_wrapperIZN2at6native12_GLOBAL__N_124unique_dim_cuda_templateImEESt5tupleIJNSH_6TensorESM_SM_EERKSM_lbbbEUlllE0_EEPmJS6_EEE10hipError_tPvRmT3_T4_T5_T6_T7_T9_mT8_P12ihipStream_tbDpT10_ENKUlT_T0_E_clISt17integral_constantIbLb0EES1B_IbLb1EEEEDaS17_S18_EUlS17_E_NS1_11comp_targetILNS1_3genE10ELNS1_11target_archE1200ELNS1_3gpuE4ELNS1_3repE0EEENS1_30default_config_static_selectorELNS0_4arch9wavefront6targetE0EEEvT1_.has_recursion, 0
	.set _ZN7rocprim17ROCPRIM_400000_NS6detail17trampoline_kernelINS0_14default_configENS1_25partition_config_selectorILNS1_17partition_subalgoE8ElNS0_10empty_typeEbEEZZNS1_14partition_implILS5_8ELb0ES3_jPlPS6_PKS6_NS0_5tupleIJS9_S6_EEENSD_IJSA_SA_EEENS0_18inequality_wrapperIZN2at6native12_GLOBAL__N_124unique_dim_cuda_templateImEESt5tupleIJNSH_6TensorESM_SM_EERKSM_lbbbEUlllE0_EEPmJS6_EEE10hipError_tPvRmT3_T4_T5_T6_T7_T9_mT8_P12ihipStream_tbDpT10_ENKUlT_T0_E_clISt17integral_constantIbLb0EES1B_IbLb1EEEEDaS17_S18_EUlS17_E_NS1_11comp_targetILNS1_3genE10ELNS1_11target_archE1200ELNS1_3gpuE4ELNS1_3repE0EEENS1_30default_config_static_selectorELNS0_4arch9wavefront6targetE0EEEvT1_.has_indirect_call, 0
	.section	.AMDGPU.csdata,"",@progbits
; Kernel info:
; codeLenInByte = 0
; TotalNumSgprs: 0
; NumVgprs: 0
; ScratchSize: 0
; MemoryBound: 0
; FloatMode: 240
; IeeeMode: 1
; LDSByteSize: 0 bytes/workgroup (compile time only)
; SGPRBlocks: 0
; VGPRBlocks: 0
; NumSGPRsForWavesPerEU: 1
; NumVGPRsForWavesPerEU: 1
; NamedBarCnt: 0
; Occupancy: 16
; WaveLimiterHint : 0
; COMPUTE_PGM_RSRC2:SCRATCH_EN: 0
; COMPUTE_PGM_RSRC2:USER_SGPR: 2
; COMPUTE_PGM_RSRC2:TRAP_HANDLER: 0
; COMPUTE_PGM_RSRC2:TGID_X_EN: 1
; COMPUTE_PGM_RSRC2:TGID_Y_EN: 0
; COMPUTE_PGM_RSRC2:TGID_Z_EN: 0
; COMPUTE_PGM_RSRC2:TIDIG_COMP_CNT: 0
	.section	.text._ZN7rocprim17ROCPRIM_400000_NS6detail17trampoline_kernelINS0_14default_configENS1_25partition_config_selectorILNS1_17partition_subalgoE8ElNS0_10empty_typeEbEEZZNS1_14partition_implILS5_8ELb0ES3_jPlPS6_PKS6_NS0_5tupleIJS9_S6_EEENSD_IJSA_SA_EEENS0_18inequality_wrapperIZN2at6native12_GLOBAL__N_124unique_dim_cuda_templateImEESt5tupleIJNSH_6TensorESM_SM_EERKSM_lbbbEUlllE0_EEPmJS6_EEE10hipError_tPvRmT3_T4_T5_T6_T7_T9_mT8_P12ihipStream_tbDpT10_ENKUlT_T0_E_clISt17integral_constantIbLb0EES1B_IbLb1EEEEDaS17_S18_EUlS17_E_NS1_11comp_targetILNS1_3genE9ELNS1_11target_archE1100ELNS1_3gpuE3ELNS1_3repE0EEENS1_30default_config_static_selectorELNS0_4arch9wavefront6targetE0EEEvT1_,"axG",@progbits,_ZN7rocprim17ROCPRIM_400000_NS6detail17trampoline_kernelINS0_14default_configENS1_25partition_config_selectorILNS1_17partition_subalgoE8ElNS0_10empty_typeEbEEZZNS1_14partition_implILS5_8ELb0ES3_jPlPS6_PKS6_NS0_5tupleIJS9_S6_EEENSD_IJSA_SA_EEENS0_18inequality_wrapperIZN2at6native12_GLOBAL__N_124unique_dim_cuda_templateImEESt5tupleIJNSH_6TensorESM_SM_EERKSM_lbbbEUlllE0_EEPmJS6_EEE10hipError_tPvRmT3_T4_T5_T6_T7_T9_mT8_P12ihipStream_tbDpT10_ENKUlT_T0_E_clISt17integral_constantIbLb0EES1B_IbLb1EEEEDaS17_S18_EUlS17_E_NS1_11comp_targetILNS1_3genE9ELNS1_11target_archE1100ELNS1_3gpuE3ELNS1_3repE0EEENS1_30default_config_static_selectorELNS0_4arch9wavefront6targetE0EEEvT1_,comdat
	.globl	_ZN7rocprim17ROCPRIM_400000_NS6detail17trampoline_kernelINS0_14default_configENS1_25partition_config_selectorILNS1_17partition_subalgoE8ElNS0_10empty_typeEbEEZZNS1_14partition_implILS5_8ELb0ES3_jPlPS6_PKS6_NS0_5tupleIJS9_S6_EEENSD_IJSA_SA_EEENS0_18inequality_wrapperIZN2at6native12_GLOBAL__N_124unique_dim_cuda_templateImEESt5tupleIJNSH_6TensorESM_SM_EERKSM_lbbbEUlllE0_EEPmJS6_EEE10hipError_tPvRmT3_T4_T5_T6_T7_T9_mT8_P12ihipStream_tbDpT10_ENKUlT_T0_E_clISt17integral_constantIbLb0EES1B_IbLb1EEEEDaS17_S18_EUlS17_E_NS1_11comp_targetILNS1_3genE9ELNS1_11target_archE1100ELNS1_3gpuE3ELNS1_3repE0EEENS1_30default_config_static_selectorELNS0_4arch9wavefront6targetE0EEEvT1_ ; -- Begin function _ZN7rocprim17ROCPRIM_400000_NS6detail17trampoline_kernelINS0_14default_configENS1_25partition_config_selectorILNS1_17partition_subalgoE8ElNS0_10empty_typeEbEEZZNS1_14partition_implILS5_8ELb0ES3_jPlPS6_PKS6_NS0_5tupleIJS9_S6_EEENSD_IJSA_SA_EEENS0_18inequality_wrapperIZN2at6native12_GLOBAL__N_124unique_dim_cuda_templateImEESt5tupleIJNSH_6TensorESM_SM_EERKSM_lbbbEUlllE0_EEPmJS6_EEE10hipError_tPvRmT3_T4_T5_T6_T7_T9_mT8_P12ihipStream_tbDpT10_ENKUlT_T0_E_clISt17integral_constantIbLb0EES1B_IbLb1EEEEDaS17_S18_EUlS17_E_NS1_11comp_targetILNS1_3genE9ELNS1_11target_archE1100ELNS1_3gpuE3ELNS1_3repE0EEENS1_30default_config_static_selectorELNS0_4arch9wavefront6targetE0EEEvT1_
	.p2align	8
	.type	_ZN7rocprim17ROCPRIM_400000_NS6detail17trampoline_kernelINS0_14default_configENS1_25partition_config_selectorILNS1_17partition_subalgoE8ElNS0_10empty_typeEbEEZZNS1_14partition_implILS5_8ELb0ES3_jPlPS6_PKS6_NS0_5tupleIJS9_S6_EEENSD_IJSA_SA_EEENS0_18inequality_wrapperIZN2at6native12_GLOBAL__N_124unique_dim_cuda_templateImEESt5tupleIJNSH_6TensorESM_SM_EERKSM_lbbbEUlllE0_EEPmJS6_EEE10hipError_tPvRmT3_T4_T5_T6_T7_T9_mT8_P12ihipStream_tbDpT10_ENKUlT_T0_E_clISt17integral_constantIbLb0EES1B_IbLb1EEEEDaS17_S18_EUlS17_E_NS1_11comp_targetILNS1_3genE9ELNS1_11target_archE1100ELNS1_3gpuE3ELNS1_3repE0EEENS1_30default_config_static_selectorELNS0_4arch9wavefront6targetE0EEEvT1_,@function
_ZN7rocprim17ROCPRIM_400000_NS6detail17trampoline_kernelINS0_14default_configENS1_25partition_config_selectorILNS1_17partition_subalgoE8ElNS0_10empty_typeEbEEZZNS1_14partition_implILS5_8ELb0ES3_jPlPS6_PKS6_NS0_5tupleIJS9_S6_EEENSD_IJSA_SA_EEENS0_18inequality_wrapperIZN2at6native12_GLOBAL__N_124unique_dim_cuda_templateImEESt5tupleIJNSH_6TensorESM_SM_EERKSM_lbbbEUlllE0_EEPmJS6_EEE10hipError_tPvRmT3_T4_T5_T6_T7_T9_mT8_P12ihipStream_tbDpT10_ENKUlT_T0_E_clISt17integral_constantIbLb0EES1B_IbLb1EEEEDaS17_S18_EUlS17_E_NS1_11comp_targetILNS1_3genE9ELNS1_11target_archE1100ELNS1_3gpuE3ELNS1_3repE0EEENS1_30default_config_static_selectorELNS0_4arch9wavefront6targetE0EEEvT1_: ; @_ZN7rocprim17ROCPRIM_400000_NS6detail17trampoline_kernelINS0_14default_configENS1_25partition_config_selectorILNS1_17partition_subalgoE8ElNS0_10empty_typeEbEEZZNS1_14partition_implILS5_8ELb0ES3_jPlPS6_PKS6_NS0_5tupleIJS9_S6_EEENSD_IJSA_SA_EEENS0_18inequality_wrapperIZN2at6native12_GLOBAL__N_124unique_dim_cuda_templateImEESt5tupleIJNSH_6TensorESM_SM_EERKSM_lbbbEUlllE0_EEPmJS6_EEE10hipError_tPvRmT3_T4_T5_T6_T7_T9_mT8_P12ihipStream_tbDpT10_ENKUlT_T0_E_clISt17integral_constantIbLb0EES1B_IbLb1EEEEDaS17_S18_EUlS17_E_NS1_11comp_targetILNS1_3genE9ELNS1_11target_archE1100ELNS1_3gpuE3ELNS1_3repE0EEENS1_30default_config_static_selectorELNS0_4arch9wavefront6targetE0EEEvT1_
; %bb.0:
	.section	.rodata,"a",@progbits
	.p2align	6, 0x0
	.amdhsa_kernel _ZN7rocprim17ROCPRIM_400000_NS6detail17trampoline_kernelINS0_14default_configENS1_25partition_config_selectorILNS1_17partition_subalgoE8ElNS0_10empty_typeEbEEZZNS1_14partition_implILS5_8ELb0ES3_jPlPS6_PKS6_NS0_5tupleIJS9_S6_EEENSD_IJSA_SA_EEENS0_18inequality_wrapperIZN2at6native12_GLOBAL__N_124unique_dim_cuda_templateImEESt5tupleIJNSH_6TensorESM_SM_EERKSM_lbbbEUlllE0_EEPmJS6_EEE10hipError_tPvRmT3_T4_T5_T6_T7_T9_mT8_P12ihipStream_tbDpT10_ENKUlT_T0_E_clISt17integral_constantIbLb0EES1B_IbLb1EEEEDaS17_S18_EUlS17_E_NS1_11comp_targetILNS1_3genE9ELNS1_11target_archE1100ELNS1_3gpuE3ELNS1_3repE0EEENS1_30default_config_static_selectorELNS0_4arch9wavefront6targetE0EEEvT1_
		.amdhsa_group_segment_fixed_size 0
		.amdhsa_private_segment_fixed_size 0
		.amdhsa_kernarg_size 136
		.amdhsa_user_sgpr_count 2
		.amdhsa_user_sgpr_dispatch_ptr 0
		.amdhsa_user_sgpr_queue_ptr 0
		.amdhsa_user_sgpr_kernarg_segment_ptr 1
		.amdhsa_user_sgpr_dispatch_id 0
		.amdhsa_user_sgpr_kernarg_preload_length 0
		.amdhsa_user_sgpr_kernarg_preload_offset 0
		.amdhsa_user_sgpr_private_segment_size 0
		.amdhsa_wavefront_size32 1
		.amdhsa_uses_dynamic_stack 0
		.amdhsa_enable_private_segment 0
		.amdhsa_system_sgpr_workgroup_id_x 1
		.amdhsa_system_sgpr_workgroup_id_y 0
		.amdhsa_system_sgpr_workgroup_id_z 0
		.amdhsa_system_sgpr_workgroup_info 0
		.amdhsa_system_vgpr_workitem_id 0
		.amdhsa_next_free_vgpr 1
		.amdhsa_next_free_sgpr 1
		.amdhsa_named_barrier_count 0
		.amdhsa_reserve_vcc 0
		.amdhsa_float_round_mode_32 0
		.amdhsa_float_round_mode_16_64 0
		.amdhsa_float_denorm_mode_32 3
		.amdhsa_float_denorm_mode_16_64 3
		.amdhsa_fp16_overflow 0
		.amdhsa_memory_ordered 1
		.amdhsa_forward_progress 1
		.amdhsa_inst_pref_size 0
		.amdhsa_round_robin_scheduling 0
		.amdhsa_exception_fp_ieee_invalid_op 0
		.amdhsa_exception_fp_denorm_src 0
		.amdhsa_exception_fp_ieee_div_zero 0
		.amdhsa_exception_fp_ieee_overflow 0
		.amdhsa_exception_fp_ieee_underflow 0
		.amdhsa_exception_fp_ieee_inexact 0
		.amdhsa_exception_int_div_zero 0
	.end_amdhsa_kernel
	.section	.text._ZN7rocprim17ROCPRIM_400000_NS6detail17trampoline_kernelINS0_14default_configENS1_25partition_config_selectorILNS1_17partition_subalgoE8ElNS0_10empty_typeEbEEZZNS1_14partition_implILS5_8ELb0ES3_jPlPS6_PKS6_NS0_5tupleIJS9_S6_EEENSD_IJSA_SA_EEENS0_18inequality_wrapperIZN2at6native12_GLOBAL__N_124unique_dim_cuda_templateImEESt5tupleIJNSH_6TensorESM_SM_EERKSM_lbbbEUlllE0_EEPmJS6_EEE10hipError_tPvRmT3_T4_T5_T6_T7_T9_mT8_P12ihipStream_tbDpT10_ENKUlT_T0_E_clISt17integral_constantIbLb0EES1B_IbLb1EEEEDaS17_S18_EUlS17_E_NS1_11comp_targetILNS1_3genE9ELNS1_11target_archE1100ELNS1_3gpuE3ELNS1_3repE0EEENS1_30default_config_static_selectorELNS0_4arch9wavefront6targetE0EEEvT1_,"axG",@progbits,_ZN7rocprim17ROCPRIM_400000_NS6detail17trampoline_kernelINS0_14default_configENS1_25partition_config_selectorILNS1_17partition_subalgoE8ElNS0_10empty_typeEbEEZZNS1_14partition_implILS5_8ELb0ES3_jPlPS6_PKS6_NS0_5tupleIJS9_S6_EEENSD_IJSA_SA_EEENS0_18inequality_wrapperIZN2at6native12_GLOBAL__N_124unique_dim_cuda_templateImEESt5tupleIJNSH_6TensorESM_SM_EERKSM_lbbbEUlllE0_EEPmJS6_EEE10hipError_tPvRmT3_T4_T5_T6_T7_T9_mT8_P12ihipStream_tbDpT10_ENKUlT_T0_E_clISt17integral_constantIbLb0EES1B_IbLb1EEEEDaS17_S18_EUlS17_E_NS1_11comp_targetILNS1_3genE9ELNS1_11target_archE1100ELNS1_3gpuE3ELNS1_3repE0EEENS1_30default_config_static_selectorELNS0_4arch9wavefront6targetE0EEEvT1_,comdat
.Lfunc_end1693:
	.size	_ZN7rocprim17ROCPRIM_400000_NS6detail17trampoline_kernelINS0_14default_configENS1_25partition_config_selectorILNS1_17partition_subalgoE8ElNS0_10empty_typeEbEEZZNS1_14partition_implILS5_8ELb0ES3_jPlPS6_PKS6_NS0_5tupleIJS9_S6_EEENSD_IJSA_SA_EEENS0_18inequality_wrapperIZN2at6native12_GLOBAL__N_124unique_dim_cuda_templateImEESt5tupleIJNSH_6TensorESM_SM_EERKSM_lbbbEUlllE0_EEPmJS6_EEE10hipError_tPvRmT3_T4_T5_T6_T7_T9_mT8_P12ihipStream_tbDpT10_ENKUlT_T0_E_clISt17integral_constantIbLb0EES1B_IbLb1EEEEDaS17_S18_EUlS17_E_NS1_11comp_targetILNS1_3genE9ELNS1_11target_archE1100ELNS1_3gpuE3ELNS1_3repE0EEENS1_30default_config_static_selectorELNS0_4arch9wavefront6targetE0EEEvT1_, .Lfunc_end1693-_ZN7rocprim17ROCPRIM_400000_NS6detail17trampoline_kernelINS0_14default_configENS1_25partition_config_selectorILNS1_17partition_subalgoE8ElNS0_10empty_typeEbEEZZNS1_14partition_implILS5_8ELb0ES3_jPlPS6_PKS6_NS0_5tupleIJS9_S6_EEENSD_IJSA_SA_EEENS0_18inequality_wrapperIZN2at6native12_GLOBAL__N_124unique_dim_cuda_templateImEESt5tupleIJNSH_6TensorESM_SM_EERKSM_lbbbEUlllE0_EEPmJS6_EEE10hipError_tPvRmT3_T4_T5_T6_T7_T9_mT8_P12ihipStream_tbDpT10_ENKUlT_T0_E_clISt17integral_constantIbLb0EES1B_IbLb1EEEEDaS17_S18_EUlS17_E_NS1_11comp_targetILNS1_3genE9ELNS1_11target_archE1100ELNS1_3gpuE3ELNS1_3repE0EEENS1_30default_config_static_selectorELNS0_4arch9wavefront6targetE0EEEvT1_
                                        ; -- End function
	.set _ZN7rocprim17ROCPRIM_400000_NS6detail17trampoline_kernelINS0_14default_configENS1_25partition_config_selectorILNS1_17partition_subalgoE8ElNS0_10empty_typeEbEEZZNS1_14partition_implILS5_8ELb0ES3_jPlPS6_PKS6_NS0_5tupleIJS9_S6_EEENSD_IJSA_SA_EEENS0_18inequality_wrapperIZN2at6native12_GLOBAL__N_124unique_dim_cuda_templateImEESt5tupleIJNSH_6TensorESM_SM_EERKSM_lbbbEUlllE0_EEPmJS6_EEE10hipError_tPvRmT3_T4_T5_T6_T7_T9_mT8_P12ihipStream_tbDpT10_ENKUlT_T0_E_clISt17integral_constantIbLb0EES1B_IbLb1EEEEDaS17_S18_EUlS17_E_NS1_11comp_targetILNS1_3genE9ELNS1_11target_archE1100ELNS1_3gpuE3ELNS1_3repE0EEENS1_30default_config_static_selectorELNS0_4arch9wavefront6targetE0EEEvT1_.num_vgpr, 0
	.set _ZN7rocprim17ROCPRIM_400000_NS6detail17trampoline_kernelINS0_14default_configENS1_25partition_config_selectorILNS1_17partition_subalgoE8ElNS0_10empty_typeEbEEZZNS1_14partition_implILS5_8ELb0ES3_jPlPS6_PKS6_NS0_5tupleIJS9_S6_EEENSD_IJSA_SA_EEENS0_18inequality_wrapperIZN2at6native12_GLOBAL__N_124unique_dim_cuda_templateImEESt5tupleIJNSH_6TensorESM_SM_EERKSM_lbbbEUlllE0_EEPmJS6_EEE10hipError_tPvRmT3_T4_T5_T6_T7_T9_mT8_P12ihipStream_tbDpT10_ENKUlT_T0_E_clISt17integral_constantIbLb0EES1B_IbLb1EEEEDaS17_S18_EUlS17_E_NS1_11comp_targetILNS1_3genE9ELNS1_11target_archE1100ELNS1_3gpuE3ELNS1_3repE0EEENS1_30default_config_static_selectorELNS0_4arch9wavefront6targetE0EEEvT1_.num_agpr, 0
	.set _ZN7rocprim17ROCPRIM_400000_NS6detail17trampoline_kernelINS0_14default_configENS1_25partition_config_selectorILNS1_17partition_subalgoE8ElNS0_10empty_typeEbEEZZNS1_14partition_implILS5_8ELb0ES3_jPlPS6_PKS6_NS0_5tupleIJS9_S6_EEENSD_IJSA_SA_EEENS0_18inequality_wrapperIZN2at6native12_GLOBAL__N_124unique_dim_cuda_templateImEESt5tupleIJNSH_6TensorESM_SM_EERKSM_lbbbEUlllE0_EEPmJS6_EEE10hipError_tPvRmT3_T4_T5_T6_T7_T9_mT8_P12ihipStream_tbDpT10_ENKUlT_T0_E_clISt17integral_constantIbLb0EES1B_IbLb1EEEEDaS17_S18_EUlS17_E_NS1_11comp_targetILNS1_3genE9ELNS1_11target_archE1100ELNS1_3gpuE3ELNS1_3repE0EEENS1_30default_config_static_selectorELNS0_4arch9wavefront6targetE0EEEvT1_.numbered_sgpr, 0
	.set _ZN7rocprim17ROCPRIM_400000_NS6detail17trampoline_kernelINS0_14default_configENS1_25partition_config_selectorILNS1_17partition_subalgoE8ElNS0_10empty_typeEbEEZZNS1_14partition_implILS5_8ELb0ES3_jPlPS6_PKS6_NS0_5tupleIJS9_S6_EEENSD_IJSA_SA_EEENS0_18inequality_wrapperIZN2at6native12_GLOBAL__N_124unique_dim_cuda_templateImEESt5tupleIJNSH_6TensorESM_SM_EERKSM_lbbbEUlllE0_EEPmJS6_EEE10hipError_tPvRmT3_T4_T5_T6_T7_T9_mT8_P12ihipStream_tbDpT10_ENKUlT_T0_E_clISt17integral_constantIbLb0EES1B_IbLb1EEEEDaS17_S18_EUlS17_E_NS1_11comp_targetILNS1_3genE9ELNS1_11target_archE1100ELNS1_3gpuE3ELNS1_3repE0EEENS1_30default_config_static_selectorELNS0_4arch9wavefront6targetE0EEEvT1_.num_named_barrier, 0
	.set _ZN7rocprim17ROCPRIM_400000_NS6detail17trampoline_kernelINS0_14default_configENS1_25partition_config_selectorILNS1_17partition_subalgoE8ElNS0_10empty_typeEbEEZZNS1_14partition_implILS5_8ELb0ES3_jPlPS6_PKS6_NS0_5tupleIJS9_S6_EEENSD_IJSA_SA_EEENS0_18inequality_wrapperIZN2at6native12_GLOBAL__N_124unique_dim_cuda_templateImEESt5tupleIJNSH_6TensorESM_SM_EERKSM_lbbbEUlllE0_EEPmJS6_EEE10hipError_tPvRmT3_T4_T5_T6_T7_T9_mT8_P12ihipStream_tbDpT10_ENKUlT_T0_E_clISt17integral_constantIbLb0EES1B_IbLb1EEEEDaS17_S18_EUlS17_E_NS1_11comp_targetILNS1_3genE9ELNS1_11target_archE1100ELNS1_3gpuE3ELNS1_3repE0EEENS1_30default_config_static_selectorELNS0_4arch9wavefront6targetE0EEEvT1_.private_seg_size, 0
	.set _ZN7rocprim17ROCPRIM_400000_NS6detail17trampoline_kernelINS0_14default_configENS1_25partition_config_selectorILNS1_17partition_subalgoE8ElNS0_10empty_typeEbEEZZNS1_14partition_implILS5_8ELb0ES3_jPlPS6_PKS6_NS0_5tupleIJS9_S6_EEENSD_IJSA_SA_EEENS0_18inequality_wrapperIZN2at6native12_GLOBAL__N_124unique_dim_cuda_templateImEESt5tupleIJNSH_6TensorESM_SM_EERKSM_lbbbEUlllE0_EEPmJS6_EEE10hipError_tPvRmT3_T4_T5_T6_T7_T9_mT8_P12ihipStream_tbDpT10_ENKUlT_T0_E_clISt17integral_constantIbLb0EES1B_IbLb1EEEEDaS17_S18_EUlS17_E_NS1_11comp_targetILNS1_3genE9ELNS1_11target_archE1100ELNS1_3gpuE3ELNS1_3repE0EEENS1_30default_config_static_selectorELNS0_4arch9wavefront6targetE0EEEvT1_.uses_vcc, 0
	.set _ZN7rocprim17ROCPRIM_400000_NS6detail17trampoline_kernelINS0_14default_configENS1_25partition_config_selectorILNS1_17partition_subalgoE8ElNS0_10empty_typeEbEEZZNS1_14partition_implILS5_8ELb0ES3_jPlPS6_PKS6_NS0_5tupleIJS9_S6_EEENSD_IJSA_SA_EEENS0_18inequality_wrapperIZN2at6native12_GLOBAL__N_124unique_dim_cuda_templateImEESt5tupleIJNSH_6TensorESM_SM_EERKSM_lbbbEUlllE0_EEPmJS6_EEE10hipError_tPvRmT3_T4_T5_T6_T7_T9_mT8_P12ihipStream_tbDpT10_ENKUlT_T0_E_clISt17integral_constantIbLb0EES1B_IbLb1EEEEDaS17_S18_EUlS17_E_NS1_11comp_targetILNS1_3genE9ELNS1_11target_archE1100ELNS1_3gpuE3ELNS1_3repE0EEENS1_30default_config_static_selectorELNS0_4arch9wavefront6targetE0EEEvT1_.uses_flat_scratch, 0
	.set _ZN7rocprim17ROCPRIM_400000_NS6detail17trampoline_kernelINS0_14default_configENS1_25partition_config_selectorILNS1_17partition_subalgoE8ElNS0_10empty_typeEbEEZZNS1_14partition_implILS5_8ELb0ES3_jPlPS6_PKS6_NS0_5tupleIJS9_S6_EEENSD_IJSA_SA_EEENS0_18inequality_wrapperIZN2at6native12_GLOBAL__N_124unique_dim_cuda_templateImEESt5tupleIJNSH_6TensorESM_SM_EERKSM_lbbbEUlllE0_EEPmJS6_EEE10hipError_tPvRmT3_T4_T5_T6_T7_T9_mT8_P12ihipStream_tbDpT10_ENKUlT_T0_E_clISt17integral_constantIbLb0EES1B_IbLb1EEEEDaS17_S18_EUlS17_E_NS1_11comp_targetILNS1_3genE9ELNS1_11target_archE1100ELNS1_3gpuE3ELNS1_3repE0EEENS1_30default_config_static_selectorELNS0_4arch9wavefront6targetE0EEEvT1_.has_dyn_sized_stack, 0
	.set _ZN7rocprim17ROCPRIM_400000_NS6detail17trampoline_kernelINS0_14default_configENS1_25partition_config_selectorILNS1_17partition_subalgoE8ElNS0_10empty_typeEbEEZZNS1_14partition_implILS5_8ELb0ES3_jPlPS6_PKS6_NS0_5tupleIJS9_S6_EEENSD_IJSA_SA_EEENS0_18inequality_wrapperIZN2at6native12_GLOBAL__N_124unique_dim_cuda_templateImEESt5tupleIJNSH_6TensorESM_SM_EERKSM_lbbbEUlllE0_EEPmJS6_EEE10hipError_tPvRmT3_T4_T5_T6_T7_T9_mT8_P12ihipStream_tbDpT10_ENKUlT_T0_E_clISt17integral_constantIbLb0EES1B_IbLb1EEEEDaS17_S18_EUlS17_E_NS1_11comp_targetILNS1_3genE9ELNS1_11target_archE1100ELNS1_3gpuE3ELNS1_3repE0EEENS1_30default_config_static_selectorELNS0_4arch9wavefront6targetE0EEEvT1_.has_recursion, 0
	.set _ZN7rocprim17ROCPRIM_400000_NS6detail17trampoline_kernelINS0_14default_configENS1_25partition_config_selectorILNS1_17partition_subalgoE8ElNS0_10empty_typeEbEEZZNS1_14partition_implILS5_8ELb0ES3_jPlPS6_PKS6_NS0_5tupleIJS9_S6_EEENSD_IJSA_SA_EEENS0_18inequality_wrapperIZN2at6native12_GLOBAL__N_124unique_dim_cuda_templateImEESt5tupleIJNSH_6TensorESM_SM_EERKSM_lbbbEUlllE0_EEPmJS6_EEE10hipError_tPvRmT3_T4_T5_T6_T7_T9_mT8_P12ihipStream_tbDpT10_ENKUlT_T0_E_clISt17integral_constantIbLb0EES1B_IbLb1EEEEDaS17_S18_EUlS17_E_NS1_11comp_targetILNS1_3genE9ELNS1_11target_archE1100ELNS1_3gpuE3ELNS1_3repE0EEENS1_30default_config_static_selectorELNS0_4arch9wavefront6targetE0EEEvT1_.has_indirect_call, 0
	.section	.AMDGPU.csdata,"",@progbits
; Kernel info:
; codeLenInByte = 0
; TotalNumSgprs: 0
; NumVgprs: 0
; ScratchSize: 0
; MemoryBound: 0
; FloatMode: 240
; IeeeMode: 1
; LDSByteSize: 0 bytes/workgroup (compile time only)
; SGPRBlocks: 0
; VGPRBlocks: 0
; NumSGPRsForWavesPerEU: 1
; NumVGPRsForWavesPerEU: 1
; NamedBarCnt: 0
; Occupancy: 16
; WaveLimiterHint : 0
; COMPUTE_PGM_RSRC2:SCRATCH_EN: 0
; COMPUTE_PGM_RSRC2:USER_SGPR: 2
; COMPUTE_PGM_RSRC2:TRAP_HANDLER: 0
; COMPUTE_PGM_RSRC2:TGID_X_EN: 1
; COMPUTE_PGM_RSRC2:TGID_Y_EN: 0
; COMPUTE_PGM_RSRC2:TGID_Z_EN: 0
; COMPUTE_PGM_RSRC2:TIDIG_COMP_CNT: 0
	.section	.text._ZN7rocprim17ROCPRIM_400000_NS6detail17trampoline_kernelINS0_14default_configENS1_25partition_config_selectorILNS1_17partition_subalgoE8ElNS0_10empty_typeEbEEZZNS1_14partition_implILS5_8ELb0ES3_jPlPS6_PKS6_NS0_5tupleIJS9_S6_EEENSD_IJSA_SA_EEENS0_18inequality_wrapperIZN2at6native12_GLOBAL__N_124unique_dim_cuda_templateImEESt5tupleIJNSH_6TensorESM_SM_EERKSM_lbbbEUlllE0_EEPmJS6_EEE10hipError_tPvRmT3_T4_T5_T6_T7_T9_mT8_P12ihipStream_tbDpT10_ENKUlT_T0_E_clISt17integral_constantIbLb0EES1B_IbLb1EEEEDaS17_S18_EUlS17_E_NS1_11comp_targetILNS1_3genE8ELNS1_11target_archE1030ELNS1_3gpuE2ELNS1_3repE0EEENS1_30default_config_static_selectorELNS0_4arch9wavefront6targetE0EEEvT1_,"axG",@progbits,_ZN7rocprim17ROCPRIM_400000_NS6detail17trampoline_kernelINS0_14default_configENS1_25partition_config_selectorILNS1_17partition_subalgoE8ElNS0_10empty_typeEbEEZZNS1_14partition_implILS5_8ELb0ES3_jPlPS6_PKS6_NS0_5tupleIJS9_S6_EEENSD_IJSA_SA_EEENS0_18inequality_wrapperIZN2at6native12_GLOBAL__N_124unique_dim_cuda_templateImEESt5tupleIJNSH_6TensorESM_SM_EERKSM_lbbbEUlllE0_EEPmJS6_EEE10hipError_tPvRmT3_T4_T5_T6_T7_T9_mT8_P12ihipStream_tbDpT10_ENKUlT_T0_E_clISt17integral_constantIbLb0EES1B_IbLb1EEEEDaS17_S18_EUlS17_E_NS1_11comp_targetILNS1_3genE8ELNS1_11target_archE1030ELNS1_3gpuE2ELNS1_3repE0EEENS1_30default_config_static_selectorELNS0_4arch9wavefront6targetE0EEEvT1_,comdat
	.globl	_ZN7rocprim17ROCPRIM_400000_NS6detail17trampoline_kernelINS0_14default_configENS1_25partition_config_selectorILNS1_17partition_subalgoE8ElNS0_10empty_typeEbEEZZNS1_14partition_implILS5_8ELb0ES3_jPlPS6_PKS6_NS0_5tupleIJS9_S6_EEENSD_IJSA_SA_EEENS0_18inequality_wrapperIZN2at6native12_GLOBAL__N_124unique_dim_cuda_templateImEESt5tupleIJNSH_6TensorESM_SM_EERKSM_lbbbEUlllE0_EEPmJS6_EEE10hipError_tPvRmT3_T4_T5_T6_T7_T9_mT8_P12ihipStream_tbDpT10_ENKUlT_T0_E_clISt17integral_constantIbLb0EES1B_IbLb1EEEEDaS17_S18_EUlS17_E_NS1_11comp_targetILNS1_3genE8ELNS1_11target_archE1030ELNS1_3gpuE2ELNS1_3repE0EEENS1_30default_config_static_selectorELNS0_4arch9wavefront6targetE0EEEvT1_ ; -- Begin function _ZN7rocprim17ROCPRIM_400000_NS6detail17trampoline_kernelINS0_14default_configENS1_25partition_config_selectorILNS1_17partition_subalgoE8ElNS0_10empty_typeEbEEZZNS1_14partition_implILS5_8ELb0ES3_jPlPS6_PKS6_NS0_5tupleIJS9_S6_EEENSD_IJSA_SA_EEENS0_18inequality_wrapperIZN2at6native12_GLOBAL__N_124unique_dim_cuda_templateImEESt5tupleIJNSH_6TensorESM_SM_EERKSM_lbbbEUlllE0_EEPmJS6_EEE10hipError_tPvRmT3_T4_T5_T6_T7_T9_mT8_P12ihipStream_tbDpT10_ENKUlT_T0_E_clISt17integral_constantIbLb0EES1B_IbLb1EEEEDaS17_S18_EUlS17_E_NS1_11comp_targetILNS1_3genE8ELNS1_11target_archE1030ELNS1_3gpuE2ELNS1_3repE0EEENS1_30default_config_static_selectorELNS0_4arch9wavefront6targetE0EEEvT1_
	.p2align	8
	.type	_ZN7rocprim17ROCPRIM_400000_NS6detail17trampoline_kernelINS0_14default_configENS1_25partition_config_selectorILNS1_17partition_subalgoE8ElNS0_10empty_typeEbEEZZNS1_14partition_implILS5_8ELb0ES3_jPlPS6_PKS6_NS0_5tupleIJS9_S6_EEENSD_IJSA_SA_EEENS0_18inequality_wrapperIZN2at6native12_GLOBAL__N_124unique_dim_cuda_templateImEESt5tupleIJNSH_6TensorESM_SM_EERKSM_lbbbEUlllE0_EEPmJS6_EEE10hipError_tPvRmT3_T4_T5_T6_T7_T9_mT8_P12ihipStream_tbDpT10_ENKUlT_T0_E_clISt17integral_constantIbLb0EES1B_IbLb1EEEEDaS17_S18_EUlS17_E_NS1_11comp_targetILNS1_3genE8ELNS1_11target_archE1030ELNS1_3gpuE2ELNS1_3repE0EEENS1_30default_config_static_selectorELNS0_4arch9wavefront6targetE0EEEvT1_,@function
_ZN7rocprim17ROCPRIM_400000_NS6detail17trampoline_kernelINS0_14default_configENS1_25partition_config_selectorILNS1_17partition_subalgoE8ElNS0_10empty_typeEbEEZZNS1_14partition_implILS5_8ELb0ES3_jPlPS6_PKS6_NS0_5tupleIJS9_S6_EEENSD_IJSA_SA_EEENS0_18inequality_wrapperIZN2at6native12_GLOBAL__N_124unique_dim_cuda_templateImEESt5tupleIJNSH_6TensorESM_SM_EERKSM_lbbbEUlllE0_EEPmJS6_EEE10hipError_tPvRmT3_T4_T5_T6_T7_T9_mT8_P12ihipStream_tbDpT10_ENKUlT_T0_E_clISt17integral_constantIbLb0EES1B_IbLb1EEEEDaS17_S18_EUlS17_E_NS1_11comp_targetILNS1_3genE8ELNS1_11target_archE1030ELNS1_3gpuE2ELNS1_3repE0EEENS1_30default_config_static_selectorELNS0_4arch9wavefront6targetE0EEEvT1_: ; @_ZN7rocprim17ROCPRIM_400000_NS6detail17trampoline_kernelINS0_14default_configENS1_25partition_config_selectorILNS1_17partition_subalgoE8ElNS0_10empty_typeEbEEZZNS1_14partition_implILS5_8ELb0ES3_jPlPS6_PKS6_NS0_5tupleIJS9_S6_EEENSD_IJSA_SA_EEENS0_18inequality_wrapperIZN2at6native12_GLOBAL__N_124unique_dim_cuda_templateImEESt5tupleIJNSH_6TensorESM_SM_EERKSM_lbbbEUlllE0_EEPmJS6_EEE10hipError_tPvRmT3_T4_T5_T6_T7_T9_mT8_P12ihipStream_tbDpT10_ENKUlT_T0_E_clISt17integral_constantIbLb0EES1B_IbLb1EEEEDaS17_S18_EUlS17_E_NS1_11comp_targetILNS1_3genE8ELNS1_11target_archE1030ELNS1_3gpuE2ELNS1_3repE0EEENS1_30default_config_static_selectorELNS0_4arch9wavefront6targetE0EEEvT1_
; %bb.0:
	.section	.rodata,"a",@progbits
	.p2align	6, 0x0
	.amdhsa_kernel _ZN7rocprim17ROCPRIM_400000_NS6detail17trampoline_kernelINS0_14default_configENS1_25partition_config_selectorILNS1_17partition_subalgoE8ElNS0_10empty_typeEbEEZZNS1_14partition_implILS5_8ELb0ES3_jPlPS6_PKS6_NS0_5tupleIJS9_S6_EEENSD_IJSA_SA_EEENS0_18inequality_wrapperIZN2at6native12_GLOBAL__N_124unique_dim_cuda_templateImEESt5tupleIJNSH_6TensorESM_SM_EERKSM_lbbbEUlllE0_EEPmJS6_EEE10hipError_tPvRmT3_T4_T5_T6_T7_T9_mT8_P12ihipStream_tbDpT10_ENKUlT_T0_E_clISt17integral_constantIbLb0EES1B_IbLb1EEEEDaS17_S18_EUlS17_E_NS1_11comp_targetILNS1_3genE8ELNS1_11target_archE1030ELNS1_3gpuE2ELNS1_3repE0EEENS1_30default_config_static_selectorELNS0_4arch9wavefront6targetE0EEEvT1_
		.amdhsa_group_segment_fixed_size 0
		.amdhsa_private_segment_fixed_size 0
		.amdhsa_kernarg_size 136
		.amdhsa_user_sgpr_count 2
		.amdhsa_user_sgpr_dispatch_ptr 0
		.amdhsa_user_sgpr_queue_ptr 0
		.amdhsa_user_sgpr_kernarg_segment_ptr 1
		.amdhsa_user_sgpr_dispatch_id 0
		.amdhsa_user_sgpr_kernarg_preload_length 0
		.amdhsa_user_sgpr_kernarg_preload_offset 0
		.amdhsa_user_sgpr_private_segment_size 0
		.amdhsa_wavefront_size32 1
		.amdhsa_uses_dynamic_stack 0
		.amdhsa_enable_private_segment 0
		.amdhsa_system_sgpr_workgroup_id_x 1
		.amdhsa_system_sgpr_workgroup_id_y 0
		.amdhsa_system_sgpr_workgroup_id_z 0
		.amdhsa_system_sgpr_workgroup_info 0
		.amdhsa_system_vgpr_workitem_id 0
		.amdhsa_next_free_vgpr 1
		.amdhsa_next_free_sgpr 1
		.amdhsa_named_barrier_count 0
		.amdhsa_reserve_vcc 0
		.amdhsa_float_round_mode_32 0
		.amdhsa_float_round_mode_16_64 0
		.amdhsa_float_denorm_mode_32 3
		.amdhsa_float_denorm_mode_16_64 3
		.amdhsa_fp16_overflow 0
		.amdhsa_memory_ordered 1
		.amdhsa_forward_progress 1
		.amdhsa_inst_pref_size 0
		.amdhsa_round_robin_scheduling 0
		.amdhsa_exception_fp_ieee_invalid_op 0
		.amdhsa_exception_fp_denorm_src 0
		.amdhsa_exception_fp_ieee_div_zero 0
		.amdhsa_exception_fp_ieee_overflow 0
		.amdhsa_exception_fp_ieee_underflow 0
		.amdhsa_exception_fp_ieee_inexact 0
		.amdhsa_exception_int_div_zero 0
	.end_amdhsa_kernel
	.section	.text._ZN7rocprim17ROCPRIM_400000_NS6detail17trampoline_kernelINS0_14default_configENS1_25partition_config_selectorILNS1_17partition_subalgoE8ElNS0_10empty_typeEbEEZZNS1_14partition_implILS5_8ELb0ES3_jPlPS6_PKS6_NS0_5tupleIJS9_S6_EEENSD_IJSA_SA_EEENS0_18inequality_wrapperIZN2at6native12_GLOBAL__N_124unique_dim_cuda_templateImEESt5tupleIJNSH_6TensorESM_SM_EERKSM_lbbbEUlllE0_EEPmJS6_EEE10hipError_tPvRmT3_T4_T5_T6_T7_T9_mT8_P12ihipStream_tbDpT10_ENKUlT_T0_E_clISt17integral_constantIbLb0EES1B_IbLb1EEEEDaS17_S18_EUlS17_E_NS1_11comp_targetILNS1_3genE8ELNS1_11target_archE1030ELNS1_3gpuE2ELNS1_3repE0EEENS1_30default_config_static_selectorELNS0_4arch9wavefront6targetE0EEEvT1_,"axG",@progbits,_ZN7rocprim17ROCPRIM_400000_NS6detail17trampoline_kernelINS0_14default_configENS1_25partition_config_selectorILNS1_17partition_subalgoE8ElNS0_10empty_typeEbEEZZNS1_14partition_implILS5_8ELb0ES3_jPlPS6_PKS6_NS0_5tupleIJS9_S6_EEENSD_IJSA_SA_EEENS0_18inequality_wrapperIZN2at6native12_GLOBAL__N_124unique_dim_cuda_templateImEESt5tupleIJNSH_6TensorESM_SM_EERKSM_lbbbEUlllE0_EEPmJS6_EEE10hipError_tPvRmT3_T4_T5_T6_T7_T9_mT8_P12ihipStream_tbDpT10_ENKUlT_T0_E_clISt17integral_constantIbLb0EES1B_IbLb1EEEEDaS17_S18_EUlS17_E_NS1_11comp_targetILNS1_3genE8ELNS1_11target_archE1030ELNS1_3gpuE2ELNS1_3repE0EEENS1_30default_config_static_selectorELNS0_4arch9wavefront6targetE0EEEvT1_,comdat
.Lfunc_end1694:
	.size	_ZN7rocprim17ROCPRIM_400000_NS6detail17trampoline_kernelINS0_14default_configENS1_25partition_config_selectorILNS1_17partition_subalgoE8ElNS0_10empty_typeEbEEZZNS1_14partition_implILS5_8ELb0ES3_jPlPS6_PKS6_NS0_5tupleIJS9_S6_EEENSD_IJSA_SA_EEENS0_18inequality_wrapperIZN2at6native12_GLOBAL__N_124unique_dim_cuda_templateImEESt5tupleIJNSH_6TensorESM_SM_EERKSM_lbbbEUlllE0_EEPmJS6_EEE10hipError_tPvRmT3_T4_T5_T6_T7_T9_mT8_P12ihipStream_tbDpT10_ENKUlT_T0_E_clISt17integral_constantIbLb0EES1B_IbLb1EEEEDaS17_S18_EUlS17_E_NS1_11comp_targetILNS1_3genE8ELNS1_11target_archE1030ELNS1_3gpuE2ELNS1_3repE0EEENS1_30default_config_static_selectorELNS0_4arch9wavefront6targetE0EEEvT1_, .Lfunc_end1694-_ZN7rocprim17ROCPRIM_400000_NS6detail17trampoline_kernelINS0_14default_configENS1_25partition_config_selectorILNS1_17partition_subalgoE8ElNS0_10empty_typeEbEEZZNS1_14partition_implILS5_8ELb0ES3_jPlPS6_PKS6_NS0_5tupleIJS9_S6_EEENSD_IJSA_SA_EEENS0_18inequality_wrapperIZN2at6native12_GLOBAL__N_124unique_dim_cuda_templateImEESt5tupleIJNSH_6TensorESM_SM_EERKSM_lbbbEUlllE0_EEPmJS6_EEE10hipError_tPvRmT3_T4_T5_T6_T7_T9_mT8_P12ihipStream_tbDpT10_ENKUlT_T0_E_clISt17integral_constantIbLb0EES1B_IbLb1EEEEDaS17_S18_EUlS17_E_NS1_11comp_targetILNS1_3genE8ELNS1_11target_archE1030ELNS1_3gpuE2ELNS1_3repE0EEENS1_30default_config_static_selectorELNS0_4arch9wavefront6targetE0EEEvT1_
                                        ; -- End function
	.set _ZN7rocprim17ROCPRIM_400000_NS6detail17trampoline_kernelINS0_14default_configENS1_25partition_config_selectorILNS1_17partition_subalgoE8ElNS0_10empty_typeEbEEZZNS1_14partition_implILS5_8ELb0ES3_jPlPS6_PKS6_NS0_5tupleIJS9_S6_EEENSD_IJSA_SA_EEENS0_18inequality_wrapperIZN2at6native12_GLOBAL__N_124unique_dim_cuda_templateImEESt5tupleIJNSH_6TensorESM_SM_EERKSM_lbbbEUlllE0_EEPmJS6_EEE10hipError_tPvRmT3_T4_T5_T6_T7_T9_mT8_P12ihipStream_tbDpT10_ENKUlT_T0_E_clISt17integral_constantIbLb0EES1B_IbLb1EEEEDaS17_S18_EUlS17_E_NS1_11comp_targetILNS1_3genE8ELNS1_11target_archE1030ELNS1_3gpuE2ELNS1_3repE0EEENS1_30default_config_static_selectorELNS0_4arch9wavefront6targetE0EEEvT1_.num_vgpr, 0
	.set _ZN7rocprim17ROCPRIM_400000_NS6detail17trampoline_kernelINS0_14default_configENS1_25partition_config_selectorILNS1_17partition_subalgoE8ElNS0_10empty_typeEbEEZZNS1_14partition_implILS5_8ELb0ES3_jPlPS6_PKS6_NS0_5tupleIJS9_S6_EEENSD_IJSA_SA_EEENS0_18inequality_wrapperIZN2at6native12_GLOBAL__N_124unique_dim_cuda_templateImEESt5tupleIJNSH_6TensorESM_SM_EERKSM_lbbbEUlllE0_EEPmJS6_EEE10hipError_tPvRmT3_T4_T5_T6_T7_T9_mT8_P12ihipStream_tbDpT10_ENKUlT_T0_E_clISt17integral_constantIbLb0EES1B_IbLb1EEEEDaS17_S18_EUlS17_E_NS1_11comp_targetILNS1_3genE8ELNS1_11target_archE1030ELNS1_3gpuE2ELNS1_3repE0EEENS1_30default_config_static_selectorELNS0_4arch9wavefront6targetE0EEEvT1_.num_agpr, 0
	.set _ZN7rocprim17ROCPRIM_400000_NS6detail17trampoline_kernelINS0_14default_configENS1_25partition_config_selectorILNS1_17partition_subalgoE8ElNS0_10empty_typeEbEEZZNS1_14partition_implILS5_8ELb0ES3_jPlPS6_PKS6_NS0_5tupleIJS9_S6_EEENSD_IJSA_SA_EEENS0_18inequality_wrapperIZN2at6native12_GLOBAL__N_124unique_dim_cuda_templateImEESt5tupleIJNSH_6TensorESM_SM_EERKSM_lbbbEUlllE0_EEPmJS6_EEE10hipError_tPvRmT3_T4_T5_T6_T7_T9_mT8_P12ihipStream_tbDpT10_ENKUlT_T0_E_clISt17integral_constantIbLb0EES1B_IbLb1EEEEDaS17_S18_EUlS17_E_NS1_11comp_targetILNS1_3genE8ELNS1_11target_archE1030ELNS1_3gpuE2ELNS1_3repE0EEENS1_30default_config_static_selectorELNS0_4arch9wavefront6targetE0EEEvT1_.numbered_sgpr, 0
	.set _ZN7rocprim17ROCPRIM_400000_NS6detail17trampoline_kernelINS0_14default_configENS1_25partition_config_selectorILNS1_17partition_subalgoE8ElNS0_10empty_typeEbEEZZNS1_14partition_implILS5_8ELb0ES3_jPlPS6_PKS6_NS0_5tupleIJS9_S6_EEENSD_IJSA_SA_EEENS0_18inequality_wrapperIZN2at6native12_GLOBAL__N_124unique_dim_cuda_templateImEESt5tupleIJNSH_6TensorESM_SM_EERKSM_lbbbEUlllE0_EEPmJS6_EEE10hipError_tPvRmT3_T4_T5_T6_T7_T9_mT8_P12ihipStream_tbDpT10_ENKUlT_T0_E_clISt17integral_constantIbLb0EES1B_IbLb1EEEEDaS17_S18_EUlS17_E_NS1_11comp_targetILNS1_3genE8ELNS1_11target_archE1030ELNS1_3gpuE2ELNS1_3repE0EEENS1_30default_config_static_selectorELNS0_4arch9wavefront6targetE0EEEvT1_.num_named_barrier, 0
	.set _ZN7rocprim17ROCPRIM_400000_NS6detail17trampoline_kernelINS0_14default_configENS1_25partition_config_selectorILNS1_17partition_subalgoE8ElNS0_10empty_typeEbEEZZNS1_14partition_implILS5_8ELb0ES3_jPlPS6_PKS6_NS0_5tupleIJS9_S6_EEENSD_IJSA_SA_EEENS0_18inequality_wrapperIZN2at6native12_GLOBAL__N_124unique_dim_cuda_templateImEESt5tupleIJNSH_6TensorESM_SM_EERKSM_lbbbEUlllE0_EEPmJS6_EEE10hipError_tPvRmT3_T4_T5_T6_T7_T9_mT8_P12ihipStream_tbDpT10_ENKUlT_T0_E_clISt17integral_constantIbLb0EES1B_IbLb1EEEEDaS17_S18_EUlS17_E_NS1_11comp_targetILNS1_3genE8ELNS1_11target_archE1030ELNS1_3gpuE2ELNS1_3repE0EEENS1_30default_config_static_selectorELNS0_4arch9wavefront6targetE0EEEvT1_.private_seg_size, 0
	.set _ZN7rocprim17ROCPRIM_400000_NS6detail17trampoline_kernelINS0_14default_configENS1_25partition_config_selectorILNS1_17partition_subalgoE8ElNS0_10empty_typeEbEEZZNS1_14partition_implILS5_8ELb0ES3_jPlPS6_PKS6_NS0_5tupleIJS9_S6_EEENSD_IJSA_SA_EEENS0_18inequality_wrapperIZN2at6native12_GLOBAL__N_124unique_dim_cuda_templateImEESt5tupleIJNSH_6TensorESM_SM_EERKSM_lbbbEUlllE0_EEPmJS6_EEE10hipError_tPvRmT3_T4_T5_T6_T7_T9_mT8_P12ihipStream_tbDpT10_ENKUlT_T0_E_clISt17integral_constantIbLb0EES1B_IbLb1EEEEDaS17_S18_EUlS17_E_NS1_11comp_targetILNS1_3genE8ELNS1_11target_archE1030ELNS1_3gpuE2ELNS1_3repE0EEENS1_30default_config_static_selectorELNS0_4arch9wavefront6targetE0EEEvT1_.uses_vcc, 0
	.set _ZN7rocprim17ROCPRIM_400000_NS6detail17trampoline_kernelINS0_14default_configENS1_25partition_config_selectorILNS1_17partition_subalgoE8ElNS0_10empty_typeEbEEZZNS1_14partition_implILS5_8ELb0ES3_jPlPS6_PKS6_NS0_5tupleIJS9_S6_EEENSD_IJSA_SA_EEENS0_18inequality_wrapperIZN2at6native12_GLOBAL__N_124unique_dim_cuda_templateImEESt5tupleIJNSH_6TensorESM_SM_EERKSM_lbbbEUlllE0_EEPmJS6_EEE10hipError_tPvRmT3_T4_T5_T6_T7_T9_mT8_P12ihipStream_tbDpT10_ENKUlT_T0_E_clISt17integral_constantIbLb0EES1B_IbLb1EEEEDaS17_S18_EUlS17_E_NS1_11comp_targetILNS1_3genE8ELNS1_11target_archE1030ELNS1_3gpuE2ELNS1_3repE0EEENS1_30default_config_static_selectorELNS0_4arch9wavefront6targetE0EEEvT1_.uses_flat_scratch, 0
	.set _ZN7rocprim17ROCPRIM_400000_NS6detail17trampoline_kernelINS0_14default_configENS1_25partition_config_selectorILNS1_17partition_subalgoE8ElNS0_10empty_typeEbEEZZNS1_14partition_implILS5_8ELb0ES3_jPlPS6_PKS6_NS0_5tupleIJS9_S6_EEENSD_IJSA_SA_EEENS0_18inequality_wrapperIZN2at6native12_GLOBAL__N_124unique_dim_cuda_templateImEESt5tupleIJNSH_6TensorESM_SM_EERKSM_lbbbEUlllE0_EEPmJS6_EEE10hipError_tPvRmT3_T4_T5_T6_T7_T9_mT8_P12ihipStream_tbDpT10_ENKUlT_T0_E_clISt17integral_constantIbLb0EES1B_IbLb1EEEEDaS17_S18_EUlS17_E_NS1_11comp_targetILNS1_3genE8ELNS1_11target_archE1030ELNS1_3gpuE2ELNS1_3repE0EEENS1_30default_config_static_selectorELNS0_4arch9wavefront6targetE0EEEvT1_.has_dyn_sized_stack, 0
	.set _ZN7rocprim17ROCPRIM_400000_NS6detail17trampoline_kernelINS0_14default_configENS1_25partition_config_selectorILNS1_17partition_subalgoE8ElNS0_10empty_typeEbEEZZNS1_14partition_implILS5_8ELb0ES3_jPlPS6_PKS6_NS0_5tupleIJS9_S6_EEENSD_IJSA_SA_EEENS0_18inequality_wrapperIZN2at6native12_GLOBAL__N_124unique_dim_cuda_templateImEESt5tupleIJNSH_6TensorESM_SM_EERKSM_lbbbEUlllE0_EEPmJS6_EEE10hipError_tPvRmT3_T4_T5_T6_T7_T9_mT8_P12ihipStream_tbDpT10_ENKUlT_T0_E_clISt17integral_constantIbLb0EES1B_IbLb1EEEEDaS17_S18_EUlS17_E_NS1_11comp_targetILNS1_3genE8ELNS1_11target_archE1030ELNS1_3gpuE2ELNS1_3repE0EEENS1_30default_config_static_selectorELNS0_4arch9wavefront6targetE0EEEvT1_.has_recursion, 0
	.set _ZN7rocprim17ROCPRIM_400000_NS6detail17trampoline_kernelINS0_14default_configENS1_25partition_config_selectorILNS1_17partition_subalgoE8ElNS0_10empty_typeEbEEZZNS1_14partition_implILS5_8ELb0ES3_jPlPS6_PKS6_NS0_5tupleIJS9_S6_EEENSD_IJSA_SA_EEENS0_18inequality_wrapperIZN2at6native12_GLOBAL__N_124unique_dim_cuda_templateImEESt5tupleIJNSH_6TensorESM_SM_EERKSM_lbbbEUlllE0_EEPmJS6_EEE10hipError_tPvRmT3_T4_T5_T6_T7_T9_mT8_P12ihipStream_tbDpT10_ENKUlT_T0_E_clISt17integral_constantIbLb0EES1B_IbLb1EEEEDaS17_S18_EUlS17_E_NS1_11comp_targetILNS1_3genE8ELNS1_11target_archE1030ELNS1_3gpuE2ELNS1_3repE0EEENS1_30default_config_static_selectorELNS0_4arch9wavefront6targetE0EEEvT1_.has_indirect_call, 0
	.section	.AMDGPU.csdata,"",@progbits
; Kernel info:
; codeLenInByte = 0
; TotalNumSgprs: 0
; NumVgprs: 0
; ScratchSize: 0
; MemoryBound: 0
; FloatMode: 240
; IeeeMode: 1
; LDSByteSize: 0 bytes/workgroup (compile time only)
; SGPRBlocks: 0
; VGPRBlocks: 0
; NumSGPRsForWavesPerEU: 1
; NumVGPRsForWavesPerEU: 1
; NamedBarCnt: 0
; Occupancy: 16
; WaveLimiterHint : 0
; COMPUTE_PGM_RSRC2:SCRATCH_EN: 0
; COMPUTE_PGM_RSRC2:USER_SGPR: 2
; COMPUTE_PGM_RSRC2:TRAP_HANDLER: 0
; COMPUTE_PGM_RSRC2:TGID_X_EN: 1
; COMPUTE_PGM_RSRC2:TGID_Y_EN: 0
; COMPUTE_PGM_RSRC2:TGID_Z_EN: 0
; COMPUTE_PGM_RSRC2:TIDIG_COMP_CNT: 0
	.section	.text._ZN7rocprim17ROCPRIM_400000_NS6detail17trampoline_kernelINS0_14default_configENS1_25partition_config_selectorILNS1_17partition_subalgoE9EllbEEZZNS1_14partition_implILS5_9ELb0ES3_jPlS8_PNS0_10empty_typeENS0_5tupleIJS8_S9_EEENSB_IJS8_SA_EEENS0_18inequality_wrapperIZN2at6native12_GLOBAL__N_124unique_dim_cuda_templateImEESt5tupleIJNSF_6TensorESK_SK_EERKSK_lbbbEUlllE0_EEPmJS9_EEE10hipError_tPvRmT3_T4_T5_T6_T7_T9_mT8_P12ihipStream_tbDpT10_ENKUlT_T0_E_clISt17integral_constantIbLb0EES1A_EEDaS15_S16_EUlS15_E_NS1_11comp_targetILNS1_3genE0ELNS1_11target_archE4294967295ELNS1_3gpuE0ELNS1_3repE0EEENS1_30default_config_static_selectorELNS0_4arch9wavefront6targetE0EEEvT1_,"axG",@progbits,_ZN7rocprim17ROCPRIM_400000_NS6detail17trampoline_kernelINS0_14default_configENS1_25partition_config_selectorILNS1_17partition_subalgoE9EllbEEZZNS1_14partition_implILS5_9ELb0ES3_jPlS8_PNS0_10empty_typeENS0_5tupleIJS8_S9_EEENSB_IJS8_SA_EEENS0_18inequality_wrapperIZN2at6native12_GLOBAL__N_124unique_dim_cuda_templateImEESt5tupleIJNSF_6TensorESK_SK_EERKSK_lbbbEUlllE0_EEPmJS9_EEE10hipError_tPvRmT3_T4_T5_T6_T7_T9_mT8_P12ihipStream_tbDpT10_ENKUlT_T0_E_clISt17integral_constantIbLb0EES1A_EEDaS15_S16_EUlS15_E_NS1_11comp_targetILNS1_3genE0ELNS1_11target_archE4294967295ELNS1_3gpuE0ELNS1_3repE0EEENS1_30default_config_static_selectorELNS0_4arch9wavefront6targetE0EEEvT1_,comdat
	.globl	_ZN7rocprim17ROCPRIM_400000_NS6detail17trampoline_kernelINS0_14default_configENS1_25partition_config_selectorILNS1_17partition_subalgoE9EllbEEZZNS1_14partition_implILS5_9ELb0ES3_jPlS8_PNS0_10empty_typeENS0_5tupleIJS8_S9_EEENSB_IJS8_SA_EEENS0_18inequality_wrapperIZN2at6native12_GLOBAL__N_124unique_dim_cuda_templateImEESt5tupleIJNSF_6TensorESK_SK_EERKSK_lbbbEUlllE0_EEPmJS9_EEE10hipError_tPvRmT3_T4_T5_T6_T7_T9_mT8_P12ihipStream_tbDpT10_ENKUlT_T0_E_clISt17integral_constantIbLb0EES1A_EEDaS15_S16_EUlS15_E_NS1_11comp_targetILNS1_3genE0ELNS1_11target_archE4294967295ELNS1_3gpuE0ELNS1_3repE0EEENS1_30default_config_static_selectorELNS0_4arch9wavefront6targetE0EEEvT1_ ; -- Begin function _ZN7rocprim17ROCPRIM_400000_NS6detail17trampoline_kernelINS0_14default_configENS1_25partition_config_selectorILNS1_17partition_subalgoE9EllbEEZZNS1_14partition_implILS5_9ELb0ES3_jPlS8_PNS0_10empty_typeENS0_5tupleIJS8_S9_EEENSB_IJS8_SA_EEENS0_18inequality_wrapperIZN2at6native12_GLOBAL__N_124unique_dim_cuda_templateImEESt5tupleIJNSF_6TensorESK_SK_EERKSK_lbbbEUlllE0_EEPmJS9_EEE10hipError_tPvRmT3_T4_T5_T6_T7_T9_mT8_P12ihipStream_tbDpT10_ENKUlT_T0_E_clISt17integral_constantIbLb0EES1A_EEDaS15_S16_EUlS15_E_NS1_11comp_targetILNS1_3genE0ELNS1_11target_archE4294967295ELNS1_3gpuE0ELNS1_3repE0EEENS1_30default_config_static_selectorELNS0_4arch9wavefront6targetE0EEEvT1_
	.p2align	8
	.type	_ZN7rocprim17ROCPRIM_400000_NS6detail17trampoline_kernelINS0_14default_configENS1_25partition_config_selectorILNS1_17partition_subalgoE9EllbEEZZNS1_14partition_implILS5_9ELb0ES3_jPlS8_PNS0_10empty_typeENS0_5tupleIJS8_S9_EEENSB_IJS8_SA_EEENS0_18inequality_wrapperIZN2at6native12_GLOBAL__N_124unique_dim_cuda_templateImEESt5tupleIJNSF_6TensorESK_SK_EERKSK_lbbbEUlllE0_EEPmJS9_EEE10hipError_tPvRmT3_T4_T5_T6_T7_T9_mT8_P12ihipStream_tbDpT10_ENKUlT_T0_E_clISt17integral_constantIbLb0EES1A_EEDaS15_S16_EUlS15_E_NS1_11comp_targetILNS1_3genE0ELNS1_11target_archE4294967295ELNS1_3gpuE0ELNS1_3repE0EEENS1_30default_config_static_selectorELNS0_4arch9wavefront6targetE0EEEvT1_,@function
_ZN7rocprim17ROCPRIM_400000_NS6detail17trampoline_kernelINS0_14default_configENS1_25partition_config_selectorILNS1_17partition_subalgoE9EllbEEZZNS1_14partition_implILS5_9ELb0ES3_jPlS8_PNS0_10empty_typeENS0_5tupleIJS8_S9_EEENSB_IJS8_SA_EEENS0_18inequality_wrapperIZN2at6native12_GLOBAL__N_124unique_dim_cuda_templateImEESt5tupleIJNSF_6TensorESK_SK_EERKSK_lbbbEUlllE0_EEPmJS9_EEE10hipError_tPvRmT3_T4_T5_T6_T7_T9_mT8_P12ihipStream_tbDpT10_ENKUlT_T0_E_clISt17integral_constantIbLb0EES1A_EEDaS15_S16_EUlS15_E_NS1_11comp_targetILNS1_3genE0ELNS1_11target_archE4294967295ELNS1_3gpuE0ELNS1_3repE0EEENS1_30default_config_static_selectorELNS0_4arch9wavefront6targetE0EEEvT1_: ; @_ZN7rocprim17ROCPRIM_400000_NS6detail17trampoline_kernelINS0_14default_configENS1_25partition_config_selectorILNS1_17partition_subalgoE9EllbEEZZNS1_14partition_implILS5_9ELb0ES3_jPlS8_PNS0_10empty_typeENS0_5tupleIJS8_S9_EEENSB_IJS8_SA_EEENS0_18inequality_wrapperIZN2at6native12_GLOBAL__N_124unique_dim_cuda_templateImEESt5tupleIJNSF_6TensorESK_SK_EERKSK_lbbbEUlllE0_EEPmJS9_EEE10hipError_tPvRmT3_T4_T5_T6_T7_T9_mT8_P12ihipStream_tbDpT10_ENKUlT_T0_E_clISt17integral_constantIbLb0EES1A_EEDaS15_S16_EUlS15_E_NS1_11comp_targetILNS1_3genE0ELNS1_11target_archE4294967295ELNS1_3gpuE0ELNS1_3repE0EEENS1_30default_config_static_selectorELNS0_4arch9wavefront6targetE0EEEvT1_
; %bb.0:
	s_clause 0x2
	s_load_b128 s[4:7], s[0:1], 0x8
	s_load_b256 s[12:19], s[0:1], 0x40
	s_load_b32 s2, s[0:1], 0x70
	s_bfe_u32 s10, ttmp6, 0x4000c
	s_and_b32 s8, ttmp6, 15
	s_add_co_i32 s10, s10, 1
	s_load_b64 s[20:21], s[0:1], 0x18
	s_mul_i32 s10, ttmp9, s10
	s_getreg_b32 s24, hwreg(HW_REG_IB_STS2, 6, 4)
	s_add_co_i32 s10, s8, s10
	s_mov_b32 s9, 0
	v_dual_mov_b32 v1, v0 :: v_dual_lshlrev_b32 v34, 3, v0
	s_mov_b32 s11, s9
	s_mov_b32 s3, -1
	s_wait_kmcnt 0x0
	s_lshl_b64 s[22:23], s[6:7], 3
	s_load_b64 s[14:15], s[14:15], 0x0
	s_mul_i32 s8, s2, 0x280
	s_cmp_eq_u32 s24, 0
	s_add_nc_u64 s[24:25], s[6:7], s[8:9]
	s_cselect_b32 s26, ttmp9, s10
	s_add_co_i32 s8, s8, s6
	v_cmp_le_u64_e64 s9, s[16:17], s[24:25]
	s_sub_co_i32 s27, s16, s8
	s_add_co_i32 s2, s2, -1
	s_addk_co_i32 s27, 0x280
	s_cmp_eq_u32 s26, s2
	s_mul_i32 s10, s26, 0x280
	s_cselect_b32 s24, -1, 0
	s_add_nc_u64 s[4:5], s[4:5], s[22:23]
	s_and_b32 s28, s24, s9
	s_lshl_b64 s[16:17], s[10:11], 3
	s_xor_b32 s25, s28, -1
	s_add_nc_u64 s[4:5], s[4:5], s[16:17]
	s_and_b32 vcc_lo, exec_lo, s25
	s_cbranch_vccz .LBB1695_2
; %bb.1:
	s_clause 0x4
	global_load_b64 v[2:3], v0, s[4:5] scale_offset
	global_load_b64 v[4:5], v0, s[4:5] offset:1024 scale_offset
	global_load_b64 v[6:7], v0, s[4:5] offset:2048 scale_offset
	;; [unrolled: 1-line block ×4, first 2 shown]
	v_lshlrev_b32_e32 v12, 3, v0
	s_mov_b32 s3, 0
	s_wait_loadcnt 0x3
	ds_store_2addr_stride64_b64 v12, v[2:3], v[4:5] offset1:2
	s_wait_loadcnt 0x1
	ds_store_2addr_stride64_b64 v12, v[6:7], v[8:9] offset0:4 offset1:6
	s_wait_loadcnt 0x0
	ds_store_b64 v12, v[10:11] offset:4096
	s_wait_dscnt 0x0
	s_barrier_signal -1
	s_barrier_wait -1
.LBB1695_2:
	s_load_b128 s[8:11], s[0:1], 0x60
	v_cmp_gt_u32_e64 s2, s27, v0
	s_and_not1_b32 vcc_lo, exec_lo, s3
	s_cbranch_vccnz .LBB1695_14
; %bb.3:
	v_mov_b32_e32 v2, 0
	s_delay_alu instid0(VALU_DEP_1)
	v_dual_mov_b32 v3, v2 :: v_dual_mov_b32 v4, v2
	v_dual_mov_b32 v5, v2 :: v_dual_mov_b32 v6, v2
	;; [unrolled: 1-line block ×4, first 2 shown]
	v_mov_b32_e32 v11, v2
	s_and_saveexec_b32 s3, s2
	s_cbranch_execz .LBB1695_5
; %bb.4:
	global_load_b64 v[4:5], v0, s[4:5] scale_offset
	v_dual_mov_b32 v6, v2 :: v_dual_mov_b32 v7, v2
	v_dual_mov_b32 v8, v2 :: v_dual_mov_b32 v9, v2
	;; [unrolled: 1-line block ×4, first 2 shown]
	s_wait_loadcnt 0x0
	v_mov_b64_e32 v[2:3], v[4:5]
	v_mov_b64_e32 v[4:5], v[6:7]
	;; [unrolled: 1-line block ×8, first 2 shown]
.LBB1695_5:
	s_or_b32 exec_lo, exec_lo, s3
	v_or_b32_e32 v12, 0x80, v0
	s_mov_b32 s2, exec_lo
	s_delay_alu instid0(VALU_DEP_1)
	v_cmpx_gt_u32_e64 s27, v12
	s_cbranch_execz .LBB1695_7
; %bb.6:
	global_load_b64 v[4:5], v0, s[4:5] offset:1024 scale_offset
.LBB1695_7:
	s_wait_xcnt 0x0
	s_or_b32 exec_lo, exec_lo, s2
	v_or_b32_e32 v12, 0x100, v0
	s_mov_b32 s2, exec_lo
	s_delay_alu instid0(VALU_DEP_1)
	v_cmpx_gt_u32_e64 s27, v12
	s_cbranch_execz .LBB1695_9
; %bb.8:
	global_load_b64 v[6:7], v0, s[4:5] offset:2048 scale_offset
.LBB1695_9:
	s_wait_xcnt 0x0
	;; [unrolled: 10-line block ×4, first 2 shown]
	s_or_b32 exec_lo, exec_lo, s2
	v_lshlrev_b32_e32 v12, 3, v0
	s_wait_loadcnt 0x0
	ds_store_2addr_stride64_b64 v12, v[2:3], v[4:5] offset1:2
	ds_store_2addr_stride64_b64 v12, v[6:7], v[8:9] offset0:4 offset1:6
	ds_store_b64 v12, v[10:11] offset:4096
	s_wait_dscnt 0x0
	s_barrier_signal -1
	s_barrier_wait -1
.LBB1695_14:
	v_mul_u32_u24_e32 v30, 5, v0
	s_add_nc_u64 s[2:3], s[20:21], s[22:23]
	s_and_b32 vcc_lo, exec_lo, s25
	s_add_nc_u64 s[2:3], s[2:3], s[16:17]
	s_delay_alu instid0(VALU_DEP_1)
	v_lshlrev_b32_e32 v28, 3, v30
	s_mov_b32 s16, -1
	ds_load_2addr_b64 v[14:17], v28 offset1:1
	ds_load_2addr_b64 v[10:13], v28 offset0:2 offset1:3
	ds_load_b64 v[20:21], v28 offset:32
	s_wait_dscnt 0x0
	s_barrier_signal -1
	s_barrier_wait -1
	s_cbranch_vccz .LBB1695_16
; %bb.15:
	s_clause 0x4
	global_load_b64 v[2:3], v0, s[2:3] scale_offset
	global_load_b64 v[4:5], v0, s[2:3] offset:1024 scale_offset
	global_load_b64 v[6:7], v0, s[2:3] offset:2048 scale_offset
	;; [unrolled: 1-line block ×4, first 2 shown]
	v_lshlrev_b32_e32 v22, 3, v0
	s_mov_b32 s16, 0
	s_wait_loadcnt 0x3
	ds_store_2addr_stride64_b64 v22, v[2:3], v[4:5] offset1:2
	s_wait_loadcnt 0x1
	ds_store_2addr_stride64_b64 v22, v[6:7], v[8:9] offset0:4 offset1:6
	s_wait_loadcnt 0x0
	ds_store_b64 v22, v[18:19] offset:4096
	s_wait_dscnt 0x0
	s_barrier_signal -1
	s_barrier_wait -1
.LBB1695_16:
	s_and_not1_b32 vcc_lo, exec_lo, s16
	s_cbranch_vccnz .LBB1695_28
; %bb.17:
	s_mov_b32 s16, exec_lo
                                        ; implicit-def: $vgpr2_vgpr3
	v_cmpx_gt_u32_e64 s27, v0
	s_cbranch_execz .LBB1695_19
; %bb.18:
	global_load_b64 v[2:3], v0, s[2:3] scale_offset
.LBB1695_19:
	s_wait_xcnt 0x0
	s_or_b32 exec_lo, exec_lo, s16
	v_or_b32_e32 v4, 0x80, v0
	s_delay_alu instid0(VALU_DEP_1)
	v_cmp_gt_u32_e32 vcc_lo, s27, v4
                                        ; implicit-def: $vgpr4_vgpr5
	s_and_saveexec_b32 s16, vcc_lo
	s_cbranch_execz .LBB1695_21
; %bb.20:
	global_load_b64 v[4:5], v0, s[2:3] offset:1024 scale_offset
.LBB1695_21:
	s_wait_xcnt 0x0
	s_or_b32 exec_lo, exec_lo, s16
	v_or_b32_e32 v6, 0x100, v0
	s_delay_alu instid0(VALU_DEP_1)
	v_cmp_gt_u32_e32 vcc_lo, s27, v6
                                        ; implicit-def: $vgpr6_vgpr7
	s_and_saveexec_b32 s16, vcc_lo
	s_cbranch_execz .LBB1695_23
; %bb.22:
	global_load_b64 v[6:7], v0, s[2:3] offset:2048 scale_offset
.LBB1695_23:
	s_wait_xcnt 0x0
	s_or_b32 exec_lo, exec_lo, s16
	v_or_b32_e32 v8, 0x180, v0
	s_delay_alu instid0(VALU_DEP_1)
	v_cmp_gt_u32_e32 vcc_lo, s27, v8
                                        ; implicit-def: $vgpr8_vgpr9
	s_and_saveexec_b32 s16, vcc_lo
	s_cbranch_execz .LBB1695_25
; %bb.24:
	global_load_b64 v[8:9], v0, s[2:3] offset:3072 scale_offset
.LBB1695_25:
	s_wait_xcnt 0x0
	s_or_b32 exec_lo, exec_lo, s16
	v_or_b32_e32 v18, 0x200, v0
	s_delay_alu instid0(VALU_DEP_1)
	v_cmp_gt_u32_e32 vcc_lo, s27, v18
                                        ; implicit-def: $vgpr18_vgpr19
	s_and_saveexec_b32 s16, vcc_lo
	s_cbranch_execz .LBB1695_27
; %bb.26:
	global_load_b64 v[18:19], v0, s[2:3] offset:4096 scale_offset
.LBB1695_27:
	s_wait_xcnt 0x0
	s_or_b32 exec_lo, exec_lo, s16
	v_lshlrev_b32_e32 v22, 5, v0
	s_delay_alu instid0(VALU_DEP_1)
	v_sub_nc_u32_e32 v22, v28, v22
	s_wait_loadcnt 0x0
	ds_store_2addr_stride64_b64 v22, v[2:3], v[4:5] offset1:2
	ds_store_2addr_stride64_b64 v22, v[6:7], v[8:9] offset0:4 offset1:6
	ds_store_b64 v22, v[18:19] offset:4096
	s_wait_dscnt 0x0
	s_barrier_signal -1
	s_barrier_wait -1
.LBB1695_28:
	ds_load_b64 v[18:19], v28 offset:32
	ds_load_2addr_b64 v[2:5], v28 offset0:2 offset1:3
	ds_load_2addr_b64 v[6:9], v28 offset1:1
	s_cmp_lg_u32 s26, 0
	v_cmp_gt_i64_e64 s17, s[18:19], 0
	s_cselect_b32 s16, -1, 0
	s_cmp_lg_u64 s[6:7], 0
	s_mov_b32 s6, 0
	s_cselect_b32 s2, -1, 0
	s_wait_dscnt 0x0
	s_or_b32 s2, s16, s2
	s_barrier_signal -1
	s_and_b32 vcc_lo, exec_lo, s2
	s_barrier_wait -1
	s_cbranch_vccz .LBB1695_40
; %bb.29:
	s_add_nc_u64 s[2:3], s[4:5], -8
	v_cndmask_b32_e64 v29, 0, 1, s17
	s_load_b64 s[4:5], s[2:3], 0x0
	v_lshlrev_b32_e32 v31, 3, v0
	s_and_b32 vcc_lo, exec_lo, s25
	s_wait_xcnt 0x0
	v_cmp_ne_u32_e64 s2, 1, v29
	ds_store_b64 v31, v[20:21]
	s_cbranch_vccz .LBB1695_42
; %bb.30:
	s_and_b32 vcc_lo, exec_lo, s2
	s_cbranch_vccnz .LBB1695_43
; %bb.31:
	v_mul_u64_e32 v[22:23], s[18:19], v[12:13]
	v_mul_u64_e32 v[24:25], s[18:19], v[20:21]
	s_add_nc_u64 s[6:7], s[18:19], -1
	s_mov_b32 s21, 0
	s_mov_b64 s[2:3], s[6:7]
                                        ; implicit-def: $sgpr20
	s_wait_kmcnt 0x0
	s_delay_alu instid0(VALU_DEP_2) | instskip(NEXT) | instid1(VALU_DEP_2)
	v_lshl_add_u64 v[22:23], v[22:23], 3, s[8:9]
	v_lshl_add_u64 v[24:25], v[24:25], 3, s[8:9]
	s_delay_alu instid0(VALU_DEP_2)
	v_mov_b64_e32 v[26:27], v[22:23]
.LBB1695_32:                            ; =>This Inner Loop Header: Depth=1
	global_load_b64 v[32:33], v[26:27], off
	global_load_b64 v[36:37], v[24:25], off
	s_cmp_eq_u64 s[2:3], 0
	s_add_nc_u64 s[22:23], s[2:3], -1
	s_cselect_b32 s3, -1, 0
	s_wait_xcnt 0x1
	v_add_nc_u64_e32 v[26:27], 8, v[26:27]
	s_wait_xcnt 0x0
	v_add_nc_u64_e32 v[24:25], 8, v[24:25]
	s_wait_loadcnt 0x0
	v_cmp_ne_u64_e32 vcc_lo, v[32:33], v[36:37]
	v_cmp_eq_u64_e64 s2, v[32:33], v[36:37]
	s_or_b32 s3, vcc_lo, s3
	s_delay_alu instid0(SALU_CYCLE_1) | instskip(NEXT) | instid1(SALU_CYCLE_1)
	s_and_b32 s3, exec_lo, s3
	s_or_b32 s21, s3, s21
	s_and_not1_b32 s20, s20, exec_lo
	s_and_b32 s29, s2, exec_lo
	s_mov_b64 s[2:3], s[22:23]
	s_or_b32 s20, s20, s29
	s_and_not1_b32 exec_lo, exec_lo, s21
	s_cbranch_execnz .LBB1695_32
; %bb.33:
	s_or_b32 exec_lo, exec_lo, s21
	v_mul_u64_e32 v[24:25], s[18:19], v[10:11]
	s_mov_b32 s22, 0
	s_mov_b64 s[2:3], s[6:7]
                                        ; implicit-def: $sgpr21
	s_delay_alu instid0(VALU_DEP_1) | instskip(NEXT) | instid1(VALU_DEP_1)
	v_lshl_add_u64 v[24:25], v[24:25], 3, s[8:9]
	v_mov_b64_e32 v[26:27], v[24:25]
.LBB1695_34:                            ; =>This Inner Loop Header: Depth=1
	global_load_b64 v[32:33], v[26:27], off
	global_load_b64 v[36:37], v[22:23], off
	s_cmp_eq_u64 s[2:3], 0
	s_add_nc_u64 s[30:31], s[2:3], -1
	s_cselect_b32 s3, -1, 0
	s_wait_xcnt 0x1
	v_add_nc_u64_e32 v[26:27], 8, v[26:27]
	s_wait_xcnt 0x0
	v_add_nc_u64_e32 v[22:23], 8, v[22:23]
	s_wait_loadcnt 0x0
	v_cmp_ne_u64_e32 vcc_lo, v[32:33], v[36:37]
	v_cmp_eq_u64_e64 s2, v[32:33], v[36:37]
	s_or_b32 s3, vcc_lo, s3
	s_delay_alu instid0(SALU_CYCLE_1) | instskip(NEXT) | instid1(SALU_CYCLE_1)
	s_and_b32 s3, exec_lo, s3
	s_or_b32 s22, s3, s22
	s_and_not1_b32 s21, s21, exec_lo
	s_and_b32 s23, s2, exec_lo
	s_mov_b64 s[2:3], s[30:31]
	s_or_b32 s21, s21, s23
	s_and_not1_b32 exec_lo, exec_lo, s22
	s_cbranch_execnz .LBB1695_34
; %bb.35:
	s_or_b32 exec_lo, exec_lo, s22
	v_mul_u64_e32 v[22:23], s[18:19], v[16:17]
	s_mov_b32 s23, 0
	s_mov_b64 s[2:3], s[6:7]
                                        ; implicit-def: $sgpr22
	s_delay_alu instid0(VALU_DEP_1) | instskip(NEXT) | instid1(VALU_DEP_1)
	v_lshl_add_u64 v[22:23], v[22:23], 3, s[8:9]
	v_mov_b64_e32 v[26:27], v[22:23]
.LBB1695_36:                            ; =>This Inner Loop Header: Depth=1
	global_load_b64 v[32:33], v[26:27], off
	global_load_b64 v[36:37], v[24:25], off
	s_cmp_eq_u64 s[2:3], 0
	s_add_nc_u64 s[30:31], s[2:3], -1
	s_cselect_b32 s3, -1, 0
	s_wait_xcnt 0x1
	v_add_nc_u64_e32 v[26:27], 8, v[26:27]
	s_wait_xcnt 0x0
	v_add_nc_u64_e32 v[24:25], 8, v[24:25]
	s_wait_loadcnt 0x0
	v_cmp_ne_u64_e32 vcc_lo, v[32:33], v[36:37]
	v_cmp_eq_u64_e64 s2, v[32:33], v[36:37]
	s_or_b32 s3, vcc_lo, s3
	s_delay_alu instid0(SALU_CYCLE_1) | instskip(NEXT) | instid1(SALU_CYCLE_1)
	s_and_b32 s3, exec_lo, s3
	s_or_b32 s23, s3, s23
	s_and_not1_b32 s22, s22, exec_lo
	s_and_b32 s29, s2, exec_lo
	s_mov_b64 s[2:3], s[30:31]
	s_or_b32 s22, s22, s29
	s_and_not1_b32 exec_lo, exec_lo, s23
	s_cbranch_execnz .LBB1695_36
; %bb.37:
	s_or_b32 exec_lo, exec_lo, s23
	v_mul_u64_e32 v[24:25], s[18:19], v[14:15]
	s_mov_b32 s23, 0
                                        ; implicit-def: $sgpr3
	s_delay_alu instid0(VALU_DEP_1)
	v_lshl_add_u64 v[24:25], v[24:25], 3, s[8:9]
.LBB1695_38:                            ; =>This Inner Loop Header: Depth=1
	global_load_b64 v[26:27], v[24:25], off
	global_load_b64 v[32:33], v[22:23], off
	s_cmp_eq_u64 s[6:7], 0
	s_add_nc_u64 s[30:31], s[6:7], -1
	s_cselect_b32 s6, -1, 0
	s_wait_xcnt 0x1
	v_add_nc_u64_e32 v[24:25], 8, v[24:25]
	s_wait_xcnt 0x0
	v_add_nc_u64_e32 v[22:23], 8, v[22:23]
	s_wait_loadcnt 0x0
	v_cmp_ne_u64_e32 vcc_lo, v[26:27], v[32:33]
	v_cmp_eq_u64_e64 s2, v[26:27], v[32:33]
	s_or_b32 s6, vcc_lo, s6
	s_delay_alu instid0(SALU_CYCLE_1) | instskip(NEXT) | instid1(SALU_CYCLE_1)
	s_and_b32 s6, exec_lo, s6
	s_or_b32 s23, s6, s23
	s_and_not1_b32 s3, s3, exec_lo
	s_and_b32 s2, s2, exec_lo
	s_mov_b64 s[6:7], s[30:31]
	s_or_b32 s3, s3, s2
	s_and_not1_b32 exec_lo, exec_lo, s23
	s_cbranch_execnz .LBB1695_38
; %bb.39:
	s_or_b32 exec_lo, exec_lo, s23
	s_xor_b32 s2, s21, -1
	s_xor_b32 s3, s3, -1
	v_cndmask_b32_e64 v22, 0, 1, s2
	s_xor_b32 s2, s22, -1
	s_delay_alu instid0(SALU_CYCLE_1) | instskip(SKIP_1) | instid1(VALU_DEP_2)
	v_cndmask_b32_e64 v23, 0, 1, s2
	s_xor_b32 s2, s20, -1
	v_lshlrev_b16 v22, 8, v22
	v_cndmask_b32_e64 v35, 0, 1, s2
	s_delay_alu instid0(VALU_DEP_2) | instskip(NEXT) | instid1(VALU_DEP_1)
	v_lshrrev_b32_e32 v22, 8, v22
	v_lshlrev_b16 v22, 8, v22
	s_delay_alu instid0(VALU_DEP_1) | instskip(NEXT) | instid1(VALU_DEP_1)
	v_or_b32_e32 v22, v23, v22
	v_lshlrev_b32_e32 v24, 16, v22
	s_branch .LBB1695_44
.LBB1695_40:
                                        ; implicit-def: $sgpr2
                                        ; implicit-def: $vgpr35
                                        ; implicit-def: $vgpr25
	s_branch .LBB1695_85
.LBB1695_41:
                                        ; implicit-def: $vgpr24
                                        ; implicit-def: $vgpr23
                                        ; implicit-def: $vgpr36
                                        ; implicit-def: $vgpr22
	s_branch .LBB1695_138
.LBB1695_42:
                                        ; implicit-def: $sgpr2
                                        ; implicit-def: $vgpr35
                                        ; implicit-def: $vgpr25
	s_cbranch_execnz .LBB1695_51
	s_branch .LBB1695_84
.LBB1695_43:
	v_dual_mov_b32 v24, 0 :: v_dual_mov_b32 v35, 0
	s_mov_b32 s3, 0
.LBB1695_44:
	s_wait_kmcnt 0x0
	v_mov_b64_e32 v[22:23], s[4:5]
	s_mov_b32 s2, 0
	s_mov_b32 s6, exec_lo
	s_wait_dscnt 0x0
	s_barrier_signal -1
	s_barrier_wait -1
	v_cmpx_ne_u32_e32 0, v0
; %bb.45:
	v_add_nc_u32_e32 v22, -8, v31
	ds_load_b64 v[22:23], v22
; %bb.46:
	s_or_b32 exec_lo, exec_lo, s6
	v_cndmask_b32_e64 v25, 0, 1, s3
	v_lshrrev_b32_e32 v26, 16, v24
	s_and_not1_b32 vcc_lo, exec_lo, s17
	s_delay_alu instid0(VALU_DEP_2) | instskip(NEXT) | instid1(VALU_DEP_2)
	v_lshlrev_b16 v25, 8, v25
	v_perm_b32 v26, v26, v24, 0xc0c0304
	s_delay_alu instid0(VALU_DEP_2) | instskip(NEXT) | instid1(VALU_DEP_1)
	v_bitop3_b16 v25, v24, v25, 0xff bitop3:0xec
	v_and_b32_e32 v27, 0xffff, v25
	s_cbranch_vccnz .LBB1695_50
; %bb.47:
	s_wait_dscnt 0x0
	v_mul_u64_e32 v[22:23], s[18:19], v[22:23]
	v_mul_u64_e32 v[24:25], s[18:19], v[14:15]
	s_add_nc_u64 s[2:3], s[18:19], -1
	s_mov_b32 s6, 0
                                        ; implicit-def: $sgpr7
	s_delay_alu instid0(VALU_DEP_2) | instskip(NEXT) | instid1(VALU_DEP_2)
	v_lshl_add_u64 v[22:23], v[22:23], 3, s[8:9]
	v_lshl_add_u64 v[24:25], v[24:25], 3, s[8:9]
.LBB1695_48:                            ; =>This Inner Loop Header: Depth=1
	global_load_b64 v[32:33], v[22:23], off
	global_load_b64 v[36:37], v[24:25], off
	s_cmp_eq_u64 s[2:3], 0
	s_add_nc_u64 s[20:21], s[2:3], -1
	s_cselect_b32 s3, -1, 0
	s_wait_xcnt 0x1
	v_add_nc_u64_e32 v[22:23], 8, v[22:23]
	s_wait_xcnt 0x0
	v_add_nc_u64_e32 v[24:25], 8, v[24:25]
	s_wait_loadcnt 0x0
	v_cmp_ne_u64_e32 vcc_lo, v[32:33], v[36:37]
	v_cmp_eq_u64_e64 s2, v[32:33], v[36:37]
	s_or_b32 s3, vcc_lo, s3
	s_delay_alu instid0(SALU_CYCLE_1) | instskip(NEXT) | instid1(SALU_CYCLE_1)
	s_and_b32 s3, exec_lo, s3
	s_or_b32 s6, s3, s6
	s_and_not1_b32 s7, s7, exec_lo
	s_and_b32 s22, s2, exec_lo
	s_mov_b64 s[2:3], s[20:21]
	s_or_b32 s7, s7, s22
	s_and_not1_b32 exec_lo, exec_lo, s6
	s_cbranch_execnz .LBB1695_48
; %bb.49:
	s_or_b32 exec_lo, exec_lo, s6
	s_xor_b32 s2, s7, -1
.LBB1695_50:
	s_delay_alu instid0(VALU_DEP_1)
	v_lshl_or_b32 v25, v26, 16, v27
	s_branch .LBB1695_84
.LBB1695_51:
	s_wait_dscnt 0x0
	v_add_nc_u32_e32 v22, 4, v30
	s_mov_b32 s7, 0
	s_mov_b32 s6, 0
	s_mov_b32 s20, exec_lo
	s_delay_alu instid0(VALU_DEP_1)
	v_cmpx_gt_u32_e64 s27, v22
	s_cbranch_execz .LBB1695_57
; %bb.52:
	s_and_not1_b32 vcc_lo, exec_lo, s17
	s_mov_b32 s2, 0
	s_cbranch_vccnz .LBB1695_56
; %bb.53:
	v_mul_u64_e32 v[22:23], s[18:19], v[12:13]
	v_mul_u64_e32 v[24:25], s[18:19], v[20:21]
	s_add_nc_u64 s[2:3], s[18:19], -1
                                        ; implicit-def: $sgpr17
	s_wait_kmcnt 0x0
	s_delay_alu instid0(VALU_DEP_2) | instskip(NEXT) | instid1(VALU_DEP_2)
	v_lshl_add_u64 v[22:23], v[22:23], 3, s[8:9]
	v_lshl_add_u64 v[24:25], v[24:25], 3, s[8:9]
.LBB1695_54:                            ; =>This Inner Loop Header: Depth=1
	global_load_b64 v[26:27], v[22:23], off
	global_load_b64 v[32:33], v[24:25], off
	s_cmp_eq_u64 s[2:3], 0
	s_add_nc_u64 s[22:23], s[2:3], -1
	s_cselect_b32 s3, -1, 0
	s_wait_xcnt 0x1
	v_add_nc_u64_e32 v[22:23], 8, v[22:23]
	s_wait_xcnt 0x0
	v_add_nc_u64_e32 v[24:25], 8, v[24:25]
	s_wait_loadcnt 0x0
	v_cmp_ne_u64_e32 vcc_lo, v[26:27], v[32:33]
	v_cmp_eq_u64_e64 s2, v[26:27], v[32:33]
	s_or_b32 s3, vcc_lo, s3
	s_delay_alu instid0(SALU_CYCLE_1) | instskip(NEXT) | instid1(SALU_CYCLE_1)
	s_and_b32 s3, exec_lo, s3
	s_or_b32 s6, s3, s6
	s_and_not1_b32 s17, s17, exec_lo
	s_and_b32 s21, s2, exec_lo
	s_mov_b64 s[2:3], s[22:23]
	s_or_b32 s17, s17, s21
	s_and_not1_b32 exec_lo, exec_lo, s6
	s_cbranch_execnz .LBB1695_54
; %bb.55:
	s_or_b32 exec_lo, exec_lo, s6
	s_xor_b32 s2, s17, -1
.LBB1695_56:
	s_delay_alu instid0(SALU_CYCLE_1)
	s_and_b32 s6, s2, exec_lo
.LBB1695_57:
	s_or_b32 exec_lo, exec_lo, s20
	v_add_nc_u32_e32 v22, 3, v30
	s_mov_b32 s17, exec_lo
	s_delay_alu instid0(VALU_DEP_1)
	v_cmpx_gt_u32_e64 s27, v22
	s_cbranch_execz .LBB1695_63
; %bb.58:
	v_cmp_ne_u32_e32 vcc_lo, 1, v29
	s_mov_b32 s2, 0
	s_cbranch_vccnz .LBB1695_62
; %bb.59:
	v_mul_u64_e32 v[22:23], s[18:19], v[10:11]
	v_mul_u64_e32 v[24:25], s[18:19], v[12:13]
	s_add_nc_u64 s[2:3], s[18:19], -1
	s_mov_b32 s7, 0
                                        ; implicit-def: $sgpr20
	s_wait_kmcnt 0x0
	s_delay_alu instid0(VALU_DEP_2) | instskip(NEXT) | instid1(VALU_DEP_2)
	v_lshl_add_u64 v[22:23], v[22:23], 3, s[8:9]
	v_lshl_add_u64 v[24:25], v[24:25], 3, s[8:9]
.LBB1695_60:                            ; =>This Inner Loop Header: Depth=1
	global_load_b64 v[26:27], v[22:23], off
	global_load_b64 v[32:33], v[24:25], off
	s_cmp_eq_u64 s[2:3], 0
	s_add_nc_u64 s[22:23], s[2:3], -1
	s_cselect_b32 s3, -1, 0
	s_wait_xcnt 0x1
	v_add_nc_u64_e32 v[22:23], 8, v[22:23]
	s_wait_xcnt 0x0
	v_add_nc_u64_e32 v[24:25], 8, v[24:25]
	s_wait_loadcnt 0x0
	v_cmp_ne_u64_e32 vcc_lo, v[26:27], v[32:33]
	v_cmp_eq_u64_e64 s2, v[26:27], v[32:33]
	s_or_b32 s3, vcc_lo, s3
	s_delay_alu instid0(SALU_CYCLE_1) | instskip(NEXT) | instid1(SALU_CYCLE_1)
	s_and_b32 s3, exec_lo, s3
	s_or_b32 s7, s3, s7
	s_and_not1_b32 s20, s20, exec_lo
	s_and_b32 s21, s2, exec_lo
	s_mov_b64 s[2:3], s[22:23]
	s_or_b32 s20, s20, s21
	s_and_not1_b32 exec_lo, exec_lo, s7
	s_cbranch_execnz .LBB1695_60
; %bb.61:
	s_or_b32 exec_lo, exec_lo, s7
	s_xor_b32 s2, s20, -1
.LBB1695_62:
	s_delay_alu instid0(SALU_CYCLE_1)
	s_and_b32 s7, s2, exec_lo
.LBB1695_63:
	s_or_b32 exec_lo, exec_lo, s17
	v_add_nc_u32_e32 v22, 2, v30
	s_mov_b32 s17, 0
	s_mov_b32 s20, 0
	s_mov_b32 s21, exec_lo
	s_delay_alu instid0(VALU_DEP_1)
	v_cmpx_gt_u32_e64 s27, v22
	s_cbranch_execz .LBB1695_69
; %bb.64:
	v_cmp_ne_u32_e32 vcc_lo, 1, v29
	s_mov_b32 s2, 0
	s_cbranch_vccnz .LBB1695_68
; %bb.65:
	v_mul_u64_e32 v[22:23], s[18:19], v[16:17]
	v_mul_u64_e32 v[24:25], s[18:19], v[10:11]
	s_add_nc_u64 s[2:3], s[18:19], -1
                                        ; implicit-def: $sgpr22
	s_wait_kmcnt 0x0
	s_delay_alu instid0(VALU_DEP_2) | instskip(NEXT) | instid1(VALU_DEP_2)
	v_lshl_add_u64 v[22:23], v[22:23], 3, s[8:9]
	v_lshl_add_u64 v[24:25], v[24:25], 3, s[8:9]
.LBB1695_66:                            ; =>This Inner Loop Header: Depth=1
	global_load_b64 v[26:27], v[22:23], off
	global_load_b64 v[32:33], v[24:25], off
	s_cmp_eq_u64 s[2:3], 0
	s_add_nc_u64 s[30:31], s[2:3], -1
	s_cselect_b32 s3, -1, 0
	s_wait_xcnt 0x1
	v_add_nc_u64_e32 v[22:23], 8, v[22:23]
	s_wait_xcnt 0x0
	v_add_nc_u64_e32 v[24:25], 8, v[24:25]
	s_wait_loadcnt 0x0
	v_cmp_ne_u64_e32 vcc_lo, v[26:27], v[32:33]
	v_cmp_eq_u64_e64 s2, v[26:27], v[32:33]
	s_or_b32 s3, vcc_lo, s3
	s_delay_alu instid0(SALU_CYCLE_1) | instskip(NEXT) | instid1(SALU_CYCLE_1)
	s_and_b32 s3, exec_lo, s3
	s_or_b32 s20, s3, s20
	s_and_not1_b32 s22, s22, exec_lo
	s_and_b32 s23, s2, exec_lo
	s_mov_b64 s[2:3], s[30:31]
	s_or_b32 s22, s22, s23
	s_and_not1_b32 exec_lo, exec_lo, s20
	s_cbranch_execnz .LBB1695_66
; %bb.67:
	s_or_b32 exec_lo, exec_lo, s20
	s_xor_b32 s2, s22, -1
.LBB1695_68:
	s_delay_alu instid0(SALU_CYCLE_1)
	s_and_b32 s20, s2, exec_lo
.LBB1695_69:
	s_or_b32 exec_lo, exec_lo, s21
	v_add_nc_u32_e32 v22, 1, v30
	s_mov_b32 s21, exec_lo
	s_delay_alu instid0(VALU_DEP_1)
	v_cmpx_gt_u32_e64 s27, v22
	s_cbranch_execz .LBB1695_75
; %bb.70:
	v_cmp_ne_u32_e32 vcc_lo, 1, v29
	s_mov_b32 s2, 0
	s_cbranch_vccnz .LBB1695_74
; %bb.71:
	v_mul_u64_e32 v[22:23], s[18:19], v[14:15]
	v_mul_u64_e32 v[24:25], s[18:19], v[16:17]
	s_add_nc_u64 s[2:3], s[18:19], -1
	s_mov_b32 s17, 0
                                        ; implicit-def: $sgpr22
	s_wait_kmcnt 0x0
	s_delay_alu instid0(VALU_DEP_2) | instskip(NEXT) | instid1(VALU_DEP_2)
	v_lshl_add_u64 v[22:23], v[22:23], 3, s[8:9]
	v_lshl_add_u64 v[24:25], v[24:25], 3, s[8:9]
.LBB1695_72:                            ; =>This Inner Loop Header: Depth=1
	global_load_b64 v[26:27], v[22:23], off
	global_load_b64 v[32:33], v[24:25], off
	s_cmp_eq_u64 s[2:3], 0
	s_add_nc_u64 s[30:31], s[2:3], -1
	s_cselect_b32 s3, -1, 0
	s_wait_xcnt 0x1
	v_add_nc_u64_e32 v[22:23], 8, v[22:23]
	s_wait_xcnt 0x0
	v_add_nc_u64_e32 v[24:25], 8, v[24:25]
	s_wait_loadcnt 0x0
	v_cmp_ne_u64_e32 vcc_lo, v[26:27], v[32:33]
	v_cmp_eq_u64_e64 s2, v[26:27], v[32:33]
	s_or_b32 s3, vcc_lo, s3
	s_delay_alu instid0(SALU_CYCLE_1) | instskip(NEXT) | instid1(SALU_CYCLE_1)
	s_and_b32 s3, exec_lo, s3
	s_or_b32 s17, s3, s17
	s_and_not1_b32 s22, s22, exec_lo
	s_and_b32 s23, s2, exec_lo
	s_mov_b64 s[2:3], s[30:31]
	s_or_b32 s22, s22, s23
	s_and_not1_b32 exec_lo, exec_lo, s17
	s_cbranch_execnz .LBB1695_72
; %bb.73:
	s_or_b32 exec_lo, exec_lo, s17
	s_xor_b32 s2, s22, -1
.LBB1695_74:
	s_delay_alu instid0(SALU_CYCLE_1)
	s_and_b32 s17, s2, exec_lo
.LBB1695_75:
	s_or_b32 exec_lo, exec_lo, s21
	s_wait_kmcnt 0x0
	v_mov_b64_e32 v[22:23], s[4:5]
	s_mov_b32 s2, 0
	s_mov_b32 s3, exec_lo
	s_barrier_signal -1
	s_barrier_wait -1
	v_cmpx_ne_u32_e32 0, v0
; %bb.76:
	v_add_nc_u32_e32 v22, -8, v31
	ds_load_b64 v[22:23], v22
; %bb.77:
	s_or_b32 exec_lo, exec_lo, s3
	v_cndmask_b32_e64 v24, 0, 1, s7
	v_cndmask_b32_e64 v25, 0, 1, s20
	;; [unrolled: 1-line block ×3, first 2 shown]
	s_mov_b32 s4, exec_lo
	s_delay_alu instid0(VALU_DEP_3) | instskip(NEXT) | instid1(VALU_DEP_2)
	v_lshlrev_b16 v24, 8, v24
	v_lshlrev_b16 v26, 8, v26
	s_delay_alu instid0(VALU_DEP_2) | instskip(NEXT) | instid1(VALU_DEP_2)
	v_or_b32_e32 v24, v25, v24
	v_and_b32_e32 v26, 0xffff, v26
	s_delay_alu instid0(VALU_DEP_2)
	v_lshlrev_b32_e32 v27, 16, v24
	v_cmpx_gt_u32_e64 s27, v30
	s_cbranch_execz .LBB1695_83
; %bb.78:
	v_cmp_ne_u32_e32 vcc_lo, 1, v29
	s_cbranch_vccnz .LBB1695_82
; %bb.79:
	s_wait_dscnt 0x0
	v_mul_u64_e32 v[22:23], s[18:19], v[22:23]
	v_mul_u64_e32 v[24:25], s[18:19], v[14:15]
	s_add_nc_u64 s[2:3], s[18:19], -1
	s_mov_b32 s5, 0
                                        ; implicit-def: $sgpr7
	s_delay_alu instid0(VALU_DEP_2) | instskip(NEXT) | instid1(VALU_DEP_2)
	v_lshl_add_u64 v[22:23], v[22:23], 3, s[8:9]
	v_lshl_add_u64 v[24:25], v[24:25], 3, s[8:9]
.LBB1695_80:                            ; =>This Inner Loop Header: Depth=1
	global_load_b64 v[32:33], v[22:23], off
	global_load_b64 v[36:37], v[24:25], off
	s_cmp_eq_u64 s[2:3], 0
	s_add_nc_u64 s[20:21], s[2:3], -1
	s_cselect_b32 s3, -1, 0
	s_wait_xcnt 0x1
	v_add_nc_u64_e32 v[22:23], 8, v[22:23]
	s_wait_xcnt 0x0
	v_add_nc_u64_e32 v[24:25], 8, v[24:25]
	s_wait_loadcnt 0x0
	v_cmp_ne_u64_e32 vcc_lo, v[32:33], v[36:37]
	v_cmp_eq_u64_e64 s2, v[32:33], v[36:37]
	s_or_b32 s3, vcc_lo, s3
	s_delay_alu instid0(SALU_CYCLE_1) | instskip(NEXT) | instid1(SALU_CYCLE_1)
	s_and_b32 s3, exec_lo, s3
	s_or_b32 s5, s3, s5
	s_and_not1_b32 s7, s7, exec_lo
	s_and_b32 s17, s2, exec_lo
	s_mov_b64 s[2:3], s[20:21]
	s_or_b32 s7, s7, s17
	s_and_not1_b32 exec_lo, exec_lo, s5
	s_cbranch_execnz .LBB1695_80
; %bb.81:
	s_or_b32 exec_lo, exec_lo, s5
	s_xor_b32 s2, s7, -1
.LBB1695_82:
	s_delay_alu instid0(SALU_CYCLE_1)
	s_and_b32 s2, s2, exec_lo
.LBB1695_83:
	s_or_b32 exec_lo, exec_lo, s4
	v_cndmask_b32_e64 v35, 0, 1, s6
	v_or_b32_e32 v25, v26, v27
.LBB1695_84:
	s_mov_b32 s6, -1
	s_cbranch_execnz .LBB1695_41
.LBB1695_85:
	s_wait_dscnt 0x0
	v_lshlrev_b32_e32 v22, 5, v0
	v_cmp_gt_i64_e64 s7, s[18:19], 0
	s_and_b32 vcc_lo, exec_lo, s25
	v_sub_nc_u32_e32 v31, v28, v22
	ds_store_b64 v31, v[20:21]
	s_cbranch_vccz .LBB1695_96
; %bb.86:
	s_and_not1_b32 vcc_lo, exec_lo, s7
	s_cbranch_vccnz .LBB1695_97
; %bb.87:
	v_mul_u64_e32 v[22:23], s[18:19], v[12:13]
	v_mul_u64_e32 v[24:25], s[18:19], v[20:21]
	s_wait_kmcnt 0x0
	s_add_nc_u64 s[4:5], s[18:19], -1
	s_mov_b32 s20, 0
	s_mov_b64 s[2:3], s[4:5]
                                        ; implicit-def: $sgpr17
	s_delay_alu instid0(VALU_DEP_2) | instskip(NEXT) | instid1(VALU_DEP_2)
	v_lshl_add_u64 v[22:23], v[22:23], 3, s[8:9]
	v_lshl_add_u64 v[24:25], v[24:25], 3, s[8:9]
	s_delay_alu instid0(VALU_DEP_2)
	v_mov_b64_e32 v[26:27], v[22:23]
.LBB1695_88:                            ; =>This Inner Loop Header: Depth=1
	global_load_b64 v[28:29], v[26:27], off
	global_load_b64 v[32:33], v[24:25], off
	s_cmp_eq_u64 s[2:3], 0
	s_add_nc_u64 s[22:23], s[2:3], -1
	s_cselect_b32 s3, -1, 0
	s_wait_xcnt 0x1
	v_add_nc_u64_e32 v[26:27], 8, v[26:27]
	s_wait_xcnt 0x0
	v_add_nc_u64_e32 v[24:25], 8, v[24:25]
	s_wait_loadcnt 0x0
	v_cmp_ne_u64_e32 vcc_lo, v[28:29], v[32:33]
	v_cmp_eq_u64_e64 s2, v[28:29], v[32:33]
	s_or_b32 s3, vcc_lo, s3
	s_delay_alu instid0(SALU_CYCLE_1) | instskip(NEXT) | instid1(SALU_CYCLE_1)
	s_and_b32 s3, exec_lo, s3
	s_or_b32 s20, s3, s20
	s_and_not1_b32 s17, s17, exec_lo
	s_and_b32 s21, s2, exec_lo
	s_mov_b64 s[2:3], s[22:23]
	s_or_b32 s17, s17, s21
	s_and_not1_b32 exec_lo, exec_lo, s20
	s_cbranch_execnz .LBB1695_88
; %bb.89:
	s_or_b32 exec_lo, exec_lo, s20
	v_mul_u64_e32 v[24:25], s[18:19], v[10:11]
	s_mov_b32 s21, 0
	s_mov_b64 s[2:3], s[4:5]
                                        ; implicit-def: $sgpr20
	s_delay_alu instid0(VALU_DEP_1) | instskip(NEXT) | instid1(VALU_DEP_1)
	v_lshl_add_u64 v[24:25], v[24:25], 3, s[8:9]
	v_mov_b64_e32 v[26:27], v[24:25]
.LBB1695_90:                            ; =>This Inner Loop Header: Depth=1
	global_load_b64 v[28:29], v[26:27], off
	global_load_b64 v[32:33], v[22:23], off
	s_cmp_eq_u64 s[2:3], 0
	s_add_nc_u64 s[22:23], s[2:3], -1
	s_cselect_b32 s3, -1, 0
	s_wait_xcnt 0x1
	v_add_nc_u64_e32 v[26:27], 8, v[26:27]
	s_wait_xcnt 0x0
	v_add_nc_u64_e32 v[22:23], 8, v[22:23]
	s_wait_loadcnt 0x0
	v_cmp_ne_u64_e32 vcc_lo, v[28:29], v[32:33]
	v_cmp_eq_u64_e64 s2, v[28:29], v[32:33]
	s_or_b32 s3, vcc_lo, s3
	s_delay_alu instid0(SALU_CYCLE_1) | instskip(NEXT) | instid1(SALU_CYCLE_1)
	s_and_b32 s3, exec_lo, s3
	s_or_b32 s21, s3, s21
	s_and_not1_b32 s20, s20, exec_lo
	s_and_b32 s29, s2, exec_lo
	s_mov_b64 s[2:3], s[22:23]
	s_or_b32 s20, s20, s29
	s_and_not1_b32 exec_lo, exec_lo, s21
	s_cbranch_execnz .LBB1695_90
; %bb.91:
	s_or_b32 exec_lo, exec_lo, s21
	v_mul_u64_e32 v[22:23], s[18:19], v[16:17]
	s_mov_b32 s22, 0
	s_mov_b64 s[2:3], s[4:5]
                                        ; implicit-def: $sgpr21
	s_delay_alu instid0(VALU_DEP_1) | instskip(NEXT) | instid1(VALU_DEP_1)
	v_lshl_add_u64 v[22:23], v[22:23], 3, s[8:9]
	v_mov_b64_e32 v[26:27], v[22:23]
.LBB1695_92:                            ; =>This Inner Loop Header: Depth=1
	global_load_b64 v[28:29], v[26:27], off
	global_load_b64 v[32:33], v[24:25], off
	s_cmp_eq_u64 s[2:3], 0
	s_add_nc_u64 s[30:31], s[2:3], -1
	s_cselect_b32 s3, -1, 0
	s_wait_xcnt 0x1
	v_add_nc_u64_e32 v[26:27], 8, v[26:27]
	s_wait_xcnt 0x0
	v_add_nc_u64_e32 v[24:25], 8, v[24:25]
	s_wait_loadcnt 0x0
	v_cmp_ne_u64_e32 vcc_lo, v[28:29], v[32:33]
	v_cmp_eq_u64_e64 s2, v[28:29], v[32:33]
	s_or_b32 s3, vcc_lo, s3
	s_delay_alu instid0(SALU_CYCLE_1) | instskip(NEXT) | instid1(SALU_CYCLE_1)
	s_and_b32 s3, exec_lo, s3
	s_or_b32 s22, s3, s22
	s_and_not1_b32 s21, s21, exec_lo
	s_and_b32 s23, s2, exec_lo
	s_mov_b64 s[2:3], s[30:31]
	s_or_b32 s21, s21, s23
	s_and_not1_b32 exec_lo, exec_lo, s22
	s_cbranch_execnz .LBB1695_92
; %bb.93:
	s_or_b32 exec_lo, exec_lo, s22
	v_mul_u64_e32 v[24:25], s[18:19], v[14:15]
	s_mov_b32 s22, 0
                                        ; implicit-def: $sgpr3
	s_delay_alu instid0(VALU_DEP_1)
	v_lshl_add_u64 v[24:25], v[24:25], 3, s[8:9]
.LBB1695_94:                            ; =>This Inner Loop Header: Depth=1
	global_load_b64 v[26:27], v[24:25], off
	global_load_b64 v[28:29], v[22:23], off
	s_cmp_eq_u64 s[4:5], 0
	s_add_nc_u64 s[30:31], s[4:5], -1
	s_cselect_b32 s4, -1, 0
	s_wait_xcnt 0x1
	v_add_nc_u64_e32 v[24:25], 8, v[24:25]
	s_wait_xcnt 0x0
	v_add_nc_u64_e32 v[22:23], 8, v[22:23]
	s_wait_loadcnt 0x0
	v_cmp_ne_u64_e32 vcc_lo, v[26:27], v[28:29]
	v_cmp_eq_u64_e64 s2, v[26:27], v[28:29]
	s_or_b32 s4, vcc_lo, s4
	s_delay_alu instid0(SALU_CYCLE_1) | instskip(NEXT) | instid1(SALU_CYCLE_1)
	s_and_b32 s4, exec_lo, s4
	s_or_b32 s22, s4, s22
	s_and_not1_b32 s3, s3, exec_lo
	s_and_b32 s2, s2, exec_lo
	s_mov_b64 s[4:5], s[30:31]
	s_or_b32 s3, s3, s2
	s_and_not1_b32 exec_lo, exec_lo, s22
	s_cbranch_execnz .LBB1695_94
; %bb.95:
	s_or_b32 exec_lo, exec_lo, s22
	s_xor_b32 s2, s20, -1
	s_delay_alu instid0(SALU_CYCLE_1) | instskip(SKIP_1) | instid1(SALU_CYCLE_1)
	v_cndmask_b32_e64 v22, 0, 1, s2
	s_xor_b32 s2, s21, -1
	v_cndmask_b32_e64 v23, 0, 1, s2
	s_xor_b32 s2, s17, -1
	s_delay_alu instid0(VALU_DEP_2) | instskip(SKIP_2) | instid1(VALU_DEP_2)
	v_lshlrev_b16 v22, 8, v22
	v_cndmask_b32_e64 v35, 0, 1, s2
	s_xor_b32 s2, s3, -1
	v_lshrrev_b32_e32 v22, 8, v22
	s_delay_alu instid0(VALU_DEP_1) | instskip(NEXT) | instid1(VALU_DEP_1)
	v_lshlrev_b16 v22, 8, v22
	v_or_b32_e32 v22, v23, v22
	s_delay_alu instid0(VALU_DEP_1)
	v_lshlrev_b32_e32 v22, 16, v22
	s_branch .LBB1695_98
.LBB1695_96:
	s_wait_kmcnt 0x0
                                        ; implicit-def: $sgpr2
                                        ; implicit-def: $vgpr35
                                        ; implicit-def: $vgpr25
                                        ; implicit-def: $vgpr24
                                        ; implicit-def: $vgpr23
                                        ; implicit-def: $vgpr36
                                        ; implicit-def: $vgpr22
	s_cbranch_execnz .LBB1695_105
	s_branch .LBB1695_138
.LBB1695_97:
	v_dual_mov_b32 v22, 0 :: v_dual_mov_b32 v35, 0
	s_mov_b32 s2, 0
.LBB1695_98:
	s_delay_alu instid0(VALU_DEP_1)
	v_dual_lshrrev_b32 v36, 16, v22 :: v_dual_lshrrev_b32 v22, 24, v22
	v_cndmask_b32_e64 v23, 0, 1, s2
	v_mov_b32_e32 v24, 1
	s_wait_kmcnt 0x0
	s_mov_b32 s4, 0
	s_wait_dscnt 0x0
	s_barrier_signal -1
	s_barrier_wait -1
                                        ; implicit-def: $sgpr2
                                        ; implicit-def: $vgpr25
	s_mov_b32 s3, exec_lo
	v_cmpx_ne_u32_e32 0, v0
	s_xor_b32 s5, exec_lo, s3
	s_cbranch_execz .LBB1695_104
; %bb.99:
	v_lshlrev_b16 v25, 8, v22
	v_lshlrev_b16 v26, 8, v23
	s_and_not1_b32 vcc_lo, exec_lo, s7
	s_mov_b32 s2, 0
	s_delay_alu instid0(VALU_DEP_2) | instskip(NEXT) | instid1(VALU_DEP_1)
	v_bitop3_b16 v25, v36, v25, 0xff bitop3:0xec
	v_dual_lshlrev_b32 v25, 16, v25 :: v_dual_bitop2_b32 v26, 1, v26 bitop3:0x54
	s_delay_alu instid0(VALU_DEP_1) | instskip(NEXT) | instid1(VALU_DEP_1)
	v_and_b32_e32 v26, 0xffff, v26
	v_or_b32_e32 v25, v26, v25
	s_cbranch_vccnz .LBB1695_103
; %bb.100:
	v_add_nc_u32_e32 v26, -8, v31
	v_mul_u64_e32 v[28:29], s[18:19], v[14:15]
	s_add_nc_u64 s[2:3], s[18:19], -1
	s_mov_b32 s17, 0
                                        ; implicit-def: $sgpr20
	ds_load_b64 v[26:27], v26
	s_wait_dscnt 0x0
	v_mul_u64_e32 v[26:27], s[18:19], v[26:27]
	v_lshl_add_u64 v[28:29], v[28:29], 3, s[8:9]
	s_delay_alu instid0(VALU_DEP_2)
	v_lshl_add_u64 v[26:27], v[26:27], 3, s[8:9]
.LBB1695_101:                           ; =>This Inner Loop Header: Depth=1
	global_load_b64 v[32:33], v[26:27], off
	global_load_b64 v[38:39], v[28:29], off
	s_cmp_eq_u64 s[2:3], 0
	s_add_nc_u64 s[22:23], s[2:3], -1
	s_cselect_b32 s3, -1, 0
	s_wait_xcnt 0x1
	v_add_nc_u64_e32 v[26:27], 8, v[26:27]
	s_wait_xcnt 0x0
	v_add_nc_u64_e32 v[28:29], 8, v[28:29]
	s_wait_loadcnt 0x0
	v_cmp_ne_u64_e32 vcc_lo, v[32:33], v[38:39]
	v_cmp_eq_u64_e64 s2, v[32:33], v[38:39]
	s_or_b32 s3, vcc_lo, s3
	s_delay_alu instid0(SALU_CYCLE_1) | instskip(NEXT) | instid1(SALU_CYCLE_1)
	s_and_b32 s3, exec_lo, s3
	s_or_b32 s17, s3, s17
	s_and_not1_b32 s20, s20, exec_lo
	s_and_b32 s21, s2, exec_lo
	s_mov_b64 s[2:3], s[22:23]
	s_or_b32 s20, s20, s21
	s_and_not1_b32 exec_lo, exec_lo, s17
	s_cbranch_execnz .LBB1695_101
; %bb.102:
	s_or_b32 exec_lo, exec_lo, s17
	s_xor_b32 s2, s20, -1
.LBB1695_103:
	s_delay_alu instid0(VALU_DEP_1)
	v_perm_b32 v25, v25, v25, 0x3020104
	s_or_b32 s6, s6, exec_lo
.LBB1695_104:
	s_or_b32 exec_lo, exec_lo, s5
	s_delay_alu instid0(SALU_CYCLE_1)
	s_and_b32 vcc_lo, exec_lo, s4
	s_cbranch_vccz .LBB1695_138
.LBB1695_105:
	v_add_nc_u32_e32 v22, 4, v30
	s_mov_b32 s4, 0
	s_mov_b32 s5, 0
	s_mov_b32 s17, exec_lo
	s_delay_alu instid0(VALU_DEP_1)
	v_cmpx_gt_u32_e64 s27, v22
	s_cbranch_execz .LBB1695_111
; %bb.106:
	s_and_not1_b32 vcc_lo, exec_lo, s7
	s_mov_b32 s2, 0
	s_cbranch_vccnz .LBB1695_110
; %bb.107:
	v_mul_u64_e32 v[22:23], s[18:19], v[12:13]
	v_mul_u64_e32 v[24:25], s[18:19], v[20:21]
	s_add_nc_u64 s[2:3], s[18:19], -1
                                        ; implicit-def: $sgpr20
	s_delay_alu instid0(VALU_DEP_2) | instskip(NEXT) | instid1(VALU_DEP_2)
	v_lshl_add_u64 v[22:23], v[22:23], 3, s[8:9]
	v_lshl_add_u64 v[24:25], v[24:25], 3, s[8:9]
.LBB1695_108:                           ; =>This Inner Loop Header: Depth=1
	global_load_b64 v[26:27], v[22:23], off
	global_load_b64 v[28:29], v[24:25], off
	s_cmp_eq_u64 s[2:3], 0
	s_add_nc_u64 s[22:23], s[2:3], -1
	s_cselect_b32 s3, -1, 0
	s_wait_xcnt 0x1
	v_add_nc_u64_e32 v[22:23], 8, v[22:23]
	s_wait_xcnt 0x0
	v_add_nc_u64_e32 v[24:25], 8, v[24:25]
	s_wait_loadcnt 0x0
	v_cmp_ne_u64_e32 vcc_lo, v[26:27], v[28:29]
	v_cmp_eq_u64_e64 s2, v[26:27], v[28:29]
	s_or_b32 s3, vcc_lo, s3
	s_delay_alu instid0(SALU_CYCLE_1) | instskip(NEXT) | instid1(SALU_CYCLE_1)
	s_and_b32 s3, exec_lo, s3
	s_or_b32 s5, s3, s5
	s_and_not1_b32 s20, s20, exec_lo
	s_and_b32 s21, s2, exec_lo
	s_mov_b64 s[2:3], s[22:23]
	s_or_b32 s20, s20, s21
	s_and_not1_b32 exec_lo, exec_lo, s5
	s_cbranch_execnz .LBB1695_108
; %bb.109:
	s_or_b32 exec_lo, exec_lo, s5
	s_xor_b32 s2, s20, -1
.LBB1695_110:
	s_delay_alu instid0(SALU_CYCLE_1)
	s_and_b32 s5, s2, exec_lo
.LBB1695_111:
	s_or_b32 exec_lo, exec_lo, s17
	v_add_nc_u32_e32 v22, 3, v30
	s_mov_b32 s17, exec_lo
	s_delay_alu instid0(VALU_DEP_1)
	v_cmpx_gt_u32_e64 s27, v22
	s_cbranch_execz .LBB1695_117
; %bb.112:
	s_and_not1_b32 vcc_lo, exec_lo, s7
	s_mov_b32 s2, 0
	s_cbranch_vccnz .LBB1695_116
; %bb.113:
	v_mul_u64_e32 v[22:23], s[18:19], v[10:11]
	v_mul_u64_e32 v[24:25], s[18:19], v[12:13]
	s_add_nc_u64 s[2:3], s[18:19], -1
	s_mov_b32 s4, 0
                                        ; implicit-def: $sgpr20
	s_delay_alu instid0(VALU_DEP_2) | instskip(NEXT) | instid1(VALU_DEP_2)
	v_lshl_add_u64 v[22:23], v[22:23], 3, s[8:9]
	v_lshl_add_u64 v[24:25], v[24:25], 3, s[8:9]
.LBB1695_114:                           ; =>This Inner Loop Header: Depth=1
	global_load_b64 v[26:27], v[22:23], off
	global_load_b64 v[28:29], v[24:25], off
	s_cmp_eq_u64 s[2:3], 0
	s_add_nc_u64 s[22:23], s[2:3], -1
	s_cselect_b32 s3, -1, 0
	s_wait_xcnt 0x1
	v_add_nc_u64_e32 v[22:23], 8, v[22:23]
	s_wait_xcnt 0x0
	v_add_nc_u64_e32 v[24:25], 8, v[24:25]
	s_wait_loadcnt 0x0
	v_cmp_ne_u64_e32 vcc_lo, v[26:27], v[28:29]
	v_cmp_eq_u64_e64 s2, v[26:27], v[28:29]
	s_or_b32 s3, vcc_lo, s3
	s_delay_alu instid0(SALU_CYCLE_1) | instskip(NEXT) | instid1(SALU_CYCLE_1)
	s_and_b32 s3, exec_lo, s3
	s_or_b32 s4, s3, s4
	s_and_not1_b32 s20, s20, exec_lo
	s_and_b32 s21, s2, exec_lo
	s_mov_b64 s[2:3], s[22:23]
	s_or_b32 s20, s20, s21
	s_and_not1_b32 exec_lo, exec_lo, s4
	s_cbranch_execnz .LBB1695_114
; %bb.115:
	s_or_b32 exec_lo, exec_lo, s4
	s_xor_b32 s2, s20, -1
.LBB1695_116:
	s_delay_alu instid0(SALU_CYCLE_1)
	s_and_b32 s4, s2, exec_lo
.LBB1695_117:
	s_or_b32 exec_lo, exec_lo, s17
	v_add_nc_u32_e32 v22, 2, v30
	s_mov_b32 s17, 0
	s_mov_b32 s20, 0
	s_mov_b32 s21, exec_lo
	s_delay_alu instid0(VALU_DEP_1)
	v_cmpx_gt_u32_e64 s27, v22
	s_cbranch_execz .LBB1695_123
; %bb.118:
	s_and_not1_b32 vcc_lo, exec_lo, s7
	s_mov_b32 s2, 0
	s_cbranch_vccnz .LBB1695_122
; %bb.119:
	v_mul_u64_e32 v[22:23], s[18:19], v[16:17]
	v_mul_u64_e32 v[24:25], s[18:19], v[10:11]
	s_add_nc_u64 s[2:3], s[18:19], -1
                                        ; implicit-def: $sgpr22
	s_delay_alu instid0(VALU_DEP_2) | instskip(NEXT) | instid1(VALU_DEP_2)
	v_lshl_add_u64 v[22:23], v[22:23], 3, s[8:9]
	v_lshl_add_u64 v[24:25], v[24:25], 3, s[8:9]
.LBB1695_120:                           ; =>This Inner Loop Header: Depth=1
	global_load_b64 v[26:27], v[22:23], off
	global_load_b64 v[28:29], v[24:25], off
	s_cmp_eq_u64 s[2:3], 0
	s_add_nc_u64 s[30:31], s[2:3], -1
	s_cselect_b32 s3, -1, 0
	s_wait_xcnt 0x1
	v_add_nc_u64_e32 v[22:23], 8, v[22:23]
	s_wait_xcnt 0x0
	v_add_nc_u64_e32 v[24:25], 8, v[24:25]
	s_wait_loadcnt 0x0
	v_cmp_ne_u64_e32 vcc_lo, v[26:27], v[28:29]
	v_cmp_eq_u64_e64 s2, v[26:27], v[28:29]
	s_or_b32 s3, vcc_lo, s3
	s_delay_alu instid0(SALU_CYCLE_1) | instskip(NEXT) | instid1(SALU_CYCLE_1)
	s_and_b32 s3, exec_lo, s3
	s_or_b32 s20, s3, s20
	s_and_not1_b32 s22, s22, exec_lo
	s_and_b32 s23, s2, exec_lo
	s_mov_b64 s[2:3], s[30:31]
	s_or_b32 s22, s22, s23
	s_and_not1_b32 exec_lo, exec_lo, s20
	s_cbranch_execnz .LBB1695_120
; %bb.121:
	s_or_b32 exec_lo, exec_lo, s20
	s_xor_b32 s2, s22, -1
.LBB1695_122:
	s_delay_alu instid0(SALU_CYCLE_1)
	s_and_b32 s20, s2, exec_lo
.LBB1695_123:
	s_or_b32 exec_lo, exec_lo, s21
	v_add_nc_u32_e32 v22, 1, v30
	s_mov_b32 s21, exec_lo
	s_delay_alu instid0(VALU_DEP_1)
	v_cmpx_gt_u32_e64 s27, v22
	s_cbranch_execz .LBB1695_129
; %bb.124:
	s_and_not1_b32 vcc_lo, exec_lo, s7
	s_mov_b32 s2, 0
	s_cbranch_vccnz .LBB1695_128
; %bb.125:
	v_mul_u64_e32 v[22:23], s[18:19], v[14:15]
	v_mul_u64_e32 v[24:25], s[18:19], v[16:17]
	s_add_nc_u64 s[2:3], s[18:19], -1
	s_mov_b32 s17, 0
                                        ; implicit-def: $sgpr22
	s_delay_alu instid0(VALU_DEP_2) | instskip(NEXT) | instid1(VALU_DEP_2)
	v_lshl_add_u64 v[22:23], v[22:23], 3, s[8:9]
	v_lshl_add_u64 v[24:25], v[24:25], 3, s[8:9]
.LBB1695_126:                           ; =>This Inner Loop Header: Depth=1
	global_load_b64 v[26:27], v[22:23], off
	global_load_b64 v[28:29], v[24:25], off
	s_cmp_eq_u64 s[2:3], 0
	s_add_nc_u64 s[30:31], s[2:3], -1
	s_cselect_b32 s3, -1, 0
	s_wait_xcnt 0x1
	v_add_nc_u64_e32 v[22:23], 8, v[22:23]
	s_wait_xcnt 0x0
	v_add_nc_u64_e32 v[24:25], 8, v[24:25]
	s_wait_loadcnt 0x0
	v_cmp_ne_u64_e32 vcc_lo, v[26:27], v[28:29]
	v_cmp_eq_u64_e64 s2, v[26:27], v[28:29]
	s_or_b32 s3, vcc_lo, s3
	s_delay_alu instid0(SALU_CYCLE_1) | instskip(NEXT) | instid1(SALU_CYCLE_1)
	s_and_b32 s3, exec_lo, s3
	s_or_b32 s17, s3, s17
	s_and_not1_b32 s22, s22, exec_lo
	s_and_b32 s23, s2, exec_lo
	s_mov_b64 s[2:3], s[30:31]
	s_or_b32 s22, s22, s23
	s_and_not1_b32 exec_lo, exec_lo, s17
	s_cbranch_execnz .LBB1695_126
; %bb.127:
	s_or_b32 exec_lo, exec_lo, s17
	s_xor_b32 s2, s22, -1
.LBB1695_128:
	s_delay_alu instid0(SALU_CYCLE_1)
	s_and_b32 s17, s2, exec_lo
.LBB1695_129:
	s_or_b32 exec_lo, exec_lo, s21
	v_cndmask_b32_e64 v35, 0, 1, s5
	v_cndmask_b32_e64 v36, 0, 1, s20
	;; [unrolled: 1-line block ×4, first 2 shown]
	v_mov_b32_e32 v24, 1
	s_mov_b32 s2, 0
	s_mov_b32 s4, exec_lo
	s_wait_dscnt 0x0
	s_barrier_signal -1
	s_barrier_wait -1
                                        ; implicit-def: $vgpr25
	v_cmpx_ne_u32_e32 0, v0
	s_cbranch_execz .LBB1695_137
; %bb.130:
	v_lshlrev_b16 v25, 8, v23
	v_lshlrev_b16 v26, 8, v22
	s_mov_b32 s5, exec_lo
	s_delay_alu instid0(VALU_DEP_1) | instskip(NEXT) | instid1(VALU_DEP_1)
	v_or_b32_e32 v26, v36, v26
	v_dual_lshlrev_b32 v26, 16, v26 :: v_dual_bitop2_b32 v25, 1, v25 bitop3:0x54
	s_delay_alu instid0(VALU_DEP_1) | instskip(NEXT) | instid1(VALU_DEP_1)
	v_and_b32_e32 v25, 0xffff, v25
	v_or_b32_e32 v25, v25, v26
	v_cmpx_gt_u32_e64 s27, v30
	s_cbranch_execz .LBB1695_136
; %bb.131:
	s_and_not1_b32 vcc_lo, exec_lo, s7
	s_cbranch_vccnz .LBB1695_135
; %bb.132:
	v_add_nc_u32_e32 v26, -8, v31
	v_mul_u64_e32 v[28:29], s[18:19], v[14:15]
	s_add_nc_u64 s[2:3], s[18:19], -1
	s_mov_b32 s7, 0
	ds_load_b64 v[26:27], v26
	s_wait_dscnt 0x0
	v_mul_u64_e32 v[26:27], s[18:19], v[26:27]
	v_lshl_add_u64 v[28:29], v[28:29], 3, s[8:9]
	s_delay_alu instid0(VALU_DEP_2)
	v_lshl_add_u64 v[26:27], v[26:27], 3, s[8:9]
                                        ; implicit-def: $sgpr8
.LBB1695_133:                           ; =>This Inner Loop Header: Depth=1
	global_load_b64 v[32:33], v[26:27], off
	global_load_b64 v[38:39], v[28:29], off
	s_cmp_eq_u64 s[2:3], 0
	s_add_nc_u64 s[18:19], s[2:3], -1
	s_cselect_b32 s3, -1, 0
	s_wait_xcnt 0x1
	v_add_nc_u64_e32 v[26:27], 8, v[26:27]
	s_wait_xcnt 0x0
	v_add_nc_u64_e32 v[28:29], 8, v[28:29]
	s_wait_loadcnt 0x0
	v_cmp_ne_u64_e32 vcc_lo, v[32:33], v[38:39]
	v_cmp_eq_u64_e64 s2, v[32:33], v[38:39]
	s_or_b32 s3, vcc_lo, s3
	s_delay_alu instid0(SALU_CYCLE_1) | instskip(NEXT) | instid1(SALU_CYCLE_1)
	s_and_b32 s3, exec_lo, s3
	s_or_b32 s7, s3, s7
	s_and_not1_b32 s8, s8, exec_lo
	s_and_b32 s9, s2, exec_lo
	s_mov_b64 s[2:3], s[18:19]
	s_or_b32 s8, s8, s9
	s_and_not1_b32 exec_lo, exec_lo, s7
	s_cbranch_execnz .LBB1695_133
; %bb.134:
	s_or_b32 exec_lo, exec_lo, s7
	s_xor_b32 s2, s8, -1
.LBB1695_135:
	s_delay_alu instid0(SALU_CYCLE_1)
	s_and_b32 s2, s2, exec_lo
.LBB1695_136:
	s_or_b32 exec_lo, exec_lo, s5
	s_delay_alu instid0(VALU_DEP_2)
	v_perm_b32 v25, v25, v25, 0x3020104
	s_or_b32 s6, s6, exec_lo
.LBB1695_137:
	s_or_b32 exec_lo, exec_lo, s4
.LBB1695_138:
	s_and_saveexec_b32 s3, s6
	s_cbranch_execz .LBB1695_140
; %bb.139:
	s_wait_dscnt 0x0
	v_dual_lshrrev_b32 v22, 24, v25 :: v_dual_lshrrev_b32 v36, 16, v25
	v_lshrrev_b32_e32 v23, 8, v25
	v_cndmask_b32_e64 v24, 0, 1, s2
.LBB1695_140:
	s_or_b32 exec_lo, exec_lo, s3
	s_delay_alu instid0(SALU_CYCLE_1)
	s_and_not1_b32 vcc_lo, exec_lo, s28
	s_cbranch_vccnz .LBB1695_144
; %bb.141:
	s_wait_dscnt 0x0
	v_perm_b32 v23, v24, v23, 0xc0c0004
	v_perm_b32 v22, v36, v22, 0xc0c0004
	v_cmp_gt_u32_e32 vcc_lo, s27, v30
	v_dual_add_nc_u32 v24, 1, v30 :: v_dual_add_nc_u32 v26, 4, v30
	v_and_b32_e32 v35, 0xff, v35
	s_delay_alu instid0(VALU_DEP_4) | instskip(SKIP_1) | instid1(VALU_DEP_2)
	v_lshl_or_b32 v22, v22, 16, v23
	s_mov_b32 s2, exec_lo
	v_and_b32_e32 v25, 0xffff, v35
	s_delay_alu instid0(VALU_DEP_2) | instskip(SKIP_2) | instid1(VALU_DEP_3)
	v_cndmask_b32_e32 v23, 0, v22, vcc_lo
	v_cmp_gt_u32_e32 vcc_lo, s27, v24
	v_add_nc_u32_e32 v24, 2, v30
	v_and_b32_e32 v23, 0xff, v23
	s_delay_alu instid0(VALU_DEP_1) | instskip(NEXT) | instid1(VALU_DEP_3)
	v_cndmask_b32_e32 v23, v23, v22, vcc_lo
	v_cmp_gt_u32_e32 vcc_lo, s27, v24
	v_add_nc_u32_e32 v24, 3, v30
	s_delay_alu instid0(VALU_DEP_3) | instskip(NEXT) | instid1(VALU_DEP_1)
	v_and_b32_e32 v23, 0xffff, v23
	v_cndmask_b32_e32 v23, v23, v22, vcc_lo
	s_delay_alu instid0(VALU_DEP_3) | instskip(NEXT) | instid1(VALU_DEP_2)
	v_cmp_gt_u32_e32 vcc_lo, s27, v24
	v_and_b32_e32 v23, 0xffffff, v23
	s_delay_alu instid0(VALU_DEP_1) | instskip(NEXT) | instid1(VALU_DEP_1)
	v_cndmask_b32_e32 v24, v23, v22, vcc_lo
	v_lshrrev_b64 v[22:23], 24, v[24:25]
	v_dual_lshrrev_b32 v36, 16, v24 :: v_dual_lshrrev_b32 v23, 8, v24
	v_cmpx_le_u32_e64 s27, v26
; %bb.142:
	v_mov_b32_e32 v35, 0
; %bb.143:
	s_or_b32 exec_lo, exec_lo, s2
.LBB1695_144:
	s_delay_alu instid0(VALU_DEP_1)
	v_and_b32_e32 v25, 0xff, v24
	s_wait_dscnt 0x0
	v_and_b32_e32 v37, 0xff, v23
	v_and_b32_e32 v38, 0xff, v36
	v_mbcnt_lo_u32_b32 v40, -1, 0
	v_and_b32_e32 v39, 0xff, v22
	v_and_b32_e32 v26, 0xff, v35
	s_wait_kmcnt 0x0
	v_readfirstlane_b32 s8, v0
	v_add3_u32 v27, v37, v25, v38
	v_and_b32_e32 v28, 15, v40
	s_and_b32 vcc_lo, exec_lo, s16
	v_lshrrev_b32_e32 v41, 5, v0
	s_mov_b32 s9, -1
	v_add3_u32 v42, v27, v39, v26
	v_and_b32_e32 v26, 16, v40
	v_or_b32_e32 v27, 31, v0
	v_cmp_eq_u32_e64 s4, 0, v28
	v_cmp_lt_u32_e64 s6, 1, v28
	v_cmp_lt_u32_e64 s7, 3, v28
	;; [unrolled: 1-line block ×3, first 2 shown]
	v_cmp_eq_u32_e64 s3, 0, v26
	v_cmp_eq_u32_e64 s2, v0, v27
	s_barrier_signal -1
	s_barrier_wait -1
                                        ; implicit-def: $vgpr28
                                        ; implicit-def: $vgpr29
                                        ; implicit-def: $vgpr30
                                        ; implicit-def: $vgpr31
                                        ; implicit-def: $vgpr32
                                        ; implicit-def: $vgpr26
	s_cbranch_vccz .LBB1695_171
; %bb.145:
	v_mov_b32_dpp v26, v42 row_shr:1 row_mask:0xf bank_mask:0xf
	s_delay_alu instid0(VALU_DEP_1) | instskip(NEXT) | instid1(VALU_DEP_1)
	v_cndmask_b32_e64 v26, v26, 0, s4
	v_add_nc_u32_e32 v26, v26, v42
	s_delay_alu instid0(VALU_DEP_1) | instskip(NEXT) | instid1(VALU_DEP_1)
	v_mov_b32_dpp v27, v26 row_shr:2 row_mask:0xf bank_mask:0xf
	v_cndmask_b32_e64 v27, 0, v27, s6
	s_delay_alu instid0(VALU_DEP_1) | instskip(NEXT) | instid1(VALU_DEP_1)
	v_add_nc_u32_e32 v26, v26, v27
	v_mov_b32_dpp v27, v26 row_shr:4 row_mask:0xf bank_mask:0xf
	s_delay_alu instid0(VALU_DEP_1) | instskip(NEXT) | instid1(VALU_DEP_1)
	v_cndmask_b32_e64 v27, 0, v27, s7
	v_add_nc_u32_e32 v26, v26, v27
	s_delay_alu instid0(VALU_DEP_1) | instskip(NEXT) | instid1(VALU_DEP_1)
	v_mov_b32_dpp v27, v26 row_shr:8 row_mask:0xf bank_mask:0xf
	v_cndmask_b32_e64 v27, 0, v27, s5
	s_delay_alu instid0(VALU_DEP_1) | instskip(SKIP_3) | instid1(VALU_DEP_1)
	v_add_nc_u32_e32 v26, v26, v27
	ds_swizzle_b32 v27, v26 offset:swizzle(BROADCAST,32,15)
	s_wait_dscnt 0x0
	v_cndmask_b32_e64 v27, v27, 0, s3
	v_add_nc_u32_e32 v26, v26, v27
	s_and_saveexec_b32 s8, s2
; %bb.146:
	v_lshlrev_b32_e32 v27, 2, v41
	ds_store_b32 v27, v26
; %bb.147:
	s_or_b32 exec_lo, exec_lo, s8
	s_delay_alu instid0(SALU_CYCLE_1)
	s_mov_b32 s8, exec_lo
	s_wait_dscnt 0x0
	s_barrier_signal -1
	s_barrier_wait -1
	v_cmpx_gt_u32_e32 4, v0
	s_cbranch_execz .LBB1695_149
; %bb.148:
	v_and_b32_e32 v29, 3, v40
	s_delay_alu instid0(VALU_DEP_1) | instskip(SKIP_4) | instid1(VALU_DEP_1)
	v_cmp_ne_u32_e32 vcc_lo, 0, v29
	v_lshlrev_b32_e32 v27, 2, v0
	ds_load_b32 v28, v27
	s_wait_dscnt 0x0
	v_mov_b32_dpp v30, v28 row_shr:1 row_mask:0xf bank_mask:0xf
	v_cndmask_b32_e32 v30, 0, v30, vcc_lo
	v_cmp_lt_u32_e32 vcc_lo, 1, v29
	s_delay_alu instid0(VALU_DEP_2) | instskip(NEXT) | instid1(VALU_DEP_1)
	v_add_nc_u32_e32 v28, v30, v28
	v_mov_b32_dpp v30, v28 row_shr:2 row_mask:0xf bank_mask:0xf
	s_delay_alu instid0(VALU_DEP_1) | instskip(NEXT) | instid1(VALU_DEP_1)
	v_cndmask_b32_e32 v29, 0, v30, vcc_lo
	v_add_nc_u32_e32 v28, v28, v29
	ds_store_b32 v27, v28
.LBB1695_149:
	s_or_b32 exec_lo, exec_lo, s8
	s_delay_alu instid0(SALU_CYCLE_1)
	s_mov_b32 s9, exec_lo
	v_cmp_gt_u32_e32 vcc_lo, 32, v0
	s_wait_dscnt 0x0
	s_barrier_signal -1
	s_barrier_wait -1
                                        ; implicit-def: $vgpr43
	v_cmpx_lt_u32_e32 31, v0
	s_cbranch_execz .LBB1695_151
; %bb.150:
	v_lshl_add_u32 v27, v41, 2, -4
	ds_load_b32 v43, v27
	s_wait_dscnt 0x0
	v_add_nc_u32_e32 v26, v43, v26
.LBB1695_151:
	s_or_b32 exec_lo, exec_lo, s9
	v_sub_co_u32 v27, s8, v40, 1
	s_delay_alu instid0(VALU_DEP_1) | instskip(NEXT) | instid1(VALU_DEP_1)
	v_cmp_gt_i32_e64 s9, 0, v27
	v_cndmask_b32_e64 v27, v27, v40, s9
	s_delay_alu instid0(VALU_DEP_1)
	v_lshlrev_b32_e32 v27, 2, v27
	ds_bpermute_b32 v44, v27, v26
	s_and_saveexec_b32 s9, vcc_lo
	s_cbranch_execz .LBB1695_170
; %bb.152:
	v_mov_b32_e32 v33, 0
	ds_load_b32 v26, v33 offset:12
	s_and_saveexec_b32 s16, s8
	s_cbranch_execz .LBB1695_154
; %bb.153:
	s_add_co_i32 s17, s26, 32
	s_delay_alu instid0(SALU_CYCLE_1)
	v_dual_mov_b32 v27, 1 :: v_dual_mov_b32 v28, s17
	s_wait_dscnt 0x0
	global_store_b64 v28, v[26:27], s[10:11] scale_offset scope:SCOPE_DEV
.LBB1695_154:
	s_wait_xcnt 0x0
	s_or_b32 exec_lo, exec_lo, s16
	v_xad_u32 v28, v40, -1, s26
	s_mov_b32 s17, 0
	s_mov_b32 s16, exec_lo
	s_delay_alu instid0(VALU_DEP_1) | instskip(SKIP_4) | instid1(VALU_DEP_1)
	v_add_nc_u32_e32 v32, 32, v28
	global_load_b64 v[30:31], v32, s[10:11] scale_offset scope:SCOPE_DEV
	s_wait_loadcnt 0x0
	v_and_b32_e32 v27, 0xff, v31
	s_wait_xcnt 0x0
	v_cmpx_eq_u16_e32 0, v27
	s_cbranch_execz .LBB1695_158
; %bb.155:
	v_lshl_add_u64 v[32:33], v[32:33], 3, s[10:11]
.LBB1695_156:                           ; =>This Inner Loop Header: Depth=1
	global_load_b64 v[30:31], v[32:33], off scope:SCOPE_DEV
	s_wait_loadcnt 0x0
	v_and_b32_e32 v27, 0xff, v31
	s_delay_alu instid0(VALU_DEP_1)
	v_cmp_ne_u16_e32 vcc_lo, 0, v27
	s_or_b32 s17, vcc_lo, s17
	s_wait_xcnt 0x0
	s_and_not1_b32 exec_lo, exec_lo, s17
	s_cbranch_execnz .LBB1695_156
; %bb.157:
	s_or_b32 exec_lo, exec_lo, s17
.LBB1695_158:
	s_delay_alu instid0(SALU_CYCLE_1)
	s_or_b32 exec_lo, exec_lo, s16
	v_cmp_ne_u32_e32 vcc_lo, 31, v40
	v_lshlrev_b32_e64 v46, v40, -1
	v_lshl_or_b32 v53, v40, 2, 64
	v_dual_add_nc_u32 v48, 2, v40 :: v_dual_add_nc_u32 v50, 4, v40
	v_add_co_ci_u32_e64 v27, null, 0, v40, vcc_lo
	v_dual_add_nc_u32 v52, 8, v40 :: v_dual_add_nc_u32 v54, 16, v40
	s_delay_alu instid0(VALU_DEP_2)
	v_lshlrev_b32_e32 v45, 2, v27
	v_and_b32_e32 v27, 0xff, v31
	ds_bpermute_b32 v29, v45, v30
	v_cmp_eq_u16_e32 vcc_lo, 2, v27
	v_and_or_b32 v27, vcc_lo, v46, 0x80000000
	v_cmp_gt_u32_e32 vcc_lo, 30, v40
	s_delay_alu instid0(VALU_DEP_2) | instskip(SKIP_1) | instid1(VALU_DEP_2)
	v_ctz_i32_b32_e32 v27, v27
	v_cndmask_b32_e64 v32, 0, 2, vcc_lo
	v_cmp_lt_u32_e32 vcc_lo, v40, v27
	s_delay_alu instid0(VALU_DEP_2) | instskip(SKIP_3) | instid1(VALU_DEP_2)
	v_add_lshl_u32 v47, v32, v40, 2
	s_wait_dscnt 0x0
	v_cndmask_b32_e32 v29, 0, v29, vcc_lo
	v_cmp_gt_u32_e32 vcc_lo, 28, v40
	v_add_nc_u32_e32 v29, v29, v30
	v_cndmask_b32_e64 v32, 0, 4, vcc_lo
	v_cmp_le_u32_e32 vcc_lo, v48, v27
	ds_bpermute_b32 v30, v47, v29
	v_add_lshl_u32 v49, v32, v40, 2
	s_wait_dscnt 0x0
	v_cndmask_b32_e32 v30, 0, v30, vcc_lo
	v_cmp_gt_u32_e32 vcc_lo, 24, v40
	v_cndmask_b32_e64 v32, 0, 8, vcc_lo
	v_cmp_le_u32_e32 vcc_lo, v50, v27
	s_delay_alu instid0(VALU_DEP_4) | instskip(NEXT) | instid1(VALU_DEP_3)
	v_add_nc_u32_e32 v29, v29, v30
	v_add_lshl_u32 v51, v32, v40, 2
	ds_bpermute_b32 v30, v49, v29
	s_wait_dscnt 0x0
	v_cndmask_b32_e32 v30, 0, v30, vcc_lo
	v_cmp_le_u32_e32 vcc_lo, v52, v27
	s_delay_alu instid0(VALU_DEP_2) | instskip(SKIP_4) | instid1(VALU_DEP_2)
	v_add_nc_u32_e32 v29, v29, v30
	ds_bpermute_b32 v30, v51, v29
	s_wait_dscnt 0x0
	v_cndmask_b32_e32 v30, 0, v30, vcc_lo
	v_cmp_le_u32_e32 vcc_lo, v54, v27
	v_add_nc_u32_e32 v29, v29, v30
	ds_bpermute_b32 v30, v53, v29
	s_wait_dscnt 0x0
	v_cndmask_b32_e32 v27, 0, v30, vcc_lo
	s_delay_alu instid0(VALU_DEP_1)
	v_dual_mov_b32 v29, 0 :: v_dual_add_nc_u32 v30, v29, v27
	s_branch .LBB1695_161
.LBB1695_159:                           ;   in Loop: Header=BB1695_161 Depth=1
	s_or_b32 exec_lo, exec_lo, s16
	v_and_b32_e32 v32, 0xff, v31
	ds_bpermute_b32 v33, v45, v30
	v_subrev_nc_u32_e32 v28, 32, v28
	s_mov_b32 s16, 0
	v_cmp_eq_u16_e32 vcc_lo, 2, v32
	v_and_or_b32 v32, vcc_lo, v46, 0x80000000
	s_delay_alu instid0(VALU_DEP_1) | instskip(NEXT) | instid1(VALU_DEP_1)
	v_ctz_i32_b32_e32 v32, v32
	v_cmp_lt_u32_e32 vcc_lo, v40, v32
	s_wait_dscnt 0x0
	v_cndmask_b32_e32 v33, 0, v33, vcc_lo
	v_cmp_le_u32_e32 vcc_lo, v48, v32
	s_delay_alu instid0(VALU_DEP_2) | instskip(SKIP_4) | instid1(VALU_DEP_2)
	v_add_nc_u32_e32 v30, v33, v30
	ds_bpermute_b32 v33, v47, v30
	s_wait_dscnt 0x0
	v_cndmask_b32_e32 v33, 0, v33, vcc_lo
	v_cmp_le_u32_e32 vcc_lo, v50, v32
	v_add_nc_u32_e32 v30, v30, v33
	ds_bpermute_b32 v33, v49, v30
	s_wait_dscnt 0x0
	v_cndmask_b32_e32 v33, 0, v33, vcc_lo
	v_cmp_le_u32_e32 vcc_lo, v52, v32
	s_delay_alu instid0(VALU_DEP_2) | instskip(SKIP_4) | instid1(VALU_DEP_2)
	v_add_nc_u32_e32 v30, v30, v33
	ds_bpermute_b32 v33, v51, v30
	s_wait_dscnt 0x0
	v_cndmask_b32_e32 v33, 0, v33, vcc_lo
	v_cmp_le_u32_e32 vcc_lo, v54, v32
	v_add_nc_u32_e32 v30, v30, v33
	ds_bpermute_b32 v33, v53, v30
	s_wait_dscnt 0x0
	v_cndmask_b32_e32 v32, 0, v33, vcc_lo
	s_delay_alu instid0(VALU_DEP_1)
	v_add3_u32 v30, v32, v27, v30
.LBB1695_160:                           ;   in Loop: Header=BB1695_161 Depth=1
	s_and_b32 vcc_lo, exec_lo, s16
	s_cbranch_vccnz .LBB1695_166
.LBB1695_161:                           ; =>This Loop Header: Depth=1
                                        ;     Child Loop BB1695_164 Depth 2
	v_and_b32_e32 v27, 0xff, v31
	s_mov_b32 s16, -1
                                        ; implicit-def: $vgpr31
	s_delay_alu instid0(VALU_DEP_1)
	v_cmp_ne_u16_e32 vcc_lo, 2, v27
	v_mov_b32_e32 v27, v30
                                        ; implicit-def: $vgpr30
	s_cmp_lg_u32 vcc_lo, exec_lo
	s_cbranch_scc1 .LBB1695_160
; %bb.162:                              ;   in Loop: Header=BB1695_161 Depth=1
	global_load_b64 v[30:31], v28, s[10:11] scale_offset scope:SCOPE_DEV
	s_mov_b32 s16, exec_lo
	s_wait_loadcnt 0x0
	v_and_b32_e32 v32, 0xff, v31
	s_wait_xcnt 0x0
	s_delay_alu instid0(VALU_DEP_1)
	v_cmpx_eq_u16_e32 0, v32
	s_cbranch_execz .LBB1695_159
; %bb.163:                              ;   in Loop: Header=BB1695_161 Depth=1
	v_lshl_add_u64 v[32:33], v[28:29], 3, s[10:11]
	s_mov_b32 s17, 0
.LBB1695_164:                           ;   Parent Loop BB1695_161 Depth=1
                                        ; =>  This Inner Loop Header: Depth=2
	global_load_b64 v[30:31], v[32:33], off scope:SCOPE_DEV
	s_wait_loadcnt 0x0
	v_and_b32_e32 v55, 0xff, v31
	s_delay_alu instid0(VALU_DEP_1)
	v_cmp_ne_u16_e32 vcc_lo, 0, v55
	s_or_b32 s17, vcc_lo, s17
	s_wait_xcnt 0x0
	s_and_not1_b32 exec_lo, exec_lo, s17
	s_cbranch_execnz .LBB1695_164
; %bb.165:                              ;   in Loop: Header=BB1695_161 Depth=1
	s_or_b32 exec_lo, exec_lo, s17
	s_branch .LBB1695_159
.LBB1695_166:
	s_and_saveexec_b32 s16, s8
	s_cbranch_execz .LBB1695_168
; %bb.167:
	s_add_co_i32 s17, s26, 32
	v_dual_mov_b32 v29, 2 :: v_dual_add_nc_u32 v28, v27, v26
	v_dual_mov_b32 v30, s17 :: v_dual_mov_b32 v31, 0
	global_store_b64 v30, v[28:29], s[10:11] scale_offset scope:SCOPE_DEV
	ds_store_b64 v31, v[26:27] offset:5120
.LBB1695_168:
	s_wait_xcnt 0x0
	s_or_b32 exec_lo, exec_lo, s16
	v_cmp_eq_u32_e32 vcc_lo, 0, v0
	s_and_b32 exec_lo, exec_lo, vcc_lo
; %bb.169:
	v_mov_b32_e32 v26, 0
	ds_store_b32 v26, v27 offset:12
.LBB1695_170:
	s_or_b32 exec_lo, exec_lo, s9
	s_wait_dscnt 0x0
	v_dual_mov_b32 v26, 0 :: v_dual_cndmask_b32 v28, v44, v43, s8
	s_wait_storecnt 0x0
	s_barrier_signal -1
	s_barrier_wait -1
	ds_load_b32 v27, v26 offset:12
	v_cmp_ne_u32_e32 vcc_lo, 0, v0
	s_wait_dscnt 0x0
	s_barrier_signal -1
	s_barrier_wait -1
	v_cndmask_b32_e32 v28, 0, v28, vcc_lo
	s_mov_b32 s9, 0
	s_delay_alu instid0(VALU_DEP_1) | instskip(SKIP_2) | instid1(VALU_DEP_1)
	v_add_nc_u32_e32 v32, v27, v28
	ds_load_b64 v[26:27], v26 offset:5120
	v_add_nc_u32_e32 v31, v32, v25
	v_add_nc_u32_e32 v30, v31, v37
	s_delay_alu instid0(VALU_DEP_1) | instskip(NEXT) | instid1(VALU_DEP_1)
	v_add_nc_u32_e32 v29, v30, v38
	v_add_nc_u32_e32 v28, v29, v39
	s_wait_dscnt 0x0
	v_readfirstlane_b32 s8, v27
.LBB1695_171:
	s_and_b32 vcc_lo, exec_lo, s9
	s_cbranch_vccz .LBB1695_181
; %bb.172:
	v_mov_b32_dpp v26, v42 row_shr:1 row_mask:0xf bank_mask:0xf
	s_delay_alu instid0(VALU_DEP_1) | instskip(NEXT) | instid1(VALU_DEP_1)
	v_cndmask_b32_e64 v26, v26, 0, s4
	v_add_nc_u32_e32 v26, v26, v42
	s_delay_alu instid0(VALU_DEP_1) | instskip(NEXT) | instid1(VALU_DEP_1)
	v_mov_b32_dpp v27, v26 row_shr:2 row_mask:0xf bank_mask:0xf
	v_cndmask_b32_e64 v27, 0, v27, s6
	s_delay_alu instid0(VALU_DEP_1) | instskip(NEXT) | instid1(VALU_DEP_1)
	v_add_nc_u32_e32 v26, v26, v27
	v_mov_b32_dpp v27, v26 row_shr:4 row_mask:0xf bank_mask:0xf
	s_delay_alu instid0(VALU_DEP_1) | instskip(NEXT) | instid1(VALU_DEP_1)
	v_cndmask_b32_e64 v27, 0, v27, s7
	v_add_nc_u32_e32 v26, v26, v27
	s_delay_alu instid0(VALU_DEP_1) | instskip(NEXT) | instid1(VALU_DEP_1)
	v_mov_b32_dpp v27, v26 row_shr:8 row_mask:0xf bank_mask:0xf
	v_cndmask_b32_e64 v27, 0, v27, s5
	s_delay_alu instid0(VALU_DEP_1) | instskip(SKIP_3) | instid1(VALU_DEP_1)
	v_add_nc_u32_e32 v26, v26, v27
	ds_swizzle_b32 v27, v26 offset:swizzle(BROADCAST,32,15)
	s_wait_dscnt 0x0
	v_cndmask_b32_e64 v27, v27, 0, s3
	v_add_nc_u32_e32 v26, v26, v27
	s_and_saveexec_b32 s3, s2
; %bb.173:
	v_lshlrev_b32_e32 v27, 2, v41
	ds_store_b32 v27, v26
; %bb.174:
	s_or_b32 exec_lo, exec_lo, s3
	s_delay_alu instid0(SALU_CYCLE_1)
	s_mov_b32 s2, exec_lo
	s_wait_dscnt 0x0
	s_barrier_signal -1
	s_barrier_wait -1
	v_cmpx_gt_u32_e32 4, v0
	s_cbranch_execz .LBB1695_176
; %bb.175:
	v_and_b32_e32 v29, 3, v40
	s_delay_alu instid0(VALU_DEP_1) | instskip(SKIP_4) | instid1(VALU_DEP_1)
	v_cmp_ne_u32_e32 vcc_lo, 0, v29
	v_lshlrev_b32_e32 v27, 2, v0
	ds_load_b32 v28, v27
	s_wait_dscnt 0x0
	v_mov_b32_dpp v30, v28 row_shr:1 row_mask:0xf bank_mask:0xf
	v_cndmask_b32_e32 v30, 0, v30, vcc_lo
	v_cmp_lt_u32_e32 vcc_lo, 1, v29
	s_delay_alu instid0(VALU_DEP_2) | instskip(NEXT) | instid1(VALU_DEP_1)
	v_add_nc_u32_e32 v28, v30, v28
	v_mov_b32_dpp v30, v28 row_shr:2 row_mask:0xf bank_mask:0xf
	s_delay_alu instid0(VALU_DEP_1) | instskip(NEXT) | instid1(VALU_DEP_1)
	v_cndmask_b32_e32 v29, 0, v30, vcc_lo
	v_add_nc_u32_e32 v28, v28, v29
	ds_store_b32 v27, v28
.LBB1695_176:
	s_or_b32 exec_lo, exec_lo, s2
	v_dual_mov_b32 v27, 0 :: v_dual_mov_b32 v28, 0
	s_mov_b32 s2, exec_lo
	s_wait_dscnt 0x0
	s_barrier_signal -1
	s_barrier_wait -1
	v_cmpx_lt_u32_e32 31, v0
; %bb.177:
	v_lshl_add_u32 v28, v41, 2, -4
	ds_load_b32 v28, v28
; %bb.178:
	s_or_b32 exec_lo, exec_lo, s2
	v_sub_co_u32 v29, vcc_lo, v40, 1
	s_mov_b32 s8, 0
	s_wait_dscnt 0x0
	v_add_nc_u32_e32 v26, v28, v26
	v_cmp_gt_i32_e64 s2, 0, v29
	s_delay_alu instid0(VALU_DEP_1) | instskip(SKIP_1) | instid1(VALU_DEP_2)
	v_cndmask_b32_e64 v29, v29, v40, s2
	v_cmp_eq_u32_e64 s2, 0, v0
	v_lshlrev_b32_e32 v29, 2, v29
	ds_bpermute_b32 v29, v29, v26
	ds_load_b32 v26, v27 offset:12
	s_and_saveexec_b32 s3, s2
	s_cbranch_execz .LBB1695_180
; %bb.179:
	v_dual_mov_b32 v30, 0 :: v_dual_mov_b32 v27, 2
	s_wait_dscnt 0x0
	global_store_b64 v30, v[26:27], s[10:11] offset:256 scope:SCOPE_DEV
.LBB1695_180:
	s_wait_xcnt 0x0
	s_or_b32 exec_lo, exec_lo, s3
	s_wait_dscnt 0x1
	v_cndmask_b32_e32 v27, v29, v28, vcc_lo
	s_wait_storecnt_dscnt 0x0
	s_barrier_signal -1
	s_barrier_wait -1
	s_delay_alu instid0(VALU_DEP_1) | instskip(NEXT) | instid1(VALU_DEP_1)
	v_cndmask_b32_e64 v32, v27, 0, s2
	v_add_nc_u32_e32 v31, v32, v25
	s_delay_alu instid0(VALU_DEP_1) | instskip(NEXT) | instid1(VALU_DEP_1)
	v_add_nc_u32_e32 v30, v31, v37
	v_add_nc_u32_e32 v29, v30, v38
	s_delay_alu instid0(VALU_DEP_1)
	v_add_nc_u32_e32 v28, v29, v39
.LBB1695_181:
	s_load_b128 s[4:7], s[0:1], 0x28
	s_delay_alu instid0(VALU_DEP_1)
	v_dual_add_nc_u32 v25, s8, v26 :: v_dual_bitop2_b32 v24, 1, v24 bitop3:0x40
	s_wait_xcnt 0x0
	v_cmp_gt_u32_e64 s0, 0x81, v26
	s_mov_b32 s3, -1
	v_cmp_lt_u32_e64 s1, v32, v25
	v_cmp_eq_u32_e64 s2, 1, v24
	s_and_b32 vcc_lo, exec_lo, s0
	s_cbranch_vccz .LBB1695_193
; %bb.182:
	s_or_b32 s1, s25, s1
	s_delay_alu instid0(SALU_CYCLE_1) | instskip(NEXT) | instid1(SALU_CYCLE_1)
	s_and_b32 s2, s1, s2
	s_and_saveexec_b32 s1, s2
	s_cbranch_execz .LBB1695_184
; %bb.183:
	s_lshl_b64 s[2:3], s[14:15], 3
	s_wait_kmcnt 0x0
	s_add_nc_u64 s[2:3], s[4:5], s[2:3]
	global_store_b64 v32, v[14:15], s[2:3] scale_offset
.LBB1695_184:
	s_wait_xcnt 0x0
	s_or_b32 exec_lo, exec_lo, s1
	v_and_b32_e32 v27, 1, v23
	v_cmp_lt_u32_e32 vcc_lo, v31, v25
	s_delay_alu instid0(VALU_DEP_2) | instskip(SKIP_1) | instid1(SALU_CYCLE_1)
	v_cmp_eq_u32_e64 s1, 1, v27
	s_or_b32 s2, s25, vcc_lo
	s_and_b32 s2, s2, s1
	s_delay_alu instid0(SALU_CYCLE_1)
	s_and_saveexec_b32 s1, s2
	s_cbranch_execz .LBB1695_186
; %bb.185:
	s_lshl_b64 s[2:3], s[14:15], 3
	s_wait_kmcnt 0x0
	s_add_nc_u64 s[2:3], s[4:5], s[2:3]
	global_store_b64 v31, v[16:17], s[2:3] scale_offset
.LBB1695_186:
	s_wait_xcnt 0x0
	s_or_b32 exec_lo, exec_lo, s1
	v_and_b32_e32 v27, 1, v36
	v_cmp_lt_u32_e32 vcc_lo, v30, v25
	s_delay_alu instid0(VALU_DEP_2) | instskip(SKIP_1) | instid1(SALU_CYCLE_1)
	v_cmp_eq_u32_e64 s1, 1, v27
	s_or_b32 s2, s25, vcc_lo
	s_and_b32 s2, s2, s1
	s_delay_alu instid0(SALU_CYCLE_1)
	;; [unrolled: 17-line block ×4, first 2 shown]
	s_and_saveexec_b32 s1, s2
	s_cbranch_execz .LBB1695_192
; %bb.191:
	s_lshl_b64 s[2:3], s[14:15], 3
	s_wait_kmcnt 0x0
	s_add_nc_u64 s[2:3], s[4:5], s[2:3]
	global_store_b64 v28, v[20:21], s[2:3] scale_offset
.LBB1695_192:
	s_wait_xcnt 0x0
	s_or_b32 exec_lo, exec_lo, s1
	s_mov_b32 s3, 0
.LBB1695_193:
	s_delay_alu instid0(SALU_CYCLE_1)
	s_and_b32 vcc_lo, exec_lo, s3
	s_cbranch_vccz .LBB1695_207
; %bb.194:
	s_mov_b32 s1, exec_lo
	v_cmpx_eq_u32_e32 1, v24
; %bb.195:
	v_subrev_nc_u32_e32 v27, s8, v32
	s_delay_alu instid0(VALU_DEP_1)
	v_lshlrev_b32_e32 v27, 3, v27
	ds_store_b64 v27, v[14:15]
; %bb.196:
	s_or_b32 exec_lo, exec_lo, s1
	v_and_b32_e32 v14, 1, v23
	s_mov_b32 s1, exec_lo
	s_delay_alu instid0(VALU_DEP_1)
	v_cmpx_eq_u32_e32 1, v14
; %bb.197:
	v_subrev_nc_u32_e32 v14, s8, v31
	s_delay_alu instid0(VALU_DEP_1)
	v_lshlrev_b32_e32 v14, 3, v14
	ds_store_b64 v14, v[16:17]
; %bb.198:
	s_or_b32 exec_lo, exec_lo, s1
	v_and_b32_e32 v14, 1, v36
	s_mov_b32 s1, exec_lo
	s_delay_alu instid0(VALU_DEP_1)
	;; [unrolled: 11-line block ×4, first 2 shown]
	v_cmpx_eq_u32_e32 1, v10
; %bb.203:
	v_subrev_nc_u32_e32 v10, s8, v28
	s_delay_alu instid0(VALU_DEP_1)
	v_lshlrev_b32_e32 v10, 3, v10
	ds_store_b64 v10, v[20:21]
; %bb.204:
	s_or_b32 exec_lo, exec_lo, s1
	s_mov_b32 s9, 0
	v_dual_mov_b32 v11, v1 :: v_dual_lshlrev_b32 v10, 3, v0
	s_lshl_b64 s[2:3], s[8:9], 3
	s_wait_storecnt_dscnt 0x0
	s_wait_kmcnt 0x0
	s_add_nc_u64 s[2:3], s[4:5], s[2:3]
	s_lshl_b64 s[4:5], s[14:15], 3
	s_barrier_signal -1
	s_add_nc_u64 s[2:3], s[2:3], s[4:5]
	s_barrier_wait -1
.LBB1695_205:                           ; =>This Inner Loop Header: Depth=1
	ds_load_b64 v[12:13], v10
	v_add_nc_u32_e32 v10, 0x400, v10
	s_wait_dscnt 0x0
	global_store_b64 v11, v[12:13], s[2:3] scale_offset
	s_wait_xcnt 0x0
	v_add_nc_u32_e32 v11, 0x80, v11
	s_delay_alu instid0(VALU_DEP_1) | instskip(SKIP_1) | instid1(SALU_CYCLE_1)
	v_cmp_ge_u32_e32 vcc_lo, v11, v26
	s_or_b32 s9, vcc_lo, s9
	s_and_not1_b32 exec_lo, exec_lo, s9
	s_cbranch_execnz .LBB1695_205
; %bb.206:
	s_or_b32 exec_lo, exec_lo, s9
.LBB1695_207:
	s_delay_alu instid0(SALU_CYCLE_1)
	s_and_b32 vcc_lo, exec_lo, s0
	s_mov_b32 s0, -1
	s_wait_storecnt 0x0
	s_barrier_signal -1
	s_barrier_wait -1
	s_cbranch_vccz .LBB1695_219
; %bb.208:
	v_cmp_lt_u32_e32 vcc_lo, v32, v25
	v_cmp_eq_u32_e64 s0, 1, v24
	s_or_b32 s1, s25, vcc_lo
	s_delay_alu instid0(SALU_CYCLE_1) | instskip(NEXT) | instid1(SALU_CYCLE_1)
	s_and_b32 s1, s1, s0
	s_and_saveexec_b32 s0, s1
	s_cbranch_execz .LBB1695_210
; %bb.209:
	s_lshl_b64 s[2:3], s[14:15], 3
	s_wait_kmcnt 0x0
	s_add_nc_u64 s[2:3], s[6:7], s[2:3]
	global_store_b64 v32, v[6:7], s[2:3] scale_offset
.LBB1695_210:
	s_wait_xcnt 0x0
	s_or_b32 exec_lo, exec_lo, s0
	v_and_b32_e32 v10, 1, v23
	v_cmp_lt_u32_e32 vcc_lo, v31, v25
	s_delay_alu instid0(VALU_DEP_2) | instskip(SKIP_1) | instid1(SALU_CYCLE_1)
	v_cmp_eq_u32_e64 s0, 1, v10
	s_or_b32 s1, s25, vcc_lo
	s_and_b32 s1, s1, s0
	s_delay_alu instid0(SALU_CYCLE_1)
	s_and_saveexec_b32 s0, s1
	s_cbranch_execz .LBB1695_212
; %bb.211:
	s_lshl_b64 s[2:3], s[14:15], 3
	s_wait_kmcnt 0x0
	s_add_nc_u64 s[2:3], s[6:7], s[2:3]
	global_store_b64 v31, v[8:9], s[2:3] scale_offset
.LBB1695_212:
	s_wait_xcnt 0x0
	s_or_b32 exec_lo, exec_lo, s0
	v_and_b32_e32 v10, 1, v36
	v_cmp_lt_u32_e32 vcc_lo, v30, v25
	s_delay_alu instid0(VALU_DEP_2) | instskip(SKIP_1) | instid1(SALU_CYCLE_1)
	v_cmp_eq_u32_e64 s0, 1, v10
	s_or_b32 s1, s25, vcc_lo
	s_and_b32 s1, s1, s0
	s_delay_alu instid0(SALU_CYCLE_1)
	;; [unrolled: 17-line block ×4, first 2 shown]
	s_and_saveexec_b32 s0, s1
	s_cbranch_execz .LBB1695_218
; %bb.217:
	s_lshl_b64 s[2:3], s[14:15], 3
	s_wait_kmcnt 0x0
	s_add_nc_u64 s[2:3], s[6:7], s[2:3]
	global_store_b64 v28, v[18:19], s[2:3] scale_offset
.LBB1695_218:
	s_wait_xcnt 0x0
	s_or_b32 exec_lo, exec_lo, s0
	s_mov_b32 s0, 0
.LBB1695_219:
	s_delay_alu instid0(SALU_CYCLE_1)
	s_and_b32 vcc_lo, exec_lo, s0
	s_cbranch_vccz .LBB1695_233
; %bb.220:
	s_mov_b32 s0, exec_lo
	v_cmpx_eq_u32_e32 1, v24
; %bb.221:
	v_subrev_nc_u32_e32 v10, s8, v32
	s_delay_alu instid0(VALU_DEP_1)
	v_lshlrev_b32_e32 v10, 3, v10
	ds_store_b64 v10, v[6:7]
; %bb.222:
	s_or_b32 exec_lo, exec_lo, s0
	v_and_b32_e32 v6, 1, v23
	s_mov_b32 s0, exec_lo
	s_delay_alu instid0(VALU_DEP_1)
	v_cmpx_eq_u32_e32 1, v6
; %bb.223:
	v_subrev_nc_u32_e32 v6, s8, v31
	s_delay_alu instid0(VALU_DEP_1)
	v_lshlrev_b32_e32 v6, 3, v6
	ds_store_b64 v6, v[8:9]
; %bb.224:
	s_or_b32 exec_lo, exec_lo, s0
	v_and_b32_e32 v6, 1, v36
	s_mov_b32 s0, exec_lo
	s_delay_alu instid0(VALU_DEP_1)
	;; [unrolled: 11-line block ×4, first 2 shown]
	v_cmpx_eq_u32_e32 1, v2
; %bb.229:
	v_subrev_nc_u32_e32 v2, s8, v28
	s_delay_alu instid0(VALU_DEP_1)
	v_lshlrev_b32_e32 v2, 3, v2
	ds_store_b64 v2, v[18:19]
; %bb.230:
	s_or_b32 exec_lo, exec_lo, s0
	s_mov_b32 s9, 0
	s_lshl_b64 s[2:3], s[14:15], 3
	s_lshl_b64 s[0:1], s[8:9], 3
	s_wait_storecnt_dscnt 0x0
	s_wait_kmcnt 0x0
	s_add_nc_u64 s[0:1], s[6:7], s[0:1]
	s_barrier_signal -1
	s_add_nc_u64 s[0:1], s[0:1], s[2:3]
	s_barrier_wait -1
.LBB1695_231:                           ; =>This Inner Loop Header: Depth=1
	ds_load_b64 v[2:3], v34
	v_add_nc_u32_e32 v34, 0x400, v34
	s_wait_dscnt 0x0
	global_store_b64 v1, v[2:3], s[0:1] scale_offset
	s_wait_xcnt 0x0
	v_add_nc_u32_e32 v1, 0x80, v1
	s_delay_alu instid0(VALU_DEP_1) | instskip(SKIP_1) | instid1(SALU_CYCLE_1)
	v_cmp_ge_u32_e32 vcc_lo, v1, v26
	s_or_b32 s9, vcc_lo, s9
	s_and_not1_b32 exec_lo, exec_lo, s9
	s_cbranch_execnz .LBB1695_231
; %bb.232:
	s_or_b32 exec_lo, exec_lo, s9
.LBB1695_233:
	v_cmp_eq_u32_e32 vcc_lo, 0, v0
	s_mov_b32 s9, 0
	s_and_b32 s0, vcc_lo, s24
	s_delay_alu instid0(SALU_CYCLE_1)
	s_and_saveexec_b32 s1, s0
	s_cbranch_execz .LBB1695_235
; %bb.234:
	v_mov_b32_e32 v27, 0
	s_delay_alu instid0(VALU_DEP_1) | instskip(NEXT) | instid1(VALU_DEP_1)
	v_add_nc_u64_e32 v[0:1], s[14:15], v[26:27]
	v_add_nc_u64_e32 v[0:1], s[8:9], v[0:1]
	global_store_b64 v27, v[0:1], s[12:13]
.LBB1695_235:
	s_endpgm
	.section	.rodata,"a",@progbits
	.p2align	6, 0x0
	.amdhsa_kernel _ZN7rocprim17ROCPRIM_400000_NS6detail17trampoline_kernelINS0_14default_configENS1_25partition_config_selectorILNS1_17partition_subalgoE9EllbEEZZNS1_14partition_implILS5_9ELb0ES3_jPlS8_PNS0_10empty_typeENS0_5tupleIJS8_S9_EEENSB_IJS8_SA_EEENS0_18inequality_wrapperIZN2at6native12_GLOBAL__N_124unique_dim_cuda_templateImEESt5tupleIJNSF_6TensorESK_SK_EERKSK_lbbbEUlllE0_EEPmJS9_EEE10hipError_tPvRmT3_T4_T5_T6_T7_T9_mT8_P12ihipStream_tbDpT10_ENKUlT_T0_E_clISt17integral_constantIbLb0EES1A_EEDaS15_S16_EUlS15_E_NS1_11comp_targetILNS1_3genE0ELNS1_11target_archE4294967295ELNS1_3gpuE0ELNS1_3repE0EEENS1_30default_config_static_selectorELNS0_4arch9wavefront6targetE0EEEvT1_
		.amdhsa_group_segment_fixed_size 5128
		.amdhsa_private_segment_fixed_size 0
		.amdhsa_kernarg_size 120
		.amdhsa_user_sgpr_count 2
		.amdhsa_user_sgpr_dispatch_ptr 0
		.amdhsa_user_sgpr_queue_ptr 0
		.amdhsa_user_sgpr_kernarg_segment_ptr 1
		.amdhsa_user_sgpr_dispatch_id 0
		.amdhsa_user_sgpr_kernarg_preload_length 0
		.amdhsa_user_sgpr_kernarg_preload_offset 0
		.amdhsa_user_sgpr_private_segment_size 0
		.amdhsa_wavefront_size32 1
		.amdhsa_uses_dynamic_stack 0
		.amdhsa_enable_private_segment 0
		.amdhsa_system_sgpr_workgroup_id_x 1
		.amdhsa_system_sgpr_workgroup_id_y 0
		.amdhsa_system_sgpr_workgroup_id_z 0
		.amdhsa_system_sgpr_workgroup_info 0
		.amdhsa_system_vgpr_workitem_id 0
		.amdhsa_next_free_vgpr 56
		.amdhsa_next_free_sgpr 32
		.amdhsa_named_barrier_count 0
		.amdhsa_reserve_vcc 1
		.amdhsa_float_round_mode_32 0
		.amdhsa_float_round_mode_16_64 0
		.amdhsa_float_denorm_mode_32 3
		.amdhsa_float_denorm_mode_16_64 3
		.amdhsa_fp16_overflow 0
		.amdhsa_memory_ordered 1
		.amdhsa_forward_progress 1
		.amdhsa_inst_pref_size 74
		.amdhsa_round_robin_scheduling 0
		.amdhsa_exception_fp_ieee_invalid_op 0
		.amdhsa_exception_fp_denorm_src 0
		.amdhsa_exception_fp_ieee_div_zero 0
		.amdhsa_exception_fp_ieee_overflow 0
		.amdhsa_exception_fp_ieee_underflow 0
		.amdhsa_exception_fp_ieee_inexact 0
		.amdhsa_exception_int_div_zero 0
	.end_amdhsa_kernel
	.section	.text._ZN7rocprim17ROCPRIM_400000_NS6detail17trampoline_kernelINS0_14default_configENS1_25partition_config_selectorILNS1_17partition_subalgoE9EllbEEZZNS1_14partition_implILS5_9ELb0ES3_jPlS8_PNS0_10empty_typeENS0_5tupleIJS8_S9_EEENSB_IJS8_SA_EEENS0_18inequality_wrapperIZN2at6native12_GLOBAL__N_124unique_dim_cuda_templateImEESt5tupleIJNSF_6TensorESK_SK_EERKSK_lbbbEUlllE0_EEPmJS9_EEE10hipError_tPvRmT3_T4_T5_T6_T7_T9_mT8_P12ihipStream_tbDpT10_ENKUlT_T0_E_clISt17integral_constantIbLb0EES1A_EEDaS15_S16_EUlS15_E_NS1_11comp_targetILNS1_3genE0ELNS1_11target_archE4294967295ELNS1_3gpuE0ELNS1_3repE0EEENS1_30default_config_static_selectorELNS0_4arch9wavefront6targetE0EEEvT1_,"axG",@progbits,_ZN7rocprim17ROCPRIM_400000_NS6detail17trampoline_kernelINS0_14default_configENS1_25partition_config_selectorILNS1_17partition_subalgoE9EllbEEZZNS1_14partition_implILS5_9ELb0ES3_jPlS8_PNS0_10empty_typeENS0_5tupleIJS8_S9_EEENSB_IJS8_SA_EEENS0_18inequality_wrapperIZN2at6native12_GLOBAL__N_124unique_dim_cuda_templateImEESt5tupleIJNSF_6TensorESK_SK_EERKSK_lbbbEUlllE0_EEPmJS9_EEE10hipError_tPvRmT3_T4_T5_T6_T7_T9_mT8_P12ihipStream_tbDpT10_ENKUlT_T0_E_clISt17integral_constantIbLb0EES1A_EEDaS15_S16_EUlS15_E_NS1_11comp_targetILNS1_3genE0ELNS1_11target_archE4294967295ELNS1_3gpuE0ELNS1_3repE0EEENS1_30default_config_static_selectorELNS0_4arch9wavefront6targetE0EEEvT1_,comdat
.Lfunc_end1695:
	.size	_ZN7rocprim17ROCPRIM_400000_NS6detail17trampoline_kernelINS0_14default_configENS1_25partition_config_selectorILNS1_17partition_subalgoE9EllbEEZZNS1_14partition_implILS5_9ELb0ES3_jPlS8_PNS0_10empty_typeENS0_5tupleIJS8_S9_EEENSB_IJS8_SA_EEENS0_18inequality_wrapperIZN2at6native12_GLOBAL__N_124unique_dim_cuda_templateImEESt5tupleIJNSF_6TensorESK_SK_EERKSK_lbbbEUlllE0_EEPmJS9_EEE10hipError_tPvRmT3_T4_T5_T6_T7_T9_mT8_P12ihipStream_tbDpT10_ENKUlT_T0_E_clISt17integral_constantIbLb0EES1A_EEDaS15_S16_EUlS15_E_NS1_11comp_targetILNS1_3genE0ELNS1_11target_archE4294967295ELNS1_3gpuE0ELNS1_3repE0EEENS1_30default_config_static_selectorELNS0_4arch9wavefront6targetE0EEEvT1_, .Lfunc_end1695-_ZN7rocprim17ROCPRIM_400000_NS6detail17trampoline_kernelINS0_14default_configENS1_25partition_config_selectorILNS1_17partition_subalgoE9EllbEEZZNS1_14partition_implILS5_9ELb0ES3_jPlS8_PNS0_10empty_typeENS0_5tupleIJS8_S9_EEENSB_IJS8_SA_EEENS0_18inequality_wrapperIZN2at6native12_GLOBAL__N_124unique_dim_cuda_templateImEESt5tupleIJNSF_6TensorESK_SK_EERKSK_lbbbEUlllE0_EEPmJS9_EEE10hipError_tPvRmT3_T4_T5_T6_T7_T9_mT8_P12ihipStream_tbDpT10_ENKUlT_T0_E_clISt17integral_constantIbLb0EES1A_EEDaS15_S16_EUlS15_E_NS1_11comp_targetILNS1_3genE0ELNS1_11target_archE4294967295ELNS1_3gpuE0ELNS1_3repE0EEENS1_30default_config_static_selectorELNS0_4arch9wavefront6targetE0EEEvT1_
                                        ; -- End function
	.set _ZN7rocprim17ROCPRIM_400000_NS6detail17trampoline_kernelINS0_14default_configENS1_25partition_config_selectorILNS1_17partition_subalgoE9EllbEEZZNS1_14partition_implILS5_9ELb0ES3_jPlS8_PNS0_10empty_typeENS0_5tupleIJS8_S9_EEENSB_IJS8_SA_EEENS0_18inequality_wrapperIZN2at6native12_GLOBAL__N_124unique_dim_cuda_templateImEESt5tupleIJNSF_6TensorESK_SK_EERKSK_lbbbEUlllE0_EEPmJS9_EEE10hipError_tPvRmT3_T4_T5_T6_T7_T9_mT8_P12ihipStream_tbDpT10_ENKUlT_T0_E_clISt17integral_constantIbLb0EES1A_EEDaS15_S16_EUlS15_E_NS1_11comp_targetILNS1_3genE0ELNS1_11target_archE4294967295ELNS1_3gpuE0ELNS1_3repE0EEENS1_30default_config_static_selectorELNS0_4arch9wavefront6targetE0EEEvT1_.num_vgpr, 56
	.set _ZN7rocprim17ROCPRIM_400000_NS6detail17trampoline_kernelINS0_14default_configENS1_25partition_config_selectorILNS1_17partition_subalgoE9EllbEEZZNS1_14partition_implILS5_9ELb0ES3_jPlS8_PNS0_10empty_typeENS0_5tupleIJS8_S9_EEENSB_IJS8_SA_EEENS0_18inequality_wrapperIZN2at6native12_GLOBAL__N_124unique_dim_cuda_templateImEESt5tupleIJNSF_6TensorESK_SK_EERKSK_lbbbEUlllE0_EEPmJS9_EEE10hipError_tPvRmT3_T4_T5_T6_T7_T9_mT8_P12ihipStream_tbDpT10_ENKUlT_T0_E_clISt17integral_constantIbLb0EES1A_EEDaS15_S16_EUlS15_E_NS1_11comp_targetILNS1_3genE0ELNS1_11target_archE4294967295ELNS1_3gpuE0ELNS1_3repE0EEENS1_30default_config_static_selectorELNS0_4arch9wavefront6targetE0EEEvT1_.num_agpr, 0
	.set _ZN7rocprim17ROCPRIM_400000_NS6detail17trampoline_kernelINS0_14default_configENS1_25partition_config_selectorILNS1_17partition_subalgoE9EllbEEZZNS1_14partition_implILS5_9ELb0ES3_jPlS8_PNS0_10empty_typeENS0_5tupleIJS8_S9_EEENSB_IJS8_SA_EEENS0_18inequality_wrapperIZN2at6native12_GLOBAL__N_124unique_dim_cuda_templateImEESt5tupleIJNSF_6TensorESK_SK_EERKSK_lbbbEUlllE0_EEPmJS9_EEE10hipError_tPvRmT3_T4_T5_T6_T7_T9_mT8_P12ihipStream_tbDpT10_ENKUlT_T0_E_clISt17integral_constantIbLb0EES1A_EEDaS15_S16_EUlS15_E_NS1_11comp_targetILNS1_3genE0ELNS1_11target_archE4294967295ELNS1_3gpuE0ELNS1_3repE0EEENS1_30default_config_static_selectorELNS0_4arch9wavefront6targetE0EEEvT1_.numbered_sgpr, 32
	.set _ZN7rocprim17ROCPRIM_400000_NS6detail17trampoline_kernelINS0_14default_configENS1_25partition_config_selectorILNS1_17partition_subalgoE9EllbEEZZNS1_14partition_implILS5_9ELb0ES3_jPlS8_PNS0_10empty_typeENS0_5tupleIJS8_S9_EEENSB_IJS8_SA_EEENS0_18inequality_wrapperIZN2at6native12_GLOBAL__N_124unique_dim_cuda_templateImEESt5tupleIJNSF_6TensorESK_SK_EERKSK_lbbbEUlllE0_EEPmJS9_EEE10hipError_tPvRmT3_T4_T5_T6_T7_T9_mT8_P12ihipStream_tbDpT10_ENKUlT_T0_E_clISt17integral_constantIbLb0EES1A_EEDaS15_S16_EUlS15_E_NS1_11comp_targetILNS1_3genE0ELNS1_11target_archE4294967295ELNS1_3gpuE0ELNS1_3repE0EEENS1_30default_config_static_selectorELNS0_4arch9wavefront6targetE0EEEvT1_.num_named_barrier, 0
	.set _ZN7rocprim17ROCPRIM_400000_NS6detail17trampoline_kernelINS0_14default_configENS1_25partition_config_selectorILNS1_17partition_subalgoE9EllbEEZZNS1_14partition_implILS5_9ELb0ES3_jPlS8_PNS0_10empty_typeENS0_5tupleIJS8_S9_EEENSB_IJS8_SA_EEENS0_18inequality_wrapperIZN2at6native12_GLOBAL__N_124unique_dim_cuda_templateImEESt5tupleIJNSF_6TensorESK_SK_EERKSK_lbbbEUlllE0_EEPmJS9_EEE10hipError_tPvRmT3_T4_T5_T6_T7_T9_mT8_P12ihipStream_tbDpT10_ENKUlT_T0_E_clISt17integral_constantIbLb0EES1A_EEDaS15_S16_EUlS15_E_NS1_11comp_targetILNS1_3genE0ELNS1_11target_archE4294967295ELNS1_3gpuE0ELNS1_3repE0EEENS1_30default_config_static_selectorELNS0_4arch9wavefront6targetE0EEEvT1_.private_seg_size, 0
	.set _ZN7rocprim17ROCPRIM_400000_NS6detail17trampoline_kernelINS0_14default_configENS1_25partition_config_selectorILNS1_17partition_subalgoE9EllbEEZZNS1_14partition_implILS5_9ELb0ES3_jPlS8_PNS0_10empty_typeENS0_5tupleIJS8_S9_EEENSB_IJS8_SA_EEENS0_18inequality_wrapperIZN2at6native12_GLOBAL__N_124unique_dim_cuda_templateImEESt5tupleIJNSF_6TensorESK_SK_EERKSK_lbbbEUlllE0_EEPmJS9_EEE10hipError_tPvRmT3_T4_T5_T6_T7_T9_mT8_P12ihipStream_tbDpT10_ENKUlT_T0_E_clISt17integral_constantIbLb0EES1A_EEDaS15_S16_EUlS15_E_NS1_11comp_targetILNS1_3genE0ELNS1_11target_archE4294967295ELNS1_3gpuE0ELNS1_3repE0EEENS1_30default_config_static_selectorELNS0_4arch9wavefront6targetE0EEEvT1_.uses_vcc, 1
	.set _ZN7rocprim17ROCPRIM_400000_NS6detail17trampoline_kernelINS0_14default_configENS1_25partition_config_selectorILNS1_17partition_subalgoE9EllbEEZZNS1_14partition_implILS5_9ELb0ES3_jPlS8_PNS0_10empty_typeENS0_5tupleIJS8_S9_EEENSB_IJS8_SA_EEENS0_18inequality_wrapperIZN2at6native12_GLOBAL__N_124unique_dim_cuda_templateImEESt5tupleIJNSF_6TensorESK_SK_EERKSK_lbbbEUlllE0_EEPmJS9_EEE10hipError_tPvRmT3_T4_T5_T6_T7_T9_mT8_P12ihipStream_tbDpT10_ENKUlT_T0_E_clISt17integral_constantIbLb0EES1A_EEDaS15_S16_EUlS15_E_NS1_11comp_targetILNS1_3genE0ELNS1_11target_archE4294967295ELNS1_3gpuE0ELNS1_3repE0EEENS1_30default_config_static_selectorELNS0_4arch9wavefront6targetE0EEEvT1_.uses_flat_scratch, 0
	.set _ZN7rocprim17ROCPRIM_400000_NS6detail17trampoline_kernelINS0_14default_configENS1_25partition_config_selectorILNS1_17partition_subalgoE9EllbEEZZNS1_14partition_implILS5_9ELb0ES3_jPlS8_PNS0_10empty_typeENS0_5tupleIJS8_S9_EEENSB_IJS8_SA_EEENS0_18inequality_wrapperIZN2at6native12_GLOBAL__N_124unique_dim_cuda_templateImEESt5tupleIJNSF_6TensorESK_SK_EERKSK_lbbbEUlllE0_EEPmJS9_EEE10hipError_tPvRmT3_T4_T5_T6_T7_T9_mT8_P12ihipStream_tbDpT10_ENKUlT_T0_E_clISt17integral_constantIbLb0EES1A_EEDaS15_S16_EUlS15_E_NS1_11comp_targetILNS1_3genE0ELNS1_11target_archE4294967295ELNS1_3gpuE0ELNS1_3repE0EEENS1_30default_config_static_selectorELNS0_4arch9wavefront6targetE0EEEvT1_.has_dyn_sized_stack, 0
	.set _ZN7rocprim17ROCPRIM_400000_NS6detail17trampoline_kernelINS0_14default_configENS1_25partition_config_selectorILNS1_17partition_subalgoE9EllbEEZZNS1_14partition_implILS5_9ELb0ES3_jPlS8_PNS0_10empty_typeENS0_5tupleIJS8_S9_EEENSB_IJS8_SA_EEENS0_18inequality_wrapperIZN2at6native12_GLOBAL__N_124unique_dim_cuda_templateImEESt5tupleIJNSF_6TensorESK_SK_EERKSK_lbbbEUlllE0_EEPmJS9_EEE10hipError_tPvRmT3_T4_T5_T6_T7_T9_mT8_P12ihipStream_tbDpT10_ENKUlT_T0_E_clISt17integral_constantIbLb0EES1A_EEDaS15_S16_EUlS15_E_NS1_11comp_targetILNS1_3genE0ELNS1_11target_archE4294967295ELNS1_3gpuE0ELNS1_3repE0EEENS1_30default_config_static_selectorELNS0_4arch9wavefront6targetE0EEEvT1_.has_recursion, 0
	.set _ZN7rocprim17ROCPRIM_400000_NS6detail17trampoline_kernelINS0_14default_configENS1_25partition_config_selectorILNS1_17partition_subalgoE9EllbEEZZNS1_14partition_implILS5_9ELb0ES3_jPlS8_PNS0_10empty_typeENS0_5tupleIJS8_S9_EEENSB_IJS8_SA_EEENS0_18inequality_wrapperIZN2at6native12_GLOBAL__N_124unique_dim_cuda_templateImEESt5tupleIJNSF_6TensorESK_SK_EERKSK_lbbbEUlllE0_EEPmJS9_EEE10hipError_tPvRmT3_T4_T5_T6_T7_T9_mT8_P12ihipStream_tbDpT10_ENKUlT_T0_E_clISt17integral_constantIbLb0EES1A_EEDaS15_S16_EUlS15_E_NS1_11comp_targetILNS1_3genE0ELNS1_11target_archE4294967295ELNS1_3gpuE0ELNS1_3repE0EEENS1_30default_config_static_selectorELNS0_4arch9wavefront6targetE0EEEvT1_.has_indirect_call, 0
	.section	.AMDGPU.csdata,"",@progbits
; Kernel info:
; codeLenInByte = 9388
; TotalNumSgprs: 34
; NumVgprs: 56
; ScratchSize: 0
; MemoryBound: 0
; FloatMode: 240
; IeeeMode: 1
; LDSByteSize: 5128 bytes/workgroup (compile time only)
; SGPRBlocks: 0
; VGPRBlocks: 3
; NumSGPRsForWavesPerEU: 34
; NumVGPRsForWavesPerEU: 56
; NamedBarCnt: 0
; Occupancy: 16
; WaveLimiterHint : 1
; COMPUTE_PGM_RSRC2:SCRATCH_EN: 0
; COMPUTE_PGM_RSRC2:USER_SGPR: 2
; COMPUTE_PGM_RSRC2:TRAP_HANDLER: 0
; COMPUTE_PGM_RSRC2:TGID_X_EN: 1
; COMPUTE_PGM_RSRC2:TGID_Y_EN: 0
; COMPUTE_PGM_RSRC2:TGID_Z_EN: 0
; COMPUTE_PGM_RSRC2:TIDIG_COMP_CNT: 0
	.section	.text._ZN7rocprim17ROCPRIM_400000_NS6detail17trampoline_kernelINS0_14default_configENS1_25partition_config_selectorILNS1_17partition_subalgoE9EllbEEZZNS1_14partition_implILS5_9ELb0ES3_jPlS8_PNS0_10empty_typeENS0_5tupleIJS8_S9_EEENSB_IJS8_SA_EEENS0_18inequality_wrapperIZN2at6native12_GLOBAL__N_124unique_dim_cuda_templateImEESt5tupleIJNSF_6TensorESK_SK_EERKSK_lbbbEUlllE0_EEPmJS9_EEE10hipError_tPvRmT3_T4_T5_T6_T7_T9_mT8_P12ihipStream_tbDpT10_ENKUlT_T0_E_clISt17integral_constantIbLb0EES1A_EEDaS15_S16_EUlS15_E_NS1_11comp_targetILNS1_3genE5ELNS1_11target_archE942ELNS1_3gpuE9ELNS1_3repE0EEENS1_30default_config_static_selectorELNS0_4arch9wavefront6targetE0EEEvT1_,"axG",@progbits,_ZN7rocprim17ROCPRIM_400000_NS6detail17trampoline_kernelINS0_14default_configENS1_25partition_config_selectorILNS1_17partition_subalgoE9EllbEEZZNS1_14partition_implILS5_9ELb0ES3_jPlS8_PNS0_10empty_typeENS0_5tupleIJS8_S9_EEENSB_IJS8_SA_EEENS0_18inequality_wrapperIZN2at6native12_GLOBAL__N_124unique_dim_cuda_templateImEESt5tupleIJNSF_6TensorESK_SK_EERKSK_lbbbEUlllE0_EEPmJS9_EEE10hipError_tPvRmT3_T4_T5_T6_T7_T9_mT8_P12ihipStream_tbDpT10_ENKUlT_T0_E_clISt17integral_constantIbLb0EES1A_EEDaS15_S16_EUlS15_E_NS1_11comp_targetILNS1_3genE5ELNS1_11target_archE942ELNS1_3gpuE9ELNS1_3repE0EEENS1_30default_config_static_selectorELNS0_4arch9wavefront6targetE0EEEvT1_,comdat
	.globl	_ZN7rocprim17ROCPRIM_400000_NS6detail17trampoline_kernelINS0_14default_configENS1_25partition_config_selectorILNS1_17partition_subalgoE9EllbEEZZNS1_14partition_implILS5_9ELb0ES3_jPlS8_PNS0_10empty_typeENS0_5tupleIJS8_S9_EEENSB_IJS8_SA_EEENS0_18inequality_wrapperIZN2at6native12_GLOBAL__N_124unique_dim_cuda_templateImEESt5tupleIJNSF_6TensorESK_SK_EERKSK_lbbbEUlllE0_EEPmJS9_EEE10hipError_tPvRmT3_T4_T5_T6_T7_T9_mT8_P12ihipStream_tbDpT10_ENKUlT_T0_E_clISt17integral_constantIbLb0EES1A_EEDaS15_S16_EUlS15_E_NS1_11comp_targetILNS1_3genE5ELNS1_11target_archE942ELNS1_3gpuE9ELNS1_3repE0EEENS1_30default_config_static_selectorELNS0_4arch9wavefront6targetE0EEEvT1_ ; -- Begin function _ZN7rocprim17ROCPRIM_400000_NS6detail17trampoline_kernelINS0_14default_configENS1_25partition_config_selectorILNS1_17partition_subalgoE9EllbEEZZNS1_14partition_implILS5_9ELb0ES3_jPlS8_PNS0_10empty_typeENS0_5tupleIJS8_S9_EEENSB_IJS8_SA_EEENS0_18inequality_wrapperIZN2at6native12_GLOBAL__N_124unique_dim_cuda_templateImEESt5tupleIJNSF_6TensorESK_SK_EERKSK_lbbbEUlllE0_EEPmJS9_EEE10hipError_tPvRmT3_T4_T5_T6_T7_T9_mT8_P12ihipStream_tbDpT10_ENKUlT_T0_E_clISt17integral_constantIbLb0EES1A_EEDaS15_S16_EUlS15_E_NS1_11comp_targetILNS1_3genE5ELNS1_11target_archE942ELNS1_3gpuE9ELNS1_3repE0EEENS1_30default_config_static_selectorELNS0_4arch9wavefront6targetE0EEEvT1_
	.p2align	8
	.type	_ZN7rocprim17ROCPRIM_400000_NS6detail17trampoline_kernelINS0_14default_configENS1_25partition_config_selectorILNS1_17partition_subalgoE9EllbEEZZNS1_14partition_implILS5_9ELb0ES3_jPlS8_PNS0_10empty_typeENS0_5tupleIJS8_S9_EEENSB_IJS8_SA_EEENS0_18inequality_wrapperIZN2at6native12_GLOBAL__N_124unique_dim_cuda_templateImEESt5tupleIJNSF_6TensorESK_SK_EERKSK_lbbbEUlllE0_EEPmJS9_EEE10hipError_tPvRmT3_T4_T5_T6_T7_T9_mT8_P12ihipStream_tbDpT10_ENKUlT_T0_E_clISt17integral_constantIbLb0EES1A_EEDaS15_S16_EUlS15_E_NS1_11comp_targetILNS1_3genE5ELNS1_11target_archE942ELNS1_3gpuE9ELNS1_3repE0EEENS1_30default_config_static_selectorELNS0_4arch9wavefront6targetE0EEEvT1_,@function
_ZN7rocprim17ROCPRIM_400000_NS6detail17trampoline_kernelINS0_14default_configENS1_25partition_config_selectorILNS1_17partition_subalgoE9EllbEEZZNS1_14partition_implILS5_9ELb0ES3_jPlS8_PNS0_10empty_typeENS0_5tupleIJS8_S9_EEENSB_IJS8_SA_EEENS0_18inequality_wrapperIZN2at6native12_GLOBAL__N_124unique_dim_cuda_templateImEESt5tupleIJNSF_6TensorESK_SK_EERKSK_lbbbEUlllE0_EEPmJS9_EEE10hipError_tPvRmT3_T4_T5_T6_T7_T9_mT8_P12ihipStream_tbDpT10_ENKUlT_T0_E_clISt17integral_constantIbLb0EES1A_EEDaS15_S16_EUlS15_E_NS1_11comp_targetILNS1_3genE5ELNS1_11target_archE942ELNS1_3gpuE9ELNS1_3repE0EEENS1_30default_config_static_selectorELNS0_4arch9wavefront6targetE0EEEvT1_: ; @_ZN7rocprim17ROCPRIM_400000_NS6detail17trampoline_kernelINS0_14default_configENS1_25partition_config_selectorILNS1_17partition_subalgoE9EllbEEZZNS1_14partition_implILS5_9ELb0ES3_jPlS8_PNS0_10empty_typeENS0_5tupleIJS8_S9_EEENSB_IJS8_SA_EEENS0_18inequality_wrapperIZN2at6native12_GLOBAL__N_124unique_dim_cuda_templateImEESt5tupleIJNSF_6TensorESK_SK_EERKSK_lbbbEUlllE0_EEPmJS9_EEE10hipError_tPvRmT3_T4_T5_T6_T7_T9_mT8_P12ihipStream_tbDpT10_ENKUlT_T0_E_clISt17integral_constantIbLb0EES1A_EEDaS15_S16_EUlS15_E_NS1_11comp_targetILNS1_3genE5ELNS1_11target_archE942ELNS1_3gpuE9ELNS1_3repE0EEENS1_30default_config_static_selectorELNS0_4arch9wavefront6targetE0EEEvT1_
; %bb.0:
	.section	.rodata,"a",@progbits
	.p2align	6, 0x0
	.amdhsa_kernel _ZN7rocprim17ROCPRIM_400000_NS6detail17trampoline_kernelINS0_14default_configENS1_25partition_config_selectorILNS1_17partition_subalgoE9EllbEEZZNS1_14partition_implILS5_9ELb0ES3_jPlS8_PNS0_10empty_typeENS0_5tupleIJS8_S9_EEENSB_IJS8_SA_EEENS0_18inequality_wrapperIZN2at6native12_GLOBAL__N_124unique_dim_cuda_templateImEESt5tupleIJNSF_6TensorESK_SK_EERKSK_lbbbEUlllE0_EEPmJS9_EEE10hipError_tPvRmT3_T4_T5_T6_T7_T9_mT8_P12ihipStream_tbDpT10_ENKUlT_T0_E_clISt17integral_constantIbLb0EES1A_EEDaS15_S16_EUlS15_E_NS1_11comp_targetILNS1_3genE5ELNS1_11target_archE942ELNS1_3gpuE9ELNS1_3repE0EEENS1_30default_config_static_selectorELNS0_4arch9wavefront6targetE0EEEvT1_
		.amdhsa_group_segment_fixed_size 0
		.amdhsa_private_segment_fixed_size 0
		.amdhsa_kernarg_size 120
		.amdhsa_user_sgpr_count 2
		.amdhsa_user_sgpr_dispatch_ptr 0
		.amdhsa_user_sgpr_queue_ptr 0
		.amdhsa_user_sgpr_kernarg_segment_ptr 1
		.amdhsa_user_sgpr_dispatch_id 0
		.amdhsa_user_sgpr_kernarg_preload_length 0
		.amdhsa_user_sgpr_kernarg_preload_offset 0
		.amdhsa_user_sgpr_private_segment_size 0
		.amdhsa_wavefront_size32 1
		.amdhsa_uses_dynamic_stack 0
		.amdhsa_enable_private_segment 0
		.amdhsa_system_sgpr_workgroup_id_x 1
		.amdhsa_system_sgpr_workgroup_id_y 0
		.amdhsa_system_sgpr_workgroup_id_z 0
		.amdhsa_system_sgpr_workgroup_info 0
		.amdhsa_system_vgpr_workitem_id 0
		.amdhsa_next_free_vgpr 1
		.amdhsa_next_free_sgpr 1
		.amdhsa_named_barrier_count 0
		.amdhsa_reserve_vcc 0
		.amdhsa_float_round_mode_32 0
		.amdhsa_float_round_mode_16_64 0
		.amdhsa_float_denorm_mode_32 3
		.amdhsa_float_denorm_mode_16_64 3
		.amdhsa_fp16_overflow 0
		.amdhsa_memory_ordered 1
		.amdhsa_forward_progress 1
		.amdhsa_inst_pref_size 0
		.amdhsa_round_robin_scheduling 0
		.amdhsa_exception_fp_ieee_invalid_op 0
		.amdhsa_exception_fp_denorm_src 0
		.amdhsa_exception_fp_ieee_div_zero 0
		.amdhsa_exception_fp_ieee_overflow 0
		.amdhsa_exception_fp_ieee_underflow 0
		.amdhsa_exception_fp_ieee_inexact 0
		.amdhsa_exception_int_div_zero 0
	.end_amdhsa_kernel
	.section	.text._ZN7rocprim17ROCPRIM_400000_NS6detail17trampoline_kernelINS0_14default_configENS1_25partition_config_selectorILNS1_17partition_subalgoE9EllbEEZZNS1_14partition_implILS5_9ELb0ES3_jPlS8_PNS0_10empty_typeENS0_5tupleIJS8_S9_EEENSB_IJS8_SA_EEENS0_18inequality_wrapperIZN2at6native12_GLOBAL__N_124unique_dim_cuda_templateImEESt5tupleIJNSF_6TensorESK_SK_EERKSK_lbbbEUlllE0_EEPmJS9_EEE10hipError_tPvRmT3_T4_T5_T6_T7_T9_mT8_P12ihipStream_tbDpT10_ENKUlT_T0_E_clISt17integral_constantIbLb0EES1A_EEDaS15_S16_EUlS15_E_NS1_11comp_targetILNS1_3genE5ELNS1_11target_archE942ELNS1_3gpuE9ELNS1_3repE0EEENS1_30default_config_static_selectorELNS0_4arch9wavefront6targetE0EEEvT1_,"axG",@progbits,_ZN7rocprim17ROCPRIM_400000_NS6detail17trampoline_kernelINS0_14default_configENS1_25partition_config_selectorILNS1_17partition_subalgoE9EllbEEZZNS1_14partition_implILS5_9ELb0ES3_jPlS8_PNS0_10empty_typeENS0_5tupleIJS8_S9_EEENSB_IJS8_SA_EEENS0_18inequality_wrapperIZN2at6native12_GLOBAL__N_124unique_dim_cuda_templateImEESt5tupleIJNSF_6TensorESK_SK_EERKSK_lbbbEUlllE0_EEPmJS9_EEE10hipError_tPvRmT3_T4_T5_T6_T7_T9_mT8_P12ihipStream_tbDpT10_ENKUlT_T0_E_clISt17integral_constantIbLb0EES1A_EEDaS15_S16_EUlS15_E_NS1_11comp_targetILNS1_3genE5ELNS1_11target_archE942ELNS1_3gpuE9ELNS1_3repE0EEENS1_30default_config_static_selectorELNS0_4arch9wavefront6targetE0EEEvT1_,comdat
.Lfunc_end1696:
	.size	_ZN7rocprim17ROCPRIM_400000_NS6detail17trampoline_kernelINS0_14default_configENS1_25partition_config_selectorILNS1_17partition_subalgoE9EllbEEZZNS1_14partition_implILS5_9ELb0ES3_jPlS8_PNS0_10empty_typeENS0_5tupleIJS8_S9_EEENSB_IJS8_SA_EEENS0_18inequality_wrapperIZN2at6native12_GLOBAL__N_124unique_dim_cuda_templateImEESt5tupleIJNSF_6TensorESK_SK_EERKSK_lbbbEUlllE0_EEPmJS9_EEE10hipError_tPvRmT3_T4_T5_T6_T7_T9_mT8_P12ihipStream_tbDpT10_ENKUlT_T0_E_clISt17integral_constantIbLb0EES1A_EEDaS15_S16_EUlS15_E_NS1_11comp_targetILNS1_3genE5ELNS1_11target_archE942ELNS1_3gpuE9ELNS1_3repE0EEENS1_30default_config_static_selectorELNS0_4arch9wavefront6targetE0EEEvT1_, .Lfunc_end1696-_ZN7rocprim17ROCPRIM_400000_NS6detail17trampoline_kernelINS0_14default_configENS1_25partition_config_selectorILNS1_17partition_subalgoE9EllbEEZZNS1_14partition_implILS5_9ELb0ES3_jPlS8_PNS0_10empty_typeENS0_5tupleIJS8_S9_EEENSB_IJS8_SA_EEENS0_18inequality_wrapperIZN2at6native12_GLOBAL__N_124unique_dim_cuda_templateImEESt5tupleIJNSF_6TensorESK_SK_EERKSK_lbbbEUlllE0_EEPmJS9_EEE10hipError_tPvRmT3_T4_T5_T6_T7_T9_mT8_P12ihipStream_tbDpT10_ENKUlT_T0_E_clISt17integral_constantIbLb0EES1A_EEDaS15_S16_EUlS15_E_NS1_11comp_targetILNS1_3genE5ELNS1_11target_archE942ELNS1_3gpuE9ELNS1_3repE0EEENS1_30default_config_static_selectorELNS0_4arch9wavefront6targetE0EEEvT1_
                                        ; -- End function
	.set _ZN7rocprim17ROCPRIM_400000_NS6detail17trampoline_kernelINS0_14default_configENS1_25partition_config_selectorILNS1_17partition_subalgoE9EllbEEZZNS1_14partition_implILS5_9ELb0ES3_jPlS8_PNS0_10empty_typeENS0_5tupleIJS8_S9_EEENSB_IJS8_SA_EEENS0_18inequality_wrapperIZN2at6native12_GLOBAL__N_124unique_dim_cuda_templateImEESt5tupleIJNSF_6TensorESK_SK_EERKSK_lbbbEUlllE0_EEPmJS9_EEE10hipError_tPvRmT3_T4_T5_T6_T7_T9_mT8_P12ihipStream_tbDpT10_ENKUlT_T0_E_clISt17integral_constantIbLb0EES1A_EEDaS15_S16_EUlS15_E_NS1_11comp_targetILNS1_3genE5ELNS1_11target_archE942ELNS1_3gpuE9ELNS1_3repE0EEENS1_30default_config_static_selectorELNS0_4arch9wavefront6targetE0EEEvT1_.num_vgpr, 0
	.set _ZN7rocprim17ROCPRIM_400000_NS6detail17trampoline_kernelINS0_14default_configENS1_25partition_config_selectorILNS1_17partition_subalgoE9EllbEEZZNS1_14partition_implILS5_9ELb0ES3_jPlS8_PNS0_10empty_typeENS0_5tupleIJS8_S9_EEENSB_IJS8_SA_EEENS0_18inequality_wrapperIZN2at6native12_GLOBAL__N_124unique_dim_cuda_templateImEESt5tupleIJNSF_6TensorESK_SK_EERKSK_lbbbEUlllE0_EEPmJS9_EEE10hipError_tPvRmT3_T4_T5_T6_T7_T9_mT8_P12ihipStream_tbDpT10_ENKUlT_T0_E_clISt17integral_constantIbLb0EES1A_EEDaS15_S16_EUlS15_E_NS1_11comp_targetILNS1_3genE5ELNS1_11target_archE942ELNS1_3gpuE9ELNS1_3repE0EEENS1_30default_config_static_selectorELNS0_4arch9wavefront6targetE0EEEvT1_.num_agpr, 0
	.set _ZN7rocprim17ROCPRIM_400000_NS6detail17trampoline_kernelINS0_14default_configENS1_25partition_config_selectorILNS1_17partition_subalgoE9EllbEEZZNS1_14partition_implILS5_9ELb0ES3_jPlS8_PNS0_10empty_typeENS0_5tupleIJS8_S9_EEENSB_IJS8_SA_EEENS0_18inequality_wrapperIZN2at6native12_GLOBAL__N_124unique_dim_cuda_templateImEESt5tupleIJNSF_6TensorESK_SK_EERKSK_lbbbEUlllE0_EEPmJS9_EEE10hipError_tPvRmT3_T4_T5_T6_T7_T9_mT8_P12ihipStream_tbDpT10_ENKUlT_T0_E_clISt17integral_constantIbLb0EES1A_EEDaS15_S16_EUlS15_E_NS1_11comp_targetILNS1_3genE5ELNS1_11target_archE942ELNS1_3gpuE9ELNS1_3repE0EEENS1_30default_config_static_selectorELNS0_4arch9wavefront6targetE0EEEvT1_.numbered_sgpr, 0
	.set _ZN7rocprim17ROCPRIM_400000_NS6detail17trampoline_kernelINS0_14default_configENS1_25partition_config_selectorILNS1_17partition_subalgoE9EllbEEZZNS1_14partition_implILS5_9ELb0ES3_jPlS8_PNS0_10empty_typeENS0_5tupleIJS8_S9_EEENSB_IJS8_SA_EEENS0_18inequality_wrapperIZN2at6native12_GLOBAL__N_124unique_dim_cuda_templateImEESt5tupleIJNSF_6TensorESK_SK_EERKSK_lbbbEUlllE0_EEPmJS9_EEE10hipError_tPvRmT3_T4_T5_T6_T7_T9_mT8_P12ihipStream_tbDpT10_ENKUlT_T0_E_clISt17integral_constantIbLb0EES1A_EEDaS15_S16_EUlS15_E_NS1_11comp_targetILNS1_3genE5ELNS1_11target_archE942ELNS1_3gpuE9ELNS1_3repE0EEENS1_30default_config_static_selectorELNS0_4arch9wavefront6targetE0EEEvT1_.num_named_barrier, 0
	.set _ZN7rocprim17ROCPRIM_400000_NS6detail17trampoline_kernelINS0_14default_configENS1_25partition_config_selectorILNS1_17partition_subalgoE9EllbEEZZNS1_14partition_implILS5_9ELb0ES3_jPlS8_PNS0_10empty_typeENS0_5tupleIJS8_S9_EEENSB_IJS8_SA_EEENS0_18inequality_wrapperIZN2at6native12_GLOBAL__N_124unique_dim_cuda_templateImEESt5tupleIJNSF_6TensorESK_SK_EERKSK_lbbbEUlllE0_EEPmJS9_EEE10hipError_tPvRmT3_T4_T5_T6_T7_T9_mT8_P12ihipStream_tbDpT10_ENKUlT_T0_E_clISt17integral_constantIbLb0EES1A_EEDaS15_S16_EUlS15_E_NS1_11comp_targetILNS1_3genE5ELNS1_11target_archE942ELNS1_3gpuE9ELNS1_3repE0EEENS1_30default_config_static_selectorELNS0_4arch9wavefront6targetE0EEEvT1_.private_seg_size, 0
	.set _ZN7rocprim17ROCPRIM_400000_NS6detail17trampoline_kernelINS0_14default_configENS1_25partition_config_selectorILNS1_17partition_subalgoE9EllbEEZZNS1_14partition_implILS5_9ELb0ES3_jPlS8_PNS0_10empty_typeENS0_5tupleIJS8_S9_EEENSB_IJS8_SA_EEENS0_18inequality_wrapperIZN2at6native12_GLOBAL__N_124unique_dim_cuda_templateImEESt5tupleIJNSF_6TensorESK_SK_EERKSK_lbbbEUlllE0_EEPmJS9_EEE10hipError_tPvRmT3_T4_T5_T6_T7_T9_mT8_P12ihipStream_tbDpT10_ENKUlT_T0_E_clISt17integral_constantIbLb0EES1A_EEDaS15_S16_EUlS15_E_NS1_11comp_targetILNS1_3genE5ELNS1_11target_archE942ELNS1_3gpuE9ELNS1_3repE0EEENS1_30default_config_static_selectorELNS0_4arch9wavefront6targetE0EEEvT1_.uses_vcc, 0
	.set _ZN7rocprim17ROCPRIM_400000_NS6detail17trampoline_kernelINS0_14default_configENS1_25partition_config_selectorILNS1_17partition_subalgoE9EllbEEZZNS1_14partition_implILS5_9ELb0ES3_jPlS8_PNS0_10empty_typeENS0_5tupleIJS8_S9_EEENSB_IJS8_SA_EEENS0_18inequality_wrapperIZN2at6native12_GLOBAL__N_124unique_dim_cuda_templateImEESt5tupleIJNSF_6TensorESK_SK_EERKSK_lbbbEUlllE0_EEPmJS9_EEE10hipError_tPvRmT3_T4_T5_T6_T7_T9_mT8_P12ihipStream_tbDpT10_ENKUlT_T0_E_clISt17integral_constantIbLb0EES1A_EEDaS15_S16_EUlS15_E_NS1_11comp_targetILNS1_3genE5ELNS1_11target_archE942ELNS1_3gpuE9ELNS1_3repE0EEENS1_30default_config_static_selectorELNS0_4arch9wavefront6targetE0EEEvT1_.uses_flat_scratch, 0
	.set _ZN7rocprim17ROCPRIM_400000_NS6detail17trampoline_kernelINS0_14default_configENS1_25partition_config_selectorILNS1_17partition_subalgoE9EllbEEZZNS1_14partition_implILS5_9ELb0ES3_jPlS8_PNS0_10empty_typeENS0_5tupleIJS8_S9_EEENSB_IJS8_SA_EEENS0_18inequality_wrapperIZN2at6native12_GLOBAL__N_124unique_dim_cuda_templateImEESt5tupleIJNSF_6TensorESK_SK_EERKSK_lbbbEUlllE0_EEPmJS9_EEE10hipError_tPvRmT3_T4_T5_T6_T7_T9_mT8_P12ihipStream_tbDpT10_ENKUlT_T0_E_clISt17integral_constantIbLb0EES1A_EEDaS15_S16_EUlS15_E_NS1_11comp_targetILNS1_3genE5ELNS1_11target_archE942ELNS1_3gpuE9ELNS1_3repE0EEENS1_30default_config_static_selectorELNS0_4arch9wavefront6targetE0EEEvT1_.has_dyn_sized_stack, 0
	.set _ZN7rocprim17ROCPRIM_400000_NS6detail17trampoline_kernelINS0_14default_configENS1_25partition_config_selectorILNS1_17partition_subalgoE9EllbEEZZNS1_14partition_implILS5_9ELb0ES3_jPlS8_PNS0_10empty_typeENS0_5tupleIJS8_S9_EEENSB_IJS8_SA_EEENS0_18inequality_wrapperIZN2at6native12_GLOBAL__N_124unique_dim_cuda_templateImEESt5tupleIJNSF_6TensorESK_SK_EERKSK_lbbbEUlllE0_EEPmJS9_EEE10hipError_tPvRmT3_T4_T5_T6_T7_T9_mT8_P12ihipStream_tbDpT10_ENKUlT_T0_E_clISt17integral_constantIbLb0EES1A_EEDaS15_S16_EUlS15_E_NS1_11comp_targetILNS1_3genE5ELNS1_11target_archE942ELNS1_3gpuE9ELNS1_3repE0EEENS1_30default_config_static_selectorELNS0_4arch9wavefront6targetE0EEEvT1_.has_recursion, 0
	.set _ZN7rocprim17ROCPRIM_400000_NS6detail17trampoline_kernelINS0_14default_configENS1_25partition_config_selectorILNS1_17partition_subalgoE9EllbEEZZNS1_14partition_implILS5_9ELb0ES3_jPlS8_PNS0_10empty_typeENS0_5tupleIJS8_S9_EEENSB_IJS8_SA_EEENS0_18inequality_wrapperIZN2at6native12_GLOBAL__N_124unique_dim_cuda_templateImEESt5tupleIJNSF_6TensorESK_SK_EERKSK_lbbbEUlllE0_EEPmJS9_EEE10hipError_tPvRmT3_T4_T5_T6_T7_T9_mT8_P12ihipStream_tbDpT10_ENKUlT_T0_E_clISt17integral_constantIbLb0EES1A_EEDaS15_S16_EUlS15_E_NS1_11comp_targetILNS1_3genE5ELNS1_11target_archE942ELNS1_3gpuE9ELNS1_3repE0EEENS1_30default_config_static_selectorELNS0_4arch9wavefront6targetE0EEEvT1_.has_indirect_call, 0
	.section	.AMDGPU.csdata,"",@progbits
; Kernel info:
; codeLenInByte = 0
; TotalNumSgprs: 0
; NumVgprs: 0
; ScratchSize: 0
; MemoryBound: 0
; FloatMode: 240
; IeeeMode: 1
; LDSByteSize: 0 bytes/workgroup (compile time only)
; SGPRBlocks: 0
; VGPRBlocks: 0
; NumSGPRsForWavesPerEU: 1
; NumVGPRsForWavesPerEU: 1
; NamedBarCnt: 0
; Occupancy: 16
; WaveLimiterHint : 0
; COMPUTE_PGM_RSRC2:SCRATCH_EN: 0
; COMPUTE_PGM_RSRC2:USER_SGPR: 2
; COMPUTE_PGM_RSRC2:TRAP_HANDLER: 0
; COMPUTE_PGM_RSRC2:TGID_X_EN: 1
; COMPUTE_PGM_RSRC2:TGID_Y_EN: 0
; COMPUTE_PGM_RSRC2:TGID_Z_EN: 0
; COMPUTE_PGM_RSRC2:TIDIG_COMP_CNT: 0
	.section	.text._ZN7rocprim17ROCPRIM_400000_NS6detail17trampoline_kernelINS0_14default_configENS1_25partition_config_selectorILNS1_17partition_subalgoE9EllbEEZZNS1_14partition_implILS5_9ELb0ES3_jPlS8_PNS0_10empty_typeENS0_5tupleIJS8_S9_EEENSB_IJS8_SA_EEENS0_18inequality_wrapperIZN2at6native12_GLOBAL__N_124unique_dim_cuda_templateImEESt5tupleIJNSF_6TensorESK_SK_EERKSK_lbbbEUlllE0_EEPmJS9_EEE10hipError_tPvRmT3_T4_T5_T6_T7_T9_mT8_P12ihipStream_tbDpT10_ENKUlT_T0_E_clISt17integral_constantIbLb0EES1A_EEDaS15_S16_EUlS15_E_NS1_11comp_targetILNS1_3genE4ELNS1_11target_archE910ELNS1_3gpuE8ELNS1_3repE0EEENS1_30default_config_static_selectorELNS0_4arch9wavefront6targetE0EEEvT1_,"axG",@progbits,_ZN7rocprim17ROCPRIM_400000_NS6detail17trampoline_kernelINS0_14default_configENS1_25partition_config_selectorILNS1_17partition_subalgoE9EllbEEZZNS1_14partition_implILS5_9ELb0ES3_jPlS8_PNS0_10empty_typeENS0_5tupleIJS8_S9_EEENSB_IJS8_SA_EEENS0_18inequality_wrapperIZN2at6native12_GLOBAL__N_124unique_dim_cuda_templateImEESt5tupleIJNSF_6TensorESK_SK_EERKSK_lbbbEUlllE0_EEPmJS9_EEE10hipError_tPvRmT3_T4_T5_T6_T7_T9_mT8_P12ihipStream_tbDpT10_ENKUlT_T0_E_clISt17integral_constantIbLb0EES1A_EEDaS15_S16_EUlS15_E_NS1_11comp_targetILNS1_3genE4ELNS1_11target_archE910ELNS1_3gpuE8ELNS1_3repE0EEENS1_30default_config_static_selectorELNS0_4arch9wavefront6targetE0EEEvT1_,comdat
	.globl	_ZN7rocprim17ROCPRIM_400000_NS6detail17trampoline_kernelINS0_14default_configENS1_25partition_config_selectorILNS1_17partition_subalgoE9EllbEEZZNS1_14partition_implILS5_9ELb0ES3_jPlS8_PNS0_10empty_typeENS0_5tupleIJS8_S9_EEENSB_IJS8_SA_EEENS0_18inequality_wrapperIZN2at6native12_GLOBAL__N_124unique_dim_cuda_templateImEESt5tupleIJNSF_6TensorESK_SK_EERKSK_lbbbEUlllE0_EEPmJS9_EEE10hipError_tPvRmT3_T4_T5_T6_T7_T9_mT8_P12ihipStream_tbDpT10_ENKUlT_T0_E_clISt17integral_constantIbLb0EES1A_EEDaS15_S16_EUlS15_E_NS1_11comp_targetILNS1_3genE4ELNS1_11target_archE910ELNS1_3gpuE8ELNS1_3repE0EEENS1_30default_config_static_selectorELNS0_4arch9wavefront6targetE0EEEvT1_ ; -- Begin function _ZN7rocprim17ROCPRIM_400000_NS6detail17trampoline_kernelINS0_14default_configENS1_25partition_config_selectorILNS1_17partition_subalgoE9EllbEEZZNS1_14partition_implILS5_9ELb0ES3_jPlS8_PNS0_10empty_typeENS0_5tupleIJS8_S9_EEENSB_IJS8_SA_EEENS0_18inequality_wrapperIZN2at6native12_GLOBAL__N_124unique_dim_cuda_templateImEESt5tupleIJNSF_6TensorESK_SK_EERKSK_lbbbEUlllE0_EEPmJS9_EEE10hipError_tPvRmT3_T4_T5_T6_T7_T9_mT8_P12ihipStream_tbDpT10_ENKUlT_T0_E_clISt17integral_constantIbLb0EES1A_EEDaS15_S16_EUlS15_E_NS1_11comp_targetILNS1_3genE4ELNS1_11target_archE910ELNS1_3gpuE8ELNS1_3repE0EEENS1_30default_config_static_selectorELNS0_4arch9wavefront6targetE0EEEvT1_
	.p2align	8
	.type	_ZN7rocprim17ROCPRIM_400000_NS6detail17trampoline_kernelINS0_14default_configENS1_25partition_config_selectorILNS1_17partition_subalgoE9EllbEEZZNS1_14partition_implILS5_9ELb0ES3_jPlS8_PNS0_10empty_typeENS0_5tupleIJS8_S9_EEENSB_IJS8_SA_EEENS0_18inequality_wrapperIZN2at6native12_GLOBAL__N_124unique_dim_cuda_templateImEESt5tupleIJNSF_6TensorESK_SK_EERKSK_lbbbEUlllE0_EEPmJS9_EEE10hipError_tPvRmT3_T4_T5_T6_T7_T9_mT8_P12ihipStream_tbDpT10_ENKUlT_T0_E_clISt17integral_constantIbLb0EES1A_EEDaS15_S16_EUlS15_E_NS1_11comp_targetILNS1_3genE4ELNS1_11target_archE910ELNS1_3gpuE8ELNS1_3repE0EEENS1_30default_config_static_selectorELNS0_4arch9wavefront6targetE0EEEvT1_,@function
_ZN7rocprim17ROCPRIM_400000_NS6detail17trampoline_kernelINS0_14default_configENS1_25partition_config_selectorILNS1_17partition_subalgoE9EllbEEZZNS1_14partition_implILS5_9ELb0ES3_jPlS8_PNS0_10empty_typeENS0_5tupleIJS8_S9_EEENSB_IJS8_SA_EEENS0_18inequality_wrapperIZN2at6native12_GLOBAL__N_124unique_dim_cuda_templateImEESt5tupleIJNSF_6TensorESK_SK_EERKSK_lbbbEUlllE0_EEPmJS9_EEE10hipError_tPvRmT3_T4_T5_T6_T7_T9_mT8_P12ihipStream_tbDpT10_ENKUlT_T0_E_clISt17integral_constantIbLb0EES1A_EEDaS15_S16_EUlS15_E_NS1_11comp_targetILNS1_3genE4ELNS1_11target_archE910ELNS1_3gpuE8ELNS1_3repE0EEENS1_30default_config_static_selectorELNS0_4arch9wavefront6targetE0EEEvT1_: ; @_ZN7rocprim17ROCPRIM_400000_NS6detail17trampoline_kernelINS0_14default_configENS1_25partition_config_selectorILNS1_17partition_subalgoE9EllbEEZZNS1_14partition_implILS5_9ELb0ES3_jPlS8_PNS0_10empty_typeENS0_5tupleIJS8_S9_EEENSB_IJS8_SA_EEENS0_18inequality_wrapperIZN2at6native12_GLOBAL__N_124unique_dim_cuda_templateImEESt5tupleIJNSF_6TensorESK_SK_EERKSK_lbbbEUlllE0_EEPmJS9_EEE10hipError_tPvRmT3_T4_T5_T6_T7_T9_mT8_P12ihipStream_tbDpT10_ENKUlT_T0_E_clISt17integral_constantIbLb0EES1A_EEDaS15_S16_EUlS15_E_NS1_11comp_targetILNS1_3genE4ELNS1_11target_archE910ELNS1_3gpuE8ELNS1_3repE0EEENS1_30default_config_static_selectorELNS0_4arch9wavefront6targetE0EEEvT1_
; %bb.0:
	.section	.rodata,"a",@progbits
	.p2align	6, 0x0
	.amdhsa_kernel _ZN7rocprim17ROCPRIM_400000_NS6detail17trampoline_kernelINS0_14default_configENS1_25partition_config_selectorILNS1_17partition_subalgoE9EllbEEZZNS1_14partition_implILS5_9ELb0ES3_jPlS8_PNS0_10empty_typeENS0_5tupleIJS8_S9_EEENSB_IJS8_SA_EEENS0_18inequality_wrapperIZN2at6native12_GLOBAL__N_124unique_dim_cuda_templateImEESt5tupleIJNSF_6TensorESK_SK_EERKSK_lbbbEUlllE0_EEPmJS9_EEE10hipError_tPvRmT3_T4_T5_T6_T7_T9_mT8_P12ihipStream_tbDpT10_ENKUlT_T0_E_clISt17integral_constantIbLb0EES1A_EEDaS15_S16_EUlS15_E_NS1_11comp_targetILNS1_3genE4ELNS1_11target_archE910ELNS1_3gpuE8ELNS1_3repE0EEENS1_30default_config_static_selectorELNS0_4arch9wavefront6targetE0EEEvT1_
		.amdhsa_group_segment_fixed_size 0
		.amdhsa_private_segment_fixed_size 0
		.amdhsa_kernarg_size 120
		.amdhsa_user_sgpr_count 2
		.amdhsa_user_sgpr_dispatch_ptr 0
		.amdhsa_user_sgpr_queue_ptr 0
		.amdhsa_user_sgpr_kernarg_segment_ptr 1
		.amdhsa_user_sgpr_dispatch_id 0
		.amdhsa_user_sgpr_kernarg_preload_length 0
		.amdhsa_user_sgpr_kernarg_preload_offset 0
		.amdhsa_user_sgpr_private_segment_size 0
		.amdhsa_wavefront_size32 1
		.amdhsa_uses_dynamic_stack 0
		.amdhsa_enable_private_segment 0
		.amdhsa_system_sgpr_workgroup_id_x 1
		.amdhsa_system_sgpr_workgroup_id_y 0
		.amdhsa_system_sgpr_workgroup_id_z 0
		.amdhsa_system_sgpr_workgroup_info 0
		.amdhsa_system_vgpr_workitem_id 0
		.amdhsa_next_free_vgpr 1
		.amdhsa_next_free_sgpr 1
		.amdhsa_named_barrier_count 0
		.amdhsa_reserve_vcc 0
		.amdhsa_float_round_mode_32 0
		.amdhsa_float_round_mode_16_64 0
		.amdhsa_float_denorm_mode_32 3
		.amdhsa_float_denorm_mode_16_64 3
		.amdhsa_fp16_overflow 0
		.amdhsa_memory_ordered 1
		.amdhsa_forward_progress 1
		.amdhsa_inst_pref_size 0
		.amdhsa_round_robin_scheduling 0
		.amdhsa_exception_fp_ieee_invalid_op 0
		.amdhsa_exception_fp_denorm_src 0
		.amdhsa_exception_fp_ieee_div_zero 0
		.amdhsa_exception_fp_ieee_overflow 0
		.amdhsa_exception_fp_ieee_underflow 0
		.amdhsa_exception_fp_ieee_inexact 0
		.amdhsa_exception_int_div_zero 0
	.end_amdhsa_kernel
	.section	.text._ZN7rocprim17ROCPRIM_400000_NS6detail17trampoline_kernelINS0_14default_configENS1_25partition_config_selectorILNS1_17partition_subalgoE9EllbEEZZNS1_14partition_implILS5_9ELb0ES3_jPlS8_PNS0_10empty_typeENS0_5tupleIJS8_S9_EEENSB_IJS8_SA_EEENS0_18inequality_wrapperIZN2at6native12_GLOBAL__N_124unique_dim_cuda_templateImEESt5tupleIJNSF_6TensorESK_SK_EERKSK_lbbbEUlllE0_EEPmJS9_EEE10hipError_tPvRmT3_T4_T5_T6_T7_T9_mT8_P12ihipStream_tbDpT10_ENKUlT_T0_E_clISt17integral_constantIbLb0EES1A_EEDaS15_S16_EUlS15_E_NS1_11comp_targetILNS1_3genE4ELNS1_11target_archE910ELNS1_3gpuE8ELNS1_3repE0EEENS1_30default_config_static_selectorELNS0_4arch9wavefront6targetE0EEEvT1_,"axG",@progbits,_ZN7rocprim17ROCPRIM_400000_NS6detail17trampoline_kernelINS0_14default_configENS1_25partition_config_selectorILNS1_17partition_subalgoE9EllbEEZZNS1_14partition_implILS5_9ELb0ES3_jPlS8_PNS0_10empty_typeENS0_5tupleIJS8_S9_EEENSB_IJS8_SA_EEENS0_18inequality_wrapperIZN2at6native12_GLOBAL__N_124unique_dim_cuda_templateImEESt5tupleIJNSF_6TensorESK_SK_EERKSK_lbbbEUlllE0_EEPmJS9_EEE10hipError_tPvRmT3_T4_T5_T6_T7_T9_mT8_P12ihipStream_tbDpT10_ENKUlT_T0_E_clISt17integral_constantIbLb0EES1A_EEDaS15_S16_EUlS15_E_NS1_11comp_targetILNS1_3genE4ELNS1_11target_archE910ELNS1_3gpuE8ELNS1_3repE0EEENS1_30default_config_static_selectorELNS0_4arch9wavefront6targetE0EEEvT1_,comdat
.Lfunc_end1697:
	.size	_ZN7rocprim17ROCPRIM_400000_NS6detail17trampoline_kernelINS0_14default_configENS1_25partition_config_selectorILNS1_17partition_subalgoE9EllbEEZZNS1_14partition_implILS5_9ELb0ES3_jPlS8_PNS0_10empty_typeENS0_5tupleIJS8_S9_EEENSB_IJS8_SA_EEENS0_18inequality_wrapperIZN2at6native12_GLOBAL__N_124unique_dim_cuda_templateImEESt5tupleIJNSF_6TensorESK_SK_EERKSK_lbbbEUlllE0_EEPmJS9_EEE10hipError_tPvRmT3_T4_T5_T6_T7_T9_mT8_P12ihipStream_tbDpT10_ENKUlT_T0_E_clISt17integral_constantIbLb0EES1A_EEDaS15_S16_EUlS15_E_NS1_11comp_targetILNS1_3genE4ELNS1_11target_archE910ELNS1_3gpuE8ELNS1_3repE0EEENS1_30default_config_static_selectorELNS0_4arch9wavefront6targetE0EEEvT1_, .Lfunc_end1697-_ZN7rocprim17ROCPRIM_400000_NS6detail17trampoline_kernelINS0_14default_configENS1_25partition_config_selectorILNS1_17partition_subalgoE9EllbEEZZNS1_14partition_implILS5_9ELb0ES3_jPlS8_PNS0_10empty_typeENS0_5tupleIJS8_S9_EEENSB_IJS8_SA_EEENS0_18inequality_wrapperIZN2at6native12_GLOBAL__N_124unique_dim_cuda_templateImEESt5tupleIJNSF_6TensorESK_SK_EERKSK_lbbbEUlllE0_EEPmJS9_EEE10hipError_tPvRmT3_T4_T5_T6_T7_T9_mT8_P12ihipStream_tbDpT10_ENKUlT_T0_E_clISt17integral_constantIbLb0EES1A_EEDaS15_S16_EUlS15_E_NS1_11comp_targetILNS1_3genE4ELNS1_11target_archE910ELNS1_3gpuE8ELNS1_3repE0EEENS1_30default_config_static_selectorELNS0_4arch9wavefront6targetE0EEEvT1_
                                        ; -- End function
	.set _ZN7rocprim17ROCPRIM_400000_NS6detail17trampoline_kernelINS0_14default_configENS1_25partition_config_selectorILNS1_17partition_subalgoE9EllbEEZZNS1_14partition_implILS5_9ELb0ES3_jPlS8_PNS0_10empty_typeENS0_5tupleIJS8_S9_EEENSB_IJS8_SA_EEENS0_18inequality_wrapperIZN2at6native12_GLOBAL__N_124unique_dim_cuda_templateImEESt5tupleIJNSF_6TensorESK_SK_EERKSK_lbbbEUlllE0_EEPmJS9_EEE10hipError_tPvRmT3_T4_T5_T6_T7_T9_mT8_P12ihipStream_tbDpT10_ENKUlT_T0_E_clISt17integral_constantIbLb0EES1A_EEDaS15_S16_EUlS15_E_NS1_11comp_targetILNS1_3genE4ELNS1_11target_archE910ELNS1_3gpuE8ELNS1_3repE0EEENS1_30default_config_static_selectorELNS0_4arch9wavefront6targetE0EEEvT1_.num_vgpr, 0
	.set _ZN7rocprim17ROCPRIM_400000_NS6detail17trampoline_kernelINS0_14default_configENS1_25partition_config_selectorILNS1_17partition_subalgoE9EllbEEZZNS1_14partition_implILS5_9ELb0ES3_jPlS8_PNS0_10empty_typeENS0_5tupleIJS8_S9_EEENSB_IJS8_SA_EEENS0_18inequality_wrapperIZN2at6native12_GLOBAL__N_124unique_dim_cuda_templateImEESt5tupleIJNSF_6TensorESK_SK_EERKSK_lbbbEUlllE0_EEPmJS9_EEE10hipError_tPvRmT3_T4_T5_T6_T7_T9_mT8_P12ihipStream_tbDpT10_ENKUlT_T0_E_clISt17integral_constantIbLb0EES1A_EEDaS15_S16_EUlS15_E_NS1_11comp_targetILNS1_3genE4ELNS1_11target_archE910ELNS1_3gpuE8ELNS1_3repE0EEENS1_30default_config_static_selectorELNS0_4arch9wavefront6targetE0EEEvT1_.num_agpr, 0
	.set _ZN7rocprim17ROCPRIM_400000_NS6detail17trampoline_kernelINS0_14default_configENS1_25partition_config_selectorILNS1_17partition_subalgoE9EllbEEZZNS1_14partition_implILS5_9ELb0ES3_jPlS8_PNS0_10empty_typeENS0_5tupleIJS8_S9_EEENSB_IJS8_SA_EEENS0_18inequality_wrapperIZN2at6native12_GLOBAL__N_124unique_dim_cuda_templateImEESt5tupleIJNSF_6TensorESK_SK_EERKSK_lbbbEUlllE0_EEPmJS9_EEE10hipError_tPvRmT3_T4_T5_T6_T7_T9_mT8_P12ihipStream_tbDpT10_ENKUlT_T0_E_clISt17integral_constantIbLb0EES1A_EEDaS15_S16_EUlS15_E_NS1_11comp_targetILNS1_3genE4ELNS1_11target_archE910ELNS1_3gpuE8ELNS1_3repE0EEENS1_30default_config_static_selectorELNS0_4arch9wavefront6targetE0EEEvT1_.numbered_sgpr, 0
	.set _ZN7rocprim17ROCPRIM_400000_NS6detail17trampoline_kernelINS0_14default_configENS1_25partition_config_selectorILNS1_17partition_subalgoE9EllbEEZZNS1_14partition_implILS5_9ELb0ES3_jPlS8_PNS0_10empty_typeENS0_5tupleIJS8_S9_EEENSB_IJS8_SA_EEENS0_18inequality_wrapperIZN2at6native12_GLOBAL__N_124unique_dim_cuda_templateImEESt5tupleIJNSF_6TensorESK_SK_EERKSK_lbbbEUlllE0_EEPmJS9_EEE10hipError_tPvRmT3_T4_T5_T6_T7_T9_mT8_P12ihipStream_tbDpT10_ENKUlT_T0_E_clISt17integral_constantIbLb0EES1A_EEDaS15_S16_EUlS15_E_NS1_11comp_targetILNS1_3genE4ELNS1_11target_archE910ELNS1_3gpuE8ELNS1_3repE0EEENS1_30default_config_static_selectorELNS0_4arch9wavefront6targetE0EEEvT1_.num_named_barrier, 0
	.set _ZN7rocprim17ROCPRIM_400000_NS6detail17trampoline_kernelINS0_14default_configENS1_25partition_config_selectorILNS1_17partition_subalgoE9EllbEEZZNS1_14partition_implILS5_9ELb0ES3_jPlS8_PNS0_10empty_typeENS0_5tupleIJS8_S9_EEENSB_IJS8_SA_EEENS0_18inequality_wrapperIZN2at6native12_GLOBAL__N_124unique_dim_cuda_templateImEESt5tupleIJNSF_6TensorESK_SK_EERKSK_lbbbEUlllE0_EEPmJS9_EEE10hipError_tPvRmT3_T4_T5_T6_T7_T9_mT8_P12ihipStream_tbDpT10_ENKUlT_T0_E_clISt17integral_constantIbLb0EES1A_EEDaS15_S16_EUlS15_E_NS1_11comp_targetILNS1_3genE4ELNS1_11target_archE910ELNS1_3gpuE8ELNS1_3repE0EEENS1_30default_config_static_selectorELNS0_4arch9wavefront6targetE0EEEvT1_.private_seg_size, 0
	.set _ZN7rocprim17ROCPRIM_400000_NS6detail17trampoline_kernelINS0_14default_configENS1_25partition_config_selectorILNS1_17partition_subalgoE9EllbEEZZNS1_14partition_implILS5_9ELb0ES3_jPlS8_PNS0_10empty_typeENS0_5tupleIJS8_S9_EEENSB_IJS8_SA_EEENS0_18inequality_wrapperIZN2at6native12_GLOBAL__N_124unique_dim_cuda_templateImEESt5tupleIJNSF_6TensorESK_SK_EERKSK_lbbbEUlllE0_EEPmJS9_EEE10hipError_tPvRmT3_T4_T5_T6_T7_T9_mT8_P12ihipStream_tbDpT10_ENKUlT_T0_E_clISt17integral_constantIbLb0EES1A_EEDaS15_S16_EUlS15_E_NS1_11comp_targetILNS1_3genE4ELNS1_11target_archE910ELNS1_3gpuE8ELNS1_3repE0EEENS1_30default_config_static_selectorELNS0_4arch9wavefront6targetE0EEEvT1_.uses_vcc, 0
	.set _ZN7rocprim17ROCPRIM_400000_NS6detail17trampoline_kernelINS0_14default_configENS1_25partition_config_selectorILNS1_17partition_subalgoE9EllbEEZZNS1_14partition_implILS5_9ELb0ES3_jPlS8_PNS0_10empty_typeENS0_5tupleIJS8_S9_EEENSB_IJS8_SA_EEENS0_18inequality_wrapperIZN2at6native12_GLOBAL__N_124unique_dim_cuda_templateImEESt5tupleIJNSF_6TensorESK_SK_EERKSK_lbbbEUlllE0_EEPmJS9_EEE10hipError_tPvRmT3_T4_T5_T6_T7_T9_mT8_P12ihipStream_tbDpT10_ENKUlT_T0_E_clISt17integral_constantIbLb0EES1A_EEDaS15_S16_EUlS15_E_NS1_11comp_targetILNS1_3genE4ELNS1_11target_archE910ELNS1_3gpuE8ELNS1_3repE0EEENS1_30default_config_static_selectorELNS0_4arch9wavefront6targetE0EEEvT1_.uses_flat_scratch, 0
	.set _ZN7rocprim17ROCPRIM_400000_NS6detail17trampoline_kernelINS0_14default_configENS1_25partition_config_selectorILNS1_17partition_subalgoE9EllbEEZZNS1_14partition_implILS5_9ELb0ES3_jPlS8_PNS0_10empty_typeENS0_5tupleIJS8_S9_EEENSB_IJS8_SA_EEENS0_18inequality_wrapperIZN2at6native12_GLOBAL__N_124unique_dim_cuda_templateImEESt5tupleIJNSF_6TensorESK_SK_EERKSK_lbbbEUlllE0_EEPmJS9_EEE10hipError_tPvRmT3_T4_T5_T6_T7_T9_mT8_P12ihipStream_tbDpT10_ENKUlT_T0_E_clISt17integral_constantIbLb0EES1A_EEDaS15_S16_EUlS15_E_NS1_11comp_targetILNS1_3genE4ELNS1_11target_archE910ELNS1_3gpuE8ELNS1_3repE0EEENS1_30default_config_static_selectorELNS0_4arch9wavefront6targetE0EEEvT1_.has_dyn_sized_stack, 0
	.set _ZN7rocprim17ROCPRIM_400000_NS6detail17trampoline_kernelINS0_14default_configENS1_25partition_config_selectorILNS1_17partition_subalgoE9EllbEEZZNS1_14partition_implILS5_9ELb0ES3_jPlS8_PNS0_10empty_typeENS0_5tupleIJS8_S9_EEENSB_IJS8_SA_EEENS0_18inequality_wrapperIZN2at6native12_GLOBAL__N_124unique_dim_cuda_templateImEESt5tupleIJNSF_6TensorESK_SK_EERKSK_lbbbEUlllE0_EEPmJS9_EEE10hipError_tPvRmT3_T4_T5_T6_T7_T9_mT8_P12ihipStream_tbDpT10_ENKUlT_T0_E_clISt17integral_constantIbLb0EES1A_EEDaS15_S16_EUlS15_E_NS1_11comp_targetILNS1_3genE4ELNS1_11target_archE910ELNS1_3gpuE8ELNS1_3repE0EEENS1_30default_config_static_selectorELNS0_4arch9wavefront6targetE0EEEvT1_.has_recursion, 0
	.set _ZN7rocprim17ROCPRIM_400000_NS6detail17trampoline_kernelINS0_14default_configENS1_25partition_config_selectorILNS1_17partition_subalgoE9EllbEEZZNS1_14partition_implILS5_9ELb0ES3_jPlS8_PNS0_10empty_typeENS0_5tupleIJS8_S9_EEENSB_IJS8_SA_EEENS0_18inequality_wrapperIZN2at6native12_GLOBAL__N_124unique_dim_cuda_templateImEESt5tupleIJNSF_6TensorESK_SK_EERKSK_lbbbEUlllE0_EEPmJS9_EEE10hipError_tPvRmT3_T4_T5_T6_T7_T9_mT8_P12ihipStream_tbDpT10_ENKUlT_T0_E_clISt17integral_constantIbLb0EES1A_EEDaS15_S16_EUlS15_E_NS1_11comp_targetILNS1_3genE4ELNS1_11target_archE910ELNS1_3gpuE8ELNS1_3repE0EEENS1_30default_config_static_selectorELNS0_4arch9wavefront6targetE0EEEvT1_.has_indirect_call, 0
	.section	.AMDGPU.csdata,"",@progbits
; Kernel info:
; codeLenInByte = 0
; TotalNumSgprs: 0
; NumVgprs: 0
; ScratchSize: 0
; MemoryBound: 0
; FloatMode: 240
; IeeeMode: 1
; LDSByteSize: 0 bytes/workgroup (compile time only)
; SGPRBlocks: 0
; VGPRBlocks: 0
; NumSGPRsForWavesPerEU: 1
; NumVGPRsForWavesPerEU: 1
; NamedBarCnt: 0
; Occupancy: 16
; WaveLimiterHint : 0
; COMPUTE_PGM_RSRC2:SCRATCH_EN: 0
; COMPUTE_PGM_RSRC2:USER_SGPR: 2
; COMPUTE_PGM_RSRC2:TRAP_HANDLER: 0
; COMPUTE_PGM_RSRC2:TGID_X_EN: 1
; COMPUTE_PGM_RSRC2:TGID_Y_EN: 0
; COMPUTE_PGM_RSRC2:TGID_Z_EN: 0
; COMPUTE_PGM_RSRC2:TIDIG_COMP_CNT: 0
	.section	.text._ZN7rocprim17ROCPRIM_400000_NS6detail17trampoline_kernelINS0_14default_configENS1_25partition_config_selectorILNS1_17partition_subalgoE9EllbEEZZNS1_14partition_implILS5_9ELb0ES3_jPlS8_PNS0_10empty_typeENS0_5tupleIJS8_S9_EEENSB_IJS8_SA_EEENS0_18inequality_wrapperIZN2at6native12_GLOBAL__N_124unique_dim_cuda_templateImEESt5tupleIJNSF_6TensorESK_SK_EERKSK_lbbbEUlllE0_EEPmJS9_EEE10hipError_tPvRmT3_T4_T5_T6_T7_T9_mT8_P12ihipStream_tbDpT10_ENKUlT_T0_E_clISt17integral_constantIbLb0EES1A_EEDaS15_S16_EUlS15_E_NS1_11comp_targetILNS1_3genE3ELNS1_11target_archE908ELNS1_3gpuE7ELNS1_3repE0EEENS1_30default_config_static_selectorELNS0_4arch9wavefront6targetE0EEEvT1_,"axG",@progbits,_ZN7rocprim17ROCPRIM_400000_NS6detail17trampoline_kernelINS0_14default_configENS1_25partition_config_selectorILNS1_17partition_subalgoE9EllbEEZZNS1_14partition_implILS5_9ELb0ES3_jPlS8_PNS0_10empty_typeENS0_5tupleIJS8_S9_EEENSB_IJS8_SA_EEENS0_18inequality_wrapperIZN2at6native12_GLOBAL__N_124unique_dim_cuda_templateImEESt5tupleIJNSF_6TensorESK_SK_EERKSK_lbbbEUlllE0_EEPmJS9_EEE10hipError_tPvRmT3_T4_T5_T6_T7_T9_mT8_P12ihipStream_tbDpT10_ENKUlT_T0_E_clISt17integral_constantIbLb0EES1A_EEDaS15_S16_EUlS15_E_NS1_11comp_targetILNS1_3genE3ELNS1_11target_archE908ELNS1_3gpuE7ELNS1_3repE0EEENS1_30default_config_static_selectorELNS0_4arch9wavefront6targetE0EEEvT1_,comdat
	.globl	_ZN7rocprim17ROCPRIM_400000_NS6detail17trampoline_kernelINS0_14default_configENS1_25partition_config_selectorILNS1_17partition_subalgoE9EllbEEZZNS1_14partition_implILS5_9ELb0ES3_jPlS8_PNS0_10empty_typeENS0_5tupleIJS8_S9_EEENSB_IJS8_SA_EEENS0_18inequality_wrapperIZN2at6native12_GLOBAL__N_124unique_dim_cuda_templateImEESt5tupleIJNSF_6TensorESK_SK_EERKSK_lbbbEUlllE0_EEPmJS9_EEE10hipError_tPvRmT3_T4_T5_T6_T7_T9_mT8_P12ihipStream_tbDpT10_ENKUlT_T0_E_clISt17integral_constantIbLb0EES1A_EEDaS15_S16_EUlS15_E_NS1_11comp_targetILNS1_3genE3ELNS1_11target_archE908ELNS1_3gpuE7ELNS1_3repE0EEENS1_30default_config_static_selectorELNS0_4arch9wavefront6targetE0EEEvT1_ ; -- Begin function _ZN7rocprim17ROCPRIM_400000_NS6detail17trampoline_kernelINS0_14default_configENS1_25partition_config_selectorILNS1_17partition_subalgoE9EllbEEZZNS1_14partition_implILS5_9ELb0ES3_jPlS8_PNS0_10empty_typeENS0_5tupleIJS8_S9_EEENSB_IJS8_SA_EEENS0_18inequality_wrapperIZN2at6native12_GLOBAL__N_124unique_dim_cuda_templateImEESt5tupleIJNSF_6TensorESK_SK_EERKSK_lbbbEUlllE0_EEPmJS9_EEE10hipError_tPvRmT3_T4_T5_T6_T7_T9_mT8_P12ihipStream_tbDpT10_ENKUlT_T0_E_clISt17integral_constantIbLb0EES1A_EEDaS15_S16_EUlS15_E_NS1_11comp_targetILNS1_3genE3ELNS1_11target_archE908ELNS1_3gpuE7ELNS1_3repE0EEENS1_30default_config_static_selectorELNS0_4arch9wavefront6targetE0EEEvT1_
	.p2align	8
	.type	_ZN7rocprim17ROCPRIM_400000_NS6detail17trampoline_kernelINS0_14default_configENS1_25partition_config_selectorILNS1_17partition_subalgoE9EllbEEZZNS1_14partition_implILS5_9ELb0ES3_jPlS8_PNS0_10empty_typeENS0_5tupleIJS8_S9_EEENSB_IJS8_SA_EEENS0_18inequality_wrapperIZN2at6native12_GLOBAL__N_124unique_dim_cuda_templateImEESt5tupleIJNSF_6TensorESK_SK_EERKSK_lbbbEUlllE0_EEPmJS9_EEE10hipError_tPvRmT3_T4_T5_T6_T7_T9_mT8_P12ihipStream_tbDpT10_ENKUlT_T0_E_clISt17integral_constantIbLb0EES1A_EEDaS15_S16_EUlS15_E_NS1_11comp_targetILNS1_3genE3ELNS1_11target_archE908ELNS1_3gpuE7ELNS1_3repE0EEENS1_30default_config_static_selectorELNS0_4arch9wavefront6targetE0EEEvT1_,@function
_ZN7rocprim17ROCPRIM_400000_NS6detail17trampoline_kernelINS0_14default_configENS1_25partition_config_selectorILNS1_17partition_subalgoE9EllbEEZZNS1_14partition_implILS5_9ELb0ES3_jPlS8_PNS0_10empty_typeENS0_5tupleIJS8_S9_EEENSB_IJS8_SA_EEENS0_18inequality_wrapperIZN2at6native12_GLOBAL__N_124unique_dim_cuda_templateImEESt5tupleIJNSF_6TensorESK_SK_EERKSK_lbbbEUlllE0_EEPmJS9_EEE10hipError_tPvRmT3_T4_T5_T6_T7_T9_mT8_P12ihipStream_tbDpT10_ENKUlT_T0_E_clISt17integral_constantIbLb0EES1A_EEDaS15_S16_EUlS15_E_NS1_11comp_targetILNS1_3genE3ELNS1_11target_archE908ELNS1_3gpuE7ELNS1_3repE0EEENS1_30default_config_static_selectorELNS0_4arch9wavefront6targetE0EEEvT1_: ; @_ZN7rocprim17ROCPRIM_400000_NS6detail17trampoline_kernelINS0_14default_configENS1_25partition_config_selectorILNS1_17partition_subalgoE9EllbEEZZNS1_14partition_implILS5_9ELb0ES3_jPlS8_PNS0_10empty_typeENS0_5tupleIJS8_S9_EEENSB_IJS8_SA_EEENS0_18inequality_wrapperIZN2at6native12_GLOBAL__N_124unique_dim_cuda_templateImEESt5tupleIJNSF_6TensorESK_SK_EERKSK_lbbbEUlllE0_EEPmJS9_EEE10hipError_tPvRmT3_T4_T5_T6_T7_T9_mT8_P12ihipStream_tbDpT10_ENKUlT_T0_E_clISt17integral_constantIbLb0EES1A_EEDaS15_S16_EUlS15_E_NS1_11comp_targetILNS1_3genE3ELNS1_11target_archE908ELNS1_3gpuE7ELNS1_3repE0EEENS1_30default_config_static_selectorELNS0_4arch9wavefront6targetE0EEEvT1_
; %bb.0:
	.section	.rodata,"a",@progbits
	.p2align	6, 0x0
	.amdhsa_kernel _ZN7rocprim17ROCPRIM_400000_NS6detail17trampoline_kernelINS0_14default_configENS1_25partition_config_selectorILNS1_17partition_subalgoE9EllbEEZZNS1_14partition_implILS5_9ELb0ES3_jPlS8_PNS0_10empty_typeENS0_5tupleIJS8_S9_EEENSB_IJS8_SA_EEENS0_18inequality_wrapperIZN2at6native12_GLOBAL__N_124unique_dim_cuda_templateImEESt5tupleIJNSF_6TensorESK_SK_EERKSK_lbbbEUlllE0_EEPmJS9_EEE10hipError_tPvRmT3_T4_T5_T6_T7_T9_mT8_P12ihipStream_tbDpT10_ENKUlT_T0_E_clISt17integral_constantIbLb0EES1A_EEDaS15_S16_EUlS15_E_NS1_11comp_targetILNS1_3genE3ELNS1_11target_archE908ELNS1_3gpuE7ELNS1_3repE0EEENS1_30default_config_static_selectorELNS0_4arch9wavefront6targetE0EEEvT1_
		.amdhsa_group_segment_fixed_size 0
		.amdhsa_private_segment_fixed_size 0
		.amdhsa_kernarg_size 120
		.amdhsa_user_sgpr_count 2
		.amdhsa_user_sgpr_dispatch_ptr 0
		.amdhsa_user_sgpr_queue_ptr 0
		.amdhsa_user_sgpr_kernarg_segment_ptr 1
		.amdhsa_user_sgpr_dispatch_id 0
		.amdhsa_user_sgpr_kernarg_preload_length 0
		.amdhsa_user_sgpr_kernarg_preload_offset 0
		.amdhsa_user_sgpr_private_segment_size 0
		.amdhsa_wavefront_size32 1
		.amdhsa_uses_dynamic_stack 0
		.amdhsa_enable_private_segment 0
		.amdhsa_system_sgpr_workgroup_id_x 1
		.amdhsa_system_sgpr_workgroup_id_y 0
		.amdhsa_system_sgpr_workgroup_id_z 0
		.amdhsa_system_sgpr_workgroup_info 0
		.amdhsa_system_vgpr_workitem_id 0
		.amdhsa_next_free_vgpr 1
		.amdhsa_next_free_sgpr 1
		.amdhsa_named_barrier_count 0
		.amdhsa_reserve_vcc 0
		.amdhsa_float_round_mode_32 0
		.amdhsa_float_round_mode_16_64 0
		.amdhsa_float_denorm_mode_32 3
		.amdhsa_float_denorm_mode_16_64 3
		.amdhsa_fp16_overflow 0
		.amdhsa_memory_ordered 1
		.amdhsa_forward_progress 1
		.amdhsa_inst_pref_size 0
		.amdhsa_round_robin_scheduling 0
		.amdhsa_exception_fp_ieee_invalid_op 0
		.amdhsa_exception_fp_denorm_src 0
		.amdhsa_exception_fp_ieee_div_zero 0
		.amdhsa_exception_fp_ieee_overflow 0
		.amdhsa_exception_fp_ieee_underflow 0
		.amdhsa_exception_fp_ieee_inexact 0
		.amdhsa_exception_int_div_zero 0
	.end_amdhsa_kernel
	.section	.text._ZN7rocprim17ROCPRIM_400000_NS6detail17trampoline_kernelINS0_14default_configENS1_25partition_config_selectorILNS1_17partition_subalgoE9EllbEEZZNS1_14partition_implILS5_9ELb0ES3_jPlS8_PNS0_10empty_typeENS0_5tupleIJS8_S9_EEENSB_IJS8_SA_EEENS0_18inequality_wrapperIZN2at6native12_GLOBAL__N_124unique_dim_cuda_templateImEESt5tupleIJNSF_6TensorESK_SK_EERKSK_lbbbEUlllE0_EEPmJS9_EEE10hipError_tPvRmT3_T4_T5_T6_T7_T9_mT8_P12ihipStream_tbDpT10_ENKUlT_T0_E_clISt17integral_constantIbLb0EES1A_EEDaS15_S16_EUlS15_E_NS1_11comp_targetILNS1_3genE3ELNS1_11target_archE908ELNS1_3gpuE7ELNS1_3repE0EEENS1_30default_config_static_selectorELNS0_4arch9wavefront6targetE0EEEvT1_,"axG",@progbits,_ZN7rocprim17ROCPRIM_400000_NS6detail17trampoline_kernelINS0_14default_configENS1_25partition_config_selectorILNS1_17partition_subalgoE9EllbEEZZNS1_14partition_implILS5_9ELb0ES3_jPlS8_PNS0_10empty_typeENS0_5tupleIJS8_S9_EEENSB_IJS8_SA_EEENS0_18inequality_wrapperIZN2at6native12_GLOBAL__N_124unique_dim_cuda_templateImEESt5tupleIJNSF_6TensorESK_SK_EERKSK_lbbbEUlllE0_EEPmJS9_EEE10hipError_tPvRmT3_T4_T5_T6_T7_T9_mT8_P12ihipStream_tbDpT10_ENKUlT_T0_E_clISt17integral_constantIbLb0EES1A_EEDaS15_S16_EUlS15_E_NS1_11comp_targetILNS1_3genE3ELNS1_11target_archE908ELNS1_3gpuE7ELNS1_3repE0EEENS1_30default_config_static_selectorELNS0_4arch9wavefront6targetE0EEEvT1_,comdat
.Lfunc_end1698:
	.size	_ZN7rocprim17ROCPRIM_400000_NS6detail17trampoline_kernelINS0_14default_configENS1_25partition_config_selectorILNS1_17partition_subalgoE9EllbEEZZNS1_14partition_implILS5_9ELb0ES3_jPlS8_PNS0_10empty_typeENS0_5tupleIJS8_S9_EEENSB_IJS8_SA_EEENS0_18inequality_wrapperIZN2at6native12_GLOBAL__N_124unique_dim_cuda_templateImEESt5tupleIJNSF_6TensorESK_SK_EERKSK_lbbbEUlllE0_EEPmJS9_EEE10hipError_tPvRmT3_T4_T5_T6_T7_T9_mT8_P12ihipStream_tbDpT10_ENKUlT_T0_E_clISt17integral_constantIbLb0EES1A_EEDaS15_S16_EUlS15_E_NS1_11comp_targetILNS1_3genE3ELNS1_11target_archE908ELNS1_3gpuE7ELNS1_3repE0EEENS1_30default_config_static_selectorELNS0_4arch9wavefront6targetE0EEEvT1_, .Lfunc_end1698-_ZN7rocprim17ROCPRIM_400000_NS6detail17trampoline_kernelINS0_14default_configENS1_25partition_config_selectorILNS1_17partition_subalgoE9EllbEEZZNS1_14partition_implILS5_9ELb0ES3_jPlS8_PNS0_10empty_typeENS0_5tupleIJS8_S9_EEENSB_IJS8_SA_EEENS0_18inequality_wrapperIZN2at6native12_GLOBAL__N_124unique_dim_cuda_templateImEESt5tupleIJNSF_6TensorESK_SK_EERKSK_lbbbEUlllE0_EEPmJS9_EEE10hipError_tPvRmT3_T4_T5_T6_T7_T9_mT8_P12ihipStream_tbDpT10_ENKUlT_T0_E_clISt17integral_constantIbLb0EES1A_EEDaS15_S16_EUlS15_E_NS1_11comp_targetILNS1_3genE3ELNS1_11target_archE908ELNS1_3gpuE7ELNS1_3repE0EEENS1_30default_config_static_selectorELNS0_4arch9wavefront6targetE0EEEvT1_
                                        ; -- End function
	.set _ZN7rocprim17ROCPRIM_400000_NS6detail17trampoline_kernelINS0_14default_configENS1_25partition_config_selectorILNS1_17partition_subalgoE9EllbEEZZNS1_14partition_implILS5_9ELb0ES3_jPlS8_PNS0_10empty_typeENS0_5tupleIJS8_S9_EEENSB_IJS8_SA_EEENS0_18inequality_wrapperIZN2at6native12_GLOBAL__N_124unique_dim_cuda_templateImEESt5tupleIJNSF_6TensorESK_SK_EERKSK_lbbbEUlllE0_EEPmJS9_EEE10hipError_tPvRmT3_T4_T5_T6_T7_T9_mT8_P12ihipStream_tbDpT10_ENKUlT_T0_E_clISt17integral_constantIbLb0EES1A_EEDaS15_S16_EUlS15_E_NS1_11comp_targetILNS1_3genE3ELNS1_11target_archE908ELNS1_3gpuE7ELNS1_3repE0EEENS1_30default_config_static_selectorELNS0_4arch9wavefront6targetE0EEEvT1_.num_vgpr, 0
	.set _ZN7rocprim17ROCPRIM_400000_NS6detail17trampoline_kernelINS0_14default_configENS1_25partition_config_selectorILNS1_17partition_subalgoE9EllbEEZZNS1_14partition_implILS5_9ELb0ES3_jPlS8_PNS0_10empty_typeENS0_5tupleIJS8_S9_EEENSB_IJS8_SA_EEENS0_18inequality_wrapperIZN2at6native12_GLOBAL__N_124unique_dim_cuda_templateImEESt5tupleIJNSF_6TensorESK_SK_EERKSK_lbbbEUlllE0_EEPmJS9_EEE10hipError_tPvRmT3_T4_T5_T6_T7_T9_mT8_P12ihipStream_tbDpT10_ENKUlT_T0_E_clISt17integral_constantIbLb0EES1A_EEDaS15_S16_EUlS15_E_NS1_11comp_targetILNS1_3genE3ELNS1_11target_archE908ELNS1_3gpuE7ELNS1_3repE0EEENS1_30default_config_static_selectorELNS0_4arch9wavefront6targetE0EEEvT1_.num_agpr, 0
	.set _ZN7rocprim17ROCPRIM_400000_NS6detail17trampoline_kernelINS0_14default_configENS1_25partition_config_selectorILNS1_17partition_subalgoE9EllbEEZZNS1_14partition_implILS5_9ELb0ES3_jPlS8_PNS0_10empty_typeENS0_5tupleIJS8_S9_EEENSB_IJS8_SA_EEENS0_18inequality_wrapperIZN2at6native12_GLOBAL__N_124unique_dim_cuda_templateImEESt5tupleIJNSF_6TensorESK_SK_EERKSK_lbbbEUlllE0_EEPmJS9_EEE10hipError_tPvRmT3_T4_T5_T6_T7_T9_mT8_P12ihipStream_tbDpT10_ENKUlT_T0_E_clISt17integral_constantIbLb0EES1A_EEDaS15_S16_EUlS15_E_NS1_11comp_targetILNS1_3genE3ELNS1_11target_archE908ELNS1_3gpuE7ELNS1_3repE0EEENS1_30default_config_static_selectorELNS0_4arch9wavefront6targetE0EEEvT1_.numbered_sgpr, 0
	.set _ZN7rocprim17ROCPRIM_400000_NS6detail17trampoline_kernelINS0_14default_configENS1_25partition_config_selectorILNS1_17partition_subalgoE9EllbEEZZNS1_14partition_implILS5_9ELb0ES3_jPlS8_PNS0_10empty_typeENS0_5tupleIJS8_S9_EEENSB_IJS8_SA_EEENS0_18inequality_wrapperIZN2at6native12_GLOBAL__N_124unique_dim_cuda_templateImEESt5tupleIJNSF_6TensorESK_SK_EERKSK_lbbbEUlllE0_EEPmJS9_EEE10hipError_tPvRmT3_T4_T5_T6_T7_T9_mT8_P12ihipStream_tbDpT10_ENKUlT_T0_E_clISt17integral_constantIbLb0EES1A_EEDaS15_S16_EUlS15_E_NS1_11comp_targetILNS1_3genE3ELNS1_11target_archE908ELNS1_3gpuE7ELNS1_3repE0EEENS1_30default_config_static_selectorELNS0_4arch9wavefront6targetE0EEEvT1_.num_named_barrier, 0
	.set _ZN7rocprim17ROCPRIM_400000_NS6detail17trampoline_kernelINS0_14default_configENS1_25partition_config_selectorILNS1_17partition_subalgoE9EllbEEZZNS1_14partition_implILS5_9ELb0ES3_jPlS8_PNS0_10empty_typeENS0_5tupleIJS8_S9_EEENSB_IJS8_SA_EEENS0_18inequality_wrapperIZN2at6native12_GLOBAL__N_124unique_dim_cuda_templateImEESt5tupleIJNSF_6TensorESK_SK_EERKSK_lbbbEUlllE0_EEPmJS9_EEE10hipError_tPvRmT3_T4_T5_T6_T7_T9_mT8_P12ihipStream_tbDpT10_ENKUlT_T0_E_clISt17integral_constantIbLb0EES1A_EEDaS15_S16_EUlS15_E_NS1_11comp_targetILNS1_3genE3ELNS1_11target_archE908ELNS1_3gpuE7ELNS1_3repE0EEENS1_30default_config_static_selectorELNS0_4arch9wavefront6targetE0EEEvT1_.private_seg_size, 0
	.set _ZN7rocprim17ROCPRIM_400000_NS6detail17trampoline_kernelINS0_14default_configENS1_25partition_config_selectorILNS1_17partition_subalgoE9EllbEEZZNS1_14partition_implILS5_9ELb0ES3_jPlS8_PNS0_10empty_typeENS0_5tupleIJS8_S9_EEENSB_IJS8_SA_EEENS0_18inequality_wrapperIZN2at6native12_GLOBAL__N_124unique_dim_cuda_templateImEESt5tupleIJNSF_6TensorESK_SK_EERKSK_lbbbEUlllE0_EEPmJS9_EEE10hipError_tPvRmT3_T4_T5_T6_T7_T9_mT8_P12ihipStream_tbDpT10_ENKUlT_T0_E_clISt17integral_constantIbLb0EES1A_EEDaS15_S16_EUlS15_E_NS1_11comp_targetILNS1_3genE3ELNS1_11target_archE908ELNS1_3gpuE7ELNS1_3repE0EEENS1_30default_config_static_selectorELNS0_4arch9wavefront6targetE0EEEvT1_.uses_vcc, 0
	.set _ZN7rocprim17ROCPRIM_400000_NS6detail17trampoline_kernelINS0_14default_configENS1_25partition_config_selectorILNS1_17partition_subalgoE9EllbEEZZNS1_14partition_implILS5_9ELb0ES3_jPlS8_PNS0_10empty_typeENS0_5tupleIJS8_S9_EEENSB_IJS8_SA_EEENS0_18inequality_wrapperIZN2at6native12_GLOBAL__N_124unique_dim_cuda_templateImEESt5tupleIJNSF_6TensorESK_SK_EERKSK_lbbbEUlllE0_EEPmJS9_EEE10hipError_tPvRmT3_T4_T5_T6_T7_T9_mT8_P12ihipStream_tbDpT10_ENKUlT_T0_E_clISt17integral_constantIbLb0EES1A_EEDaS15_S16_EUlS15_E_NS1_11comp_targetILNS1_3genE3ELNS1_11target_archE908ELNS1_3gpuE7ELNS1_3repE0EEENS1_30default_config_static_selectorELNS0_4arch9wavefront6targetE0EEEvT1_.uses_flat_scratch, 0
	.set _ZN7rocprim17ROCPRIM_400000_NS6detail17trampoline_kernelINS0_14default_configENS1_25partition_config_selectorILNS1_17partition_subalgoE9EllbEEZZNS1_14partition_implILS5_9ELb0ES3_jPlS8_PNS0_10empty_typeENS0_5tupleIJS8_S9_EEENSB_IJS8_SA_EEENS0_18inequality_wrapperIZN2at6native12_GLOBAL__N_124unique_dim_cuda_templateImEESt5tupleIJNSF_6TensorESK_SK_EERKSK_lbbbEUlllE0_EEPmJS9_EEE10hipError_tPvRmT3_T4_T5_T6_T7_T9_mT8_P12ihipStream_tbDpT10_ENKUlT_T0_E_clISt17integral_constantIbLb0EES1A_EEDaS15_S16_EUlS15_E_NS1_11comp_targetILNS1_3genE3ELNS1_11target_archE908ELNS1_3gpuE7ELNS1_3repE0EEENS1_30default_config_static_selectorELNS0_4arch9wavefront6targetE0EEEvT1_.has_dyn_sized_stack, 0
	.set _ZN7rocprim17ROCPRIM_400000_NS6detail17trampoline_kernelINS0_14default_configENS1_25partition_config_selectorILNS1_17partition_subalgoE9EllbEEZZNS1_14partition_implILS5_9ELb0ES3_jPlS8_PNS0_10empty_typeENS0_5tupleIJS8_S9_EEENSB_IJS8_SA_EEENS0_18inequality_wrapperIZN2at6native12_GLOBAL__N_124unique_dim_cuda_templateImEESt5tupleIJNSF_6TensorESK_SK_EERKSK_lbbbEUlllE0_EEPmJS9_EEE10hipError_tPvRmT3_T4_T5_T6_T7_T9_mT8_P12ihipStream_tbDpT10_ENKUlT_T0_E_clISt17integral_constantIbLb0EES1A_EEDaS15_S16_EUlS15_E_NS1_11comp_targetILNS1_3genE3ELNS1_11target_archE908ELNS1_3gpuE7ELNS1_3repE0EEENS1_30default_config_static_selectorELNS0_4arch9wavefront6targetE0EEEvT1_.has_recursion, 0
	.set _ZN7rocprim17ROCPRIM_400000_NS6detail17trampoline_kernelINS0_14default_configENS1_25partition_config_selectorILNS1_17partition_subalgoE9EllbEEZZNS1_14partition_implILS5_9ELb0ES3_jPlS8_PNS0_10empty_typeENS0_5tupleIJS8_S9_EEENSB_IJS8_SA_EEENS0_18inequality_wrapperIZN2at6native12_GLOBAL__N_124unique_dim_cuda_templateImEESt5tupleIJNSF_6TensorESK_SK_EERKSK_lbbbEUlllE0_EEPmJS9_EEE10hipError_tPvRmT3_T4_T5_T6_T7_T9_mT8_P12ihipStream_tbDpT10_ENKUlT_T0_E_clISt17integral_constantIbLb0EES1A_EEDaS15_S16_EUlS15_E_NS1_11comp_targetILNS1_3genE3ELNS1_11target_archE908ELNS1_3gpuE7ELNS1_3repE0EEENS1_30default_config_static_selectorELNS0_4arch9wavefront6targetE0EEEvT1_.has_indirect_call, 0
	.section	.AMDGPU.csdata,"",@progbits
; Kernel info:
; codeLenInByte = 0
; TotalNumSgprs: 0
; NumVgprs: 0
; ScratchSize: 0
; MemoryBound: 0
; FloatMode: 240
; IeeeMode: 1
; LDSByteSize: 0 bytes/workgroup (compile time only)
; SGPRBlocks: 0
; VGPRBlocks: 0
; NumSGPRsForWavesPerEU: 1
; NumVGPRsForWavesPerEU: 1
; NamedBarCnt: 0
; Occupancy: 16
; WaveLimiterHint : 0
; COMPUTE_PGM_RSRC2:SCRATCH_EN: 0
; COMPUTE_PGM_RSRC2:USER_SGPR: 2
; COMPUTE_PGM_RSRC2:TRAP_HANDLER: 0
; COMPUTE_PGM_RSRC2:TGID_X_EN: 1
; COMPUTE_PGM_RSRC2:TGID_Y_EN: 0
; COMPUTE_PGM_RSRC2:TGID_Z_EN: 0
; COMPUTE_PGM_RSRC2:TIDIG_COMP_CNT: 0
	.section	.text._ZN7rocprim17ROCPRIM_400000_NS6detail17trampoline_kernelINS0_14default_configENS1_25partition_config_selectorILNS1_17partition_subalgoE9EllbEEZZNS1_14partition_implILS5_9ELb0ES3_jPlS8_PNS0_10empty_typeENS0_5tupleIJS8_S9_EEENSB_IJS8_SA_EEENS0_18inequality_wrapperIZN2at6native12_GLOBAL__N_124unique_dim_cuda_templateImEESt5tupleIJNSF_6TensorESK_SK_EERKSK_lbbbEUlllE0_EEPmJS9_EEE10hipError_tPvRmT3_T4_T5_T6_T7_T9_mT8_P12ihipStream_tbDpT10_ENKUlT_T0_E_clISt17integral_constantIbLb0EES1A_EEDaS15_S16_EUlS15_E_NS1_11comp_targetILNS1_3genE2ELNS1_11target_archE906ELNS1_3gpuE6ELNS1_3repE0EEENS1_30default_config_static_selectorELNS0_4arch9wavefront6targetE0EEEvT1_,"axG",@progbits,_ZN7rocprim17ROCPRIM_400000_NS6detail17trampoline_kernelINS0_14default_configENS1_25partition_config_selectorILNS1_17partition_subalgoE9EllbEEZZNS1_14partition_implILS5_9ELb0ES3_jPlS8_PNS0_10empty_typeENS0_5tupleIJS8_S9_EEENSB_IJS8_SA_EEENS0_18inequality_wrapperIZN2at6native12_GLOBAL__N_124unique_dim_cuda_templateImEESt5tupleIJNSF_6TensorESK_SK_EERKSK_lbbbEUlllE0_EEPmJS9_EEE10hipError_tPvRmT3_T4_T5_T6_T7_T9_mT8_P12ihipStream_tbDpT10_ENKUlT_T0_E_clISt17integral_constantIbLb0EES1A_EEDaS15_S16_EUlS15_E_NS1_11comp_targetILNS1_3genE2ELNS1_11target_archE906ELNS1_3gpuE6ELNS1_3repE0EEENS1_30default_config_static_selectorELNS0_4arch9wavefront6targetE0EEEvT1_,comdat
	.globl	_ZN7rocprim17ROCPRIM_400000_NS6detail17trampoline_kernelINS0_14default_configENS1_25partition_config_selectorILNS1_17partition_subalgoE9EllbEEZZNS1_14partition_implILS5_9ELb0ES3_jPlS8_PNS0_10empty_typeENS0_5tupleIJS8_S9_EEENSB_IJS8_SA_EEENS0_18inequality_wrapperIZN2at6native12_GLOBAL__N_124unique_dim_cuda_templateImEESt5tupleIJNSF_6TensorESK_SK_EERKSK_lbbbEUlllE0_EEPmJS9_EEE10hipError_tPvRmT3_T4_T5_T6_T7_T9_mT8_P12ihipStream_tbDpT10_ENKUlT_T0_E_clISt17integral_constantIbLb0EES1A_EEDaS15_S16_EUlS15_E_NS1_11comp_targetILNS1_3genE2ELNS1_11target_archE906ELNS1_3gpuE6ELNS1_3repE0EEENS1_30default_config_static_selectorELNS0_4arch9wavefront6targetE0EEEvT1_ ; -- Begin function _ZN7rocprim17ROCPRIM_400000_NS6detail17trampoline_kernelINS0_14default_configENS1_25partition_config_selectorILNS1_17partition_subalgoE9EllbEEZZNS1_14partition_implILS5_9ELb0ES3_jPlS8_PNS0_10empty_typeENS0_5tupleIJS8_S9_EEENSB_IJS8_SA_EEENS0_18inequality_wrapperIZN2at6native12_GLOBAL__N_124unique_dim_cuda_templateImEESt5tupleIJNSF_6TensorESK_SK_EERKSK_lbbbEUlllE0_EEPmJS9_EEE10hipError_tPvRmT3_T4_T5_T6_T7_T9_mT8_P12ihipStream_tbDpT10_ENKUlT_T0_E_clISt17integral_constantIbLb0EES1A_EEDaS15_S16_EUlS15_E_NS1_11comp_targetILNS1_3genE2ELNS1_11target_archE906ELNS1_3gpuE6ELNS1_3repE0EEENS1_30default_config_static_selectorELNS0_4arch9wavefront6targetE0EEEvT1_
	.p2align	8
	.type	_ZN7rocprim17ROCPRIM_400000_NS6detail17trampoline_kernelINS0_14default_configENS1_25partition_config_selectorILNS1_17partition_subalgoE9EllbEEZZNS1_14partition_implILS5_9ELb0ES3_jPlS8_PNS0_10empty_typeENS0_5tupleIJS8_S9_EEENSB_IJS8_SA_EEENS0_18inequality_wrapperIZN2at6native12_GLOBAL__N_124unique_dim_cuda_templateImEESt5tupleIJNSF_6TensorESK_SK_EERKSK_lbbbEUlllE0_EEPmJS9_EEE10hipError_tPvRmT3_T4_T5_T6_T7_T9_mT8_P12ihipStream_tbDpT10_ENKUlT_T0_E_clISt17integral_constantIbLb0EES1A_EEDaS15_S16_EUlS15_E_NS1_11comp_targetILNS1_3genE2ELNS1_11target_archE906ELNS1_3gpuE6ELNS1_3repE0EEENS1_30default_config_static_selectorELNS0_4arch9wavefront6targetE0EEEvT1_,@function
_ZN7rocprim17ROCPRIM_400000_NS6detail17trampoline_kernelINS0_14default_configENS1_25partition_config_selectorILNS1_17partition_subalgoE9EllbEEZZNS1_14partition_implILS5_9ELb0ES3_jPlS8_PNS0_10empty_typeENS0_5tupleIJS8_S9_EEENSB_IJS8_SA_EEENS0_18inequality_wrapperIZN2at6native12_GLOBAL__N_124unique_dim_cuda_templateImEESt5tupleIJNSF_6TensorESK_SK_EERKSK_lbbbEUlllE0_EEPmJS9_EEE10hipError_tPvRmT3_T4_T5_T6_T7_T9_mT8_P12ihipStream_tbDpT10_ENKUlT_T0_E_clISt17integral_constantIbLb0EES1A_EEDaS15_S16_EUlS15_E_NS1_11comp_targetILNS1_3genE2ELNS1_11target_archE906ELNS1_3gpuE6ELNS1_3repE0EEENS1_30default_config_static_selectorELNS0_4arch9wavefront6targetE0EEEvT1_: ; @_ZN7rocprim17ROCPRIM_400000_NS6detail17trampoline_kernelINS0_14default_configENS1_25partition_config_selectorILNS1_17partition_subalgoE9EllbEEZZNS1_14partition_implILS5_9ELb0ES3_jPlS8_PNS0_10empty_typeENS0_5tupleIJS8_S9_EEENSB_IJS8_SA_EEENS0_18inequality_wrapperIZN2at6native12_GLOBAL__N_124unique_dim_cuda_templateImEESt5tupleIJNSF_6TensorESK_SK_EERKSK_lbbbEUlllE0_EEPmJS9_EEE10hipError_tPvRmT3_T4_T5_T6_T7_T9_mT8_P12ihipStream_tbDpT10_ENKUlT_T0_E_clISt17integral_constantIbLb0EES1A_EEDaS15_S16_EUlS15_E_NS1_11comp_targetILNS1_3genE2ELNS1_11target_archE906ELNS1_3gpuE6ELNS1_3repE0EEENS1_30default_config_static_selectorELNS0_4arch9wavefront6targetE0EEEvT1_
; %bb.0:
	.section	.rodata,"a",@progbits
	.p2align	6, 0x0
	.amdhsa_kernel _ZN7rocprim17ROCPRIM_400000_NS6detail17trampoline_kernelINS0_14default_configENS1_25partition_config_selectorILNS1_17partition_subalgoE9EllbEEZZNS1_14partition_implILS5_9ELb0ES3_jPlS8_PNS0_10empty_typeENS0_5tupleIJS8_S9_EEENSB_IJS8_SA_EEENS0_18inequality_wrapperIZN2at6native12_GLOBAL__N_124unique_dim_cuda_templateImEESt5tupleIJNSF_6TensorESK_SK_EERKSK_lbbbEUlllE0_EEPmJS9_EEE10hipError_tPvRmT3_T4_T5_T6_T7_T9_mT8_P12ihipStream_tbDpT10_ENKUlT_T0_E_clISt17integral_constantIbLb0EES1A_EEDaS15_S16_EUlS15_E_NS1_11comp_targetILNS1_3genE2ELNS1_11target_archE906ELNS1_3gpuE6ELNS1_3repE0EEENS1_30default_config_static_selectorELNS0_4arch9wavefront6targetE0EEEvT1_
		.amdhsa_group_segment_fixed_size 0
		.amdhsa_private_segment_fixed_size 0
		.amdhsa_kernarg_size 120
		.amdhsa_user_sgpr_count 2
		.amdhsa_user_sgpr_dispatch_ptr 0
		.amdhsa_user_sgpr_queue_ptr 0
		.amdhsa_user_sgpr_kernarg_segment_ptr 1
		.amdhsa_user_sgpr_dispatch_id 0
		.amdhsa_user_sgpr_kernarg_preload_length 0
		.amdhsa_user_sgpr_kernarg_preload_offset 0
		.amdhsa_user_sgpr_private_segment_size 0
		.amdhsa_wavefront_size32 1
		.amdhsa_uses_dynamic_stack 0
		.amdhsa_enable_private_segment 0
		.amdhsa_system_sgpr_workgroup_id_x 1
		.amdhsa_system_sgpr_workgroup_id_y 0
		.amdhsa_system_sgpr_workgroup_id_z 0
		.amdhsa_system_sgpr_workgroup_info 0
		.amdhsa_system_vgpr_workitem_id 0
		.amdhsa_next_free_vgpr 1
		.amdhsa_next_free_sgpr 1
		.amdhsa_named_barrier_count 0
		.amdhsa_reserve_vcc 0
		.amdhsa_float_round_mode_32 0
		.amdhsa_float_round_mode_16_64 0
		.amdhsa_float_denorm_mode_32 3
		.amdhsa_float_denorm_mode_16_64 3
		.amdhsa_fp16_overflow 0
		.amdhsa_memory_ordered 1
		.amdhsa_forward_progress 1
		.amdhsa_inst_pref_size 0
		.amdhsa_round_robin_scheduling 0
		.amdhsa_exception_fp_ieee_invalid_op 0
		.amdhsa_exception_fp_denorm_src 0
		.amdhsa_exception_fp_ieee_div_zero 0
		.amdhsa_exception_fp_ieee_overflow 0
		.amdhsa_exception_fp_ieee_underflow 0
		.amdhsa_exception_fp_ieee_inexact 0
		.amdhsa_exception_int_div_zero 0
	.end_amdhsa_kernel
	.section	.text._ZN7rocprim17ROCPRIM_400000_NS6detail17trampoline_kernelINS0_14default_configENS1_25partition_config_selectorILNS1_17partition_subalgoE9EllbEEZZNS1_14partition_implILS5_9ELb0ES3_jPlS8_PNS0_10empty_typeENS0_5tupleIJS8_S9_EEENSB_IJS8_SA_EEENS0_18inequality_wrapperIZN2at6native12_GLOBAL__N_124unique_dim_cuda_templateImEESt5tupleIJNSF_6TensorESK_SK_EERKSK_lbbbEUlllE0_EEPmJS9_EEE10hipError_tPvRmT3_T4_T5_T6_T7_T9_mT8_P12ihipStream_tbDpT10_ENKUlT_T0_E_clISt17integral_constantIbLb0EES1A_EEDaS15_S16_EUlS15_E_NS1_11comp_targetILNS1_3genE2ELNS1_11target_archE906ELNS1_3gpuE6ELNS1_3repE0EEENS1_30default_config_static_selectorELNS0_4arch9wavefront6targetE0EEEvT1_,"axG",@progbits,_ZN7rocprim17ROCPRIM_400000_NS6detail17trampoline_kernelINS0_14default_configENS1_25partition_config_selectorILNS1_17partition_subalgoE9EllbEEZZNS1_14partition_implILS5_9ELb0ES3_jPlS8_PNS0_10empty_typeENS0_5tupleIJS8_S9_EEENSB_IJS8_SA_EEENS0_18inequality_wrapperIZN2at6native12_GLOBAL__N_124unique_dim_cuda_templateImEESt5tupleIJNSF_6TensorESK_SK_EERKSK_lbbbEUlllE0_EEPmJS9_EEE10hipError_tPvRmT3_T4_T5_T6_T7_T9_mT8_P12ihipStream_tbDpT10_ENKUlT_T0_E_clISt17integral_constantIbLb0EES1A_EEDaS15_S16_EUlS15_E_NS1_11comp_targetILNS1_3genE2ELNS1_11target_archE906ELNS1_3gpuE6ELNS1_3repE0EEENS1_30default_config_static_selectorELNS0_4arch9wavefront6targetE0EEEvT1_,comdat
.Lfunc_end1699:
	.size	_ZN7rocprim17ROCPRIM_400000_NS6detail17trampoline_kernelINS0_14default_configENS1_25partition_config_selectorILNS1_17partition_subalgoE9EllbEEZZNS1_14partition_implILS5_9ELb0ES3_jPlS8_PNS0_10empty_typeENS0_5tupleIJS8_S9_EEENSB_IJS8_SA_EEENS0_18inequality_wrapperIZN2at6native12_GLOBAL__N_124unique_dim_cuda_templateImEESt5tupleIJNSF_6TensorESK_SK_EERKSK_lbbbEUlllE0_EEPmJS9_EEE10hipError_tPvRmT3_T4_T5_T6_T7_T9_mT8_P12ihipStream_tbDpT10_ENKUlT_T0_E_clISt17integral_constantIbLb0EES1A_EEDaS15_S16_EUlS15_E_NS1_11comp_targetILNS1_3genE2ELNS1_11target_archE906ELNS1_3gpuE6ELNS1_3repE0EEENS1_30default_config_static_selectorELNS0_4arch9wavefront6targetE0EEEvT1_, .Lfunc_end1699-_ZN7rocprim17ROCPRIM_400000_NS6detail17trampoline_kernelINS0_14default_configENS1_25partition_config_selectorILNS1_17partition_subalgoE9EllbEEZZNS1_14partition_implILS5_9ELb0ES3_jPlS8_PNS0_10empty_typeENS0_5tupleIJS8_S9_EEENSB_IJS8_SA_EEENS0_18inequality_wrapperIZN2at6native12_GLOBAL__N_124unique_dim_cuda_templateImEESt5tupleIJNSF_6TensorESK_SK_EERKSK_lbbbEUlllE0_EEPmJS9_EEE10hipError_tPvRmT3_T4_T5_T6_T7_T9_mT8_P12ihipStream_tbDpT10_ENKUlT_T0_E_clISt17integral_constantIbLb0EES1A_EEDaS15_S16_EUlS15_E_NS1_11comp_targetILNS1_3genE2ELNS1_11target_archE906ELNS1_3gpuE6ELNS1_3repE0EEENS1_30default_config_static_selectorELNS0_4arch9wavefront6targetE0EEEvT1_
                                        ; -- End function
	.set _ZN7rocprim17ROCPRIM_400000_NS6detail17trampoline_kernelINS0_14default_configENS1_25partition_config_selectorILNS1_17partition_subalgoE9EllbEEZZNS1_14partition_implILS5_9ELb0ES3_jPlS8_PNS0_10empty_typeENS0_5tupleIJS8_S9_EEENSB_IJS8_SA_EEENS0_18inequality_wrapperIZN2at6native12_GLOBAL__N_124unique_dim_cuda_templateImEESt5tupleIJNSF_6TensorESK_SK_EERKSK_lbbbEUlllE0_EEPmJS9_EEE10hipError_tPvRmT3_T4_T5_T6_T7_T9_mT8_P12ihipStream_tbDpT10_ENKUlT_T0_E_clISt17integral_constantIbLb0EES1A_EEDaS15_S16_EUlS15_E_NS1_11comp_targetILNS1_3genE2ELNS1_11target_archE906ELNS1_3gpuE6ELNS1_3repE0EEENS1_30default_config_static_selectorELNS0_4arch9wavefront6targetE0EEEvT1_.num_vgpr, 0
	.set _ZN7rocprim17ROCPRIM_400000_NS6detail17trampoline_kernelINS0_14default_configENS1_25partition_config_selectorILNS1_17partition_subalgoE9EllbEEZZNS1_14partition_implILS5_9ELb0ES3_jPlS8_PNS0_10empty_typeENS0_5tupleIJS8_S9_EEENSB_IJS8_SA_EEENS0_18inequality_wrapperIZN2at6native12_GLOBAL__N_124unique_dim_cuda_templateImEESt5tupleIJNSF_6TensorESK_SK_EERKSK_lbbbEUlllE0_EEPmJS9_EEE10hipError_tPvRmT3_T4_T5_T6_T7_T9_mT8_P12ihipStream_tbDpT10_ENKUlT_T0_E_clISt17integral_constantIbLb0EES1A_EEDaS15_S16_EUlS15_E_NS1_11comp_targetILNS1_3genE2ELNS1_11target_archE906ELNS1_3gpuE6ELNS1_3repE0EEENS1_30default_config_static_selectorELNS0_4arch9wavefront6targetE0EEEvT1_.num_agpr, 0
	.set _ZN7rocprim17ROCPRIM_400000_NS6detail17trampoline_kernelINS0_14default_configENS1_25partition_config_selectorILNS1_17partition_subalgoE9EllbEEZZNS1_14partition_implILS5_9ELb0ES3_jPlS8_PNS0_10empty_typeENS0_5tupleIJS8_S9_EEENSB_IJS8_SA_EEENS0_18inequality_wrapperIZN2at6native12_GLOBAL__N_124unique_dim_cuda_templateImEESt5tupleIJNSF_6TensorESK_SK_EERKSK_lbbbEUlllE0_EEPmJS9_EEE10hipError_tPvRmT3_T4_T5_T6_T7_T9_mT8_P12ihipStream_tbDpT10_ENKUlT_T0_E_clISt17integral_constantIbLb0EES1A_EEDaS15_S16_EUlS15_E_NS1_11comp_targetILNS1_3genE2ELNS1_11target_archE906ELNS1_3gpuE6ELNS1_3repE0EEENS1_30default_config_static_selectorELNS0_4arch9wavefront6targetE0EEEvT1_.numbered_sgpr, 0
	.set _ZN7rocprim17ROCPRIM_400000_NS6detail17trampoline_kernelINS0_14default_configENS1_25partition_config_selectorILNS1_17partition_subalgoE9EllbEEZZNS1_14partition_implILS5_9ELb0ES3_jPlS8_PNS0_10empty_typeENS0_5tupleIJS8_S9_EEENSB_IJS8_SA_EEENS0_18inequality_wrapperIZN2at6native12_GLOBAL__N_124unique_dim_cuda_templateImEESt5tupleIJNSF_6TensorESK_SK_EERKSK_lbbbEUlllE0_EEPmJS9_EEE10hipError_tPvRmT3_T4_T5_T6_T7_T9_mT8_P12ihipStream_tbDpT10_ENKUlT_T0_E_clISt17integral_constantIbLb0EES1A_EEDaS15_S16_EUlS15_E_NS1_11comp_targetILNS1_3genE2ELNS1_11target_archE906ELNS1_3gpuE6ELNS1_3repE0EEENS1_30default_config_static_selectorELNS0_4arch9wavefront6targetE0EEEvT1_.num_named_barrier, 0
	.set _ZN7rocprim17ROCPRIM_400000_NS6detail17trampoline_kernelINS0_14default_configENS1_25partition_config_selectorILNS1_17partition_subalgoE9EllbEEZZNS1_14partition_implILS5_9ELb0ES3_jPlS8_PNS0_10empty_typeENS0_5tupleIJS8_S9_EEENSB_IJS8_SA_EEENS0_18inequality_wrapperIZN2at6native12_GLOBAL__N_124unique_dim_cuda_templateImEESt5tupleIJNSF_6TensorESK_SK_EERKSK_lbbbEUlllE0_EEPmJS9_EEE10hipError_tPvRmT3_T4_T5_T6_T7_T9_mT8_P12ihipStream_tbDpT10_ENKUlT_T0_E_clISt17integral_constantIbLb0EES1A_EEDaS15_S16_EUlS15_E_NS1_11comp_targetILNS1_3genE2ELNS1_11target_archE906ELNS1_3gpuE6ELNS1_3repE0EEENS1_30default_config_static_selectorELNS0_4arch9wavefront6targetE0EEEvT1_.private_seg_size, 0
	.set _ZN7rocprim17ROCPRIM_400000_NS6detail17trampoline_kernelINS0_14default_configENS1_25partition_config_selectorILNS1_17partition_subalgoE9EllbEEZZNS1_14partition_implILS5_9ELb0ES3_jPlS8_PNS0_10empty_typeENS0_5tupleIJS8_S9_EEENSB_IJS8_SA_EEENS0_18inequality_wrapperIZN2at6native12_GLOBAL__N_124unique_dim_cuda_templateImEESt5tupleIJNSF_6TensorESK_SK_EERKSK_lbbbEUlllE0_EEPmJS9_EEE10hipError_tPvRmT3_T4_T5_T6_T7_T9_mT8_P12ihipStream_tbDpT10_ENKUlT_T0_E_clISt17integral_constantIbLb0EES1A_EEDaS15_S16_EUlS15_E_NS1_11comp_targetILNS1_3genE2ELNS1_11target_archE906ELNS1_3gpuE6ELNS1_3repE0EEENS1_30default_config_static_selectorELNS0_4arch9wavefront6targetE0EEEvT1_.uses_vcc, 0
	.set _ZN7rocprim17ROCPRIM_400000_NS6detail17trampoline_kernelINS0_14default_configENS1_25partition_config_selectorILNS1_17partition_subalgoE9EllbEEZZNS1_14partition_implILS5_9ELb0ES3_jPlS8_PNS0_10empty_typeENS0_5tupleIJS8_S9_EEENSB_IJS8_SA_EEENS0_18inequality_wrapperIZN2at6native12_GLOBAL__N_124unique_dim_cuda_templateImEESt5tupleIJNSF_6TensorESK_SK_EERKSK_lbbbEUlllE0_EEPmJS9_EEE10hipError_tPvRmT3_T4_T5_T6_T7_T9_mT8_P12ihipStream_tbDpT10_ENKUlT_T0_E_clISt17integral_constantIbLb0EES1A_EEDaS15_S16_EUlS15_E_NS1_11comp_targetILNS1_3genE2ELNS1_11target_archE906ELNS1_3gpuE6ELNS1_3repE0EEENS1_30default_config_static_selectorELNS0_4arch9wavefront6targetE0EEEvT1_.uses_flat_scratch, 0
	.set _ZN7rocprim17ROCPRIM_400000_NS6detail17trampoline_kernelINS0_14default_configENS1_25partition_config_selectorILNS1_17partition_subalgoE9EllbEEZZNS1_14partition_implILS5_9ELb0ES3_jPlS8_PNS0_10empty_typeENS0_5tupleIJS8_S9_EEENSB_IJS8_SA_EEENS0_18inequality_wrapperIZN2at6native12_GLOBAL__N_124unique_dim_cuda_templateImEESt5tupleIJNSF_6TensorESK_SK_EERKSK_lbbbEUlllE0_EEPmJS9_EEE10hipError_tPvRmT3_T4_T5_T6_T7_T9_mT8_P12ihipStream_tbDpT10_ENKUlT_T0_E_clISt17integral_constantIbLb0EES1A_EEDaS15_S16_EUlS15_E_NS1_11comp_targetILNS1_3genE2ELNS1_11target_archE906ELNS1_3gpuE6ELNS1_3repE0EEENS1_30default_config_static_selectorELNS0_4arch9wavefront6targetE0EEEvT1_.has_dyn_sized_stack, 0
	.set _ZN7rocprim17ROCPRIM_400000_NS6detail17trampoline_kernelINS0_14default_configENS1_25partition_config_selectorILNS1_17partition_subalgoE9EllbEEZZNS1_14partition_implILS5_9ELb0ES3_jPlS8_PNS0_10empty_typeENS0_5tupleIJS8_S9_EEENSB_IJS8_SA_EEENS0_18inequality_wrapperIZN2at6native12_GLOBAL__N_124unique_dim_cuda_templateImEESt5tupleIJNSF_6TensorESK_SK_EERKSK_lbbbEUlllE0_EEPmJS9_EEE10hipError_tPvRmT3_T4_T5_T6_T7_T9_mT8_P12ihipStream_tbDpT10_ENKUlT_T0_E_clISt17integral_constantIbLb0EES1A_EEDaS15_S16_EUlS15_E_NS1_11comp_targetILNS1_3genE2ELNS1_11target_archE906ELNS1_3gpuE6ELNS1_3repE0EEENS1_30default_config_static_selectorELNS0_4arch9wavefront6targetE0EEEvT1_.has_recursion, 0
	.set _ZN7rocprim17ROCPRIM_400000_NS6detail17trampoline_kernelINS0_14default_configENS1_25partition_config_selectorILNS1_17partition_subalgoE9EllbEEZZNS1_14partition_implILS5_9ELb0ES3_jPlS8_PNS0_10empty_typeENS0_5tupleIJS8_S9_EEENSB_IJS8_SA_EEENS0_18inequality_wrapperIZN2at6native12_GLOBAL__N_124unique_dim_cuda_templateImEESt5tupleIJNSF_6TensorESK_SK_EERKSK_lbbbEUlllE0_EEPmJS9_EEE10hipError_tPvRmT3_T4_T5_T6_T7_T9_mT8_P12ihipStream_tbDpT10_ENKUlT_T0_E_clISt17integral_constantIbLb0EES1A_EEDaS15_S16_EUlS15_E_NS1_11comp_targetILNS1_3genE2ELNS1_11target_archE906ELNS1_3gpuE6ELNS1_3repE0EEENS1_30default_config_static_selectorELNS0_4arch9wavefront6targetE0EEEvT1_.has_indirect_call, 0
	.section	.AMDGPU.csdata,"",@progbits
; Kernel info:
; codeLenInByte = 0
; TotalNumSgprs: 0
; NumVgprs: 0
; ScratchSize: 0
; MemoryBound: 0
; FloatMode: 240
; IeeeMode: 1
; LDSByteSize: 0 bytes/workgroup (compile time only)
; SGPRBlocks: 0
; VGPRBlocks: 0
; NumSGPRsForWavesPerEU: 1
; NumVGPRsForWavesPerEU: 1
; NamedBarCnt: 0
; Occupancy: 16
; WaveLimiterHint : 0
; COMPUTE_PGM_RSRC2:SCRATCH_EN: 0
; COMPUTE_PGM_RSRC2:USER_SGPR: 2
; COMPUTE_PGM_RSRC2:TRAP_HANDLER: 0
; COMPUTE_PGM_RSRC2:TGID_X_EN: 1
; COMPUTE_PGM_RSRC2:TGID_Y_EN: 0
; COMPUTE_PGM_RSRC2:TGID_Z_EN: 0
; COMPUTE_PGM_RSRC2:TIDIG_COMP_CNT: 0
	.section	.text._ZN7rocprim17ROCPRIM_400000_NS6detail17trampoline_kernelINS0_14default_configENS1_25partition_config_selectorILNS1_17partition_subalgoE9EllbEEZZNS1_14partition_implILS5_9ELb0ES3_jPlS8_PNS0_10empty_typeENS0_5tupleIJS8_S9_EEENSB_IJS8_SA_EEENS0_18inequality_wrapperIZN2at6native12_GLOBAL__N_124unique_dim_cuda_templateImEESt5tupleIJNSF_6TensorESK_SK_EERKSK_lbbbEUlllE0_EEPmJS9_EEE10hipError_tPvRmT3_T4_T5_T6_T7_T9_mT8_P12ihipStream_tbDpT10_ENKUlT_T0_E_clISt17integral_constantIbLb0EES1A_EEDaS15_S16_EUlS15_E_NS1_11comp_targetILNS1_3genE10ELNS1_11target_archE1200ELNS1_3gpuE4ELNS1_3repE0EEENS1_30default_config_static_selectorELNS0_4arch9wavefront6targetE0EEEvT1_,"axG",@progbits,_ZN7rocprim17ROCPRIM_400000_NS6detail17trampoline_kernelINS0_14default_configENS1_25partition_config_selectorILNS1_17partition_subalgoE9EllbEEZZNS1_14partition_implILS5_9ELb0ES3_jPlS8_PNS0_10empty_typeENS0_5tupleIJS8_S9_EEENSB_IJS8_SA_EEENS0_18inequality_wrapperIZN2at6native12_GLOBAL__N_124unique_dim_cuda_templateImEESt5tupleIJNSF_6TensorESK_SK_EERKSK_lbbbEUlllE0_EEPmJS9_EEE10hipError_tPvRmT3_T4_T5_T6_T7_T9_mT8_P12ihipStream_tbDpT10_ENKUlT_T0_E_clISt17integral_constantIbLb0EES1A_EEDaS15_S16_EUlS15_E_NS1_11comp_targetILNS1_3genE10ELNS1_11target_archE1200ELNS1_3gpuE4ELNS1_3repE0EEENS1_30default_config_static_selectorELNS0_4arch9wavefront6targetE0EEEvT1_,comdat
	.globl	_ZN7rocprim17ROCPRIM_400000_NS6detail17trampoline_kernelINS0_14default_configENS1_25partition_config_selectorILNS1_17partition_subalgoE9EllbEEZZNS1_14partition_implILS5_9ELb0ES3_jPlS8_PNS0_10empty_typeENS0_5tupleIJS8_S9_EEENSB_IJS8_SA_EEENS0_18inequality_wrapperIZN2at6native12_GLOBAL__N_124unique_dim_cuda_templateImEESt5tupleIJNSF_6TensorESK_SK_EERKSK_lbbbEUlllE0_EEPmJS9_EEE10hipError_tPvRmT3_T4_T5_T6_T7_T9_mT8_P12ihipStream_tbDpT10_ENKUlT_T0_E_clISt17integral_constantIbLb0EES1A_EEDaS15_S16_EUlS15_E_NS1_11comp_targetILNS1_3genE10ELNS1_11target_archE1200ELNS1_3gpuE4ELNS1_3repE0EEENS1_30default_config_static_selectorELNS0_4arch9wavefront6targetE0EEEvT1_ ; -- Begin function _ZN7rocprim17ROCPRIM_400000_NS6detail17trampoline_kernelINS0_14default_configENS1_25partition_config_selectorILNS1_17partition_subalgoE9EllbEEZZNS1_14partition_implILS5_9ELb0ES3_jPlS8_PNS0_10empty_typeENS0_5tupleIJS8_S9_EEENSB_IJS8_SA_EEENS0_18inequality_wrapperIZN2at6native12_GLOBAL__N_124unique_dim_cuda_templateImEESt5tupleIJNSF_6TensorESK_SK_EERKSK_lbbbEUlllE0_EEPmJS9_EEE10hipError_tPvRmT3_T4_T5_T6_T7_T9_mT8_P12ihipStream_tbDpT10_ENKUlT_T0_E_clISt17integral_constantIbLb0EES1A_EEDaS15_S16_EUlS15_E_NS1_11comp_targetILNS1_3genE10ELNS1_11target_archE1200ELNS1_3gpuE4ELNS1_3repE0EEENS1_30default_config_static_selectorELNS0_4arch9wavefront6targetE0EEEvT1_
	.p2align	8
	.type	_ZN7rocprim17ROCPRIM_400000_NS6detail17trampoline_kernelINS0_14default_configENS1_25partition_config_selectorILNS1_17partition_subalgoE9EllbEEZZNS1_14partition_implILS5_9ELb0ES3_jPlS8_PNS0_10empty_typeENS0_5tupleIJS8_S9_EEENSB_IJS8_SA_EEENS0_18inequality_wrapperIZN2at6native12_GLOBAL__N_124unique_dim_cuda_templateImEESt5tupleIJNSF_6TensorESK_SK_EERKSK_lbbbEUlllE0_EEPmJS9_EEE10hipError_tPvRmT3_T4_T5_T6_T7_T9_mT8_P12ihipStream_tbDpT10_ENKUlT_T0_E_clISt17integral_constantIbLb0EES1A_EEDaS15_S16_EUlS15_E_NS1_11comp_targetILNS1_3genE10ELNS1_11target_archE1200ELNS1_3gpuE4ELNS1_3repE0EEENS1_30default_config_static_selectorELNS0_4arch9wavefront6targetE0EEEvT1_,@function
_ZN7rocprim17ROCPRIM_400000_NS6detail17trampoline_kernelINS0_14default_configENS1_25partition_config_selectorILNS1_17partition_subalgoE9EllbEEZZNS1_14partition_implILS5_9ELb0ES3_jPlS8_PNS0_10empty_typeENS0_5tupleIJS8_S9_EEENSB_IJS8_SA_EEENS0_18inequality_wrapperIZN2at6native12_GLOBAL__N_124unique_dim_cuda_templateImEESt5tupleIJNSF_6TensorESK_SK_EERKSK_lbbbEUlllE0_EEPmJS9_EEE10hipError_tPvRmT3_T4_T5_T6_T7_T9_mT8_P12ihipStream_tbDpT10_ENKUlT_T0_E_clISt17integral_constantIbLb0EES1A_EEDaS15_S16_EUlS15_E_NS1_11comp_targetILNS1_3genE10ELNS1_11target_archE1200ELNS1_3gpuE4ELNS1_3repE0EEENS1_30default_config_static_selectorELNS0_4arch9wavefront6targetE0EEEvT1_: ; @_ZN7rocprim17ROCPRIM_400000_NS6detail17trampoline_kernelINS0_14default_configENS1_25partition_config_selectorILNS1_17partition_subalgoE9EllbEEZZNS1_14partition_implILS5_9ELb0ES3_jPlS8_PNS0_10empty_typeENS0_5tupleIJS8_S9_EEENSB_IJS8_SA_EEENS0_18inequality_wrapperIZN2at6native12_GLOBAL__N_124unique_dim_cuda_templateImEESt5tupleIJNSF_6TensorESK_SK_EERKSK_lbbbEUlllE0_EEPmJS9_EEE10hipError_tPvRmT3_T4_T5_T6_T7_T9_mT8_P12ihipStream_tbDpT10_ENKUlT_T0_E_clISt17integral_constantIbLb0EES1A_EEDaS15_S16_EUlS15_E_NS1_11comp_targetILNS1_3genE10ELNS1_11target_archE1200ELNS1_3gpuE4ELNS1_3repE0EEENS1_30default_config_static_selectorELNS0_4arch9wavefront6targetE0EEEvT1_
; %bb.0:
	.section	.rodata,"a",@progbits
	.p2align	6, 0x0
	.amdhsa_kernel _ZN7rocprim17ROCPRIM_400000_NS6detail17trampoline_kernelINS0_14default_configENS1_25partition_config_selectorILNS1_17partition_subalgoE9EllbEEZZNS1_14partition_implILS5_9ELb0ES3_jPlS8_PNS0_10empty_typeENS0_5tupleIJS8_S9_EEENSB_IJS8_SA_EEENS0_18inequality_wrapperIZN2at6native12_GLOBAL__N_124unique_dim_cuda_templateImEESt5tupleIJNSF_6TensorESK_SK_EERKSK_lbbbEUlllE0_EEPmJS9_EEE10hipError_tPvRmT3_T4_T5_T6_T7_T9_mT8_P12ihipStream_tbDpT10_ENKUlT_T0_E_clISt17integral_constantIbLb0EES1A_EEDaS15_S16_EUlS15_E_NS1_11comp_targetILNS1_3genE10ELNS1_11target_archE1200ELNS1_3gpuE4ELNS1_3repE0EEENS1_30default_config_static_selectorELNS0_4arch9wavefront6targetE0EEEvT1_
		.amdhsa_group_segment_fixed_size 0
		.amdhsa_private_segment_fixed_size 0
		.amdhsa_kernarg_size 120
		.amdhsa_user_sgpr_count 2
		.amdhsa_user_sgpr_dispatch_ptr 0
		.amdhsa_user_sgpr_queue_ptr 0
		.amdhsa_user_sgpr_kernarg_segment_ptr 1
		.amdhsa_user_sgpr_dispatch_id 0
		.amdhsa_user_sgpr_kernarg_preload_length 0
		.amdhsa_user_sgpr_kernarg_preload_offset 0
		.amdhsa_user_sgpr_private_segment_size 0
		.amdhsa_wavefront_size32 1
		.amdhsa_uses_dynamic_stack 0
		.amdhsa_enable_private_segment 0
		.amdhsa_system_sgpr_workgroup_id_x 1
		.amdhsa_system_sgpr_workgroup_id_y 0
		.amdhsa_system_sgpr_workgroup_id_z 0
		.amdhsa_system_sgpr_workgroup_info 0
		.amdhsa_system_vgpr_workitem_id 0
		.amdhsa_next_free_vgpr 1
		.amdhsa_next_free_sgpr 1
		.amdhsa_named_barrier_count 0
		.amdhsa_reserve_vcc 0
		.amdhsa_float_round_mode_32 0
		.amdhsa_float_round_mode_16_64 0
		.amdhsa_float_denorm_mode_32 3
		.amdhsa_float_denorm_mode_16_64 3
		.amdhsa_fp16_overflow 0
		.amdhsa_memory_ordered 1
		.amdhsa_forward_progress 1
		.amdhsa_inst_pref_size 0
		.amdhsa_round_robin_scheduling 0
		.amdhsa_exception_fp_ieee_invalid_op 0
		.amdhsa_exception_fp_denorm_src 0
		.amdhsa_exception_fp_ieee_div_zero 0
		.amdhsa_exception_fp_ieee_overflow 0
		.amdhsa_exception_fp_ieee_underflow 0
		.amdhsa_exception_fp_ieee_inexact 0
		.amdhsa_exception_int_div_zero 0
	.end_amdhsa_kernel
	.section	.text._ZN7rocprim17ROCPRIM_400000_NS6detail17trampoline_kernelINS0_14default_configENS1_25partition_config_selectorILNS1_17partition_subalgoE9EllbEEZZNS1_14partition_implILS5_9ELb0ES3_jPlS8_PNS0_10empty_typeENS0_5tupleIJS8_S9_EEENSB_IJS8_SA_EEENS0_18inequality_wrapperIZN2at6native12_GLOBAL__N_124unique_dim_cuda_templateImEESt5tupleIJNSF_6TensorESK_SK_EERKSK_lbbbEUlllE0_EEPmJS9_EEE10hipError_tPvRmT3_T4_T5_T6_T7_T9_mT8_P12ihipStream_tbDpT10_ENKUlT_T0_E_clISt17integral_constantIbLb0EES1A_EEDaS15_S16_EUlS15_E_NS1_11comp_targetILNS1_3genE10ELNS1_11target_archE1200ELNS1_3gpuE4ELNS1_3repE0EEENS1_30default_config_static_selectorELNS0_4arch9wavefront6targetE0EEEvT1_,"axG",@progbits,_ZN7rocprim17ROCPRIM_400000_NS6detail17trampoline_kernelINS0_14default_configENS1_25partition_config_selectorILNS1_17partition_subalgoE9EllbEEZZNS1_14partition_implILS5_9ELb0ES3_jPlS8_PNS0_10empty_typeENS0_5tupleIJS8_S9_EEENSB_IJS8_SA_EEENS0_18inequality_wrapperIZN2at6native12_GLOBAL__N_124unique_dim_cuda_templateImEESt5tupleIJNSF_6TensorESK_SK_EERKSK_lbbbEUlllE0_EEPmJS9_EEE10hipError_tPvRmT3_T4_T5_T6_T7_T9_mT8_P12ihipStream_tbDpT10_ENKUlT_T0_E_clISt17integral_constantIbLb0EES1A_EEDaS15_S16_EUlS15_E_NS1_11comp_targetILNS1_3genE10ELNS1_11target_archE1200ELNS1_3gpuE4ELNS1_3repE0EEENS1_30default_config_static_selectorELNS0_4arch9wavefront6targetE0EEEvT1_,comdat
.Lfunc_end1700:
	.size	_ZN7rocprim17ROCPRIM_400000_NS6detail17trampoline_kernelINS0_14default_configENS1_25partition_config_selectorILNS1_17partition_subalgoE9EllbEEZZNS1_14partition_implILS5_9ELb0ES3_jPlS8_PNS0_10empty_typeENS0_5tupleIJS8_S9_EEENSB_IJS8_SA_EEENS0_18inequality_wrapperIZN2at6native12_GLOBAL__N_124unique_dim_cuda_templateImEESt5tupleIJNSF_6TensorESK_SK_EERKSK_lbbbEUlllE0_EEPmJS9_EEE10hipError_tPvRmT3_T4_T5_T6_T7_T9_mT8_P12ihipStream_tbDpT10_ENKUlT_T0_E_clISt17integral_constantIbLb0EES1A_EEDaS15_S16_EUlS15_E_NS1_11comp_targetILNS1_3genE10ELNS1_11target_archE1200ELNS1_3gpuE4ELNS1_3repE0EEENS1_30default_config_static_selectorELNS0_4arch9wavefront6targetE0EEEvT1_, .Lfunc_end1700-_ZN7rocprim17ROCPRIM_400000_NS6detail17trampoline_kernelINS0_14default_configENS1_25partition_config_selectorILNS1_17partition_subalgoE9EllbEEZZNS1_14partition_implILS5_9ELb0ES3_jPlS8_PNS0_10empty_typeENS0_5tupleIJS8_S9_EEENSB_IJS8_SA_EEENS0_18inequality_wrapperIZN2at6native12_GLOBAL__N_124unique_dim_cuda_templateImEESt5tupleIJNSF_6TensorESK_SK_EERKSK_lbbbEUlllE0_EEPmJS9_EEE10hipError_tPvRmT3_T4_T5_T6_T7_T9_mT8_P12ihipStream_tbDpT10_ENKUlT_T0_E_clISt17integral_constantIbLb0EES1A_EEDaS15_S16_EUlS15_E_NS1_11comp_targetILNS1_3genE10ELNS1_11target_archE1200ELNS1_3gpuE4ELNS1_3repE0EEENS1_30default_config_static_selectorELNS0_4arch9wavefront6targetE0EEEvT1_
                                        ; -- End function
	.set _ZN7rocprim17ROCPRIM_400000_NS6detail17trampoline_kernelINS0_14default_configENS1_25partition_config_selectorILNS1_17partition_subalgoE9EllbEEZZNS1_14partition_implILS5_9ELb0ES3_jPlS8_PNS0_10empty_typeENS0_5tupleIJS8_S9_EEENSB_IJS8_SA_EEENS0_18inequality_wrapperIZN2at6native12_GLOBAL__N_124unique_dim_cuda_templateImEESt5tupleIJNSF_6TensorESK_SK_EERKSK_lbbbEUlllE0_EEPmJS9_EEE10hipError_tPvRmT3_T4_T5_T6_T7_T9_mT8_P12ihipStream_tbDpT10_ENKUlT_T0_E_clISt17integral_constantIbLb0EES1A_EEDaS15_S16_EUlS15_E_NS1_11comp_targetILNS1_3genE10ELNS1_11target_archE1200ELNS1_3gpuE4ELNS1_3repE0EEENS1_30default_config_static_selectorELNS0_4arch9wavefront6targetE0EEEvT1_.num_vgpr, 0
	.set _ZN7rocprim17ROCPRIM_400000_NS6detail17trampoline_kernelINS0_14default_configENS1_25partition_config_selectorILNS1_17partition_subalgoE9EllbEEZZNS1_14partition_implILS5_9ELb0ES3_jPlS8_PNS0_10empty_typeENS0_5tupleIJS8_S9_EEENSB_IJS8_SA_EEENS0_18inequality_wrapperIZN2at6native12_GLOBAL__N_124unique_dim_cuda_templateImEESt5tupleIJNSF_6TensorESK_SK_EERKSK_lbbbEUlllE0_EEPmJS9_EEE10hipError_tPvRmT3_T4_T5_T6_T7_T9_mT8_P12ihipStream_tbDpT10_ENKUlT_T0_E_clISt17integral_constantIbLb0EES1A_EEDaS15_S16_EUlS15_E_NS1_11comp_targetILNS1_3genE10ELNS1_11target_archE1200ELNS1_3gpuE4ELNS1_3repE0EEENS1_30default_config_static_selectorELNS0_4arch9wavefront6targetE0EEEvT1_.num_agpr, 0
	.set _ZN7rocprim17ROCPRIM_400000_NS6detail17trampoline_kernelINS0_14default_configENS1_25partition_config_selectorILNS1_17partition_subalgoE9EllbEEZZNS1_14partition_implILS5_9ELb0ES3_jPlS8_PNS0_10empty_typeENS0_5tupleIJS8_S9_EEENSB_IJS8_SA_EEENS0_18inequality_wrapperIZN2at6native12_GLOBAL__N_124unique_dim_cuda_templateImEESt5tupleIJNSF_6TensorESK_SK_EERKSK_lbbbEUlllE0_EEPmJS9_EEE10hipError_tPvRmT3_T4_T5_T6_T7_T9_mT8_P12ihipStream_tbDpT10_ENKUlT_T0_E_clISt17integral_constantIbLb0EES1A_EEDaS15_S16_EUlS15_E_NS1_11comp_targetILNS1_3genE10ELNS1_11target_archE1200ELNS1_3gpuE4ELNS1_3repE0EEENS1_30default_config_static_selectorELNS0_4arch9wavefront6targetE0EEEvT1_.numbered_sgpr, 0
	.set _ZN7rocprim17ROCPRIM_400000_NS6detail17trampoline_kernelINS0_14default_configENS1_25partition_config_selectorILNS1_17partition_subalgoE9EllbEEZZNS1_14partition_implILS5_9ELb0ES3_jPlS8_PNS0_10empty_typeENS0_5tupleIJS8_S9_EEENSB_IJS8_SA_EEENS0_18inequality_wrapperIZN2at6native12_GLOBAL__N_124unique_dim_cuda_templateImEESt5tupleIJNSF_6TensorESK_SK_EERKSK_lbbbEUlllE0_EEPmJS9_EEE10hipError_tPvRmT3_T4_T5_T6_T7_T9_mT8_P12ihipStream_tbDpT10_ENKUlT_T0_E_clISt17integral_constantIbLb0EES1A_EEDaS15_S16_EUlS15_E_NS1_11comp_targetILNS1_3genE10ELNS1_11target_archE1200ELNS1_3gpuE4ELNS1_3repE0EEENS1_30default_config_static_selectorELNS0_4arch9wavefront6targetE0EEEvT1_.num_named_barrier, 0
	.set _ZN7rocprim17ROCPRIM_400000_NS6detail17trampoline_kernelINS0_14default_configENS1_25partition_config_selectorILNS1_17partition_subalgoE9EllbEEZZNS1_14partition_implILS5_9ELb0ES3_jPlS8_PNS0_10empty_typeENS0_5tupleIJS8_S9_EEENSB_IJS8_SA_EEENS0_18inequality_wrapperIZN2at6native12_GLOBAL__N_124unique_dim_cuda_templateImEESt5tupleIJNSF_6TensorESK_SK_EERKSK_lbbbEUlllE0_EEPmJS9_EEE10hipError_tPvRmT3_T4_T5_T6_T7_T9_mT8_P12ihipStream_tbDpT10_ENKUlT_T0_E_clISt17integral_constantIbLb0EES1A_EEDaS15_S16_EUlS15_E_NS1_11comp_targetILNS1_3genE10ELNS1_11target_archE1200ELNS1_3gpuE4ELNS1_3repE0EEENS1_30default_config_static_selectorELNS0_4arch9wavefront6targetE0EEEvT1_.private_seg_size, 0
	.set _ZN7rocprim17ROCPRIM_400000_NS6detail17trampoline_kernelINS0_14default_configENS1_25partition_config_selectorILNS1_17partition_subalgoE9EllbEEZZNS1_14partition_implILS5_9ELb0ES3_jPlS8_PNS0_10empty_typeENS0_5tupleIJS8_S9_EEENSB_IJS8_SA_EEENS0_18inequality_wrapperIZN2at6native12_GLOBAL__N_124unique_dim_cuda_templateImEESt5tupleIJNSF_6TensorESK_SK_EERKSK_lbbbEUlllE0_EEPmJS9_EEE10hipError_tPvRmT3_T4_T5_T6_T7_T9_mT8_P12ihipStream_tbDpT10_ENKUlT_T0_E_clISt17integral_constantIbLb0EES1A_EEDaS15_S16_EUlS15_E_NS1_11comp_targetILNS1_3genE10ELNS1_11target_archE1200ELNS1_3gpuE4ELNS1_3repE0EEENS1_30default_config_static_selectorELNS0_4arch9wavefront6targetE0EEEvT1_.uses_vcc, 0
	.set _ZN7rocprim17ROCPRIM_400000_NS6detail17trampoline_kernelINS0_14default_configENS1_25partition_config_selectorILNS1_17partition_subalgoE9EllbEEZZNS1_14partition_implILS5_9ELb0ES3_jPlS8_PNS0_10empty_typeENS0_5tupleIJS8_S9_EEENSB_IJS8_SA_EEENS0_18inequality_wrapperIZN2at6native12_GLOBAL__N_124unique_dim_cuda_templateImEESt5tupleIJNSF_6TensorESK_SK_EERKSK_lbbbEUlllE0_EEPmJS9_EEE10hipError_tPvRmT3_T4_T5_T6_T7_T9_mT8_P12ihipStream_tbDpT10_ENKUlT_T0_E_clISt17integral_constantIbLb0EES1A_EEDaS15_S16_EUlS15_E_NS1_11comp_targetILNS1_3genE10ELNS1_11target_archE1200ELNS1_3gpuE4ELNS1_3repE0EEENS1_30default_config_static_selectorELNS0_4arch9wavefront6targetE0EEEvT1_.uses_flat_scratch, 0
	.set _ZN7rocprim17ROCPRIM_400000_NS6detail17trampoline_kernelINS0_14default_configENS1_25partition_config_selectorILNS1_17partition_subalgoE9EllbEEZZNS1_14partition_implILS5_9ELb0ES3_jPlS8_PNS0_10empty_typeENS0_5tupleIJS8_S9_EEENSB_IJS8_SA_EEENS0_18inequality_wrapperIZN2at6native12_GLOBAL__N_124unique_dim_cuda_templateImEESt5tupleIJNSF_6TensorESK_SK_EERKSK_lbbbEUlllE0_EEPmJS9_EEE10hipError_tPvRmT3_T4_T5_T6_T7_T9_mT8_P12ihipStream_tbDpT10_ENKUlT_T0_E_clISt17integral_constantIbLb0EES1A_EEDaS15_S16_EUlS15_E_NS1_11comp_targetILNS1_3genE10ELNS1_11target_archE1200ELNS1_3gpuE4ELNS1_3repE0EEENS1_30default_config_static_selectorELNS0_4arch9wavefront6targetE0EEEvT1_.has_dyn_sized_stack, 0
	.set _ZN7rocprim17ROCPRIM_400000_NS6detail17trampoline_kernelINS0_14default_configENS1_25partition_config_selectorILNS1_17partition_subalgoE9EllbEEZZNS1_14partition_implILS5_9ELb0ES3_jPlS8_PNS0_10empty_typeENS0_5tupleIJS8_S9_EEENSB_IJS8_SA_EEENS0_18inequality_wrapperIZN2at6native12_GLOBAL__N_124unique_dim_cuda_templateImEESt5tupleIJNSF_6TensorESK_SK_EERKSK_lbbbEUlllE0_EEPmJS9_EEE10hipError_tPvRmT3_T4_T5_T6_T7_T9_mT8_P12ihipStream_tbDpT10_ENKUlT_T0_E_clISt17integral_constantIbLb0EES1A_EEDaS15_S16_EUlS15_E_NS1_11comp_targetILNS1_3genE10ELNS1_11target_archE1200ELNS1_3gpuE4ELNS1_3repE0EEENS1_30default_config_static_selectorELNS0_4arch9wavefront6targetE0EEEvT1_.has_recursion, 0
	.set _ZN7rocprim17ROCPRIM_400000_NS6detail17trampoline_kernelINS0_14default_configENS1_25partition_config_selectorILNS1_17partition_subalgoE9EllbEEZZNS1_14partition_implILS5_9ELb0ES3_jPlS8_PNS0_10empty_typeENS0_5tupleIJS8_S9_EEENSB_IJS8_SA_EEENS0_18inequality_wrapperIZN2at6native12_GLOBAL__N_124unique_dim_cuda_templateImEESt5tupleIJNSF_6TensorESK_SK_EERKSK_lbbbEUlllE0_EEPmJS9_EEE10hipError_tPvRmT3_T4_T5_T6_T7_T9_mT8_P12ihipStream_tbDpT10_ENKUlT_T0_E_clISt17integral_constantIbLb0EES1A_EEDaS15_S16_EUlS15_E_NS1_11comp_targetILNS1_3genE10ELNS1_11target_archE1200ELNS1_3gpuE4ELNS1_3repE0EEENS1_30default_config_static_selectorELNS0_4arch9wavefront6targetE0EEEvT1_.has_indirect_call, 0
	.section	.AMDGPU.csdata,"",@progbits
; Kernel info:
; codeLenInByte = 0
; TotalNumSgprs: 0
; NumVgprs: 0
; ScratchSize: 0
; MemoryBound: 0
; FloatMode: 240
; IeeeMode: 1
; LDSByteSize: 0 bytes/workgroup (compile time only)
; SGPRBlocks: 0
; VGPRBlocks: 0
; NumSGPRsForWavesPerEU: 1
; NumVGPRsForWavesPerEU: 1
; NamedBarCnt: 0
; Occupancy: 16
; WaveLimiterHint : 0
; COMPUTE_PGM_RSRC2:SCRATCH_EN: 0
; COMPUTE_PGM_RSRC2:USER_SGPR: 2
; COMPUTE_PGM_RSRC2:TRAP_HANDLER: 0
; COMPUTE_PGM_RSRC2:TGID_X_EN: 1
; COMPUTE_PGM_RSRC2:TGID_Y_EN: 0
; COMPUTE_PGM_RSRC2:TGID_Z_EN: 0
; COMPUTE_PGM_RSRC2:TIDIG_COMP_CNT: 0
	.section	.text._ZN7rocprim17ROCPRIM_400000_NS6detail17trampoline_kernelINS0_14default_configENS1_25partition_config_selectorILNS1_17partition_subalgoE9EllbEEZZNS1_14partition_implILS5_9ELb0ES3_jPlS8_PNS0_10empty_typeENS0_5tupleIJS8_S9_EEENSB_IJS8_SA_EEENS0_18inequality_wrapperIZN2at6native12_GLOBAL__N_124unique_dim_cuda_templateImEESt5tupleIJNSF_6TensorESK_SK_EERKSK_lbbbEUlllE0_EEPmJS9_EEE10hipError_tPvRmT3_T4_T5_T6_T7_T9_mT8_P12ihipStream_tbDpT10_ENKUlT_T0_E_clISt17integral_constantIbLb0EES1A_EEDaS15_S16_EUlS15_E_NS1_11comp_targetILNS1_3genE9ELNS1_11target_archE1100ELNS1_3gpuE3ELNS1_3repE0EEENS1_30default_config_static_selectorELNS0_4arch9wavefront6targetE0EEEvT1_,"axG",@progbits,_ZN7rocprim17ROCPRIM_400000_NS6detail17trampoline_kernelINS0_14default_configENS1_25partition_config_selectorILNS1_17partition_subalgoE9EllbEEZZNS1_14partition_implILS5_9ELb0ES3_jPlS8_PNS0_10empty_typeENS0_5tupleIJS8_S9_EEENSB_IJS8_SA_EEENS0_18inequality_wrapperIZN2at6native12_GLOBAL__N_124unique_dim_cuda_templateImEESt5tupleIJNSF_6TensorESK_SK_EERKSK_lbbbEUlllE0_EEPmJS9_EEE10hipError_tPvRmT3_T4_T5_T6_T7_T9_mT8_P12ihipStream_tbDpT10_ENKUlT_T0_E_clISt17integral_constantIbLb0EES1A_EEDaS15_S16_EUlS15_E_NS1_11comp_targetILNS1_3genE9ELNS1_11target_archE1100ELNS1_3gpuE3ELNS1_3repE0EEENS1_30default_config_static_selectorELNS0_4arch9wavefront6targetE0EEEvT1_,comdat
	.globl	_ZN7rocprim17ROCPRIM_400000_NS6detail17trampoline_kernelINS0_14default_configENS1_25partition_config_selectorILNS1_17partition_subalgoE9EllbEEZZNS1_14partition_implILS5_9ELb0ES3_jPlS8_PNS0_10empty_typeENS0_5tupleIJS8_S9_EEENSB_IJS8_SA_EEENS0_18inequality_wrapperIZN2at6native12_GLOBAL__N_124unique_dim_cuda_templateImEESt5tupleIJNSF_6TensorESK_SK_EERKSK_lbbbEUlllE0_EEPmJS9_EEE10hipError_tPvRmT3_T4_T5_T6_T7_T9_mT8_P12ihipStream_tbDpT10_ENKUlT_T0_E_clISt17integral_constantIbLb0EES1A_EEDaS15_S16_EUlS15_E_NS1_11comp_targetILNS1_3genE9ELNS1_11target_archE1100ELNS1_3gpuE3ELNS1_3repE0EEENS1_30default_config_static_selectorELNS0_4arch9wavefront6targetE0EEEvT1_ ; -- Begin function _ZN7rocprim17ROCPRIM_400000_NS6detail17trampoline_kernelINS0_14default_configENS1_25partition_config_selectorILNS1_17partition_subalgoE9EllbEEZZNS1_14partition_implILS5_9ELb0ES3_jPlS8_PNS0_10empty_typeENS0_5tupleIJS8_S9_EEENSB_IJS8_SA_EEENS0_18inequality_wrapperIZN2at6native12_GLOBAL__N_124unique_dim_cuda_templateImEESt5tupleIJNSF_6TensorESK_SK_EERKSK_lbbbEUlllE0_EEPmJS9_EEE10hipError_tPvRmT3_T4_T5_T6_T7_T9_mT8_P12ihipStream_tbDpT10_ENKUlT_T0_E_clISt17integral_constantIbLb0EES1A_EEDaS15_S16_EUlS15_E_NS1_11comp_targetILNS1_3genE9ELNS1_11target_archE1100ELNS1_3gpuE3ELNS1_3repE0EEENS1_30default_config_static_selectorELNS0_4arch9wavefront6targetE0EEEvT1_
	.p2align	8
	.type	_ZN7rocprim17ROCPRIM_400000_NS6detail17trampoline_kernelINS0_14default_configENS1_25partition_config_selectorILNS1_17partition_subalgoE9EllbEEZZNS1_14partition_implILS5_9ELb0ES3_jPlS8_PNS0_10empty_typeENS0_5tupleIJS8_S9_EEENSB_IJS8_SA_EEENS0_18inequality_wrapperIZN2at6native12_GLOBAL__N_124unique_dim_cuda_templateImEESt5tupleIJNSF_6TensorESK_SK_EERKSK_lbbbEUlllE0_EEPmJS9_EEE10hipError_tPvRmT3_T4_T5_T6_T7_T9_mT8_P12ihipStream_tbDpT10_ENKUlT_T0_E_clISt17integral_constantIbLb0EES1A_EEDaS15_S16_EUlS15_E_NS1_11comp_targetILNS1_3genE9ELNS1_11target_archE1100ELNS1_3gpuE3ELNS1_3repE0EEENS1_30default_config_static_selectorELNS0_4arch9wavefront6targetE0EEEvT1_,@function
_ZN7rocprim17ROCPRIM_400000_NS6detail17trampoline_kernelINS0_14default_configENS1_25partition_config_selectorILNS1_17partition_subalgoE9EllbEEZZNS1_14partition_implILS5_9ELb0ES3_jPlS8_PNS0_10empty_typeENS0_5tupleIJS8_S9_EEENSB_IJS8_SA_EEENS0_18inequality_wrapperIZN2at6native12_GLOBAL__N_124unique_dim_cuda_templateImEESt5tupleIJNSF_6TensorESK_SK_EERKSK_lbbbEUlllE0_EEPmJS9_EEE10hipError_tPvRmT3_T4_T5_T6_T7_T9_mT8_P12ihipStream_tbDpT10_ENKUlT_T0_E_clISt17integral_constantIbLb0EES1A_EEDaS15_S16_EUlS15_E_NS1_11comp_targetILNS1_3genE9ELNS1_11target_archE1100ELNS1_3gpuE3ELNS1_3repE0EEENS1_30default_config_static_selectorELNS0_4arch9wavefront6targetE0EEEvT1_: ; @_ZN7rocprim17ROCPRIM_400000_NS6detail17trampoline_kernelINS0_14default_configENS1_25partition_config_selectorILNS1_17partition_subalgoE9EllbEEZZNS1_14partition_implILS5_9ELb0ES3_jPlS8_PNS0_10empty_typeENS0_5tupleIJS8_S9_EEENSB_IJS8_SA_EEENS0_18inequality_wrapperIZN2at6native12_GLOBAL__N_124unique_dim_cuda_templateImEESt5tupleIJNSF_6TensorESK_SK_EERKSK_lbbbEUlllE0_EEPmJS9_EEE10hipError_tPvRmT3_T4_T5_T6_T7_T9_mT8_P12ihipStream_tbDpT10_ENKUlT_T0_E_clISt17integral_constantIbLb0EES1A_EEDaS15_S16_EUlS15_E_NS1_11comp_targetILNS1_3genE9ELNS1_11target_archE1100ELNS1_3gpuE3ELNS1_3repE0EEENS1_30default_config_static_selectorELNS0_4arch9wavefront6targetE0EEEvT1_
; %bb.0:
	.section	.rodata,"a",@progbits
	.p2align	6, 0x0
	.amdhsa_kernel _ZN7rocprim17ROCPRIM_400000_NS6detail17trampoline_kernelINS0_14default_configENS1_25partition_config_selectorILNS1_17partition_subalgoE9EllbEEZZNS1_14partition_implILS5_9ELb0ES3_jPlS8_PNS0_10empty_typeENS0_5tupleIJS8_S9_EEENSB_IJS8_SA_EEENS0_18inequality_wrapperIZN2at6native12_GLOBAL__N_124unique_dim_cuda_templateImEESt5tupleIJNSF_6TensorESK_SK_EERKSK_lbbbEUlllE0_EEPmJS9_EEE10hipError_tPvRmT3_T4_T5_T6_T7_T9_mT8_P12ihipStream_tbDpT10_ENKUlT_T0_E_clISt17integral_constantIbLb0EES1A_EEDaS15_S16_EUlS15_E_NS1_11comp_targetILNS1_3genE9ELNS1_11target_archE1100ELNS1_3gpuE3ELNS1_3repE0EEENS1_30default_config_static_selectorELNS0_4arch9wavefront6targetE0EEEvT1_
		.amdhsa_group_segment_fixed_size 0
		.amdhsa_private_segment_fixed_size 0
		.amdhsa_kernarg_size 120
		.amdhsa_user_sgpr_count 2
		.amdhsa_user_sgpr_dispatch_ptr 0
		.amdhsa_user_sgpr_queue_ptr 0
		.amdhsa_user_sgpr_kernarg_segment_ptr 1
		.amdhsa_user_sgpr_dispatch_id 0
		.amdhsa_user_sgpr_kernarg_preload_length 0
		.amdhsa_user_sgpr_kernarg_preload_offset 0
		.amdhsa_user_sgpr_private_segment_size 0
		.amdhsa_wavefront_size32 1
		.amdhsa_uses_dynamic_stack 0
		.amdhsa_enable_private_segment 0
		.amdhsa_system_sgpr_workgroup_id_x 1
		.amdhsa_system_sgpr_workgroup_id_y 0
		.amdhsa_system_sgpr_workgroup_id_z 0
		.amdhsa_system_sgpr_workgroup_info 0
		.amdhsa_system_vgpr_workitem_id 0
		.amdhsa_next_free_vgpr 1
		.amdhsa_next_free_sgpr 1
		.amdhsa_named_barrier_count 0
		.amdhsa_reserve_vcc 0
		.amdhsa_float_round_mode_32 0
		.amdhsa_float_round_mode_16_64 0
		.amdhsa_float_denorm_mode_32 3
		.amdhsa_float_denorm_mode_16_64 3
		.amdhsa_fp16_overflow 0
		.amdhsa_memory_ordered 1
		.amdhsa_forward_progress 1
		.amdhsa_inst_pref_size 0
		.amdhsa_round_robin_scheduling 0
		.amdhsa_exception_fp_ieee_invalid_op 0
		.amdhsa_exception_fp_denorm_src 0
		.amdhsa_exception_fp_ieee_div_zero 0
		.amdhsa_exception_fp_ieee_overflow 0
		.amdhsa_exception_fp_ieee_underflow 0
		.amdhsa_exception_fp_ieee_inexact 0
		.amdhsa_exception_int_div_zero 0
	.end_amdhsa_kernel
	.section	.text._ZN7rocprim17ROCPRIM_400000_NS6detail17trampoline_kernelINS0_14default_configENS1_25partition_config_selectorILNS1_17partition_subalgoE9EllbEEZZNS1_14partition_implILS5_9ELb0ES3_jPlS8_PNS0_10empty_typeENS0_5tupleIJS8_S9_EEENSB_IJS8_SA_EEENS0_18inequality_wrapperIZN2at6native12_GLOBAL__N_124unique_dim_cuda_templateImEESt5tupleIJNSF_6TensorESK_SK_EERKSK_lbbbEUlllE0_EEPmJS9_EEE10hipError_tPvRmT3_T4_T5_T6_T7_T9_mT8_P12ihipStream_tbDpT10_ENKUlT_T0_E_clISt17integral_constantIbLb0EES1A_EEDaS15_S16_EUlS15_E_NS1_11comp_targetILNS1_3genE9ELNS1_11target_archE1100ELNS1_3gpuE3ELNS1_3repE0EEENS1_30default_config_static_selectorELNS0_4arch9wavefront6targetE0EEEvT1_,"axG",@progbits,_ZN7rocprim17ROCPRIM_400000_NS6detail17trampoline_kernelINS0_14default_configENS1_25partition_config_selectorILNS1_17partition_subalgoE9EllbEEZZNS1_14partition_implILS5_9ELb0ES3_jPlS8_PNS0_10empty_typeENS0_5tupleIJS8_S9_EEENSB_IJS8_SA_EEENS0_18inequality_wrapperIZN2at6native12_GLOBAL__N_124unique_dim_cuda_templateImEESt5tupleIJNSF_6TensorESK_SK_EERKSK_lbbbEUlllE0_EEPmJS9_EEE10hipError_tPvRmT3_T4_T5_T6_T7_T9_mT8_P12ihipStream_tbDpT10_ENKUlT_T0_E_clISt17integral_constantIbLb0EES1A_EEDaS15_S16_EUlS15_E_NS1_11comp_targetILNS1_3genE9ELNS1_11target_archE1100ELNS1_3gpuE3ELNS1_3repE0EEENS1_30default_config_static_selectorELNS0_4arch9wavefront6targetE0EEEvT1_,comdat
.Lfunc_end1701:
	.size	_ZN7rocprim17ROCPRIM_400000_NS6detail17trampoline_kernelINS0_14default_configENS1_25partition_config_selectorILNS1_17partition_subalgoE9EllbEEZZNS1_14partition_implILS5_9ELb0ES3_jPlS8_PNS0_10empty_typeENS0_5tupleIJS8_S9_EEENSB_IJS8_SA_EEENS0_18inequality_wrapperIZN2at6native12_GLOBAL__N_124unique_dim_cuda_templateImEESt5tupleIJNSF_6TensorESK_SK_EERKSK_lbbbEUlllE0_EEPmJS9_EEE10hipError_tPvRmT3_T4_T5_T6_T7_T9_mT8_P12ihipStream_tbDpT10_ENKUlT_T0_E_clISt17integral_constantIbLb0EES1A_EEDaS15_S16_EUlS15_E_NS1_11comp_targetILNS1_3genE9ELNS1_11target_archE1100ELNS1_3gpuE3ELNS1_3repE0EEENS1_30default_config_static_selectorELNS0_4arch9wavefront6targetE0EEEvT1_, .Lfunc_end1701-_ZN7rocprim17ROCPRIM_400000_NS6detail17trampoline_kernelINS0_14default_configENS1_25partition_config_selectorILNS1_17partition_subalgoE9EllbEEZZNS1_14partition_implILS5_9ELb0ES3_jPlS8_PNS0_10empty_typeENS0_5tupleIJS8_S9_EEENSB_IJS8_SA_EEENS0_18inequality_wrapperIZN2at6native12_GLOBAL__N_124unique_dim_cuda_templateImEESt5tupleIJNSF_6TensorESK_SK_EERKSK_lbbbEUlllE0_EEPmJS9_EEE10hipError_tPvRmT3_T4_T5_T6_T7_T9_mT8_P12ihipStream_tbDpT10_ENKUlT_T0_E_clISt17integral_constantIbLb0EES1A_EEDaS15_S16_EUlS15_E_NS1_11comp_targetILNS1_3genE9ELNS1_11target_archE1100ELNS1_3gpuE3ELNS1_3repE0EEENS1_30default_config_static_selectorELNS0_4arch9wavefront6targetE0EEEvT1_
                                        ; -- End function
	.set _ZN7rocprim17ROCPRIM_400000_NS6detail17trampoline_kernelINS0_14default_configENS1_25partition_config_selectorILNS1_17partition_subalgoE9EllbEEZZNS1_14partition_implILS5_9ELb0ES3_jPlS8_PNS0_10empty_typeENS0_5tupleIJS8_S9_EEENSB_IJS8_SA_EEENS0_18inequality_wrapperIZN2at6native12_GLOBAL__N_124unique_dim_cuda_templateImEESt5tupleIJNSF_6TensorESK_SK_EERKSK_lbbbEUlllE0_EEPmJS9_EEE10hipError_tPvRmT3_T4_T5_T6_T7_T9_mT8_P12ihipStream_tbDpT10_ENKUlT_T0_E_clISt17integral_constantIbLb0EES1A_EEDaS15_S16_EUlS15_E_NS1_11comp_targetILNS1_3genE9ELNS1_11target_archE1100ELNS1_3gpuE3ELNS1_3repE0EEENS1_30default_config_static_selectorELNS0_4arch9wavefront6targetE0EEEvT1_.num_vgpr, 0
	.set _ZN7rocprim17ROCPRIM_400000_NS6detail17trampoline_kernelINS0_14default_configENS1_25partition_config_selectorILNS1_17partition_subalgoE9EllbEEZZNS1_14partition_implILS5_9ELb0ES3_jPlS8_PNS0_10empty_typeENS0_5tupleIJS8_S9_EEENSB_IJS8_SA_EEENS0_18inequality_wrapperIZN2at6native12_GLOBAL__N_124unique_dim_cuda_templateImEESt5tupleIJNSF_6TensorESK_SK_EERKSK_lbbbEUlllE0_EEPmJS9_EEE10hipError_tPvRmT3_T4_T5_T6_T7_T9_mT8_P12ihipStream_tbDpT10_ENKUlT_T0_E_clISt17integral_constantIbLb0EES1A_EEDaS15_S16_EUlS15_E_NS1_11comp_targetILNS1_3genE9ELNS1_11target_archE1100ELNS1_3gpuE3ELNS1_3repE0EEENS1_30default_config_static_selectorELNS0_4arch9wavefront6targetE0EEEvT1_.num_agpr, 0
	.set _ZN7rocprim17ROCPRIM_400000_NS6detail17trampoline_kernelINS0_14default_configENS1_25partition_config_selectorILNS1_17partition_subalgoE9EllbEEZZNS1_14partition_implILS5_9ELb0ES3_jPlS8_PNS0_10empty_typeENS0_5tupleIJS8_S9_EEENSB_IJS8_SA_EEENS0_18inequality_wrapperIZN2at6native12_GLOBAL__N_124unique_dim_cuda_templateImEESt5tupleIJNSF_6TensorESK_SK_EERKSK_lbbbEUlllE0_EEPmJS9_EEE10hipError_tPvRmT3_T4_T5_T6_T7_T9_mT8_P12ihipStream_tbDpT10_ENKUlT_T0_E_clISt17integral_constantIbLb0EES1A_EEDaS15_S16_EUlS15_E_NS1_11comp_targetILNS1_3genE9ELNS1_11target_archE1100ELNS1_3gpuE3ELNS1_3repE0EEENS1_30default_config_static_selectorELNS0_4arch9wavefront6targetE0EEEvT1_.numbered_sgpr, 0
	.set _ZN7rocprim17ROCPRIM_400000_NS6detail17trampoline_kernelINS0_14default_configENS1_25partition_config_selectorILNS1_17partition_subalgoE9EllbEEZZNS1_14partition_implILS5_9ELb0ES3_jPlS8_PNS0_10empty_typeENS0_5tupleIJS8_S9_EEENSB_IJS8_SA_EEENS0_18inequality_wrapperIZN2at6native12_GLOBAL__N_124unique_dim_cuda_templateImEESt5tupleIJNSF_6TensorESK_SK_EERKSK_lbbbEUlllE0_EEPmJS9_EEE10hipError_tPvRmT3_T4_T5_T6_T7_T9_mT8_P12ihipStream_tbDpT10_ENKUlT_T0_E_clISt17integral_constantIbLb0EES1A_EEDaS15_S16_EUlS15_E_NS1_11comp_targetILNS1_3genE9ELNS1_11target_archE1100ELNS1_3gpuE3ELNS1_3repE0EEENS1_30default_config_static_selectorELNS0_4arch9wavefront6targetE0EEEvT1_.num_named_barrier, 0
	.set _ZN7rocprim17ROCPRIM_400000_NS6detail17trampoline_kernelINS0_14default_configENS1_25partition_config_selectorILNS1_17partition_subalgoE9EllbEEZZNS1_14partition_implILS5_9ELb0ES3_jPlS8_PNS0_10empty_typeENS0_5tupleIJS8_S9_EEENSB_IJS8_SA_EEENS0_18inequality_wrapperIZN2at6native12_GLOBAL__N_124unique_dim_cuda_templateImEESt5tupleIJNSF_6TensorESK_SK_EERKSK_lbbbEUlllE0_EEPmJS9_EEE10hipError_tPvRmT3_T4_T5_T6_T7_T9_mT8_P12ihipStream_tbDpT10_ENKUlT_T0_E_clISt17integral_constantIbLb0EES1A_EEDaS15_S16_EUlS15_E_NS1_11comp_targetILNS1_3genE9ELNS1_11target_archE1100ELNS1_3gpuE3ELNS1_3repE0EEENS1_30default_config_static_selectorELNS0_4arch9wavefront6targetE0EEEvT1_.private_seg_size, 0
	.set _ZN7rocprim17ROCPRIM_400000_NS6detail17trampoline_kernelINS0_14default_configENS1_25partition_config_selectorILNS1_17partition_subalgoE9EllbEEZZNS1_14partition_implILS5_9ELb0ES3_jPlS8_PNS0_10empty_typeENS0_5tupleIJS8_S9_EEENSB_IJS8_SA_EEENS0_18inequality_wrapperIZN2at6native12_GLOBAL__N_124unique_dim_cuda_templateImEESt5tupleIJNSF_6TensorESK_SK_EERKSK_lbbbEUlllE0_EEPmJS9_EEE10hipError_tPvRmT3_T4_T5_T6_T7_T9_mT8_P12ihipStream_tbDpT10_ENKUlT_T0_E_clISt17integral_constantIbLb0EES1A_EEDaS15_S16_EUlS15_E_NS1_11comp_targetILNS1_3genE9ELNS1_11target_archE1100ELNS1_3gpuE3ELNS1_3repE0EEENS1_30default_config_static_selectorELNS0_4arch9wavefront6targetE0EEEvT1_.uses_vcc, 0
	.set _ZN7rocprim17ROCPRIM_400000_NS6detail17trampoline_kernelINS0_14default_configENS1_25partition_config_selectorILNS1_17partition_subalgoE9EllbEEZZNS1_14partition_implILS5_9ELb0ES3_jPlS8_PNS0_10empty_typeENS0_5tupleIJS8_S9_EEENSB_IJS8_SA_EEENS0_18inequality_wrapperIZN2at6native12_GLOBAL__N_124unique_dim_cuda_templateImEESt5tupleIJNSF_6TensorESK_SK_EERKSK_lbbbEUlllE0_EEPmJS9_EEE10hipError_tPvRmT3_T4_T5_T6_T7_T9_mT8_P12ihipStream_tbDpT10_ENKUlT_T0_E_clISt17integral_constantIbLb0EES1A_EEDaS15_S16_EUlS15_E_NS1_11comp_targetILNS1_3genE9ELNS1_11target_archE1100ELNS1_3gpuE3ELNS1_3repE0EEENS1_30default_config_static_selectorELNS0_4arch9wavefront6targetE0EEEvT1_.uses_flat_scratch, 0
	.set _ZN7rocprim17ROCPRIM_400000_NS6detail17trampoline_kernelINS0_14default_configENS1_25partition_config_selectorILNS1_17partition_subalgoE9EllbEEZZNS1_14partition_implILS5_9ELb0ES3_jPlS8_PNS0_10empty_typeENS0_5tupleIJS8_S9_EEENSB_IJS8_SA_EEENS0_18inequality_wrapperIZN2at6native12_GLOBAL__N_124unique_dim_cuda_templateImEESt5tupleIJNSF_6TensorESK_SK_EERKSK_lbbbEUlllE0_EEPmJS9_EEE10hipError_tPvRmT3_T4_T5_T6_T7_T9_mT8_P12ihipStream_tbDpT10_ENKUlT_T0_E_clISt17integral_constantIbLb0EES1A_EEDaS15_S16_EUlS15_E_NS1_11comp_targetILNS1_3genE9ELNS1_11target_archE1100ELNS1_3gpuE3ELNS1_3repE0EEENS1_30default_config_static_selectorELNS0_4arch9wavefront6targetE0EEEvT1_.has_dyn_sized_stack, 0
	.set _ZN7rocprim17ROCPRIM_400000_NS6detail17trampoline_kernelINS0_14default_configENS1_25partition_config_selectorILNS1_17partition_subalgoE9EllbEEZZNS1_14partition_implILS5_9ELb0ES3_jPlS8_PNS0_10empty_typeENS0_5tupleIJS8_S9_EEENSB_IJS8_SA_EEENS0_18inequality_wrapperIZN2at6native12_GLOBAL__N_124unique_dim_cuda_templateImEESt5tupleIJNSF_6TensorESK_SK_EERKSK_lbbbEUlllE0_EEPmJS9_EEE10hipError_tPvRmT3_T4_T5_T6_T7_T9_mT8_P12ihipStream_tbDpT10_ENKUlT_T0_E_clISt17integral_constantIbLb0EES1A_EEDaS15_S16_EUlS15_E_NS1_11comp_targetILNS1_3genE9ELNS1_11target_archE1100ELNS1_3gpuE3ELNS1_3repE0EEENS1_30default_config_static_selectorELNS0_4arch9wavefront6targetE0EEEvT1_.has_recursion, 0
	.set _ZN7rocprim17ROCPRIM_400000_NS6detail17trampoline_kernelINS0_14default_configENS1_25partition_config_selectorILNS1_17partition_subalgoE9EllbEEZZNS1_14partition_implILS5_9ELb0ES3_jPlS8_PNS0_10empty_typeENS0_5tupleIJS8_S9_EEENSB_IJS8_SA_EEENS0_18inequality_wrapperIZN2at6native12_GLOBAL__N_124unique_dim_cuda_templateImEESt5tupleIJNSF_6TensorESK_SK_EERKSK_lbbbEUlllE0_EEPmJS9_EEE10hipError_tPvRmT3_T4_T5_T6_T7_T9_mT8_P12ihipStream_tbDpT10_ENKUlT_T0_E_clISt17integral_constantIbLb0EES1A_EEDaS15_S16_EUlS15_E_NS1_11comp_targetILNS1_3genE9ELNS1_11target_archE1100ELNS1_3gpuE3ELNS1_3repE0EEENS1_30default_config_static_selectorELNS0_4arch9wavefront6targetE0EEEvT1_.has_indirect_call, 0
	.section	.AMDGPU.csdata,"",@progbits
; Kernel info:
; codeLenInByte = 0
; TotalNumSgprs: 0
; NumVgprs: 0
; ScratchSize: 0
; MemoryBound: 0
; FloatMode: 240
; IeeeMode: 1
; LDSByteSize: 0 bytes/workgroup (compile time only)
; SGPRBlocks: 0
; VGPRBlocks: 0
; NumSGPRsForWavesPerEU: 1
; NumVGPRsForWavesPerEU: 1
; NamedBarCnt: 0
; Occupancy: 16
; WaveLimiterHint : 0
; COMPUTE_PGM_RSRC2:SCRATCH_EN: 0
; COMPUTE_PGM_RSRC2:USER_SGPR: 2
; COMPUTE_PGM_RSRC2:TRAP_HANDLER: 0
; COMPUTE_PGM_RSRC2:TGID_X_EN: 1
; COMPUTE_PGM_RSRC2:TGID_Y_EN: 0
; COMPUTE_PGM_RSRC2:TGID_Z_EN: 0
; COMPUTE_PGM_RSRC2:TIDIG_COMP_CNT: 0
	.section	.text._ZN7rocprim17ROCPRIM_400000_NS6detail17trampoline_kernelINS0_14default_configENS1_25partition_config_selectorILNS1_17partition_subalgoE9EllbEEZZNS1_14partition_implILS5_9ELb0ES3_jPlS8_PNS0_10empty_typeENS0_5tupleIJS8_S9_EEENSB_IJS8_SA_EEENS0_18inequality_wrapperIZN2at6native12_GLOBAL__N_124unique_dim_cuda_templateImEESt5tupleIJNSF_6TensorESK_SK_EERKSK_lbbbEUlllE0_EEPmJS9_EEE10hipError_tPvRmT3_T4_T5_T6_T7_T9_mT8_P12ihipStream_tbDpT10_ENKUlT_T0_E_clISt17integral_constantIbLb0EES1A_EEDaS15_S16_EUlS15_E_NS1_11comp_targetILNS1_3genE8ELNS1_11target_archE1030ELNS1_3gpuE2ELNS1_3repE0EEENS1_30default_config_static_selectorELNS0_4arch9wavefront6targetE0EEEvT1_,"axG",@progbits,_ZN7rocprim17ROCPRIM_400000_NS6detail17trampoline_kernelINS0_14default_configENS1_25partition_config_selectorILNS1_17partition_subalgoE9EllbEEZZNS1_14partition_implILS5_9ELb0ES3_jPlS8_PNS0_10empty_typeENS0_5tupleIJS8_S9_EEENSB_IJS8_SA_EEENS0_18inequality_wrapperIZN2at6native12_GLOBAL__N_124unique_dim_cuda_templateImEESt5tupleIJNSF_6TensorESK_SK_EERKSK_lbbbEUlllE0_EEPmJS9_EEE10hipError_tPvRmT3_T4_T5_T6_T7_T9_mT8_P12ihipStream_tbDpT10_ENKUlT_T0_E_clISt17integral_constantIbLb0EES1A_EEDaS15_S16_EUlS15_E_NS1_11comp_targetILNS1_3genE8ELNS1_11target_archE1030ELNS1_3gpuE2ELNS1_3repE0EEENS1_30default_config_static_selectorELNS0_4arch9wavefront6targetE0EEEvT1_,comdat
	.globl	_ZN7rocprim17ROCPRIM_400000_NS6detail17trampoline_kernelINS0_14default_configENS1_25partition_config_selectorILNS1_17partition_subalgoE9EllbEEZZNS1_14partition_implILS5_9ELb0ES3_jPlS8_PNS0_10empty_typeENS0_5tupleIJS8_S9_EEENSB_IJS8_SA_EEENS0_18inequality_wrapperIZN2at6native12_GLOBAL__N_124unique_dim_cuda_templateImEESt5tupleIJNSF_6TensorESK_SK_EERKSK_lbbbEUlllE0_EEPmJS9_EEE10hipError_tPvRmT3_T4_T5_T6_T7_T9_mT8_P12ihipStream_tbDpT10_ENKUlT_T0_E_clISt17integral_constantIbLb0EES1A_EEDaS15_S16_EUlS15_E_NS1_11comp_targetILNS1_3genE8ELNS1_11target_archE1030ELNS1_3gpuE2ELNS1_3repE0EEENS1_30default_config_static_selectorELNS0_4arch9wavefront6targetE0EEEvT1_ ; -- Begin function _ZN7rocprim17ROCPRIM_400000_NS6detail17trampoline_kernelINS0_14default_configENS1_25partition_config_selectorILNS1_17partition_subalgoE9EllbEEZZNS1_14partition_implILS5_9ELb0ES3_jPlS8_PNS0_10empty_typeENS0_5tupleIJS8_S9_EEENSB_IJS8_SA_EEENS0_18inequality_wrapperIZN2at6native12_GLOBAL__N_124unique_dim_cuda_templateImEESt5tupleIJNSF_6TensorESK_SK_EERKSK_lbbbEUlllE0_EEPmJS9_EEE10hipError_tPvRmT3_T4_T5_T6_T7_T9_mT8_P12ihipStream_tbDpT10_ENKUlT_T0_E_clISt17integral_constantIbLb0EES1A_EEDaS15_S16_EUlS15_E_NS1_11comp_targetILNS1_3genE8ELNS1_11target_archE1030ELNS1_3gpuE2ELNS1_3repE0EEENS1_30default_config_static_selectorELNS0_4arch9wavefront6targetE0EEEvT1_
	.p2align	8
	.type	_ZN7rocprim17ROCPRIM_400000_NS6detail17trampoline_kernelINS0_14default_configENS1_25partition_config_selectorILNS1_17partition_subalgoE9EllbEEZZNS1_14partition_implILS5_9ELb0ES3_jPlS8_PNS0_10empty_typeENS0_5tupleIJS8_S9_EEENSB_IJS8_SA_EEENS0_18inequality_wrapperIZN2at6native12_GLOBAL__N_124unique_dim_cuda_templateImEESt5tupleIJNSF_6TensorESK_SK_EERKSK_lbbbEUlllE0_EEPmJS9_EEE10hipError_tPvRmT3_T4_T5_T6_T7_T9_mT8_P12ihipStream_tbDpT10_ENKUlT_T0_E_clISt17integral_constantIbLb0EES1A_EEDaS15_S16_EUlS15_E_NS1_11comp_targetILNS1_3genE8ELNS1_11target_archE1030ELNS1_3gpuE2ELNS1_3repE0EEENS1_30default_config_static_selectorELNS0_4arch9wavefront6targetE0EEEvT1_,@function
_ZN7rocprim17ROCPRIM_400000_NS6detail17trampoline_kernelINS0_14default_configENS1_25partition_config_selectorILNS1_17partition_subalgoE9EllbEEZZNS1_14partition_implILS5_9ELb0ES3_jPlS8_PNS0_10empty_typeENS0_5tupleIJS8_S9_EEENSB_IJS8_SA_EEENS0_18inequality_wrapperIZN2at6native12_GLOBAL__N_124unique_dim_cuda_templateImEESt5tupleIJNSF_6TensorESK_SK_EERKSK_lbbbEUlllE0_EEPmJS9_EEE10hipError_tPvRmT3_T4_T5_T6_T7_T9_mT8_P12ihipStream_tbDpT10_ENKUlT_T0_E_clISt17integral_constantIbLb0EES1A_EEDaS15_S16_EUlS15_E_NS1_11comp_targetILNS1_3genE8ELNS1_11target_archE1030ELNS1_3gpuE2ELNS1_3repE0EEENS1_30default_config_static_selectorELNS0_4arch9wavefront6targetE0EEEvT1_: ; @_ZN7rocprim17ROCPRIM_400000_NS6detail17trampoline_kernelINS0_14default_configENS1_25partition_config_selectorILNS1_17partition_subalgoE9EllbEEZZNS1_14partition_implILS5_9ELb0ES3_jPlS8_PNS0_10empty_typeENS0_5tupleIJS8_S9_EEENSB_IJS8_SA_EEENS0_18inequality_wrapperIZN2at6native12_GLOBAL__N_124unique_dim_cuda_templateImEESt5tupleIJNSF_6TensorESK_SK_EERKSK_lbbbEUlllE0_EEPmJS9_EEE10hipError_tPvRmT3_T4_T5_T6_T7_T9_mT8_P12ihipStream_tbDpT10_ENKUlT_T0_E_clISt17integral_constantIbLb0EES1A_EEDaS15_S16_EUlS15_E_NS1_11comp_targetILNS1_3genE8ELNS1_11target_archE1030ELNS1_3gpuE2ELNS1_3repE0EEENS1_30default_config_static_selectorELNS0_4arch9wavefront6targetE0EEEvT1_
; %bb.0:
	.section	.rodata,"a",@progbits
	.p2align	6, 0x0
	.amdhsa_kernel _ZN7rocprim17ROCPRIM_400000_NS6detail17trampoline_kernelINS0_14default_configENS1_25partition_config_selectorILNS1_17partition_subalgoE9EllbEEZZNS1_14partition_implILS5_9ELb0ES3_jPlS8_PNS0_10empty_typeENS0_5tupleIJS8_S9_EEENSB_IJS8_SA_EEENS0_18inequality_wrapperIZN2at6native12_GLOBAL__N_124unique_dim_cuda_templateImEESt5tupleIJNSF_6TensorESK_SK_EERKSK_lbbbEUlllE0_EEPmJS9_EEE10hipError_tPvRmT3_T4_T5_T6_T7_T9_mT8_P12ihipStream_tbDpT10_ENKUlT_T0_E_clISt17integral_constantIbLb0EES1A_EEDaS15_S16_EUlS15_E_NS1_11comp_targetILNS1_3genE8ELNS1_11target_archE1030ELNS1_3gpuE2ELNS1_3repE0EEENS1_30default_config_static_selectorELNS0_4arch9wavefront6targetE0EEEvT1_
		.amdhsa_group_segment_fixed_size 0
		.amdhsa_private_segment_fixed_size 0
		.amdhsa_kernarg_size 120
		.amdhsa_user_sgpr_count 2
		.amdhsa_user_sgpr_dispatch_ptr 0
		.amdhsa_user_sgpr_queue_ptr 0
		.amdhsa_user_sgpr_kernarg_segment_ptr 1
		.amdhsa_user_sgpr_dispatch_id 0
		.amdhsa_user_sgpr_kernarg_preload_length 0
		.amdhsa_user_sgpr_kernarg_preload_offset 0
		.amdhsa_user_sgpr_private_segment_size 0
		.amdhsa_wavefront_size32 1
		.amdhsa_uses_dynamic_stack 0
		.amdhsa_enable_private_segment 0
		.amdhsa_system_sgpr_workgroup_id_x 1
		.amdhsa_system_sgpr_workgroup_id_y 0
		.amdhsa_system_sgpr_workgroup_id_z 0
		.amdhsa_system_sgpr_workgroup_info 0
		.amdhsa_system_vgpr_workitem_id 0
		.amdhsa_next_free_vgpr 1
		.amdhsa_next_free_sgpr 1
		.amdhsa_named_barrier_count 0
		.amdhsa_reserve_vcc 0
		.amdhsa_float_round_mode_32 0
		.amdhsa_float_round_mode_16_64 0
		.amdhsa_float_denorm_mode_32 3
		.amdhsa_float_denorm_mode_16_64 3
		.amdhsa_fp16_overflow 0
		.amdhsa_memory_ordered 1
		.amdhsa_forward_progress 1
		.amdhsa_inst_pref_size 0
		.amdhsa_round_robin_scheduling 0
		.amdhsa_exception_fp_ieee_invalid_op 0
		.amdhsa_exception_fp_denorm_src 0
		.amdhsa_exception_fp_ieee_div_zero 0
		.amdhsa_exception_fp_ieee_overflow 0
		.amdhsa_exception_fp_ieee_underflow 0
		.amdhsa_exception_fp_ieee_inexact 0
		.amdhsa_exception_int_div_zero 0
	.end_amdhsa_kernel
	.section	.text._ZN7rocprim17ROCPRIM_400000_NS6detail17trampoline_kernelINS0_14default_configENS1_25partition_config_selectorILNS1_17partition_subalgoE9EllbEEZZNS1_14partition_implILS5_9ELb0ES3_jPlS8_PNS0_10empty_typeENS0_5tupleIJS8_S9_EEENSB_IJS8_SA_EEENS0_18inequality_wrapperIZN2at6native12_GLOBAL__N_124unique_dim_cuda_templateImEESt5tupleIJNSF_6TensorESK_SK_EERKSK_lbbbEUlllE0_EEPmJS9_EEE10hipError_tPvRmT3_T4_T5_T6_T7_T9_mT8_P12ihipStream_tbDpT10_ENKUlT_T0_E_clISt17integral_constantIbLb0EES1A_EEDaS15_S16_EUlS15_E_NS1_11comp_targetILNS1_3genE8ELNS1_11target_archE1030ELNS1_3gpuE2ELNS1_3repE0EEENS1_30default_config_static_selectorELNS0_4arch9wavefront6targetE0EEEvT1_,"axG",@progbits,_ZN7rocprim17ROCPRIM_400000_NS6detail17trampoline_kernelINS0_14default_configENS1_25partition_config_selectorILNS1_17partition_subalgoE9EllbEEZZNS1_14partition_implILS5_9ELb0ES3_jPlS8_PNS0_10empty_typeENS0_5tupleIJS8_S9_EEENSB_IJS8_SA_EEENS0_18inequality_wrapperIZN2at6native12_GLOBAL__N_124unique_dim_cuda_templateImEESt5tupleIJNSF_6TensorESK_SK_EERKSK_lbbbEUlllE0_EEPmJS9_EEE10hipError_tPvRmT3_T4_T5_T6_T7_T9_mT8_P12ihipStream_tbDpT10_ENKUlT_T0_E_clISt17integral_constantIbLb0EES1A_EEDaS15_S16_EUlS15_E_NS1_11comp_targetILNS1_3genE8ELNS1_11target_archE1030ELNS1_3gpuE2ELNS1_3repE0EEENS1_30default_config_static_selectorELNS0_4arch9wavefront6targetE0EEEvT1_,comdat
.Lfunc_end1702:
	.size	_ZN7rocprim17ROCPRIM_400000_NS6detail17trampoline_kernelINS0_14default_configENS1_25partition_config_selectorILNS1_17partition_subalgoE9EllbEEZZNS1_14partition_implILS5_9ELb0ES3_jPlS8_PNS0_10empty_typeENS0_5tupleIJS8_S9_EEENSB_IJS8_SA_EEENS0_18inequality_wrapperIZN2at6native12_GLOBAL__N_124unique_dim_cuda_templateImEESt5tupleIJNSF_6TensorESK_SK_EERKSK_lbbbEUlllE0_EEPmJS9_EEE10hipError_tPvRmT3_T4_T5_T6_T7_T9_mT8_P12ihipStream_tbDpT10_ENKUlT_T0_E_clISt17integral_constantIbLb0EES1A_EEDaS15_S16_EUlS15_E_NS1_11comp_targetILNS1_3genE8ELNS1_11target_archE1030ELNS1_3gpuE2ELNS1_3repE0EEENS1_30default_config_static_selectorELNS0_4arch9wavefront6targetE0EEEvT1_, .Lfunc_end1702-_ZN7rocprim17ROCPRIM_400000_NS6detail17trampoline_kernelINS0_14default_configENS1_25partition_config_selectorILNS1_17partition_subalgoE9EllbEEZZNS1_14partition_implILS5_9ELb0ES3_jPlS8_PNS0_10empty_typeENS0_5tupleIJS8_S9_EEENSB_IJS8_SA_EEENS0_18inequality_wrapperIZN2at6native12_GLOBAL__N_124unique_dim_cuda_templateImEESt5tupleIJNSF_6TensorESK_SK_EERKSK_lbbbEUlllE0_EEPmJS9_EEE10hipError_tPvRmT3_T4_T5_T6_T7_T9_mT8_P12ihipStream_tbDpT10_ENKUlT_T0_E_clISt17integral_constantIbLb0EES1A_EEDaS15_S16_EUlS15_E_NS1_11comp_targetILNS1_3genE8ELNS1_11target_archE1030ELNS1_3gpuE2ELNS1_3repE0EEENS1_30default_config_static_selectorELNS0_4arch9wavefront6targetE0EEEvT1_
                                        ; -- End function
	.set _ZN7rocprim17ROCPRIM_400000_NS6detail17trampoline_kernelINS0_14default_configENS1_25partition_config_selectorILNS1_17partition_subalgoE9EllbEEZZNS1_14partition_implILS5_9ELb0ES3_jPlS8_PNS0_10empty_typeENS0_5tupleIJS8_S9_EEENSB_IJS8_SA_EEENS0_18inequality_wrapperIZN2at6native12_GLOBAL__N_124unique_dim_cuda_templateImEESt5tupleIJNSF_6TensorESK_SK_EERKSK_lbbbEUlllE0_EEPmJS9_EEE10hipError_tPvRmT3_T4_T5_T6_T7_T9_mT8_P12ihipStream_tbDpT10_ENKUlT_T0_E_clISt17integral_constantIbLb0EES1A_EEDaS15_S16_EUlS15_E_NS1_11comp_targetILNS1_3genE8ELNS1_11target_archE1030ELNS1_3gpuE2ELNS1_3repE0EEENS1_30default_config_static_selectorELNS0_4arch9wavefront6targetE0EEEvT1_.num_vgpr, 0
	.set _ZN7rocprim17ROCPRIM_400000_NS6detail17trampoline_kernelINS0_14default_configENS1_25partition_config_selectorILNS1_17partition_subalgoE9EllbEEZZNS1_14partition_implILS5_9ELb0ES3_jPlS8_PNS0_10empty_typeENS0_5tupleIJS8_S9_EEENSB_IJS8_SA_EEENS0_18inequality_wrapperIZN2at6native12_GLOBAL__N_124unique_dim_cuda_templateImEESt5tupleIJNSF_6TensorESK_SK_EERKSK_lbbbEUlllE0_EEPmJS9_EEE10hipError_tPvRmT3_T4_T5_T6_T7_T9_mT8_P12ihipStream_tbDpT10_ENKUlT_T0_E_clISt17integral_constantIbLb0EES1A_EEDaS15_S16_EUlS15_E_NS1_11comp_targetILNS1_3genE8ELNS1_11target_archE1030ELNS1_3gpuE2ELNS1_3repE0EEENS1_30default_config_static_selectorELNS0_4arch9wavefront6targetE0EEEvT1_.num_agpr, 0
	.set _ZN7rocprim17ROCPRIM_400000_NS6detail17trampoline_kernelINS0_14default_configENS1_25partition_config_selectorILNS1_17partition_subalgoE9EllbEEZZNS1_14partition_implILS5_9ELb0ES3_jPlS8_PNS0_10empty_typeENS0_5tupleIJS8_S9_EEENSB_IJS8_SA_EEENS0_18inequality_wrapperIZN2at6native12_GLOBAL__N_124unique_dim_cuda_templateImEESt5tupleIJNSF_6TensorESK_SK_EERKSK_lbbbEUlllE0_EEPmJS9_EEE10hipError_tPvRmT3_T4_T5_T6_T7_T9_mT8_P12ihipStream_tbDpT10_ENKUlT_T0_E_clISt17integral_constantIbLb0EES1A_EEDaS15_S16_EUlS15_E_NS1_11comp_targetILNS1_3genE8ELNS1_11target_archE1030ELNS1_3gpuE2ELNS1_3repE0EEENS1_30default_config_static_selectorELNS0_4arch9wavefront6targetE0EEEvT1_.numbered_sgpr, 0
	.set _ZN7rocprim17ROCPRIM_400000_NS6detail17trampoline_kernelINS0_14default_configENS1_25partition_config_selectorILNS1_17partition_subalgoE9EllbEEZZNS1_14partition_implILS5_9ELb0ES3_jPlS8_PNS0_10empty_typeENS0_5tupleIJS8_S9_EEENSB_IJS8_SA_EEENS0_18inequality_wrapperIZN2at6native12_GLOBAL__N_124unique_dim_cuda_templateImEESt5tupleIJNSF_6TensorESK_SK_EERKSK_lbbbEUlllE0_EEPmJS9_EEE10hipError_tPvRmT3_T4_T5_T6_T7_T9_mT8_P12ihipStream_tbDpT10_ENKUlT_T0_E_clISt17integral_constantIbLb0EES1A_EEDaS15_S16_EUlS15_E_NS1_11comp_targetILNS1_3genE8ELNS1_11target_archE1030ELNS1_3gpuE2ELNS1_3repE0EEENS1_30default_config_static_selectorELNS0_4arch9wavefront6targetE0EEEvT1_.num_named_barrier, 0
	.set _ZN7rocprim17ROCPRIM_400000_NS6detail17trampoline_kernelINS0_14default_configENS1_25partition_config_selectorILNS1_17partition_subalgoE9EllbEEZZNS1_14partition_implILS5_9ELb0ES3_jPlS8_PNS0_10empty_typeENS0_5tupleIJS8_S9_EEENSB_IJS8_SA_EEENS0_18inequality_wrapperIZN2at6native12_GLOBAL__N_124unique_dim_cuda_templateImEESt5tupleIJNSF_6TensorESK_SK_EERKSK_lbbbEUlllE0_EEPmJS9_EEE10hipError_tPvRmT3_T4_T5_T6_T7_T9_mT8_P12ihipStream_tbDpT10_ENKUlT_T0_E_clISt17integral_constantIbLb0EES1A_EEDaS15_S16_EUlS15_E_NS1_11comp_targetILNS1_3genE8ELNS1_11target_archE1030ELNS1_3gpuE2ELNS1_3repE0EEENS1_30default_config_static_selectorELNS0_4arch9wavefront6targetE0EEEvT1_.private_seg_size, 0
	.set _ZN7rocprim17ROCPRIM_400000_NS6detail17trampoline_kernelINS0_14default_configENS1_25partition_config_selectorILNS1_17partition_subalgoE9EllbEEZZNS1_14partition_implILS5_9ELb0ES3_jPlS8_PNS0_10empty_typeENS0_5tupleIJS8_S9_EEENSB_IJS8_SA_EEENS0_18inequality_wrapperIZN2at6native12_GLOBAL__N_124unique_dim_cuda_templateImEESt5tupleIJNSF_6TensorESK_SK_EERKSK_lbbbEUlllE0_EEPmJS9_EEE10hipError_tPvRmT3_T4_T5_T6_T7_T9_mT8_P12ihipStream_tbDpT10_ENKUlT_T0_E_clISt17integral_constantIbLb0EES1A_EEDaS15_S16_EUlS15_E_NS1_11comp_targetILNS1_3genE8ELNS1_11target_archE1030ELNS1_3gpuE2ELNS1_3repE0EEENS1_30default_config_static_selectorELNS0_4arch9wavefront6targetE0EEEvT1_.uses_vcc, 0
	.set _ZN7rocprim17ROCPRIM_400000_NS6detail17trampoline_kernelINS0_14default_configENS1_25partition_config_selectorILNS1_17partition_subalgoE9EllbEEZZNS1_14partition_implILS5_9ELb0ES3_jPlS8_PNS0_10empty_typeENS0_5tupleIJS8_S9_EEENSB_IJS8_SA_EEENS0_18inequality_wrapperIZN2at6native12_GLOBAL__N_124unique_dim_cuda_templateImEESt5tupleIJNSF_6TensorESK_SK_EERKSK_lbbbEUlllE0_EEPmJS9_EEE10hipError_tPvRmT3_T4_T5_T6_T7_T9_mT8_P12ihipStream_tbDpT10_ENKUlT_T0_E_clISt17integral_constantIbLb0EES1A_EEDaS15_S16_EUlS15_E_NS1_11comp_targetILNS1_3genE8ELNS1_11target_archE1030ELNS1_3gpuE2ELNS1_3repE0EEENS1_30default_config_static_selectorELNS0_4arch9wavefront6targetE0EEEvT1_.uses_flat_scratch, 0
	.set _ZN7rocprim17ROCPRIM_400000_NS6detail17trampoline_kernelINS0_14default_configENS1_25partition_config_selectorILNS1_17partition_subalgoE9EllbEEZZNS1_14partition_implILS5_9ELb0ES3_jPlS8_PNS0_10empty_typeENS0_5tupleIJS8_S9_EEENSB_IJS8_SA_EEENS0_18inequality_wrapperIZN2at6native12_GLOBAL__N_124unique_dim_cuda_templateImEESt5tupleIJNSF_6TensorESK_SK_EERKSK_lbbbEUlllE0_EEPmJS9_EEE10hipError_tPvRmT3_T4_T5_T6_T7_T9_mT8_P12ihipStream_tbDpT10_ENKUlT_T0_E_clISt17integral_constantIbLb0EES1A_EEDaS15_S16_EUlS15_E_NS1_11comp_targetILNS1_3genE8ELNS1_11target_archE1030ELNS1_3gpuE2ELNS1_3repE0EEENS1_30default_config_static_selectorELNS0_4arch9wavefront6targetE0EEEvT1_.has_dyn_sized_stack, 0
	.set _ZN7rocprim17ROCPRIM_400000_NS6detail17trampoline_kernelINS0_14default_configENS1_25partition_config_selectorILNS1_17partition_subalgoE9EllbEEZZNS1_14partition_implILS5_9ELb0ES3_jPlS8_PNS0_10empty_typeENS0_5tupleIJS8_S9_EEENSB_IJS8_SA_EEENS0_18inequality_wrapperIZN2at6native12_GLOBAL__N_124unique_dim_cuda_templateImEESt5tupleIJNSF_6TensorESK_SK_EERKSK_lbbbEUlllE0_EEPmJS9_EEE10hipError_tPvRmT3_T4_T5_T6_T7_T9_mT8_P12ihipStream_tbDpT10_ENKUlT_T0_E_clISt17integral_constantIbLb0EES1A_EEDaS15_S16_EUlS15_E_NS1_11comp_targetILNS1_3genE8ELNS1_11target_archE1030ELNS1_3gpuE2ELNS1_3repE0EEENS1_30default_config_static_selectorELNS0_4arch9wavefront6targetE0EEEvT1_.has_recursion, 0
	.set _ZN7rocprim17ROCPRIM_400000_NS6detail17trampoline_kernelINS0_14default_configENS1_25partition_config_selectorILNS1_17partition_subalgoE9EllbEEZZNS1_14partition_implILS5_9ELb0ES3_jPlS8_PNS0_10empty_typeENS0_5tupleIJS8_S9_EEENSB_IJS8_SA_EEENS0_18inequality_wrapperIZN2at6native12_GLOBAL__N_124unique_dim_cuda_templateImEESt5tupleIJNSF_6TensorESK_SK_EERKSK_lbbbEUlllE0_EEPmJS9_EEE10hipError_tPvRmT3_T4_T5_T6_T7_T9_mT8_P12ihipStream_tbDpT10_ENKUlT_T0_E_clISt17integral_constantIbLb0EES1A_EEDaS15_S16_EUlS15_E_NS1_11comp_targetILNS1_3genE8ELNS1_11target_archE1030ELNS1_3gpuE2ELNS1_3repE0EEENS1_30default_config_static_selectorELNS0_4arch9wavefront6targetE0EEEvT1_.has_indirect_call, 0
	.section	.AMDGPU.csdata,"",@progbits
; Kernel info:
; codeLenInByte = 0
; TotalNumSgprs: 0
; NumVgprs: 0
; ScratchSize: 0
; MemoryBound: 0
; FloatMode: 240
; IeeeMode: 1
; LDSByteSize: 0 bytes/workgroup (compile time only)
; SGPRBlocks: 0
; VGPRBlocks: 0
; NumSGPRsForWavesPerEU: 1
; NumVGPRsForWavesPerEU: 1
; NamedBarCnt: 0
; Occupancy: 16
; WaveLimiterHint : 0
; COMPUTE_PGM_RSRC2:SCRATCH_EN: 0
; COMPUTE_PGM_RSRC2:USER_SGPR: 2
; COMPUTE_PGM_RSRC2:TRAP_HANDLER: 0
; COMPUTE_PGM_RSRC2:TGID_X_EN: 1
; COMPUTE_PGM_RSRC2:TGID_Y_EN: 0
; COMPUTE_PGM_RSRC2:TGID_Z_EN: 0
; COMPUTE_PGM_RSRC2:TIDIG_COMP_CNT: 0
	.section	.text._ZN7rocprim17ROCPRIM_400000_NS6detail17trampoline_kernelINS0_14default_configENS1_25partition_config_selectorILNS1_17partition_subalgoE9EllbEEZZNS1_14partition_implILS5_9ELb0ES3_jPlS8_PNS0_10empty_typeENS0_5tupleIJS8_S9_EEENSB_IJS8_SA_EEENS0_18inequality_wrapperIZN2at6native12_GLOBAL__N_124unique_dim_cuda_templateImEESt5tupleIJNSF_6TensorESK_SK_EERKSK_lbbbEUlllE0_EEPmJS9_EEE10hipError_tPvRmT3_T4_T5_T6_T7_T9_mT8_P12ihipStream_tbDpT10_ENKUlT_T0_E_clISt17integral_constantIbLb1EES1A_EEDaS15_S16_EUlS15_E_NS1_11comp_targetILNS1_3genE0ELNS1_11target_archE4294967295ELNS1_3gpuE0ELNS1_3repE0EEENS1_30default_config_static_selectorELNS0_4arch9wavefront6targetE0EEEvT1_,"axG",@progbits,_ZN7rocprim17ROCPRIM_400000_NS6detail17trampoline_kernelINS0_14default_configENS1_25partition_config_selectorILNS1_17partition_subalgoE9EllbEEZZNS1_14partition_implILS5_9ELb0ES3_jPlS8_PNS0_10empty_typeENS0_5tupleIJS8_S9_EEENSB_IJS8_SA_EEENS0_18inequality_wrapperIZN2at6native12_GLOBAL__N_124unique_dim_cuda_templateImEESt5tupleIJNSF_6TensorESK_SK_EERKSK_lbbbEUlllE0_EEPmJS9_EEE10hipError_tPvRmT3_T4_T5_T6_T7_T9_mT8_P12ihipStream_tbDpT10_ENKUlT_T0_E_clISt17integral_constantIbLb1EES1A_EEDaS15_S16_EUlS15_E_NS1_11comp_targetILNS1_3genE0ELNS1_11target_archE4294967295ELNS1_3gpuE0ELNS1_3repE0EEENS1_30default_config_static_selectorELNS0_4arch9wavefront6targetE0EEEvT1_,comdat
	.globl	_ZN7rocprim17ROCPRIM_400000_NS6detail17trampoline_kernelINS0_14default_configENS1_25partition_config_selectorILNS1_17partition_subalgoE9EllbEEZZNS1_14partition_implILS5_9ELb0ES3_jPlS8_PNS0_10empty_typeENS0_5tupleIJS8_S9_EEENSB_IJS8_SA_EEENS0_18inequality_wrapperIZN2at6native12_GLOBAL__N_124unique_dim_cuda_templateImEESt5tupleIJNSF_6TensorESK_SK_EERKSK_lbbbEUlllE0_EEPmJS9_EEE10hipError_tPvRmT3_T4_T5_T6_T7_T9_mT8_P12ihipStream_tbDpT10_ENKUlT_T0_E_clISt17integral_constantIbLb1EES1A_EEDaS15_S16_EUlS15_E_NS1_11comp_targetILNS1_3genE0ELNS1_11target_archE4294967295ELNS1_3gpuE0ELNS1_3repE0EEENS1_30default_config_static_selectorELNS0_4arch9wavefront6targetE0EEEvT1_ ; -- Begin function _ZN7rocprim17ROCPRIM_400000_NS6detail17trampoline_kernelINS0_14default_configENS1_25partition_config_selectorILNS1_17partition_subalgoE9EllbEEZZNS1_14partition_implILS5_9ELb0ES3_jPlS8_PNS0_10empty_typeENS0_5tupleIJS8_S9_EEENSB_IJS8_SA_EEENS0_18inequality_wrapperIZN2at6native12_GLOBAL__N_124unique_dim_cuda_templateImEESt5tupleIJNSF_6TensorESK_SK_EERKSK_lbbbEUlllE0_EEPmJS9_EEE10hipError_tPvRmT3_T4_T5_T6_T7_T9_mT8_P12ihipStream_tbDpT10_ENKUlT_T0_E_clISt17integral_constantIbLb1EES1A_EEDaS15_S16_EUlS15_E_NS1_11comp_targetILNS1_3genE0ELNS1_11target_archE4294967295ELNS1_3gpuE0ELNS1_3repE0EEENS1_30default_config_static_selectorELNS0_4arch9wavefront6targetE0EEEvT1_
	.p2align	8
	.type	_ZN7rocprim17ROCPRIM_400000_NS6detail17trampoline_kernelINS0_14default_configENS1_25partition_config_selectorILNS1_17partition_subalgoE9EllbEEZZNS1_14partition_implILS5_9ELb0ES3_jPlS8_PNS0_10empty_typeENS0_5tupleIJS8_S9_EEENSB_IJS8_SA_EEENS0_18inequality_wrapperIZN2at6native12_GLOBAL__N_124unique_dim_cuda_templateImEESt5tupleIJNSF_6TensorESK_SK_EERKSK_lbbbEUlllE0_EEPmJS9_EEE10hipError_tPvRmT3_T4_T5_T6_T7_T9_mT8_P12ihipStream_tbDpT10_ENKUlT_T0_E_clISt17integral_constantIbLb1EES1A_EEDaS15_S16_EUlS15_E_NS1_11comp_targetILNS1_3genE0ELNS1_11target_archE4294967295ELNS1_3gpuE0ELNS1_3repE0EEENS1_30default_config_static_selectorELNS0_4arch9wavefront6targetE0EEEvT1_,@function
_ZN7rocprim17ROCPRIM_400000_NS6detail17trampoline_kernelINS0_14default_configENS1_25partition_config_selectorILNS1_17partition_subalgoE9EllbEEZZNS1_14partition_implILS5_9ELb0ES3_jPlS8_PNS0_10empty_typeENS0_5tupleIJS8_S9_EEENSB_IJS8_SA_EEENS0_18inequality_wrapperIZN2at6native12_GLOBAL__N_124unique_dim_cuda_templateImEESt5tupleIJNSF_6TensorESK_SK_EERKSK_lbbbEUlllE0_EEPmJS9_EEE10hipError_tPvRmT3_T4_T5_T6_T7_T9_mT8_P12ihipStream_tbDpT10_ENKUlT_T0_E_clISt17integral_constantIbLb1EES1A_EEDaS15_S16_EUlS15_E_NS1_11comp_targetILNS1_3genE0ELNS1_11target_archE4294967295ELNS1_3gpuE0ELNS1_3repE0EEENS1_30default_config_static_selectorELNS0_4arch9wavefront6targetE0EEEvT1_: ; @_ZN7rocprim17ROCPRIM_400000_NS6detail17trampoline_kernelINS0_14default_configENS1_25partition_config_selectorILNS1_17partition_subalgoE9EllbEEZZNS1_14partition_implILS5_9ELb0ES3_jPlS8_PNS0_10empty_typeENS0_5tupleIJS8_S9_EEENSB_IJS8_SA_EEENS0_18inequality_wrapperIZN2at6native12_GLOBAL__N_124unique_dim_cuda_templateImEESt5tupleIJNSF_6TensorESK_SK_EERKSK_lbbbEUlllE0_EEPmJS9_EEE10hipError_tPvRmT3_T4_T5_T6_T7_T9_mT8_P12ihipStream_tbDpT10_ENKUlT_T0_E_clISt17integral_constantIbLb1EES1A_EEDaS15_S16_EUlS15_E_NS1_11comp_targetILNS1_3genE0ELNS1_11target_archE4294967295ELNS1_3gpuE0ELNS1_3repE0EEENS1_30default_config_static_selectorELNS0_4arch9wavefront6targetE0EEEvT1_
; %bb.0:
	s_endpgm
	.section	.rodata,"a",@progbits
	.p2align	6, 0x0
	.amdhsa_kernel _ZN7rocprim17ROCPRIM_400000_NS6detail17trampoline_kernelINS0_14default_configENS1_25partition_config_selectorILNS1_17partition_subalgoE9EllbEEZZNS1_14partition_implILS5_9ELb0ES3_jPlS8_PNS0_10empty_typeENS0_5tupleIJS8_S9_EEENSB_IJS8_SA_EEENS0_18inequality_wrapperIZN2at6native12_GLOBAL__N_124unique_dim_cuda_templateImEESt5tupleIJNSF_6TensorESK_SK_EERKSK_lbbbEUlllE0_EEPmJS9_EEE10hipError_tPvRmT3_T4_T5_T6_T7_T9_mT8_P12ihipStream_tbDpT10_ENKUlT_T0_E_clISt17integral_constantIbLb1EES1A_EEDaS15_S16_EUlS15_E_NS1_11comp_targetILNS1_3genE0ELNS1_11target_archE4294967295ELNS1_3gpuE0ELNS1_3repE0EEENS1_30default_config_static_selectorELNS0_4arch9wavefront6targetE0EEEvT1_
		.amdhsa_group_segment_fixed_size 0
		.amdhsa_private_segment_fixed_size 0
		.amdhsa_kernarg_size 136
		.amdhsa_user_sgpr_count 2
		.amdhsa_user_sgpr_dispatch_ptr 0
		.amdhsa_user_sgpr_queue_ptr 0
		.amdhsa_user_sgpr_kernarg_segment_ptr 1
		.amdhsa_user_sgpr_dispatch_id 0
		.amdhsa_user_sgpr_kernarg_preload_length 0
		.amdhsa_user_sgpr_kernarg_preload_offset 0
		.amdhsa_user_sgpr_private_segment_size 0
		.amdhsa_wavefront_size32 1
		.amdhsa_uses_dynamic_stack 0
		.amdhsa_enable_private_segment 0
		.amdhsa_system_sgpr_workgroup_id_x 1
		.amdhsa_system_sgpr_workgroup_id_y 0
		.amdhsa_system_sgpr_workgroup_id_z 0
		.amdhsa_system_sgpr_workgroup_info 0
		.amdhsa_system_vgpr_workitem_id 0
		.amdhsa_next_free_vgpr 1
		.amdhsa_next_free_sgpr 1
		.amdhsa_named_barrier_count 0
		.amdhsa_reserve_vcc 0
		.amdhsa_float_round_mode_32 0
		.amdhsa_float_round_mode_16_64 0
		.amdhsa_float_denorm_mode_32 3
		.amdhsa_float_denorm_mode_16_64 3
		.amdhsa_fp16_overflow 0
		.amdhsa_memory_ordered 1
		.amdhsa_forward_progress 1
		.amdhsa_inst_pref_size 1
		.amdhsa_round_robin_scheduling 0
		.amdhsa_exception_fp_ieee_invalid_op 0
		.amdhsa_exception_fp_denorm_src 0
		.amdhsa_exception_fp_ieee_div_zero 0
		.amdhsa_exception_fp_ieee_overflow 0
		.amdhsa_exception_fp_ieee_underflow 0
		.amdhsa_exception_fp_ieee_inexact 0
		.amdhsa_exception_int_div_zero 0
	.end_amdhsa_kernel
	.section	.text._ZN7rocprim17ROCPRIM_400000_NS6detail17trampoline_kernelINS0_14default_configENS1_25partition_config_selectorILNS1_17partition_subalgoE9EllbEEZZNS1_14partition_implILS5_9ELb0ES3_jPlS8_PNS0_10empty_typeENS0_5tupleIJS8_S9_EEENSB_IJS8_SA_EEENS0_18inequality_wrapperIZN2at6native12_GLOBAL__N_124unique_dim_cuda_templateImEESt5tupleIJNSF_6TensorESK_SK_EERKSK_lbbbEUlllE0_EEPmJS9_EEE10hipError_tPvRmT3_T4_T5_T6_T7_T9_mT8_P12ihipStream_tbDpT10_ENKUlT_T0_E_clISt17integral_constantIbLb1EES1A_EEDaS15_S16_EUlS15_E_NS1_11comp_targetILNS1_3genE0ELNS1_11target_archE4294967295ELNS1_3gpuE0ELNS1_3repE0EEENS1_30default_config_static_selectorELNS0_4arch9wavefront6targetE0EEEvT1_,"axG",@progbits,_ZN7rocprim17ROCPRIM_400000_NS6detail17trampoline_kernelINS0_14default_configENS1_25partition_config_selectorILNS1_17partition_subalgoE9EllbEEZZNS1_14partition_implILS5_9ELb0ES3_jPlS8_PNS0_10empty_typeENS0_5tupleIJS8_S9_EEENSB_IJS8_SA_EEENS0_18inequality_wrapperIZN2at6native12_GLOBAL__N_124unique_dim_cuda_templateImEESt5tupleIJNSF_6TensorESK_SK_EERKSK_lbbbEUlllE0_EEPmJS9_EEE10hipError_tPvRmT3_T4_T5_T6_T7_T9_mT8_P12ihipStream_tbDpT10_ENKUlT_T0_E_clISt17integral_constantIbLb1EES1A_EEDaS15_S16_EUlS15_E_NS1_11comp_targetILNS1_3genE0ELNS1_11target_archE4294967295ELNS1_3gpuE0ELNS1_3repE0EEENS1_30default_config_static_selectorELNS0_4arch9wavefront6targetE0EEEvT1_,comdat
.Lfunc_end1703:
	.size	_ZN7rocprim17ROCPRIM_400000_NS6detail17trampoline_kernelINS0_14default_configENS1_25partition_config_selectorILNS1_17partition_subalgoE9EllbEEZZNS1_14partition_implILS5_9ELb0ES3_jPlS8_PNS0_10empty_typeENS0_5tupleIJS8_S9_EEENSB_IJS8_SA_EEENS0_18inequality_wrapperIZN2at6native12_GLOBAL__N_124unique_dim_cuda_templateImEESt5tupleIJNSF_6TensorESK_SK_EERKSK_lbbbEUlllE0_EEPmJS9_EEE10hipError_tPvRmT3_T4_T5_T6_T7_T9_mT8_P12ihipStream_tbDpT10_ENKUlT_T0_E_clISt17integral_constantIbLb1EES1A_EEDaS15_S16_EUlS15_E_NS1_11comp_targetILNS1_3genE0ELNS1_11target_archE4294967295ELNS1_3gpuE0ELNS1_3repE0EEENS1_30default_config_static_selectorELNS0_4arch9wavefront6targetE0EEEvT1_, .Lfunc_end1703-_ZN7rocprim17ROCPRIM_400000_NS6detail17trampoline_kernelINS0_14default_configENS1_25partition_config_selectorILNS1_17partition_subalgoE9EllbEEZZNS1_14partition_implILS5_9ELb0ES3_jPlS8_PNS0_10empty_typeENS0_5tupleIJS8_S9_EEENSB_IJS8_SA_EEENS0_18inequality_wrapperIZN2at6native12_GLOBAL__N_124unique_dim_cuda_templateImEESt5tupleIJNSF_6TensorESK_SK_EERKSK_lbbbEUlllE0_EEPmJS9_EEE10hipError_tPvRmT3_T4_T5_T6_T7_T9_mT8_P12ihipStream_tbDpT10_ENKUlT_T0_E_clISt17integral_constantIbLb1EES1A_EEDaS15_S16_EUlS15_E_NS1_11comp_targetILNS1_3genE0ELNS1_11target_archE4294967295ELNS1_3gpuE0ELNS1_3repE0EEENS1_30default_config_static_selectorELNS0_4arch9wavefront6targetE0EEEvT1_
                                        ; -- End function
	.set _ZN7rocprim17ROCPRIM_400000_NS6detail17trampoline_kernelINS0_14default_configENS1_25partition_config_selectorILNS1_17partition_subalgoE9EllbEEZZNS1_14partition_implILS5_9ELb0ES3_jPlS8_PNS0_10empty_typeENS0_5tupleIJS8_S9_EEENSB_IJS8_SA_EEENS0_18inequality_wrapperIZN2at6native12_GLOBAL__N_124unique_dim_cuda_templateImEESt5tupleIJNSF_6TensorESK_SK_EERKSK_lbbbEUlllE0_EEPmJS9_EEE10hipError_tPvRmT3_T4_T5_T6_T7_T9_mT8_P12ihipStream_tbDpT10_ENKUlT_T0_E_clISt17integral_constantIbLb1EES1A_EEDaS15_S16_EUlS15_E_NS1_11comp_targetILNS1_3genE0ELNS1_11target_archE4294967295ELNS1_3gpuE0ELNS1_3repE0EEENS1_30default_config_static_selectorELNS0_4arch9wavefront6targetE0EEEvT1_.num_vgpr, 0
	.set _ZN7rocprim17ROCPRIM_400000_NS6detail17trampoline_kernelINS0_14default_configENS1_25partition_config_selectorILNS1_17partition_subalgoE9EllbEEZZNS1_14partition_implILS5_9ELb0ES3_jPlS8_PNS0_10empty_typeENS0_5tupleIJS8_S9_EEENSB_IJS8_SA_EEENS0_18inequality_wrapperIZN2at6native12_GLOBAL__N_124unique_dim_cuda_templateImEESt5tupleIJNSF_6TensorESK_SK_EERKSK_lbbbEUlllE0_EEPmJS9_EEE10hipError_tPvRmT3_T4_T5_T6_T7_T9_mT8_P12ihipStream_tbDpT10_ENKUlT_T0_E_clISt17integral_constantIbLb1EES1A_EEDaS15_S16_EUlS15_E_NS1_11comp_targetILNS1_3genE0ELNS1_11target_archE4294967295ELNS1_3gpuE0ELNS1_3repE0EEENS1_30default_config_static_selectorELNS0_4arch9wavefront6targetE0EEEvT1_.num_agpr, 0
	.set _ZN7rocprim17ROCPRIM_400000_NS6detail17trampoline_kernelINS0_14default_configENS1_25partition_config_selectorILNS1_17partition_subalgoE9EllbEEZZNS1_14partition_implILS5_9ELb0ES3_jPlS8_PNS0_10empty_typeENS0_5tupleIJS8_S9_EEENSB_IJS8_SA_EEENS0_18inequality_wrapperIZN2at6native12_GLOBAL__N_124unique_dim_cuda_templateImEESt5tupleIJNSF_6TensorESK_SK_EERKSK_lbbbEUlllE0_EEPmJS9_EEE10hipError_tPvRmT3_T4_T5_T6_T7_T9_mT8_P12ihipStream_tbDpT10_ENKUlT_T0_E_clISt17integral_constantIbLb1EES1A_EEDaS15_S16_EUlS15_E_NS1_11comp_targetILNS1_3genE0ELNS1_11target_archE4294967295ELNS1_3gpuE0ELNS1_3repE0EEENS1_30default_config_static_selectorELNS0_4arch9wavefront6targetE0EEEvT1_.numbered_sgpr, 0
	.set _ZN7rocprim17ROCPRIM_400000_NS6detail17trampoline_kernelINS0_14default_configENS1_25partition_config_selectorILNS1_17partition_subalgoE9EllbEEZZNS1_14partition_implILS5_9ELb0ES3_jPlS8_PNS0_10empty_typeENS0_5tupleIJS8_S9_EEENSB_IJS8_SA_EEENS0_18inequality_wrapperIZN2at6native12_GLOBAL__N_124unique_dim_cuda_templateImEESt5tupleIJNSF_6TensorESK_SK_EERKSK_lbbbEUlllE0_EEPmJS9_EEE10hipError_tPvRmT3_T4_T5_T6_T7_T9_mT8_P12ihipStream_tbDpT10_ENKUlT_T0_E_clISt17integral_constantIbLb1EES1A_EEDaS15_S16_EUlS15_E_NS1_11comp_targetILNS1_3genE0ELNS1_11target_archE4294967295ELNS1_3gpuE0ELNS1_3repE0EEENS1_30default_config_static_selectorELNS0_4arch9wavefront6targetE0EEEvT1_.num_named_barrier, 0
	.set _ZN7rocprim17ROCPRIM_400000_NS6detail17trampoline_kernelINS0_14default_configENS1_25partition_config_selectorILNS1_17partition_subalgoE9EllbEEZZNS1_14partition_implILS5_9ELb0ES3_jPlS8_PNS0_10empty_typeENS0_5tupleIJS8_S9_EEENSB_IJS8_SA_EEENS0_18inequality_wrapperIZN2at6native12_GLOBAL__N_124unique_dim_cuda_templateImEESt5tupleIJNSF_6TensorESK_SK_EERKSK_lbbbEUlllE0_EEPmJS9_EEE10hipError_tPvRmT3_T4_T5_T6_T7_T9_mT8_P12ihipStream_tbDpT10_ENKUlT_T0_E_clISt17integral_constantIbLb1EES1A_EEDaS15_S16_EUlS15_E_NS1_11comp_targetILNS1_3genE0ELNS1_11target_archE4294967295ELNS1_3gpuE0ELNS1_3repE0EEENS1_30default_config_static_selectorELNS0_4arch9wavefront6targetE0EEEvT1_.private_seg_size, 0
	.set _ZN7rocprim17ROCPRIM_400000_NS6detail17trampoline_kernelINS0_14default_configENS1_25partition_config_selectorILNS1_17partition_subalgoE9EllbEEZZNS1_14partition_implILS5_9ELb0ES3_jPlS8_PNS0_10empty_typeENS0_5tupleIJS8_S9_EEENSB_IJS8_SA_EEENS0_18inequality_wrapperIZN2at6native12_GLOBAL__N_124unique_dim_cuda_templateImEESt5tupleIJNSF_6TensorESK_SK_EERKSK_lbbbEUlllE0_EEPmJS9_EEE10hipError_tPvRmT3_T4_T5_T6_T7_T9_mT8_P12ihipStream_tbDpT10_ENKUlT_T0_E_clISt17integral_constantIbLb1EES1A_EEDaS15_S16_EUlS15_E_NS1_11comp_targetILNS1_3genE0ELNS1_11target_archE4294967295ELNS1_3gpuE0ELNS1_3repE0EEENS1_30default_config_static_selectorELNS0_4arch9wavefront6targetE0EEEvT1_.uses_vcc, 0
	.set _ZN7rocprim17ROCPRIM_400000_NS6detail17trampoline_kernelINS0_14default_configENS1_25partition_config_selectorILNS1_17partition_subalgoE9EllbEEZZNS1_14partition_implILS5_9ELb0ES3_jPlS8_PNS0_10empty_typeENS0_5tupleIJS8_S9_EEENSB_IJS8_SA_EEENS0_18inequality_wrapperIZN2at6native12_GLOBAL__N_124unique_dim_cuda_templateImEESt5tupleIJNSF_6TensorESK_SK_EERKSK_lbbbEUlllE0_EEPmJS9_EEE10hipError_tPvRmT3_T4_T5_T6_T7_T9_mT8_P12ihipStream_tbDpT10_ENKUlT_T0_E_clISt17integral_constantIbLb1EES1A_EEDaS15_S16_EUlS15_E_NS1_11comp_targetILNS1_3genE0ELNS1_11target_archE4294967295ELNS1_3gpuE0ELNS1_3repE0EEENS1_30default_config_static_selectorELNS0_4arch9wavefront6targetE0EEEvT1_.uses_flat_scratch, 0
	.set _ZN7rocprim17ROCPRIM_400000_NS6detail17trampoline_kernelINS0_14default_configENS1_25partition_config_selectorILNS1_17partition_subalgoE9EllbEEZZNS1_14partition_implILS5_9ELb0ES3_jPlS8_PNS0_10empty_typeENS0_5tupleIJS8_S9_EEENSB_IJS8_SA_EEENS0_18inequality_wrapperIZN2at6native12_GLOBAL__N_124unique_dim_cuda_templateImEESt5tupleIJNSF_6TensorESK_SK_EERKSK_lbbbEUlllE0_EEPmJS9_EEE10hipError_tPvRmT3_T4_T5_T6_T7_T9_mT8_P12ihipStream_tbDpT10_ENKUlT_T0_E_clISt17integral_constantIbLb1EES1A_EEDaS15_S16_EUlS15_E_NS1_11comp_targetILNS1_3genE0ELNS1_11target_archE4294967295ELNS1_3gpuE0ELNS1_3repE0EEENS1_30default_config_static_selectorELNS0_4arch9wavefront6targetE0EEEvT1_.has_dyn_sized_stack, 0
	.set _ZN7rocprim17ROCPRIM_400000_NS6detail17trampoline_kernelINS0_14default_configENS1_25partition_config_selectorILNS1_17partition_subalgoE9EllbEEZZNS1_14partition_implILS5_9ELb0ES3_jPlS8_PNS0_10empty_typeENS0_5tupleIJS8_S9_EEENSB_IJS8_SA_EEENS0_18inequality_wrapperIZN2at6native12_GLOBAL__N_124unique_dim_cuda_templateImEESt5tupleIJNSF_6TensorESK_SK_EERKSK_lbbbEUlllE0_EEPmJS9_EEE10hipError_tPvRmT3_T4_T5_T6_T7_T9_mT8_P12ihipStream_tbDpT10_ENKUlT_T0_E_clISt17integral_constantIbLb1EES1A_EEDaS15_S16_EUlS15_E_NS1_11comp_targetILNS1_3genE0ELNS1_11target_archE4294967295ELNS1_3gpuE0ELNS1_3repE0EEENS1_30default_config_static_selectorELNS0_4arch9wavefront6targetE0EEEvT1_.has_recursion, 0
	.set _ZN7rocprim17ROCPRIM_400000_NS6detail17trampoline_kernelINS0_14default_configENS1_25partition_config_selectorILNS1_17partition_subalgoE9EllbEEZZNS1_14partition_implILS5_9ELb0ES3_jPlS8_PNS0_10empty_typeENS0_5tupleIJS8_S9_EEENSB_IJS8_SA_EEENS0_18inequality_wrapperIZN2at6native12_GLOBAL__N_124unique_dim_cuda_templateImEESt5tupleIJNSF_6TensorESK_SK_EERKSK_lbbbEUlllE0_EEPmJS9_EEE10hipError_tPvRmT3_T4_T5_T6_T7_T9_mT8_P12ihipStream_tbDpT10_ENKUlT_T0_E_clISt17integral_constantIbLb1EES1A_EEDaS15_S16_EUlS15_E_NS1_11comp_targetILNS1_3genE0ELNS1_11target_archE4294967295ELNS1_3gpuE0ELNS1_3repE0EEENS1_30default_config_static_selectorELNS0_4arch9wavefront6targetE0EEEvT1_.has_indirect_call, 0
	.section	.AMDGPU.csdata,"",@progbits
; Kernel info:
; codeLenInByte = 4
; TotalNumSgprs: 0
; NumVgprs: 0
; ScratchSize: 0
; MemoryBound: 0
; FloatMode: 240
; IeeeMode: 1
; LDSByteSize: 0 bytes/workgroup (compile time only)
; SGPRBlocks: 0
; VGPRBlocks: 0
; NumSGPRsForWavesPerEU: 1
; NumVGPRsForWavesPerEU: 1
; NamedBarCnt: 0
; Occupancy: 16
; WaveLimiterHint : 0
; COMPUTE_PGM_RSRC2:SCRATCH_EN: 0
; COMPUTE_PGM_RSRC2:USER_SGPR: 2
; COMPUTE_PGM_RSRC2:TRAP_HANDLER: 0
; COMPUTE_PGM_RSRC2:TGID_X_EN: 1
; COMPUTE_PGM_RSRC2:TGID_Y_EN: 0
; COMPUTE_PGM_RSRC2:TGID_Z_EN: 0
; COMPUTE_PGM_RSRC2:TIDIG_COMP_CNT: 0
	.section	.text._ZN7rocprim17ROCPRIM_400000_NS6detail17trampoline_kernelINS0_14default_configENS1_25partition_config_selectorILNS1_17partition_subalgoE9EllbEEZZNS1_14partition_implILS5_9ELb0ES3_jPlS8_PNS0_10empty_typeENS0_5tupleIJS8_S9_EEENSB_IJS8_SA_EEENS0_18inequality_wrapperIZN2at6native12_GLOBAL__N_124unique_dim_cuda_templateImEESt5tupleIJNSF_6TensorESK_SK_EERKSK_lbbbEUlllE0_EEPmJS9_EEE10hipError_tPvRmT3_T4_T5_T6_T7_T9_mT8_P12ihipStream_tbDpT10_ENKUlT_T0_E_clISt17integral_constantIbLb1EES1A_EEDaS15_S16_EUlS15_E_NS1_11comp_targetILNS1_3genE5ELNS1_11target_archE942ELNS1_3gpuE9ELNS1_3repE0EEENS1_30default_config_static_selectorELNS0_4arch9wavefront6targetE0EEEvT1_,"axG",@progbits,_ZN7rocprim17ROCPRIM_400000_NS6detail17trampoline_kernelINS0_14default_configENS1_25partition_config_selectorILNS1_17partition_subalgoE9EllbEEZZNS1_14partition_implILS5_9ELb0ES3_jPlS8_PNS0_10empty_typeENS0_5tupleIJS8_S9_EEENSB_IJS8_SA_EEENS0_18inequality_wrapperIZN2at6native12_GLOBAL__N_124unique_dim_cuda_templateImEESt5tupleIJNSF_6TensorESK_SK_EERKSK_lbbbEUlllE0_EEPmJS9_EEE10hipError_tPvRmT3_T4_T5_T6_T7_T9_mT8_P12ihipStream_tbDpT10_ENKUlT_T0_E_clISt17integral_constantIbLb1EES1A_EEDaS15_S16_EUlS15_E_NS1_11comp_targetILNS1_3genE5ELNS1_11target_archE942ELNS1_3gpuE9ELNS1_3repE0EEENS1_30default_config_static_selectorELNS0_4arch9wavefront6targetE0EEEvT1_,comdat
	.globl	_ZN7rocprim17ROCPRIM_400000_NS6detail17trampoline_kernelINS0_14default_configENS1_25partition_config_selectorILNS1_17partition_subalgoE9EllbEEZZNS1_14partition_implILS5_9ELb0ES3_jPlS8_PNS0_10empty_typeENS0_5tupleIJS8_S9_EEENSB_IJS8_SA_EEENS0_18inequality_wrapperIZN2at6native12_GLOBAL__N_124unique_dim_cuda_templateImEESt5tupleIJNSF_6TensorESK_SK_EERKSK_lbbbEUlllE0_EEPmJS9_EEE10hipError_tPvRmT3_T4_T5_T6_T7_T9_mT8_P12ihipStream_tbDpT10_ENKUlT_T0_E_clISt17integral_constantIbLb1EES1A_EEDaS15_S16_EUlS15_E_NS1_11comp_targetILNS1_3genE5ELNS1_11target_archE942ELNS1_3gpuE9ELNS1_3repE0EEENS1_30default_config_static_selectorELNS0_4arch9wavefront6targetE0EEEvT1_ ; -- Begin function _ZN7rocprim17ROCPRIM_400000_NS6detail17trampoline_kernelINS0_14default_configENS1_25partition_config_selectorILNS1_17partition_subalgoE9EllbEEZZNS1_14partition_implILS5_9ELb0ES3_jPlS8_PNS0_10empty_typeENS0_5tupleIJS8_S9_EEENSB_IJS8_SA_EEENS0_18inequality_wrapperIZN2at6native12_GLOBAL__N_124unique_dim_cuda_templateImEESt5tupleIJNSF_6TensorESK_SK_EERKSK_lbbbEUlllE0_EEPmJS9_EEE10hipError_tPvRmT3_T4_T5_T6_T7_T9_mT8_P12ihipStream_tbDpT10_ENKUlT_T0_E_clISt17integral_constantIbLb1EES1A_EEDaS15_S16_EUlS15_E_NS1_11comp_targetILNS1_3genE5ELNS1_11target_archE942ELNS1_3gpuE9ELNS1_3repE0EEENS1_30default_config_static_selectorELNS0_4arch9wavefront6targetE0EEEvT1_
	.p2align	8
	.type	_ZN7rocprim17ROCPRIM_400000_NS6detail17trampoline_kernelINS0_14default_configENS1_25partition_config_selectorILNS1_17partition_subalgoE9EllbEEZZNS1_14partition_implILS5_9ELb0ES3_jPlS8_PNS0_10empty_typeENS0_5tupleIJS8_S9_EEENSB_IJS8_SA_EEENS0_18inequality_wrapperIZN2at6native12_GLOBAL__N_124unique_dim_cuda_templateImEESt5tupleIJNSF_6TensorESK_SK_EERKSK_lbbbEUlllE0_EEPmJS9_EEE10hipError_tPvRmT3_T4_T5_T6_T7_T9_mT8_P12ihipStream_tbDpT10_ENKUlT_T0_E_clISt17integral_constantIbLb1EES1A_EEDaS15_S16_EUlS15_E_NS1_11comp_targetILNS1_3genE5ELNS1_11target_archE942ELNS1_3gpuE9ELNS1_3repE0EEENS1_30default_config_static_selectorELNS0_4arch9wavefront6targetE0EEEvT1_,@function
_ZN7rocprim17ROCPRIM_400000_NS6detail17trampoline_kernelINS0_14default_configENS1_25partition_config_selectorILNS1_17partition_subalgoE9EllbEEZZNS1_14partition_implILS5_9ELb0ES3_jPlS8_PNS0_10empty_typeENS0_5tupleIJS8_S9_EEENSB_IJS8_SA_EEENS0_18inequality_wrapperIZN2at6native12_GLOBAL__N_124unique_dim_cuda_templateImEESt5tupleIJNSF_6TensorESK_SK_EERKSK_lbbbEUlllE0_EEPmJS9_EEE10hipError_tPvRmT3_T4_T5_T6_T7_T9_mT8_P12ihipStream_tbDpT10_ENKUlT_T0_E_clISt17integral_constantIbLb1EES1A_EEDaS15_S16_EUlS15_E_NS1_11comp_targetILNS1_3genE5ELNS1_11target_archE942ELNS1_3gpuE9ELNS1_3repE0EEENS1_30default_config_static_selectorELNS0_4arch9wavefront6targetE0EEEvT1_: ; @_ZN7rocprim17ROCPRIM_400000_NS6detail17trampoline_kernelINS0_14default_configENS1_25partition_config_selectorILNS1_17partition_subalgoE9EllbEEZZNS1_14partition_implILS5_9ELb0ES3_jPlS8_PNS0_10empty_typeENS0_5tupleIJS8_S9_EEENSB_IJS8_SA_EEENS0_18inequality_wrapperIZN2at6native12_GLOBAL__N_124unique_dim_cuda_templateImEESt5tupleIJNSF_6TensorESK_SK_EERKSK_lbbbEUlllE0_EEPmJS9_EEE10hipError_tPvRmT3_T4_T5_T6_T7_T9_mT8_P12ihipStream_tbDpT10_ENKUlT_T0_E_clISt17integral_constantIbLb1EES1A_EEDaS15_S16_EUlS15_E_NS1_11comp_targetILNS1_3genE5ELNS1_11target_archE942ELNS1_3gpuE9ELNS1_3repE0EEENS1_30default_config_static_selectorELNS0_4arch9wavefront6targetE0EEEvT1_
; %bb.0:
	.section	.rodata,"a",@progbits
	.p2align	6, 0x0
	.amdhsa_kernel _ZN7rocprim17ROCPRIM_400000_NS6detail17trampoline_kernelINS0_14default_configENS1_25partition_config_selectorILNS1_17partition_subalgoE9EllbEEZZNS1_14partition_implILS5_9ELb0ES3_jPlS8_PNS0_10empty_typeENS0_5tupleIJS8_S9_EEENSB_IJS8_SA_EEENS0_18inequality_wrapperIZN2at6native12_GLOBAL__N_124unique_dim_cuda_templateImEESt5tupleIJNSF_6TensorESK_SK_EERKSK_lbbbEUlllE0_EEPmJS9_EEE10hipError_tPvRmT3_T4_T5_T6_T7_T9_mT8_P12ihipStream_tbDpT10_ENKUlT_T0_E_clISt17integral_constantIbLb1EES1A_EEDaS15_S16_EUlS15_E_NS1_11comp_targetILNS1_3genE5ELNS1_11target_archE942ELNS1_3gpuE9ELNS1_3repE0EEENS1_30default_config_static_selectorELNS0_4arch9wavefront6targetE0EEEvT1_
		.amdhsa_group_segment_fixed_size 0
		.amdhsa_private_segment_fixed_size 0
		.amdhsa_kernarg_size 136
		.amdhsa_user_sgpr_count 2
		.amdhsa_user_sgpr_dispatch_ptr 0
		.amdhsa_user_sgpr_queue_ptr 0
		.amdhsa_user_sgpr_kernarg_segment_ptr 1
		.amdhsa_user_sgpr_dispatch_id 0
		.amdhsa_user_sgpr_kernarg_preload_length 0
		.amdhsa_user_sgpr_kernarg_preload_offset 0
		.amdhsa_user_sgpr_private_segment_size 0
		.amdhsa_wavefront_size32 1
		.amdhsa_uses_dynamic_stack 0
		.amdhsa_enable_private_segment 0
		.amdhsa_system_sgpr_workgroup_id_x 1
		.amdhsa_system_sgpr_workgroup_id_y 0
		.amdhsa_system_sgpr_workgroup_id_z 0
		.amdhsa_system_sgpr_workgroup_info 0
		.amdhsa_system_vgpr_workitem_id 0
		.amdhsa_next_free_vgpr 1
		.amdhsa_next_free_sgpr 1
		.amdhsa_named_barrier_count 0
		.amdhsa_reserve_vcc 0
		.amdhsa_float_round_mode_32 0
		.amdhsa_float_round_mode_16_64 0
		.amdhsa_float_denorm_mode_32 3
		.amdhsa_float_denorm_mode_16_64 3
		.amdhsa_fp16_overflow 0
		.amdhsa_memory_ordered 1
		.amdhsa_forward_progress 1
		.amdhsa_inst_pref_size 0
		.amdhsa_round_robin_scheduling 0
		.amdhsa_exception_fp_ieee_invalid_op 0
		.amdhsa_exception_fp_denorm_src 0
		.amdhsa_exception_fp_ieee_div_zero 0
		.amdhsa_exception_fp_ieee_overflow 0
		.amdhsa_exception_fp_ieee_underflow 0
		.amdhsa_exception_fp_ieee_inexact 0
		.amdhsa_exception_int_div_zero 0
	.end_amdhsa_kernel
	.section	.text._ZN7rocprim17ROCPRIM_400000_NS6detail17trampoline_kernelINS0_14default_configENS1_25partition_config_selectorILNS1_17partition_subalgoE9EllbEEZZNS1_14partition_implILS5_9ELb0ES3_jPlS8_PNS0_10empty_typeENS0_5tupleIJS8_S9_EEENSB_IJS8_SA_EEENS0_18inequality_wrapperIZN2at6native12_GLOBAL__N_124unique_dim_cuda_templateImEESt5tupleIJNSF_6TensorESK_SK_EERKSK_lbbbEUlllE0_EEPmJS9_EEE10hipError_tPvRmT3_T4_T5_T6_T7_T9_mT8_P12ihipStream_tbDpT10_ENKUlT_T0_E_clISt17integral_constantIbLb1EES1A_EEDaS15_S16_EUlS15_E_NS1_11comp_targetILNS1_3genE5ELNS1_11target_archE942ELNS1_3gpuE9ELNS1_3repE0EEENS1_30default_config_static_selectorELNS0_4arch9wavefront6targetE0EEEvT1_,"axG",@progbits,_ZN7rocprim17ROCPRIM_400000_NS6detail17trampoline_kernelINS0_14default_configENS1_25partition_config_selectorILNS1_17partition_subalgoE9EllbEEZZNS1_14partition_implILS5_9ELb0ES3_jPlS8_PNS0_10empty_typeENS0_5tupleIJS8_S9_EEENSB_IJS8_SA_EEENS0_18inequality_wrapperIZN2at6native12_GLOBAL__N_124unique_dim_cuda_templateImEESt5tupleIJNSF_6TensorESK_SK_EERKSK_lbbbEUlllE0_EEPmJS9_EEE10hipError_tPvRmT3_T4_T5_T6_T7_T9_mT8_P12ihipStream_tbDpT10_ENKUlT_T0_E_clISt17integral_constantIbLb1EES1A_EEDaS15_S16_EUlS15_E_NS1_11comp_targetILNS1_3genE5ELNS1_11target_archE942ELNS1_3gpuE9ELNS1_3repE0EEENS1_30default_config_static_selectorELNS0_4arch9wavefront6targetE0EEEvT1_,comdat
.Lfunc_end1704:
	.size	_ZN7rocprim17ROCPRIM_400000_NS6detail17trampoline_kernelINS0_14default_configENS1_25partition_config_selectorILNS1_17partition_subalgoE9EllbEEZZNS1_14partition_implILS5_9ELb0ES3_jPlS8_PNS0_10empty_typeENS0_5tupleIJS8_S9_EEENSB_IJS8_SA_EEENS0_18inequality_wrapperIZN2at6native12_GLOBAL__N_124unique_dim_cuda_templateImEESt5tupleIJNSF_6TensorESK_SK_EERKSK_lbbbEUlllE0_EEPmJS9_EEE10hipError_tPvRmT3_T4_T5_T6_T7_T9_mT8_P12ihipStream_tbDpT10_ENKUlT_T0_E_clISt17integral_constantIbLb1EES1A_EEDaS15_S16_EUlS15_E_NS1_11comp_targetILNS1_3genE5ELNS1_11target_archE942ELNS1_3gpuE9ELNS1_3repE0EEENS1_30default_config_static_selectorELNS0_4arch9wavefront6targetE0EEEvT1_, .Lfunc_end1704-_ZN7rocprim17ROCPRIM_400000_NS6detail17trampoline_kernelINS0_14default_configENS1_25partition_config_selectorILNS1_17partition_subalgoE9EllbEEZZNS1_14partition_implILS5_9ELb0ES3_jPlS8_PNS0_10empty_typeENS0_5tupleIJS8_S9_EEENSB_IJS8_SA_EEENS0_18inequality_wrapperIZN2at6native12_GLOBAL__N_124unique_dim_cuda_templateImEESt5tupleIJNSF_6TensorESK_SK_EERKSK_lbbbEUlllE0_EEPmJS9_EEE10hipError_tPvRmT3_T4_T5_T6_T7_T9_mT8_P12ihipStream_tbDpT10_ENKUlT_T0_E_clISt17integral_constantIbLb1EES1A_EEDaS15_S16_EUlS15_E_NS1_11comp_targetILNS1_3genE5ELNS1_11target_archE942ELNS1_3gpuE9ELNS1_3repE0EEENS1_30default_config_static_selectorELNS0_4arch9wavefront6targetE0EEEvT1_
                                        ; -- End function
	.set _ZN7rocprim17ROCPRIM_400000_NS6detail17trampoline_kernelINS0_14default_configENS1_25partition_config_selectorILNS1_17partition_subalgoE9EllbEEZZNS1_14partition_implILS5_9ELb0ES3_jPlS8_PNS0_10empty_typeENS0_5tupleIJS8_S9_EEENSB_IJS8_SA_EEENS0_18inequality_wrapperIZN2at6native12_GLOBAL__N_124unique_dim_cuda_templateImEESt5tupleIJNSF_6TensorESK_SK_EERKSK_lbbbEUlllE0_EEPmJS9_EEE10hipError_tPvRmT3_T4_T5_T6_T7_T9_mT8_P12ihipStream_tbDpT10_ENKUlT_T0_E_clISt17integral_constantIbLb1EES1A_EEDaS15_S16_EUlS15_E_NS1_11comp_targetILNS1_3genE5ELNS1_11target_archE942ELNS1_3gpuE9ELNS1_3repE0EEENS1_30default_config_static_selectorELNS0_4arch9wavefront6targetE0EEEvT1_.num_vgpr, 0
	.set _ZN7rocprim17ROCPRIM_400000_NS6detail17trampoline_kernelINS0_14default_configENS1_25partition_config_selectorILNS1_17partition_subalgoE9EllbEEZZNS1_14partition_implILS5_9ELb0ES3_jPlS8_PNS0_10empty_typeENS0_5tupleIJS8_S9_EEENSB_IJS8_SA_EEENS0_18inequality_wrapperIZN2at6native12_GLOBAL__N_124unique_dim_cuda_templateImEESt5tupleIJNSF_6TensorESK_SK_EERKSK_lbbbEUlllE0_EEPmJS9_EEE10hipError_tPvRmT3_T4_T5_T6_T7_T9_mT8_P12ihipStream_tbDpT10_ENKUlT_T0_E_clISt17integral_constantIbLb1EES1A_EEDaS15_S16_EUlS15_E_NS1_11comp_targetILNS1_3genE5ELNS1_11target_archE942ELNS1_3gpuE9ELNS1_3repE0EEENS1_30default_config_static_selectorELNS0_4arch9wavefront6targetE0EEEvT1_.num_agpr, 0
	.set _ZN7rocprim17ROCPRIM_400000_NS6detail17trampoline_kernelINS0_14default_configENS1_25partition_config_selectorILNS1_17partition_subalgoE9EllbEEZZNS1_14partition_implILS5_9ELb0ES3_jPlS8_PNS0_10empty_typeENS0_5tupleIJS8_S9_EEENSB_IJS8_SA_EEENS0_18inequality_wrapperIZN2at6native12_GLOBAL__N_124unique_dim_cuda_templateImEESt5tupleIJNSF_6TensorESK_SK_EERKSK_lbbbEUlllE0_EEPmJS9_EEE10hipError_tPvRmT3_T4_T5_T6_T7_T9_mT8_P12ihipStream_tbDpT10_ENKUlT_T0_E_clISt17integral_constantIbLb1EES1A_EEDaS15_S16_EUlS15_E_NS1_11comp_targetILNS1_3genE5ELNS1_11target_archE942ELNS1_3gpuE9ELNS1_3repE0EEENS1_30default_config_static_selectorELNS0_4arch9wavefront6targetE0EEEvT1_.numbered_sgpr, 0
	.set _ZN7rocprim17ROCPRIM_400000_NS6detail17trampoline_kernelINS0_14default_configENS1_25partition_config_selectorILNS1_17partition_subalgoE9EllbEEZZNS1_14partition_implILS5_9ELb0ES3_jPlS8_PNS0_10empty_typeENS0_5tupleIJS8_S9_EEENSB_IJS8_SA_EEENS0_18inequality_wrapperIZN2at6native12_GLOBAL__N_124unique_dim_cuda_templateImEESt5tupleIJNSF_6TensorESK_SK_EERKSK_lbbbEUlllE0_EEPmJS9_EEE10hipError_tPvRmT3_T4_T5_T6_T7_T9_mT8_P12ihipStream_tbDpT10_ENKUlT_T0_E_clISt17integral_constantIbLb1EES1A_EEDaS15_S16_EUlS15_E_NS1_11comp_targetILNS1_3genE5ELNS1_11target_archE942ELNS1_3gpuE9ELNS1_3repE0EEENS1_30default_config_static_selectorELNS0_4arch9wavefront6targetE0EEEvT1_.num_named_barrier, 0
	.set _ZN7rocprim17ROCPRIM_400000_NS6detail17trampoline_kernelINS0_14default_configENS1_25partition_config_selectorILNS1_17partition_subalgoE9EllbEEZZNS1_14partition_implILS5_9ELb0ES3_jPlS8_PNS0_10empty_typeENS0_5tupleIJS8_S9_EEENSB_IJS8_SA_EEENS0_18inequality_wrapperIZN2at6native12_GLOBAL__N_124unique_dim_cuda_templateImEESt5tupleIJNSF_6TensorESK_SK_EERKSK_lbbbEUlllE0_EEPmJS9_EEE10hipError_tPvRmT3_T4_T5_T6_T7_T9_mT8_P12ihipStream_tbDpT10_ENKUlT_T0_E_clISt17integral_constantIbLb1EES1A_EEDaS15_S16_EUlS15_E_NS1_11comp_targetILNS1_3genE5ELNS1_11target_archE942ELNS1_3gpuE9ELNS1_3repE0EEENS1_30default_config_static_selectorELNS0_4arch9wavefront6targetE0EEEvT1_.private_seg_size, 0
	.set _ZN7rocprim17ROCPRIM_400000_NS6detail17trampoline_kernelINS0_14default_configENS1_25partition_config_selectorILNS1_17partition_subalgoE9EllbEEZZNS1_14partition_implILS5_9ELb0ES3_jPlS8_PNS0_10empty_typeENS0_5tupleIJS8_S9_EEENSB_IJS8_SA_EEENS0_18inequality_wrapperIZN2at6native12_GLOBAL__N_124unique_dim_cuda_templateImEESt5tupleIJNSF_6TensorESK_SK_EERKSK_lbbbEUlllE0_EEPmJS9_EEE10hipError_tPvRmT3_T4_T5_T6_T7_T9_mT8_P12ihipStream_tbDpT10_ENKUlT_T0_E_clISt17integral_constantIbLb1EES1A_EEDaS15_S16_EUlS15_E_NS1_11comp_targetILNS1_3genE5ELNS1_11target_archE942ELNS1_3gpuE9ELNS1_3repE0EEENS1_30default_config_static_selectorELNS0_4arch9wavefront6targetE0EEEvT1_.uses_vcc, 0
	.set _ZN7rocprim17ROCPRIM_400000_NS6detail17trampoline_kernelINS0_14default_configENS1_25partition_config_selectorILNS1_17partition_subalgoE9EllbEEZZNS1_14partition_implILS5_9ELb0ES3_jPlS8_PNS0_10empty_typeENS0_5tupleIJS8_S9_EEENSB_IJS8_SA_EEENS0_18inequality_wrapperIZN2at6native12_GLOBAL__N_124unique_dim_cuda_templateImEESt5tupleIJNSF_6TensorESK_SK_EERKSK_lbbbEUlllE0_EEPmJS9_EEE10hipError_tPvRmT3_T4_T5_T6_T7_T9_mT8_P12ihipStream_tbDpT10_ENKUlT_T0_E_clISt17integral_constantIbLb1EES1A_EEDaS15_S16_EUlS15_E_NS1_11comp_targetILNS1_3genE5ELNS1_11target_archE942ELNS1_3gpuE9ELNS1_3repE0EEENS1_30default_config_static_selectorELNS0_4arch9wavefront6targetE0EEEvT1_.uses_flat_scratch, 0
	.set _ZN7rocprim17ROCPRIM_400000_NS6detail17trampoline_kernelINS0_14default_configENS1_25partition_config_selectorILNS1_17partition_subalgoE9EllbEEZZNS1_14partition_implILS5_9ELb0ES3_jPlS8_PNS0_10empty_typeENS0_5tupleIJS8_S9_EEENSB_IJS8_SA_EEENS0_18inequality_wrapperIZN2at6native12_GLOBAL__N_124unique_dim_cuda_templateImEESt5tupleIJNSF_6TensorESK_SK_EERKSK_lbbbEUlllE0_EEPmJS9_EEE10hipError_tPvRmT3_T4_T5_T6_T7_T9_mT8_P12ihipStream_tbDpT10_ENKUlT_T0_E_clISt17integral_constantIbLb1EES1A_EEDaS15_S16_EUlS15_E_NS1_11comp_targetILNS1_3genE5ELNS1_11target_archE942ELNS1_3gpuE9ELNS1_3repE0EEENS1_30default_config_static_selectorELNS0_4arch9wavefront6targetE0EEEvT1_.has_dyn_sized_stack, 0
	.set _ZN7rocprim17ROCPRIM_400000_NS6detail17trampoline_kernelINS0_14default_configENS1_25partition_config_selectorILNS1_17partition_subalgoE9EllbEEZZNS1_14partition_implILS5_9ELb0ES3_jPlS8_PNS0_10empty_typeENS0_5tupleIJS8_S9_EEENSB_IJS8_SA_EEENS0_18inequality_wrapperIZN2at6native12_GLOBAL__N_124unique_dim_cuda_templateImEESt5tupleIJNSF_6TensorESK_SK_EERKSK_lbbbEUlllE0_EEPmJS9_EEE10hipError_tPvRmT3_T4_T5_T6_T7_T9_mT8_P12ihipStream_tbDpT10_ENKUlT_T0_E_clISt17integral_constantIbLb1EES1A_EEDaS15_S16_EUlS15_E_NS1_11comp_targetILNS1_3genE5ELNS1_11target_archE942ELNS1_3gpuE9ELNS1_3repE0EEENS1_30default_config_static_selectorELNS0_4arch9wavefront6targetE0EEEvT1_.has_recursion, 0
	.set _ZN7rocprim17ROCPRIM_400000_NS6detail17trampoline_kernelINS0_14default_configENS1_25partition_config_selectorILNS1_17partition_subalgoE9EllbEEZZNS1_14partition_implILS5_9ELb0ES3_jPlS8_PNS0_10empty_typeENS0_5tupleIJS8_S9_EEENSB_IJS8_SA_EEENS0_18inequality_wrapperIZN2at6native12_GLOBAL__N_124unique_dim_cuda_templateImEESt5tupleIJNSF_6TensorESK_SK_EERKSK_lbbbEUlllE0_EEPmJS9_EEE10hipError_tPvRmT3_T4_T5_T6_T7_T9_mT8_P12ihipStream_tbDpT10_ENKUlT_T0_E_clISt17integral_constantIbLb1EES1A_EEDaS15_S16_EUlS15_E_NS1_11comp_targetILNS1_3genE5ELNS1_11target_archE942ELNS1_3gpuE9ELNS1_3repE0EEENS1_30default_config_static_selectorELNS0_4arch9wavefront6targetE0EEEvT1_.has_indirect_call, 0
	.section	.AMDGPU.csdata,"",@progbits
; Kernel info:
; codeLenInByte = 0
; TotalNumSgprs: 0
; NumVgprs: 0
; ScratchSize: 0
; MemoryBound: 0
; FloatMode: 240
; IeeeMode: 1
; LDSByteSize: 0 bytes/workgroup (compile time only)
; SGPRBlocks: 0
; VGPRBlocks: 0
; NumSGPRsForWavesPerEU: 1
; NumVGPRsForWavesPerEU: 1
; NamedBarCnt: 0
; Occupancy: 16
; WaveLimiterHint : 0
; COMPUTE_PGM_RSRC2:SCRATCH_EN: 0
; COMPUTE_PGM_RSRC2:USER_SGPR: 2
; COMPUTE_PGM_RSRC2:TRAP_HANDLER: 0
; COMPUTE_PGM_RSRC2:TGID_X_EN: 1
; COMPUTE_PGM_RSRC2:TGID_Y_EN: 0
; COMPUTE_PGM_RSRC2:TGID_Z_EN: 0
; COMPUTE_PGM_RSRC2:TIDIG_COMP_CNT: 0
	.section	.text._ZN7rocprim17ROCPRIM_400000_NS6detail17trampoline_kernelINS0_14default_configENS1_25partition_config_selectorILNS1_17partition_subalgoE9EllbEEZZNS1_14partition_implILS5_9ELb0ES3_jPlS8_PNS0_10empty_typeENS0_5tupleIJS8_S9_EEENSB_IJS8_SA_EEENS0_18inequality_wrapperIZN2at6native12_GLOBAL__N_124unique_dim_cuda_templateImEESt5tupleIJNSF_6TensorESK_SK_EERKSK_lbbbEUlllE0_EEPmJS9_EEE10hipError_tPvRmT3_T4_T5_T6_T7_T9_mT8_P12ihipStream_tbDpT10_ENKUlT_T0_E_clISt17integral_constantIbLb1EES1A_EEDaS15_S16_EUlS15_E_NS1_11comp_targetILNS1_3genE4ELNS1_11target_archE910ELNS1_3gpuE8ELNS1_3repE0EEENS1_30default_config_static_selectorELNS0_4arch9wavefront6targetE0EEEvT1_,"axG",@progbits,_ZN7rocprim17ROCPRIM_400000_NS6detail17trampoline_kernelINS0_14default_configENS1_25partition_config_selectorILNS1_17partition_subalgoE9EllbEEZZNS1_14partition_implILS5_9ELb0ES3_jPlS8_PNS0_10empty_typeENS0_5tupleIJS8_S9_EEENSB_IJS8_SA_EEENS0_18inequality_wrapperIZN2at6native12_GLOBAL__N_124unique_dim_cuda_templateImEESt5tupleIJNSF_6TensorESK_SK_EERKSK_lbbbEUlllE0_EEPmJS9_EEE10hipError_tPvRmT3_T4_T5_T6_T7_T9_mT8_P12ihipStream_tbDpT10_ENKUlT_T0_E_clISt17integral_constantIbLb1EES1A_EEDaS15_S16_EUlS15_E_NS1_11comp_targetILNS1_3genE4ELNS1_11target_archE910ELNS1_3gpuE8ELNS1_3repE0EEENS1_30default_config_static_selectorELNS0_4arch9wavefront6targetE0EEEvT1_,comdat
	.globl	_ZN7rocprim17ROCPRIM_400000_NS6detail17trampoline_kernelINS0_14default_configENS1_25partition_config_selectorILNS1_17partition_subalgoE9EllbEEZZNS1_14partition_implILS5_9ELb0ES3_jPlS8_PNS0_10empty_typeENS0_5tupleIJS8_S9_EEENSB_IJS8_SA_EEENS0_18inequality_wrapperIZN2at6native12_GLOBAL__N_124unique_dim_cuda_templateImEESt5tupleIJNSF_6TensorESK_SK_EERKSK_lbbbEUlllE0_EEPmJS9_EEE10hipError_tPvRmT3_T4_T5_T6_T7_T9_mT8_P12ihipStream_tbDpT10_ENKUlT_T0_E_clISt17integral_constantIbLb1EES1A_EEDaS15_S16_EUlS15_E_NS1_11comp_targetILNS1_3genE4ELNS1_11target_archE910ELNS1_3gpuE8ELNS1_3repE0EEENS1_30default_config_static_selectorELNS0_4arch9wavefront6targetE0EEEvT1_ ; -- Begin function _ZN7rocprim17ROCPRIM_400000_NS6detail17trampoline_kernelINS0_14default_configENS1_25partition_config_selectorILNS1_17partition_subalgoE9EllbEEZZNS1_14partition_implILS5_9ELb0ES3_jPlS8_PNS0_10empty_typeENS0_5tupleIJS8_S9_EEENSB_IJS8_SA_EEENS0_18inequality_wrapperIZN2at6native12_GLOBAL__N_124unique_dim_cuda_templateImEESt5tupleIJNSF_6TensorESK_SK_EERKSK_lbbbEUlllE0_EEPmJS9_EEE10hipError_tPvRmT3_T4_T5_T6_T7_T9_mT8_P12ihipStream_tbDpT10_ENKUlT_T0_E_clISt17integral_constantIbLb1EES1A_EEDaS15_S16_EUlS15_E_NS1_11comp_targetILNS1_3genE4ELNS1_11target_archE910ELNS1_3gpuE8ELNS1_3repE0EEENS1_30default_config_static_selectorELNS0_4arch9wavefront6targetE0EEEvT1_
	.p2align	8
	.type	_ZN7rocprim17ROCPRIM_400000_NS6detail17trampoline_kernelINS0_14default_configENS1_25partition_config_selectorILNS1_17partition_subalgoE9EllbEEZZNS1_14partition_implILS5_9ELb0ES3_jPlS8_PNS0_10empty_typeENS0_5tupleIJS8_S9_EEENSB_IJS8_SA_EEENS0_18inequality_wrapperIZN2at6native12_GLOBAL__N_124unique_dim_cuda_templateImEESt5tupleIJNSF_6TensorESK_SK_EERKSK_lbbbEUlllE0_EEPmJS9_EEE10hipError_tPvRmT3_T4_T5_T6_T7_T9_mT8_P12ihipStream_tbDpT10_ENKUlT_T0_E_clISt17integral_constantIbLb1EES1A_EEDaS15_S16_EUlS15_E_NS1_11comp_targetILNS1_3genE4ELNS1_11target_archE910ELNS1_3gpuE8ELNS1_3repE0EEENS1_30default_config_static_selectorELNS0_4arch9wavefront6targetE0EEEvT1_,@function
_ZN7rocprim17ROCPRIM_400000_NS6detail17trampoline_kernelINS0_14default_configENS1_25partition_config_selectorILNS1_17partition_subalgoE9EllbEEZZNS1_14partition_implILS5_9ELb0ES3_jPlS8_PNS0_10empty_typeENS0_5tupleIJS8_S9_EEENSB_IJS8_SA_EEENS0_18inequality_wrapperIZN2at6native12_GLOBAL__N_124unique_dim_cuda_templateImEESt5tupleIJNSF_6TensorESK_SK_EERKSK_lbbbEUlllE0_EEPmJS9_EEE10hipError_tPvRmT3_T4_T5_T6_T7_T9_mT8_P12ihipStream_tbDpT10_ENKUlT_T0_E_clISt17integral_constantIbLb1EES1A_EEDaS15_S16_EUlS15_E_NS1_11comp_targetILNS1_3genE4ELNS1_11target_archE910ELNS1_3gpuE8ELNS1_3repE0EEENS1_30default_config_static_selectorELNS0_4arch9wavefront6targetE0EEEvT1_: ; @_ZN7rocprim17ROCPRIM_400000_NS6detail17trampoline_kernelINS0_14default_configENS1_25partition_config_selectorILNS1_17partition_subalgoE9EllbEEZZNS1_14partition_implILS5_9ELb0ES3_jPlS8_PNS0_10empty_typeENS0_5tupleIJS8_S9_EEENSB_IJS8_SA_EEENS0_18inequality_wrapperIZN2at6native12_GLOBAL__N_124unique_dim_cuda_templateImEESt5tupleIJNSF_6TensorESK_SK_EERKSK_lbbbEUlllE0_EEPmJS9_EEE10hipError_tPvRmT3_T4_T5_T6_T7_T9_mT8_P12ihipStream_tbDpT10_ENKUlT_T0_E_clISt17integral_constantIbLb1EES1A_EEDaS15_S16_EUlS15_E_NS1_11comp_targetILNS1_3genE4ELNS1_11target_archE910ELNS1_3gpuE8ELNS1_3repE0EEENS1_30default_config_static_selectorELNS0_4arch9wavefront6targetE0EEEvT1_
; %bb.0:
	.section	.rodata,"a",@progbits
	.p2align	6, 0x0
	.amdhsa_kernel _ZN7rocprim17ROCPRIM_400000_NS6detail17trampoline_kernelINS0_14default_configENS1_25partition_config_selectorILNS1_17partition_subalgoE9EllbEEZZNS1_14partition_implILS5_9ELb0ES3_jPlS8_PNS0_10empty_typeENS0_5tupleIJS8_S9_EEENSB_IJS8_SA_EEENS0_18inequality_wrapperIZN2at6native12_GLOBAL__N_124unique_dim_cuda_templateImEESt5tupleIJNSF_6TensorESK_SK_EERKSK_lbbbEUlllE0_EEPmJS9_EEE10hipError_tPvRmT3_T4_T5_T6_T7_T9_mT8_P12ihipStream_tbDpT10_ENKUlT_T0_E_clISt17integral_constantIbLb1EES1A_EEDaS15_S16_EUlS15_E_NS1_11comp_targetILNS1_3genE4ELNS1_11target_archE910ELNS1_3gpuE8ELNS1_3repE0EEENS1_30default_config_static_selectorELNS0_4arch9wavefront6targetE0EEEvT1_
		.amdhsa_group_segment_fixed_size 0
		.amdhsa_private_segment_fixed_size 0
		.amdhsa_kernarg_size 136
		.amdhsa_user_sgpr_count 2
		.amdhsa_user_sgpr_dispatch_ptr 0
		.amdhsa_user_sgpr_queue_ptr 0
		.amdhsa_user_sgpr_kernarg_segment_ptr 1
		.amdhsa_user_sgpr_dispatch_id 0
		.amdhsa_user_sgpr_kernarg_preload_length 0
		.amdhsa_user_sgpr_kernarg_preload_offset 0
		.amdhsa_user_sgpr_private_segment_size 0
		.amdhsa_wavefront_size32 1
		.amdhsa_uses_dynamic_stack 0
		.amdhsa_enable_private_segment 0
		.amdhsa_system_sgpr_workgroup_id_x 1
		.amdhsa_system_sgpr_workgroup_id_y 0
		.amdhsa_system_sgpr_workgroup_id_z 0
		.amdhsa_system_sgpr_workgroup_info 0
		.amdhsa_system_vgpr_workitem_id 0
		.amdhsa_next_free_vgpr 1
		.amdhsa_next_free_sgpr 1
		.amdhsa_named_barrier_count 0
		.amdhsa_reserve_vcc 0
		.amdhsa_float_round_mode_32 0
		.amdhsa_float_round_mode_16_64 0
		.amdhsa_float_denorm_mode_32 3
		.amdhsa_float_denorm_mode_16_64 3
		.amdhsa_fp16_overflow 0
		.amdhsa_memory_ordered 1
		.amdhsa_forward_progress 1
		.amdhsa_inst_pref_size 0
		.amdhsa_round_robin_scheduling 0
		.amdhsa_exception_fp_ieee_invalid_op 0
		.amdhsa_exception_fp_denorm_src 0
		.amdhsa_exception_fp_ieee_div_zero 0
		.amdhsa_exception_fp_ieee_overflow 0
		.amdhsa_exception_fp_ieee_underflow 0
		.amdhsa_exception_fp_ieee_inexact 0
		.amdhsa_exception_int_div_zero 0
	.end_amdhsa_kernel
	.section	.text._ZN7rocprim17ROCPRIM_400000_NS6detail17trampoline_kernelINS0_14default_configENS1_25partition_config_selectorILNS1_17partition_subalgoE9EllbEEZZNS1_14partition_implILS5_9ELb0ES3_jPlS8_PNS0_10empty_typeENS0_5tupleIJS8_S9_EEENSB_IJS8_SA_EEENS0_18inequality_wrapperIZN2at6native12_GLOBAL__N_124unique_dim_cuda_templateImEESt5tupleIJNSF_6TensorESK_SK_EERKSK_lbbbEUlllE0_EEPmJS9_EEE10hipError_tPvRmT3_T4_T5_T6_T7_T9_mT8_P12ihipStream_tbDpT10_ENKUlT_T0_E_clISt17integral_constantIbLb1EES1A_EEDaS15_S16_EUlS15_E_NS1_11comp_targetILNS1_3genE4ELNS1_11target_archE910ELNS1_3gpuE8ELNS1_3repE0EEENS1_30default_config_static_selectorELNS0_4arch9wavefront6targetE0EEEvT1_,"axG",@progbits,_ZN7rocprim17ROCPRIM_400000_NS6detail17trampoline_kernelINS0_14default_configENS1_25partition_config_selectorILNS1_17partition_subalgoE9EllbEEZZNS1_14partition_implILS5_9ELb0ES3_jPlS8_PNS0_10empty_typeENS0_5tupleIJS8_S9_EEENSB_IJS8_SA_EEENS0_18inequality_wrapperIZN2at6native12_GLOBAL__N_124unique_dim_cuda_templateImEESt5tupleIJNSF_6TensorESK_SK_EERKSK_lbbbEUlllE0_EEPmJS9_EEE10hipError_tPvRmT3_T4_T5_T6_T7_T9_mT8_P12ihipStream_tbDpT10_ENKUlT_T0_E_clISt17integral_constantIbLb1EES1A_EEDaS15_S16_EUlS15_E_NS1_11comp_targetILNS1_3genE4ELNS1_11target_archE910ELNS1_3gpuE8ELNS1_3repE0EEENS1_30default_config_static_selectorELNS0_4arch9wavefront6targetE0EEEvT1_,comdat
.Lfunc_end1705:
	.size	_ZN7rocprim17ROCPRIM_400000_NS6detail17trampoline_kernelINS0_14default_configENS1_25partition_config_selectorILNS1_17partition_subalgoE9EllbEEZZNS1_14partition_implILS5_9ELb0ES3_jPlS8_PNS0_10empty_typeENS0_5tupleIJS8_S9_EEENSB_IJS8_SA_EEENS0_18inequality_wrapperIZN2at6native12_GLOBAL__N_124unique_dim_cuda_templateImEESt5tupleIJNSF_6TensorESK_SK_EERKSK_lbbbEUlllE0_EEPmJS9_EEE10hipError_tPvRmT3_T4_T5_T6_T7_T9_mT8_P12ihipStream_tbDpT10_ENKUlT_T0_E_clISt17integral_constantIbLb1EES1A_EEDaS15_S16_EUlS15_E_NS1_11comp_targetILNS1_3genE4ELNS1_11target_archE910ELNS1_3gpuE8ELNS1_3repE0EEENS1_30default_config_static_selectorELNS0_4arch9wavefront6targetE0EEEvT1_, .Lfunc_end1705-_ZN7rocprim17ROCPRIM_400000_NS6detail17trampoline_kernelINS0_14default_configENS1_25partition_config_selectorILNS1_17partition_subalgoE9EllbEEZZNS1_14partition_implILS5_9ELb0ES3_jPlS8_PNS0_10empty_typeENS0_5tupleIJS8_S9_EEENSB_IJS8_SA_EEENS0_18inequality_wrapperIZN2at6native12_GLOBAL__N_124unique_dim_cuda_templateImEESt5tupleIJNSF_6TensorESK_SK_EERKSK_lbbbEUlllE0_EEPmJS9_EEE10hipError_tPvRmT3_T4_T5_T6_T7_T9_mT8_P12ihipStream_tbDpT10_ENKUlT_T0_E_clISt17integral_constantIbLb1EES1A_EEDaS15_S16_EUlS15_E_NS1_11comp_targetILNS1_3genE4ELNS1_11target_archE910ELNS1_3gpuE8ELNS1_3repE0EEENS1_30default_config_static_selectorELNS0_4arch9wavefront6targetE0EEEvT1_
                                        ; -- End function
	.set _ZN7rocprim17ROCPRIM_400000_NS6detail17trampoline_kernelINS0_14default_configENS1_25partition_config_selectorILNS1_17partition_subalgoE9EllbEEZZNS1_14partition_implILS5_9ELb0ES3_jPlS8_PNS0_10empty_typeENS0_5tupleIJS8_S9_EEENSB_IJS8_SA_EEENS0_18inequality_wrapperIZN2at6native12_GLOBAL__N_124unique_dim_cuda_templateImEESt5tupleIJNSF_6TensorESK_SK_EERKSK_lbbbEUlllE0_EEPmJS9_EEE10hipError_tPvRmT3_T4_T5_T6_T7_T9_mT8_P12ihipStream_tbDpT10_ENKUlT_T0_E_clISt17integral_constantIbLb1EES1A_EEDaS15_S16_EUlS15_E_NS1_11comp_targetILNS1_3genE4ELNS1_11target_archE910ELNS1_3gpuE8ELNS1_3repE0EEENS1_30default_config_static_selectorELNS0_4arch9wavefront6targetE0EEEvT1_.num_vgpr, 0
	.set _ZN7rocprim17ROCPRIM_400000_NS6detail17trampoline_kernelINS0_14default_configENS1_25partition_config_selectorILNS1_17partition_subalgoE9EllbEEZZNS1_14partition_implILS5_9ELb0ES3_jPlS8_PNS0_10empty_typeENS0_5tupleIJS8_S9_EEENSB_IJS8_SA_EEENS0_18inequality_wrapperIZN2at6native12_GLOBAL__N_124unique_dim_cuda_templateImEESt5tupleIJNSF_6TensorESK_SK_EERKSK_lbbbEUlllE0_EEPmJS9_EEE10hipError_tPvRmT3_T4_T5_T6_T7_T9_mT8_P12ihipStream_tbDpT10_ENKUlT_T0_E_clISt17integral_constantIbLb1EES1A_EEDaS15_S16_EUlS15_E_NS1_11comp_targetILNS1_3genE4ELNS1_11target_archE910ELNS1_3gpuE8ELNS1_3repE0EEENS1_30default_config_static_selectorELNS0_4arch9wavefront6targetE0EEEvT1_.num_agpr, 0
	.set _ZN7rocprim17ROCPRIM_400000_NS6detail17trampoline_kernelINS0_14default_configENS1_25partition_config_selectorILNS1_17partition_subalgoE9EllbEEZZNS1_14partition_implILS5_9ELb0ES3_jPlS8_PNS0_10empty_typeENS0_5tupleIJS8_S9_EEENSB_IJS8_SA_EEENS0_18inequality_wrapperIZN2at6native12_GLOBAL__N_124unique_dim_cuda_templateImEESt5tupleIJNSF_6TensorESK_SK_EERKSK_lbbbEUlllE0_EEPmJS9_EEE10hipError_tPvRmT3_T4_T5_T6_T7_T9_mT8_P12ihipStream_tbDpT10_ENKUlT_T0_E_clISt17integral_constantIbLb1EES1A_EEDaS15_S16_EUlS15_E_NS1_11comp_targetILNS1_3genE4ELNS1_11target_archE910ELNS1_3gpuE8ELNS1_3repE0EEENS1_30default_config_static_selectorELNS0_4arch9wavefront6targetE0EEEvT1_.numbered_sgpr, 0
	.set _ZN7rocprim17ROCPRIM_400000_NS6detail17trampoline_kernelINS0_14default_configENS1_25partition_config_selectorILNS1_17partition_subalgoE9EllbEEZZNS1_14partition_implILS5_9ELb0ES3_jPlS8_PNS0_10empty_typeENS0_5tupleIJS8_S9_EEENSB_IJS8_SA_EEENS0_18inequality_wrapperIZN2at6native12_GLOBAL__N_124unique_dim_cuda_templateImEESt5tupleIJNSF_6TensorESK_SK_EERKSK_lbbbEUlllE0_EEPmJS9_EEE10hipError_tPvRmT3_T4_T5_T6_T7_T9_mT8_P12ihipStream_tbDpT10_ENKUlT_T0_E_clISt17integral_constantIbLb1EES1A_EEDaS15_S16_EUlS15_E_NS1_11comp_targetILNS1_3genE4ELNS1_11target_archE910ELNS1_3gpuE8ELNS1_3repE0EEENS1_30default_config_static_selectorELNS0_4arch9wavefront6targetE0EEEvT1_.num_named_barrier, 0
	.set _ZN7rocprim17ROCPRIM_400000_NS6detail17trampoline_kernelINS0_14default_configENS1_25partition_config_selectorILNS1_17partition_subalgoE9EllbEEZZNS1_14partition_implILS5_9ELb0ES3_jPlS8_PNS0_10empty_typeENS0_5tupleIJS8_S9_EEENSB_IJS8_SA_EEENS0_18inequality_wrapperIZN2at6native12_GLOBAL__N_124unique_dim_cuda_templateImEESt5tupleIJNSF_6TensorESK_SK_EERKSK_lbbbEUlllE0_EEPmJS9_EEE10hipError_tPvRmT3_T4_T5_T6_T7_T9_mT8_P12ihipStream_tbDpT10_ENKUlT_T0_E_clISt17integral_constantIbLb1EES1A_EEDaS15_S16_EUlS15_E_NS1_11comp_targetILNS1_3genE4ELNS1_11target_archE910ELNS1_3gpuE8ELNS1_3repE0EEENS1_30default_config_static_selectorELNS0_4arch9wavefront6targetE0EEEvT1_.private_seg_size, 0
	.set _ZN7rocprim17ROCPRIM_400000_NS6detail17trampoline_kernelINS0_14default_configENS1_25partition_config_selectorILNS1_17partition_subalgoE9EllbEEZZNS1_14partition_implILS5_9ELb0ES3_jPlS8_PNS0_10empty_typeENS0_5tupleIJS8_S9_EEENSB_IJS8_SA_EEENS0_18inequality_wrapperIZN2at6native12_GLOBAL__N_124unique_dim_cuda_templateImEESt5tupleIJNSF_6TensorESK_SK_EERKSK_lbbbEUlllE0_EEPmJS9_EEE10hipError_tPvRmT3_T4_T5_T6_T7_T9_mT8_P12ihipStream_tbDpT10_ENKUlT_T0_E_clISt17integral_constantIbLb1EES1A_EEDaS15_S16_EUlS15_E_NS1_11comp_targetILNS1_3genE4ELNS1_11target_archE910ELNS1_3gpuE8ELNS1_3repE0EEENS1_30default_config_static_selectorELNS0_4arch9wavefront6targetE0EEEvT1_.uses_vcc, 0
	.set _ZN7rocprim17ROCPRIM_400000_NS6detail17trampoline_kernelINS0_14default_configENS1_25partition_config_selectorILNS1_17partition_subalgoE9EllbEEZZNS1_14partition_implILS5_9ELb0ES3_jPlS8_PNS0_10empty_typeENS0_5tupleIJS8_S9_EEENSB_IJS8_SA_EEENS0_18inequality_wrapperIZN2at6native12_GLOBAL__N_124unique_dim_cuda_templateImEESt5tupleIJNSF_6TensorESK_SK_EERKSK_lbbbEUlllE0_EEPmJS9_EEE10hipError_tPvRmT3_T4_T5_T6_T7_T9_mT8_P12ihipStream_tbDpT10_ENKUlT_T0_E_clISt17integral_constantIbLb1EES1A_EEDaS15_S16_EUlS15_E_NS1_11comp_targetILNS1_3genE4ELNS1_11target_archE910ELNS1_3gpuE8ELNS1_3repE0EEENS1_30default_config_static_selectorELNS0_4arch9wavefront6targetE0EEEvT1_.uses_flat_scratch, 0
	.set _ZN7rocprim17ROCPRIM_400000_NS6detail17trampoline_kernelINS0_14default_configENS1_25partition_config_selectorILNS1_17partition_subalgoE9EllbEEZZNS1_14partition_implILS5_9ELb0ES3_jPlS8_PNS0_10empty_typeENS0_5tupleIJS8_S9_EEENSB_IJS8_SA_EEENS0_18inequality_wrapperIZN2at6native12_GLOBAL__N_124unique_dim_cuda_templateImEESt5tupleIJNSF_6TensorESK_SK_EERKSK_lbbbEUlllE0_EEPmJS9_EEE10hipError_tPvRmT3_T4_T5_T6_T7_T9_mT8_P12ihipStream_tbDpT10_ENKUlT_T0_E_clISt17integral_constantIbLb1EES1A_EEDaS15_S16_EUlS15_E_NS1_11comp_targetILNS1_3genE4ELNS1_11target_archE910ELNS1_3gpuE8ELNS1_3repE0EEENS1_30default_config_static_selectorELNS0_4arch9wavefront6targetE0EEEvT1_.has_dyn_sized_stack, 0
	.set _ZN7rocprim17ROCPRIM_400000_NS6detail17trampoline_kernelINS0_14default_configENS1_25partition_config_selectorILNS1_17partition_subalgoE9EllbEEZZNS1_14partition_implILS5_9ELb0ES3_jPlS8_PNS0_10empty_typeENS0_5tupleIJS8_S9_EEENSB_IJS8_SA_EEENS0_18inequality_wrapperIZN2at6native12_GLOBAL__N_124unique_dim_cuda_templateImEESt5tupleIJNSF_6TensorESK_SK_EERKSK_lbbbEUlllE0_EEPmJS9_EEE10hipError_tPvRmT3_T4_T5_T6_T7_T9_mT8_P12ihipStream_tbDpT10_ENKUlT_T0_E_clISt17integral_constantIbLb1EES1A_EEDaS15_S16_EUlS15_E_NS1_11comp_targetILNS1_3genE4ELNS1_11target_archE910ELNS1_3gpuE8ELNS1_3repE0EEENS1_30default_config_static_selectorELNS0_4arch9wavefront6targetE0EEEvT1_.has_recursion, 0
	.set _ZN7rocprim17ROCPRIM_400000_NS6detail17trampoline_kernelINS0_14default_configENS1_25partition_config_selectorILNS1_17partition_subalgoE9EllbEEZZNS1_14partition_implILS5_9ELb0ES3_jPlS8_PNS0_10empty_typeENS0_5tupleIJS8_S9_EEENSB_IJS8_SA_EEENS0_18inequality_wrapperIZN2at6native12_GLOBAL__N_124unique_dim_cuda_templateImEESt5tupleIJNSF_6TensorESK_SK_EERKSK_lbbbEUlllE0_EEPmJS9_EEE10hipError_tPvRmT3_T4_T5_T6_T7_T9_mT8_P12ihipStream_tbDpT10_ENKUlT_T0_E_clISt17integral_constantIbLb1EES1A_EEDaS15_S16_EUlS15_E_NS1_11comp_targetILNS1_3genE4ELNS1_11target_archE910ELNS1_3gpuE8ELNS1_3repE0EEENS1_30default_config_static_selectorELNS0_4arch9wavefront6targetE0EEEvT1_.has_indirect_call, 0
	.section	.AMDGPU.csdata,"",@progbits
; Kernel info:
; codeLenInByte = 0
; TotalNumSgprs: 0
; NumVgprs: 0
; ScratchSize: 0
; MemoryBound: 0
; FloatMode: 240
; IeeeMode: 1
; LDSByteSize: 0 bytes/workgroup (compile time only)
; SGPRBlocks: 0
; VGPRBlocks: 0
; NumSGPRsForWavesPerEU: 1
; NumVGPRsForWavesPerEU: 1
; NamedBarCnt: 0
; Occupancy: 16
; WaveLimiterHint : 0
; COMPUTE_PGM_RSRC2:SCRATCH_EN: 0
; COMPUTE_PGM_RSRC2:USER_SGPR: 2
; COMPUTE_PGM_RSRC2:TRAP_HANDLER: 0
; COMPUTE_PGM_RSRC2:TGID_X_EN: 1
; COMPUTE_PGM_RSRC2:TGID_Y_EN: 0
; COMPUTE_PGM_RSRC2:TGID_Z_EN: 0
; COMPUTE_PGM_RSRC2:TIDIG_COMP_CNT: 0
	.section	.text._ZN7rocprim17ROCPRIM_400000_NS6detail17trampoline_kernelINS0_14default_configENS1_25partition_config_selectorILNS1_17partition_subalgoE9EllbEEZZNS1_14partition_implILS5_9ELb0ES3_jPlS8_PNS0_10empty_typeENS0_5tupleIJS8_S9_EEENSB_IJS8_SA_EEENS0_18inequality_wrapperIZN2at6native12_GLOBAL__N_124unique_dim_cuda_templateImEESt5tupleIJNSF_6TensorESK_SK_EERKSK_lbbbEUlllE0_EEPmJS9_EEE10hipError_tPvRmT3_T4_T5_T6_T7_T9_mT8_P12ihipStream_tbDpT10_ENKUlT_T0_E_clISt17integral_constantIbLb1EES1A_EEDaS15_S16_EUlS15_E_NS1_11comp_targetILNS1_3genE3ELNS1_11target_archE908ELNS1_3gpuE7ELNS1_3repE0EEENS1_30default_config_static_selectorELNS0_4arch9wavefront6targetE0EEEvT1_,"axG",@progbits,_ZN7rocprim17ROCPRIM_400000_NS6detail17trampoline_kernelINS0_14default_configENS1_25partition_config_selectorILNS1_17partition_subalgoE9EllbEEZZNS1_14partition_implILS5_9ELb0ES3_jPlS8_PNS0_10empty_typeENS0_5tupleIJS8_S9_EEENSB_IJS8_SA_EEENS0_18inequality_wrapperIZN2at6native12_GLOBAL__N_124unique_dim_cuda_templateImEESt5tupleIJNSF_6TensorESK_SK_EERKSK_lbbbEUlllE0_EEPmJS9_EEE10hipError_tPvRmT3_T4_T5_T6_T7_T9_mT8_P12ihipStream_tbDpT10_ENKUlT_T0_E_clISt17integral_constantIbLb1EES1A_EEDaS15_S16_EUlS15_E_NS1_11comp_targetILNS1_3genE3ELNS1_11target_archE908ELNS1_3gpuE7ELNS1_3repE0EEENS1_30default_config_static_selectorELNS0_4arch9wavefront6targetE0EEEvT1_,comdat
	.globl	_ZN7rocprim17ROCPRIM_400000_NS6detail17trampoline_kernelINS0_14default_configENS1_25partition_config_selectorILNS1_17partition_subalgoE9EllbEEZZNS1_14partition_implILS5_9ELb0ES3_jPlS8_PNS0_10empty_typeENS0_5tupleIJS8_S9_EEENSB_IJS8_SA_EEENS0_18inequality_wrapperIZN2at6native12_GLOBAL__N_124unique_dim_cuda_templateImEESt5tupleIJNSF_6TensorESK_SK_EERKSK_lbbbEUlllE0_EEPmJS9_EEE10hipError_tPvRmT3_T4_T5_T6_T7_T9_mT8_P12ihipStream_tbDpT10_ENKUlT_T0_E_clISt17integral_constantIbLb1EES1A_EEDaS15_S16_EUlS15_E_NS1_11comp_targetILNS1_3genE3ELNS1_11target_archE908ELNS1_3gpuE7ELNS1_3repE0EEENS1_30default_config_static_selectorELNS0_4arch9wavefront6targetE0EEEvT1_ ; -- Begin function _ZN7rocprim17ROCPRIM_400000_NS6detail17trampoline_kernelINS0_14default_configENS1_25partition_config_selectorILNS1_17partition_subalgoE9EllbEEZZNS1_14partition_implILS5_9ELb0ES3_jPlS8_PNS0_10empty_typeENS0_5tupleIJS8_S9_EEENSB_IJS8_SA_EEENS0_18inequality_wrapperIZN2at6native12_GLOBAL__N_124unique_dim_cuda_templateImEESt5tupleIJNSF_6TensorESK_SK_EERKSK_lbbbEUlllE0_EEPmJS9_EEE10hipError_tPvRmT3_T4_T5_T6_T7_T9_mT8_P12ihipStream_tbDpT10_ENKUlT_T0_E_clISt17integral_constantIbLb1EES1A_EEDaS15_S16_EUlS15_E_NS1_11comp_targetILNS1_3genE3ELNS1_11target_archE908ELNS1_3gpuE7ELNS1_3repE0EEENS1_30default_config_static_selectorELNS0_4arch9wavefront6targetE0EEEvT1_
	.p2align	8
	.type	_ZN7rocprim17ROCPRIM_400000_NS6detail17trampoline_kernelINS0_14default_configENS1_25partition_config_selectorILNS1_17partition_subalgoE9EllbEEZZNS1_14partition_implILS5_9ELb0ES3_jPlS8_PNS0_10empty_typeENS0_5tupleIJS8_S9_EEENSB_IJS8_SA_EEENS0_18inequality_wrapperIZN2at6native12_GLOBAL__N_124unique_dim_cuda_templateImEESt5tupleIJNSF_6TensorESK_SK_EERKSK_lbbbEUlllE0_EEPmJS9_EEE10hipError_tPvRmT3_T4_T5_T6_T7_T9_mT8_P12ihipStream_tbDpT10_ENKUlT_T0_E_clISt17integral_constantIbLb1EES1A_EEDaS15_S16_EUlS15_E_NS1_11comp_targetILNS1_3genE3ELNS1_11target_archE908ELNS1_3gpuE7ELNS1_3repE0EEENS1_30default_config_static_selectorELNS0_4arch9wavefront6targetE0EEEvT1_,@function
_ZN7rocprim17ROCPRIM_400000_NS6detail17trampoline_kernelINS0_14default_configENS1_25partition_config_selectorILNS1_17partition_subalgoE9EllbEEZZNS1_14partition_implILS5_9ELb0ES3_jPlS8_PNS0_10empty_typeENS0_5tupleIJS8_S9_EEENSB_IJS8_SA_EEENS0_18inequality_wrapperIZN2at6native12_GLOBAL__N_124unique_dim_cuda_templateImEESt5tupleIJNSF_6TensorESK_SK_EERKSK_lbbbEUlllE0_EEPmJS9_EEE10hipError_tPvRmT3_T4_T5_T6_T7_T9_mT8_P12ihipStream_tbDpT10_ENKUlT_T0_E_clISt17integral_constantIbLb1EES1A_EEDaS15_S16_EUlS15_E_NS1_11comp_targetILNS1_3genE3ELNS1_11target_archE908ELNS1_3gpuE7ELNS1_3repE0EEENS1_30default_config_static_selectorELNS0_4arch9wavefront6targetE0EEEvT1_: ; @_ZN7rocprim17ROCPRIM_400000_NS6detail17trampoline_kernelINS0_14default_configENS1_25partition_config_selectorILNS1_17partition_subalgoE9EllbEEZZNS1_14partition_implILS5_9ELb0ES3_jPlS8_PNS0_10empty_typeENS0_5tupleIJS8_S9_EEENSB_IJS8_SA_EEENS0_18inequality_wrapperIZN2at6native12_GLOBAL__N_124unique_dim_cuda_templateImEESt5tupleIJNSF_6TensorESK_SK_EERKSK_lbbbEUlllE0_EEPmJS9_EEE10hipError_tPvRmT3_T4_T5_T6_T7_T9_mT8_P12ihipStream_tbDpT10_ENKUlT_T0_E_clISt17integral_constantIbLb1EES1A_EEDaS15_S16_EUlS15_E_NS1_11comp_targetILNS1_3genE3ELNS1_11target_archE908ELNS1_3gpuE7ELNS1_3repE0EEENS1_30default_config_static_selectorELNS0_4arch9wavefront6targetE0EEEvT1_
; %bb.0:
	.section	.rodata,"a",@progbits
	.p2align	6, 0x0
	.amdhsa_kernel _ZN7rocprim17ROCPRIM_400000_NS6detail17trampoline_kernelINS0_14default_configENS1_25partition_config_selectorILNS1_17partition_subalgoE9EllbEEZZNS1_14partition_implILS5_9ELb0ES3_jPlS8_PNS0_10empty_typeENS0_5tupleIJS8_S9_EEENSB_IJS8_SA_EEENS0_18inequality_wrapperIZN2at6native12_GLOBAL__N_124unique_dim_cuda_templateImEESt5tupleIJNSF_6TensorESK_SK_EERKSK_lbbbEUlllE0_EEPmJS9_EEE10hipError_tPvRmT3_T4_T5_T6_T7_T9_mT8_P12ihipStream_tbDpT10_ENKUlT_T0_E_clISt17integral_constantIbLb1EES1A_EEDaS15_S16_EUlS15_E_NS1_11comp_targetILNS1_3genE3ELNS1_11target_archE908ELNS1_3gpuE7ELNS1_3repE0EEENS1_30default_config_static_selectorELNS0_4arch9wavefront6targetE0EEEvT1_
		.amdhsa_group_segment_fixed_size 0
		.amdhsa_private_segment_fixed_size 0
		.amdhsa_kernarg_size 136
		.amdhsa_user_sgpr_count 2
		.amdhsa_user_sgpr_dispatch_ptr 0
		.amdhsa_user_sgpr_queue_ptr 0
		.amdhsa_user_sgpr_kernarg_segment_ptr 1
		.amdhsa_user_sgpr_dispatch_id 0
		.amdhsa_user_sgpr_kernarg_preload_length 0
		.amdhsa_user_sgpr_kernarg_preload_offset 0
		.amdhsa_user_sgpr_private_segment_size 0
		.amdhsa_wavefront_size32 1
		.amdhsa_uses_dynamic_stack 0
		.amdhsa_enable_private_segment 0
		.amdhsa_system_sgpr_workgroup_id_x 1
		.amdhsa_system_sgpr_workgroup_id_y 0
		.amdhsa_system_sgpr_workgroup_id_z 0
		.amdhsa_system_sgpr_workgroup_info 0
		.amdhsa_system_vgpr_workitem_id 0
		.amdhsa_next_free_vgpr 1
		.amdhsa_next_free_sgpr 1
		.amdhsa_named_barrier_count 0
		.amdhsa_reserve_vcc 0
		.amdhsa_float_round_mode_32 0
		.amdhsa_float_round_mode_16_64 0
		.amdhsa_float_denorm_mode_32 3
		.amdhsa_float_denorm_mode_16_64 3
		.amdhsa_fp16_overflow 0
		.amdhsa_memory_ordered 1
		.amdhsa_forward_progress 1
		.amdhsa_inst_pref_size 0
		.amdhsa_round_robin_scheduling 0
		.amdhsa_exception_fp_ieee_invalid_op 0
		.amdhsa_exception_fp_denorm_src 0
		.amdhsa_exception_fp_ieee_div_zero 0
		.amdhsa_exception_fp_ieee_overflow 0
		.amdhsa_exception_fp_ieee_underflow 0
		.amdhsa_exception_fp_ieee_inexact 0
		.amdhsa_exception_int_div_zero 0
	.end_amdhsa_kernel
	.section	.text._ZN7rocprim17ROCPRIM_400000_NS6detail17trampoline_kernelINS0_14default_configENS1_25partition_config_selectorILNS1_17partition_subalgoE9EllbEEZZNS1_14partition_implILS5_9ELb0ES3_jPlS8_PNS0_10empty_typeENS0_5tupleIJS8_S9_EEENSB_IJS8_SA_EEENS0_18inequality_wrapperIZN2at6native12_GLOBAL__N_124unique_dim_cuda_templateImEESt5tupleIJNSF_6TensorESK_SK_EERKSK_lbbbEUlllE0_EEPmJS9_EEE10hipError_tPvRmT3_T4_T5_T6_T7_T9_mT8_P12ihipStream_tbDpT10_ENKUlT_T0_E_clISt17integral_constantIbLb1EES1A_EEDaS15_S16_EUlS15_E_NS1_11comp_targetILNS1_3genE3ELNS1_11target_archE908ELNS1_3gpuE7ELNS1_3repE0EEENS1_30default_config_static_selectorELNS0_4arch9wavefront6targetE0EEEvT1_,"axG",@progbits,_ZN7rocprim17ROCPRIM_400000_NS6detail17trampoline_kernelINS0_14default_configENS1_25partition_config_selectorILNS1_17partition_subalgoE9EllbEEZZNS1_14partition_implILS5_9ELb0ES3_jPlS8_PNS0_10empty_typeENS0_5tupleIJS8_S9_EEENSB_IJS8_SA_EEENS0_18inequality_wrapperIZN2at6native12_GLOBAL__N_124unique_dim_cuda_templateImEESt5tupleIJNSF_6TensorESK_SK_EERKSK_lbbbEUlllE0_EEPmJS9_EEE10hipError_tPvRmT3_T4_T5_T6_T7_T9_mT8_P12ihipStream_tbDpT10_ENKUlT_T0_E_clISt17integral_constantIbLb1EES1A_EEDaS15_S16_EUlS15_E_NS1_11comp_targetILNS1_3genE3ELNS1_11target_archE908ELNS1_3gpuE7ELNS1_3repE0EEENS1_30default_config_static_selectorELNS0_4arch9wavefront6targetE0EEEvT1_,comdat
.Lfunc_end1706:
	.size	_ZN7rocprim17ROCPRIM_400000_NS6detail17trampoline_kernelINS0_14default_configENS1_25partition_config_selectorILNS1_17partition_subalgoE9EllbEEZZNS1_14partition_implILS5_9ELb0ES3_jPlS8_PNS0_10empty_typeENS0_5tupleIJS8_S9_EEENSB_IJS8_SA_EEENS0_18inequality_wrapperIZN2at6native12_GLOBAL__N_124unique_dim_cuda_templateImEESt5tupleIJNSF_6TensorESK_SK_EERKSK_lbbbEUlllE0_EEPmJS9_EEE10hipError_tPvRmT3_T4_T5_T6_T7_T9_mT8_P12ihipStream_tbDpT10_ENKUlT_T0_E_clISt17integral_constantIbLb1EES1A_EEDaS15_S16_EUlS15_E_NS1_11comp_targetILNS1_3genE3ELNS1_11target_archE908ELNS1_3gpuE7ELNS1_3repE0EEENS1_30default_config_static_selectorELNS0_4arch9wavefront6targetE0EEEvT1_, .Lfunc_end1706-_ZN7rocprim17ROCPRIM_400000_NS6detail17trampoline_kernelINS0_14default_configENS1_25partition_config_selectorILNS1_17partition_subalgoE9EllbEEZZNS1_14partition_implILS5_9ELb0ES3_jPlS8_PNS0_10empty_typeENS0_5tupleIJS8_S9_EEENSB_IJS8_SA_EEENS0_18inequality_wrapperIZN2at6native12_GLOBAL__N_124unique_dim_cuda_templateImEESt5tupleIJNSF_6TensorESK_SK_EERKSK_lbbbEUlllE0_EEPmJS9_EEE10hipError_tPvRmT3_T4_T5_T6_T7_T9_mT8_P12ihipStream_tbDpT10_ENKUlT_T0_E_clISt17integral_constantIbLb1EES1A_EEDaS15_S16_EUlS15_E_NS1_11comp_targetILNS1_3genE3ELNS1_11target_archE908ELNS1_3gpuE7ELNS1_3repE0EEENS1_30default_config_static_selectorELNS0_4arch9wavefront6targetE0EEEvT1_
                                        ; -- End function
	.set _ZN7rocprim17ROCPRIM_400000_NS6detail17trampoline_kernelINS0_14default_configENS1_25partition_config_selectorILNS1_17partition_subalgoE9EllbEEZZNS1_14partition_implILS5_9ELb0ES3_jPlS8_PNS0_10empty_typeENS0_5tupleIJS8_S9_EEENSB_IJS8_SA_EEENS0_18inequality_wrapperIZN2at6native12_GLOBAL__N_124unique_dim_cuda_templateImEESt5tupleIJNSF_6TensorESK_SK_EERKSK_lbbbEUlllE0_EEPmJS9_EEE10hipError_tPvRmT3_T4_T5_T6_T7_T9_mT8_P12ihipStream_tbDpT10_ENKUlT_T0_E_clISt17integral_constantIbLb1EES1A_EEDaS15_S16_EUlS15_E_NS1_11comp_targetILNS1_3genE3ELNS1_11target_archE908ELNS1_3gpuE7ELNS1_3repE0EEENS1_30default_config_static_selectorELNS0_4arch9wavefront6targetE0EEEvT1_.num_vgpr, 0
	.set _ZN7rocprim17ROCPRIM_400000_NS6detail17trampoline_kernelINS0_14default_configENS1_25partition_config_selectorILNS1_17partition_subalgoE9EllbEEZZNS1_14partition_implILS5_9ELb0ES3_jPlS8_PNS0_10empty_typeENS0_5tupleIJS8_S9_EEENSB_IJS8_SA_EEENS0_18inequality_wrapperIZN2at6native12_GLOBAL__N_124unique_dim_cuda_templateImEESt5tupleIJNSF_6TensorESK_SK_EERKSK_lbbbEUlllE0_EEPmJS9_EEE10hipError_tPvRmT3_T4_T5_T6_T7_T9_mT8_P12ihipStream_tbDpT10_ENKUlT_T0_E_clISt17integral_constantIbLb1EES1A_EEDaS15_S16_EUlS15_E_NS1_11comp_targetILNS1_3genE3ELNS1_11target_archE908ELNS1_3gpuE7ELNS1_3repE0EEENS1_30default_config_static_selectorELNS0_4arch9wavefront6targetE0EEEvT1_.num_agpr, 0
	.set _ZN7rocprim17ROCPRIM_400000_NS6detail17trampoline_kernelINS0_14default_configENS1_25partition_config_selectorILNS1_17partition_subalgoE9EllbEEZZNS1_14partition_implILS5_9ELb0ES3_jPlS8_PNS0_10empty_typeENS0_5tupleIJS8_S9_EEENSB_IJS8_SA_EEENS0_18inequality_wrapperIZN2at6native12_GLOBAL__N_124unique_dim_cuda_templateImEESt5tupleIJNSF_6TensorESK_SK_EERKSK_lbbbEUlllE0_EEPmJS9_EEE10hipError_tPvRmT3_T4_T5_T6_T7_T9_mT8_P12ihipStream_tbDpT10_ENKUlT_T0_E_clISt17integral_constantIbLb1EES1A_EEDaS15_S16_EUlS15_E_NS1_11comp_targetILNS1_3genE3ELNS1_11target_archE908ELNS1_3gpuE7ELNS1_3repE0EEENS1_30default_config_static_selectorELNS0_4arch9wavefront6targetE0EEEvT1_.numbered_sgpr, 0
	.set _ZN7rocprim17ROCPRIM_400000_NS6detail17trampoline_kernelINS0_14default_configENS1_25partition_config_selectorILNS1_17partition_subalgoE9EllbEEZZNS1_14partition_implILS5_9ELb0ES3_jPlS8_PNS0_10empty_typeENS0_5tupleIJS8_S9_EEENSB_IJS8_SA_EEENS0_18inequality_wrapperIZN2at6native12_GLOBAL__N_124unique_dim_cuda_templateImEESt5tupleIJNSF_6TensorESK_SK_EERKSK_lbbbEUlllE0_EEPmJS9_EEE10hipError_tPvRmT3_T4_T5_T6_T7_T9_mT8_P12ihipStream_tbDpT10_ENKUlT_T0_E_clISt17integral_constantIbLb1EES1A_EEDaS15_S16_EUlS15_E_NS1_11comp_targetILNS1_3genE3ELNS1_11target_archE908ELNS1_3gpuE7ELNS1_3repE0EEENS1_30default_config_static_selectorELNS0_4arch9wavefront6targetE0EEEvT1_.num_named_barrier, 0
	.set _ZN7rocprim17ROCPRIM_400000_NS6detail17trampoline_kernelINS0_14default_configENS1_25partition_config_selectorILNS1_17partition_subalgoE9EllbEEZZNS1_14partition_implILS5_9ELb0ES3_jPlS8_PNS0_10empty_typeENS0_5tupleIJS8_S9_EEENSB_IJS8_SA_EEENS0_18inequality_wrapperIZN2at6native12_GLOBAL__N_124unique_dim_cuda_templateImEESt5tupleIJNSF_6TensorESK_SK_EERKSK_lbbbEUlllE0_EEPmJS9_EEE10hipError_tPvRmT3_T4_T5_T6_T7_T9_mT8_P12ihipStream_tbDpT10_ENKUlT_T0_E_clISt17integral_constantIbLb1EES1A_EEDaS15_S16_EUlS15_E_NS1_11comp_targetILNS1_3genE3ELNS1_11target_archE908ELNS1_3gpuE7ELNS1_3repE0EEENS1_30default_config_static_selectorELNS0_4arch9wavefront6targetE0EEEvT1_.private_seg_size, 0
	.set _ZN7rocprim17ROCPRIM_400000_NS6detail17trampoline_kernelINS0_14default_configENS1_25partition_config_selectorILNS1_17partition_subalgoE9EllbEEZZNS1_14partition_implILS5_9ELb0ES3_jPlS8_PNS0_10empty_typeENS0_5tupleIJS8_S9_EEENSB_IJS8_SA_EEENS0_18inequality_wrapperIZN2at6native12_GLOBAL__N_124unique_dim_cuda_templateImEESt5tupleIJNSF_6TensorESK_SK_EERKSK_lbbbEUlllE0_EEPmJS9_EEE10hipError_tPvRmT3_T4_T5_T6_T7_T9_mT8_P12ihipStream_tbDpT10_ENKUlT_T0_E_clISt17integral_constantIbLb1EES1A_EEDaS15_S16_EUlS15_E_NS1_11comp_targetILNS1_3genE3ELNS1_11target_archE908ELNS1_3gpuE7ELNS1_3repE0EEENS1_30default_config_static_selectorELNS0_4arch9wavefront6targetE0EEEvT1_.uses_vcc, 0
	.set _ZN7rocprim17ROCPRIM_400000_NS6detail17trampoline_kernelINS0_14default_configENS1_25partition_config_selectorILNS1_17partition_subalgoE9EllbEEZZNS1_14partition_implILS5_9ELb0ES3_jPlS8_PNS0_10empty_typeENS0_5tupleIJS8_S9_EEENSB_IJS8_SA_EEENS0_18inequality_wrapperIZN2at6native12_GLOBAL__N_124unique_dim_cuda_templateImEESt5tupleIJNSF_6TensorESK_SK_EERKSK_lbbbEUlllE0_EEPmJS9_EEE10hipError_tPvRmT3_T4_T5_T6_T7_T9_mT8_P12ihipStream_tbDpT10_ENKUlT_T0_E_clISt17integral_constantIbLb1EES1A_EEDaS15_S16_EUlS15_E_NS1_11comp_targetILNS1_3genE3ELNS1_11target_archE908ELNS1_3gpuE7ELNS1_3repE0EEENS1_30default_config_static_selectorELNS0_4arch9wavefront6targetE0EEEvT1_.uses_flat_scratch, 0
	.set _ZN7rocprim17ROCPRIM_400000_NS6detail17trampoline_kernelINS0_14default_configENS1_25partition_config_selectorILNS1_17partition_subalgoE9EllbEEZZNS1_14partition_implILS5_9ELb0ES3_jPlS8_PNS0_10empty_typeENS0_5tupleIJS8_S9_EEENSB_IJS8_SA_EEENS0_18inequality_wrapperIZN2at6native12_GLOBAL__N_124unique_dim_cuda_templateImEESt5tupleIJNSF_6TensorESK_SK_EERKSK_lbbbEUlllE0_EEPmJS9_EEE10hipError_tPvRmT3_T4_T5_T6_T7_T9_mT8_P12ihipStream_tbDpT10_ENKUlT_T0_E_clISt17integral_constantIbLb1EES1A_EEDaS15_S16_EUlS15_E_NS1_11comp_targetILNS1_3genE3ELNS1_11target_archE908ELNS1_3gpuE7ELNS1_3repE0EEENS1_30default_config_static_selectorELNS0_4arch9wavefront6targetE0EEEvT1_.has_dyn_sized_stack, 0
	.set _ZN7rocprim17ROCPRIM_400000_NS6detail17trampoline_kernelINS0_14default_configENS1_25partition_config_selectorILNS1_17partition_subalgoE9EllbEEZZNS1_14partition_implILS5_9ELb0ES3_jPlS8_PNS0_10empty_typeENS0_5tupleIJS8_S9_EEENSB_IJS8_SA_EEENS0_18inequality_wrapperIZN2at6native12_GLOBAL__N_124unique_dim_cuda_templateImEESt5tupleIJNSF_6TensorESK_SK_EERKSK_lbbbEUlllE0_EEPmJS9_EEE10hipError_tPvRmT3_T4_T5_T6_T7_T9_mT8_P12ihipStream_tbDpT10_ENKUlT_T0_E_clISt17integral_constantIbLb1EES1A_EEDaS15_S16_EUlS15_E_NS1_11comp_targetILNS1_3genE3ELNS1_11target_archE908ELNS1_3gpuE7ELNS1_3repE0EEENS1_30default_config_static_selectorELNS0_4arch9wavefront6targetE0EEEvT1_.has_recursion, 0
	.set _ZN7rocprim17ROCPRIM_400000_NS6detail17trampoline_kernelINS0_14default_configENS1_25partition_config_selectorILNS1_17partition_subalgoE9EllbEEZZNS1_14partition_implILS5_9ELb0ES3_jPlS8_PNS0_10empty_typeENS0_5tupleIJS8_S9_EEENSB_IJS8_SA_EEENS0_18inequality_wrapperIZN2at6native12_GLOBAL__N_124unique_dim_cuda_templateImEESt5tupleIJNSF_6TensorESK_SK_EERKSK_lbbbEUlllE0_EEPmJS9_EEE10hipError_tPvRmT3_T4_T5_T6_T7_T9_mT8_P12ihipStream_tbDpT10_ENKUlT_T0_E_clISt17integral_constantIbLb1EES1A_EEDaS15_S16_EUlS15_E_NS1_11comp_targetILNS1_3genE3ELNS1_11target_archE908ELNS1_3gpuE7ELNS1_3repE0EEENS1_30default_config_static_selectorELNS0_4arch9wavefront6targetE0EEEvT1_.has_indirect_call, 0
	.section	.AMDGPU.csdata,"",@progbits
; Kernel info:
; codeLenInByte = 0
; TotalNumSgprs: 0
; NumVgprs: 0
; ScratchSize: 0
; MemoryBound: 0
; FloatMode: 240
; IeeeMode: 1
; LDSByteSize: 0 bytes/workgroup (compile time only)
; SGPRBlocks: 0
; VGPRBlocks: 0
; NumSGPRsForWavesPerEU: 1
; NumVGPRsForWavesPerEU: 1
; NamedBarCnt: 0
; Occupancy: 16
; WaveLimiterHint : 0
; COMPUTE_PGM_RSRC2:SCRATCH_EN: 0
; COMPUTE_PGM_RSRC2:USER_SGPR: 2
; COMPUTE_PGM_RSRC2:TRAP_HANDLER: 0
; COMPUTE_PGM_RSRC2:TGID_X_EN: 1
; COMPUTE_PGM_RSRC2:TGID_Y_EN: 0
; COMPUTE_PGM_RSRC2:TGID_Z_EN: 0
; COMPUTE_PGM_RSRC2:TIDIG_COMP_CNT: 0
	.section	.text._ZN7rocprim17ROCPRIM_400000_NS6detail17trampoline_kernelINS0_14default_configENS1_25partition_config_selectorILNS1_17partition_subalgoE9EllbEEZZNS1_14partition_implILS5_9ELb0ES3_jPlS8_PNS0_10empty_typeENS0_5tupleIJS8_S9_EEENSB_IJS8_SA_EEENS0_18inequality_wrapperIZN2at6native12_GLOBAL__N_124unique_dim_cuda_templateImEESt5tupleIJNSF_6TensorESK_SK_EERKSK_lbbbEUlllE0_EEPmJS9_EEE10hipError_tPvRmT3_T4_T5_T6_T7_T9_mT8_P12ihipStream_tbDpT10_ENKUlT_T0_E_clISt17integral_constantIbLb1EES1A_EEDaS15_S16_EUlS15_E_NS1_11comp_targetILNS1_3genE2ELNS1_11target_archE906ELNS1_3gpuE6ELNS1_3repE0EEENS1_30default_config_static_selectorELNS0_4arch9wavefront6targetE0EEEvT1_,"axG",@progbits,_ZN7rocprim17ROCPRIM_400000_NS6detail17trampoline_kernelINS0_14default_configENS1_25partition_config_selectorILNS1_17partition_subalgoE9EllbEEZZNS1_14partition_implILS5_9ELb0ES3_jPlS8_PNS0_10empty_typeENS0_5tupleIJS8_S9_EEENSB_IJS8_SA_EEENS0_18inequality_wrapperIZN2at6native12_GLOBAL__N_124unique_dim_cuda_templateImEESt5tupleIJNSF_6TensorESK_SK_EERKSK_lbbbEUlllE0_EEPmJS9_EEE10hipError_tPvRmT3_T4_T5_T6_T7_T9_mT8_P12ihipStream_tbDpT10_ENKUlT_T0_E_clISt17integral_constantIbLb1EES1A_EEDaS15_S16_EUlS15_E_NS1_11comp_targetILNS1_3genE2ELNS1_11target_archE906ELNS1_3gpuE6ELNS1_3repE0EEENS1_30default_config_static_selectorELNS0_4arch9wavefront6targetE0EEEvT1_,comdat
	.globl	_ZN7rocprim17ROCPRIM_400000_NS6detail17trampoline_kernelINS0_14default_configENS1_25partition_config_selectorILNS1_17partition_subalgoE9EllbEEZZNS1_14partition_implILS5_9ELb0ES3_jPlS8_PNS0_10empty_typeENS0_5tupleIJS8_S9_EEENSB_IJS8_SA_EEENS0_18inequality_wrapperIZN2at6native12_GLOBAL__N_124unique_dim_cuda_templateImEESt5tupleIJNSF_6TensorESK_SK_EERKSK_lbbbEUlllE0_EEPmJS9_EEE10hipError_tPvRmT3_T4_T5_T6_T7_T9_mT8_P12ihipStream_tbDpT10_ENKUlT_T0_E_clISt17integral_constantIbLb1EES1A_EEDaS15_S16_EUlS15_E_NS1_11comp_targetILNS1_3genE2ELNS1_11target_archE906ELNS1_3gpuE6ELNS1_3repE0EEENS1_30default_config_static_selectorELNS0_4arch9wavefront6targetE0EEEvT1_ ; -- Begin function _ZN7rocprim17ROCPRIM_400000_NS6detail17trampoline_kernelINS0_14default_configENS1_25partition_config_selectorILNS1_17partition_subalgoE9EllbEEZZNS1_14partition_implILS5_9ELb0ES3_jPlS8_PNS0_10empty_typeENS0_5tupleIJS8_S9_EEENSB_IJS8_SA_EEENS0_18inequality_wrapperIZN2at6native12_GLOBAL__N_124unique_dim_cuda_templateImEESt5tupleIJNSF_6TensorESK_SK_EERKSK_lbbbEUlllE0_EEPmJS9_EEE10hipError_tPvRmT3_T4_T5_T6_T7_T9_mT8_P12ihipStream_tbDpT10_ENKUlT_T0_E_clISt17integral_constantIbLb1EES1A_EEDaS15_S16_EUlS15_E_NS1_11comp_targetILNS1_3genE2ELNS1_11target_archE906ELNS1_3gpuE6ELNS1_3repE0EEENS1_30default_config_static_selectorELNS0_4arch9wavefront6targetE0EEEvT1_
	.p2align	8
	.type	_ZN7rocprim17ROCPRIM_400000_NS6detail17trampoline_kernelINS0_14default_configENS1_25partition_config_selectorILNS1_17partition_subalgoE9EllbEEZZNS1_14partition_implILS5_9ELb0ES3_jPlS8_PNS0_10empty_typeENS0_5tupleIJS8_S9_EEENSB_IJS8_SA_EEENS0_18inequality_wrapperIZN2at6native12_GLOBAL__N_124unique_dim_cuda_templateImEESt5tupleIJNSF_6TensorESK_SK_EERKSK_lbbbEUlllE0_EEPmJS9_EEE10hipError_tPvRmT3_T4_T5_T6_T7_T9_mT8_P12ihipStream_tbDpT10_ENKUlT_T0_E_clISt17integral_constantIbLb1EES1A_EEDaS15_S16_EUlS15_E_NS1_11comp_targetILNS1_3genE2ELNS1_11target_archE906ELNS1_3gpuE6ELNS1_3repE0EEENS1_30default_config_static_selectorELNS0_4arch9wavefront6targetE0EEEvT1_,@function
_ZN7rocprim17ROCPRIM_400000_NS6detail17trampoline_kernelINS0_14default_configENS1_25partition_config_selectorILNS1_17partition_subalgoE9EllbEEZZNS1_14partition_implILS5_9ELb0ES3_jPlS8_PNS0_10empty_typeENS0_5tupleIJS8_S9_EEENSB_IJS8_SA_EEENS0_18inequality_wrapperIZN2at6native12_GLOBAL__N_124unique_dim_cuda_templateImEESt5tupleIJNSF_6TensorESK_SK_EERKSK_lbbbEUlllE0_EEPmJS9_EEE10hipError_tPvRmT3_T4_T5_T6_T7_T9_mT8_P12ihipStream_tbDpT10_ENKUlT_T0_E_clISt17integral_constantIbLb1EES1A_EEDaS15_S16_EUlS15_E_NS1_11comp_targetILNS1_3genE2ELNS1_11target_archE906ELNS1_3gpuE6ELNS1_3repE0EEENS1_30default_config_static_selectorELNS0_4arch9wavefront6targetE0EEEvT1_: ; @_ZN7rocprim17ROCPRIM_400000_NS6detail17trampoline_kernelINS0_14default_configENS1_25partition_config_selectorILNS1_17partition_subalgoE9EllbEEZZNS1_14partition_implILS5_9ELb0ES3_jPlS8_PNS0_10empty_typeENS0_5tupleIJS8_S9_EEENSB_IJS8_SA_EEENS0_18inequality_wrapperIZN2at6native12_GLOBAL__N_124unique_dim_cuda_templateImEESt5tupleIJNSF_6TensorESK_SK_EERKSK_lbbbEUlllE0_EEPmJS9_EEE10hipError_tPvRmT3_T4_T5_T6_T7_T9_mT8_P12ihipStream_tbDpT10_ENKUlT_T0_E_clISt17integral_constantIbLb1EES1A_EEDaS15_S16_EUlS15_E_NS1_11comp_targetILNS1_3genE2ELNS1_11target_archE906ELNS1_3gpuE6ELNS1_3repE0EEENS1_30default_config_static_selectorELNS0_4arch9wavefront6targetE0EEEvT1_
; %bb.0:
	.section	.rodata,"a",@progbits
	.p2align	6, 0x0
	.amdhsa_kernel _ZN7rocprim17ROCPRIM_400000_NS6detail17trampoline_kernelINS0_14default_configENS1_25partition_config_selectorILNS1_17partition_subalgoE9EllbEEZZNS1_14partition_implILS5_9ELb0ES3_jPlS8_PNS0_10empty_typeENS0_5tupleIJS8_S9_EEENSB_IJS8_SA_EEENS0_18inequality_wrapperIZN2at6native12_GLOBAL__N_124unique_dim_cuda_templateImEESt5tupleIJNSF_6TensorESK_SK_EERKSK_lbbbEUlllE0_EEPmJS9_EEE10hipError_tPvRmT3_T4_T5_T6_T7_T9_mT8_P12ihipStream_tbDpT10_ENKUlT_T0_E_clISt17integral_constantIbLb1EES1A_EEDaS15_S16_EUlS15_E_NS1_11comp_targetILNS1_3genE2ELNS1_11target_archE906ELNS1_3gpuE6ELNS1_3repE0EEENS1_30default_config_static_selectorELNS0_4arch9wavefront6targetE0EEEvT1_
		.amdhsa_group_segment_fixed_size 0
		.amdhsa_private_segment_fixed_size 0
		.amdhsa_kernarg_size 136
		.amdhsa_user_sgpr_count 2
		.amdhsa_user_sgpr_dispatch_ptr 0
		.amdhsa_user_sgpr_queue_ptr 0
		.amdhsa_user_sgpr_kernarg_segment_ptr 1
		.amdhsa_user_sgpr_dispatch_id 0
		.amdhsa_user_sgpr_kernarg_preload_length 0
		.amdhsa_user_sgpr_kernarg_preload_offset 0
		.amdhsa_user_sgpr_private_segment_size 0
		.amdhsa_wavefront_size32 1
		.amdhsa_uses_dynamic_stack 0
		.amdhsa_enable_private_segment 0
		.amdhsa_system_sgpr_workgroup_id_x 1
		.amdhsa_system_sgpr_workgroup_id_y 0
		.amdhsa_system_sgpr_workgroup_id_z 0
		.amdhsa_system_sgpr_workgroup_info 0
		.amdhsa_system_vgpr_workitem_id 0
		.amdhsa_next_free_vgpr 1
		.amdhsa_next_free_sgpr 1
		.amdhsa_named_barrier_count 0
		.amdhsa_reserve_vcc 0
		.amdhsa_float_round_mode_32 0
		.amdhsa_float_round_mode_16_64 0
		.amdhsa_float_denorm_mode_32 3
		.amdhsa_float_denorm_mode_16_64 3
		.amdhsa_fp16_overflow 0
		.amdhsa_memory_ordered 1
		.amdhsa_forward_progress 1
		.amdhsa_inst_pref_size 0
		.amdhsa_round_robin_scheduling 0
		.amdhsa_exception_fp_ieee_invalid_op 0
		.amdhsa_exception_fp_denorm_src 0
		.amdhsa_exception_fp_ieee_div_zero 0
		.amdhsa_exception_fp_ieee_overflow 0
		.amdhsa_exception_fp_ieee_underflow 0
		.amdhsa_exception_fp_ieee_inexact 0
		.amdhsa_exception_int_div_zero 0
	.end_amdhsa_kernel
	.section	.text._ZN7rocprim17ROCPRIM_400000_NS6detail17trampoline_kernelINS0_14default_configENS1_25partition_config_selectorILNS1_17partition_subalgoE9EllbEEZZNS1_14partition_implILS5_9ELb0ES3_jPlS8_PNS0_10empty_typeENS0_5tupleIJS8_S9_EEENSB_IJS8_SA_EEENS0_18inequality_wrapperIZN2at6native12_GLOBAL__N_124unique_dim_cuda_templateImEESt5tupleIJNSF_6TensorESK_SK_EERKSK_lbbbEUlllE0_EEPmJS9_EEE10hipError_tPvRmT3_T4_T5_T6_T7_T9_mT8_P12ihipStream_tbDpT10_ENKUlT_T0_E_clISt17integral_constantIbLb1EES1A_EEDaS15_S16_EUlS15_E_NS1_11comp_targetILNS1_3genE2ELNS1_11target_archE906ELNS1_3gpuE6ELNS1_3repE0EEENS1_30default_config_static_selectorELNS0_4arch9wavefront6targetE0EEEvT1_,"axG",@progbits,_ZN7rocprim17ROCPRIM_400000_NS6detail17trampoline_kernelINS0_14default_configENS1_25partition_config_selectorILNS1_17partition_subalgoE9EllbEEZZNS1_14partition_implILS5_9ELb0ES3_jPlS8_PNS0_10empty_typeENS0_5tupleIJS8_S9_EEENSB_IJS8_SA_EEENS0_18inequality_wrapperIZN2at6native12_GLOBAL__N_124unique_dim_cuda_templateImEESt5tupleIJNSF_6TensorESK_SK_EERKSK_lbbbEUlllE0_EEPmJS9_EEE10hipError_tPvRmT3_T4_T5_T6_T7_T9_mT8_P12ihipStream_tbDpT10_ENKUlT_T0_E_clISt17integral_constantIbLb1EES1A_EEDaS15_S16_EUlS15_E_NS1_11comp_targetILNS1_3genE2ELNS1_11target_archE906ELNS1_3gpuE6ELNS1_3repE0EEENS1_30default_config_static_selectorELNS0_4arch9wavefront6targetE0EEEvT1_,comdat
.Lfunc_end1707:
	.size	_ZN7rocprim17ROCPRIM_400000_NS6detail17trampoline_kernelINS0_14default_configENS1_25partition_config_selectorILNS1_17partition_subalgoE9EllbEEZZNS1_14partition_implILS5_9ELb0ES3_jPlS8_PNS0_10empty_typeENS0_5tupleIJS8_S9_EEENSB_IJS8_SA_EEENS0_18inequality_wrapperIZN2at6native12_GLOBAL__N_124unique_dim_cuda_templateImEESt5tupleIJNSF_6TensorESK_SK_EERKSK_lbbbEUlllE0_EEPmJS9_EEE10hipError_tPvRmT3_T4_T5_T6_T7_T9_mT8_P12ihipStream_tbDpT10_ENKUlT_T0_E_clISt17integral_constantIbLb1EES1A_EEDaS15_S16_EUlS15_E_NS1_11comp_targetILNS1_3genE2ELNS1_11target_archE906ELNS1_3gpuE6ELNS1_3repE0EEENS1_30default_config_static_selectorELNS0_4arch9wavefront6targetE0EEEvT1_, .Lfunc_end1707-_ZN7rocprim17ROCPRIM_400000_NS6detail17trampoline_kernelINS0_14default_configENS1_25partition_config_selectorILNS1_17partition_subalgoE9EllbEEZZNS1_14partition_implILS5_9ELb0ES3_jPlS8_PNS0_10empty_typeENS0_5tupleIJS8_S9_EEENSB_IJS8_SA_EEENS0_18inequality_wrapperIZN2at6native12_GLOBAL__N_124unique_dim_cuda_templateImEESt5tupleIJNSF_6TensorESK_SK_EERKSK_lbbbEUlllE0_EEPmJS9_EEE10hipError_tPvRmT3_T4_T5_T6_T7_T9_mT8_P12ihipStream_tbDpT10_ENKUlT_T0_E_clISt17integral_constantIbLb1EES1A_EEDaS15_S16_EUlS15_E_NS1_11comp_targetILNS1_3genE2ELNS1_11target_archE906ELNS1_3gpuE6ELNS1_3repE0EEENS1_30default_config_static_selectorELNS0_4arch9wavefront6targetE0EEEvT1_
                                        ; -- End function
	.set _ZN7rocprim17ROCPRIM_400000_NS6detail17trampoline_kernelINS0_14default_configENS1_25partition_config_selectorILNS1_17partition_subalgoE9EllbEEZZNS1_14partition_implILS5_9ELb0ES3_jPlS8_PNS0_10empty_typeENS0_5tupleIJS8_S9_EEENSB_IJS8_SA_EEENS0_18inequality_wrapperIZN2at6native12_GLOBAL__N_124unique_dim_cuda_templateImEESt5tupleIJNSF_6TensorESK_SK_EERKSK_lbbbEUlllE0_EEPmJS9_EEE10hipError_tPvRmT3_T4_T5_T6_T7_T9_mT8_P12ihipStream_tbDpT10_ENKUlT_T0_E_clISt17integral_constantIbLb1EES1A_EEDaS15_S16_EUlS15_E_NS1_11comp_targetILNS1_3genE2ELNS1_11target_archE906ELNS1_3gpuE6ELNS1_3repE0EEENS1_30default_config_static_selectorELNS0_4arch9wavefront6targetE0EEEvT1_.num_vgpr, 0
	.set _ZN7rocprim17ROCPRIM_400000_NS6detail17trampoline_kernelINS0_14default_configENS1_25partition_config_selectorILNS1_17partition_subalgoE9EllbEEZZNS1_14partition_implILS5_9ELb0ES3_jPlS8_PNS0_10empty_typeENS0_5tupleIJS8_S9_EEENSB_IJS8_SA_EEENS0_18inequality_wrapperIZN2at6native12_GLOBAL__N_124unique_dim_cuda_templateImEESt5tupleIJNSF_6TensorESK_SK_EERKSK_lbbbEUlllE0_EEPmJS9_EEE10hipError_tPvRmT3_T4_T5_T6_T7_T9_mT8_P12ihipStream_tbDpT10_ENKUlT_T0_E_clISt17integral_constantIbLb1EES1A_EEDaS15_S16_EUlS15_E_NS1_11comp_targetILNS1_3genE2ELNS1_11target_archE906ELNS1_3gpuE6ELNS1_3repE0EEENS1_30default_config_static_selectorELNS0_4arch9wavefront6targetE0EEEvT1_.num_agpr, 0
	.set _ZN7rocprim17ROCPRIM_400000_NS6detail17trampoline_kernelINS0_14default_configENS1_25partition_config_selectorILNS1_17partition_subalgoE9EllbEEZZNS1_14partition_implILS5_9ELb0ES3_jPlS8_PNS0_10empty_typeENS0_5tupleIJS8_S9_EEENSB_IJS8_SA_EEENS0_18inequality_wrapperIZN2at6native12_GLOBAL__N_124unique_dim_cuda_templateImEESt5tupleIJNSF_6TensorESK_SK_EERKSK_lbbbEUlllE0_EEPmJS9_EEE10hipError_tPvRmT3_T4_T5_T6_T7_T9_mT8_P12ihipStream_tbDpT10_ENKUlT_T0_E_clISt17integral_constantIbLb1EES1A_EEDaS15_S16_EUlS15_E_NS1_11comp_targetILNS1_3genE2ELNS1_11target_archE906ELNS1_3gpuE6ELNS1_3repE0EEENS1_30default_config_static_selectorELNS0_4arch9wavefront6targetE0EEEvT1_.numbered_sgpr, 0
	.set _ZN7rocprim17ROCPRIM_400000_NS6detail17trampoline_kernelINS0_14default_configENS1_25partition_config_selectorILNS1_17partition_subalgoE9EllbEEZZNS1_14partition_implILS5_9ELb0ES3_jPlS8_PNS0_10empty_typeENS0_5tupleIJS8_S9_EEENSB_IJS8_SA_EEENS0_18inequality_wrapperIZN2at6native12_GLOBAL__N_124unique_dim_cuda_templateImEESt5tupleIJNSF_6TensorESK_SK_EERKSK_lbbbEUlllE0_EEPmJS9_EEE10hipError_tPvRmT3_T4_T5_T6_T7_T9_mT8_P12ihipStream_tbDpT10_ENKUlT_T0_E_clISt17integral_constantIbLb1EES1A_EEDaS15_S16_EUlS15_E_NS1_11comp_targetILNS1_3genE2ELNS1_11target_archE906ELNS1_3gpuE6ELNS1_3repE0EEENS1_30default_config_static_selectorELNS0_4arch9wavefront6targetE0EEEvT1_.num_named_barrier, 0
	.set _ZN7rocprim17ROCPRIM_400000_NS6detail17trampoline_kernelINS0_14default_configENS1_25partition_config_selectorILNS1_17partition_subalgoE9EllbEEZZNS1_14partition_implILS5_9ELb0ES3_jPlS8_PNS0_10empty_typeENS0_5tupleIJS8_S9_EEENSB_IJS8_SA_EEENS0_18inequality_wrapperIZN2at6native12_GLOBAL__N_124unique_dim_cuda_templateImEESt5tupleIJNSF_6TensorESK_SK_EERKSK_lbbbEUlllE0_EEPmJS9_EEE10hipError_tPvRmT3_T4_T5_T6_T7_T9_mT8_P12ihipStream_tbDpT10_ENKUlT_T0_E_clISt17integral_constantIbLb1EES1A_EEDaS15_S16_EUlS15_E_NS1_11comp_targetILNS1_3genE2ELNS1_11target_archE906ELNS1_3gpuE6ELNS1_3repE0EEENS1_30default_config_static_selectorELNS0_4arch9wavefront6targetE0EEEvT1_.private_seg_size, 0
	.set _ZN7rocprim17ROCPRIM_400000_NS6detail17trampoline_kernelINS0_14default_configENS1_25partition_config_selectorILNS1_17partition_subalgoE9EllbEEZZNS1_14partition_implILS5_9ELb0ES3_jPlS8_PNS0_10empty_typeENS0_5tupleIJS8_S9_EEENSB_IJS8_SA_EEENS0_18inequality_wrapperIZN2at6native12_GLOBAL__N_124unique_dim_cuda_templateImEESt5tupleIJNSF_6TensorESK_SK_EERKSK_lbbbEUlllE0_EEPmJS9_EEE10hipError_tPvRmT3_T4_T5_T6_T7_T9_mT8_P12ihipStream_tbDpT10_ENKUlT_T0_E_clISt17integral_constantIbLb1EES1A_EEDaS15_S16_EUlS15_E_NS1_11comp_targetILNS1_3genE2ELNS1_11target_archE906ELNS1_3gpuE6ELNS1_3repE0EEENS1_30default_config_static_selectorELNS0_4arch9wavefront6targetE0EEEvT1_.uses_vcc, 0
	.set _ZN7rocprim17ROCPRIM_400000_NS6detail17trampoline_kernelINS0_14default_configENS1_25partition_config_selectorILNS1_17partition_subalgoE9EllbEEZZNS1_14partition_implILS5_9ELb0ES3_jPlS8_PNS0_10empty_typeENS0_5tupleIJS8_S9_EEENSB_IJS8_SA_EEENS0_18inequality_wrapperIZN2at6native12_GLOBAL__N_124unique_dim_cuda_templateImEESt5tupleIJNSF_6TensorESK_SK_EERKSK_lbbbEUlllE0_EEPmJS9_EEE10hipError_tPvRmT3_T4_T5_T6_T7_T9_mT8_P12ihipStream_tbDpT10_ENKUlT_T0_E_clISt17integral_constantIbLb1EES1A_EEDaS15_S16_EUlS15_E_NS1_11comp_targetILNS1_3genE2ELNS1_11target_archE906ELNS1_3gpuE6ELNS1_3repE0EEENS1_30default_config_static_selectorELNS0_4arch9wavefront6targetE0EEEvT1_.uses_flat_scratch, 0
	.set _ZN7rocprim17ROCPRIM_400000_NS6detail17trampoline_kernelINS0_14default_configENS1_25partition_config_selectorILNS1_17partition_subalgoE9EllbEEZZNS1_14partition_implILS5_9ELb0ES3_jPlS8_PNS0_10empty_typeENS0_5tupleIJS8_S9_EEENSB_IJS8_SA_EEENS0_18inequality_wrapperIZN2at6native12_GLOBAL__N_124unique_dim_cuda_templateImEESt5tupleIJNSF_6TensorESK_SK_EERKSK_lbbbEUlllE0_EEPmJS9_EEE10hipError_tPvRmT3_T4_T5_T6_T7_T9_mT8_P12ihipStream_tbDpT10_ENKUlT_T0_E_clISt17integral_constantIbLb1EES1A_EEDaS15_S16_EUlS15_E_NS1_11comp_targetILNS1_3genE2ELNS1_11target_archE906ELNS1_3gpuE6ELNS1_3repE0EEENS1_30default_config_static_selectorELNS0_4arch9wavefront6targetE0EEEvT1_.has_dyn_sized_stack, 0
	.set _ZN7rocprim17ROCPRIM_400000_NS6detail17trampoline_kernelINS0_14default_configENS1_25partition_config_selectorILNS1_17partition_subalgoE9EllbEEZZNS1_14partition_implILS5_9ELb0ES3_jPlS8_PNS0_10empty_typeENS0_5tupleIJS8_S9_EEENSB_IJS8_SA_EEENS0_18inequality_wrapperIZN2at6native12_GLOBAL__N_124unique_dim_cuda_templateImEESt5tupleIJNSF_6TensorESK_SK_EERKSK_lbbbEUlllE0_EEPmJS9_EEE10hipError_tPvRmT3_T4_T5_T6_T7_T9_mT8_P12ihipStream_tbDpT10_ENKUlT_T0_E_clISt17integral_constantIbLb1EES1A_EEDaS15_S16_EUlS15_E_NS1_11comp_targetILNS1_3genE2ELNS1_11target_archE906ELNS1_3gpuE6ELNS1_3repE0EEENS1_30default_config_static_selectorELNS0_4arch9wavefront6targetE0EEEvT1_.has_recursion, 0
	.set _ZN7rocprim17ROCPRIM_400000_NS6detail17trampoline_kernelINS0_14default_configENS1_25partition_config_selectorILNS1_17partition_subalgoE9EllbEEZZNS1_14partition_implILS5_9ELb0ES3_jPlS8_PNS0_10empty_typeENS0_5tupleIJS8_S9_EEENSB_IJS8_SA_EEENS0_18inequality_wrapperIZN2at6native12_GLOBAL__N_124unique_dim_cuda_templateImEESt5tupleIJNSF_6TensorESK_SK_EERKSK_lbbbEUlllE0_EEPmJS9_EEE10hipError_tPvRmT3_T4_T5_T6_T7_T9_mT8_P12ihipStream_tbDpT10_ENKUlT_T0_E_clISt17integral_constantIbLb1EES1A_EEDaS15_S16_EUlS15_E_NS1_11comp_targetILNS1_3genE2ELNS1_11target_archE906ELNS1_3gpuE6ELNS1_3repE0EEENS1_30default_config_static_selectorELNS0_4arch9wavefront6targetE0EEEvT1_.has_indirect_call, 0
	.section	.AMDGPU.csdata,"",@progbits
; Kernel info:
; codeLenInByte = 0
; TotalNumSgprs: 0
; NumVgprs: 0
; ScratchSize: 0
; MemoryBound: 0
; FloatMode: 240
; IeeeMode: 1
; LDSByteSize: 0 bytes/workgroup (compile time only)
; SGPRBlocks: 0
; VGPRBlocks: 0
; NumSGPRsForWavesPerEU: 1
; NumVGPRsForWavesPerEU: 1
; NamedBarCnt: 0
; Occupancy: 16
; WaveLimiterHint : 0
; COMPUTE_PGM_RSRC2:SCRATCH_EN: 0
; COMPUTE_PGM_RSRC2:USER_SGPR: 2
; COMPUTE_PGM_RSRC2:TRAP_HANDLER: 0
; COMPUTE_PGM_RSRC2:TGID_X_EN: 1
; COMPUTE_PGM_RSRC2:TGID_Y_EN: 0
; COMPUTE_PGM_RSRC2:TGID_Z_EN: 0
; COMPUTE_PGM_RSRC2:TIDIG_COMP_CNT: 0
	.section	.text._ZN7rocprim17ROCPRIM_400000_NS6detail17trampoline_kernelINS0_14default_configENS1_25partition_config_selectorILNS1_17partition_subalgoE9EllbEEZZNS1_14partition_implILS5_9ELb0ES3_jPlS8_PNS0_10empty_typeENS0_5tupleIJS8_S9_EEENSB_IJS8_SA_EEENS0_18inequality_wrapperIZN2at6native12_GLOBAL__N_124unique_dim_cuda_templateImEESt5tupleIJNSF_6TensorESK_SK_EERKSK_lbbbEUlllE0_EEPmJS9_EEE10hipError_tPvRmT3_T4_T5_T6_T7_T9_mT8_P12ihipStream_tbDpT10_ENKUlT_T0_E_clISt17integral_constantIbLb1EES1A_EEDaS15_S16_EUlS15_E_NS1_11comp_targetILNS1_3genE10ELNS1_11target_archE1200ELNS1_3gpuE4ELNS1_3repE0EEENS1_30default_config_static_selectorELNS0_4arch9wavefront6targetE0EEEvT1_,"axG",@progbits,_ZN7rocprim17ROCPRIM_400000_NS6detail17trampoline_kernelINS0_14default_configENS1_25partition_config_selectorILNS1_17partition_subalgoE9EllbEEZZNS1_14partition_implILS5_9ELb0ES3_jPlS8_PNS0_10empty_typeENS0_5tupleIJS8_S9_EEENSB_IJS8_SA_EEENS0_18inequality_wrapperIZN2at6native12_GLOBAL__N_124unique_dim_cuda_templateImEESt5tupleIJNSF_6TensorESK_SK_EERKSK_lbbbEUlllE0_EEPmJS9_EEE10hipError_tPvRmT3_T4_T5_T6_T7_T9_mT8_P12ihipStream_tbDpT10_ENKUlT_T0_E_clISt17integral_constantIbLb1EES1A_EEDaS15_S16_EUlS15_E_NS1_11comp_targetILNS1_3genE10ELNS1_11target_archE1200ELNS1_3gpuE4ELNS1_3repE0EEENS1_30default_config_static_selectorELNS0_4arch9wavefront6targetE0EEEvT1_,comdat
	.globl	_ZN7rocprim17ROCPRIM_400000_NS6detail17trampoline_kernelINS0_14default_configENS1_25partition_config_selectorILNS1_17partition_subalgoE9EllbEEZZNS1_14partition_implILS5_9ELb0ES3_jPlS8_PNS0_10empty_typeENS0_5tupleIJS8_S9_EEENSB_IJS8_SA_EEENS0_18inequality_wrapperIZN2at6native12_GLOBAL__N_124unique_dim_cuda_templateImEESt5tupleIJNSF_6TensorESK_SK_EERKSK_lbbbEUlllE0_EEPmJS9_EEE10hipError_tPvRmT3_T4_T5_T6_T7_T9_mT8_P12ihipStream_tbDpT10_ENKUlT_T0_E_clISt17integral_constantIbLb1EES1A_EEDaS15_S16_EUlS15_E_NS1_11comp_targetILNS1_3genE10ELNS1_11target_archE1200ELNS1_3gpuE4ELNS1_3repE0EEENS1_30default_config_static_selectorELNS0_4arch9wavefront6targetE0EEEvT1_ ; -- Begin function _ZN7rocprim17ROCPRIM_400000_NS6detail17trampoline_kernelINS0_14default_configENS1_25partition_config_selectorILNS1_17partition_subalgoE9EllbEEZZNS1_14partition_implILS5_9ELb0ES3_jPlS8_PNS0_10empty_typeENS0_5tupleIJS8_S9_EEENSB_IJS8_SA_EEENS0_18inequality_wrapperIZN2at6native12_GLOBAL__N_124unique_dim_cuda_templateImEESt5tupleIJNSF_6TensorESK_SK_EERKSK_lbbbEUlllE0_EEPmJS9_EEE10hipError_tPvRmT3_T4_T5_T6_T7_T9_mT8_P12ihipStream_tbDpT10_ENKUlT_T0_E_clISt17integral_constantIbLb1EES1A_EEDaS15_S16_EUlS15_E_NS1_11comp_targetILNS1_3genE10ELNS1_11target_archE1200ELNS1_3gpuE4ELNS1_3repE0EEENS1_30default_config_static_selectorELNS0_4arch9wavefront6targetE0EEEvT1_
	.p2align	8
	.type	_ZN7rocprim17ROCPRIM_400000_NS6detail17trampoline_kernelINS0_14default_configENS1_25partition_config_selectorILNS1_17partition_subalgoE9EllbEEZZNS1_14partition_implILS5_9ELb0ES3_jPlS8_PNS0_10empty_typeENS0_5tupleIJS8_S9_EEENSB_IJS8_SA_EEENS0_18inequality_wrapperIZN2at6native12_GLOBAL__N_124unique_dim_cuda_templateImEESt5tupleIJNSF_6TensorESK_SK_EERKSK_lbbbEUlllE0_EEPmJS9_EEE10hipError_tPvRmT3_T4_T5_T6_T7_T9_mT8_P12ihipStream_tbDpT10_ENKUlT_T0_E_clISt17integral_constantIbLb1EES1A_EEDaS15_S16_EUlS15_E_NS1_11comp_targetILNS1_3genE10ELNS1_11target_archE1200ELNS1_3gpuE4ELNS1_3repE0EEENS1_30default_config_static_selectorELNS0_4arch9wavefront6targetE0EEEvT1_,@function
_ZN7rocprim17ROCPRIM_400000_NS6detail17trampoline_kernelINS0_14default_configENS1_25partition_config_selectorILNS1_17partition_subalgoE9EllbEEZZNS1_14partition_implILS5_9ELb0ES3_jPlS8_PNS0_10empty_typeENS0_5tupleIJS8_S9_EEENSB_IJS8_SA_EEENS0_18inequality_wrapperIZN2at6native12_GLOBAL__N_124unique_dim_cuda_templateImEESt5tupleIJNSF_6TensorESK_SK_EERKSK_lbbbEUlllE0_EEPmJS9_EEE10hipError_tPvRmT3_T4_T5_T6_T7_T9_mT8_P12ihipStream_tbDpT10_ENKUlT_T0_E_clISt17integral_constantIbLb1EES1A_EEDaS15_S16_EUlS15_E_NS1_11comp_targetILNS1_3genE10ELNS1_11target_archE1200ELNS1_3gpuE4ELNS1_3repE0EEENS1_30default_config_static_selectorELNS0_4arch9wavefront6targetE0EEEvT1_: ; @_ZN7rocprim17ROCPRIM_400000_NS6detail17trampoline_kernelINS0_14default_configENS1_25partition_config_selectorILNS1_17partition_subalgoE9EllbEEZZNS1_14partition_implILS5_9ELb0ES3_jPlS8_PNS0_10empty_typeENS0_5tupleIJS8_S9_EEENSB_IJS8_SA_EEENS0_18inequality_wrapperIZN2at6native12_GLOBAL__N_124unique_dim_cuda_templateImEESt5tupleIJNSF_6TensorESK_SK_EERKSK_lbbbEUlllE0_EEPmJS9_EEE10hipError_tPvRmT3_T4_T5_T6_T7_T9_mT8_P12ihipStream_tbDpT10_ENKUlT_T0_E_clISt17integral_constantIbLb1EES1A_EEDaS15_S16_EUlS15_E_NS1_11comp_targetILNS1_3genE10ELNS1_11target_archE1200ELNS1_3gpuE4ELNS1_3repE0EEENS1_30default_config_static_selectorELNS0_4arch9wavefront6targetE0EEEvT1_
; %bb.0:
	.section	.rodata,"a",@progbits
	.p2align	6, 0x0
	.amdhsa_kernel _ZN7rocprim17ROCPRIM_400000_NS6detail17trampoline_kernelINS0_14default_configENS1_25partition_config_selectorILNS1_17partition_subalgoE9EllbEEZZNS1_14partition_implILS5_9ELb0ES3_jPlS8_PNS0_10empty_typeENS0_5tupleIJS8_S9_EEENSB_IJS8_SA_EEENS0_18inequality_wrapperIZN2at6native12_GLOBAL__N_124unique_dim_cuda_templateImEESt5tupleIJNSF_6TensorESK_SK_EERKSK_lbbbEUlllE0_EEPmJS9_EEE10hipError_tPvRmT3_T4_T5_T6_T7_T9_mT8_P12ihipStream_tbDpT10_ENKUlT_T0_E_clISt17integral_constantIbLb1EES1A_EEDaS15_S16_EUlS15_E_NS1_11comp_targetILNS1_3genE10ELNS1_11target_archE1200ELNS1_3gpuE4ELNS1_3repE0EEENS1_30default_config_static_selectorELNS0_4arch9wavefront6targetE0EEEvT1_
		.amdhsa_group_segment_fixed_size 0
		.amdhsa_private_segment_fixed_size 0
		.amdhsa_kernarg_size 136
		.amdhsa_user_sgpr_count 2
		.amdhsa_user_sgpr_dispatch_ptr 0
		.amdhsa_user_sgpr_queue_ptr 0
		.amdhsa_user_sgpr_kernarg_segment_ptr 1
		.amdhsa_user_sgpr_dispatch_id 0
		.amdhsa_user_sgpr_kernarg_preload_length 0
		.amdhsa_user_sgpr_kernarg_preload_offset 0
		.amdhsa_user_sgpr_private_segment_size 0
		.amdhsa_wavefront_size32 1
		.amdhsa_uses_dynamic_stack 0
		.amdhsa_enable_private_segment 0
		.amdhsa_system_sgpr_workgroup_id_x 1
		.amdhsa_system_sgpr_workgroup_id_y 0
		.amdhsa_system_sgpr_workgroup_id_z 0
		.amdhsa_system_sgpr_workgroup_info 0
		.amdhsa_system_vgpr_workitem_id 0
		.amdhsa_next_free_vgpr 1
		.amdhsa_next_free_sgpr 1
		.amdhsa_named_barrier_count 0
		.amdhsa_reserve_vcc 0
		.amdhsa_float_round_mode_32 0
		.amdhsa_float_round_mode_16_64 0
		.amdhsa_float_denorm_mode_32 3
		.amdhsa_float_denorm_mode_16_64 3
		.amdhsa_fp16_overflow 0
		.amdhsa_memory_ordered 1
		.amdhsa_forward_progress 1
		.amdhsa_inst_pref_size 0
		.amdhsa_round_robin_scheduling 0
		.amdhsa_exception_fp_ieee_invalid_op 0
		.amdhsa_exception_fp_denorm_src 0
		.amdhsa_exception_fp_ieee_div_zero 0
		.amdhsa_exception_fp_ieee_overflow 0
		.amdhsa_exception_fp_ieee_underflow 0
		.amdhsa_exception_fp_ieee_inexact 0
		.amdhsa_exception_int_div_zero 0
	.end_amdhsa_kernel
	.section	.text._ZN7rocprim17ROCPRIM_400000_NS6detail17trampoline_kernelINS0_14default_configENS1_25partition_config_selectorILNS1_17partition_subalgoE9EllbEEZZNS1_14partition_implILS5_9ELb0ES3_jPlS8_PNS0_10empty_typeENS0_5tupleIJS8_S9_EEENSB_IJS8_SA_EEENS0_18inequality_wrapperIZN2at6native12_GLOBAL__N_124unique_dim_cuda_templateImEESt5tupleIJNSF_6TensorESK_SK_EERKSK_lbbbEUlllE0_EEPmJS9_EEE10hipError_tPvRmT3_T4_T5_T6_T7_T9_mT8_P12ihipStream_tbDpT10_ENKUlT_T0_E_clISt17integral_constantIbLb1EES1A_EEDaS15_S16_EUlS15_E_NS1_11comp_targetILNS1_3genE10ELNS1_11target_archE1200ELNS1_3gpuE4ELNS1_3repE0EEENS1_30default_config_static_selectorELNS0_4arch9wavefront6targetE0EEEvT1_,"axG",@progbits,_ZN7rocprim17ROCPRIM_400000_NS6detail17trampoline_kernelINS0_14default_configENS1_25partition_config_selectorILNS1_17partition_subalgoE9EllbEEZZNS1_14partition_implILS5_9ELb0ES3_jPlS8_PNS0_10empty_typeENS0_5tupleIJS8_S9_EEENSB_IJS8_SA_EEENS0_18inequality_wrapperIZN2at6native12_GLOBAL__N_124unique_dim_cuda_templateImEESt5tupleIJNSF_6TensorESK_SK_EERKSK_lbbbEUlllE0_EEPmJS9_EEE10hipError_tPvRmT3_T4_T5_T6_T7_T9_mT8_P12ihipStream_tbDpT10_ENKUlT_T0_E_clISt17integral_constantIbLb1EES1A_EEDaS15_S16_EUlS15_E_NS1_11comp_targetILNS1_3genE10ELNS1_11target_archE1200ELNS1_3gpuE4ELNS1_3repE0EEENS1_30default_config_static_selectorELNS0_4arch9wavefront6targetE0EEEvT1_,comdat
.Lfunc_end1708:
	.size	_ZN7rocprim17ROCPRIM_400000_NS6detail17trampoline_kernelINS0_14default_configENS1_25partition_config_selectorILNS1_17partition_subalgoE9EllbEEZZNS1_14partition_implILS5_9ELb0ES3_jPlS8_PNS0_10empty_typeENS0_5tupleIJS8_S9_EEENSB_IJS8_SA_EEENS0_18inequality_wrapperIZN2at6native12_GLOBAL__N_124unique_dim_cuda_templateImEESt5tupleIJNSF_6TensorESK_SK_EERKSK_lbbbEUlllE0_EEPmJS9_EEE10hipError_tPvRmT3_T4_T5_T6_T7_T9_mT8_P12ihipStream_tbDpT10_ENKUlT_T0_E_clISt17integral_constantIbLb1EES1A_EEDaS15_S16_EUlS15_E_NS1_11comp_targetILNS1_3genE10ELNS1_11target_archE1200ELNS1_3gpuE4ELNS1_3repE0EEENS1_30default_config_static_selectorELNS0_4arch9wavefront6targetE0EEEvT1_, .Lfunc_end1708-_ZN7rocprim17ROCPRIM_400000_NS6detail17trampoline_kernelINS0_14default_configENS1_25partition_config_selectorILNS1_17partition_subalgoE9EllbEEZZNS1_14partition_implILS5_9ELb0ES3_jPlS8_PNS0_10empty_typeENS0_5tupleIJS8_S9_EEENSB_IJS8_SA_EEENS0_18inequality_wrapperIZN2at6native12_GLOBAL__N_124unique_dim_cuda_templateImEESt5tupleIJNSF_6TensorESK_SK_EERKSK_lbbbEUlllE0_EEPmJS9_EEE10hipError_tPvRmT3_T4_T5_T6_T7_T9_mT8_P12ihipStream_tbDpT10_ENKUlT_T0_E_clISt17integral_constantIbLb1EES1A_EEDaS15_S16_EUlS15_E_NS1_11comp_targetILNS1_3genE10ELNS1_11target_archE1200ELNS1_3gpuE4ELNS1_3repE0EEENS1_30default_config_static_selectorELNS0_4arch9wavefront6targetE0EEEvT1_
                                        ; -- End function
	.set _ZN7rocprim17ROCPRIM_400000_NS6detail17trampoline_kernelINS0_14default_configENS1_25partition_config_selectorILNS1_17partition_subalgoE9EllbEEZZNS1_14partition_implILS5_9ELb0ES3_jPlS8_PNS0_10empty_typeENS0_5tupleIJS8_S9_EEENSB_IJS8_SA_EEENS0_18inequality_wrapperIZN2at6native12_GLOBAL__N_124unique_dim_cuda_templateImEESt5tupleIJNSF_6TensorESK_SK_EERKSK_lbbbEUlllE0_EEPmJS9_EEE10hipError_tPvRmT3_T4_T5_T6_T7_T9_mT8_P12ihipStream_tbDpT10_ENKUlT_T0_E_clISt17integral_constantIbLb1EES1A_EEDaS15_S16_EUlS15_E_NS1_11comp_targetILNS1_3genE10ELNS1_11target_archE1200ELNS1_3gpuE4ELNS1_3repE0EEENS1_30default_config_static_selectorELNS0_4arch9wavefront6targetE0EEEvT1_.num_vgpr, 0
	.set _ZN7rocprim17ROCPRIM_400000_NS6detail17trampoline_kernelINS0_14default_configENS1_25partition_config_selectorILNS1_17partition_subalgoE9EllbEEZZNS1_14partition_implILS5_9ELb0ES3_jPlS8_PNS0_10empty_typeENS0_5tupleIJS8_S9_EEENSB_IJS8_SA_EEENS0_18inequality_wrapperIZN2at6native12_GLOBAL__N_124unique_dim_cuda_templateImEESt5tupleIJNSF_6TensorESK_SK_EERKSK_lbbbEUlllE0_EEPmJS9_EEE10hipError_tPvRmT3_T4_T5_T6_T7_T9_mT8_P12ihipStream_tbDpT10_ENKUlT_T0_E_clISt17integral_constantIbLb1EES1A_EEDaS15_S16_EUlS15_E_NS1_11comp_targetILNS1_3genE10ELNS1_11target_archE1200ELNS1_3gpuE4ELNS1_3repE0EEENS1_30default_config_static_selectorELNS0_4arch9wavefront6targetE0EEEvT1_.num_agpr, 0
	.set _ZN7rocprim17ROCPRIM_400000_NS6detail17trampoline_kernelINS0_14default_configENS1_25partition_config_selectorILNS1_17partition_subalgoE9EllbEEZZNS1_14partition_implILS5_9ELb0ES3_jPlS8_PNS0_10empty_typeENS0_5tupleIJS8_S9_EEENSB_IJS8_SA_EEENS0_18inequality_wrapperIZN2at6native12_GLOBAL__N_124unique_dim_cuda_templateImEESt5tupleIJNSF_6TensorESK_SK_EERKSK_lbbbEUlllE0_EEPmJS9_EEE10hipError_tPvRmT3_T4_T5_T6_T7_T9_mT8_P12ihipStream_tbDpT10_ENKUlT_T0_E_clISt17integral_constantIbLb1EES1A_EEDaS15_S16_EUlS15_E_NS1_11comp_targetILNS1_3genE10ELNS1_11target_archE1200ELNS1_3gpuE4ELNS1_3repE0EEENS1_30default_config_static_selectorELNS0_4arch9wavefront6targetE0EEEvT1_.numbered_sgpr, 0
	.set _ZN7rocprim17ROCPRIM_400000_NS6detail17trampoline_kernelINS0_14default_configENS1_25partition_config_selectorILNS1_17partition_subalgoE9EllbEEZZNS1_14partition_implILS5_9ELb0ES3_jPlS8_PNS0_10empty_typeENS0_5tupleIJS8_S9_EEENSB_IJS8_SA_EEENS0_18inequality_wrapperIZN2at6native12_GLOBAL__N_124unique_dim_cuda_templateImEESt5tupleIJNSF_6TensorESK_SK_EERKSK_lbbbEUlllE0_EEPmJS9_EEE10hipError_tPvRmT3_T4_T5_T6_T7_T9_mT8_P12ihipStream_tbDpT10_ENKUlT_T0_E_clISt17integral_constantIbLb1EES1A_EEDaS15_S16_EUlS15_E_NS1_11comp_targetILNS1_3genE10ELNS1_11target_archE1200ELNS1_3gpuE4ELNS1_3repE0EEENS1_30default_config_static_selectorELNS0_4arch9wavefront6targetE0EEEvT1_.num_named_barrier, 0
	.set _ZN7rocprim17ROCPRIM_400000_NS6detail17trampoline_kernelINS0_14default_configENS1_25partition_config_selectorILNS1_17partition_subalgoE9EllbEEZZNS1_14partition_implILS5_9ELb0ES3_jPlS8_PNS0_10empty_typeENS0_5tupleIJS8_S9_EEENSB_IJS8_SA_EEENS0_18inequality_wrapperIZN2at6native12_GLOBAL__N_124unique_dim_cuda_templateImEESt5tupleIJNSF_6TensorESK_SK_EERKSK_lbbbEUlllE0_EEPmJS9_EEE10hipError_tPvRmT3_T4_T5_T6_T7_T9_mT8_P12ihipStream_tbDpT10_ENKUlT_T0_E_clISt17integral_constantIbLb1EES1A_EEDaS15_S16_EUlS15_E_NS1_11comp_targetILNS1_3genE10ELNS1_11target_archE1200ELNS1_3gpuE4ELNS1_3repE0EEENS1_30default_config_static_selectorELNS0_4arch9wavefront6targetE0EEEvT1_.private_seg_size, 0
	.set _ZN7rocprim17ROCPRIM_400000_NS6detail17trampoline_kernelINS0_14default_configENS1_25partition_config_selectorILNS1_17partition_subalgoE9EllbEEZZNS1_14partition_implILS5_9ELb0ES3_jPlS8_PNS0_10empty_typeENS0_5tupleIJS8_S9_EEENSB_IJS8_SA_EEENS0_18inequality_wrapperIZN2at6native12_GLOBAL__N_124unique_dim_cuda_templateImEESt5tupleIJNSF_6TensorESK_SK_EERKSK_lbbbEUlllE0_EEPmJS9_EEE10hipError_tPvRmT3_T4_T5_T6_T7_T9_mT8_P12ihipStream_tbDpT10_ENKUlT_T0_E_clISt17integral_constantIbLb1EES1A_EEDaS15_S16_EUlS15_E_NS1_11comp_targetILNS1_3genE10ELNS1_11target_archE1200ELNS1_3gpuE4ELNS1_3repE0EEENS1_30default_config_static_selectorELNS0_4arch9wavefront6targetE0EEEvT1_.uses_vcc, 0
	.set _ZN7rocprim17ROCPRIM_400000_NS6detail17trampoline_kernelINS0_14default_configENS1_25partition_config_selectorILNS1_17partition_subalgoE9EllbEEZZNS1_14partition_implILS5_9ELb0ES3_jPlS8_PNS0_10empty_typeENS0_5tupleIJS8_S9_EEENSB_IJS8_SA_EEENS0_18inequality_wrapperIZN2at6native12_GLOBAL__N_124unique_dim_cuda_templateImEESt5tupleIJNSF_6TensorESK_SK_EERKSK_lbbbEUlllE0_EEPmJS9_EEE10hipError_tPvRmT3_T4_T5_T6_T7_T9_mT8_P12ihipStream_tbDpT10_ENKUlT_T0_E_clISt17integral_constantIbLb1EES1A_EEDaS15_S16_EUlS15_E_NS1_11comp_targetILNS1_3genE10ELNS1_11target_archE1200ELNS1_3gpuE4ELNS1_3repE0EEENS1_30default_config_static_selectorELNS0_4arch9wavefront6targetE0EEEvT1_.uses_flat_scratch, 0
	.set _ZN7rocprim17ROCPRIM_400000_NS6detail17trampoline_kernelINS0_14default_configENS1_25partition_config_selectorILNS1_17partition_subalgoE9EllbEEZZNS1_14partition_implILS5_9ELb0ES3_jPlS8_PNS0_10empty_typeENS0_5tupleIJS8_S9_EEENSB_IJS8_SA_EEENS0_18inequality_wrapperIZN2at6native12_GLOBAL__N_124unique_dim_cuda_templateImEESt5tupleIJNSF_6TensorESK_SK_EERKSK_lbbbEUlllE0_EEPmJS9_EEE10hipError_tPvRmT3_T4_T5_T6_T7_T9_mT8_P12ihipStream_tbDpT10_ENKUlT_T0_E_clISt17integral_constantIbLb1EES1A_EEDaS15_S16_EUlS15_E_NS1_11comp_targetILNS1_3genE10ELNS1_11target_archE1200ELNS1_3gpuE4ELNS1_3repE0EEENS1_30default_config_static_selectorELNS0_4arch9wavefront6targetE0EEEvT1_.has_dyn_sized_stack, 0
	.set _ZN7rocprim17ROCPRIM_400000_NS6detail17trampoline_kernelINS0_14default_configENS1_25partition_config_selectorILNS1_17partition_subalgoE9EllbEEZZNS1_14partition_implILS5_9ELb0ES3_jPlS8_PNS0_10empty_typeENS0_5tupleIJS8_S9_EEENSB_IJS8_SA_EEENS0_18inequality_wrapperIZN2at6native12_GLOBAL__N_124unique_dim_cuda_templateImEESt5tupleIJNSF_6TensorESK_SK_EERKSK_lbbbEUlllE0_EEPmJS9_EEE10hipError_tPvRmT3_T4_T5_T6_T7_T9_mT8_P12ihipStream_tbDpT10_ENKUlT_T0_E_clISt17integral_constantIbLb1EES1A_EEDaS15_S16_EUlS15_E_NS1_11comp_targetILNS1_3genE10ELNS1_11target_archE1200ELNS1_3gpuE4ELNS1_3repE0EEENS1_30default_config_static_selectorELNS0_4arch9wavefront6targetE0EEEvT1_.has_recursion, 0
	.set _ZN7rocprim17ROCPRIM_400000_NS6detail17trampoline_kernelINS0_14default_configENS1_25partition_config_selectorILNS1_17partition_subalgoE9EllbEEZZNS1_14partition_implILS5_9ELb0ES3_jPlS8_PNS0_10empty_typeENS0_5tupleIJS8_S9_EEENSB_IJS8_SA_EEENS0_18inequality_wrapperIZN2at6native12_GLOBAL__N_124unique_dim_cuda_templateImEESt5tupleIJNSF_6TensorESK_SK_EERKSK_lbbbEUlllE0_EEPmJS9_EEE10hipError_tPvRmT3_T4_T5_T6_T7_T9_mT8_P12ihipStream_tbDpT10_ENKUlT_T0_E_clISt17integral_constantIbLb1EES1A_EEDaS15_S16_EUlS15_E_NS1_11comp_targetILNS1_3genE10ELNS1_11target_archE1200ELNS1_3gpuE4ELNS1_3repE0EEENS1_30default_config_static_selectorELNS0_4arch9wavefront6targetE0EEEvT1_.has_indirect_call, 0
	.section	.AMDGPU.csdata,"",@progbits
; Kernel info:
; codeLenInByte = 0
; TotalNumSgprs: 0
; NumVgprs: 0
; ScratchSize: 0
; MemoryBound: 0
; FloatMode: 240
; IeeeMode: 1
; LDSByteSize: 0 bytes/workgroup (compile time only)
; SGPRBlocks: 0
; VGPRBlocks: 0
; NumSGPRsForWavesPerEU: 1
; NumVGPRsForWavesPerEU: 1
; NamedBarCnt: 0
; Occupancy: 16
; WaveLimiterHint : 0
; COMPUTE_PGM_RSRC2:SCRATCH_EN: 0
; COMPUTE_PGM_RSRC2:USER_SGPR: 2
; COMPUTE_PGM_RSRC2:TRAP_HANDLER: 0
; COMPUTE_PGM_RSRC2:TGID_X_EN: 1
; COMPUTE_PGM_RSRC2:TGID_Y_EN: 0
; COMPUTE_PGM_RSRC2:TGID_Z_EN: 0
; COMPUTE_PGM_RSRC2:TIDIG_COMP_CNT: 0
	.section	.text._ZN7rocprim17ROCPRIM_400000_NS6detail17trampoline_kernelINS0_14default_configENS1_25partition_config_selectorILNS1_17partition_subalgoE9EllbEEZZNS1_14partition_implILS5_9ELb0ES3_jPlS8_PNS0_10empty_typeENS0_5tupleIJS8_S9_EEENSB_IJS8_SA_EEENS0_18inequality_wrapperIZN2at6native12_GLOBAL__N_124unique_dim_cuda_templateImEESt5tupleIJNSF_6TensorESK_SK_EERKSK_lbbbEUlllE0_EEPmJS9_EEE10hipError_tPvRmT3_T4_T5_T6_T7_T9_mT8_P12ihipStream_tbDpT10_ENKUlT_T0_E_clISt17integral_constantIbLb1EES1A_EEDaS15_S16_EUlS15_E_NS1_11comp_targetILNS1_3genE9ELNS1_11target_archE1100ELNS1_3gpuE3ELNS1_3repE0EEENS1_30default_config_static_selectorELNS0_4arch9wavefront6targetE0EEEvT1_,"axG",@progbits,_ZN7rocprim17ROCPRIM_400000_NS6detail17trampoline_kernelINS0_14default_configENS1_25partition_config_selectorILNS1_17partition_subalgoE9EllbEEZZNS1_14partition_implILS5_9ELb0ES3_jPlS8_PNS0_10empty_typeENS0_5tupleIJS8_S9_EEENSB_IJS8_SA_EEENS0_18inequality_wrapperIZN2at6native12_GLOBAL__N_124unique_dim_cuda_templateImEESt5tupleIJNSF_6TensorESK_SK_EERKSK_lbbbEUlllE0_EEPmJS9_EEE10hipError_tPvRmT3_T4_T5_T6_T7_T9_mT8_P12ihipStream_tbDpT10_ENKUlT_T0_E_clISt17integral_constantIbLb1EES1A_EEDaS15_S16_EUlS15_E_NS1_11comp_targetILNS1_3genE9ELNS1_11target_archE1100ELNS1_3gpuE3ELNS1_3repE0EEENS1_30default_config_static_selectorELNS0_4arch9wavefront6targetE0EEEvT1_,comdat
	.globl	_ZN7rocprim17ROCPRIM_400000_NS6detail17trampoline_kernelINS0_14default_configENS1_25partition_config_selectorILNS1_17partition_subalgoE9EllbEEZZNS1_14partition_implILS5_9ELb0ES3_jPlS8_PNS0_10empty_typeENS0_5tupleIJS8_S9_EEENSB_IJS8_SA_EEENS0_18inequality_wrapperIZN2at6native12_GLOBAL__N_124unique_dim_cuda_templateImEESt5tupleIJNSF_6TensorESK_SK_EERKSK_lbbbEUlllE0_EEPmJS9_EEE10hipError_tPvRmT3_T4_T5_T6_T7_T9_mT8_P12ihipStream_tbDpT10_ENKUlT_T0_E_clISt17integral_constantIbLb1EES1A_EEDaS15_S16_EUlS15_E_NS1_11comp_targetILNS1_3genE9ELNS1_11target_archE1100ELNS1_3gpuE3ELNS1_3repE0EEENS1_30default_config_static_selectorELNS0_4arch9wavefront6targetE0EEEvT1_ ; -- Begin function _ZN7rocprim17ROCPRIM_400000_NS6detail17trampoline_kernelINS0_14default_configENS1_25partition_config_selectorILNS1_17partition_subalgoE9EllbEEZZNS1_14partition_implILS5_9ELb0ES3_jPlS8_PNS0_10empty_typeENS0_5tupleIJS8_S9_EEENSB_IJS8_SA_EEENS0_18inequality_wrapperIZN2at6native12_GLOBAL__N_124unique_dim_cuda_templateImEESt5tupleIJNSF_6TensorESK_SK_EERKSK_lbbbEUlllE0_EEPmJS9_EEE10hipError_tPvRmT3_T4_T5_T6_T7_T9_mT8_P12ihipStream_tbDpT10_ENKUlT_T0_E_clISt17integral_constantIbLb1EES1A_EEDaS15_S16_EUlS15_E_NS1_11comp_targetILNS1_3genE9ELNS1_11target_archE1100ELNS1_3gpuE3ELNS1_3repE0EEENS1_30default_config_static_selectorELNS0_4arch9wavefront6targetE0EEEvT1_
	.p2align	8
	.type	_ZN7rocprim17ROCPRIM_400000_NS6detail17trampoline_kernelINS0_14default_configENS1_25partition_config_selectorILNS1_17partition_subalgoE9EllbEEZZNS1_14partition_implILS5_9ELb0ES3_jPlS8_PNS0_10empty_typeENS0_5tupleIJS8_S9_EEENSB_IJS8_SA_EEENS0_18inequality_wrapperIZN2at6native12_GLOBAL__N_124unique_dim_cuda_templateImEESt5tupleIJNSF_6TensorESK_SK_EERKSK_lbbbEUlllE0_EEPmJS9_EEE10hipError_tPvRmT3_T4_T5_T6_T7_T9_mT8_P12ihipStream_tbDpT10_ENKUlT_T0_E_clISt17integral_constantIbLb1EES1A_EEDaS15_S16_EUlS15_E_NS1_11comp_targetILNS1_3genE9ELNS1_11target_archE1100ELNS1_3gpuE3ELNS1_3repE0EEENS1_30default_config_static_selectorELNS0_4arch9wavefront6targetE0EEEvT1_,@function
_ZN7rocprim17ROCPRIM_400000_NS6detail17trampoline_kernelINS0_14default_configENS1_25partition_config_selectorILNS1_17partition_subalgoE9EllbEEZZNS1_14partition_implILS5_9ELb0ES3_jPlS8_PNS0_10empty_typeENS0_5tupleIJS8_S9_EEENSB_IJS8_SA_EEENS0_18inequality_wrapperIZN2at6native12_GLOBAL__N_124unique_dim_cuda_templateImEESt5tupleIJNSF_6TensorESK_SK_EERKSK_lbbbEUlllE0_EEPmJS9_EEE10hipError_tPvRmT3_T4_T5_T6_T7_T9_mT8_P12ihipStream_tbDpT10_ENKUlT_T0_E_clISt17integral_constantIbLb1EES1A_EEDaS15_S16_EUlS15_E_NS1_11comp_targetILNS1_3genE9ELNS1_11target_archE1100ELNS1_3gpuE3ELNS1_3repE0EEENS1_30default_config_static_selectorELNS0_4arch9wavefront6targetE0EEEvT1_: ; @_ZN7rocprim17ROCPRIM_400000_NS6detail17trampoline_kernelINS0_14default_configENS1_25partition_config_selectorILNS1_17partition_subalgoE9EllbEEZZNS1_14partition_implILS5_9ELb0ES3_jPlS8_PNS0_10empty_typeENS0_5tupleIJS8_S9_EEENSB_IJS8_SA_EEENS0_18inequality_wrapperIZN2at6native12_GLOBAL__N_124unique_dim_cuda_templateImEESt5tupleIJNSF_6TensorESK_SK_EERKSK_lbbbEUlllE0_EEPmJS9_EEE10hipError_tPvRmT3_T4_T5_T6_T7_T9_mT8_P12ihipStream_tbDpT10_ENKUlT_T0_E_clISt17integral_constantIbLb1EES1A_EEDaS15_S16_EUlS15_E_NS1_11comp_targetILNS1_3genE9ELNS1_11target_archE1100ELNS1_3gpuE3ELNS1_3repE0EEENS1_30default_config_static_selectorELNS0_4arch9wavefront6targetE0EEEvT1_
; %bb.0:
	.section	.rodata,"a",@progbits
	.p2align	6, 0x0
	.amdhsa_kernel _ZN7rocprim17ROCPRIM_400000_NS6detail17trampoline_kernelINS0_14default_configENS1_25partition_config_selectorILNS1_17partition_subalgoE9EllbEEZZNS1_14partition_implILS5_9ELb0ES3_jPlS8_PNS0_10empty_typeENS0_5tupleIJS8_S9_EEENSB_IJS8_SA_EEENS0_18inequality_wrapperIZN2at6native12_GLOBAL__N_124unique_dim_cuda_templateImEESt5tupleIJNSF_6TensorESK_SK_EERKSK_lbbbEUlllE0_EEPmJS9_EEE10hipError_tPvRmT3_T4_T5_T6_T7_T9_mT8_P12ihipStream_tbDpT10_ENKUlT_T0_E_clISt17integral_constantIbLb1EES1A_EEDaS15_S16_EUlS15_E_NS1_11comp_targetILNS1_3genE9ELNS1_11target_archE1100ELNS1_3gpuE3ELNS1_3repE0EEENS1_30default_config_static_selectorELNS0_4arch9wavefront6targetE0EEEvT1_
		.amdhsa_group_segment_fixed_size 0
		.amdhsa_private_segment_fixed_size 0
		.amdhsa_kernarg_size 136
		.amdhsa_user_sgpr_count 2
		.amdhsa_user_sgpr_dispatch_ptr 0
		.amdhsa_user_sgpr_queue_ptr 0
		.amdhsa_user_sgpr_kernarg_segment_ptr 1
		.amdhsa_user_sgpr_dispatch_id 0
		.amdhsa_user_sgpr_kernarg_preload_length 0
		.amdhsa_user_sgpr_kernarg_preload_offset 0
		.amdhsa_user_sgpr_private_segment_size 0
		.amdhsa_wavefront_size32 1
		.amdhsa_uses_dynamic_stack 0
		.amdhsa_enable_private_segment 0
		.amdhsa_system_sgpr_workgroup_id_x 1
		.amdhsa_system_sgpr_workgroup_id_y 0
		.amdhsa_system_sgpr_workgroup_id_z 0
		.amdhsa_system_sgpr_workgroup_info 0
		.amdhsa_system_vgpr_workitem_id 0
		.amdhsa_next_free_vgpr 1
		.amdhsa_next_free_sgpr 1
		.amdhsa_named_barrier_count 0
		.amdhsa_reserve_vcc 0
		.amdhsa_float_round_mode_32 0
		.amdhsa_float_round_mode_16_64 0
		.amdhsa_float_denorm_mode_32 3
		.amdhsa_float_denorm_mode_16_64 3
		.amdhsa_fp16_overflow 0
		.amdhsa_memory_ordered 1
		.amdhsa_forward_progress 1
		.amdhsa_inst_pref_size 0
		.amdhsa_round_robin_scheduling 0
		.amdhsa_exception_fp_ieee_invalid_op 0
		.amdhsa_exception_fp_denorm_src 0
		.amdhsa_exception_fp_ieee_div_zero 0
		.amdhsa_exception_fp_ieee_overflow 0
		.amdhsa_exception_fp_ieee_underflow 0
		.amdhsa_exception_fp_ieee_inexact 0
		.amdhsa_exception_int_div_zero 0
	.end_amdhsa_kernel
	.section	.text._ZN7rocprim17ROCPRIM_400000_NS6detail17trampoline_kernelINS0_14default_configENS1_25partition_config_selectorILNS1_17partition_subalgoE9EllbEEZZNS1_14partition_implILS5_9ELb0ES3_jPlS8_PNS0_10empty_typeENS0_5tupleIJS8_S9_EEENSB_IJS8_SA_EEENS0_18inequality_wrapperIZN2at6native12_GLOBAL__N_124unique_dim_cuda_templateImEESt5tupleIJNSF_6TensorESK_SK_EERKSK_lbbbEUlllE0_EEPmJS9_EEE10hipError_tPvRmT3_T4_T5_T6_T7_T9_mT8_P12ihipStream_tbDpT10_ENKUlT_T0_E_clISt17integral_constantIbLb1EES1A_EEDaS15_S16_EUlS15_E_NS1_11comp_targetILNS1_3genE9ELNS1_11target_archE1100ELNS1_3gpuE3ELNS1_3repE0EEENS1_30default_config_static_selectorELNS0_4arch9wavefront6targetE0EEEvT1_,"axG",@progbits,_ZN7rocprim17ROCPRIM_400000_NS6detail17trampoline_kernelINS0_14default_configENS1_25partition_config_selectorILNS1_17partition_subalgoE9EllbEEZZNS1_14partition_implILS5_9ELb0ES3_jPlS8_PNS0_10empty_typeENS0_5tupleIJS8_S9_EEENSB_IJS8_SA_EEENS0_18inequality_wrapperIZN2at6native12_GLOBAL__N_124unique_dim_cuda_templateImEESt5tupleIJNSF_6TensorESK_SK_EERKSK_lbbbEUlllE0_EEPmJS9_EEE10hipError_tPvRmT3_T4_T5_T6_T7_T9_mT8_P12ihipStream_tbDpT10_ENKUlT_T0_E_clISt17integral_constantIbLb1EES1A_EEDaS15_S16_EUlS15_E_NS1_11comp_targetILNS1_3genE9ELNS1_11target_archE1100ELNS1_3gpuE3ELNS1_3repE0EEENS1_30default_config_static_selectorELNS0_4arch9wavefront6targetE0EEEvT1_,comdat
.Lfunc_end1709:
	.size	_ZN7rocprim17ROCPRIM_400000_NS6detail17trampoline_kernelINS0_14default_configENS1_25partition_config_selectorILNS1_17partition_subalgoE9EllbEEZZNS1_14partition_implILS5_9ELb0ES3_jPlS8_PNS0_10empty_typeENS0_5tupleIJS8_S9_EEENSB_IJS8_SA_EEENS0_18inequality_wrapperIZN2at6native12_GLOBAL__N_124unique_dim_cuda_templateImEESt5tupleIJNSF_6TensorESK_SK_EERKSK_lbbbEUlllE0_EEPmJS9_EEE10hipError_tPvRmT3_T4_T5_T6_T7_T9_mT8_P12ihipStream_tbDpT10_ENKUlT_T0_E_clISt17integral_constantIbLb1EES1A_EEDaS15_S16_EUlS15_E_NS1_11comp_targetILNS1_3genE9ELNS1_11target_archE1100ELNS1_3gpuE3ELNS1_3repE0EEENS1_30default_config_static_selectorELNS0_4arch9wavefront6targetE0EEEvT1_, .Lfunc_end1709-_ZN7rocprim17ROCPRIM_400000_NS6detail17trampoline_kernelINS0_14default_configENS1_25partition_config_selectorILNS1_17partition_subalgoE9EllbEEZZNS1_14partition_implILS5_9ELb0ES3_jPlS8_PNS0_10empty_typeENS0_5tupleIJS8_S9_EEENSB_IJS8_SA_EEENS0_18inequality_wrapperIZN2at6native12_GLOBAL__N_124unique_dim_cuda_templateImEESt5tupleIJNSF_6TensorESK_SK_EERKSK_lbbbEUlllE0_EEPmJS9_EEE10hipError_tPvRmT3_T4_T5_T6_T7_T9_mT8_P12ihipStream_tbDpT10_ENKUlT_T0_E_clISt17integral_constantIbLb1EES1A_EEDaS15_S16_EUlS15_E_NS1_11comp_targetILNS1_3genE9ELNS1_11target_archE1100ELNS1_3gpuE3ELNS1_3repE0EEENS1_30default_config_static_selectorELNS0_4arch9wavefront6targetE0EEEvT1_
                                        ; -- End function
	.set _ZN7rocprim17ROCPRIM_400000_NS6detail17trampoline_kernelINS0_14default_configENS1_25partition_config_selectorILNS1_17partition_subalgoE9EllbEEZZNS1_14partition_implILS5_9ELb0ES3_jPlS8_PNS0_10empty_typeENS0_5tupleIJS8_S9_EEENSB_IJS8_SA_EEENS0_18inequality_wrapperIZN2at6native12_GLOBAL__N_124unique_dim_cuda_templateImEESt5tupleIJNSF_6TensorESK_SK_EERKSK_lbbbEUlllE0_EEPmJS9_EEE10hipError_tPvRmT3_T4_T5_T6_T7_T9_mT8_P12ihipStream_tbDpT10_ENKUlT_T0_E_clISt17integral_constantIbLb1EES1A_EEDaS15_S16_EUlS15_E_NS1_11comp_targetILNS1_3genE9ELNS1_11target_archE1100ELNS1_3gpuE3ELNS1_3repE0EEENS1_30default_config_static_selectorELNS0_4arch9wavefront6targetE0EEEvT1_.num_vgpr, 0
	.set _ZN7rocprim17ROCPRIM_400000_NS6detail17trampoline_kernelINS0_14default_configENS1_25partition_config_selectorILNS1_17partition_subalgoE9EllbEEZZNS1_14partition_implILS5_9ELb0ES3_jPlS8_PNS0_10empty_typeENS0_5tupleIJS8_S9_EEENSB_IJS8_SA_EEENS0_18inequality_wrapperIZN2at6native12_GLOBAL__N_124unique_dim_cuda_templateImEESt5tupleIJNSF_6TensorESK_SK_EERKSK_lbbbEUlllE0_EEPmJS9_EEE10hipError_tPvRmT3_T4_T5_T6_T7_T9_mT8_P12ihipStream_tbDpT10_ENKUlT_T0_E_clISt17integral_constantIbLb1EES1A_EEDaS15_S16_EUlS15_E_NS1_11comp_targetILNS1_3genE9ELNS1_11target_archE1100ELNS1_3gpuE3ELNS1_3repE0EEENS1_30default_config_static_selectorELNS0_4arch9wavefront6targetE0EEEvT1_.num_agpr, 0
	.set _ZN7rocprim17ROCPRIM_400000_NS6detail17trampoline_kernelINS0_14default_configENS1_25partition_config_selectorILNS1_17partition_subalgoE9EllbEEZZNS1_14partition_implILS5_9ELb0ES3_jPlS8_PNS0_10empty_typeENS0_5tupleIJS8_S9_EEENSB_IJS8_SA_EEENS0_18inequality_wrapperIZN2at6native12_GLOBAL__N_124unique_dim_cuda_templateImEESt5tupleIJNSF_6TensorESK_SK_EERKSK_lbbbEUlllE0_EEPmJS9_EEE10hipError_tPvRmT3_T4_T5_T6_T7_T9_mT8_P12ihipStream_tbDpT10_ENKUlT_T0_E_clISt17integral_constantIbLb1EES1A_EEDaS15_S16_EUlS15_E_NS1_11comp_targetILNS1_3genE9ELNS1_11target_archE1100ELNS1_3gpuE3ELNS1_3repE0EEENS1_30default_config_static_selectorELNS0_4arch9wavefront6targetE0EEEvT1_.numbered_sgpr, 0
	.set _ZN7rocprim17ROCPRIM_400000_NS6detail17trampoline_kernelINS0_14default_configENS1_25partition_config_selectorILNS1_17partition_subalgoE9EllbEEZZNS1_14partition_implILS5_9ELb0ES3_jPlS8_PNS0_10empty_typeENS0_5tupleIJS8_S9_EEENSB_IJS8_SA_EEENS0_18inequality_wrapperIZN2at6native12_GLOBAL__N_124unique_dim_cuda_templateImEESt5tupleIJNSF_6TensorESK_SK_EERKSK_lbbbEUlllE0_EEPmJS9_EEE10hipError_tPvRmT3_T4_T5_T6_T7_T9_mT8_P12ihipStream_tbDpT10_ENKUlT_T0_E_clISt17integral_constantIbLb1EES1A_EEDaS15_S16_EUlS15_E_NS1_11comp_targetILNS1_3genE9ELNS1_11target_archE1100ELNS1_3gpuE3ELNS1_3repE0EEENS1_30default_config_static_selectorELNS0_4arch9wavefront6targetE0EEEvT1_.num_named_barrier, 0
	.set _ZN7rocprim17ROCPRIM_400000_NS6detail17trampoline_kernelINS0_14default_configENS1_25partition_config_selectorILNS1_17partition_subalgoE9EllbEEZZNS1_14partition_implILS5_9ELb0ES3_jPlS8_PNS0_10empty_typeENS0_5tupleIJS8_S9_EEENSB_IJS8_SA_EEENS0_18inequality_wrapperIZN2at6native12_GLOBAL__N_124unique_dim_cuda_templateImEESt5tupleIJNSF_6TensorESK_SK_EERKSK_lbbbEUlllE0_EEPmJS9_EEE10hipError_tPvRmT3_T4_T5_T6_T7_T9_mT8_P12ihipStream_tbDpT10_ENKUlT_T0_E_clISt17integral_constantIbLb1EES1A_EEDaS15_S16_EUlS15_E_NS1_11comp_targetILNS1_3genE9ELNS1_11target_archE1100ELNS1_3gpuE3ELNS1_3repE0EEENS1_30default_config_static_selectorELNS0_4arch9wavefront6targetE0EEEvT1_.private_seg_size, 0
	.set _ZN7rocprim17ROCPRIM_400000_NS6detail17trampoline_kernelINS0_14default_configENS1_25partition_config_selectorILNS1_17partition_subalgoE9EllbEEZZNS1_14partition_implILS5_9ELb0ES3_jPlS8_PNS0_10empty_typeENS0_5tupleIJS8_S9_EEENSB_IJS8_SA_EEENS0_18inequality_wrapperIZN2at6native12_GLOBAL__N_124unique_dim_cuda_templateImEESt5tupleIJNSF_6TensorESK_SK_EERKSK_lbbbEUlllE0_EEPmJS9_EEE10hipError_tPvRmT3_T4_T5_T6_T7_T9_mT8_P12ihipStream_tbDpT10_ENKUlT_T0_E_clISt17integral_constantIbLb1EES1A_EEDaS15_S16_EUlS15_E_NS1_11comp_targetILNS1_3genE9ELNS1_11target_archE1100ELNS1_3gpuE3ELNS1_3repE0EEENS1_30default_config_static_selectorELNS0_4arch9wavefront6targetE0EEEvT1_.uses_vcc, 0
	.set _ZN7rocprim17ROCPRIM_400000_NS6detail17trampoline_kernelINS0_14default_configENS1_25partition_config_selectorILNS1_17partition_subalgoE9EllbEEZZNS1_14partition_implILS5_9ELb0ES3_jPlS8_PNS0_10empty_typeENS0_5tupleIJS8_S9_EEENSB_IJS8_SA_EEENS0_18inequality_wrapperIZN2at6native12_GLOBAL__N_124unique_dim_cuda_templateImEESt5tupleIJNSF_6TensorESK_SK_EERKSK_lbbbEUlllE0_EEPmJS9_EEE10hipError_tPvRmT3_T4_T5_T6_T7_T9_mT8_P12ihipStream_tbDpT10_ENKUlT_T0_E_clISt17integral_constantIbLb1EES1A_EEDaS15_S16_EUlS15_E_NS1_11comp_targetILNS1_3genE9ELNS1_11target_archE1100ELNS1_3gpuE3ELNS1_3repE0EEENS1_30default_config_static_selectorELNS0_4arch9wavefront6targetE0EEEvT1_.uses_flat_scratch, 0
	.set _ZN7rocprim17ROCPRIM_400000_NS6detail17trampoline_kernelINS0_14default_configENS1_25partition_config_selectorILNS1_17partition_subalgoE9EllbEEZZNS1_14partition_implILS5_9ELb0ES3_jPlS8_PNS0_10empty_typeENS0_5tupleIJS8_S9_EEENSB_IJS8_SA_EEENS0_18inequality_wrapperIZN2at6native12_GLOBAL__N_124unique_dim_cuda_templateImEESt5tupleIJNSF_6TensorESK_SK_EERKSK_lbbbEUlllE0_EEPmJS9_EEE10hipError_tPvRmT3_T4_T5_T6_T7_T9_mT8_P12ihipStream_tbDpT10_ENKUlT_T0_E_clISt17integral_constantIbLb1EES1A_EEDaS15_S16_EUlS15_E_NS1_11comp_targetILNS1_3genE9ELNS1_11target_archE1100ELNS1_3gpuE3ELNS1_3repE0EEENS1_30default_config_static_selectorELNS0_4arch9wavefront6targetE0EEEvT1_.has_dyn_sized_stack, 0
	.set _ZN7rocprim17ROCPRIM_400000_NS6detail17trampoline_kernelINS0_14default_configENS1_25partition_config_selectorILNS1_17partition_subalgoE9EllbEEZZNS1_14partition_implILS5_9ELb0ES3_jPlS8_PNS0_10empty_typeENS0_5tupleIJS8_S9_EEENSB_IJS8_SA_EEENS0_18inequality_wrapperIZN2at6native12_GLOBAL__N_124unique_dim_cuda_templateImEESt5tupleIJNSF_6TensorESK_SK_EERKSK_lbbbEUlllE0_EEPmJS9_EEE10hipError_tPvRmT3_T4_T5_T6_T7_T9_mT8_P12ihipStream_tbDpT10_ENKUlT_T0_E_clISt17integral_constantIbLb1EES1A_EEDaS15_S16_EUlS15_E_NS1_11comp_targetILNS1_3genE9ELNS1_11target_archE1100ELNS1_3gpuE3ELNS1_3repE0EEENS1_30default_config_static_selectorELNS0_4arch9wavefront6targetE0EEEvT1_.has_recursion, 0
	.set _ZN7rocprim17ROCPRIM_400000_NS6detail17trampoline_kernelINS0_14default_configENS1_25partition_config_selectorILNS1_17partition_subalgoE9EllbEEZZNS1_14partition_implILS5_9ELb0ES3_jPlS8_PNS0_10empty_typeENS0_5tupleIJS8_S9_EEENSB_IJS8_SA_EEENS0_18inequality_wrapperIZN2at6native12_GLOBAL__N_124unique_dim_cuda_templateImEESt5tupleIJNSF_6TensorESK_SK_EERKSK_lbbbEUlllE0_EEPmJS9_EEE10hipError_tPvRmT3_T4_T5_T6_T7_T9_mT8_P12ihipStream_tbDpT10_ENKUlT_T0_E_clISt17integral_constantIbLb1EES1A_EEDaS15_S16_EUlS15_E_NS1_11comp_targetILNS1_3genE9ELNS1_11target_archE1100ELNS1_3gpuE3ELNS1_3repE0EEENS1_30default_config_static_selectorELNS0_4arch9wavefront6targetE0EEEvT1_.has_indirect_call, 0
	.section	.AMDGPU.csdata,"",@progbits
; Kernel info:
; codeLenInByte = 0
; TotalNumSgprs: 0
; NumVgprs: 0
; ScratchSize: 0
; MemoryBound: 0
; FloatMode: 240
; IeeeMode: 1
; LDSByteSize: 0 bytes/workgroup (compile time only)
; SGPRBlocks: 0
; VGPRBlocks: 0
; NumSGPRsForWavesPerEU: 1
; NumVGPRsForWavesPerEU: 1
; NamedBarCnt: 0
; Occupancy: 16
; WaveLimiterHint : 0
; COMPUTE_PGM_RSRC2:SCRATCH_EN: 0
; COMPUTE_PGM_RSRC2:USER_SGPR: 2
; COMPUTE_PGM_RSRC2:TRAP_HANDLER: 0
; COMPUTE_PGM_RSRC2:TGID_X_EN: 1
; COMPUTE_PGM_RSRC2:TGID_Y_EN: 0
; COMPUTE_PGM_RSRC2:TGID_Z_EN: 0
; COMPUTE_PGM_RSRC2:TIDIG_COMP_CNT: 0
	.section	.text._ZN7rocprim17ROCPRIM_400000_NS6detail17trampoline_kernelINS0_14default_configENS1_25partition_config_selectorILNS1_17partition_subalgoE9EllbEEZZNS1_14partition_implILS5_9ELb0ES3_jPlS8_PNS0_10empty_typeENS0_5tupleIJS8_S9_EEENSB_IJS8_SA_EEENS0_18inequality_wrapperIZN2at6native12_GLOBAL__N_124unique_dim_cuda_templateImEESt5tupleIJNSF_6TensorESK_SK_EERKSK_lbbbEUlllE0_EEPmJS9_EEE10hipError_tPvRmT3_T4_T5_T6_T7_T9_mT8_P12ihipStream_tbDpT10_ENKUlT_T0_E_clISt17integral_constantIbLb1EES1A_EEDaS15_S16_EUlS15_E_NS1_11comp_targetILNS1_3genE8ELNS1_11target_archE1030ELNS1_3gpuE2ELNS1_3repE0EEENS1_30default_config_static_selectorELNS0_4arch9wavefront6targetE0EEEvT1_,"axG",@progbits,_ZN7rocprim17ROCPRIM_400000_NS6detail17trampoline_kernelINS0_14default_configENS1_25partition_config_selectorILNS1_17partition_subalgoE9EllbEEZZNS1_14partition_implILS5_9ELb0ES3_jPlS8_PNS0_10empty_typeENS0_5tupleIJS8_S9_EEENSB_IJS8_SA_EEENS0_18inequality_wrapperIZN2at6native12_GLOBAL__N_124unique_dim_cuda_templateImEESt5tupleIJNSF_6TensorESK_SK_EERKSK_lbbbEUlllE0_EEPmJS9_EEE10hipError_tPvRmT3_T4_T5_T6_T7_T9_mT8_P12ihipStream_tbDpT10_ENKUlT_T0_E_clISt17integral_constantIbLb1EES1A_EEDaS15_S16_EUlS15_E_NS1_11comp_targetILNS1_3genE8ELNS1_11target_archE1030ELNS1_3gpuE2ELNS1_3repE0EEENS1_30default_config_static_selectorELNS0_4arch9wavefront6targetE0EEEvT1_,comdat
	.globl	_ZN7rocprim17ROCPRIM_400000_NS6detail17trampoline_kernelINS0_14default_configENS1_25partition_config_selectorILNS1_17partition_subalgoE9EllbEEZZNS1_14partition_implILS5_9ELb0ES3_jPlS8_PNS0_10empty_typeENS0_5tupleIJS8_S9_EEENSB_IJS8_SA_EEENS0_18inequality_wrapperIZN2at6native12_GLOBAL__N_124unique_dim_cuda_templateImEESt5tupleIJNSF_6TensorESK_SK_EERKSK_lbbbEUlllE0_EEPmJS9_EEE10hipError_tPvRmT3_T4_T5_T6_T7_T9_mT8_P12ihipStream_tbDpT10_ENKUlT_T0_E_clISt17integral_constantIbLb1EES1A_EEDaS15_S16_EUlS15_E_NS1_11comp_targetILNS1_3genE8ELNS1_11target_archE1030ELNS1_3gpuE2ELNS1_3repE0EEENS1_30default_config_static_selectorELNS0_4arch9wavefront6targetE0EEEvT1_ ; -- Begin function _ZN7rocprim17ROCPRIM_400000_NS6detail17trampoline_kernelINS0_14default_configENS1_25partition_config_selectorILNS1_17partition_subalgoE9EllbEEZZNS1_14partition_implILS5_9ELb0ES3_jPlS8_PNS0_10empty_typeENS0_5tupleIJS8_S9_EEENSB_IJS8_SA_EEENS0_18inequality_wrapperIZN2at6native12_GLOBAL__N_124unique_dim_cuda_templateImEESt5tupleIJNSF_6TensorESK_SK_EERKSK_lbbbEUlllE0_EEPmJS9_EEE10hipError_tPvRmT3_T4_T5_T6_T7_T9_mT8_P12ihipStream_tbDpT10_ENKUlT_T0_E_clISt17integral_constantIbLb1EES1A_EEDaS15_S16_EUlS15_E_NS1_11comp_targetILNS1_3genE8ELNS1_11target_archE1030ELNS1_3gpuE2ELNS1_3repE0EEENS1_30default_config_static_selectorELNS0_4arch9wavefront6targetE0EEEvT1_
	.p2align	8
	.type	_ZN7rocprim17ROCPRIM_400000_NS6detail17trampoline_kernelINS0_14default_configENS1_25partition_config_selectorILNS1_17partition_subalgoE9EllbEEZZNS1_14partition_implILS5_9ELb0ES3_jPlS8_PNS0_10empty_typeENS0_5tupleIJS8_S9_EEENSB_IJS8_SA_EEENS0_18inequality_wrapperIZN2at6native12_GLOBAL__N_124unique_dim_cuda_templateImEESt5tupleIJNSF_6TensorESK_SK_EERKSK_lbbbEUlllE0_EEPmJS9_EEE10hipError_tPvRmT3_T4_T5_T6_T7_T9_mT8_P12ihipStream_tbDpT10_ENKUlT_T0_E_clISt17integral_constantIbLb1EES1A_EEDaS15_S16_EUlS15_E_NS1_11comp_targetILNS1_3genE8ELNS1_11target_archE1030ELNS1_3gpuE2ELNS1_3repE0EEENS1_30default_config_static_selectorELNS0_4arch9wavefront6targetE0EEEvT1_,@function
_ZN7rocprim17ROCPRIM_400000_NS6detail17trampoline_kernelINS0_14default_configENS1_25partition_config_selectorILNS1_17partition_subalgoE9EllbEEZZNS1_14partition_implILS5_9ELb0ES3_jPlS8_PNS0_10empty_typeENS0_5tupleIJS8_S9_EEENSB_IJS8_SA_EEENS0_18inequality_wrapperIZN2at6native12_GLOBAL__N_124unique_dim_cuda_templateImEESt5tupleIJNSF_6TensorESK_SK_EERKSK_lbbbEUlllE0_EEPmJS9_EEE10hipError_tPvRmT3_T4_T5_T6_T7_T9_mT8_P12ihipStream_tbDpT10_ENKUlT_T0_E_clISt17integral_constantIbLb1EES1A_EEDaS15_S16_EUlS15_E_NS1_11comp_targetILNS1_3genE8ELNS1_11target_archE1030ELNS1_3gpuE2ELNS1_3repE0EEENS1_30default_config_static_selectorELNS0_4arch9wavefront6targetE0EEEvT1_: ; @_ZN7rocprim17ROCPRIM_400000_NS6detail17trampoline_kernelINS0_14default_configENS1_25partition_config_selectorILNS1_17partition_subalgoE9EllbEEZZNS1_14partition_implILS5_9ELb0ES3_jPlS8_PNS0_10empty_typeENS0_5tupleIJS8_S9_EEENSB_IJS8_SA_EEENS0_18inequality_wrapperIZN2at6native12_GLOBAL__N_124unique_dim_cuda_templateImEESt5tupleIJNSF_6TensorESK_SK_EERKSK_lbbbEUlllE0_EEPmJS9_EEE10hipError_tPvRmT3_T4_T5_T6_T7_T9_mT8_P12ihipStream_tbDpT10_ENKUlT_T0_E_clISt17integral_constantIbLb1EES1A_EEDaS15_S16_EUlS15_E_NS1_11comp_targetILNS1_3genE8ELNS1_11target_archE1030ELNS1_3gpuE2ELNS1_3repE0EEENS1_30default_config_static_selectorELNS0_4arch9wavefront6targetE0EEEvT1_
; %bb.0:
	.section	.rodata,"a",@progbits
	.p2align	6, 0x0
	.amdhsa_kernel _ZN7rocprim17ROCPRIM_400000_NS6detail17trampoline_kernelINS0_14default_configENS1_25partition_config_selectorILNS1_17partition_subalgoE9EllbEEZZNS1_14partition_implILS5_9ELb0ES3_jPlS8_PNS0_10empty_typeENS0_5tupleIJS8_S9_EEENSB_IJS8_SA_EEENS0_18inequality_wrapperIZN2at6native12_GLOBAL__N_124unique_dim_cuda_templateImEESt5tupleIJNSF_6TensorESK_SK_EERKSK_lbbbEUlllE0_EEPmJS9_EEE10hipError_tPvRmT3_T4_T5_T6_T7_T9_mT8_P12ihipStream_tbDpT10_ENKUlT_T0_E_clISt17integral_constantIbLb1EES1A_EEDaS15_S16_EUlS15_E_NS1_11comp_targetILNS1_3genE8ELNS1_11target_archE1030ELNS1_3gpuE2ELNS1_3repE0EEENS1_30default_config_static_selectorELNS0_4arch9wavefront6targetE0EEEvT1_
		.amdhsa_group_segment_fixed_size 0
		.amdhsa_private_segment_fixed_size 0
		.amdhsa_kernarg_size 136
		.amdhsa_user_sgpr_count 2
		.amdhsa_user_sgpr_dispatch_ptr 0
		.amdhsa_user_sgpr_queue_ptr 0
		.amdhsa_user_sgpr_kernarg_segment_ptr 1
		.amdhsa_user_sgpr_dispatch_id 0
		.amdhsa_user_sgpr_kernarg_preload_length 0
		.amdhsa_user_sgpr_kernarg_preload_offset 0
		.amdhsa_user_sgpr_private_segment_size 0
		.amdhsa_wavefront_size32 1
		.amdhsa_uses_dynamic_stack 0
		.amdhsa_enable_private_segment 0
		.amdhsa_system_sgpr_workgroup_id_x 1
		.amdhsa_system_sgpr_workgroup_id_y 0
		.amdhsa_system_sgpr_workgroup_id_z 0
		.amdhsa_system_sgpr_workgroup_info 0
		.amdhsa_system_vgpr_workitem_id 0
		.amdhsa_next_free_vgpr 1
		.amdhsa_next_free_sgpr 1
		.amdhsa_named_barrier_count 0
		.amdhsa_reserve_vcc 0
		.amdhsa_float_round_mode_32 0
		.amdhsa_float_round_mode_16_64 0
		.amdhsa_float_denorm_mode_32 3
		.amdhsa_float_denorm_mode_16_64 3
		.amdhsa_fp16_overflow 0
		.amdhsa_memory_ordered 1
		.amdhsa_forward_progress 1
		.amdhsa_inst_pref_size 0
		.amdhsa_round_robin_scheduling 0
		.amdhsa_exception_fp_ieee_invalid_op 0
		.amdhsa_exception_fp_denorm_src 0
		.amdhsa_exception_fp_ieee_div_zero 0
		.amdhsa_exception_fp_ieee_overflow 0
		.amdhsa_exception_fp_ieee_underflow 0
		.amdhsa_exception_fp_ieee_inexact 0
		.amdhsa_exception_int_div_zero 0
	.end_amdhsa_kernel
	.section	.text._ZN7rocprim17ROCPRIM_400000_NS6detail17trampoline_kernelINS0_14default_configENS1_25partition_config_selectorILNS1_17partition_subalgoE9EllbEEZZNS1_14partition_implILS5_9ELb0ES3_jPlS8_PNS0_10empty_typeENS0_5tupleIJS8_S9_EEENSB_IJS8_SA_EEENS0_18inequality_wrapperIZN2at6native12_GLOBAL__N_124unique_dim_cuda_templateImEESt5tupleIJNSF_6TensorESK_SK_EERKSK_lbbbEUlllE0_EEPmJS9_EEE10hipError_tPvRmT3_T4_T5_T6_T7_T9_mT8_P12ihipStream_tbDpT10_ENKUlT_T0_E_clISt17integral_constantIbLb1EES1A_EEDaS15_S16_EUlS15_E_NS1_11comp_targetILNS1_3genE8ELNS1_11target_archE1030ELNS1_3gpuE2ELNS1_3repE0EEENS1_30default_config_static_selectorELNS0_4arch9wavefront6targetE0EEEvT1_,"axG",@progbits,_ZN7rocprim17ROCPRIM_400000_NS6detail17trampoline_kernelINS0_14default_configENS1_25partition_config_selectorILNS1_17partition_subalgoE9EllbEEZZNS1_14partition_implILS5_9ELb0ES3_jPlS8_PNS0_10empty_typeENS0_5tupleIJS8_S9_EEENSB_IJS8_SA_EEENS0_18inequality_wrapperIZN2at6native12_GLOBAL__N_124unique_dim_cuda_templateImEESt5tupleIJNSF_6TensorESK_SK_EERKSK_lbbbEUlllE0_EEPmJS9_EEE10hipError_tPvRmT3_T4_T5_T6_T7_T9_mT8_P12ihipStream_tbDpT10_ENKUlT_T0_E_clISt17integral_constantIbLb1EES1A_EEDaS15_S16_EUlS15_E_NS1_11comp_targetILNS1_3genE8ELNS1_11target_archE1030ELNS1_3gpuE2ELNS1_3repE0EEENS1_30default_config_static_selectorELNS0_4arch9wavefront6targetE0EEEvT1_,comdat
.Lfunc_end1710:
	.size	_ZN7rocprim17ROCPRIM_400000_NS6detail17trampoline_kernelINS0_14default_configENS1_25partition_config_selectorILNS1_17partition_subalgoE9EllbEEZZNS1_14partition_implILS5_9ELb0ES3_jPlS8_PNS0_10empty_typeENS0_5tupleIJS8_S9_EEENSB_IJS8_SA_EEENS0_18inequality_wrapperIZN2at6native12_GLOBAL__N_124unique_dim_cuda_templateImEESt5tupleIJNSF_6TensorESK_SK_EERKSK_lbbbEUlllE0_EEPmJS9_EEE10hipError_tPvRmT3_T4_T5_T6_T7_T9_mT8_P12ihipStream_tbDpT10_ENKUlT_T0_E_clISt17integral_constantIbLb1EES1A_EEDaS15_S16_EUlS15_E_NS1_11comp_targetILNS1_3genE8ELNS1_11target_archE1030ELNS1_3gpuE2ELNS1_3repE0EEENS1_30default_config_static_selectorELNS0_4arch9wavefront6targetE0EEEvT1_, .Lfunc_end1710-_ZN7rocprim17ROCPRIM_400000_NS6detail17trampoline_kernelINS0_14default_configENS1_25partition_config_selectorILNS1_17partition_subalgoE9EllbEEZZNS1_14partition_implILS5_9ELb0ES3_jPlS8_PNS0_10empty_typeENS0_5tupleIJS8_S9_EEENSB_IJS8_SA_EEENS0_18inequality_wrapperIZN2at6native12_GLOBAL__N_124unique_dim_cuda_templateImEESt5tupleIJNSF_6TensorESK_SK_EERKSK_lbbbEUlllE0_EEPmJS9_EEE10hipError_tPvRmT3_T4_T5_T6_T7_T9_mT8_P12ihipStream_tbDpT10_ENKUlT_T0_E_clISt17integral_constantIbLb1EES1A_EEDaS15_S16_EUlS15_E_NS1_11comp_targetILNS1_3genE8ELNS1_11target_archE1030ELNS1_3gpuE2ELNS1_3repE0EEENS1_30default_config_static_selectorELNS0_4arch9wavefront6targetE0EEEvT1_
                                        ; -- End function
	.set _ZN7rocprim17ROCPRIM_400000_NS6detail17trampoline_kernelINS0_14default_configENS1_25partition_config_selectorILNS1_17partition_subalgoE9EllbEEZZNS1_14partition_implILS5_9ELb0ES3_jPlS8_PNS0_10empty_typeENS0_5tupleIJS8_S9_EEENSB_IJS8_SA_EEENS0_18inequality_wrapperIZN2at6native12_GLOBAL__N_124unique_dim_cuda_templateImEESt5tupleIJNSF_6TensorESK_SK_EERKSK_lbbbEUlllE0_EEPmJS9_EEE10hipError_tPvRmT3_T4_T5_T6_T7_T9_mT8_P12ihipStream_tbDpT10_ENKUlT_T0_E_clISt17integral_constantIbLb1EES1A_EEDaS15_S16_EUlS15_E_NS1_11comp_targetILNS1_3genE8ELNS1_11target_archE1030ELNS1_3gpuE2ELNS1_3repE0EEENS1_30default_config_static_selectorELNS0_4arch9wavefront6targetE0EEEvT1_.num_vgpr, 0
	.set _ZN7rocprim17ROCPRIM_400000_NS6detail17trampoline_kernelINS0_14default_configENS1_25partition_config_selectorILNS1_17partition_subalgoE9EllbEEZZNS1_14partition_implILS5_9ELb0ES3_jPlS8_PNS0_10empty_typeENS0_5tupleIJS8_S9_EEENSB_IJS8_SA_EEENS0_18inequality_wrapperIZN2at6native12_GLOBAL__N_124unique_dim_cuda_templateImEESt5tupleIJNSF_6TensorESK_SK_EERKSK_lbbbEUlllE0_EEPmJS9_EEE10hipError_tPvRmT3_T4_T5_T6_T7_T9_mT8_P12ihipStream_tbDpT10_ENKUlT_T0_E_clISt17integral_constantIbLb1EES1A_EEDaS15_S16_EUlS15_E_NS1_11comp_targetILNS1_3genE8ELNS1_11target_archE1030ELNS1_3gpuE2ELNS1_3repE0EEENS1_30default_config_static_selectorELNS0_4arch9wavefront6targetE0EEEvT1_.num_agpr, 0
	.set _ZN7rocprim17ROCPRIM_400000_NS6detail17trampoline_kernelINS0_14default_configENS1_25partition_config_selectorILNS1_17partition_subalgoE9EllbEEZZNS1_14partition_implILS5_9ELb0ES3_jPlS8_PNS0_10empty_typeENS0_5tupleIJS8_S9_EEENSB_IJS8_SA_EEENS0_18inequality_wrapperIZN2at6native12_GLOBAL__N_124unique_dim_cuda_templateImEESt5tupleIJNSF_6TensorESK_SK_EERKSK_lbbbEUlllE0_EEPmJS9_EEE10hipError_tPvRmT3_T4_T5_T6_T7_T9_mT8_P12ihipStream_tbDpT10_ENKUlT_T0_E_clISt17integral_constantIbLb1EES1A_EEDaS15_S16_EUlS15_E_NS1_11comp_targetILNS1_3genE8ELNS1_11target_archE1030ELNS1_3gpuE2ELNS1_3repE0EEENS1_30default_config_static_selectorELNS0_4arch9wavefront6targetE0EEEvT1_.numbered_sgpr, 0
	.set _ZN7rocprim17ROCPRIM_400000_NS6detail17trampoline_kernelINS0_14default_configENS1_25partition_config_selectorILNS1_17partition_subalgoE9EllbEEZZNS1_14partition_implILS5_9ELb0ES3_jPlS8_PNS0_10empty_typeENS0_5tupleIJS8_S9_EEENSB_IJS8_SA_EEENS0_18inequality_wrapperIZN2at6native12_GLOBAL__N_124unique_dim_cuda_templateImEESt5tupleIJNSF_6TensorESK_SK_EERKSK_lbbbEUlllE0_EEPmJS9_EEE10hipError_tPvRmT3_T4_T5_T6_T7_T9_mT8_P12ihipStream_tbDpT10_ENKUlT_T0_E_clISt17integral_constantIbLb1EES1A_EEDaS15_S16_EUlS15_E_NS1_11comp_targetILNS1_3genE8ELNS1_11target_archE1030ELNS1_3gpuE2ELNS1_3repE0EEENS1_30default_config_static_selectorELNS0_4arch9wavefront6targetE0EEEvT1_.num_named_barrier, 0
	.set _ZN7rocprim17ROCPRIM_400000_NS6detail17trampoline_kernelINS0_14default_configENS1_25partition_config_selectorILNS1_17partition_subalgoE9EllbEEZZNS1_14partition_implILS5_9ELb0ES3_jPlS8_PNS0_10empty_typeENS0_5tupleIJS8_S9_EEENSB_IJS8_SA_EEENS0_18inequality_wrapperIZN2at6native12_GLOBAL__N_124unique_dim_cuda_templateImEESt5tupleIJNSF_6TensorESK_SK_EERKSK_lbbbEUlllE0_EEPmJS9_EEE10hipError_tPvRmT3_T4_T5_T6_T7_T9_mT8_P12ihipStream_tbDpT10_ENKUlT_T0_E_clISt17integral_constantIbLb1EES1A_EEDaS15_S16_EUlS15_E_NS1_11comp_targetILNS1_3genE8ELNS1_11target_archE1030ELNS1_3gpuE2ELNS1_3repE0EEENS1_30default_config_static_selectorELNS0_4arch9wavefront6targetE0EEEvT1_.private_seg_size, 0
	.set _ZN7rocprim17ROCPRIM_400000_NS6detail17trampoline_kernelINS0_14default_configENS1_25partition_config_selectorILNS1_17partition_subalgoE9EllbEEZZNS1_14partition_implILS5_9ELb0ES3_jPlS8_PNS0_10empty_typeENS0_5tupleIJS8_S9_EEENSB_IJS8_SA_EEENS0_18inequality_wrapperIZN2at6native12_GLOBAL__N_124unique_dim_cuda_templateImEESt5tupleIJNSF_6TensorESK_SK_EERKSK_lbbbEUlllE0_EEPmJS9_EEE10hipError_tPvRmT3_T4_T5_T6_T7_T9_mT8_P12ihipStream_tbDpT10_ENKUlT_T0_E_clISt17integral_constantIbLb1EES1A_EEDaS15_S16_EUlS15_E_NS1_11comp_targetILNS1_3genE8ELNS1_11target_archE1030ELNS1_3gpuE2ELNS1_3repE0EEENS1_30default_config_static_selectorELNS0_4arch9wavefront6targetE0EEEvT1_.uses_vcc, 0
	.set _ZN7rocprim17ROCPRIM_400000_NS6detail17trampoline_kernelINS0_14default_configENS1_25partition_config_selectorILNS1_17partition_subalgoE9EllbEEZZNS1_14partition_implILS5_9ELb0ES3_jPlS8_PNS0_10empty_typeENS0_5tupleIJS8_S9_EEENSB_IJS8_SA_EEENS0_18inequality_wrapperIZN2at6native12_GLOBAL__N_124unique_dim_cuda_templateImEESt5tupleIJNSF_6TensorESK_SK_EERKSK_lbbbEUlllE0_EEPmJS9_EEE10hipError_tPvRmT3_T4_T5_T6_T7_T9_mT8_P12ihipStream_tbDpT10_ENKUlT_T0_E_clISt17integral_constantIbLb1EES1A_EEDaS15_S16_EUlS15_E_NS1_11comp_targetILNS1_3genE8ELNS1_11target_archE1030ELNS1_3gpuE2ELNS1_3repE0EEENS1_30default_config_static_selectorELNS0_4arch9wavefront6targetE0EEEvT1_.uses_flat_scratch, 0
	.set _ZN7rocprim17ROCPRIM_400000_NS6detail17trampoline_kernelINS0_14default_configENS1_25partition_config_selectorILNS1_17partition_subalgoE9EllbEEZZNS1_14partition_implILS5_9ELb0ES3_jPlS8_PNS0_10empty_typeENS0_5tupleIJS8_S9_EEENSB_IJS8_SA_EEENS0_18inequality_wrapperIZN2at6native12_GLOBAL__N_124unique_dim_cuda_templateImEESt5tupleIJNSF_6TensorESK_SK_EERKSK_lbbbEUlllE0_EEPmJS9_EEE10hipError_tPvRmT3_T4_T5_T6_T7_T9_mT8_P12ihipStream_tbDpT10_ENKUlT_T0_E_clISt17integral_constantIbLb1EES1A_EEDaS15_S16_EUlS15_E_NS1_11comp_targetILNS1_3genE8ELNS1_11target_archE1030ELNS1_3gpuE2ELNS1_3repE0EEENS1_30default_config_static_selectorELNS0_4arch9wavefront6targetE0EEEvT1_.has_dyn_sized_stack, 0
	.set _ZN7rocprim17ROCPRIM_400000_NS6detail17trampoline_kernelINS0_14default_configENS1_25partition_config_selectorILNS1_17partition_subalgoE9EllbEEZZNS1_14partition_implILS5_9ELb0ES3_jPlS8_PNS0_10empty_typeENS0_5tupleIJS8_S9_EEENSB_IJS8_SA_EEENS0_18inequality_wrapperIZN2at6native12_GLOBAL__N_124unique_dim_cuda_templateImEESt5tupleIJNSF_6TensorESK_SK_EERKSK_lbbbEUlllE0_EEPmJS9_EEE10hipError_tPvRmT3_T4_T5_T6_T7_T9_mT8_P12ihipStream_tbDpT10_ENKUlT_T0_E_clISt17integral_constantIbLb1EES1A_EEDaS15_S16_EUlS15_E_NS1_11comp_targetILNS1_3genE8ELNS1_11target_archE1030ELNS1_3gpuE2ELNS1_3repE0EEENS1_30default_config_static_selectorELNS0_4arch9wavefront6targetE0EEEvT1_.has_recursion, 0
	.set _ZN7rocprim17ROCPRIM_400000_NS6detail17trampoline_kernelINS0_14default_configENS1_25partition_config_selectorILNS1_17partition_subalgoE9EllbEEZZNS1_14partition_implILS5_9ELb0ES3_jPlS8_PNS0_10empty_typeENS0_5tupleIJS8_S9_EEENSB_IJS8_SA_EEENS0_18inequality_wrapperIZN2at6native12_GLOBAL__N_124unique_dim_cuda_templateImEESt5tupleIJNSF_6TensorESK_SK_EERKSK_lbbbEUlllE0_EEPmJS9_EEE10hipError_tPvRmT3_T4_T5_T6_T7_T9_mT8_P12ihipStream_tbDpT10_ENKUlT_T0_E_clISt17integral_constantIbLb1EES1A_EEDaS15_S16_EUlS15_E_NS1_11comp_targetILNS1_3genE8ELNS1_11target_archE1030ELNS1_3gpuE2ELNS1_3repE0EEENS1_30default_config_static_selectorELNS0_4arch9wavefront6targetE0EEEvT1_.has_indirect_call, 0
	.section	.AMDGPU.csdata,"",@progbits
; Kernel info:
; codeLenInByte = 0
; TotalNumSgprs: 0
; NumVgprs: 0
; ScratchSize: 0
; MemoryBound: 0
; FloatMode: 240
; IeeeMode: 1
; LDSByteSize: 0 bytes/workgroup (compile time only)
; SGPRBlocks: 0
; VGPRBlocks: 0
; NumSGPRsForWavesPerEU: 1
; NumVGPRsForWavesPerEU: 1
; NamedBarCnt: 0
; Occupancy: 16
; WaveLimiterHint : 0
; COMPUTE_PGM_RSRC2:SCRATCH_EN: 0
; COMPUTE_PGM_RSRC2:USER_SGPR: 2
; COMPUTE_PGM_RSRC2:TRAP_HANDLER: 0
; COMPUTE_PGM_RSRC2:TGID_X_EN: 1
; COMPUTE_PGM_RSRC2:TGID_Y_EN: 0
; COMPUTE_PGM_RSRC2:TGID_Z_EN: 0
; COMPUTE_PGM_RSRC2:TIDIG_COMP_CNT: 0
	.section	.text._ZN7rocprim17ROCPRIM_400000_NS6detail17trampoline_kernelINS0_14default_configENS1_25partition_config_selectorILNS1_17partition_subalgoE9EllbEEZZNS1_14partition_implILS5_9ELb0ES3_jPlS8_PNS0_10empty_typeENS0_5tupleIJS8_S9_EEENSB_IJS8_SA_EEENS0_18inequality_wrapperIZN2at6native12_GLOBAL__N_124unique_dim_cuda_templateImEESt5tupleIJNSF_6TensorESK_SK_EERKSK_lbbbEUlllE0_EEPmJS9_EEE10hipError_tPvRmT3_T4_T5_T6_T7_T9_mT8_P12ihipStream_tbDpT10_ENKUlT_T0_E_clISt17integral_constantIbLb1EES19_IbLb0EEEEDaS15_S16_EUlS15_E_NS1_11comp_targetILNS1_3genE0ELNS1_11target_archE4294967295ELNS1_3gpuE0ELNS1_3repE0EEENS1_30default_config_static_selectorELNS0_4arch9wavefront6targetE0EEEvT1_,"axG",@progbits,_ZN7rocprim17ROCPRIM_400000_NS6detail17trampoline_kernelINS0_14default_configENS1_25partition_config_selectorILNS1_17partition_subalgoE9EllbEEZZNS1_14partition_implILS5_9ELb0ES3_jPlS8_PNS0_10empty_typeENS0_5tupleIJS8_S9_EEENSB_IJS8_SA_EEENS0_18inequality_wrapperIZN2at6native12_GLOBAL__N_124unique_dim_cuda_templateImEESt5tupleIJNSF_6TensorESK_SK_EERKSK_lbbbEUlllE0_EEPmJS9_EEE10hipError_tPvRmT3_T4_T5_T6_T7_T9_mT8_P12ihipStream_tbDpT10_ENKUlT_T0_E_clISt17integral_constantIbLb1EES19_IbLb0EEEEDaS15_S16_EUlS15_E_NS1_11comp_targetILNS1_3genE0ELNS1_11target_archE4294967295ELNS1_3gpuE0ELNS1_3repE0EEENS1_30default_config_static_selectorELNS0_4arch9wavefront6targetE0EEEvT1_,comdat
	.globl	_ZN7rocprim17ROCPRIM_400000_NS6detail17trampoline_kernelINS0_14default_configENS1_25partition_config_selectorILNS1_17partition_subalgoE9EllbEEZZNS1_14partition_implILS5_9ELb0ES3_jPlS8_PNS0_10empty_typeENS0_5tupleIJS8_S9_EEENSB_IJS8_SA_EEENS0_18inequality_wrapperIZN2at6native12_GLOBAL__N_124unique_dim_cuda_templateImEESt5tupleIJNSF_6TensorESK_SK_EERKSK_lbbbEUlllE0_EEPmJS9_EEE10hipError_tPvRmT3_T4_T5_T6_T7_T9_mT8_P12ihipStream_tbDpT10_ENKUlT_T0_E_clISt17integral_constantIbLb1EES19_IbLb0EEEEDaS15_S16_EUlS15_E_NS1_11comp_targetILNS1_3genE0ELNS1_11target_archE4294967295ELNS1_3gpuE0ELNS1_3repE0EEENS1_30default_config_static_selectorELNS0_4arch9wavefront6targetE0EEEvT1_ ; -- Begin function _ZN7rocprim17ROCPRIM_400000_NS6detail17trampoline_kernelINS0_14default_configENS1_25partition_config_selectorILNS1_17partition_subalgoE9EllbEEZZNS1_14partition_implILS5_9ELb0ES3_jPlS8_PNS0_10empty_typeENS0_5tupleIJS8_S9_EEENSB_IJS8_SA_EEENS0_18inequality_wrapperIZN2at6native12_GLOBAL__N_124unique_dim_cuda_templateImEESt5tupleIJNSF_6TensorESK_SK_EERKSK_lbbbEUlllE0_EEPmJS9_EEE10hipError_tPvRmT3_T4_T5_T6_T7_T9_mT8_P12ihipStream_tbDpT10_ENKUlT_T0_E_clISt17integral_constantIbLb1EES19_IbLb0EEEEDaS15_S16_EUlS15_E_NS1_11comp_targetILNS1_3genE0ELNS1_11target_archE4294967295ELNS1_3gpuE0ELNS1_3repE0EEENS1_30default_config_static_selectorELNS0_4arch9wavefront6targetE0EEEvT1_
	.p2align	8
	.type	_ZN7rocprim17ROCPRIM_400000_NS6detail17trampoline_kernelINS0_14default_configENS1_25partition_config_selectorILNS1_17partition_subalgoE9EllbEEZZNS1_14partition_implILS5_9ELb0ES3_jPlS8_PNS0_10empty_typeENS0_5tupleIJS8_S9_EEENSB_IJS8_SA_EEENS0_18inequality_wrapperIZN2at6native12_GLOBAL__N_124unique_dim_cuda_templateImEESt5tupleIJNSF_6TensorESK_SK_EERKSK_lbbbEUlllE0_EEPmJS9_EEE10hipError_tPvRmT3_T4_T5_T6_T7_T9_mT8_P12ihipStream_tbDpT10_ENKUlT_T0_E_clISt17integral_constantIbLb1EES19_IbLb0EEEEDaS15_S16_EUlS15_E_NS1_11comp_targetILNS1_3genE0ELNS1_11target_archE4294967295ELNS1_3gpuE0ELNS1_3repE0EEENS1_30default_config_static_selectorELNS0_4arch9wavefront6targetE0EEEvT1_,@function
_ZN7rocprim17ROCPRIM_400000_NS6detail17trampoline_kernelINS0_14default_configENS1_25partition_config_selectorILNS1_17partition_subalgoE9EllbEEZZNS1_14partition_implILS5_9ELb0ES3_jPlS8_PNS0_10empty_typeENS0_5tupleIJS8_S9_EEENSB_IJS8_SA_EEENS0_18inequality_wrapperIZN2at6native12_GLOBAL__N_124unique_dim_cuda_templateImEESt5tupleIJNSF_6TensorESK_SK_EERKSK_lbbbEUlllE0_EEPmJS9_EEE10hipError_tPvRmT3_T4_T5_T6_T7_T9_mT8_P12ihipStream_tbDpT10_ENKUlT_T0_E_clISt17integral_constantIbLb1EES19_IbLb0EEEEDaS15_S16_EUlS15_E_NS1_11comp_targetILNS1_3genE0ELNS1_11target_archE4294967295ELNS1_3gpuE0ELNS1_3repE0EEENS1_30default_config_static_selectorELNS0_4arch9wavefront6targetE0EEEvT1_: ; @_ZN7rocprim17ROCPRIM_400000_NS6detail17trampoline_kernelINS0_14default_configENS1_25partition_config_selectorILNS1_17partition_subalgoE9EllbEEZZNS1_14partition_implILS5_9ELb0ES3_jPlS8_PNS0_10empty_typeENS0_5tupleIJS8_S9_EEENSB_IJS8_SA_EEENS0_18inequality_wrapperIZN2at6native12_GLOBAL__N_124unique_dim_cuda_templateImEESt5tupleIJNSF_6TensorESK_SK_EERKSK_lbbbEUlllE0_EEPmJS9_EEE10hipError_tPvRmT3_T4_T5_T6_T7_T9_mT8_P12ihipStream_tbDpT10_ENKUlT_T0_E_clISt17integral_constantIbLb1EES19_IbLb0EEEEDaS15_S16_EUlS15_E_NS1_11comp_targetILNS1_3genE0ELNS1_11target_archE4294967295ELNS1_3gpuE0ELNS1_3repE0EEENS1_30default_config_static_selectorELNS0_4arch9wavefront6targetE0EEEvT1_
; %bb.0:
	s_endpgm
	.section	.rodata,"a",@progbits
	.p2align	6, 0x0
	.amdhsa_kernel _ZN7rocprim17ROCPRIM_400000_NS6detail17trampoline_kernelINS0_14default_configENS1_25partition_config_selectorILNS1_17partition_subalgoE9EllbEEZZNS1_14partition_implILS5_9ELb0ES3_jPlS8_PNS0_10empty_typeENS0_5tupleIJS8_S9_EEENSB_IJS8_SA_EEENS0_18inequality_wrapperIZN2at6native12_GLOBAL__N_124unique_dim_cuda_templateImEESt5tupleIJNSF_6TensorESK_SK_EERKSK_lbbbEUlllE0_EEPmJS9_EEE10hipError_tPvRmT3_T4_T5_T6_T7_T9_mT8_P12ihipStream_tbDpT10_ENKUlT_T0_E_clISt17integral_constantIbLb1EES19_IbLb0EEEEDaS15_S16_EUlS15_E_NS1_11comp_targetILNS1_3genE0ELNS1_11target_archE4294967295ELNS1_3gpuE0ELNS1_3repE0EEENS1_30default_config_static_selectorELNS0_4arch9wavefront6targetE0EEEvT1_
		.amdhsa_group_segment_fixed_size 0
		.amdhsa_private_segment_fixed_size 0
		.amdhsa_kernarg_size 120
		.amdhsa_user_sgpr_count 2
		.amdhsa_user_sgpr_dispatch_ptr 0
		.amdhsa_user_sgpr_queue_ptr 0
		.amdhsa_user_sgpr_kernarg_segment_ptr 1
		.amdhsa_user_sgpr_dispatch_id 0
		.amdhsa_user_sgpr_kernarg_preload_length 0
		.amdhsa_user_sgpr_kernarg_preload_offset 0
		.amdhsa_user_sgpr_private_segment_size 0
		.amdhsa_wavefront_size32 1
		.amdhsa_uses_dynamic_stack 0
		.amdhsa_enable_private_segment 0
		.amdhsa_system_sgpr_workgroup_id_x 1
		.amdhsa_system_sgpr_workgroup_id_y 0
		.amdhsa_system_sgpr_workgroup_id_z 0
		.amdhsa_system_sgpr_workgroup_info 0
		.amdhsa_system_vgpr_workitem_id 0
		.amdhsa_next_free_vgpr 1
		.amdhsa_next_free_sgpr 1
		.amdhsa_named_barrier_count 0
		.amdhsa_reserve_vcc 0
		.amdhsa_float_round_mode_32 0
		.amdhsa_float_round_mode_16_64 0
		.amdhsa_float_denorm_mode_32 3
		.amdhsa_float_denorm_mode_16_64 3
		.amdhsa_fp16_overflow 0
		.amdhsa_memory_ordered 1
		.amdhsa_forward_progress 1
		.amdhsa_inst_pref_size 1
		.amdhsa_round_robin_scheduling 0
		.amdhsa_exception_fp_ieee_invalid_op 0
		.amdhsa_exception_fp_denorm_src 0
		.amdhsa_exception_fp_ieee_div_zero 0
		.amdhsa_exception_fp_ieee_overflow 0
		.amdhsa_exception_fp_ieee_underflow 0
		.amdhsa_exception_fp_ieee_inexact 0
		.amdhsa_exception_int_div_zero 0
	.end_amdhsa_kernel
	.section	.text._ZN7rocprim17ROCPRIM_400000_NS6detail17trampoline_kernelINS0_14default_configENS1_25partition_config_selectorILNS1_17partition_subalgoE9EllbEEZZNS1_14partition_implILS5_9ELb0ES3_jPlS8_PNS0_10empty_typeENS0_5tupleIJS8_S9_EEENSB_IJS8_SA_EEENS0_18inequality_wrapperIZN2at6native12_GLOBAL__N_124unique_dim_cuda_templateImEESt5tupleIJNSF_6TensorESK_SK_EERKSK_lbbbEUlllE0_EEPmJS9_EEE10hipError_tPvRmT3_T4_T5_T6_T7_T9_mT8_P12ihipStream_tbDpT10_ENKUlT_T0_E_clISt17integral_constantIbLb1EES19_IbLb0EEEEDaS15_S16_EUlS15_E_NS1_11comp_targetILNS1_3genE0ELNS1_11target_archE4294967295ELNS1_3gpuE0ELNS1_3repE0EEENS1_30default_config_static_selectorELNS0_4arch9wavefront6targetE0EEEvT1_,"axG",@progbits,_ZN7rocprim17ROCPRIM_400000_NS6detail17trampoline_kernelINS0_14default_configENS1_25partition_config_selectorILNS1_17partition_subalgoE9EllbEEZZNS1_14partition_implILS5_9ELb0ES3_jPlS8_PNS0_10empty_typeENS0_5tupleIJS8_S9_EEENSB_IJS8_SA_EEENS0_18inequality_wrapperIZN2at6native12_GLOBAL__N_124unique_dim_cuda_templateImEESt5tupleIJNSF_6TensorESK_SK_EERKSK_lbbbEUlllE0_EEPmJS9_EEE10hipError_tPvRmT3_T4_T5_T6_T7_T9_mT8_P12ihipStream_tbDpT10_ENKUlT_T0_E_clISt17integral_constantIbLb1EES19_IbLb0EEEEDaS15_S16_EUlS15_E_NS1_11comp_targetILNS1_3genE0ELNS1_11target_archE4294967295ELNS1_3gpuE0ELNS1_3repE0EEENS1_30default_config_static_selectorELNS0_4arch9wavefront6targetE0EEEvT1_,comdat
.Lfunc_end1711:
	.size	_ZN7rocprim17ROCPRIM_400000_NS6detail17trampoline_kernelINS0_14default_configENS1_25partition_config_selectorILNS1_17partition_subalgoE9EllbEEZZNS1_14partition_implILS5_9ELb0ES3_jPlS8_PNS0_10empty_typeENS0_5tupleIJS8_S9_EEENSB_IJS8_SA_EEENS0_18inequality_wrapperIZN2at6native12_GLOBAL__N_124unique_dim_cuda_templateImEESt5tupleIJNSF_6TensorESK_SK_EERKSK_lbbbEUlllE0_EEPmJS9_EEE10hipError_tPvRmT3_T4_T5_T6_T7_T9_mT8_P12ihipStream_tbDpT10_ENKUlT_T0_E_clISt17integral_constantIbLb1EES19_IbLb0EEEEDaS15_S16_EUlS15_E_NS1_11comp_targetILNS1_3genE0ELNS1_11target_archE4294967295ELNS1_3gpuE0ELNS1_3repE0EEENS1_30default_config_static_selectorELNS0_4arch9wavefront6targetE0EEEvT1_, .Lfunc_end1711-_ZN7rocprim17ROCPRIM_400000_NS6detail17trampoline_kernelINS0_14default_configENS1_25partition_config_selectorILNS1_17partition_subalgoE9EllbEEZZNS1_14partition_implILS5_9ELb0ES3_jPlS8_PNS0_10empty_typeENS0_5tupleIJS8_S9_EEENSB_IJS8_SA_EEENS0_18inequality_wrapperIZN2at6native12_GLOBAL__N_124unique_dim_cuda_templateImEESt5tupleIJNSF_6TensorESK_SK_EERKSK_lbbbEUlllE0_EEPmJS9_EEE10hipError_tPvRmT3_T4_T5_T6_T7_T9_mT8_P12ihipStream_tbDpT10_ENKUlT_T0_E_clISt17integral_constantIbLb1EES19_IbLb0EEEEDaS15_S16_EUlS15_E_NS1_11comp_targetILNS1_3genE0ELNS1_11target_archE4294967295ELNS1_3gpuE0ELNS1_3repE0EEENS1_30default_config_static_selectorELNS0_4arch9wavefront6targetE0EEEvT1_
                                        ; -- End function
	.set _ZN7rocprim17ROCPRIM_400000_NS6detail17trampoline_kernelINS0_14default_configENS1_25partition_config_selectorILNS1_17partition_subalgoE9EllbEEZZNS1_14partition_implILS5_9ELb0ES3_jPlS8_PNS0_10empty_typeENS0_5tupleIJS8_S9_EEENSB_IJS8_SA_EEENS0_18inequality_wrapperIZN2at6native12_GLOBAL__N_124unique_dim_cuda_templateImEESt5tupleIJNSF_6TensorESK_SK_EERKSK_lbbbEUlllE0_EEPmJS9_EEE10hipError_tPvRmT3_T4_T5_T6_T7_T9_mT8_P12ihipStream_tbDpT10_ENKUlT_T0_E_clISt17integral_constantIbLb1EES19_IbLb0EEEEDaS15_S16_EUlS15_E_NS1_11comp_targetILNS1_3genE0ELNS1_11target_archE4294967295ELNS1_3gpuE0ELNS1_3repE0EEENS1_30default_config_static_selectorELNS0_4arch9wavefront6targetE0EEEvT1_.num_vgpr, 0
	.set _ZN7rocprim17ROCPRIM_400000_NS6detail17trampoline_kernelINS0_14default_configENS1_25partition_config_selectorILNS1_17partition_subalgoE9EllbEEZZNS1_14partition_implILS5_9ELb0ES3_jPlS8_PNS0_10empty_typeENS0_5tupleIJS8_S9_EEENSB_IJS8_SA_EEENS0_18inequality_wrapperIZN2at6native12_GLOBAL__N_124unique_dim_cuda_templateImEESt5tupleIJNSF_6TensorESK_SK_EERKSK_lbbbEUlllE0_EEPmJS9_EEE10hipError_tPvRmT3_T4_T5_T6_T7_T9_mT8_P12ihipStream_tbDpT10_ENKUlT_T0_E_clISt17integral_constantIbLb1EES19_IbLb0EEEEDaS15_S16_EUlS15_E_NS1_11comp_targetILNS1_3genE0ELNS1_11target_archE4294967295ELNS1_3gpuE0ELNS1_3repE0EEENS1_30default_config_static_selectorELNS0_4arch9wavefront6targetE0EEEvT1_.num_agpr, 0
	.set _ZN7rocprim17ROCPRIM_400000_NS6detail17trampoline_kernelINS0_14default_configENS1_25partition_config_selectorILNS1_17partition_subalgoE9EllbEEZZNS1_14partition_implILS5_9ELb0ES3_jPlS8_PNS0_10empty_typeENS0_5tupleIJS8_S9_EEENSB_IJS8_SA_EEENS0_18inequality_wrapperIZN2at6native12_GLOBAL__N_124unique_dim_cuda_templateImEESt5tupleIJNSF_6TensorESK_SK_EERKSK_lbbbEUlllE0_EEPmJS9_EEE10hipError_tPvRmT3_T4_T5_T6_T7_T9_mT8_P12ihipStream_tbDpT10_ENKUlT_T0_E_clISt17integral_constantIbLb1EES19_IbLb0EEEEDaS15_S16_EUlS15_E_NS1_11comp_targetILNS1_3genE0ELNS1_11target_archE4294967295ELNS1_3gpuE0ELNS1_3repE0EEENS1_30default_config_static_selectorELNS0_4arch9wavefront6targetE0EEEvT1_.numbered_sgpr, 0
	.set _ZN7rocprim17ROCPRIM_400000_NS6detail17trampoline_kernelINS0_14default_configENS1_25partition_config_selectorILNS1_17partition_subalgoE9EllbEEZZNS1_14partition_implILS5_9ELb0ES3_jPlS8_PNS0_10empty_typeENS0_5tupleIJS8_S9_EEENSB_IJS8_SA_EEENS0_18inequality_wrapperIZN2at6native12_GLOBAL__N_124unique_dim_cuda_templateImEESt5tupleIJNSF_6TensorESK_SK_EERKSK_lbbbEUlllE0_EEPmJS9_EEE10hipError_tPvRmT3_T4_T5_T6_T7_T9_mT8_P12ihipStream_tbDpT10_ENKUlT_T0_E_clISt17integral_constantIbLb1EES19_IbLb0EEEEDaS15_S16_EUlS15_E_NS1_11comp_targetILNS1_3genE0ELNS1_11target_archE4294967295ELNS1_3gpuE0ELNS1_3repE0EEENS1_30default_config_static_selectorELNS0_4arch9wavefront6targetE0EEEvT1_.num_named_barrier, 0
	.set _ZN7rocprim17ROCPRIM_400000_NS6detail17trampoline_kernelINS0_14default_configENS1_25partition_config_selectorILNS1_17partition_subalgoE9EllbEEZZNS1_14partition_implILS5_9ELb0ES3_jPlS8_PNS0_10empty_typeENS0_5tupleIJS8_S9_EEENSB_IJS8_SA_EEENS0_18inequality_wrapperIZN2at6native12_GLOBAL__N_124unique_dim_cuda_templateImEESt5tupleIJNSF_6TensorESK_SK_EERKSK_lbbbEUlllE0_EEPmJS9_EEE10hipError_tPvRmT3_T4_T5_T6_T7_T9_mT8_P12ihipStream_tbDpT10_ENKUlT_T0_E_clISt17integral_constantIbLb1EES19_IbLb0EEEEDaS15_S16_EUlS15_E_NS1_11comp_targetILNS1_3genE0ELNS1_11target_archE4294967295ELNS1_3gpuE0ELNS1_3repE0EEENS1_30default_config_static_selectorELNS0_4arch9wavefront6targetE0EEEvT1_.private_seg_size, 0
	.set _ZN7rocprim17ROCPRIM_400000_NS6detail17trampoline_kernelINS0_14default_configENS1_25partition_config_selectorILNS1_17partition_subalgoE9EllbEEZZNS1_14partition_implILS5_9ELb0ES3_jPlS8_PNS0_10empty_typeENS0_5tupleIJS8_S9_EEENSB_IJS8_SA_EEENS0_18inequality_wrapperIZN2at6native12_GLOBAL__N_124unique_dim_cuda_templateImEESt5tupleIJNSF_6TensorESK_SK_EERKSK_lbbbEUlllE0_EEPmJS9_EEE10hipError_tPvRmT3_T4_T5_T6_T7_T9_mT8_P12ihipStream_tbDpT10_ENKUlT_T0_E_clISt17integral_constantIbLb1EES19_IbLb0EEEEDaS15_S16_EUlS15_E_NS1_11comp_targetILNS1_3genE0ELNS1_11target_archE4294967295ELNS1_3gpuE0ELNS1_3repE0EEENS1_30default_config_static_selectorELNS0_4arch9wavefront6targetE0EEEvT1_.uses_vcc, 0
	.set _ZN7rocprim17ROCPRIM_400000_NS6detail17trampoline_kernelINS0_14default_configENS1_25partition_config_selectorILNS1_17partition_subalgoE9EllbEEZZNS1_14partition_implILS5_9ELb0ES3_jPlS8_PNS0_10empty_typeENS0_5tupleIJS8_S9_EEENSB_IJS8_SA_EEENS0_18inequality_wrapperIZN2at6native12_GLOBAL__N_124unique_dim_cuda_templateImEESt5tupleIJNSF_6TensorESK_SK_EERKSK_lbbbEUlllE0_EEPmJS9_EEE10hipError_tPvRmT3_T4_T5_T6_T7_T9_mT8_P12ihipStream_tbDpT10_ENKUlT_T0_E_clISt17integral_constantIbLb1EES19_IbLb0EEEEDaS15_S16_EUlS15_E_NS1_11comp_targetILNS1_3genE0ELNS1_11target_archE4294967295ELNS1_3gpuE0ELNS1_3repE0EEENS1_30default_config_static_selectorELNS0_4arch9wavefront6targetE0EEEvT1_.uses_flat_scratch, 0
	.set _ZN7rocprim17ROCPRIM_400000_NS6detail17trampoline_kernelINS0_14default_configENS1_25partition_config_selectorILNS1_17partition_subalgoE9EllbEEZZNS1_14partition_implILS5_9ELb0ES3_jPlS8_PNS0_10empty_typeENS0_5tupleIJS8_S9_EEENSB_IJS8_SA_EEENS0_18inequality_wrapperIZN2at6native12_GLOBAL__N_124unique_dim_cuda_templateImEESt5tupleIJNSF_6TensorESK_SK_EERKSK_lbbbEUlllE0_EEPmJS9_EEE10hipError_tPvRmT3_T4_T5_T6_T7_T9_mT8_P12ihipStream_tbDpT10_ENKUlT_T0_E_clISt17integral_constantIbLb1EES19_IbLb0EEEEDaS15_S16_EUlS15_E_NS1_11comp_targetILNS1_3genE0ELNS1_11target_archE4294967295ELNS1_3gpuE0ELNS1_3repE0EEENS1_30default_config_static_selectorELNS0_4arch9wavefront6targetE0EEEvT1_.has_dyn_sized_stack, 0
	.set _ZN7rocprim17ROCPRIM_400000_NS6detail17trampoline_kernelINS0_14default_configENS1_25partition_config_selectorILNS1_17partition_subalgoE9EllbEEZZNS1_14partition_implILS5_9ELb0ES3_jPlS8_PNS0_10empty_typeENS0_5tupleIJS8_S9_EEENSB_IJS8_SA_EEENS0_18inequality_wrapperIZN2at6native12_GLOBAL__N_124unique_dim_cuda_templateImEESt5tupleIJNSF_6TensorESK_SK_EERKSK_lbbbEUlllE0_EEPmJS9_EEE10hipError_tPvRmT3_T4_T5_T6_T7_T9_mT8_P12ihipStream_tbDpT10_ENKUlT_T0_E_clISt17integral_constantIbLb1EES19_IbLb0EEEEDaS15_S16_EUlS15_E_NS1_11comp_targetILNS1_3genE0ELNS1_11target_archE4294967295ELNS1_3gpuE0ELNS1_3repE0EEENS1_30default_config_static_selectorELNS0_4arch9wavefront6targetE0EEEvT1_.has_recursion, 0
	.set _ZN7rocprim17ROCPRIM_400000_NS6detail17trampoline_kernelINS0_14default_configENS1_25partition_config_selectorILNS1_17partition_subalgoE9EllbEEZZNS1_14partition_implILS5_9ELb0ES3_jPlS8_PNS0_10empty_typeENS0_5tupleIJS8_S9_EEENSB_IJS8_SA_EEENS0_18inequality_wrapperIZN2at6native12_GLOBAL__N_124unique_dim_cuda_templateImEESt5tupleIJNSF_6TensorESK_SK_EERKSK_lbbbEUlllE0_EEPmJS9_EEE10hipError_tPvRmT3_T4_T5_T6_T7_T9_mT8_P12ihipStream_tbDpT10_ENKUlT_T0_E_clISt17integral_constantIbLb1EES19_IbLb0EEEEDaS15_S16_EUlS15_E_NS1_11comp_targetILNS1_3genE0ELNS1_11target_archE4294967295ELNS1_3gpuE0ELNS1_3repE0EEENS1_30default_config_static_selectorELNS0_4arch9wavefront6targetE0EEEvT1_.has_indirect_call, 0
	.section	.AMDGPU.csdata,"",@progbits
; Kernel info:
; codeLenInByte = 4
; TotalNumSgprs: 0
; NumVgprs: 0
; ScratchSize: 0
; MemoryBound: 0
; FloatMode: 240
; IeeeMode: 1
; LDSByteSize: 0 bytes/workgroup (compile time only)
; SGPRBlocks: 0
; VGPRBlocks: 0
; NumSGPRsForWavesPerEU: 1
; NumVGPRsForWavesPerEU: 1
; NamedBarCnt: 0
; Occupancy: 16
; WaveLimiterHint : 0
; COMPUTE_PGM_RSRC2:SCRATCH_EN: 0
; COMPUTE_PGM_RSRC2:USER_SGPR: 2
; COMPUTE_PGM_RSRC2:TRAP_HANDLER: 0
; COMPUTE_PGM_RSRC2:TGID_X_EN: 1
; COMPUTE_PGM_RSRC2:TGID_Y_EN: 0
; COMPUTE_PGM_RSRC2:TGID_Z_EN: 0
; COMPUTE_PGM_RSRC2:TIDIG_COMP_CNT: 0
	.section	.text._ZN7rocprim17ROCPRIM_400000_NS6detail17trampoline_kernelINS0_14default_configENS1_25partition_config_selectorILNS1_17partition_subalgoE9EllbEEZZNS1_14partition_implILS5_9ELb0ES3_jPlS8_PNS0_10empty_typeENS0_5tupleIJS8_S9_EEENSB_IJS8_SA_EEENS0_18inequality_wrapperIZN2at6native12_GLOBAL__N_124unique_dim_cuda_templateImEESt5tupleIJNSF_6TensorESK_SK_EERKSK_lbbbEUlllE0_EEPmJS9_EEE10hipError_tPvRmT3_T4_T5_T6_T7_T9_mT8_P12ihipStream_tbDpT10_ENKUlT_T0_E_clISt17integral_constantIbLb1EES19_IbLb0EEEEDaS15_S16_EUlS15_E_NS1_11comp_targetILNS1_3genE5ELNS1_11target_archE942ELNS1_3gpuE9ELNS1_3repE0EEENS1_30default_config_static_selectorELNS0_4arch9wavefront6targetE0EEEvT1_,"axG",@progbits,_ZN7rocprim17ROCPRIM_400000_NS6detail17trampoline_kernelINS0_14default_configENS1_25partition_config_selectorILNS1_17partition_subalgoE9EllbEEZZNS1_14partition_implILS5_9ELb0ES3_jPlS8_PNS0_10empty_typeENS0_5tupleIJS8_S9_EEENSB_IJS8_SA_EEENS0_18inequality_wrapperIZN2at6native12_GLOBAL__N_124unique_dim_cuda_templateImEESt5tupleIJNSF_6TensorESK_SK_EERKSK_lbbbEUlllE0_EEPmJS9_EEE10hipError_tPvRmT3_T4_T5_T6_T7_T9_mT8_P12ihipStream_tbDpT10_ENKUlT_T0_E_clISt17integral_constantIbLb1EES19_IbLb0EEEEDaS15_S16_EUlS15_E_NS1_11comp_targetILNS1_3genE5ELNS1_11target_archE942ELNS1_3gpuE9ELNS1_3repE0EEENS1_30default_config_static_selectorELNS0_4arch9wavefront6targetE0EEEvT1_,comdat
	.globl	_ZN7rocprim17ROCPRIM_400000_NS6detail17trampoline_kernelINS0_14default_configENS1_25partition_config_selectorILNS1_17partition_subalgoE9EllbEEZZNS1_14partition_implILS5_9ELb0ES3_jPlS8_PNS0_10empty_typeENS0_5tupleIJS8_S9_EEENSB_IJS8_SA_EEENS0_18inequality_wrapperIZN2at6native12_GLOBAL__N_124unique_dim_cuda_templateImEESt5tupleIJNSF_6TensorESK_SK_EERKSK_lbbbEUlllE0_EEPmJS9_EEE10hipError_tPvRmT3_T4_T5_T6_T7_T9_mT8_P12ihipStream_tbDpT10_ENKUlT_T0_E_clISt17integral_constantIbLb1EES19_IbLb0EEEEDaS15_S16_EUlS15_E_NS1_11comp_targetILNS1_3genE5ELNS1_11target_archE942ELNS1_3gpuE9ELNS1_3repE0EEENS1_30default_config_static_selectorELNS0_4arch9wavefront6targetE0EEEvT1_ ; -- Begin function _ZN7rocprim17ROCPRIM_400000_NS6detail17trampoline_kernelINS0_14default_configENS1_25partition_config_selectorILNS1_17partition_subalgoE9EllbEEZZNS1_14partition_implILS5_9ELb0ES3_jPlS8_PNS0_10empty_typeENS0_5tupleIJS8_S9_EEENSB_IJS8_SA_EEENS0_18inequality_wrapperIZN2at6native12_GLOBAL__N_124unique_dim_cuda_templateImEESt5tupleIJNSF_6TensorESK_SK_EERKSK_lbbbEUlllE0_EEPmJS9_EEE10hipError_tPvRmT3_T4_T5_T6_T7_T9_mT8_P12ihipStream_tbDpT10_ENKUlT_T0_E_clISt17integral_constantIbLb1EES19_IbLb0EEEEDaS15_S16_EUlS15_E_NS1_11comp_targetILNS1_3genE5ELNS1_11target_archE942ELNS1_3gpuE9ELNS1_3repE0EEENS1_30default_config_static_selectorELNS0_4arch9wavefront6targetE0EEEvT1_
	.p2align	8
	.type	_ZN7rocprim17ROCPRIM_400000_NS6detail17trampoline_kernelINS0_14default_configENS1_25partition_config_selectorILNS1_17partition_subalgoE9EllbEEZZNS1_14partition_implILS5_9ELb0ES3_jPlS8_PNS0_10empty_typeENS0_5tupleIJS8_S9_EEENSB_IJS8_SA_EEENS0_18inequality_wrapperIZN2at6native12_GLOBAL__N_124unique_dim_cuda_templateImEESt5tupleIJNSF_6TensorESK_SK_EERKSK_lbbbEUlllE0_EEPmJS9_EEE10hipError_tPvRmT3_T4_T5_T6_T7_T9_mT8_P12ihipStream_tbDpT10_ENKUlT_T0_E_clISt17integral_constantIbLb1EES19_IbLb0EEEEDaS15_S16_EUlS15_E_NS1_11comp_targetILNS1_3genE5ELNS1_11target_archE942ELNS1_3gpuE9ELNS1_3repE0EEENS1_30default_config_static_selectorELNS0_4arch9wavefront6targetE0EEEvT1_,@function
_ZN7rocprim17ROCPRIM_400000_NS6detail17trampoline_kernelINS0_14default_configENS1_25partition_config_selectorILNS1_17partition_subalgoE9EllbEEZZNS1_14partition_implILS5_9ELb0ES3_jPlS8_PNS0_10empty_typeENS0_5tupleIJS8_S9_EEENSB_IJS8_SA_EEENS0_18inequality_wrapperIZN2at6native12_GLOBAL__N_124unique_dim_cuda_templateImEESt5tupleIJNSF_6TensorESK_SK_EERKSK_lbbbEUlllE0_EEPmJS9_EEE10hipError_tPvRmT3_T4_T5_T6_T7_T9_mT8_P12ihipStream_tbDpT10_ENKUlT_T0_E_clISt17integral_constantIbLb1EES19_IbLb0EEEEDaS15_S16_EUlS15_E_NS1_11comp_targetILNS1_3genE5ELNS1_11target_archE942ELNS1_3gpuE9ELNS1_3repE0EEENS1_30default_config_static_selectorELNS0_4arch9wavefront6targetE0EEEvT1_: ; @_ZN7rocprim17ROCPRIM_400000_NS6detail17trampoline_kernelINS0_14default_configENS1_25partition_config_selectorILNS1_17partition_subalgoE9EllbEEZZNS1_14partition_implILS5_9ELb0ES3_jPlS8_PNS0_10empty_typeENS0_5tupleIJS8_S9_EEENSB_IJS8_SA_EEENS0_18inequality_wrapperIZN2at6native12_GLOBAL__N_124unique_dim_cuda_templateImEESt5tupleIJNSF_6TensorESK_SK_EERKSK_lbbbEUlllE0_EEPmJS9_EEE10hipError_tPvRmT3_T4_T5_T6_T7_T9_mT8_P12ihipStream_tbDpT10_ENKUlT_T0_E_clISt17integral_constantIbLb1EES19_IbLb0EEEEDaS15_S16_EUlS15_E_NS1_11comp_targetILNS1_3genE5ELNS1_11target_archE942ELNS1_3gpuE9ELNS1_3repE0EEENS1_30default_config_static_selectorELNS0_4arch9wavefront6targetE0EEEvT1_
; %bb.0:
	.section	.rodata,"a",@progbits
	.p2align	6, 0x0
	.amdhsa_kernel _ZN7rocprim17ROCPRIM_400000_NS6detail17trampoline_kernelINS0_14default_configENS1_25partition_config_selectorILNS1_17partition_subalgoE9EllbEEZZNS1_14partition_implILS5_9ELb0ES3_jPlS8_PNS0_10empty_typeENS0_5tupleIJS8_S9_EEENSB_IJS8_SA_EEENS0_18inequality_wrapperIZN2at6native12_GLOBAL__N_124unique_dim_cuda_templateImEESt5tupleIJNSF_6TensorESK_SK_EERKSK_lbbbEUlllE0_EEPmJS9_EEE10hipError_tPvRmT3_T4_T5_T6_T7_T9_mT8_P12ihipStream_tbDpT10_ENKUlT_T0_E_clISt17integral_constantIbLb1EES19_IbLb0EEEEDaS15_S16_EUlS15_E_NS1_11comp_targetILNS1_3genE5ELNS1_11target_archE942ELNS1_3gpuE9ELNS1_3repE0EEENS1_30default_config_static_selectorELNS0_4arch9wavefront6targetE0EEEvT1_
		.amdhsa_group_segment_fixed_size 0
		.amdhsa_private_segment_fixed_size 0
		.amdhsa_kernarg_size 120
		.amdhsa_user_sgpr_count 2
		.amdhsa_user_sgpr_dispatch_ptr 0
		.amdhsa_user_sgpr_queue_ptr 0
		.amdhsa_user_sgpr_kernarg_segment_ptr 1
		.amdhsa_user_sgpr_dispatch_id 0
		.amdhsa_user_sgpr_kernarg_preload_length 0
		.amdhsa_user_sgpr_kernarg_preload_offset 0
		.amdhsa_user_sgpr_private_segment_size 0
		.amdhsa_wavefront_size32 1
		.amdhsa_uses_dynamic_stack 0
		.amdhsa_enable_private_segment 0
		.amdhsa_system_sgpr_workgroup_id_x 1
		.amdhsa_system_sgpr_workgroup_id_y 0
		.amdhsa_system_sgpr_workgroup_id_z 0
		.amdhsa_system_sgpr_workgroup_info 0
		.amdhsa_system_vgpr_workitem_id 0
		.amdhsa_next_free_vgpr 1
		.amdhsa_next_free_sgpr 1
		.amdhsa_named_barrier_count 0
		.amdhsa_reserve_vcc 0
		.amdhsa_float_round_mode_32 0
		.amdhsa_float_round_mode_16_64 0
		.amdhsa_float_denorm_mode_32 3
		.amdhsa_float_denorm_mode_16_64 3
		.amdhsa_fp16_overflow 0
		.amdhsa_memory_ordered 1
		.amdhsa_forward_progress 1
		.amdhsa_inst_pref_size 0
		.amdhsa_round_robin_scheduling 0
		.amdhsa_exception_fp_ieee_invalid_op 0
		.amdhsa_exception_fp_denorm_src 0
		.amdhsa_exception_fp_ieee_div_zero 0
		.amdhsa_exception_fp_ieee_overflow 0
		.amdhsa_exception_fp_ieee_underflow 0
		.amdhsa_exception_fp_ieee_inexact 0
		.amdhsa_exception_int_div_zero 0
	.end_amdhsa_kernel
	.section	.text._ZN7rocprim17ROCPRIM_400000_NS6detail17trampoline_kernelINS0_14default_configENS1_25partition_config_selectorILNS1_17partition_subalgoE9EllbEEZZNS1_14partition_implILS5_9ELb0ES3_jPlS8_PNS0_10empty_typeENS0_5tupleIJS8_S9_EEENSB_IJS8_SA_EEENS0_18inequality_wrapperIZN2at6native12_GLOBAL__N_124unique_dim_cuda_templateImEESt5tupleIJNSF_6TensorESK_SK_EERKSK_lbbbEUlllE0_EEPmJS9_EEE10hipError_tPvRmT3_T4_T5_T6_T7_T9_mT8_P12ihipStream_tbDpT10_ENKUlT_T0_E_clISt17integral_constantIbLb1EES19_IbLb0EEEEDaS15_S16_EUlS15_E_NS1_11comp_targetILNS1_3genE5ELNS1_11target_archE942ELNS1_3gpuE9ELNS1_3repE0EEENS1_30default_config_static_selectorELNS0_4arch9wavefront6targetE0EEEvT1_,"axG",@progbits,_ZN7rocprim17ROCPRIM_400000_NS6detail17trampoline_kernelINS0_14default_configENS1_25partition_config_selectorILNS1_17partition_subalgoE9EllbEEZZNS1_14partition_implILS5_9ELb0ES3_jPlS8_PNS0_10empty_typeENS0_5tupleIJS8_S9_EEENSB_IJS8_SA_EEENS0_18inequality_wrapperIZN2at6native12_GLOBAL__N_124unique_dim_cuda_templateImEESt5tupleIJNSF_6TensorESK_SK_EERKSK_lbbbEUlllE0_EEPmJS9_EEE10hipError_tPvRmT3_T4_T5_T6_T7_T9_mT8_P12ihipStream_tbDpT10_ENKUlT_T0_E_clISt17integral_constantIbLb1EES19_IbLb0EEEEDaS15_S16_EUlS15_E_NS1_11comp_targetILNS1_3genE5ELNS1_11target_archE942ELNS1_3gpuE9ELNS1_3repE0EEENS1_30default_config_static_selectorELNS0_4arch9wavefront6targetE0EEEvT1_,comdat
.Lfunc_end1712:
	.size	_ZN7rocprim17ROCPRIM_400000_NS6detail17trampoline_kernelINS0_14default_configENS1_25partition_config_selectorILNS1_17partition_subalgoE9EllbEEZZNS1_14partition_implILS5_9ELb0ES3_jPlS8_PNS0_10empty_typeENS0_5tupleIJS8_S9_EEENSB_IJS8_SA_EEENS0_18inequality_wrapperIZN2at6native12_GLOBAL__N_124unique_dim_cuda_templateImEESt5tupleIJNSF_6TensorESK_SK_EERKSK_lbbbEUlllE0_EEPmJS9_EEE10hipError_tPvRmT3_T4_T5_T6_T7_T9_mT8_P12ihipStream_tbDpT10_ENKUlT_T0_E_clISt17integral_constantIbLb1EES19_IbLb0EEEEDaS15_S16_EUlS15_E_NS1_11comp_targetILNS1_3genE5ELNS1_11target_archE942ELNS1_3gpuE9ELNS1_3repE0EEENS1_30default_config_static_selectorELNS0_4arch9wavefront6targetE0EEEvT1_, .Lfunc_end1712-_ZN7rocprim17ROCPRIM_400000_NS6detail17trampoline_kernelINS0_14default_configENS1_25partition_config_selectorILNS1_17partition_subalgoE9EllbEEZZNS1_14partition_implILS5_9ELb0ES3_jPlS8_PNS0_10empty_typeENS0_5tupleIJS8_S9_EEENSB_IJS8_SA_EEENS0_18inequality_wrapperIZN2at6native12_GLOBAL__N_124unique_dim_cuda_templateImEESt5tupleIJNSF_6TensorESK_SK_EERKSK_lbbbEUlllE0_EEPmJS9_EEE10hipError_tPvRmT3_T4_T5_T6_T7_T9_mT8_P12ihipStream_tbDpT10_ENKUlT_T0_E_clISt17integral_constantIbLb1EES19_IbLb0EEEEDaS15_S16_EUlS15_E_NS1_11comp_targetILNS1_3genE5ELNS1_11target_archE942ELNS1_3gpuE9ELNS1_3repE0EEENS1_30default_config_static_selectorELNS0_4arch9wavefront6targetE0EEEvT1_
                                        ; -- End function
	.set _ZN7rocprim17ROCPRIM_400000_NS6detail17trampoline_kernelINS0_14default_configENS1_25partition_config_selectorILNS1_17partition_subalgoE9EllbEEZZNS1_14partition_implILS5_9ELb0ES3_jPlS8_PNS0_10empty_typeENS0_5tupleIJS8_S9_EEENSB_IJS8_SA_EEENS0_18inequality_wrapperIZN2at6native12_GLOBAL__N_124unique_dim_cuda_templateImEESt5tupleIJNSF_6TensorESK_SK_EERKSK_lbbbEUlllE0_EEPmJS9_EEE10hipError_tPvRmT3_T4_T5_T6_T7_T9_mT8_P12ihipStream_tbDpT10_ENKUlT_T0_E_clISt17integral_constantIbLb1EES19_IbLb0EEEEDaS15_S16_EUlS15_E_NS1_11comp_targetILNS1_3genE5ELNS1_11target_archE942ELNS1_3gpuE9ELNS1_3repE0EEENS1_30default_config_static_selectorELNS0_4arch9wavefront6targetE0EEEvT1_.num_vgpr, 0
	.set _ZN7rocprim17ROCPRIM_400000_NS6detail17trampoline_kernelINS0_14default_configENS1_25partition_config_selectorILNS1_17partition_subalgoE9EllbEEZZNS1_14partition_implILS5_9ELb0ES3_jPlS8_PNS0_10empty_typeENS0_5tupleIJS8_S9_EEENSB_IJS8_SA_EEENS0_18inequality_wrapperIZN2at6native12_GLOBAL__N_124unique_dim_cuda_templateImEESt5tupleIJNSF_6TensorESK_SK_EERKSK_lbbbEUlllE0_EEPmJS9_EEE10hipError_tPvRmT3_T4_T5_T6_T7_T9_mT8_P12ihipStream_tbDpT10_ENKUlT_T0_E_clISt17integral_constantIbLb1EES19_IbLb0EEEEDaS15_S16_EUlS15_E_NS1_11comp_targetILNS1_3genE5ELNS1_11target_archE942ELNS1_3gpuE9ELNS1_3repE0EEENS1_30default_config_static_selectorELNS0_4arch9wavefront6targetE0EEEvT1_.num_agpr, 0
	.set _ZN7rocprim17ROCPRIM_400000_NS6detail17trampoline_kernelINS0_14default_configENS1_25partition_config_selectorILNS1_17partition_subalgoE9EllbEEZZNS1_14partition_implILS5_9ELb0ES3_jPlS8_PNS0_10empty_typeENS0_5tupleIJS8_S9_EEENSB_IJS8_SA_EEENS0_18inequality_wrapperIZN2at6native12_GLOBAL__N_124unique_dim_cuda_templateImEESt5tupleIJNSF_6TensorESK_SK_EERKSK_lbbbEUlllE0_EEPmJS9_EEE10hipError_tPvRmT3_T4_T5_T6_T7_T9_mT8_P12ihipStream_tbDpT10_ENKUlT_T0_E_clISt17integral_constantIbLb1EES19_IbLb0EEEEDaS15_S16_EUlS15_E_NS1_11comp_targetILNS1_3genE5ELNS1_11target_archE942ELNS1_3gpuE9ELNS1_3repE0EEENS1_30default_config_static_selectorELNS0_4arch9wavefront6targetE0EEEvT1_.numbered_sgpr, 0
	.set _ZN7rocprim17ROCPRIM_400000_NS6detail17trampoline_kernelINS0_14default_configENS1_25partition_config_selectorILNS1_17partition_subalgoE9EllbEEZZNS1_14partition_implILS5_9ELb0ES3_jPlS8_PNS0_10empty_typeENS0_5tupleIJS8_S9_EEENSB_IJS8_SA_EEENS0_18inequality_wrapperIZN2at6native12_GLOBAL__N_124unique_dim_cuda_templateImEESt5tupleIJNSF_6TensorESK_SK_EERKSK_lbbbEUlllE0_EEPmJS9_EEE10hipError_tPvRmT3_T4_T5_T6_T7_T9_mT8_P12ihipStream_tbDpT10_ENKUlT_T0_E_clISt17integral_constantIbLb1EES19_IbLb0EEEEDaS15_S16_EUlS15_E_NS1_11comp_targetILNS1_3genE5ELNS1_11target_archE942ELNS1_3gpuE9ELNS1_3repE0EEENS1_30default_config_static_selectorELNS0_4arch9wavefront6targetE0EEEvT1_.num_named_barrier, 0
	.set _ZN7rocprim17ROCPRIM_400000_NS6detail17trampoline_kernelINS0_14default_configENS1_25partition_config_selectorILNS1_17partition_subalgoE9EllbEEZZNS1_14partition_implILS5_9ELb0ES3_jPlS8_PNS0_10empty_typeENS0_5tupleIJS8_S9_EEENSB_IJS8_SA_EEENS0_18inequality_wrapperIZN2at6native12_GLOBAL__N_124unique_dim_cuda_templateImEESt5tupleIJNSF_6TensorESK_SK_EERKSK_lbbbEUlllE0_EEPmJS9_EEE10hipError_tPvRmT3_T4_T5_T6_T7_T9_mT8_P12ihipStream_tbDpT10_ENKUlT_T0_E_clISt17integral_constantIbLb1EES19_IbLb0EEEEDaS15_S16_EUlS15_E_NS1_11comp_targetILNS1_3genE5ELNS1_11target_archE942ELNS1_3gpuE9ELNS1_3repE0EEENS1_30default_config_static_selectorELNS0_4arch9wavefront6targetE0EEEvT1_.private_seg_size, 0
	.set _ZN7rocprim17ROCPRIM_400000_NS6detail17trampoline_kernelINS0_14default_configENS1_25partition_config_selectorILNS1_17partition_subalgoE9EllbEEZZNS1_14partition_implILS5_9ELb0ES3_jPlS8_PNS0_10empty_typeENS0_5tupleIJS8_S9_EEENSB_IJS8_SA_EEENS0_18inequality_wrapperIZN2at6native12_GLOBAL__N_124unique_dim_cuda_templateImEESt5tupleIJNSF_6TensorESK_SK_EERKSK_lbbbEUlllE0_EEPmJS9_EEE10hipError_tPvRmT3_T4_T5_T6_T7_T9_mT8_P12ihipStream_tbDpT10_ENKUlT_T0_E_clISt17integral_constantIbLb1EES19_IbLb0EEEEDaS15_S16_EUlS15_E_NS1_11comp_targetILNS1_3genE5ELNS1_11target_archE942ELNS1_3gpuE9ELNS1_3repE0EEENS1_30default_config_static_selectorELNS0_4arch9wavefront6targetE0EEEvT1_.uses_vcc, 0
	.set _ZN7rocprim17ROCPRIM_400000_NS6detail17trampoline_kernelINS0_14default_configENS1_25partition_config_selectorILNS1_17partition_subalgoE9EllbEEZZNS1_14partition_implILS5_9ELb0ES3_jPlS8_PNS0_10empty_typeENS0_5tupleIJS8_S9_EEENSB_IJS8_SA_EEENS0_18inequality_wrapperIZN2at6native12_GLOBAL__N_124unique_dim_cuda_templateImEESt5tupleIJNSF_6TensorESK_SK_EERKSK_lbbbEUlllE0_EEPmJS9_EEE10hipError_tPvRmT3_T4_T5_T6_T7_T9_mT8_P12ihipStream_tbDpT10_ENKUlT_T0_E_clISt17integral_constantIbLb1EES19_IbLb0EEEEDaS15_S16_EUlS15_E_NS1_11comp_targetILNS1_3genE5ELNS1_11target_archE942ELNS1_3gpuE9ELNS1_3repE0EEENS1_30default_config_static_selectorELNS0_4arch9wavefront6targetE0EEEvT1_.uses_flat_scratch, 0
	.set _ZN7rocprim17ROCPRIM_400000_NS6detail17trampoline_kernelINS0_14default_configENS1_25partition_config_selectorILNS1_17partition_subalgoE9EllbEEZZNS1_14partition_implILS5_9ELb0ES3_jPlS8_PNS0_10empty_typeENS0_5tupleIJS8_S9_EEENSB_IJS8_SA_EEENS0_18inequality_wrapperIZN2at6native12_GLOBAL__N_124unique_dim_cuda_templateImEESt5tupleIJNSF_6TensorESK_SK_EERKSK_lbbbEUlllE0_EEPmJS9_EEE10hipError_tPvRmT3_T4_T5_T6_T7_T9_mT8_P12ihipStream_tbDpT10_ENKUlT_T0_E_clISt17integral_constantIbLb1EES19_IbLb0EEEEDaS15_S16_EUlS15_E_NS1_11comp_targetILNS1_3genE5ELNS1_11target_archE942ELNS1_3gpuE9ELNS1_3repE0EEENS1_30default_config_static_selectorELNS0_4arch9wavefront6targetE0EEEvT1_.has_dyn_sized_stack, 0
	.set _ZN7rocprim17ROCPRIM_400000_NS6detail17trampoline_kernelINS0_14default_configENS1_25partition_config_selectorILNS1_17partition_subalgoE9EllbEEZZNS1_14partition_implILS5_9ELb0ES3_jPlS8_PNS0_10empty_typeENS0_5tupleIJS8_S9_EEENSB_IJS8_SA_EEENS0_18inequality_wrapperIZN2at6native12_GLOBAL__N_124unique_dim_cuda_templateImEESt5tupleIJNSF_6TensorESK_SK_EERKSK_lbbbEUlllE0_EEPmJS9_EEE10hipError_tPvRmT3_T4_T5_T6_T7_T9_mT8_P12ihipStream_tbDpT10_ENKUlT_T0_E_clISt17integral_constantIbLb1EES19_IbLb0EEEEDaS15_S16_EUlS15_E_NS1_11comp_targetILNS1_3genE5ELNS1_11target_archE942ELNS1_3gpuE9ELNS1_3repE0EEENS1_30default_config_static_selectorELNS0_4arch9wavefront6targetE0EEEvT1_.has_recursion, 0
	.set _ZN7rocprim17ROCPRIM_400000_NS6detail17trampoline_kernelINS0_14default_configENS1_25partition_config_selectorILNS1_17partition_subalgoE9EllbEEZZNS1_14partition_implILS5_9ELb0ES3_jPlS8_PNS0_10empty_typeENS0_5tupleIJS8_S9_EEENSB_IJS8_SA_EEENS0_18inequality_wrapperIZN2at6native12_GLOBAL__N_124unique_dim_cuda_templateImEESt5tupleIJNSF_6TensorESK_SK_EERKSK_lbbbEUlllE0_EEPmJS9_EEE10hipError_tPvRmT3_T4_T5_T6_T7_T9_mT8_P12ihipStream_tbDpT10_ENKUlT_T0_E_clISt17integral_constantIbLb1EES19_IbLb0EEEEDaS15_S16_EUlS15_E_NS1_11comp_targetILNS1_3genE5ELNS1_11target_archE942ELNS1_3gpuE9ELNS1_3repE0EEENS1_30default_config_static_selectorELNS0_4arch9wavefront6targetE0EEEvT1_.has_indirect_call, 0
	.section	.AMDGPU.csdata,"",@progbits
; Kernel info:
; codeLenInByte = 0
; TotalNumSgprs: 0
; NumVgprs: 0
; ScratchSize: 0
; MemoryBound: 0
; FloatMode: 240
; IeeeMode: 1
; LDSByteSize: 0 bytes/workgroup (compile time only)
; SGPRBlocks: 0
; VGPRBlocks: 0
; NumSGPRsForWavesPerEU: 1
; NumVGPRsForWavesPerEU: 1
; NamedBarCnt: 0
; Occupancy: 16
; WaveLimiterHint : 0
; COMPUTE_PGM_RSRC2:SCRATCH_EN: 0
; COMPUTE_PGM_RSRC2:USER_SGPR: 2
; COMPUTE_PGM_RSRC2:TRAP_HANDLER: 0
; COMPUTE_PGM_RSRC2:TGID_X_EN: 1
; COMPUTE_PGM_RSRC2:TGID_Y_EN: 0
; COMPUTE_PGM_RSRC2:TGID_Z_EN: 0
; COMPUTE_PGM_RSRC2:TIDIG_COMP_CNT: 0
	.section	.text._ZN7rocprim17ROCPRIM_400000_NS6detail17trampoline_kernelINS0_14default_configENS1_25partition_config_selectorILNS1_17partition_subalgoE9EllbEEZZNS1_14partition_implILS5_9ELb0ES3_jPlS8_PNS0_10empty_typeENS0_5tupleIJS8_S9_EEENSB_IJS8_SA_EEENS0_18inequality_wrapperIZN2at6native12_GLOBAL__N_124unique_dim_cuda_templateImEESt5tupleIJNSF_6TensorESK_SK_EERKSK_lbbbEUlllE0_EEPmJS9_EEE10hipError_tPvRmT3_T4_T5_T6_T7_T9_mT8_P12ihipStream_tbDpT10_ENKUlT_T0_E_clISt17integral_constantIbLb1EES19_IbLb0EEEEDaS15_S16_EUlS15_E_NS1_11comp_targetILNS1_3genE4ELNS1_11target_archE910ELNS1_3gpuE8ELNS1_3repE0EEENS1_30default_config_static_selectorELNS0_4arch9wavefront6targetE0EEEvT1_,"axG",@progbits,_ZN7rocprim17ROCPRIM_400000_NS6detail17trampoline_kernelINS0_14default_configENS1_25partition_config_selectorILNS1_17partition_subalgoE9EllbEEZZNS1_14partition_implILS5_9ELb0ES3_jPlS8_PNS0_10empty_typeENS0_5tupleIJS8_S9_EEENSB_IJS8_SA_EEENS0_18inequality_wrapperIZN2at6native12_GLOBAL__N_124unique_dim_cuda_templateImEESt5tupleIJNSF_6TensorESK_SK_EERKSK_lbbbEUlllE0_EEPmJS9_EEE10hipError_tPvRmT3_T4_T5_T6_T7_T9_mT8_P12ihipStream_tbDpT10_ENKUlT_T0_E_clISt17integral_constantIbLb1EES19_IbLb0EEEEDaS15_S16_EUlS15_E_NS1_11comp_targetILNS1_3genE4ELNS1_11target_archE910ELNS1_3gpuE8ELNS1_3repE0EEENS1_30default_config_static_selectorELNS0_4arch9wavefront6targetE0EEEvT1_,comdat
	.globl	_ZN7rocprim17ROCPRIM_400000_NS6detail17trampoline_kernelINS0_14default_configENS1_25partition_config_selectorILNS1_17partition_subalgoE9EllbEEZZNS1_14partition_implILS5_9ELb0ES3_jPlS8_PNS0_10empty_typeENS0_5tupleIJS8_S9_EEENSB_IJS8_SA_EEENS0_18inequality_wrapperIZN2at6native12_GLOBAL__N_124unique_dim_cuda_templateImEESt5tupleIJNSF_6TensorESK_SK_EERKSK_lbbbEUlllE0_EEPmJS9_EEE10hipError_tPvRmT3_T4_T5_T6_T7_T9_mT8_P12ihipStream_tbDpT10_ENKUlT_T0_E_clISt17integral_constantIbLb1EES19_IbLb0EEEEDaS15_S16_EUlS15_E_NS1_11comp_targetILNS1_3genE4ELNS1_11target_archE910ELNS1_3gpuE8ELNS1_3repE0EEENS1_30default_config_static_selectorELNS0_4arch9wavefront6targetE0EEEvT1_ ; -- Begin function _ZN7rocprim17ROCPRIM_400000_NS6detail17trampoline_kernelINS0_14default_configENS1_25partition_config_selectorILNS1_17partition_subalgoE9EllbEEZZNS1_14partition_implILS5_9ELb0ES3_jPlS8_PNS0_10empty_typeENS0_5tupleIJS8_S9_EEENSB_IJS8_SA_EEENS0_18inequality_wrapperIZN2at6native12_GLOBAL__N_124unique_dim_cuda_templateImEESt5tupleIJNSF_6TensorESK_SK_EERKSK_lbbbEUlllE0_EEPmJS9_EEE10hipError_tPvRmT3_T4_T5_T6_T7_T9_mT8_P12ihipStream_tbDpT10_ENKUlT_T0_E_clISt17integral_constantIbLb1EES19_IbLb0EEEEDaS15_S16_EUlS15_E_NS1_11comp_targetILNS1_3genE4ELNS1_11target_archE910ELNS1_3gpuE8ELNS1_3repE0EEENS1_30default_config_static_selectorELNS0_4arch9wavefront6targetE0EEEvT1_
	.p2align	8
	.type	_ZN7rocprim17ROCPRIM_400000_NS6detail17trampoline_kernelINS0_14default_configENS1_25partition_config_selectorILNS1_17partition_subalgoE9EllbEEZZNS1_14partition_implILS5_9ELb0ES3_jPlS8_PNS0_10empty_typeENS0_5tupleIJS8_S9_EEENSB_IJS8_SA_EEENS0_18inequality_wrapperIZN2at6native12_GLOBAL__N_124unique_dim_cuda_templateImEESt5tupleIJNSF_6TensorESK_SK_EERKSK_lbbbEUlllE0_EEPmJS9_EEE10hipError_tPvRmT3_T4_T5_T6_T7_T9_mT8_P12ihipStream_tbDpT10_ENKUlT_T0_E_clISt17integral_constantIbLb1EES19_IbLb0EEEEDaS15_S16_EUlS15_E_NS1_11comp_targetILNS1_3genE4ELNS1_11target_archE910ELNS1_3gpuE8ELNS1_3repE0EEENS1_30default_config_static_selectorELNS0_4arch9wavefront6targetE0EEEvT1_,@function
_ZN7rocprim17ROCPRIM_400000_NS6detail17trampoline_kernelINS0_14default_configENS1_25partition_config_selectorILNS1_17partition_subalgoE9EllbEEZZNS1_14partition_implILS5_9ELb0ES3_jPlS8_PNS0_10empty_typeENS0_5tupleIJS8_S9_EEENSB_IJS8_SA_EEENS0_18inequality_wrapperIZN2at6native12_GLOBAL__N_124unique_dim_cuda_templateImEESt5tupleIJNSF_6TensorESK_SK_EERKSK_lbbbEUlllE0_EEPmJS9_EEE10hipError_tPvRmT3_T4_T5_T6_T7_T9_mT8_P12ihipStream_tbDpT10_ENKUlT_T0_E_clISt17integral_constantIbLb1EES19_IbLb0EEEEDaS15_S16_EUlS15_E_NS1_11comp_targetILNS1_3genE4ELNS1_11target_archE910ELNS1_3gpuE8ELNS1_3repE0EEENS1_30default_config_static_selectorELNS0_4arch9wavefront6targetE0EEEvT1_: ; @_ZN7rocprim17ROCPRIM_400000_NS6detail17trampoline_kernelINS0_14default_configENS1_25partition_config_selectorILNS1_17partition_subalgoE9EllbEEZZNS1_14partition_implILS5_9ELb0ES3_jPlS8_PNS0_10empty_typeENS0_5tupleIJS8_S9_EEENSB_IJS8_SA_EEENS0_18inequality_wrapperIZN2at6native12_GLOBAL__N_124unique_dim_cuda_templateImEESt5tupleIJNSF_6TensorESK_SK_EERKSK_lbbbEUlllE0_EEPmJS9_EEE10hipError_tPvRmT3_T4_T5_T6_T7_T9_mT8_P12ihipStream_tbDpT10_ENKUlT_T0_E_clISt17integral_constantIbLb1EES19_IbLb0EEEEDaS15_S16_EUlS15_E_NS1_11comp_targetILNS1_3genE4ELNS1_11target_archE910ELNS1_3gpuE8ELNS1_3repE0EEENS1_30default_config_static_selectorELNS0_4arch9wavefront6targetE0EEEvT1_
; %bb.0:
	.section	.rodata,"a",@progbits
	.p2align	6, 0x0
	.amdhsa_kernel _ZN7rocprim17ROCPRIM_400000_NS6detail17trampoline_kernelINS0_14default_configENS1_25partition_config_selectorILNS1_17partition_subalgoE9EllbEEZZNS1_14partition_implILS5_9ELb0ES3_jPlS8_PNS0_10empty_typeENS0_5tupleIJS8_S9_EEENSB_IJS8_SA_EEENS0_18inequality_wrapperIZN2at6native12_GLOBAL__N_124unique_dim_cuda_templateImEESt5tupleIJNSF_6TensorESK_SK_EERKSK_lbbbEUlllE0_EEPmJS9_EEE10hipError_tPvRmT3_T4_T5_T6_T7_T9_mT8_P12ihipStream_tbDpT10_ENKUlT_T0_E_clISt17integral_constantIbLb1EES19_IbLb0EEEEDaS15_S16_EUlS15_E_NS1_11comp_targetILNS1_3genE4ELNS1_11target_archE910ELNS1_3gpuE8ELNS1_3repE0EEENS1_30default_config_static_selectorELNS0_4arch9wavefront6targetE0EEEvT1_
		.amdhsa_group_segment_fixed_size 0
		.amdhsa_private_segment_fixed_size 0
		.amdhsa_kernarg_size 120
		.amdhsa_user_sgpr_count 2
		.amdhsa_user_sgpr_dispatch_ptr 0
		.amdhsa_user_sgpr_queue_ptr 0
		.amdhsa_user_sgpr_kernarg_segment_ptr 1
		.amdhsa_user_sgpr_dispatch_id 0
		.amdhsa_user_sgpr_kernarg_preload_length 0
		.amdhsa_user_sgpr_kernarg_preload_offset 0
		.amdhsa_user_sgpr_private_segment_size 0
		.amdhsa_wavefront_size32 1
		.amdhsa_uses_dynamic_stack 0
		.amdhsa_enable_private_segment 0
		.amdhsa_system_sgpr_workgroup_id_x 1
		.amdhsa_system_sgpr_workgroup_id_y 0
		.amdhsa_system_sgpr_workgroup_id_z 0
		.amdhsa_system_sgpr_workgroup_info 0
		.amdhsa_system_vgpr_workitem_id 0
		.amdhsa_next_free_vgpr 1
		.amdhsa_next_free_sgpr 1
		.amdhsa_named_barrier_count 0
		.amdhsa_reserve_vcc 0
		.amdhsa_float_round_mode_32 0
		.amdhsa_float_round_mode_16_64 0
		.amdhsa_float_denorm_mode_32 3
		.amdhsa_float_denorm_mode_16_64 3
		.amdhsa_fp16_overflow 0
		.amdhsa_memory_ordered 1
		.amdhsa_forward_progress 1
		.amdhsa_inst_pref_size 0
		.amdhsa_round_robin_scheduling 0
		.amdhsa_exception_fp_ieee_invalid_op 0
		.amdhsa_exception_fp_denorm_src 0
		.amdhsa_exception_fp_ieee_div_zero 0
		.amdhsa_exception_fp_ieee_overflow 0
		.amdhsa_exception_fp_ieee_underflow 0
		.amdhsa_exception_fp_ieee_inexact 0
		.amdhsa_exception_int_div_zero 0
	.end_amdhsa_kernel
	.section	.text._ZN7rocprim17ROCPRIM_400000_NS6detail17trampoline_kernelINS0_14default_configENS1_25partition_config_selectorILNS1_17partition_subalgoE9EllbEEZZNS1_14partition_implILS5_9ELb0ES3_jPlS8_PNS0_10empty_typeENS0_5tupleIJS8_S9_EEENSB_IJS8_SA_EEENS0_18inequality_wrapperIZN2at6native12_GLOBAL__N_124unique_dim_cuda_templateImEESt5tupleIJNSF_6TensorESK_SK_EERKSK_lbbbEUlllE0_EEPmJS9_EEE10hipError_tPvRmT3_T4_T5_T6_T7_T9_mT8_P12ihipStream_tbDpT10_ENKUlT_T0_E_clISt17integral_constantIbLb1EES19_IbLb0EEEEDaS15_S16_EUlS15_E_NS1_11comp_targetILNS1_3genE4ELNS1_11target_archE910ELNS1_3gpuE8ELNS1_3repE0EEENS1_30default_config_static_selectorELNS0_4arch9wavefront6targetE0EEEvT1_,"axG",@progbits,_ZN7rocprim17ROCPRIM_400000_NS6detail17trampoline_kernelINS0_14default_configENS1_25partition_config_selectorILNS1_17partition_subalgoE9EllbEEZZNS1_14partition_implILS5_9ELb0ES3_jPlS8_PNS0_10empty_typeENS0_5tupleIJS8_S9_EEENSB_IJS8_SA_EEENS0_18inequality_wrapperIZN2at6native12_GLOBAL__N_124unique_dim_cuda_templateImEESt5tupleIJNSF_6TensorESK_SK_EERKSK_lbbbEUlllE0_EEPmJS9_EEE10hipError_tPvRmT3_T4_T5_T6_T7_T9_mT8_P12ihipStream_tbDpT10_ENKUlT_T0_E_clISt17integral_constantIbLb1EES19_IbLb0EEEEDaS15_S16_EUlS15_E_NS1_11comp_targetILNS1_3genE4ELNS1_11target_archE910ELNS1_3gpuE8ELNS1_3repE0EEENS1_30default_config_static_selectorELNS0_4arch9wavefront6targetE0EEEvT1_,comdat
.Lfunc_end1713:
	.size	_ZN7rocprim17ROCPRIM_400000_NS6detail17trampoline_kernelINS0_14default_configENS1_25partition_config_selectorILNS1_17partition_subalgoE9EllbEEZZNS1_14partition_implILS5_9ELb0ES3_jPlS8_PNS0_10empty_typeENS0_5tupleIJS8_S9_EEENSB_IJS8_SA_EEENS0_18inequality_wrapperIZN2at6native12_GLOBAL__N_124unique_dim_cuda_templateImEESt5tupleIJNSF_6TensorESK_SK_EERKSK_lbbbEUlllE0_EEPmJS9_EEE10hipError_tPvRmT3_T4_T5_T6_T7_T9_mT8_P12ihipStream_tbDpT10_ENKUlT_T0_E_clISt17integral_constantIbLb1EES19_IbLb0EEEEDaS15_S16_EUlS15_E_NS1_11comp_targetILNS1_3genE4ELNS1_11target_archE910ELNS1_3gpuE8ELNS1_3repE0EEENS1_30default_config_static_selectorELNS0_4arch9wavefront6targetE0EEEvT1_, .Lfunc_end1713-_ZN7rocprim17ROCPRIM_400000_NS6detail17trampoline_kernelINS0_14default_configENS1_25partition_config_selectorILNS1_17partition_subalgoE9EllbEEZZNS1_14partition_implILS5_9ELb0ES3_jPlS8_PNS0_10empty_typeENS0_5tupleIJS8_S9_EEENSB_IJS8_SA_EEENS0_18inequality_wrapperIZN2at6native12_GLOBAL__N_124unique_dim_cuda_templateImEESt5tupleIJNSF_6TensorESK_SK_EERKSK_lbbbEUlllE0_EEPmJS9_EEE10hipError_tPvRmT3_T4_T5_T6_T7_T9_mT8_P12ihipStream_tbDpT10_ENKUlT_T0_E_clISt17integral_constantIbLb1EES19_IbLb0EEEEDaS15_S16_EUlS15_E_NS1_11comp_targetILNS1_3genE4ELNS1_11target_archE910ELNS1_3gpuE8ELNS1_3repE0EEENS1_30default_config_static_selectorELNS0_4arch9wavefront6targetE0EEEvT1_
                                        ; -- End function
	.set _ZN7rocprim17ROCPRIM_400000_NS6detail17trampoline_kernelINS0_14default_configENS1_25partition_config_selectorILNS1_17partition_subalgoE9EllbEEZZNS1_14partition_implILS5_9ELb0ES3_jPlS8_PNS0_10empty_typeENS0_5tupleIJS8_S9_EEENSB_IJS8_SA_EEENS0_18inequality_wrapperIZN2at6native12_GLOBAL__N_124unique_dim_cuda_templateImEESt5tupleIJNSF_6TensorESK_SK_EERKSK_lbbbEUlllE0_EEPmJS9_EEE10hipError_tPvRmT3_T4_T5_T6_T7_T9_mT8_P12ihipStream_tbDpT10_ENKUlT_T0_E_clISt17integral_constantIbLb1EES19_IbLb0EEEEDaS15_S16_EUlS15_E_NS1_11comp_targetILNS1_3genE4ELNS1_11target_archE910ELNS1_3gpuE8ELNS1_3repE0EEENS1_30default_config_static_selectorELNS0_4arch9wavefront6targetE0EEEvT1_.num_vgpr, 0
	.set _ZN7rocprim17ROCPRIM_400000_NS6detail17trampoline_kernelINS0_14default_configENS1_25partition_config_selectorILNS1_17partition_subalgoE9EllbEEZZNS1_14partition_implILS5_9ELb0ES3_jPlS8_PNS0_10empty_typeENS0_5tupleIJS8_S9_EEENSB_IJS8_SA_EEENS0_18inequality_wrapperIZN2at6native12_GLOBAL__N_124unique_dim_cuda_templateImEESt5tupleIJNSF_6TensorESK_SK_EERKSK_lbbbEUlllE0_EEPmJS9_EEE10hipError_tPvRmT3_T4_T5_T6_T7_T9_mT8_P12ihipStream_tbDpT10_ENKUlT_T0_E_clISt17integral_constantIbLb1EES19_IbLb0EEEEDaS15_S16_EUlS15_E_NS1_11comp_targetILNS1_3genE4ELNS1_11target_archE910ELNS1_3gpuE8ELNS1_3repE0EEENS1_30default_config_static_selectorELNS0_4arch9wavefront6targetE0EEEvT1_.num_agpr, 0
	.set _ZN7rocprim17ROCPRIM_400000_NS6detail17trampoline_kernelINS0_14default_configENS1_25partition_config_selectorILNS1_17partition_subalgoE9EllbEEZZNS1_14partition_implILS5_9ELb0ES3_jPlS8_PNS0_10empty_typeENS0_5tupleIJS8_S9_EEENSB_IJS8_SA_EEENS0_18inequality_wrapperIZN2at6native12_GLOBAL__N_124unique_dim_cuda_templateImEESt5tupleIJNSF_6TensorESK_SK_EERKSK_lbbbEUlllE0_EEPmJS9_EEE10hipError_tPvRmT3_T4_T5_T6_T7_T9_mT8_P12ihipStream_tbDpT10_ENKUlT_T0_E_clISt17integral_constantIbLb1EES19_IbLb0EEEEDaS15_S16_EUlS15_E_NS1_11comp_targetILNS1_3genE4ELNS1_11target_archE910ELNS1_3gpuE8ELNS1_3repE0EEENS1_30default_config_static_selectorELNS0_4arch9wavefront6targetE0EEEvT1_.numbered_sgpr, 0
	.set _ZN7rocprim17ROCPRIM_400000_NS6detail17trampoline_kernelINS0_14default_configENS1_25partition_config_selectorILNS1_17partition_subalgoE9EllbEEZZNS1_14partition_implILS5_9ELb0ES3_jPlS8_PNS0_10empty_typeENS0_5tupleIJS8_S9_EEENSB_IJS8_SA_EEENS0_18inequality_wrapperIZN2at6native12_GLOBAL__N_124unique_dim_cuda_templateImEESt5tupleIJNSF_6TensorESK_SK_EERKSK_lbbbEUlllE0_EEPmJS9_EEE10hipError_tPvRmT3_T4_T5_T6_T7_T9_mT8_P12ihipStream_tbDpT10_ENKUlT_T0_E_clISt17integral_constantIbLb1EES19_IbLb0EEEEDaS15_S16_EUlS15_E_NS1_11comp_targetILNS1_3genE4ELNS1_11target_archE910ELNS1_3gpuE8ELNS1_3repE0EEENS1_30default_config_static_selectorELNS0_4arch9wavefront6targetE0EEEvT1_.num_named_barrier, 0
	.set _ZN7rocprim17ROCPRIM_400000_NS6detail17trampoline_kernelINS0_14default_configENS1_25partition_config_selectorILNS1_17partition_subalgoE9EllbEEZZNS1_14partition_implILS5_9ELb0ES3_jPlS8_PNS0_10empty_typeENS0_5tupleIJS8_S9_EEENSB_IJS8_SA_EEENS0_18inequality_wrapperIZN2at6native12_GLOBAL__N_124unique_dim_cuda_templateImEESt5tupleIJNSF_6TensorESK_SK_EERKSK_lbbbEUlllE0_EEPmJS9_EEE10hipError_tPvRmT3_T4_T5_T6_T7_T9_mT8_P12ihipStream_tbDpT10_ENKUlT_T0_E_clISt17integral_constantIbLb1EES19_IbLb0EEEEDaS15_S16_EUlS15_E_NS1_11comp_targetILNS1_3genE4ELNS1_11target_archE910ELNS1_3gpuE8ELNS1_3repE0EEENS1_30default_config_static_selectorELNS0_4arch9wavefront6targetE0EEEvT1_.private_seg_size, 0
	.set _ZN7rocprim17ROCPRIM_400000_NS6detail17trampoline_kernelINS0_14default_configENS1_25partition_config_selectorILNS1_17partition_subalgoE9EllbEEZZNS1_14partition_implILS5_9ELb0ES3_jPlS8_PNS0_10empty_typeENS0_5tupleIJS8_S9_EEENSB_IJS8_SA_EEENS0_18inequality_wrapperIZN2at6native12_GLOBAL__N_124unique_dim_cuda_templateImEESt5tupleIJNSF_6TensorESK_SK_EERKSK_lbbbEUlllE0_EEPmJS9_EEE10hipError_tPvRmT3_T4_T5_T6_T7_T9_mT8_P12ihipStream_tbDpT10_ENKUlT_T0_E_clISt17integral_constantIbLb1EES19_IbLb0EEEEDaS15_S16_EUlS15_E_NS1_11comp_targetILNS1_3genE4ELNS1_11target_archE910ELNS1_3gpuE8ELNS1_3repE0EEENS1_30default_config_static_selectorELNS0_4arch9wavefront6targetE0EEEvT1_.uses_vcc, 0
	.set _ZN7rocprim17ROCPRIM_400000_NS6detail17trampoline_kernelINS0_14default_configENS1_25partition_config_selectorILNS1_17partition_subalgoE9EllbEEZZNS1_14partition_implILS5_9ELb0ES3_jPlS8_PNS0_10empty_typeENS0_5tupleIJS8_S9_EEENSB_IJS8_SA_EEENS0_18inequality_wrapperIZN2at6native12_GLOBAL__N_124unique_dim_cuda_templateImEESt5tupleIJNSF_6TensorESK_SK_EERKSK_lbbbEUlllE0_EEPmJS9_EEE10hipError_tPvRmT3_T4_T5_T6_T7_T9_mT8_P12ihipStream_tbDpT10_ENKUlT_T0_E_clISt17integral_constantIbLb1EES19_IbLb0EEEEDaS15_S16_EUlS15_E_NS1_11comp_targetILNS1_3genE4ELNS1_11target_archE910ELNS1_3gpuE8ELNS1_3repE0EEENS1_30default_config_static_selectorELNS0_4arch9wavefront6targetE0EEEvT1_.uses_flat_scratch, 0
	.set _ZN7rocprim17ROCPRIM_400000_NS6detail17trampoline_kernelINS0_14default_configENS1_25partition_config_selectorILNS1_17partition_subalgoE9EllbEEZZNS1_14partition_implILS5_9ELb0ES3_jPlS8_PNS0_10empty_typeENS0_5tupleIJS8_S9_EEENSB_IJS8_SA_EEENS0_18inequality_wrapperIZN2at6native12_GLOBAL__N_124unique_dim_cuda_templateImEESt5tupleIJNSF_6TensorESK_SK_EERKSK_lbbbEUlllE0_EEPmJS9_EEE10hipError_tPvRmT3_T4_T5_T6_T7_T9_mT8_P12ihipStream_tbDpT10_ENKUlT_T0_E_clISt17integral_constantIbLb1EES19_IbLb0EEEEDaS15_S16_EUlS15_E_NS1_11comp_targetILNS1_3genE4ELNS1_11target_archE910ELNS1_3gpuE8ELNS1_3repE0EEENS1_30default_config_static_selectorELNS0_4arch9wavefront6targetE0EEEvT1_.has_dyn_sized_stack, 0
	.set _ZN7rocprim17ROCPRIM_400000_NS6detail17trampoline_kernelINS0_14default_configENS1_25partition_config_selectorILNS1_17partition_subalgoE9EllbEEZZNS1_14partition_implILS5_9ELb0ES3_jPlS8_PNS0_10empty_typeENS0_5tupleIJS8_S9_EEENSB_IJS8_SA_EEENS0_18inequality_wrapperIZN2at6native12_GLOBAL__N_124unique_dim_cuda_templateImEESt5tupleIJNSF_6TensorESK_SK_EERKSK_lbbbEUlllE0_EEPmJS9_EEE10hipError_tPvRmT3_T4_T5_T6_T7_T9_mT8_P12ihipStream_tbDpT10_ENKUlT_T0_E_clISt17integral_constantIbLb1EES19_IbLb0EEEEDaS15_S16_EUlS15_E_NS1_11comp_targetILNS1_3genE4ELNS1_11target_archE910ELNS1_3gpuE8ELNS1_3repE0EEENS1_30default_config_static_selectorELNS0_4arch9wavefront6targetE0EEEvT1_.has_recursion, 0
	.set _ZN7rocprim17ROCPRIM_400000_NS6detail17trampoline_kernelINS0_14default_configENS1_25partition_config_selectorILNS1_17partition_subalgoE9EllbEEZZNS1_14partition_implILS5_9ELb0ES3_jPlS8_PNS0_10empty_typeENS0_5tupleIJS8_S9_EEENSB_IJS8_SA_EEENS0_18inequality_wrapperIZN2at6native12_GLOBAL__N_124unique_dim_cuda_templateImEESt5tupleIJNSF_6TensorESK_SK_EERKSK_lbbbEUlllE0_EEPmJS9_EEE10hipError_tPvRmT3_T4_T5_T6_T7_T9_mT8_P12ihipStream_tbDpT10_ENKUlT_T0_E_clISt17integral_constantIbLb1EES19_IbLb0EEEEDaS15_S16_EUlS15_E_NS1_11comp_targetILNS1_3genE4ELNS1_11target_archE910ELNS1_3gpuE8ELNS1_3repE0EEENS1_30default_config_static_selectorELNS0_4arch9wavefront6targetE0EEEvT1_.has_indirect_call, 0
	.section	.AMDGPU.csdata,"",@progbits
; Kernel info:
; codeLenInByte = 0
; TotalNumSgprs: 0
; NumVgprs: 0
; ScratchSize: 0
; MemoryBound: 0
; FloatMode: 240
; IeeeMode: 1
; LDSByteSize: 0 bytes/workgroup (compile time only)
; SGPRBlocks: 0
; VGPRBlocks: 0
; NumSGPRsForWavesPerEU: 1
; NumVGPRsForWavesPerEU: 1
; NamedBarCnt: 0
; Occupancy: 16
; WaveLimiterHint : 0
; COMPUTE_PGM_RSRC2:SCRATCH_EN: 0
; COMPUTE_PGM_RSRC2:USER_SGPR: 2
; COMPUTE_PGM_RSRC2:TRAP_HANDLER: 0
; COMPUTE_PGM_RSRC2:TGID_X_EN: 1
; COMPUTE_PGM_RSRC2:TGID_Y_EN: 0
; COMPUTE_PGM_RSRC2:TGID_Z_EN: 0
; COMPUTE_PGM_RSRC2:TIDIG_COMP_CNT: 0
	.section	.text._ZN7rocprim17ROCPRIM_400000_NS6detail17trampoline_kernelINS0_14default_configENS1_25partition_config_selectorILNS1_17partition_subalgoE9EllbEEZZNS1_14partition_implILS5_9ELb0ES3_jPlS8_PNS0_10empty_typeENS0_5tupleIJS8_S9_EEENSB_IJS8_SA_EEENS0_18inequality_wrapperIZN2at6native12_GLOBAL__N_124unique_dim_cuda_templateImEESt5tupleIJNSF_6TensorESK_SK_EERKSK_lbbbEUlllE0_EEPmJS9_EEE10hipError_tPvRmT3_T4_T5_T6_T7_T9_mT8_P12ihipStream_tbDpT10_ENKUlT_T0_E_clISt17integral_constantIbLb1EES19_IbLb0EEEEDaS15_S16_EUlS15_E_NS1_11comp_targetILNS1_3genE3ELNS1_11target_archE908ELNS1_3gpuE7ELNS1_3repE0EEENS1_30default_config_static_selectorELNS0_4arch9wavefront6targetE0EEEvT1_,"axG",@progbits,_ZN7rocprim17ROCPRIM_400000_NS6detail17trampoline_kernelINS0_14default_configENS1_25partition_config_selectorILNS1_17partition_subalgoE9EllbEEZZNS1_14partition_implILS5_9ELb0ES3_jPlS8_PNS0_10empty_typeENS0_5tupleIJS8_S9_EEENSB_IJS8_SA_EEENS0_18inequality_wrapperIZN2at6native12_GLOBAL__N_124unique_dim_cuda_templateImEESt5tupleIJNSF_6TensorESK_SK_EERKSK_lbbbEUlllE0_EEPmJS9_EEE10hipError_tPvRmT3_T4_T5_T6_T7_T9_mT8_P12ihipStream_tbDpT10_ENKUlT_T0_E_clISt17integral_constantIbLb1EES19_IbLb0EEEEDaS15_S16_EUlS15_E_NS1_11comp_targetILNS1_3genE3ELNS1_11target_archE908ELNS1_3gpuE7ELNS1_3repE0EEENS1_30default_config_static_selectorELNS0_4arch9wavefront6targetE0EEEvT1_,comdat
	.globl	_ZN7rocprim17ROCPRIM_400000_NS6detail17trampoline_kernelINS0_14default_configENS1_25partition_config_selectorILNS1_17partition_subalgoE9EllbEEZZNS1_14partition_implILS5_9ELb0ES3_jPlS8_PNS0_10empty_typeENS0_5tupleIJS8_S9_EEENSB_IJS8_SA_EEENS0_18inequality_wrapperIZN2at6native12_GLOBAL__N_124unique_dim_cuda_templateImEESt5tupleIJNSF_6TensorESK_SK_EERKSK_lbbbEUlllE0_EEPmJS9_EEE10hipError_tPvRmT3_T4_T5_T6_T7_T9_mT8_P12ihipStream_tbDpT10_ENKUlT_T0_E_clISt17integral_constantIbLb1EES19_IbLb0EEEEDaS15_S16_EUlS15_E_NS1_11comp_targetILNS1_3genE3ELNS1_11target_archE908ELNS1_3gpuE7ELNS1_3repE0EEENS1_30default_config_static_selectorELNS0_4arch9wavefront6targetE0EEEvT1_ ; -- Begin function _ZN7rocprim17ROCPRIM_400000_NS6detail17trampoline_kernelINS0_14default_configENS1_25partition_config_selectorILNS1_17partition_subalgoE9EllbEEZZNS1_14partition_implILS5_9ELb0ES3_jPlS8_PNS0_10empty_typeENS0_5tupleIJS8_S9_EEENSB_IJS8_SA_EEENS0_18inequality_wrapperIZN2at6native12_GLOBAL__N_124unique_dim_cuda_templateImEESt5tupleIJNSF_6TensorESK_SK_EERKSK_lbbbEUlllE0_EEPmJS9_EEE10hipError_tPvRmT3_T4_T5_T6_T7_T9_mT8_P12ihipStream_tbDpT10_ENKUlT_T0_E_clISt17integral_constantIbLb1EES19_IbLb0EEEEDaS15_S16_EUlS15_E_NS1_11comp_targetILNS1_3genE3ELNS1_11target_archE908ELNS1_3gpuE7ELNS1_3repE0EEENS1_30default_config_static_selectorELNS0_4arch9wavefront6targetE0EEEvT1_
	.p2align	8
	.type	_ZN7rocprim17ROCPRIM_400000_NS6detail17trampoline_kernelINS0_14default_configENS1_25partition_config_selectorILNS1_17partition_subalgoE9EllbEEZZNS1_14partition_implILS5_9ELb0ES3_jPlS8_PNS0_10empty_typeENS0_5tupleIJS8_S9_EEENSB_IJS8_SA_EEENS0_18inequality_wrapperIZN2at6native12_GLOBAL__N_124unique_dim_cuda_templateImEESt5tupleIJNSF_6TensorESK_SK_EERKSK_lbbbEUlllE0_EEPmJS9_EEE10hipError_tPvRmT3_T4_T5_T6_T7_T9_mT8_P12ihipStream_tbDpT10_ENKUlT_T0_E_clISt17integral_constantIbLb1EES19_IbLb0EEEEDaS15_S16_EUlS15_E_NS1_11comp_targetILNS1_3genE3ELNS1_11target_archE908ELNS1_3gpuE7ELNS1_3repE0EEENS1_30default_config_static_selectorELNS0_4arch9wavefront6targetE0EEEvT1_,@function
_ZN7rocprim17ROCPRIM_400000_NS6detail17trampoline_kernelINS0_14default_configENS1_25partition_config_selectorILNS1_17partition_subalgoE9EllbEEZZNS1_14partition_implILS5_9ELb0ES3_jPlS8_PNS0_10empty_typeENS0_5tupleIJS8_S9_EEENSB_IJS8_SA_EEENS0_18inequality_wrapperIZN2at6native12_GLOBAL__N_124unique_dim_cuda_templateImEESt5tupleIJNSF_6TensorESK_SK_EERKSK_lbbbEUlllE0_EEPmJS9_EEE10hipError_tPvRmT3_T4_T5_T6_T7_T9_mT8_P12ihipStream_tbDpT10_ENKUlT_T0_E_clISt17integral_constantIbLb1EES19_IbLb0EEEEDaS15_S16_EUlS15_E_NS1_11comp_targetILNS1_3genE3ELNS1_11target_archE908ELNS1_3gpuE7ELNS1_3repE0EEENS1_30default_config_static_selectorELNS0_4arch9wavefront6targetE0EEEvT1_: ; @_ZN7rocprim17ROCPRIM_400000_NS6detail17trampoline_kernelINS0_14default_configENS1_25partition_config_selectorILNS1_17partition_subalgoE9EllbEEZZNS1_14partition_implILS5_9ELb0ES3_jPlS8_PNS0_10empty_typeENS0_5tupleIJS8_S9_EEENSB_IJS8_SA_EEENS0_18inequality_wrapperIZN2at6native12_GLOBAL__N_124unique_dim_cuda_templateImEESt5tupleIJNSF_6TensorESK_SK_EERKSK_lbbbEUlllE0_EEPmJS9_EEE10hipError_tPvRmT3_T4_T5_T6_T7_T9_mT8_P12ihipStream_tbDpT10_ENKUlT_T0_E_clISt17integral_constantIbLb1EES19_IbLb0EEEEDaS15_S16_EUlS15_E_NS1_11comp_targetILNS1_3genE3ELNS1_11target_archE908ELNS1_3gpuE7ELNS1_3repE0EEENS1_30default_config_static_selectorELNS0_4arch9wavefront6targetE0EEEvT1_
; %bb.0:
	.section	.rodata,"a",@progbits
	.p2align	6, 0x0
	.amdhsa_kernel _ZN7rocprim17ROCPRIM_400000_NS6detail17trampoline_kernelINS0_14default_configENS1_25partition_config_selectorILNS1_17partition_subalgoE9EllbEEZZNS1_14partition_implILS5_9ELb0ES3_jPlS8_PNS0_10empty_typeENS0_5tupleIJS8_S9_EEENSB_IJS8_SA_EEENS0_18inequality_wrapperIZN2at6native12_GLOBAL__N_124unique_dim_cuda_templateImEESt5tupleIJNSF_6TensorESK_SK_EERKSK_lbbbEUlllE0_EEPmJS9_EEE10hipError_tPvRmT3_T4_T5_T6_T7_T9_mT8_P12ihipStream_tbDpT10_ENKUlT_T0_E_clISt17integral_constantIbLb1EES19_IbLb0EEEEDaS15_S16_EUlS15_E_NS1_11comp_targetILNS1_3genE3ELNS1_11target_archE908ELNS1_3gpuE7ELNS1_3repE0EEENS1_30default_config_static_selectorELNS0_4arch9wavefront6targetE0EEEvT1_
		.amdhsa_group_segment_fixed_size 0
		.amdhsa_private_segment_fixed_size 0
		.amdhsa_kernarg_size 120
		.amdhsa_user_sgpr_count 2
		.amdhsa_user_sgpr_dispatch_ptr 0
		.amdhsa_user_sgpr_queue_ptr 0
		.amdhsa_user_sgpr_kernarg_segment_ptr 1
		.amdhsa_user_sgpr_dispatch_id 0
		.amdhsa_user_sgpr_kernarg_preload_length 0
		.amdhsa_user_sgpr_kernarg_preload_offset 0
		.amdhsa_user_sgpr_private_segment_size 0
		.amdhsa_wavefront_size32 1
		.amdhsa_uses_dynamic_stack 0
		.amdhsa_enable_private_segment 0
		.amdhsa_system_sgpr_workgroup_id_x 1
		.amdhsa_system_sgpr_workgroup_id_y 0
		.amdhsa_system_sgpr_workgroup_id_z 0
		.amdhsa_system_sgpr_workgroup_info 0
		.amdhsa_system_vgpr_workitem_id 0
		.amdhsa_next_free_vgpr 1
		.amdhsa_next_free_sgpr 1
		.amdhsa_named_barrier_count 0
		.amdhsa_reserve_vcc 0
		.amdhsa_float_round_mode_32 0
		.amdhsa_float_round_mode_16_64 0
		.amdhsa_float_denorm_mode_32 3
		.amdhsa_float_denorm_mode_16_64 3
		.amdhsa_fp16_overflow 0
		.amdhsa_memory_ordered 1
		.amdhsa_forward_progress 1
		.amdhsa_inst_pref_size 0
		.amdhsa_round_robin_scheduling 0
		.amdhsa_exception_fp_ieee_invalid_op 0
		.amdhsa_exception_fp_denorm_src 0
		.amdhsa_exception_fp_ieee_div_zero 0
		.amdhsa_exception_fp_ieee_overflow 0
		.amdhsa_exception_fp_ieee_underflow 0
		.amdhsa_exception_fp_ieee_inexact 0
		.amdhsa_exception_int_div_zero 0
	.end_amdhsa_kernel
	.section	.text._ZN7rocprim17ROCPRIM_400000_NS6detail17trampoline_kernelINS0_14default_configENS1_25partition_config_selectorILNS1_17partition_subalgoE9EllbEEZZNS1_14partition_implILS5_9ELb0ES3_jPlS8_PNS0_10empty_typeENS0_5tupleIJS8_S9_EEENSB_IJS8_SA_EEENS0_18inequality_wrapperIZN2at6native12_GLOBAL__N_124unique_dim_cuda_templateImEESt5tupleIJNSF_6TensorESK_SK_EERKSK_lbbbEUlllE0_EEPmJS9_EEE10hipError_tPvRmT3_T4_T5_T6_T7_T9_mT8_P12ihipStream_tbDpT10_ENKUlT_T0_E_clISt17integral_constantIbLb1EES19_IbLb0EEEEDaS15_S16_EUlS15_E_NS1_11comp_targetILNS1_3genE3ELNS1_11target_archE908ELNS1_3gpuE7ELNS1_3repE0EEENS1_30default_config_static_selectorELNS0_4arch9wavefront6targetE0EEEvT1_,"axG",@progbits,_ZN7rocprim17ROCPRIM_400000_NS6detail17trampoline_kernelINS0_14default_configENS1_25partition_config_selectorILNS1_17partition_subalgoE9EllbEEZZNS1_14partition_implILS5_9ELb0ES3_jPlS8_PNS0_10empty_typeENS0_5tupleIJS8_S9_EEENSB_IJS8_SA_EEENS0_18inequality_wrapperIZN2at6native12_GLOBAL__N_124unique_dim_cuda_templateImEESt5tupleIJNSF_6TensorESK_SK_EERKSK_lbbbEUlllE0_EEPmJS9_EEE10hipError_tPvRmT3_T4_T5_T6_T7_T9_mT8_P12ihipStream_tbDpT10_ENKUlT_T0_E_clISt17integral_constantIbLb1EES19_IbLb0EEEEDaS15_S16_EUlS15_E_NS1_11comp_targetILNS1_3genE3ELNS1_11target_archE908ELNS1_3gpuE7ELNS1_3repE0EEENS1_30default_config_static_selectorELNS0_4arch9wavefront6targetE0EEEvT1_,comdat
.Lfunc_end1714:
	.size	_ZN7rocprim17ROCPRIM_400000_NS6detail17trampoline_kernelINS0_14default_configENS1_25partition_config_selectorILNS1_17partition_subalgoE9EllbEEZZNS1_14partition_implILS5_9ELb0ES3_jPlS8_PNS0_10empty_typeENS0_5tupleIJS8_S9_EEENSB_IJS8_SA_EEENS0_18inequality_wrapperIZN2at6native12_GLOBAL__N_124unique_dim_cuda_templateImEESt5tupleIJNSF_6TensorESK_SK_EERKSK_lbbbEUlllE0_EEPmJS9_EEE10hipError_tPvRmT3_T4_T5_T6_T7_T9_mT8_P12ihipStream_tbDpT10_ENKUlT_T0_E_clISt17integral_constantIbLb1EES19_IbLb0EEEEDaS15_S16_EUlS15_E_NS1_11comp_targetILNS1_3genE3ELNS1_11target_archE908ELNS1_3gpuE7ELNS1_3repE0EEENS1_30default_config_static_selectorELNS0_4arch9wavefront6targetE0EEEvT1_, .Lfunc_end1714-_ZN7rocprim17ROCPRIM_400000_NS6detail17trampoline_kernelINS0_14default_configENS1_25partition_config_selectorILNS1_17partition_subalgoE9EllbEEZZNS1_14partition_implILS5_9ELb0ES3_jPlS8_PNS0_10empty_typeENS0_5tupleIJS8_S9_EEENSB_IJS8_SA_EEENS0_18inequality_wrapperIZN2at6native12_GLOBAL__N_124unique_dim_cuda_templateImEESt5tupleIJNSF_6TensorESK_SK_EERKSK_lbbbEUlllE0_EEPmJS9_EEE10hipError_tPvRmT3_T4_T5_T6_T7_T9_mT8_P12ihipStream_tbDpT10_ENKUlT_T0_E_clISt17integral_constantIbLb1EES19_IbLb0EEEEDaS15_S16_EUlS15_E_NS1_11comp_targetILNS1_3genE3ELNS1_11target_archE908ELNS1_3gpuE7ELNS1_3repE0EEENS1_30default_config_static_selectorELNS0_4arch9wavefront6targetE0EEEvT1_
                                        ; -- End function
	.set _ZN7rocprim17ROCPRIM_400000_NS6detail17trampoline_kernelINS0_14default_configENS1_25partition_config_selectorILNS1_17partition_subalgoE9EllbEEZZNS1_14partition_implILS5_9ELb0ES3_jPlS8_PNS0_10empty_typeENS0_5tupleIJS8_S9_EEENSB_IJS8_SA_EEENS0_18inequality_wrapperIZN2at6native12_GLOBAL__N_124unique_dim_cuda_templateImEESt5tupleIJNSF_6TensorESK_SK_EERKSK_lbbbEUlllE0_EEPmJS9_EEE10hipError_tPvRmT3_T4_T5_T6_T7_T9_mT8_P12ihipStream_tbDpT10_ENKUlT_T0_E_clISt17integral_constantIbLb1EES19_IbLb0EEEEDaS15_S16_EUlS15_E_NS1_11comp_targetILNS1_3genE3ELNS1_11target_archE908ELNS1_3gpuE7ELNS1_3repE0EEENS1_30default_config_static_selectorELNS0_4arch9wavefront6targetE0EEEvT1_.num_vgpr, 0
	.set _ZN7rocprim17ROCPRIM_400000_NS6detail17trampoline_kernelINS0_14default_configENS1_25partition_config_selectorILNS1_17partition_subalgoE9EllbEEZZNS1_14partition_implILS5_9ELb0ES3_jPlS8_PNS0_10empty_typeENS0_5tupleIJS8_S9_EEENSB_IJS8_SA_EEENS0_18inequality_wrapperIZN2at6native12_GLOBAL__N_124unique_dim_cuda_templateImEESt5tupleIJNSF_6TensorESK_SK_EERKSK_lbbbEUlllE0_EEPmJS9_EEE10hipError_tPvRmT3_T4_T5_T6_T7_T9_mT8_P12ihipStream_tbDpT10_ENKUlT_T0_E_clISt17integral_constantIbLb1EES19_IbLb0EEEEDaS15_S16_EUlS15_E_NS1_11comp_targetILNS1_3genE3ELNS1_11target_archE908ELNS1_3gpuE7ELNS1_3repE0EEENS1_30default_config_static_selectorELNS0_4arch9wavefront6targetE0EEEvT1_.num_agpr, 0
	.set _ZN7rocprim17ROCPRIM_400000_NS6detail17trampoline_kernelINS0_14default_configENS1_25partition_config_selectorILNS1_17partition_subalgoE9EllbEEZZNS1_14partition_implILS5_9ELb0ES3_jPlS8_PNS0_10empty_typeENS0_5tupleIJS8_S9_EEENSB_IJS8_SA_EEENS0_18inequality_wrapperIZN2at6native12_GLOBAL__N_124unique_dim_cuda_templateImEESt5tupleIJNSF_6TensorESK_SK_EERKSK_lbbbEUlllE0_EEPmJS9_EEE10hipError_tPvRmT3_T4_T5_T6_T7_T9_mT8_P12ihipStream_tbDpT10_ENKUlT_T0_E_clISt17integral_constantIbLb1EES19_IbLb0EEEEDaS15_S16_EUlS15_E_NS1_11comp_targetILNS1_3genE3ELNS1_11target_archE908ELNS1_3gpuE7ELNS1_3repE0EEENS1_30default_config_static_selectorELNS0_4arch9wavefront6targetE0EEEvT1_.numbered_sgpr, 0
	.set _ZN7rocprim17ROCPRIM_400000_NS6detail17trampoline_kernelINS0_14default_configENS1_25partition_config_selectorILNS1_17partition_subalgoE9EllbEEZZNS1_14partition_implILS5_9ELb0ES3_jPlS8_PNS0_10empty_typeENS0_5tupleIJS8_S9_EEENSB_IJS8_SA_EEENS0_18inequality_wrapperIZN2at6native12_GLOBAL__N_124unique_dim_cuda_templateImEESt5tupleIJNSF_6TensorESK_SK_EERKSK_lbbbEUlllE0_EEPmJS9_EEE10hipError_tPvRmT3_T4_T5_T6_T7_T9_mT8_P12ihipStream_tbDpT10_ENKUlT_T0_E_clISt17integral_constantIbLb1EES19_IbLb0EEEEDaS15_S16_EUlS15_E_NS1_11comp_targetILNS1_3genE3ELNS1_11target_archE908ELNS1_3gpuE7ELNS1_3repE0EEENS1_30default_config_static_selectorELNS0_4arch9wavefront6targetE0EEEvT1_.num_named_barrier, 0
	.set _ZN7rocprim17ROCPRIM_400000_NS6detail17trampoline_kernelINS0_14default_configENS1_25partition_config_selectorILNS1_17partition_subalgoE9EllbEEZZNS1_14partition_implILS5_9ELb0ES3_jPlS8_PNS0_10empty_typeENS0_5tupleIJS8_S9_EEENSB_IJS8_SA_EEENS0_18inequality_wrapperIZN2at6native12_GLOBAL__N_124unique_dim_cuda_templateImEESt5tupleIJNSF_6TensorESK_SK_EERKSK_lbbbEUlllE0_EEPmJS9_EEE10hipError_tPvRmT3_T4_T5_T6_T7_T9_mT8_P12ihipStream_tbDpT10_ENKUlT_T0_E_clISt17integral_constantIbLb1EES19_IbLb0EEEEDaS15_S16_EUlS15_E_NS1_11comp_targetILNS1_3genE3ELNS1_11target_archE908ELNS1_3gpuE7ELNS1_3repE0EEENS1_30default_config_static_selectorELNS0_4arch9wavefront6targetE0EEEvT1_.private_seg_size, 0
	.set _ZN7rocprim17ROCPRIM_400000_NS6detail17trampoline_kernelINS0_14default_configENS1_25partition_config_selectorILNS1_17partition_subalgoE9EllbEEZZNS1_14partition_implILS5_9ELb0ES3_jPlS8_PNS0_10empty_typeENS0_5tupleIJS8_S9_EEENSB_IJS8_SA_EEENS0_18inequality_wrapperIZN2at6native12_GLOBAL__N_124unique_dim_cuda_templateImEESt5tupleIJNSF_6TensorESK_SK_EERKSK_lbbbEUlllE0_EEPmJS9_EEE10hipError_tPvRmT3_T4_T5_T6_T7_T9_mT8_P12ihipStream_tbDpT10_ENKUlT_T0_E_clISt17integral_constantIbLb1EES19_IbLb0EEEEDaS15_S16_EUlS15_E_NS1_11comp_targetILNS1_3genE3ELNS1_11target_archE908ELNS1_3gpuE7ELNS1_3repE0EEENS1_30default_config_static_selectorELNS0_4arch9wavefront6targetE0EEEvT1_.uses_vcc, 0
	.set _ZN7rocprim17ROCPRIM_400000_NS6detail17trampoline_kernelINS0_14default_configENS1_25partition_config_selectorILNS1_17partition_subalgoE9EllbEEZZNS1_14partition_implILS5_9ELb0ES3_jPlS8_PNS0_10empty_typeENS0_5tupleIJS8_S9_EEENSB_IJS8_SA_EEENS0_18inequality_wrapperIZN2at6native12_GLOBAL__N_124unique_dim_cuda_templateImEESt5tupleIJNSF_6TensorESK_SK_EERKSK_lbbbEUlllE0_EEPmJS9_EEE10hipError_tPvRmT3_T4_T5_T6_T7_T9_mT8_P12ihipStream_tbDpT10_ENKUlT_T0_E_clISt17integral_constantIbLb1EES19_IbLb0EEEEDaS15_S16_EUlS15_E_NS1_11comp_targetILNS1_3genE3ELNS1_11target_archE908ELNS1_3gpuE7ELNS1_3repE0EEENS1_30default_config_static_selectorELNS0_4arch9wavefront6targetE0EEEvT1_.uses_flat_scratch, 0
	.set _ZN7rocprim17ROCPRIM_400000_NS6detail17trampoline_kernelINS0_14default_configENS1_25partition_config_selectorILNS1_17partition_subalgoE9EllbEEZZNS1_14partition_implILS5_9ELb0ES3_jPlS8_PNS0_10empty_typeENS0_5tupleIJS8_S9_EEENSB_IJS8_SA_EEENS0_18inequality_wrapperIZN2at6native12_GLOBAL__N_124unique_dim_cuda_templateImEESt5tupleIJNSF_6TensorESK_SK_EERKSK_lbbbEUlllE0_EEPmJS9_EEE10hipError_tPvRmT3_T4_T5_T6_T7_T9_mT8_P12ihipStream_tbDpT10_ENKUlT_T0_E_clISt17integral_constantIbLb1EES19_IbLb0EEEEDaS15_S16_EUlS15_E_NS1_11comp_targetILNS1_3genE3ELNS1_11target_archE908ELNS1_3gpuE7ELNS1_3repE0EEENS1_30default_config_static_selectorELNS0_4arch9wavefront6targetE0EEEvT1_.has_dyn_sized_stack, 0
	.set _ZN7rocprim17ROCPRIM_400000_NS6detail17trampoline_kernelINS0_14default_configENS1_25partition_config_selectorILNS1_17partition_subalgoE9EllbEEZZNS1_14partition_implILS5_9ELb0ES3_jPlS8_PNS0_10empty_typeENS0_5tupleIJS8_S9_EEENSB_IJS8_SA_EEENS0_18inequality_wrapperIZN2at6native12_GLOBAL__N_124unique_dim_cuda_templateImEESt5tupleIJNSF_6TensorESK_SK_EERKSK_lbbbEUlllE0_EEPmJS9_EEE10hipError_tPvRmT3_T4_T5_T6_T7_T9_mT8_P12ihipStream_tbDpT10_ENKUlT_T0_E_clISt17integral_constantIbLb1EES19_IbLb0EEEEDaS15_S16_EUlS15_E_NS1_11comp_targetILNS1_3genE3ELNS1_11target_archE908ELNS1_3gpuE7ELNS1_3repE0EEENS1_30default_config_static_selectorELNS0_4arch9wavefront6targetE0EEEvT1_.has_recursion, 0
	.set _ZN7rocprim17ROCPRIM_400000_NS6detail17trampoline_kernelINS0_14default_configENS1_25partition_config_selectorILNS1_17partition_subalgoE9EllbEEZZNS1_14partition_implILS5_9ELb0ES3_jPlS8_PNS0_10empty_typeENS0_5tupleIJS8_S9_EEENSB_IJS8_SA_EEENS0_18inequality_wrapperIZN2at6native12_GLOBAL__N_124unique_dim_cuda_templateImEESt5tupleIJNSF_6TensorESK_SK_EERKSK_lbbbEUlllE0_EEPmJS9_EEE10hipError_tPvRmT3_T4_T5_T6_T7_T9_mT8_P12ihipStream_tbDpT10_ENKUlT_T0_E_clISt17integral_constantIbLb1EES19_IbLb0EEEEDaS15_S16_EUlS15_E_NS1_11comp_targetILNS1_3genE3ELNS1_11target_archE908ELNS1_3gpuE7ELNS1_3repE0EEENS1_30default_config_static_selectorELNS0_4arch9wavefront6targetE0EEEvT1_.has_indirect_call, 0
	.section	.AMDGPU.csdata,"",@progbits
; Kernel info:
; codeLenInByte = 0
; TotalNumSgprs: 0
; NumVgprs: 0
; ScratchSize: 0
; MemoryBound: 0
; FloatMode: 240
; IeeeMode: 1
; LDSByteSize: 0 bytes/workgroup (compile time only)
; SGPRBlocks: 0
; VGPRBlocks: 0
; NumSGPRsForWavesPerEU: 1
; NumVGPRsForWavesPerEU: 1
; NamedBarCnt: 0
; Occupancy: 16
; WaveLimiterHint : 0
; COMPUTE_PGM_RSRC2:SCRATCH_EN: 0
; COMPUTE_PGM_RSRC2:USER_SGPR: 2
; COMPUTE_PGM_RSRC2:TRAP_HANDLER: 0
; COMPUTE_PGM_RSRC2:TGID_X_EN: 1
; COMPUTE_PGM_RSRC2:TGID_Y_EN: 0
; COMPUTE_PGM_RSRC2:TGID_Z_EN: 0
; COMPUTE_PGM_RSRC2:TIDIG_COMP_CNT: 0
	.section	.text._ZN7rocprim17ROCPRIM_400000_NS6detail17trampoline_kernelINS0_14default_configENS1_25partition_config_selectorILNS1_17partition_subalgoE9EllbEEZZNS1_14partition_implILS5_9ELb0ES3_jPlS8_PNS0_10empty_typeENS0_5tupleIJS8_S9_EEENSB_IJS8_SA_EEENS0_18inequality_wrapperIZN2at6native12_GLOBAL__N_124unique_dim_cuda_templateImEESt5tupleIJNSF_6TensorESK_SK_EERKSK_lbbbEUlllE0_EEPmJS9_EEE10hipError_tPvRmT3_T4_T5_T6_T7_T9_mT8_P12ihipStream_tbDpT10_ENKUlT_T0_E_clISt17integral_constantIbLb1EES19_IbLb0EEEEDaS15_S16_EUlS15_E_NS1_11comp_targetILNS1_3genE2ELNS1_11target_archE906ELNS1_3gpuE6ELNS1_3repE0EEENS1_30default_config_static_selectorELNS0_4arch9wavefront6targetE0EEEvT1_,"axG",@progbits,_ZN7rocprim17ROCPRIM_400000_NS6detail17trampoline_kernelINS0_14default_configENS1_25partition_config_selectorILNS1_17partition_subalgoE9EllbEEZZNS1_14partition_implILS5_9ELb0ES3_jPlS8_PNS0_10empty_typeENS0_5tupleIJS8_S9_EEENSB_IJS8_SA_EEENS0_18inequality_wrapperIZN2at6native12_GLOBAL__N_124unique_dim_cuda_templateImEESt5tupleIJNSF_6TensorESK_SK_EERKSK_lbbbEUlllE0_EEPmJS9_EEE10hipError_tPvRmT3_T4_T5_T6_T7_T9_mT8_P12ihipStream_tbDpT10_ENKUlT_T0_E_clISt17integral_constantIbLb1EES19_IbLb0EEEEDaS15_S16_EUlS15_E_NS1_11comp_targetILNS1_3genE2ELNS1_11target_archE906ELNS1_3gpuE6ELNS1_3repE0EEENS1_30default_config_static_selectorELNS0_4arch9wavefront6targetE0EEEvT1_,comdat
	.globl	_ZN7rocprim17ROCPRIM_400000_NS6detail17trampoline_kernelINS0_14default_configENS1_25partition_config_selectorILNS1_17partition_subalgoE9EllbEEZZNS1_14partition_implILS5_9ELb0ES3_jPlS8_PNS0_10empty_typeENS0_5tupleIJS8_S9_EEENSB_IJS8_SA_EEENS0_18inequality_wrapperIZN2at6native12_GLOBAL__N_124unique_dim_cuda_templateImEESt5tupleIJNSF_6TensorESK_SK_EERKSK_lbbbEUlllE0_EEPmJS9_EEE10hipError_tPvRmT3_T4_T5_T6_T7_T9_mT8_P12ihipStream_tbDpT10_ENKUlT_T0_E_clISt17integral_constantIbLb1EES19_IbLb0EEEEDaS15_S16_EUlS15_E_NS1_11comp_targetILNS1_3genE2ELNS1_11target_archE906ELNS1_3gpuE6ELNS1_3repE0EEENS1_30default_config_static_selectorELNS0_4arch9wavefront6targetE0EEEvT1_ ; -- Begin function _ZN7rocprim17ROCPRIM_400000_NS6detail17trampoline_kernelINS0_14default_configENS1_25partition_config_selectorILNS1_17partition_subalgoE9EllbEEZZNS1_14partition_implILS5_9ELb0ES3_jPlS8_PNS0_10empty_typeENS0_5tupleIJS8_S9_EEENSB_IJS8_SA_EEENS0_18inequality_wrapperIZN2at6native12_GLOBAL__N_124unique_dim_cuda_templateImEESt5tupleIJNSF_6TensorESK_SK_EERKSK_lbbbEUlllE0_EEPmJS9_EEE10hipError_tPvRmT3_T4_T5_T6_T7_T9_mT8_P12ihipStream_tbDpT10_ENKUlT_T0_E_clISt17integral_constantIbLb1EES19_IbLb0EEEEDaS15_S16_EUlS15_E_NS1_11comp_targetILNS1_3genE2ELNS1_11target_archE906ELNS1_3gpuE6ELNS1_3repE0EEENS1_30default_config_static_selectorELNS0_4arch9wavefront6targetE0EEEvT1_
	.p2align	8
	.type	_ZN7rocprim17ROCPRIM_400000_NS6detail17trampoline_kernelINS0_14default_configENS1_25partition_config_selectorILNS1_17partition_subalgoE9EllbEEZZNS1_14partition_implILS5_9ELb0ES3_jPlS8_PNS0_10empty_typeENS0_5tupleIJS8_S9_EEENSB_IJS8_SA_EEENS0_18inequality_wrapperIZN2at6native12_GLOBAL__N_124unique_dim_cuda_templateImEESt5tupleIJNSF_6TensorESK_SK_EERKSK_lbbbEUlllE0_EEPmJS9_EEE10hipError_tPvRmT3_T4_T5_T6_T7_T9_mT8_P12ihipStream_tbDpT10_ENKUlT_T0_E_clISt17integral_constantIbLb1EES19_IbLb0EEEEDaS15_S16_EUlS15_E_NS1_11comp_targetILNS1_3genE2ELNS1_11target_archE906ELNS1_3gpuE6ELNS1_3repE0EEENS1_30default_config_static_selectorELNS0_4arch9wavefront6targetE0EEEvT1_,@function
_ZN7rocprim17ROCPRIM_400000_NS6detail17trampoline_kernelINS0_14default_configENS1_25partition_config_selectorILNS1_17partition_subalgoE9EllbEEZZNS1_14partition_implILS5_9ELb0ES3_jPlS8_PNS0_10empty_typeENS0_5tupleIJS8_S9_EEENSB_IJS8_SA_EEENS0_18inequality_wrapperIZN2at6native12_GLOBAL__N_124unique_dim_cuda_templateImEESt5tupleIJNSF_6TensorESK_SK_EERKSK_lbbbEUlllE0_EEPmJS9_EEE10hipError_tPvRmT3_T4_T5_T6_T7_T9_mT8_P12ihipStream_tbDpT10_ENKUlT_T0_E_clISt17integral_constantIbLb1EES19_IbLb0EEEEDaS15_S16_EUlS15_E_NS1_11comp_targetILNS1_3genE2ELNS1_11target_archE906ELNS1_3gpuE6ELNS1_3repE0EEENS1_30default_config_static_selectorELNS0_4arch9wavefront6targetE0EEEvT1_: ; @_ZN7rocprim17ROCPRIM_400000_NS6detail17trampoline_kernelINS0_14default_configENS1_25partition_config_selectorILNS1_17partition_subalgoE9EllbEEZZNS1_14partition_implILS5_9ELb0ES3_jPlS8_PNS0_10empty_typeENS0_5tupleIJS8_S9_EEENSB_IJS8_SA_EEENS0_18inequality_wrapperIZN2at6native12_GLOBAL__N_124unique_dim_cuda_templateImEESt5tupleIJNSF_6TensorESK_SK_EERKSK_lbbbEUlllE0_EEPmJS9_EEE10hipError_tPvRmT3_T4_T5_T6_T7_T9_mT8_P12ihipStream_tbDpT10_ENKUlT_T0_E_clISt17integral_constantIbLb1EES19_IbLb0EEEEDaS15_S16_EUlS15_E_NS1_11comp_targetILNS1_3genE2ELNS1_11target_archE906ELNS1_3gpuE6ELNS1_3repE0EEENS1_30default_config_static_selectorELNS0_4arch9wavefront6targetE0EEEvT1_
; %bb.0:
	.section	.rodata,"a",@progbits
	.p2align	6, 0x0
	.amdhsa_kernel _ZN7rocprim17ROCPRIM_400000_NS6detail17trampoline_kernelINS0_14default_configENS1_25partition_config_selectorILNS1_17partition_subalgoE9EllbEEZZNS1_14partition_implILS5_9ELb0ES3_jPlS8_PNS0_10empty_typeENS0_5tupleIJS8_S9_EEENSB_IJS8_SA_EEENS0_18inequality_wrapperIZN2at6native12_GLOBAL__N_124unique_dim_cuda_templateImEESt5tupleIJNSF_6TensorESK_SK_EERKSK_lbbbEUlllE0_EEPmJS9_EEE10hipError_tPvRmT3_T4_T5_T6_T7_T9_mT8_P12ihipStream_tbDpT10_ENKUlT_T0_E_clISt17integral_constantIbLb1EES19_IbLb0EEEEDaS15_S16_EUlS15_E_NS1_11comp_targetILNS1_3genE2ELNS1_11target_archE906ELNS1_3gpuE6ELNS1_3repE0EEENS1_30default_config_static_selectorELNS0_4arch9wavefront6targetE0EEEvT1_
		.amdhsa_group_segment_fixed_size 0
		.amdhsa_private_segment_fixed_size 0
		.amdhsa_kernarg_size 120
		.amdhsa_user_sgpr_count 2
		.amdhsa_user_sgpr_dispatch_ptr 0
		.amdhsa_user_sgpr_queue_ptr 0
		.amdhsa_user_sgpr_kernarg_segment_ptr 1
		.amdhsa_user_sgpr_dispatch_id 0
		.amdhsa_user_sgpr_kernarg_preload_length 0
		.amdhsa_user_sgpr_kernarg_preload_offset 0
		.amdhsa_user_sgpr_private_segment_size 0
		.amdhsa_wavefront_size32 1
		.amdhsa_uses_dynamic_stack 0
		.amdhsa_enable_private_segment 0
		.amdhsa_system_sgpr_workgroup_id_x 1
		.amdhsa_system_sgpr_workgroup_id_y 0
		.amdhsa_system_sgpr_workgroup_id_z 0
		.amdhsa_system_sgpr_workgroup_info 0
		.amdhsa_system_vgpr_workitem_id 0
		.amdhsa_next_free_vgpr 1
		.amdhsa_next_free_sgpr 1
		.amdhsa_named_barrier_count 0
		.amdhsa_reserve_vcc 0
		.amdhsa_float_round_mode_32 0
		.amdhsa_float_round_mode_16_64 0
		.amdhsa_float_denorm_mode_32 3
		.amdhsa_float_denorm_mode_16_64 3
		.amdhsa_fp16_overflow 0
		.amdhsa_memory_ordered 1
		.amdhsa_forward_progress 1
		.amdhsa_inst_pref_size 0
		.amdhsa_round_robin_scheduling 0
		.amdhsa_exception_fp_ieee_invalid_op 0
		.amdhsa_exception_fp_denorm_src 0
		.amdhsa_exception_fp_ieee_div_zero 0
		.amdhsa_exception_fp_ieee_overflow 0
		.amdhsa_exception_fp_ieee_underflow 0
		.amdhsa_exception_fp_ieee_inexact 0
		.amdhsa_exception_int_div_zero 0
	.end_amdhsa_kernel
	.section	.text._ZN7rocprim17ROCPRIM_400000_NS6detail17trampoline_kernelINS0_14default_configENS1_25partition_config_selectorILNS1_17partition_subalgoE9EllbEEZZNS1_14partition_implILS5_9ELb0ES3_jPlS8_PNS0_10empty_typeENS0_5tupleIJS8_S9_EEENSB_IJS8_SA_EEENS0_18inequality_wrapperIZN2at6native12_GLOBAL__N_124unique_dim_cuda_templateImEESt5tupleIJNSF_6TensorESK_SK_EERKSK_lbbbEUlllE0_EEPmJS9_EEE10hipError_tPvRmT3_T4_T5_T6_T7_T9_mT8_P12ihipStream_tbDpT10_ENKUlT_T0_E_clISt17integral_constantIbLb1EES19_IbLb0EEEEDaS15_S16_EUlS15_E_NS1_11comp_targetILNS1_3genE2ELNS1_11target_archE906ELNS1_3gpuE6ELNS1_3repE0EEENS1_30default_config_static_selectorELNS0_4arch9wavefront6targetE0EEEvT1_,"axG",@progbits,_ZN7rocprim17ROCPRIM_400000_NS6detail17trampoline_kernelINS0_14default_configENS1_25partition_config_selectorILNS1_17partition_subalgoE9EllbEEZZNS1_14partition_implILS5_9ELb0ES3_jPlS8_PNS0_10empty_typeENS0_5tupleIJS8_S9_EEENSB_IJS8_SA_EEENS0_18inequality_wrapperIZN2at6native12_GLOBAL__N_124unique_dim_cuda_templateImEESt5tupleIJNSF_6TensorESK_SK_EERKSK_lbbbEUlllE0_EEPmJS9_EEE10hipError_tPvRmT3_T4_T5_T6_T7_T9_mT8_P12ihipStream_tbDpT10_ENKUlT_T0_E_clISt17integral_constantIbLb1EES19_IbLb0EEEEDaS15_S16_EUlS15_E_NS1_11comp_targetILNS1_3genE2ELNS1_11target_archE906ELNS1_3gpuE6ELNS1_3repE0EEENS1_30default_config_static_selectorELNS0_4arch9wavefront6targetE0EEEvT1_,comdat
.Lfunc_end1715:
	.size	_ZN7rocprim17ROCPRIM_400000_NS6detail17trampoline_kernelINS0_14default_configENS1_25partition_config_selectorILNS1_17partition_subalgoE9EllbEEZZNS1_14partition_implILS5_9ELb0ES3_jPlS8_PNS0_10empty_typeENS0_5tupleIJS8_S9_EEENSB_IJS8_SA_EEENS0_18inequality_wrapperIZN2at6native12_GLOBAL__N_124unique_dim_cuda_templateImEESt5tupleIJNSF_6TensorESK_SK_EERKSK_lbbbEUlllE0_EEPmJS9_EEE10hipError_tPvRmT3_T4_T5_T6_T7_T9_mT8_P12ihipStream_tbDpT10_ENKUlT_T0_E_clISt17integral_constantIbLb1EES19_IbLb0EEEEDaS15_S16_EUlS15_E_NS1_11comp_targetILNS1_3genE2ELNS1_11target_archE906ELNS1_3gpuE6ELNS1_3repE0EEENS1_30default_config_static_selectorELNS0_4arch9wavefront6targetE0EEEvT1_, .Lfunc_end1715-_ZN7rocprim17ROCPRIM_400000_NS6detail17trampoline_kernelINS0_14default_configENS1_25partition_config_selectorILNS1_17partition_subalgoE9EllbEEZZNS1_14partition_implILS5_9ELb0ES3_jPlS8_PNS0_10empty_typeENS0_5tupleIJS8_S9_EEENSB_IJS8_SA_EEENS0_18inequality_wrapperIZN2at6native12_GLOBAL__N_124unique_dim_cuda_templateImEESt5tupleIJNSF_6TensorESK_SK_EERKSK_lbbbEUlllE0_EEPmJS9_EEE10hipError_tPvRmT3_T4_T5_T6_T7_T9_mT8_P12ihipStream_tbDpT10_ENKUlT_T0_E_clISt17integral_constantIbLb1EES19_IbLb0EEEEDaS15_S16_EUlS15_E_NS1_11comp_targetILNS1_3genE2ELNS1_11target_archE906ELNS1_3gpuE6ELNS1_3repE0EEENS1_30default_config_static_selectorELNS0_4arch9wavefront6targetE0EEEvT1_
                                        ; -- End function
	.set _ZN7rocprim17ROCPRIM_400000_NS6detail17trampoline_kernelINS0_14default_configENS1_25partition_config_selectorILNS1_17partition_subalgoE9EllbEEZZNS1_14partition_implILS5_9ELb0ES3_jPlS8_PNS0_10empty_typeENS0_5tupleIJS8_S9_EEENSB_IJS8_SA_EEENS0_18inequality_wrapperIZN2at6native12_GLOBAL__N_124unique_dim_cuda_templateImEESt5tupleIJNSF_6TensorESK_SK_EERKSK_lbbbEUlllE0_EEPmJS9_EEE10hipError_tPvRmT3_T4_T5_T6_T7_T9_mT8_P12ihipStream_tbDpT10_ENKUlT_T0_E_clISt17integral_constantIbLb1EES19_IbLb0EEEEDaS15_S16_EUlS15_E_NS1_11comp_targetILNS1_3genE2ELNS1_11target_archE906ELNS1_3gpuE6ELNS1_3repE0EEENS1_30default_config_static_selectorELNS0_4arch9wavefront6targetE0EEEvT1_.num_vgpr, 0
	.set _ZN7rocprim17ROCPRIM_400000_NS6detail17trampoline_kernelINS0_14default_configENS1_25partition_config_selectorILNS1_17partition_subalgoE9EllbEEZZNS1_14partition_implILS5_9ELb0ES3_jPlS8_PNS0_10empty_typeENS0_5tupleIJS8_S9_EEENSB_IJS8_SA_EEENS0_18inequality_wrapperIZN2at6native12_GLOBAL__N_124unique_dim_cuda_templateImEESt5tupleIJNSF_6TensorESK_SK_EERKSK_lbbbEUlllE0_EEPmJS9_EEE10hipError_tPvRmT3_T4_T5_T6_T7_T9_mT8_P12ihipStream_tbDpT10_ENKUlT_T0_E_clISt17integral_constantIbLb1EES19_IbLb0EEEEDaS15_S16_EUlS15_E_NS1_11comp_targetILNS1_3genE2ELNS1_11target_archE906ELNS1_3gpuE6ELNS1_3repE0EEENS1_30default_config_static_selectorELNS0_4arch9wavefront6targetE0EEEvT1_.num_agpr, 0
	.set _ZN7rocprim17ROCPRIM_400000_NS6detail17trampoline_kernelINS0_14default_configENS1_25partition_config_selectorILNS1_17partition_subalgoE9EllbEEZZNS1_14partition_implILS5_9ELb0ES3_jPlS8_PNS0_10empty_typeENS0_5tupleIJS8_S9_EEENSB_IJS8_SA_EEENS0_18inequality_wrapperIZN2at6native12_GLOBAL__N_124unique_dim_cuda_templateImEESt5tupleIJNSF_6TensorESK_SK_EERKSK_lbbbEUlllE0_EEPmJS9_EEE10hipError_tPvRmT3_T4_T5_T6_T7_T9_mT8_P12ihipStream_tbDpT10_ENKUlT_T0_E_clISt17integral_constantIbLb1EES19_IbLb0EEEEDaS15_S16_EUlS15_E_NS1_11comp_targetILNS1_3genE2ELNS1_11target_archE906ELNS1_3gpuE6ELNS1_3repE0EEENS1_30default_config_static_selectorELNS0_4arch9wavefront6targetE0EEEvT1_.numbered_sgpr, 0
	.set _ZN7rocprim17ROCPRIM_400000_NS6detail17trampoline_kernelINS0_14default_configENS1_25partition_config_selectorILNS1_17partition_subalgoE9EllbEEZZNS1_14partition_implILS5_9ELb0ES3_jPlS8_PNS0_10empty_typeENS0_5tupleIJS8_S9_EEENSB_IJS8_SA_EEENS0_18inequality_wrapperIZN2at6native12_GLOBAL__N_124unique_dim_cuda_templateImEESt5tupleIJNSF_6TensorESK_SK_EERKSK_lbbbEUlllE0_EEPmJS9_EEE10hipError_tPvRmT3_T4_T5_T6_T7_T9_mT8_P12ihipStream_tbDpT10_ENKUlT_T0_E_clISt17integral_constantIbLb1EES19_IbLb0EEEEDaS15_S16_EUlS15_E_NS1_11comp_targetILNS1_3genE2ELNS1_11target_archE906ELNS1_3gpuE6ELNS1_3repE0EEENS1_30default_config_static_selectorELNS0_4arch9wavefront6targetE0EEEvT1_.num_named_barrier, 0
	.set _ZN7rocprim17ROCPRIM_400000_NS6detail17trampoline_kernelINS0_14default_configENS1_25partition_config_selectorILNS1_17partition_subalgoE9EllbEEZZNS1_14partition_implILS5_9ELb0ES3_jPlS8_PNS0_10empty_typeENS0_5tupleIJS8_S9_EEENSB_IJS8_SA_EEENS0_18inequality_wrapperIZN2at6native12_GLOBAL__N_124unique_dim_cuda_templateImEESt5tupleIJNSF_6TensorESK_SK_EERKSK_lbbbEUlllE0_EEPmJS9_EEE10hipError_tPvRmT3_T4_T5_T6_T7_T9_mT8_P12ihipStream_tbDpT10_ENKUlT_T0_E_clISt17integral_constantIbLb1EES19_IbLb0EEEEDaS15_S16_EUlS15_E_NS1_11comp_targetILNS1_3genE2ELNS1_11target_archE906ELNS1_3gpuE6ELNS1_3repE0EEENS1_30default_config_static_selectorELNS0_4arch9wavefront6targetE0EEEvT1_.private_seg_size, 0
	.set _ZN7rocprim17ROCPRIM_400000_NS6detail17trampoline_kernelINS0_14default_configENS1_25partition_config_selectorILNS1_17partition_subalgoE9EllbEEZZNS1_14partition_implILS5_9ELb0ES3_jPlS8_PNS0_10empty_typeENS0_5tupleIJS8_S9_EEENSB_IJS8_SA_EEENS0_18inequality_wrapperIZN2at6native12_GLOBAL__N_124unique_dim_cuda_templateImEESt5tupleIJNSF_6TensorESK_SK_EERKSK_lbbbEUlllE0_EEPmJS9_EEE10hipError_tPvRmT3_T4_T5_T6_T7_T9_mT8_P12ihipStream_tbDpT10_ENKUlT_T0_E_clISt17integral_constantIbLb1EES19_IbLb0EEEEDaS15_S16_EUlS15_E_NS1_11comp_targetILNS1_3genE2ELNS1_11target_archE906ELNS1_3gpuE6ELNS1_3repE0EEENS1_30default_config_static_selectorELNS0_4arch9wavefront6targetE0EEEvT1_.uses_vcc, 0
	.set _ZN7rocprim17ROCPRIM_400000_NS6detail17trampoline_kernelINS0_14default_configENS1_25partition_config_selectorILNS1_17partition_subalgoE9EllbEEZZNS1_14partition_implILS5_9ELb0ES3_jPlS8_PNS0_10empty_typeENS0_5tupleIJS8_S9_EEENSB_IJS8_SA_EEENS0_18inequality_wrapperIZN2at6native12_GLOBAL__N_124unique_dim_cuda_templateImEESt5tupleIJNSF_6TensorESK_SK_EERKSK_lbbbEUlllE0_EEPmJS9_EEE10hipError_tPvRmT3_T4_T5_T6_T7_T9_mT8_P12ihipStream_tbDpT10_ENKUlT_T0_E_clISt17integral_constantIbLb1EES19_IbLb0EEEEDaS15_S16_EUlS15_E_NS1_11comp_targetILNS1_3genE2ELNS1_11target_archE906ELNS1_3gpuE6ELNS1_3repE0EEENS1_30default_config_static_selectorELNS0_4arch9wavefront6targetE0EEEvT1_.uses_flat_scratch, 0
	.set _ZN7rocprim17ROCPRIM_400000_NS6detail17trampoline_kernelINS0_14default_configENS1_25partition_config_selectorILNS1_17partition_subalgoE9EllbEEZZNS1_14partition_implILS5_9ELb0ES3_jPlS8_PNS0_10empty_typeENS0_5tupleIJS8_S9_EEENSB_IJS8_SA_EEENS0_18inequality_wrapperIZN2at6native12_GLOBAL__N_124unique_dim_cuda_templateImEESt5tupleIJNSF_6TensorESK_SK_EERKSK_lbbbEUlllE0_EEPmJS9_EEE10hipError_tPvRmT3_T4_T5_T6_T7_T9_mT8_P12ihipStream_tbDpT10_ENKUlT_T0_E_clISt17integral_constantIbLb1EES19_IbLb0EEEEDaS15_S16_EUlS15_E_NS1_11comp_targetILNS1_3genE2ELNS1_11target_archE906ELNS1_3gpuE6ELNS1_3repE0EEENS1_30default_config_static_selectorELNS0_4arch9wavefront6targetE0EEEvT1_.has_dyn_sized_stack, 0
	.set _ZN7rocprim17ROCPRIM_400000_NS6detail17trampoline_kernelINS0_14default_configENS1_25partition_config_selectorILNS1_17partition_subalgoE9EllbEEZZNS1_14partition_implILS5_9ELb0ES3_jPlS8_PNS0_10empty_typeENS0_5tupleIJS8_S9_EEENSB_IJS8_SA_EEENS0_18inequality_wrapperIZN2at6native12_GLOBAL__N_124unique_dim_cuda_templateImEESt5tupleIJNSF_6TensorESK_SK_EERKSK_lbbbEUlllE0_EEPmJS9_EEE10hipError_tPvRmT3_T4_T5_T6_T7_T9_mT8_P12ihipStream_tbDpT10_ENKUlT_T0_E_clISt17integral_constantIbLb1EES19_IbLb0EEEEDaS15_S16_EUlS15_E_NS1_11comp_targetILNS1_3genE2ELNS1_11target_archE906ELNS1_3gpuE6ELNS1_3repE0EEENS1_30default_config_static_selectorELNS0_4arch9wavefront6targetE0EEEvT1_.has_recursion, 0
	.set _ZN7rocprim17ROCPRIM_400000_NS6detail17trampoline_kernelINS0_14default_configENS1_25partition_config_selectorILNS1_17partition_subalgoE9EllbEEZZNS1_14partition_implILS5_9ELb0ES3_jPlS8_PNS0_10empty_typeENS0_5tupleIJS8_S9_EEENSB_IJS8_SA_EEENS0_18inequality_wrapperIZN2at6native12_GLOBAL__N_124unique_dim_cuda_templateImEESt5tupleIJNSF_6TensorESK_SK_EERKSK_lbbbEUlllE0_EEPmJS9_EEE10hipError_tPvRmT3_T4_T5_T6_T7_T9_mT8_P12ihipStream_tbDpT10_ENKUlT_T0_E_clISt17integral_constantIbLb1EES19_IbLb0EEEEDaS15_S16_EUlS15_E_NS1_11comp_targetILNS1_3genE2ELNS1_11target_archE906ELNS1_3gpuE6ELNS1_3repE0EEENS1_30default_config_static_selectorELNS0_4arch9wavefront6targetE0EEEvT1_.has_indirect_call, 0
	.section	.AMDGPU.csdata,"",@progbits
; Kernel info:
; codeLenInByte = 0
; TotalNumSgprs: 0
; NumVgprs: 0
; ScratchSize: 0
; MemoryBound: 0
; FloatMode: 240
; IeeeMode: 1
; LDSByteSize: 0 bytes/workgroup (compile time only)
; SGPRBlocks: 0
; VGPRBlocks: 0
; NumSGPRsForWavesPerEU: 1
; NumVGPRsForWavesPerEU: 1
; NamedBarCnt: 0
; Occupancy: 16
; WaveLimiterHint : 0
; COMPUTE_PGM_RSRC2:SCRATCH_EN: 0
; COMPUTE_PGM_RSRC2:USER_SGPR: 2
; COMPUTE_PGM_RSRC2:TRAP_HANDLER: 0
; COMPUTE_PGM_RSRC2:TGID_X_EN: 1
; COMPUTE_PGM_RSRC2:TGID_Y_EN: 0
; COMPUTE_PGM_RSRC2:TGID_Z_EN: 0
; COMPUTE_PGM_RSRC2:TIDIG_COMP_CNT: 0
	.section	.text._ZN7rocprim17ROCPRIM_400000_NS6detail17trampoline_kernelINS0_14default_configENS1_25partition_config_selectorILNS1_17partition_subalgoE9EllbEEZZNS1_14partition_implILS5_9ELb0ES3_jPlS8_PNS0_10empty_typeENS0_5tupleIJS8_S9_EEENSB_IJS8_SA_EEENS0_18inequality_wrapperIZN2at6native12_GLOBAL__N_124unique_dim_cuda_templateImEESt5tupleIJNSF_6TensorESK_SK_EERKSK_lbbbEUlllE0_EEPmJS9_EEE10hipError_tPvRmT3_T4_T5_T6_T7_T9_mT8_P12ihipStream_tbDpT10_ENKUlT_T0_E_clISt17integral_constantIbLb1EES19_IbLb0EEEEDaS15_S16_EUlS15_E_NS1_11comp_targetILNS1_3genE10ELNS1_11target_archE1200ELNS1_3gpuE4ELNS1_3repE0EEENS1_30default_config_static_selectorELNS0_4arch9wavefront6targetE0EEEvT1_,"axG",@progbits,_ZN7rocprim17ROCPRIM_400000_NS6detail17trampoline_kernelINS0_14default_configENS1_25partition_config_selectorILNS1_17partition_subalgoE9EllbEEZZNS1_14partition_implILS5_9ELb0ES3_jPlS8_PNS0_10empty_typeENS0_5tupleIJS8_S9_EEENSB_IJS8_SA_EEENS0_18inequality_wrapperIZN2at6native12_GLOBAL__N_124unique_dim_cuda_templateImEESt5tupleIJNSF_6TensorESK_SK_EERKSK_lbbbEUlllE0_EEPmJS9_EEE10hipError_tPvRmT3_T4_T5_T6_T7_T9_mT8_P12ihipStream_tbDpT10_ENKUlT_T0_E_clISt17integral_constantIbLb1EES19_IbLb0EEEEDaS15_S16_EUlS15_E_NS1_11comp_targetILNS1_3genE10ELNS1_11target_archE1200ELNS1_3gpuE4ELNS1_3repE0EEENS1_30default_config_static_selectorELNS0_4arch9wavefront6targetE0EEEvT1_,comdat
	.globl	_ZN7rocprim17ROCPRIM_400000_NS6detail17trampoline_kernelINS0_14default_configENS1_25partition_config_selectorILNS1_17partition_subalgoE9EllbEEZZNS1_14partition_implILS5_9ELb0ES3_jPlS8_PNS0_10empty_typeENS0_5tupleIJS8_S9_EEENSB_IJS8_SA_EEENS0_18inequality_wrapperIZN2at6native12_GLOBAL__N_124unique_dim_cuda_templateImEESt5tupleIJNSF_6TensorESK_SK_EERKSK_lbbbEUlllE0_EEPmJS9_EEE10hipError_tPvRmT3_T4_T5_T6_T7_T9_mT8_P12ihipStream_tbDpT10_ENKUlT_T0_E_clISt17integral_constantIbLb1EES19_IbLb0EEEEDaS15_S16_EUlS15_E_NS1_11comp_targetILNS1_3genE10ELNS1_11target_archE1200ELNS1_3gpuE4ELNS1_3repE0EEENS1_30default_config_static_selectorELNS0_4arch9wavefront6targetE0EEEvT1_ ; -- Begin function _ZN7rocprim17ROCPRIM_400000_NS6detail17trampoline_kernelINS0_14default_configENS1_25partition_config_selectorILNS1_17partition_subalgoE9EllbEEZZNS1_14partition_implILS5_9ELb0ES3_jPlS8_PNS0_10empty_typeENS0_5tupleIJS8_S9_EEENSB_IJS8_SA_EEENS0_18inequality_wrapperIZN2at6native12_GLOBAL__N_124unique_dim_cuda_templateImEESt5tupleIJNSF_6TensorESK_SK_EERKSK_lbbbEUlllE0_EEPmJS9_EEE10hipError_tPvRmT3_T4_T5_T6_T7_T9_mT8_P12ihipStream_tbDpT10_ENKUlT_T0_E_clISt17integral_constantIbLb1EES19_IbLb0EEEEDaS15_S16_EUlS15_E_NS1_11comp_targetILNS1_3genE10ELNS1_11target_archE1200ELNS1_3gpuE4ELNS1_3repE0EEENS1_30default_config_static_selectorELNS0_4arch9wavefront6targetE0EEEvT1_
	.p2align	8
	.type	_ZN7rocprim17ROCPRIM_400000_NS6detail17trampoline_kernelINS0_14default_configENS1_25partition_config_selectorILNS1_17partition_subalgoE9EllbEEZZNS1_14partition_implILS5_9ELb0ES3_jPlS8_PNS0_10empty_typeENS0_5tupleIJS8_S9_EEENSB_IJS8_SA_EEENS0_18inequality_wrapperIZN2at6native12_GLOBAL__N_124unique_dim_cuda_templateImEESt5tupleIJNSF_6TensorESK_SK_EERKSK_lbbbEUlllE0_EEPmJS9_EEE10hipError_tPvRmT3_T4_T5_T6_T7_T9_mT8_P12ihipStream_tbDpT10_ENKUlT_T0_E_clISt17integral_constantIbLb1EES19_IbLb0EEEEDaS15_S16_EUlS15_E_NS1_11comp_targetILNS1_3genE10ELNS1_11target_archE1200ELNS1_3gpuE4ELNS1_3repE0EEENS1_30default_config_static_selectorELNS0_4arch9wavefront6targetE0EEEvT1_,@function
_ZN7rocprim17ROCPRIM_400000_NS6detail17trampoline_kernelINS0_14default_configENS1_25partition_config_selectorILNS1_17partition_subalgoE9EllbEEZZNS1_14partition_implILS5_9ELb0ES3_jPlS8_PNS0_10empty_typeENS0_5tupleIJS8_S9_EEENSB_IJS8_SA_EEENS0_18inequality_wrapperIZN2at6native12_GLOBAL__N_124unique_dim_cuda_templateImEESt5tupleIJNSF_6TensorESK_SK_EERKSK_lbbbEUlllE0_EEPmJS9_EEE10hipError_tPvRmT3_T4_T5_T6_T7_T9_mT8_P12ihipStream_tbDpT10_ENKUlT_T0_E_clISt17integral_constantIbLb1EES19_IbLb0EEEEDaS15_S16_EUlS15_E_NS1_11comp_targetILNS1_3genE10ELNS1_11target_archE1200ELNS1_3gpuE4ELNS1_3repE0EEENS1_30default_config_static_selectorELNS0_4arch9wavefront6targetE0EEEvT1_: ; @_ZN7rocprim17ROCPRIM_400000_NS6detail17trampoline_kernelINS0_14default_configENS1_25partition_config_selectorILNS1_17partition_subalgoE9EllbEEZZNS1_14partition_implILS5_9ELb0ES3_jPlS8_PNS0_10empty_typeENS0_5tupleIJS8_S9_EEENSB_IJS8_SA_EEENS0_18inequality_wrapperIZN2at6native12_GLOBAL__N_124unique_dim_cuda_templateImEESt5tupleIJNSF_6TensorESK_SK_EERKSK_lbbbEUlllE0_EEPmJS9_EEE10hipError_tPvRmT3_T4_T5_T6_T7_T9_mT8_P12ihipStream_tbDpT10_ENKUlT_T0_E_clISt17integral_constantIbLb1EES19_IbLb0EEEEDaS15_S16_EUlS15_E_NS1_11comp_targetILNS1_3genE10ELNS1_11target_archE1200ELNS1_3gpuE4ELNS1_3repE0EEENS1_30default_config_static_selectorELNS0_4arch9wavefront6targetE0EEEvT1_
; %bb.0:
	.section	.rodata,"a",@progbits
	.p2align	6, 0x0
	.amdhsa_kernel _ZN7rocprim17ROCPRIM_400000_NS6detail17trampoline_kernelINS0_14default_configENS1_25partition_config_selectorILNS1_17partition_subalgoE9EllbEEZZNS1_14partition_implILS5_9ELb0ES3_jPlS8_PNS0_10empty_typeENS0_5tupleIJS8_S9_EEENSB_IJS8_SA_EEENS0_18inequality_wrapperIZN2at6native12_GLOBAL__N_124unique_dim_cuda_templateImEESt5tupleIJNSF_6TensorESK_SK_EERKSK_lbbbEUlllE0_EEPmJS9_EEE10hipError_tPvRmT3_T4_T5_T6_T7_T9_mT8_P12ihipStream_tbDpT10_ENKUlT_T0_E_clISt17integral_constantIbLb1EES19_IbLb0EEEEDaS15_S16_EUlS15_E_NS1_11comp_targetILNS1_3genE10ELNS1_11target_archE1200ELNS1_3gpuE4ELNS1_3repE0EEENS1_30default_config_static_selectorELNS0_4arch9wavefront6targetE0EEEvT1_
		.amdhsa_group_segment_fixed_size 0
		.amdhsa_private_segment_fixed_size 0
		.amdhsa_kernarg_size 120
		.amdhsa_user_sgpr_count 2
		.amdhsa_user_sgpr_dispatch_ptr 0
		.amdhsa_user_sgpr_queue_ptr 0
		.amdhsa_user_sgpr_kernarg_segment_ptr 1
		.amdhsa_user_sgpr_dispatch_id 0
		.amdhsa_user_sgpr_kernarg_preload_length 0
		.amdhsa_user_sgpr_kernarg_preload_offset 0
		.amdhsa_user_sgpr_private_segment_size 0
		.amdhsa_wavefront_size32 1
		.amdhsa_uses_dynamic_stack 0
		.amdhsa_enable_private_segment 0
		.amdhsa_system_sgpr_workgroup_id_x 1
		.amdhsa_system_sgpr_workgroup_id_y 0
		.amdhsa_system_sgpr_workgroup_id_z 0
		.amdhsa_system_sgpr_workgroup_info 0
		.amdhsa_system_vgpr_workitem_id 0
		.amdhsa_next_free_vgpr 1
		.amdhsa_next_free_sgpr 1
		.amdhsa_named_barrier_count 0
		.amdhsa_reserve_vcc 0
		.amdhsa_float_round_mode_32 0
		.amdhsa_float_round_mode_16_64 0
		.amdhsa_float_denorm_mode_32 3
		.amdhsa_float_denorm_mode_16_64 3
		.amdhsa_fp16_overflow 0
		.amdhsa_memory_ordered 1
		.amdhsa_forward_progress 1
		.amdhsa_inst_pref_size 0
		.amdhsa_round_robin_scheduling 0
		.amdhsa_exception_fp_ieee_invalid_op 0
		.amdhsa_exception_fp_denorm_src 0
		.amdhsa_exception_fp_ieee_div_zero 0
		.amdhsa_exception_fp_ieee_overflow 0
		.amdhsa_exception_fp_ieee_underflow 0
		.amdhsa_exception_fp_ieee_inexact 0
		.amdhsa_exception_int_div_zero 0
	.end_amdhsa_kernel
	.section	.text._ZN7rocprim17ROCPRIM_400000_NS6detail17trampoline_kernelINS0_14default_configENS1_25partition_config_selectorILNS1_17partition_subalgoE9EllbEEZZNS1_14partition_implILS5_9ELb0ES3_jPlS8_PNS0_10empty_typeENS0_5tupleIJS8_S9_EEENSB_IJS8_SA_EEENS0_18inequality_wrapperIZN2at6native12_GLOBAL__N_124unique_dim_cuda_templateImEESt5tupleIJNSF_6TensorESK_SK_EERKSK_lbbbEUlllE0_EEPmJS9_EEE10hipError_tPvRmT3_T4_T5_T6_T7_T9_mT8_P12ihipStream_tbDpT10_ENKUlT_T0_E_clISt17integral_constantIbLb1EES19_IbLb0EEEEDaS15_S16_EUlS15_E_NS1_11comp_targetILNS1_3genE10ELNS1_11target_archE1200ELNS1_3gpuE4ELNS1_3repE0EEENS1_30default_config_static_selectorELNS0_4arch9wavefront6targetE0EEEvT1_,"axG",@progbits,_ZN7rocprim17ROCPRIM_400000_NS6detail17trampoline_kernelINS0_14default_configENS1_25partition_config_selectorILNS1_17partition_subalgoE9EllbEEZZNS1_14partition_implILS5_9ELb0ES3_jPlS8_PNS0_10empty_typeENS0_5tupleIJS8_S9_EEENSB_IJS8_SA_EEENS0_18inequality_wrapperIZN2at6native12_GLOBAL__N_124unique_dim_cuda_templateImEESt5tupleIJNSF_6TensorESK_SK_EERKSK_lbbbEUlllE0_EEPmJS9_EEE10hipError_tPvRmT3_T4_T5_T6_T7_T9_mT8_P12ihipStream_tbDpT10_ENKUlT_T0_E_clISt17integral_constantIbLb1EES19_IbLb0EEEEDaS15_S16_EUlS15_E_NS1_11comp_targetILNS1_3genE10ELNS1_11target_archE1200ELNS1_3gpuE4ELNS1_3repE0EEENS1_30default_config_static_selectorELNS0_4arch9wavefront6targetE0EEEvT1_,comdat
.Lfunc_end1716:
	.size	_ZN7rocprim17ROCPRIM_400000_NS6detail17trampoline_kernelINS0_14default_configENS1_25partition_config_selectorILNS1_17partition_subalgoE9EllbEEZZNS1_14partition_implILS5_9ELb0ES3_jPlS8_PNS0_10empty_typeENS0_5tupleIJS8_S9_EEENSB_IJS8_SA_EEENS0_18inequality_wrapperIZN2at6native12_GLOBAL__N_124unique_dim_cuda_templateImEESt5tupleIJNSF_6TensorESK_SK_EERKSK_lbbbEUlllE0_EEPmJS9_EEE10hipError_tPvRmT3_T4_T5_T6_T7_T9_mT8_P12ihipStream_tbDpT10_ENKUlT_T0_E_clISt17integral_constantIbLb1EES19_IbLb0EEEEDaS15_S16_EUlS15_E_NS1_11comp_targetILNS1_3genE10ELNS1_11target_archE1200ELNS1_3gpuE4ELNS1_3repE0EEENS1_30default_config_static_selectorELNS0_4arch9wavefront6targetE0EEEvT1_, .Lfunc_end1716-_ZN7rocprim17ROCPRIM_400000_NS6detail17trampoline_kernelINS0_14default_configENS1_25partition_config_selectorILNS1_17partition_subalgoE9EllbEEZZNS1_14partition_implILS5_9ELb0ES3_jPlS8_PNS0_10empty_typeENS0_5tupleIJS8_S9_EEENSB_IJS8_SA_EEENS0_18inequality_wrapperIZN2at6native12_GLOBAL__N_124unique_dim_cuda_templateImEESt5tupleIJNSF_6TensorESK_SK_EERKSK_lbbbEUlllE0_EEPmJS9_EEE10hipError_tPvRmT3_T4_T5_T6_T7_T9_mT8_P12ihipStream_tbDpT10_ENKUlT_T0_E_clISt17integral_constantIbLb1EES19_IbLb0EEEEDaS15_S16_EUlS15_E_NS1_11comp_targetILNS1_3genE10ELNS1_11target_archE1200ELNS1_3gpuE4ELNS1_3repE0EEENS1_30default_config_static_selectorELNS0_4arch9wavefront6targetE0EEEvT1_
                                        ; -- End function
	.set _ZN7rocprim17ROCPRIM_400000_NS6detail17trampoline_kernelINS0_14default_configENS1_25partition_config_selectorILNS1_17partition_subalgoE9EllbEEZZNS1_14partition_implILS5_9ELb0ES3_jPlS8_PNS0_10empty_typeENS0_5tupleIJS8_S9_EEENSB_IJS8_SA_EEENS0_18inequality_wrapperIZN2at6native12_GLOBAL__N_124unique_dim_cuda_templateImEESt5tupleIJNSF_6TensorESK_SK_EERKSK_lbbbEUlllE0_EEPmJS9_EEE10hipError_tPvRmT3_T4_T5_T6_T7_T9_mT8_P12ihipStream_tbDpT10_ENKUlT_T0_E_clISt17integral_constantIbLb1EES19_IbLb0EEEEDaS15_S16_EUlS15_E_NS1_11comp_targetILNS1_3genE10ELNS1_11target_archE1200ELNS1_3gpuE4ELNS1_3repE0EEENS1_30default_config_static_selectorELNS0_4arch9wavefront6targetE0EEEvT1_.num_vgpr, 0
	.set _ZN7rocprim17ROCPRIM_400000_NS6detail17trampoline_kernelINS0_14default_configENS1_25partition_config_selectorILNS1_17partition_subalgoE9EllbEEZZNS1_14partition_implILS5_9ELb0ES3_jPlS8_PNS0_10empty_typeENS0_5tupleIJS8_S9_EEENSB_IJS8_SA_EEENS0_18inequality_wrapperIZN2at6native12_GLOBAL__N_124unique_dim_cuda_templateImEESt5tupleIJNSF_6TensorESK_SK_EERKSK_lbbbEUlllE0_EEPmJS9_EEE10hipError_tPvRmT3_T4_T5_T6_T7_T9_mT8_P12ihipStream_tbDpT10_ENKUlT_T0_E_clISt17integral_constantIbLb1EES19_IbLb0EEEEDaS15_S16_EUlS15_E_NS1_11comp_targetILNS1_3genE10ELNS1_11target_archE1200ELNS1_3gpuE4ELNS1_3repE0EEENS1_30default_config_static_selectorELNS0_4arch9wavefront6targetE0EEEvT1_.num_agpr, 0
	.set _ZN7rocprim17ROCPRIM_400000_NS6detail17trampoline_kernelINS0_14default_configENS1_25partition_config_selectorILNS1_17partition_subalgoE9EllbEEZZNS1_14partition_implILS5_9ELb0ES3_jPlS8_PNS0_10empty_typeENS0_5tupleIJS8_S9_EEENSB_IJS8_SA_EEENS0_18inequality_wrapperIZN2at6native12_GLOBAL__N_124unique_dim_cuda_templateImEESt5tupleIJNSF_6TensorESK_SK_EERKSK_lbbbEUlllE0_EEPmJS9_EEE10hipError_tPvRmT3_T4_T5_T6_T7_T9_mT8_P12ihipStream_tbDpT10_ENKUlT_T0_E_clISt17integral_constantIbLb1EES19_IbLb0EEEEDaS15_S16_EUlS15_E_NS1_11comp_targetILNS1_3genE10ELNS1_11target_archE1200ELNS1_3gpuE4ELNS1_3repE0EEENS1_30default_config_static_selectorELNS0_4arch9wavefront6targetE0EEEvT1_.numbered_sgpr, 0
	.set _ZN7rocprim17ROCPRIM_400000_NS6detail17trampoline_kernelINS0_14default_configENS1_25partition_config_selectorILNS1_17partition_subalgoE9EllbEEZZNS1_14partition_implILS5_9ELb0ES3_jPlS8_PNS0_10empty_typeENS0_5tupleIJS8_S9_EEENSB_IJS8_SA_EEENS0_18inequality_wrapperIZN2at6native12_GLOBAL__N_124unique_dim_cuda_templateImEESt5tupleIJNSF_6TensorESK_SK_EERKSK_lbbbEUlllE0_EEPmJS9_EEE10hipError_tPvRmT3_T4_T5_T6_T7_T9_mT8_P12ihipStream_tbDpT10_ENKUlT_T0_E_clISt17integral_constantIbLb1EES19_IbLb0EEEEDaS15_S16_EUlS15_E_NS1_11comp_targetILNS1_3genE10ELNS1_11target_archE1200ELNS1_3gpuE4ELNS1_3repE0EEENS1_30default_config_static_selectorELNS0_4arch9wavefront6targetE0EEEvT1_.num_named_barrier, 0
	.set _ZN7rocprim17ROCPRIM_400000_NS6detail17trampoline_kernelINS0_14default_configENS1_25partition_config_selectorILNS1_17partition_subalgoE9EllbEEZZNS1_14partition_implILS5_9ELb0ES3_jPlS8_PNS0_10empty_typeENS0_5tupleIJS8_S9_EEENSB_IJS8_SA_EEENS0_18inequality_wrapperIZN2at6native12_GLOBAL__N_124unique_dim_cuda_templateImEESt5tupleIJNSF_6TensorESK_SK_EERKSK_lbbbEUlllE0_EEPmJS9_EEE10hipError_tPvRmT3_T4_T5_T6_T7_T9_mT8_P12ihipStream_tbDpT10_ENKUlT_T0_E_clISt17integral_constantIbLb1EES19_IbLb0EEEEDaS15_S16_EUlS15_E_NS1_11comp_targetILNS1_3genE10ELNS1_11target_archE1200ELNS1_3gpuE4ELNS1_3repE0EEENS1_30default_config_static_selectorELNS0_4arch9wavefront6targetE0EEEvT1_.private_seg_size, 0
	.set _ZN7rocprim17ROCPRIM_400000_NS6detail17trampoline_kernelINS0_14default_configENS1_25partition_config_selectorILNS1_17partition_subalgoE9EllbEEZZNS1_14partition_implILS5_9ELb0ES3_jPlS8_PNS0_10empty_typeENS0_5tupleIJS8_S9_EEENSB_IJS8_SA_EEENS0_18inequality_wrapperIZN2at6native12_GLOBAL__N_124unique_dim_cuda_templateImEESt5tupleIJNSF_6TensorESK_SK_EERKSK_lbbbEUlllE0_EEPmJS9_EEE10hipError_tPvRmT3_T4_T5_T6_T7_T9_mT8_P12ihipStream_tbDpT10_ENKUlT_T0_E_clISt17integral_constantIbLb1EES19_IbLb0EEEEDaS15_S16_EUlS15_E_NS1_11comp_targetILNS1_3genE10ELNS1_11target_archE1200ELNS1_3gpuE4ELNS1_3repE0EEENS1_30default_config_static_selectorELNS0_4arch9wavefront6targetE0EEEvT1_.uses_vcc, 0
	.set _ZN7rocprim17ROCPRIM_400000_NS6detail17trampoline_kernelINS0_14default_configENS1_25partition_config_selectorILNS1_17partition_subalgoE9EllbEEZZNS1_14partition_implILS5_9ELb0ES3_jPlS8_PNS0_10empty_typeENS0_5tupleIJS8_S9_EEENSB_IJS8_SA_EEENS0_18inequality_wrapperIZN2at6native12_GLOBAL__N_124unique_dim_cuda_templateImEESt5tupleIJNSF_6TensorESK_SK_EERKSK_lbbbEUlllE0_EEPmJS9_EEE10hipError_tPvRmT3_T4_T5_T6_T7_T9_mT8_P12ihipStream_tbDpT10_ENKUlT_T0_E_clISt17integral_constantIbLb1EES19_IbLb0EEEEDaS15_S16_EUlS15_E_NS1_11comp_targetILNS1_3genE10ELNS1_11target_archE1200ELNS1_3gpuE4ELNS1_3repE0EEENS1_30default_config_static_selectorELNS0_4arch9wavefront6targetE0EEEvT1_.uses_flat_scratch, 0
	.set _ZN7rocprim17ROCPRIM_400000_NS6detail17trampoline_kernelINS0_14default_configENS1_25partition_config_selectorILNS1_17partition_subalgoE9EllbEEZZNS1_14partition_implILS5_9ELb0ES3_jPlS8_PNS0_10empty_typeENS0_5tupleIJS8_S9_EEENSB_IJS8_SA_EEENS0_18inequality_wrapperIZN2at6native12_GLOBAL__N_124unique_dim_cuda_templateImEESt5tupleIJNSF_6TensorESK_SK_EERKSK_lbbbEUlllE0_EEPmJS9_EEE10hipError_tPvRmT3_T4_T5_T6_T7_T9_mT8_P12ihipStream_tbDpT10_ENKUlT_T0_E_clISt17integral_constantIbLb1EES19_IbLb0EEEEDaS15_S16_EUlS15_E_NS1_11comp_targetILNS1_3genE10ELNS1_11target_archE1200ELNS1_3gpuE4ELNS1_3repE0EEENS1_30default_config_static_selectorELNS0_4arch9wavefront6targetE0EEEvT1_.has_dyn_sized_stack, 0
	.set _ZN7rocprim17ROCPRIM_400000_NS6detail17trampoline_kernelINS0_14default_configENS1_25partition_config_selectorILNS1_17partition_subalgoE9EllbEEZZNS1_14partition_implILS5_9ELb0ES3_jPlS8_PNS0_10empty_typeENS0_5tupleIJS8_S9_EEENSB_IJS8_SA_EEENS0_18inequality_wrapperIZN2at6native12_GLOBAL__N_124unique_dim_cuda_templateImEESt5tupleIJNSF_6TensorESK_SK_EERKSK_lbbbEUlllE0_EEPmJS9_EEE10hipError_tPvRmT3_T4_T5_T6_T7_T9_mT8_P12ihipStream_tbDpT10_ENKUlT_T0_E_clISt17integral_constantIbLb1EES19_IbLb0EEEEDaS15_S16_EUlS15_E_NS1_11comp_targetILNS1_3genE10ELNS1_11target_archE1200ELNS1_3gpuE4ELNS1_3repE0EEENS1_30default_config_static_selectorELNS0_4arch9wavefront6targetE0EEEvT1_.has_recursion, 0
	.set _ZN7rocprim17ROCPRIM_400000_NS6detail17trampoline_kernelINS0_14default_configENS1_25partition_config_selectorILNS1_17partition_subalgoE9EllbEEZZNS1_14partition_implILS5_9ELb0ES3_jPlS8_PNS0_10empty_typeENS0_5tupleIJS8_S9_EEENSB_IJS8_SA_EEENS0_18inequality_wrapperIZN2at6native12_GLOBAL__N_124unique_dim_cuda_templateImEESt5tupleIJNSF_6TensorESK_SK_EERKSK_lbbbEUlllE0_EEPmJS9_EEE10hipError_tPvRmT3_T4_T5_T6_T7_T9_mT8_P12ihipStream_tbDpT10_ENKUlT_T0_E_clISt17integral_constantIbLb1EES19_IbLb0EEEEDaS15_S16_EUlS15_E_NS1_11comp_targetILNS1_3genE10ELNS1_11target_archE1200ELNS1_3gpuE4ELNS1_3repE0EEENS1_30default_config_static_selectorELNS0_4arch9wavefront6targetE0EEEvT1_.has_indirect_call, 0
	.section	.AMDGPU.csdata,"",@progbits
; Kernel info:
; codeLenInByte = 0
; TotalNumSgprs: 0
; NumVgprs: 0
; ScratchSize: 0
; MemoryBound: 0
; FloatMode: 240
; IeeeMode: 1
; LDSByteSize: 0 bytes/workgroup (compile time only)
; SGPRBlocks: 0
; VGPRBlocks: 0
; NumSGPRsForWavesPerEU: 1
; NumVGPRsForWavesPerEU: 1
; NamedBarCnt: 0
; Occupancy: 16
; WaveLimiterHint : 0
; COMPUTE_PGM_RSRC2:SCRATCH_EN: 0
; COMPUTE_PGM_RSRC2:USER_SGPR: 2
; COMPUTE_PGM_RSRC2:TRAP_HANDLER: 0
; COMPUTE_PGM_RSRC2:TGID_X_EN: 1
; COMPUTE_PGM_RSRC2:TGID_Y_EN: 0
; COMPUTE_PGM_RSRC2:TGID_Z_EN: 0
; COMPUTE_PGM_RSRC2:TIDIG_COMP_CNT: 0
	.section	.text._ZN7rocprim17ROCPRIM_400000_NS6detail17trampoline_kernelINS0_14default_configENS1_25partition_config_selectorILNS1_17partition_subalgoE9EllbEEZZNS1_14partition_implILS5_9ELb0ES3_jPlS8_PNS0_10empty_typeENS0_5tupleIJS8_S9_EEENSB_IJS8_SA_EEENS0_18inequality_wrapperIZN2at6native12_GLOBAL__N_124unique_dim_cuda_templateImEESt5tupleIJNSF_6TensorESK_SK_EERKSK_lbbbEUlllE0_EEPmJS9_EEE10hipError_tPvRmT3_T4_T5_T6_T7_T9_mT8_P12ihipStream_tbDpT10_ENKUlT_T0_E_clISt17integral_constantIbLb1EES19_IbLb0EEEEDaS15_S16_EUlS15_E_NS1_11comp_targetILNS1_3genE9ELNS1_11target_archE1100ELNS1_3gpuE3ELNS1_3repE0EEENS1_30default_config_static_selectorELNS0_4arch9wavefront6targetE0EEEvT1_,"axG",@progbits,_ZN7rocprim17ROCPRIM_400000_NS6detail17trampoline_kernelINS0_14default_configENS1_25partition_config_selectorILNS1_17partition_subalgoE9EllbEEZZNS1_14partition_implILS5_9ELb0ES3_jPlS8_PNS0_10empty_typeENS0_5tupleIJS8_S9_EEENSB_IJS8_SA_EEENS0_18inequality_wrapperIZN2at6native12_GLOBAL__N_124unique_dim_cuda_templateImEESt5tupleIJNSF_6TensorESK_SK_EERKSK_lbbbEUlllE0_EEPmJS9_EEE10hipError_tPvRmT3_T4_T5_T6_T7_T9_mT8_P12ihipStream_tbDpT10_ENKUlT_T0_E_clISt17integral_constantIbLb1EES19_IbLb0EEEEDaS15_S16_EUlS15_E_NS1_11comp_targetILNS1_3genE9ELNS1_11target_archE1100ELNS1_3gpuE3ELNS1_3repE0EEENS1_30default_config_static_selectorELNS0_4arch9wavefront6targetE0EEEvT1_,comdat
	.globl	_ZN7rocprim17ROCPRIM_400000_NS6detail17trampoline_kernelINS0_14default_configENS1_25partition_config_selectorILNS1_17partition_subalgoE9EllbEEZZNS1_14partition_implILS5_9ELb0ES3_jPlS8_PNS0_10empty_typeENS0_5tupleIJS8_S9_EEENSB_IJS8_SA_EEENS0_18inequality_wrapperIZN2at6native12_GLOBAL__N_124unique_dim_cuda_templateImEESt5tupleIJNSF_6TensorESK_SK_EERKSK_lbbbEUlllE0_EEPmJS9_EEE10hipError_tPvRmT3_T4_T5_T6_T7_T9_mT8_P12ihipStream_tbDpT10_ENKUlT_T0_E_clISt17integral_constantIbLb1EES19_IbLb0EEEEDaS15_S16_EUlS15_E_NS1_11comp_targetILNS1_3genE9ELNS1_11target_archE1100ELNS1_3gpuE3ELNS1_3repE0EEENS1_30default_config_static_selectorELNS0_4arch9wavefront6targetE0EEEvT1_ ; -- Begin function _ZN7rocprim17ROCPRIM_400000_NS6detail17trampoline_kernelINS0_14default_configENS1_25partition_config_selectorILNS1_17partition_subalgoE9EllbEEZZNS1_14partition_implILS5_9ELb0ES3_jPlS8_PNS0_10empty_typeENS0_5tupleIJS8_S9_EEENSB_IJS8_SA_EEENS0_18inequality_wrapperIZN2at6native12_GLOBAL__N_124unique_dim_cuda_templateImEESt5tupleIJNSF_6TensorESK_SK_EERKSK_lbbbEUlllE0_EEPmJS9_EEE10hipError_tPvRmT3_T4_T5_T6_T7_T9_mT8_P12ihipStream_tbDpT10_ENKUlT_T0_E_clISt17integral_constantIbLb1EES19_IbLb0EEEEDaS15_S16_EUlS15_E_NS1_11comp_targetILNS1_3genE9ELNS1_11target_archE1100ELNS1_3gpuE3ELNS1_3repE0EEENS1_30default_config_static_selectorELNS0_4arch9wavefront6targetE0EEEvT1_
	.p2align	8
	.type	_ZN7rocprim17ROCPRIM_400000_NS6detail17trampoline_kernelINS0_14default_configENS1_25partition_config_selectorILNS1_17partition_subalgoE9EllbEEZZNS1_14partition_implILS5_9ELb0ES3_jPlS8_PNS0_10empty_typeENS0_5tupleIJS8_S9_EEENSB_IJS8_SA_EEENS0_18inequality_wrapperIZN2at6native12_GLOBAL__N_124unique_dim_cuda_templateImEESt5tupleIJNSF_6TensorESK_SK_EERKSK_lbbbEUlllE0_EEPmJS9_EEE10hipError_tPvRmT3_T4_T5_T6_T7_T9_mT8_P12ihipStream_tbDpT10_ENKUlT_T0_E_clISt17integral_constantIbLb1EES19_IbLb0EEEEDaS15_S16_EUlS15_E_NS1_11comp_targetILNS1_3genE9ELNS1_11target_archE1100ELNS1_3gpuE3ELNS1_3repE0EEENS1_30default_config_static_selectorELNS0_4arch9wavefront6targetE0EEEvT1_,@function
_ZN7rocprim17ROCPRIM_400000_NS6detail17trampoline_kernelINS0_14default_configENS1_25partition_config_selectorILNS1_17partition_subalgoE9EllbEEZZNS1_14partition_implILS5_9ELb0ES3_jPlS8_PNS0_10empty_typeENS0_5tupleIJS8_S9_EEENSB_IJS8_SA_EEENS0_18inequality_wrapperIZN2at6native12_GLOBAL__N_124unique_dim_cuda_templateImEESt5tupleIJNSF_6TensorESK_SK_EERKSK_lbbbEUlllE0_EEPmJS9_EEE10hipError_tPvRmT3_T4_T5_T6_T7_T9_mT8_P12ihipStream_tbDpT10_ENKUlT_T0_E_clISt17integral_constantIbLb1EES19_IbLb0EEEEDaS15_S16_EUlS15_E_NS1_11comp_targetILNS1_3genE9ELNS1_11target_archE1100ELNS1_3gpuE3ELNS1_3repE0EEENS1_30default_config_static_selectorELNS0_4arch9wavefront6targetE0EEEvT1_: ; @_ZN7rocprim17ROCPRIM_400000_NS6detail17trampoline_kernelINS0_14default_configENS1_25partition_config_selectorILNS1_17partition_subalgoE9EllbEEZZNS1_14partition_implILS5_9ELb0ES3_jPlS8_PNS0_10empty_typeENS0_5tupleIJS8_S9_EEENSB_IJS8_SA_EEENS0_18inequality_wrapperIZN2at6native12_GLOBAL__N_124unique_dim_cuda_templateImEESt5tupleIJNSF_6TensorESK_SK_EERKSK_lbbbEUlllE0_EEPmJS9_EEE10hipError_tPvRmT3_T4_T5_T6_T7_T9_mT8_P12ihipStream_tbDpT10_ENKUlT_T0_E_clISt17integral_constantIbLb1EES19_IbLb0EEEEDaS15_S16_EUlS15_E_NS1_11comp_targetILNS1_3genE9ELNS1_11target_archE1100ELNS1_3gpuE3ELNS1_3repE0EEENS1_30default_config_static_selectorELNS0_4arch9wavefront6targetE0EEEvT1_
; %bb.0:
	.section	.rodata,"a",@progbits
	.p2align	6, 0x0
	.amdhsa_kernel _ZN7rocprim17ROCPRIM_400000_NS6detail17trampoline_kernelINS0_14default_configENS1_25partition_config_selectorILNS1_17partition_subalgoE9EllbEEZZNS1_14partition_implILS5_9ELb0ES3_jPlS8_PNS0_10empty_typeENS0_5tupleIJS8_S9_EEENSB_IJS8_SA_EEENS0_18inequality_wrapperIZN2at6native12_GLOBAL__N_124unique_dim_cuda_templateImEESt5tupleIJNSF_6TensorESK_SK_EERKSK_lbbbEUlllE0_EEPmJS9_EEE10hipError_tPvRmT3_T4_T5_T6_T7_T9_mT8_P12ihipStream_tbDpT10_ENKUlT_T0_E_clISt17integral_constantIbLb1EES19_IbLb0EEEEDaS15_S16_EUlS15_E_NS1_11comp_targetILNS1_3genE9ELNS1_11target_archE1100ELNS1_3gpuE3ELNS1_3repE0EEENS1_30default_config_static_selectorELNS0_4arch9wavefront6targetE0EEEvT1_
		.amdhsa_group_segment_fixed_size 0
		.amdhsa_private_segment_fixed_size 0
		.amdhsa_kernarg_size 120
		.amdhsa_user_sgpr_count 2
		.amdhsa_user_sgpr_dispatch_ptr 0
		.amdhsa_user_sgpr_queue_ptr 0
		.amdhsa_user_sgpr_kernarg_segment_ptr 1
		.amdhsa_user_sgpr_dispatch_id 0
		.amdhsa_user_sgpr_kernarg_preload_length 0
		.amdhsa_user_sgpr_kernarg_preload_offset 0
		.amdhsa_user_sgpr_private_segment_size 0
		.amdhsa_wavefront_size32 1
		.amdhsa_uses_dynamic_stack 0
		.amdhsa_enable_private_segment 0
		.amdhsa_system_sgpr_workgroup_id_x 1
		.amdhsa_system_sgpr_workgroup_id_y 0
		.amdhsa_system_sgpr_workgroup_id_z 0
		.amdhsa_system_sgpr_workgroup_info 0
		.amdhsa_system_vgpr_workitem_id 0
		.amdhsa_next_free_vgpr 1
		.amdhsa_next_free_sgpr 1
		.amdhsa_named_barrier_count 0
		.amdhsa_reserve_vcc 0
		.amdhsa_float_round_mode_32 0
		.amdhsa_float_round_mode_16_64 0
		.amdhsa_float_denorm_mode_32 3
		.amdhsa_float_denorm_mode_16_64 3
		.amdhsa_fp16_overflow 0
		.amdhsa_memory_ordered 1
		.amdhsa_forward_progress 1
		.amdhsa_inst_pref_size 0
		.amdhsa_round_robin_scheduling 0
		.amdhsa_exception_fp_ieee_invalid_op 0
		.amdhsa_exception_fp_denorm_src 0
		.amdhsa_exception_fp_ieee_div_zero 0
		.amdhsa_exception_fp_ieee_overflow 0
		.amdhsa_exception_fp_ieee_underflow 0
		.amdhsa_exception_fp_ieee_inexact 0
		.amdhsa_exception_int_div_zero 0
	.end_amdhsa_kernel
	.section	.text._ZN7rocprim17ROCPRIM_400000_NS6detail17trampoline_kernelINS0_14default_configENS1_25partition_config_selectorILNS1_17partition_subalgoE9EllbEEZZNS1_14partition_implILS5_9ELb0ES3_jPlS8_PNS0_10empty_typeENS0_5tupleIJS8_S9_EEENSB_IJS8_SA_EEENS0_18inequality_wrapperIZN2at6native12_GLOBAL__N_124unique_dim_cuda_templateImEESt5tupleIJNSF_6TensorESK_SK_EERKSK_lbbbEUlllE0_EEPmJS9_EEE10hipError_tPvRmT3_T4_T5_T6_T7_T9_mT8_P12ihipStream_tbDpT10_ENKUlT_T0_E_clISt17integral_constantIbLb1EES19_IbLb0EEEEDaS15_S16_EUlS15_E_NS1_11comp_targetILNS1_3genE9ELNS1_11target_archE1100ELNS1_3gpuE3ELNS1_3repE0EEENS1_30default_config_static_selectorELNS0_4arch9wavefront6targetE0EEEvT1_,"axG",@progbits,_ZN7rocprim17ROCPRIM_400000_NS6detail17trampoline_kernelINS0_14default_configENS1_25partition_config_selectorILNS1_17partition_subalgoE9EllbEEZZNS1_14partition_implILS5_9ELb0ES3_jPlS8_PNS0_10empty_typeENS0_5tupleIJS8_S9_EEENSB_IJS8_SA_EEENS0_18inequality_wrapperIZN2at6native12_GLOBAL__N_124unique_dim_cuda_templateImEESt5tupleIJNSF_6TensorESK_SK_EERKSK_lbbbEUlllE0_EEPmJS9_EEE10hipError_tPvRmT3_T4_T5_T6_T7_T9_mT8_P12ihipStream_tbDpT10_ENKUlT_T0_E_clISt17integral_constantIbLb1EES19_IbLb0EEEEDaS15_S16_EUlS15_E_NS1_11comp_targetILNS1_3genE9ELNS1_11target_archE1100ELNS1_3gpuE3ELNS1_3repE0EEENS1_30default_config_static_selectorELNS0_4arch9wavefront6targetE0EEEvT1_,comdat
.Lfunc_end1717:
	.size	_ZN7rocprim17ROCPRIM_400000_NS6detail17trampoline_kernelINS0_14default_configENS1_25partition_config_selectorILNS1_17partition_subalgoE9EllbEEZZNS1_14partition_implILS5_9ELb0ES3_jPlS8_PNS0_10empty_typeENS0_5tupleIJS8_S9_EEENSB_IJS8_SA_EEENS0_18inequality_wrapperIZN2at6native12_GLOBAL__N_124unique_dim_cuda_templateImEESt5tupleIJNSF_6TensorESK_SK_EERKSK_lbbbEUlllE0_EEPmJS9_EEE10hipError_tPvRmT3_T4_T5_T6_T7_T9_mT8_P12ihipStream_tbDpT10_ENKUlT_T0_E_clISt17integral_constantIbLb1EES19_IbLb0EEEEDaS15_S16_EUlS15_E_NS1_11comp_targetILNS1_3genE9ELNS1_11target_archE1100ELNS1_3gpuE3ELNS1_3repE0EEENS1_30default_config_static_selectorELNS0_4arch9wavefront6targetE0EEEvT1_, .Lfunc_end1717-_ZN7rocprim17ROCPRIM_400000_NS6detail17trampoline_kernelINS0_14default_configENS1_25partition_config_selectorILNS1_17partition_subalgoE9EllbEEZZNS1_14partition_implILS5_9ELb0ES3_jPlS8_PNS0_10empty_typeENS0_5tupleIJS8_S9_EEENSB_IJS8_SA_EEENS0_18inequality_wrapperIZN2at6native12_GLOBAL__N_124unique_dim_cuda_templateImEESt5tupleIJNSF_6TensorESK_SK_EERKSK_lbbbEUlllE0_EEPmJS9_EEE10hipError_tPvRmT3_T4_T5_T6_T7_T9_mT8_P12ihipStream_tbDpT10_ENKUlT_T0_E_clISt17integral_constantIbLb1EES19_IbLb0EEEEDaS15_S16_EUlS15_E_NS1_11comp_targetILNS1_3genE9ELNS1_11target_archE1100ELNS1_3gpuE3ELNS1_3repE0EEENS1_30default_config_static_selectorELNS0_4arch9wavefront6targetE0EEEvT1_
                                        ; -- End function
	.set _ZN7rocprim17ROCPRIM_400000_NS6detail17trampoline_kernelINS0_14default_configENS1_25partition_config_selectorILNS1_17partition_subalgoE9EllbEEZZNS1_14partition_implILS5_9ELb0ES3_jPlS8_PNS0_10empty_typeENS0_5tupleIJS8_S9_EEENSB_IJS8_SA_EEENS0_18inequality_wrapperIZN2at6native12_GLOBAL__N_124unique_dim_cuda_templateImEESt5tupleIJNSF_6TensorESK_SK_EERKSK_lbbbEUlllE0_EEPmJS9_EEE10hipError_tPvRmT3_T4_T5_T6_T7_T9_mT8_P12ihipStream_tbDpT10_ENKUlT_T0_E_clISt17integral_constantIbLb1EES19_IbLb0EEEEDaS15_S16_EUlS15_E_NS1_11comp_targetILNS1_3genE9ELNS1_11target_archE1100ELNS1_3gpuE3ELNS1_3repE0EEENS1_30default_config_static_selectorELNS0_4arch9wavefront6targetE0EEEvT1_.num_vgpr, 0
	.set _ZN7rocprim17ROCPRIM_400000_NS6detail17trampoline_kernelINS0_14default_configENS1_25partition_config_selectorILNS1_17partition_subalgoE9EllbEEZZNS1_14partition_implILS5_9ELb0ES3_jPlS8_PNS0_10empty_typeENS0_5tupleIJS8_S9_EEENSB_IJS8_SA_EEENS0_18inequality_wrapperIZN2at6native12_GLOBAL__N_124unique_dim_cuda_templateImEESt5tupleIJNSF_6TensorESK_SK_EERKSK_lbbbEUlllE0_EEPmJS9_EEE10hipError_tPvRmT3_T4_T5_T6_T7_T9_mT8_P12ihipStream_tbDpT10_ENKUlT_T0_E_clISt17integral_constantIbLb1EES19_IbLb0EEEEDaS15_S16_EUlS15_E_NS1_11comp_targetILNS1_3genE9ELNS1_11target_archE1100ELNS1_3gpuE3ELNS1_3repE0EEENS1_30default_config_static_selectorELNS0_4arch9wavefront6targetE0EEEvT1_.num_agpr, 0
	.set _ZN7rocprim17ROCPRIM_400000_NS6detail17trampoline_kernelINS0_14default_configENS1_25partition_config_selectorILNS1_17partition_subalgoE9EllbEEZZNS1_14partition_implILS5_9ELb0ES3_jPlS8_PNS0_10empty_typeENS0_5tupleIJS8_S9_EEENSB_IJS8_SA_EEENS0_18inequality_wrapperIZN2at6native12_GLOBAL__N_124unique_dim_cuda_templateImEESt5tupleIJNSF_6TensorESK_SK_EERKSK_lbbbEUlllE0_EEPmJS9_EEE10hipError_tPvRmT3_T4_T5_T6_T7_T9_mT8_P12ihipStream_tbDpT10_ENKUlT_T0_E_clISt17integral_constantIbLb1EES19_IbLb0EEEEDaS15_S16_EUlS15_E_NS1_11comp_targetILNS1_3genE9ELNS1_11target_archE1100ELNS1_3gpuE3ELNS1_3repE0EEENS1_30default_config_static_selectorELNS0_4arch9wavefront6targetE0EEEvT1_.numbered_sgpr, 0
	.set _ZN7rocprim17ROCPRIM_400000_NS6detail17trampoline_kernelINS0_14default_configENS1_25partition_config_selectorILNS1_17partition_subalgoE9EllbEEZZNS1_14partition_implILS5_9ELb0ES3_jPlS8_PNS0_10empty_typeENS0_5tupleIJS8_S9_EEENSB_IJS8_SA_EEENS0_18inequality_wrapperIZN2at6native12_GLOBAL__N_124unique_dim_cuda_templateImEESt5tupleIJNSF_6TensorESK_SK_EERKSK_lbbbEUlllE0_EEPmJS9_EEE10hipError_tPvRmT3_T4_T5_T6_T7_T9_mT8_P12ihipStream_tbDpT10_ENKUlT_T0_E_clISt17integral_constantIbLb1EES19_IbLb0EEEEDaS15_S16_EUlS15_E_NS1_11comp_targetILNS1_3genE9ELNS1_11target_archE1100ELNS1_3gpuE3ELNS1_3repE0EEENS1_30default_config_static_selectorELNS0_4arch9wavefront6targetE0EEEvT1_.num_named_barrier, 0
	.set _ZN7rocprim17ROCPRIM_400000_NS6detail17trampoline_kernelINS0_14default_configENS1_25partition_config_selectorILNS1_17partition_subalgoE9EllbEEZZNS1_14partition_implILS5_9ELb0ES3_jPlS8_PNS0_10empty_typeENS0_5tupleIJS8_S9_EEENSB_IJS8_SA_EEENS0_18inequality_wrapperIZN2at6native12_GLOBAL__N_124unique_dim_cuda_templateImEESt5tupleIJNSF_6TensorESK_SK_EERKSK_lbbbEUlllE0_EEPmJS9_EEE10hipError_tPvRmT3_T4_T5_T6_T7_T9_mT8_P12ihipStream_tbDpT10_ENKUlT_T0_E_clISt17integral_constantIbLb1EES19_IbLb0EEEEDaS15_S16_EUlS15_E_NS1_11comp_targetILNS1_3genE9ELNS1_11target_archE1100ELNS1_3gpuE3ELNS1_3repE0EEENS1_30default_config_static_selectorELNS0_4arch9wavefront6targetE0EEEvT1_.private_seg_size, 0
	.set _ZN7rocprim17ROCPRIM_400000_NS6detail17trampoline_kernelINS0_14default_configENS1_25partition_config_selectorILNS1_17partition_subalgoE9EllbEEZZNS1_14partition_implILS5_9ELb0ES3_jPlS8_PNS0_10empty_typeENS0_5tupleIJS8_S9_EEENSB_IJS8_SA_EEENS0_18inequality_wrapperIZN2at6native12_GLOBAL__N_124unique_dim_cuda_templateImEESt5tupleIJNSF_6TensorESK_SK_EERKSK_lbbbEUlllE0_EEPmJS9_EEE10hipError_tPvRmT3_T4_T5_T6_T7_T9_mT8_P12ihipStream_tbDpT10_ENKUlT_T0_E_clISt17integral_constantIbLb1EES19_IbLb0EEEEDaS15_S16_EUlS15_E_NS1_11comp_targetILNS1_3genE9ELNS1_11target_archE1100ELNS1_3gpuE3ELNS1_3repE0EEENS1_30default_config_static_selectorELNS0_4arch9wavefront6targetE0EEEvT1_.uses_vcc, 0
	.set _ZN7rocprim17ROCPRIM_400000_NS6detail17trampoline_kernelINS0_14default_configENS1_25partition_config_selectorILNS1_17partition_subalgoE9EllbEEZZNS1_14partition_implILS5_9ELb0ES3_jPlS8_PNS0_10empty_typeENS0_5tupleIJS8_S9_EEENSB_IJS8_SA_EEENS0_18inequality_wrapperIZN2at6native12_GLOBAL__N_124unique_dim_cuda_templateImEESt5tupleIJNSF_6TensorESK_SK_EERKSK_lbbbEUlllE0_EEPmJS9_EEE10hipError_tPvRmT3_T4_T5_T6_T7_T9_mT8_P12ihipStream_tbDpT10_ENKUlT_T0_E_clISt17integral_constantIbLb1EES19_IbLb0EEEEDaS15_S16_EUlS15_E_NS1_11comp_targetILNS1_3genE9ELNS1_11target_archE1100ELNS1_3gpuE3ELNS1_3repE0EEENS1_30default_config_static_selectorELNS0_4arch9wavefront6targetE0EEEvT1_.uses_flat_scratch, 0
	.set _ZN7rocprim17ROCPRIM_400000_NS6detail17trampoline_kernelINS0_14default_configENS1_25partition_config_selectorILNS1_17partition_subalgoE9EllbEEZZNS1_14partition_implILS5_9ELb0ES3_jPlS8_PNS0_10empty_typeENS0_5tupleIJS8_S9_EEENSB_IJS8_SA_EEENS0_18inequality_wrapperIZN2at6native12_GLOBAL__N_124unique_dim_cuda_templateImEESt5tupleIJNSF_6TensorESK_SK_EERKSK_lbbbEUlllE0_EEPmJS9_EEE10hipError_tPvRmT3_T4_T5_T6_T7_T9_mT8_P12ihipStream_tbDpT10_ENKUlT_T0_E_clISt17integral_constantIbLb1EES19_IbLb0EEEEDaS15_S16_EUlS15_E_NS1_11comp_targetILNS1_3genE9ELNS1_11target_archE1100ELNS1_3gpuE3ELNS1_3repE0EEENS1_30default_config_static_selectorELNS0_4arch9wavefront6targetE0EEEvT1_.has_dyn_sized_stack, 0
	.set _ZN7rocprim17ROCPRIM_400000_NS6detail17trampoline_kernelINS0_14default_configENS1_25partition_config_selectorILNS1_17partition_subalgoE9EllbEEZZNS1_14partition_implILS5_9ELb0ES3_jPlS8_PNS0_10empty_typeENS0_5tupleIJS8_S9_EEENSB_IJS8_SA_EEENS0_18inequality_wrapperIZN2at6native12_GLOBAL__N_124unique_dim_cuda_templateImEESt5tupleIJNSF_6TensorESK_SK_EERKSK_lbbbEUlllE0_EEPmJS9_EEE10hipError_tPvRmT3_T4_T5_T6_T7_T9_mT8_P12ihipStream_tbDpT10_ENKUlT_T0_E_clISt17integral_constantIbLb1EES19_IbLb0EEEEDaS15_S16_EUlS15_E_NS1_11comp_targetILNS1_3genE9ELNS1_11target_archE1100ELNS1_3gpuE3ELNS1_3repE0EEENS1_30default_config_static_selectorELNS0_4arch9wavefront6targetE0EEEvT1_.has_recursion, 0
	.set _ZN7rocprim17ROCPRIM_400000_NS6detail17trampoline_kernelINS0_14default_configENS1_25partition_config_selectorILNS1_17partition_subalgoE9EllbEEZZNS1_14partition_implILS5_9ELb0ES3_jPlS8_PNS0_10empty_typeENS0_5tupleIJS8_S9_EEENSB_IJS8_SA_EEENS0_18inequality_wrapperIZN2at6native12_GLOBAL__N_124unique_dim_cuda_templateImEESt5tupleIJNSF_6TensorESK_SK_EERKSK_lbbbEUlllE0_EEPmJS9_EEE10hipError_tPvRmT3_T4_T5_T6_T7_T9_mT8_P12ihipStream_tbDpT10_ENKUlT_T0_E_clISt17integral_constantIbLb1EES19_IbLb0EEEEDaS15_S16_EUlS15_E_NS1_11comp_targetILNS1_3genE9ELNS1_11target_archE1100ELNS1_3gpuE3ELNS1_3repE0EEENS1_30default_config_static_selectorELNS0_4arch9wavefront6targetE0EEEvT1_.has_indirect_call, 0
	.section	.AMDGPU.csdata,"",@progbits
; Kernel info:
; codeLenInByte = 0
; TotalNumSgprs: 0
; NumVgprs: 0
; ScratchSize: 0
; MemoryBound: 0
; FloatMode: 240
; IeeeMode: 1
; LDSByteSize: 0 bytes/workgroup (compile time only)
; SGPRBlocks: 0
; VGPRBlocks: 0
; NumSGPRsForWavesPerEU: 1
; NumVGPRsForWavesPerEU: 1
; NamedBarCnt: 0
; Occupancy: 16
; WaveLimiterHint : 0
; COMPUTE_PGM_RSRC2:SCRATCH_EN: 0
; COMPUTE_PGM_RSRC2:USER_SGPR: 2
; COMPUTE_PGM_RSRC2:TRAP_HANDLER: 0
; COMPUTE_PGM_RSRC2:TGID_X_EN: 1
; COMPUTE_PGM_RSRC2:TGID_Y_EN: 0
; COMPUTE_PGM_RSRC2:TGID_Z_EN: 0
; COMPUTE_PGM_RSRC2:TIDIG_COMP_CNT: 0
	.section	.text._ZN7rocprim17ROCPRIM_400000_NS6detail17trampoline_kernelINS0_14default_configENS1_25partition_config_selectorILNS1_17partition_subalgoE9EllbEEZZNS1_14partition_implILS5_9ELb0ES3_jPlS8_PNS0_10empty_typeENS0_5tupleIJS8_S9_EEENSB_IJS8_SA_EEENS0_18inequality_wrapperIZN2at6native12_GLOBAL__N_124unique_dim_cuda_templateImEESt5tupleIJNSF_6TensorESK_SK_EERKSK_lbbbEUlllE0_EEPmJS9_EEE10hipError_tPvRmT3_T4_T5_T6_T7_T9_mT8_P12ihipStream_tbDpT10_ENKUlT_T0_E_clISt17integral_constantIbLb1EES19_IbLb0EEEEDaS15_S16_EUlS15_E_NS1_11comp_targetILNS1_3genE8ELNS1_11target_archE1030ELNS1_3gpuE2ELNS1_3repE0EEENS1_30default_config_static_selectorELNS0_4arch9wavefront6targetE0EEEvT1_,"axG",@progbits,_ZN7rocprim17ROCPRIM_400000_NS6detail17trampoline_kernelINS0_14default_configENS1_25partition_config_selectorILNS1_17partition_subalgoE9EllbEEZZNS1_14partition_implILS5_9ELb0ES3_jPlS8_PNS0_10empty_typeENS0_5tupleIJS8_S9_EEENSB_IJS8_SA_EEENS0_18inequality_wrapperIZN2at6native12_GLOBAL__N_124unique_dim_cuda_templateImEESt5tupleIJNSF_6TensorESK_SK_EERKSK_lbbbEUlllE0_EEPmJS9_EEE10hipError_tPvRmT3_T4_T5_T6_T7_T9_mT8_P12ihipStream_tbDpT10_ENKUlT_T0_E_clISt17integral_constantIbLb1EES19_IbLb0EEEEDaS15_S16_EUlS15_E_NS1_11comp_targetILNS1_3genE8ELNS1_11target_archE1030ELNS1_3gpuE2ELNS1_3repE0EEENS1_30default_config_static_selectorELNS0_4arch9wavefront6targetE0EEEvT1_,comdat
	.globl	_ZN7rocprim17ROCPRIM_400000_NS6detail17trampoline_kernelINS0_14default_configENS1_25partition_config_selectorILNS1_17partition_subalgoE9EllbEEZZNS1_14partition_implILS5_9ELb0ES3_jPlS8_PNS0_10empty_typeENS0_5tupleIJS8_S9_EEENSB_IJS8_SA_EEENS0_18inequality_wrapperIZN2at6native12_GLOBAL__N_124unique_dim_cuda_templateImEESt5tupleIJNSF_6TensorESK_SK_EERKSK_lbbbEUlllE0_EEPmJS9_EEE10hipError_tPvRmT3_T4_T5_T6_T7_T9_mT8_P12ihipStream_tbDpT10_ENKUlT_T0_E_clISt17integral_constantIbLb1EES19_IbLb0EEEEDaS15_S16_EUlS15_E_NS1_11comp_targetILNS1_3genE8ELNS1_11target_archE1030ELNS1_3gpuE2ELNS1_3repE0EEENS1_30default_config_static_selectorELNS0_4arch9wavefront6targetE0EEEvT1_ ; -- Begin function _ZN7rocprim17ROCPRIM_400000_NS6detail17trampoline_kernelINS0_14default_configENS1_25partition_config_selectorILNS1_17partition_subalgoE9EllbEEZZNS1_14partition_implILS5_9ELb0ES3_jPlS8_PNS0_10empty_typeENS0_5tupleIJS8_S9_EEENSB_IJS8_SA_EEENS0_18inequality_wrapperIZN2at6native12_GLOBAL__N_124unique_dim_cuda_templateImEESt5tupleIJNSF_6TensorESK_SK_EERKSK_lbbbEUlllE0_EEPmJS9_EEE10hipError_tPvRmT3_T4_T5_T6_T7_T9_mT8_P12ihipStream_tbDpT10_ENKUlT_T0_E_clISt17integral_constantIbLb1EES19_IbLb0EEEEDaS15_S16_EUlS15_E_NS1_11comp_targetILNS1_3genE8ELNS1_11target_archE1030ELNS1_3gpuE2ELNS1_3repE0EEENS1_30default_config_static_selectorELNS0_4arch9wavefront6targetE0EEEvT1_
	.p2align	8
	.type	_ZN7rocprim17ROCPRIM_400000_NS6detail17trampoline_kernelINS0_14default_configENS1_25partition_config_selectorILNS1_17partition_subalgoE9EllbEEZZNS1_14partition_implILS5_9ELb0ES3_jPlS8_PNS0_10empty_typeENS0_5tupleIJS8_S9_EEENSB_IJS8_SA_EEENS0_18inequality_wrapperIZN2at6native12_GLOBAL__N_124unique_dim_cuda_templateImEESt5tupleIJNSF_6TensorESK_SK_EERKSK_lbbbEUlllE0_EEPmJS9_EEE10hipError_tPvRmT3_T4_T5_T6_T7_T9_mT8_P12ihipStream_tbDpT10_ENKUlT_T0_E_clISt17integral_constantIbLb1EES19_IbLb0EEEEDaS15_S16_EUlS15_E_NS1_11comp_targetILNS1_3genE8ELNS1_11target_archE1030ELNS1_3gpuE2ELNS1_3repE0EEENS1_30default_config_static_selectorELNS0_4arch9wavefront6targetE0EEEvT1_,@function
_ZN7rocprim17ROCPRIM_400000_NS6detail17trampoline_kernelINS0_14default_configENS1_25partition_config_selectorILNS1_17partition_subalgoE9EllbEEZZNS1_14partition_implILS5_9ELb0ES3_jPlS8_PNS0_10empty_typeENS0_5tupleIJS8_S9_EEENSB_IJS8_SA_EEENS0_18inequality_wrapperIZN2at6native12_GLOBAL__N_124unique_dim_cuda_templateImEESt5tupleIJNSF_6TensorESK_SK_EERKSK_lbbbEUlllE0_EEPmJS9_EEE10hipError_tPvRmT3_T4_T5_T6_T7_T9_mT8_P12ihipStream_tbDpT10_ENKUlT_T0_E_clISt17integral_constantIbLb1EES19_IbLb0EEEEDaS15_S16_EUlS15_E_NS1_11comp_targetILNS1_3genE8ELNS1_11target_archE1030ELNS1_3gpuE2ELNS1_3repE0EEENS1_30default_config_static_selectorELNS0_4arch9wavefront6targetE0EEEvT1_: ; @_ZN7rocprim17ROCPRIM_400000_NS6detail17trampoline_kernelINS0_14default_configENS1_25partition_config_selectorILNS1_17partition_subalgoE9EllbEEZZNS1_14partition_implILS5_9ELb0ES3_jPlS8_PNS0_10empty_typeENS0_5tupleIJS8_S9_EEENSB_IJS8_SA_EEENS0_18inequality_wrapperIZN2at6native12_GLOBAL__N_124unique_dim_cuda_templateImEESt5tupleIJNSF_6TensorESK_SK_EERKSK_lbbbEUlllE0_EEPmJS9_EEE10hipError_tPvRmT3_T4_T5_T6_T7_T9_mT8_P12ihipStream_tbDpT10_ENKUlT_T0_E_clISt17integral_constantIbLb1EES19_IbLb0EEEEDaS15_S16_EUlS15_E_NS1_11comp_targetILNS1_3genE8ELNS1_11target_archE1030ELNS1_3gpuE2ELNS1_3repE0EEENS1_30default_config_static_selectorELNS0_4arch9wavefront6targetE0EEEvT1_
; %bb.0:
	.section	.rodata,"a",@progbits
	.p2align	6, 0x0
	.amdhsa_kernel _ZN7rocprim17ROCPRIM_400000_NS6detail17trampoline_kernelINS0_14default_configENS1_25partition_config_selectorILNS1_17partition_subalgoE9EllbEEZZNS1_14partition_implILS5_9ELb0ES3_jPlS8_PNS0_10empty_typeENS0_5tupleIJS8_S9_EEENSB_IJS8_SA_EEENS0_18inequality_wrapperIZN2at6native12_GLOBAL__N_124unique_dim_cuda_templateImEESt5tupleIJNSF_6TensorESK_SK_EERKSK_lbbbEUlllE0_EEPmJS9_EEE10hipError_tPvRmT3_T4_T5_T6_T7_T9_mT8_P12ihipStream_tbDpT10_ENKUlT_T0_E_clISt17integral_constantIbLb1EES19_IbLb0EEEEDaS15_S16_EUlS15_E_NS1_11comp_targetILNS1_3genE8ELNS1_11target_archE1030ELNS1_3gpuE2ELNS1_3repE0EEENS1_30default_config_static_selectorELNS0_4arch9wavefront6targetE0EEEvT1_
		.amdhsa_group_segment_fixed_size 0
		.amdhsa_private_segment_fixed_size 0
		.amdhsa_kernarg_size 120
		.amdhsa_user_sgpr_count 2
		.amdhsa_user_sgpr_dispatch_ptr 0
		.amdhsa_user_sgpr_queue_ptr 0
		.amdhsa_user_sgpr_kernarg_segment_ptr 1
		.amdhsa_user_sgpr_dispatch_id 0
		.amdhsa_user_sgpr_kernarg_preload_length 0
		.amdhsa_user_sgpr_kernarg_preload_offset 0
		.amdhsa_user_sgpr_private_segment_size 0
		.amdhsa_wavefront_size32 1
		.amdhsa_uses_dynamic_stack 0
		.amdhsa_enable_private_segment 0
		.amdhsa_system_sgpr_workgroup_id_x 1
		.amdhsa_system_sgpr_workgroup_id_y 0
		.amdhsa_system_sgpr_workgroup_id_z 0
		.amdhsa_system_sgpr_workgroup_info 0
		.amdhsa_system_vgpr_workitem_id 0
		.amdhsa_next_free_vgpr 1
		.amdhsa_next_free_sgpr 1
		.amdhsa_named_barrier_count 0
		.amdhsa_reserve_vcc 0
		.amdhsa_float_round_mode_32 0
		.amdhsa_float_round_mode_16_64 0
		.amdhsa_float_denorm_mode_32 3
		.amdhsa_float_denorm_mode_16_64 3
		.amdhsa_fp16_overflow 0
		.amdhsa_memory_ordered 1
		.amdhsa_forward_progress 1
		.amdhsa_inst_pref_size 0
		.amdhsa_round_robin_scheduling 0
		.amdhsa_exception_fp_ieee_invalid_op 0
		.amdhsa_exception_fp_denorm_src 0
		.amdhsa_exception_fp_ieee_div_zero 0
		.amdhsa_exception_fp_ieee_overflow 0
		.amdhsa_exception_fp_ieee_underflow 0
		.amdhsa_exception_fp_ieee_inexact 0
		.amdhsa_exception_int_div_zero 0
	.end_amdhsa_kernel
	.section	.text._ZN7rocprim17ROCPRIM_400000_NS6detail17trampoline_kernelINS0_14default_configENS1_25partition_config_selectorILNS1_17partition_subalgoE9EllbEEZZNS1_14partition_implILS5_9ELb0ES3_jPlS8_PNS0_10empty_typeENS0_5tupleIJS8_S9_EEENSB_IJS8_SA_EEENS0_18inequality_wrapperIZN2at6native12_GLOBAL__N_124unique_dim_cuda_templateImEESt5tupleIJNSF_6TensorESK_SK_EERKSK_lbbbEUlllE0_EEPmJS9_EEE10hipError_tPvRmT3_T4_T5_T6_T7_T9_mT8_P12ihipStream_tbDpT10_ENKUlT_T0_E_clISt17integral_constantIbLb1EES19_IbLb0EEEEDaS15_S16_EUlS15_E_NS1_11comp_targetILNS1_3genE8ELNS1_11target_archE1030ELNS1_3gpuE2ELNS1_3repE0EEENS1_30default_config_static_selectorELNS0_4arch9wavefront6targetE0EEEvT1_,"axG",@progbits,_ZN7rocprim17ROCPRIM_400000_NS6detail17trampoline_kernelINS0_14default_configENS1_25partition_config_selectorILNS1_17partition_subalgoE9EllbEEZZNS1_14partition_implILS5_9ELb0ES3_jPlS8_PNS0_10empty_typeENS0_5tupleIJS8_S9_EEENSB_IJS8_SA_EEENS0_18inequality_wrapperIZN2at6native12_GLOBAL__N_124unique_dim_cuda_templateImEESt5tupleIJNSF_6TensorESK_SK_EERKSK_lbbbEUlllE0_EEPmJS9_EEE10hipError_tPvRmT3_T4_T5_T6_T7_T9_mT8_P12ihipStream_tbDpT10_ENKUlT_T0_E_clISt17integral_constantIbLb1EES19_IbLb0EEEEDaS15_S16_EUlS15_E_NS1_11comp_targetILNS1_3genE8ELNS1_11target_archE1030ELNS1_3gpuE2ELNS1_3repE0EEENS1_30default_config_static_selectorELNS0_4arch9wavefront6targetE0EEEvT1_,comdat
.Lfunc_end1718:
	.size	_ZN7rocprim17ROCPRIM_400000_NS6detail17trampoline_kernelINS0_14default_configENS1_25partition_config_selectorILNS1_17partition_subalgoE9EllbEEZZNS1_14partition_implILS5_9ELb0ES3_jPlS8_PNS0_10empty_typeENS0_5tupleIJS8_S9_EEENSB_IJS8_SA_EEENS0_18inequality_wrapperIZN2at6native12_GLOBAL__N_124unique_dim_cuda_templateImEESt5tupleIJNSF_6TensorESK_SK_EERKSK_lbbbEUlllE0_EEPmJS9_EEE10hipError_tPvRmT3_T4_T5_T6_T7_T9_mT8_P12ihipStream_tbDpT10_ENKUlT_T0_E_clISt17integral_constantIbLb1EES19_IbLb0EEEEDaS15_S16_EUlS15_E_NS1_11comp_targetILNS1_3genE8ELNS1_11target_archE1030ELNS1_3gpuE2ELNS1_3repE0EEENS1_30default_config_static_selectorELNS0_4arch9wavefront6targetE0EEEvT1_, .Lfunc_end1718-_ZN7rocprim17ROCPRIM_400000_NS6detail17trampoline_kernelINS0_14default_configENS1_25partition_config_selectorILNS1_17partition_subalgoE9EllbEEZZNS1_14partition_implILS5_9ELb0ES3_jPlS8_PNS0_10empty_typeENS0_5tupleIJS8_S9_EEENSB_IJS8_SA_EEENS0_18inequality_wrapperIZN2at6native12_GLOBAL__N_124unique_dim_cuda_templateImEESt5tupleIJNSF_6TensorESK_SK_EERKSK_lbbbEUlllE0_EEPmJS9_EEE10hipError_tPvRmT3_T4_T5_T6_T7_T9_mT8_P12ihipStream_tbDpT10_ENKUlT_T0_E_clISt17integral_constantIbLb1EES19_IbLb0EEEEDaS15_S16_EUlS15_E_NS1_11comp_targetILNS1_3genE8ELNS1_11target_archE1030ELNS1_3gpuE2ELNS1_3repE0EEENS1_30default_config_static_selectorELNS0_4arch9wavefront6targetE0EEEvT1_
                                        ; -- End function
	.set _ZN7rocprim17ROCPRIM_400000_NS6detail17trampoline_kernelINS0_14default_configENS1_25partition_config_selectorILNS1_17partition_subalgoE9EllbEEZZNS1_14partition_implILS5_9ELb0ES3_jPlS8_PNS0_10empty_typeENS0_5tupleIJS8_S9_EEENSB_IJS8_SA_EEENS0_18inequality_wrapperIZN2at6native12_GLOBAL__N_124unique_dim_cuda_templateImEESt5tupleIJNSF_6TensorESK_SK_EERKSK_lbbbEUlllE0_EEPmJS9_EEE10hipError_tPvRmT3_T4_T5_T6_T7_T9_mT8_P12ihipStream_tbDpT10_ENKUlT_T0_E_clISt17integral_constantIbLb1EES19_IbLb0EEEEDaS15_S16_EUlS15_E_NS1_11comp_targetILNS1_3genE8ELNS1_11target_archE1030ELNS1_3gpuE2ELNS1_3repE0EEENS1_30default_config_static_selectorELNS0_4arch9wavefront6targetE0EEEvT1_.num_vgpr, 0
	.set _ZN7rocprim17ROCPRIM_400000_NS6detail17trampoline_kernelINS0_14default_configENS1_25partition_config_selectorILNS1_17partition_subalgoE9EllbEEZZNS1_14partition_implILS5_9ELb0ES3_jPlS8_PNS0_10empty_typeENS0_5tupleIJS8_S9_EEENSB_IJS8_SA_EEENS0_18inequality_wrapperIZN2at6native12_GLOBAL__N_124unique_dim_cuda_templateImEESt5tupleIJNSF_6TensorESK_SK_EERKSK_lbbbEUlllE0_EEPmJS9_EEE10hipError_tPvRmT3_T4_T5_T6_T7_T9_mT8_P12ihipStream_tbDpT10_ENKUlT_T0_E_clISt17integral_constantIbLb1EES19_IbLb0EEEEDaS15_S16_EUlS15_E_NS1_11comp_targetILNS1_3genE8ELNS1_11target_archE1030ELNS1_3gpuE2ELNS1_3repE0EEENS1_30default_config_static_selectorELNS0_4arch9wavefront6targetE0EEEvT1_.num_agpr, 0
	.set _ZN7rocprim17ROCPRIM_400000_NS6detail17trampoline_kernelINS0_14default_configENS1_25partition_config_selectorILNS1_17partition_subalgoE9EllbEEZZNS1_14partition_implILS5_9ELb0ES3_jPlS8_PNS0_10empty_typeENS0_5tupleIJS8_S9_EEENSB_IJS8_SA_EEENS0_18inequality_wrapperIZN2at6native12_GLOBAL__N_124unique_dim_cuda_templateImEESt5tupleIJNSF_6TensorESK_SK_EERKSK_lbbbEUlllE0_EEPmJS9_EEE10hipError_tPvRmT3_T4_T5_T6_T7_T9_mT8_P12ihipStream_tbDpT10_ENKUlT_T0_E_clISt17integral_constantIbLb1EES19_IbLb0EEEEDaS15_S16_EUlS15_E_NS1_11comp_targetILNS1_3genE8ELNS1_11target_archE1030ELNS1_3gpuE2ELNS1_3repE0EEENS1_30default_config_static_selectorELNS0_4arch9wavefront6targetE0EEEvT1_.numbered_sgpr, 0
	.set _ZN7rocprim17ROCPRIM_400000_NS6detail17trampoline_kernelINS0_14default_configENS1_25partition_config_selectorILNS1_17partition_subalgoE9EllbEEZZNS1_14partition_implILS5_9ELb0ES3_jPlS8_PNS0_10empty_typeENS0_5tupleIJS8_S9_EEENSB_IJS8_SA_EEENS0_18inequality_wrapperIZN2at6native12_GLOBAL__N_124unique_dim_cuda_templateImEESt5tupleIJNSF_6TensorESK_SK_EERKSK_lbbbEUlllE0_EEPmJS9_EEE10hipError_tPvRmT3_T4_T5_T6_T7_T9_mT8_P12ihipStream_tbDpT10_ENKUlT_T0_E_clISt17integral_constantIbLb1EES19_IbLb0EEEEDaS15_S16_EUlS15_E_NS1_11comp_targetILNS1_3genE8ELNS1_11target_archE1030ELNS1_3gpuE2ELNS1_3repE0EEENS1_30default_config_static_selectorELNS0_4arch9wavefront6targetE0EEEvT1_.num_named_barrier, 0
	.set _ZN7rocprim17ROCPRIM_400000_NS6detail17trampoline_kernelINS0_14default_configENS1_25partition_config_selectorILNS1_17partition_subalgoE9EllbEEZZNS1_14partition_implILS5_9ELb0ES3_jPlS8_PNS0_10empty_typeENS0_5tupleIJS8_S9_EEENSB_IJS8_SA_EEENS0_18inequality_wrapperIZN2at6native12_GLOBAL__N_124unique_dim_cuda_templateImEESt5tupleIJNSF_6TensorESK_SK_EERKSK_lbbbEUlllE0_EEPmJS9_EEE10hipError_tPvRmT3_T4_T5_T6_T7_T9_mT8_P12ihipStream_tbDpT10_ENKUlT_T0_E_clISt17integral_constantIbLb1EES19_IbLb0EEEEDaS15_S16_EUlS15_E_NS1_11comp_targetILNS1_3genE8ELNS1_11target_archE1030ELNS1_3gpuE2ELNS1_3repE0EEENS1_30default_config_static_selectorELNS0_4arch9wavefront6targetE0EEEvT1_.private_seg_size, 0
	.set _ZN7rocprim17ROCPRIM_400000_NS6detail17trampoline_kernelINS0_14default_configENS1_25partition_config_selectorILNS1_17partition_subalgoE9EllbEEZZNS1_14partition_implILS5_9ELb0ES3_jPlS8_PNS0_10empty_typeENS0_5tupleIJS8_S9_EEENSB_IJS8_SA_EEENS0_18inequality_wrapperIZN2at6native12_GLOBAL__N_124unique_dim_cuda_templateImEESt5tupleIJNSF_6TensorESK_SK_EERKSK_lbbbEUlllE0_EEPmJS9_EEE10hipError_tPvRmT3_T4_T5_T6_T7_T9_mT8_P12ihipStream_tbDpT10_ENKUlT_T0_E_clISt17integral_constantIbLb1EES19_IbLb0EEEEDaS15_S16_EUlS15_E_NS1_11comp_targetILNS1_3genE8ELNS1_11target_archE1030ELNS1_3gpuE2ELNS1_3repE0EEENS1_30default_config_static_selectorELNS0_4arch9wavefront6targetE0EEEvT1_.uses_vcc, 0
	.set _ZN7rocprim17ROCPRIM_400000_NS6detail17trampoline_kernelINS0_14default_configENS1_25partition_config_selectorILNS1_17partition_subalgoE9EllbEEZZNS1_14partition_implILS5_9ELb0ES3_jPlS8_PNS0_10empty_typeENS0_5tupleIJS8_S9_EEENSB_IJS8_SA_EEENS0_18inequality_wrapperIZN2at6native12_GLOBAL__N_124unique_dim_cuda_templateImEESt5tupleIJNSF_6TensorESK_SK_EERKSK_lbbbEUlllE0_EEPmJS9_EEE10hipError_tPvRmT3_T4_T5_T6_T7_T9_mT8_P12ihipStream_tbDpT10_ENKUlT_T0_E_clISt17integral_constantIbLb1EES19_IbLb0EEEEDaS15_S16_EUlS15_E_NS1_11comp_targetILNS1_3genE8ELNS1_11target_archE1030ELNS1_3gpuE2ELNS1_3repE0EEENS1_30default_config_static_selectorELNS0_4arch9wavefront6targetE0EEEvT1_.uses_flat_scratch, 0
	.set _ZN7rocprim17ROCPRIM_400000_NS6detail17trampoline_kernelINS0_14default_configENS1_25partition_config_selectorILNS1_17partition_subalgoE9EllbEEZZNS1_14partition_implILS5_9ELb0ES3_jPlS8_PNS0_10empty_typeENS0_5tupleIJS8_S9_EEENSB_IJS8_SA_EEENS0_18inequality_wrapperIZN2at6native12_GLOBAL__N_124unique_dim_cuda_templateImEESt5tupleIJNSF_6TensorESK_SK_EERKSK_lbbbEUlllE0_EEPmJS9_EEE10hipError_tPvRmT3_T4_T5_T6_T7_T9_mT8_P12ihipStream_tbDpT10_ENKUlT_T0_E_clISt17integral_constantIbLb1EES19_IbLb0EEEEDaS15_S16_EUlS15_E_NS1_11comp_targetILNS1_3genE8ELNS1_11target_archE1030ELNS1_3gpuE2ELNS1_3repE0EEENS1_30default_config_static_selectorELNS0_4arch9wavefront6targetE0EEEvT1_.has_dyn_sized_stack, 0
	.set _ZN7rocprim17ROCPRIM_400000_NS6detail17trampoline_kernelINS0_14default_configENS1_25partition_config_selectorILNS1_17partition_subalgoE9EllbEEZZNS1_14partition_implILS5_9ELb0ES3_jPlS8_PNS0_10empty_typeENS0_5tupleIJS8_S9_EEENSB_IJS8_SA_EEENS0_18inequality_wrapperIZN2at6native12_GLOBAL__N_124unique_dim_cuda_templateImEESt5tupleIJNSF_6TensorESK_SK_EERKSK_lbbbEUlllE0_EEPmJS9_EEE10hipError_tPvRmT3_T4_T5_T6_T7_T9_mT8_P12ihipStream_tbDpT10_ENKUlT_T0_E_clISt17integral_constantIbLb1EES19_IbLb0EEEEDaS15_S16_EUlS15_E_NS1_11comp_targetILNS1_3genE8ELNS1_11target_archE1030ELNS1_3gpuE2ELNS1_3repE0EEENS1_30default_config_static_selectorELNS0_4arch9wavefront6targetE0EEEvT1_.has_recursion, 0
	.set _ZN7rocprim17ROCPRIM_400000_NS6detail17trampoline_kernelINS0_14default_configENS1_25partition_config_selectorILNS1_17partition_subalgoE9EllbEEZZNS1_14partition_implILS5_9ELb0ES3_jPlS8_PNS0_10empty_typeENS0_5tupleIJS8_S9_EEENSB_IJS8_SA_EEENS0_18inequality_wrapperIZN2at6native12_GLOBAL__N_124unique_dim_cuda_templateImEESt5tupleIJNSF_6TensorESK_SK_EERKSK_lbbbEUlllE0_EEPmJS9_EEE10hipError_tPvRmT3_T4_T5_T6_T7_T9_mT8_P12ihipStream_tbDpT10_ENKUlT_T0_E_clISt17integral_constantIbLb1EES19_IbLb0EEEEDaS15_S16_EUlS15_E_NS1_11comp_targetILNS1_3genE8ELNS1_11target_archE1030ELNS1_3gpuE2ELNS1_3repE0EEENS1_30default_config_static_selectorELNS0_4arch9wavefront6targetE0EEEvT1_.has_indirect_call, 0
	.section	.AMDGPU.csdata,"",@progbits
; Kernel info:
; codeLenInByte = 0
; TotalNumSgprs: 0
; NumVgprs: 0
; ScratchSize: 0
; MemoryBound: 0
; FloatMode: 240
; IeeeMode: 1
; LDSByteSize: 0 bytes/workgroup (compile time only)
; SGPRBlocks: 0
; VGPRBlocks: 0
; NumSGPRsForWavesPerEU: 1
; NumVGPRsForWavesPerEU: 1
; NamedBarCnt: 0
; Occupancy: 16
; WaveLimiterHint : 0
; COMPUTE_PGM_RSRC2:SCRATCH_EN: 0
; COMPUTE_PGM_RSRC2:USER_SGPR: 2
; COMPUTE_PGM_RSRC2:TRAP_HANDLER: 0
; COMPUTE_PGM_RSRC2:TGID_X_EN: 1
; COMPUTE_PGM_RSRC2:TGID_Y_EN: 0
; COMPUTE_PGM_RSRC2:TGID_Z_EN: 0
; COMPUTE_PGM_RSRC2:TIDIG_COMP_CNT: 0
	.section	.text._ZN7rocprim17ROCPRIM_400000_NS6detail17trampoline_kernelINS0_14default_configENS1_25partition_config_selectorILNS1_17partition_subalgoE9EllbEEZZNS1_14partition_implILS5_9ELb0ES3_jPlS8_PNS0_10empty_typeENS0_5tupleIJS8_S9_EEENSB_IJS8_SA_EEENS0_18inequality_wrapperIZN2at6native12_GLOBAL__N_124unique_dim_cuda_templateImEESt5tupleIJNSF_6TensorESK_SK_EERKSK_lbbbEUlllE0_EEPmJS9_EEE10hipError_tPvRmT3_T4_T5_T6_T7_T9_mT8_P12ihipStream_tbDpT10_ENKUlT_T0_E_clISt17integral_constantIbLb0EES19_IbLb1EEEEDaS15_S16_EUlS15_E_NS1_11comp_targetILNS1_3genE0ELNS1_11target_archE4294967295ELNS1_3gpuE0ELNS1_3repE0EEENS1_30default_config_static_selectorELNS0_4arch9wavefront6targetE0EEEvT1_,"axG",@progbits,_ZN7rocprim17ROCPRIM_400000_NS6detail17trampoline_kernelINS0_14default_configENS1_25partition_config_selectorILNS1_17partition_subalgoE9EllbEEZZNS1_14partition_implILS5_9ELb0ES3_jPlS8_PNS0_10empty_typeENS0_5tupleIJS8_S9_EEENSB_IJS8_SA_EEENS0_18inequality_wrapperIZN2at6native12_GLOBAL__N_124unique_dim_cuda_templateImEESt5tupleIJNSF_6TensorESK_SK_EERKSK_lbbbEUlllE0_EEPmJS9_EEE10hipError_tPvRmT3_T4_T5_T6_T7_T9_mT8_P12ihipStream_tbDpT10_ENKUlT_T0_E_clISt17integral_constantIbLb0EES19_IbLb1EEEEDaS15_S16_EUlS15_E_NS1_11comp_targetILNS1_3genE0ELNS1_11target_archE4294967295ELNS1_3gpuE0ELNS1_3repE0EEENS1_30default_config_static_selectorELNS0_4arch9wavefront6targetE0EEEvT1_,comdat
	.globl	_ZN7rocprim17ROCPRIM_400000_NS6detail17trampoline_kernelINS0_14default_configENS1_25partition_config_selectorILNS1_17partition_subalgoE9EllbEEZZNS1_14partition_implILS5_9ELb0ES3_jPlS8_PNS0_10empty_typeENS0_5tupleIJS8_S9_EEENSB_IJS8_SA_EEENS0_18inequality_wrapperIZN2at6native12_GLOBAL__N_124unique_dim_cuda_templateImEESt5tupleIJNSF_6TensorESK_SK_EERKSK_lbbbEUlllE0_EEPmJS9_EEE10hipError_tPvRmT3_T4_T5_T6_T7_T9_mT8_P12ihipStream_tbDpT10_ENKUlT_T0_E_clISt17integral_constantIbLb0EES19_IbLb1EEEEDaS15_S16_EUlS15_E_NS1_11comp_targetILNS1_3genE0ELNS1_11target_archE4294967295ELNS1_3gpuE0ELNS1_3repE0EEENS1_30default_config_static_selectorELNS0_4arch9wavefront6targetE0EEEvT1_ ; -- Begin function _ZN7rocprim17ROCPRIM_400000_NS6detail17trampoline_kernelINS0_14default_configENS1_25partition_config_selectorILNS1_17partition_subalgoE9EllbEEZZNS1_14partition_implILS5_9ELb0ES3_jPlS8_PNS0_10empty_typeENS0_5tupleIJS8_S9_EEENSB_IJS8_SA_EEENS0_18inequality_wrapperIZN2at6native12_GLOBAL__N_124unique_dim_cuda_templateImEESt5tupleIJNSF_6TensorESK_SK_EERKSK_lbbbEUlllE0_EEPmJS9_EEE10hipError_tPvRmT3_T4_T5_T6_T7_T9_mT8_P12ihipStream_tbDpT10_ENKUlT_T0_E_clISt17integral_constantIbLb0EES19_IbLb1EEEEDaS15_S16_EUlS15_E_NS1_11comp_targetILNS1_3genE0ELNS1_11target_archE4294967295ELNS1_3gpuE0ELNS1_3repE0EEENS1_30default_config_static_selectorELNS0_4arch9wavefront6targetE0EEEvT1_
	.p2align	8
	.type	_ZN7rocprim17ROCPRIM_400000_NS6detail17trampoline_kernelINS0_14default_configENS1_25partition_config_selectorILNS1_17partition_subalgoE9EllbEEZZNS1_14partition_implILS5_9ELb0ES3_jPlS8_PNS0_10empty_typeENS0_5tupleIJS8_S9_EEENSB_IJS8_SA_EEENS0_18inequality_wrapperIZN2at6native12_GLOBAL__N_124unique_dim_cuda_templateImEESt5tupleIJNSF_6TensorESK_SK_EERKSK_lbbbEUlllE0_EEPmJS9_EEE10hipError_tPvRmT3_T4_T5_T6_T7_T9_mT8_P12ihipStream_tbDpT10_ENKUlT_T0_E_clISt17integral_constantIbLb0EES19_IbLb1EEEEDaS15_S16_EUlS15_E_NS1_11comp_targetILNS1_3genE0ELNS1_11target_archE4294967295ELNS1_3gpuE0ELNS1_3repE0EEENS1_30default_config_static_selectorELNS0_4arch9wavefront6targetE0EEEvT1_,@function
_ZN7rocprim17ROCPRIM_400000_NS6detail17trampoline_kernelINS0_14default_configENS1_25partition_config_selectorILNS1_17partition_subalgoE9EllbEEZZNS1_14partition_implILS5_9ELb0ES3_jPlS8_PNS0_10empty_typeENS0_5tupleIJS8_S9_EEENSB_IJS8_SA_EEENS0_18inequality_wrapperIZN2at6native12_GLOBAL__N_124unique_dim_cuda_templateImEESt5tupleIJNSF_6TensorESK_SK_EERKSK_lbbbEUlllE0_EEPmJS9_EEE10hipError_tPvRmT3_T4_T5_T6_T7_T9_mT8_P12ihipStream_tbDpT10_ENKUlT_T0_E_clISt17integral_constantIbLb0EES19_IbLb1EEEEDaS15_S16_EUlS15_E_NS1_11comp_targetILNS1_3genE0ELNS1_11target_archE4294967295ELNS1_3gpuE0ELNS1_3repE0EEENS1_30default_config_static_selectorELNS0_4arch9wavefront6targetE0EEEvT1_: ; @_ZN7rocprim17ROCPRIM_400000_NS6detail17trampoline_kernelINS0_14default_configENS1_25partition_config_selectorILNS1_17partition_subalgoE9EllbEEZZNS1_14partition_implILS5_9ELb0ES3_jPlS8_PNS0_10empty_typeENS0_5tupleIJS8_S9_EEENSB_IJS8_SA_EEENS0_18inequality_wrapperIZN2at6native12_GLOBAL__N_124unique_dim_cuda_templateImEESt5tupleIJNSF_6TensorESK_SK_EERKSK_lbbbEUlllE0_EEPmJS9_EEE10hipError_tPvRmT3_T4_T5_T6_T7_T9_mT8_P12ihipStream_tbDpT10_ENKUlT_T0_E_clISt17integral_constantIbLb0EES19_IbLb1EEEEDaS15_S16_EUlS15_E_NS1_11comp_targetILNS1_3genE0ELNS1_11target_archE4294967295ELNS1_3gpuE0ELNS1_3repE0EEENS1_30default_config_static_selectorELNS0_4arch9wavefront6targetE0EEEvT1_
; %bb.0:
	s_clause 0x3
	s_load_b128 s[4:7], s[0:1], 0x8
	s_load_b64 s[24:25], s[0:1], 0x18
	s_load_b256 s[12:19], s[0:1], 0x40
	s_load_b128 s[8:11], s[0:1], 0x60
	v_cmp_ne_u32_e64 s3, 0, v0
	v_cmp_eq_u32_e64 s2, 0, v0
	s_and_saveexec_b32 s20, s2
	s_cbranch_execz .LBB1719_4
; %bb.1:
	s_mov_b32 s22, exec_lo
	s_mov_b32 s21, exec_lo
	v_mbcnt_lo_u32_b32 v1, s22, 0
                                        ; implicit-def: $vgpr2
	s_delay_alu instid0(VALU_DEP_1)
	v_cmpx_eq_u32_e32 0, v1
	s_cbranch_execz .LBB1719_3
; %bb.2:
	s_load_b64 s[26:27], s[0:1], 0x78
	s_bcnt1_i32_b32 s22, s22
	s_delay_alu instid0(SALU_CYCLE_1)
	v_dual_mov_b32 v2, 0 :: v_dual_mov_b32 v3, s22
	s_wait_xcnt 0x0
	s_wait_kmcnt 0x0
	global_atomic_add_u32 v2, v2, v3, s[26:27] th:TH_ATOMIC_RETURN scope:SCOPE_DEV
.LBB1719_3:
	s_wait_xcnt 0x0
	s_or_b32 exec_lo, exec_lo, s21
	s_wait_loadcnt 0x0
	v_readfirstlane_b32 s21, v2
	s_delay_alu instid0(VALU_DEP_1)
	v_dual_mov_b32 v2, 0 :: v_dual_add_nc_u32 v1, s21, v1
	ds_store_b32 v2, v1
.LBB1719_4:
	s_or_b32 exec_lo, exec_lo, s20
	v_mov_b32_e32 v1, 0
	s_clause 0x1
	s_load_b128 s[20:23], s[0:1], 0x28
	s_load_b32 s28, s[0:1], 0x70
	s_wait_dscnt 0x0
	s_barrier_signal -1
	s_barrier_wait -1
	ds_load_b32 v4, v1
	s_wait_dscnt 0x0
	s_barrier_signal -1
	s_barrier_wait -1
	s_wait_kmcnt 0x0
	global_load_b64 v[2:3], v1, s[14:15]
	s_wait_xcnt 0x0
	s_mov_b32 s15, 0
	s_lshl_b64 s[26:27], s[6:7], 3
	v_lshlrev_b32_e32 v1, 3, v0
	s_add_nc_u64 s[4:5], s[4:5], s[26:27]
	s_mov_b32 s1, -1
	s_mul_i32 s14, s28, 0x280
	s_add_co_i32 s28, s28, -1
	s_add_co_i32 s0, s14, s6
	s_add_nc_u64 s[34:35], s[6:7], s[14:15]
	s_sub_co_i32 s31, s16, s0
	v_readfirstlane_b32 s30, v4
	v_cmp_le_u64_e64 s0, s[16:17], s[34:35]
	s_addk_co_i32 s31, 0x280
	s_cmp_eq_u32 s30, s28
	s_mul_i32 s14, s30, 0x280
	s_cselect_b32 s28, -1, 0
	s_lshl_b64 s[16:17], s[14:15], 3
	s_and_b32 s33, s0, s28
	s_add_nc_u64 s[4:5], s[4:5], s[16:17]
	s_xor_b32 s29, s33, -1
	s_delay_alu instid0(SALU_CYCLE_1)
	s_and_b32 vcc_lo, exec_lo, s29
	s_wait_loadcnt 0x0
	v_readfirstlane_b32 s14, v2
	v_readfirstlane_b32 s15, v3
	s_cbranch_vccz .LBB1719_6
; %bb.5:
	s_clause 0x4
	global_load_b64 v[2:3], v0, s[4:5] scale_offset
	global_load_b64 v[4:5], v0, s[4:5] offset:1024 scale_offset
	global_load_b64 v[6:7], v0, s[4:5] offset:2048 scale_offset
	global_load_b64 v[8:9], v0, s[4:5] offset:3072 scale_offset
	global_load_b64 v[10:11], v0, s[4:5] offset:4096 scale_offset
	v_lshlrev_b32_e32 v12, 3, v0
	s_mov_b32 s1, 0
	s_wait_loadcnt 0x3
	ds_store_2addr_stride64_b64 v12, v[2:3], v[4:5] offset1:2
	s_wait_loadcnt 0x1
	ds_store_2addr_stride64_b64 v12, v[6:7], v[8:9] offset0:4 offset1:6
	s_wait_loadcnt 0x0
	ds_store_b64 v12, v[10:11] offset:4096
	s_wait_dscnt 0x0
	s_barrier_signal -1
	s_barrier_wait -1
.LBB1719_6:
	v_cmp_gt_u32_e64 s0, s31, v0
	s_and_not1_b32 vcc_lo, exec_lo, s1
	s_cbranch_vccnz .LBB1719_18
; %bb.7:
	v_mov_b32_e32 v2, 0
	s_delay_alu instid0(VALU_DEP_1)
	v_dual_mov_b32 v3, v2 :: v_dual_mov_b32 v4, v2
	v_dual_mov_b32 v5, v2 :: v_dual_mov_b32 v6, v2
	;; [unrolled: 1-line block ×4, first 2 shown]
	v_mov_b32_e32 v11, v2
	s_and_saveexec_b32 s1, s0
	s_cbranch_execz .LBB1719_9
; %bb.8:
	global_load_b64 v[4:5], v0, s[4:5] scale_offset
	v_dual_mov_b32 v6, v2 :: v_dual_mov_b32 v7, v2
	v_dual_mov_b32 v8, v2 :: v_dual_mov_b32 v9, v2
	;; [unrolled: 1-line block ×4, first 2 shown]
	s_wait_loadcnt 0x0
	v_mov_b64_e32 v[2:3], v[4:5]
	v_mov_b64_e32 v[4:5], v[6:7]
	;; [unrolled: 1-line block ×8, first 2 shown]
.LBB1719_9:
	s_or_b32 exec_lo, exec_lo, s1
	v_or_b32_e32 v12, 0x80, v0
	s_mov_b32 s0, exec_lo
	s_delay_alu instid0(VALU_DEP_1)
	v_cmpx_gt_u32_e64 s31, v12
	s_cbranch_execz .LBB1719_11
; %bb.10:
	global_load_b64 v[4:5], v0, s[4:5] offset:1024 scale_offset
.LBB1719_11:
	s_wait_xcnt 0x0
	s_or_b32 exec_lo, exec_lo, s0
	v_or_b32_e32 v12, 0x100, v0
	s_mov_b32 s0, exec_lo
	s_delay_alu instid0(VALU_DEP_1)
	v_cmpx_gt_u32_e64 s31, v12
	s_cbranch_execz .LBB1719_13
; %bb.12:
	global_load_b64 v[6:7], v0, s[4:5] offset:2048 scale_offset
.LBB1719_13:
	s_wait_xcnt 0x0
	;; [unrolled: 10-line block ×4, first 2 shown]
	s_or_b32 exec_lo, exec_lo, s0
	v_lshlrev_b32_e32 v12, 3, v0
	s_wait_loadcnt 0x0
	ds_store_2addr_stride64_b64 v12, v[2:3], v[4:5] offset1:2
	ds_store_2addr_stride64_b64 v12, v[6:7], v[8:9] offset0:4 offset1:6
	ds_store_b64 v12, v[10:11] offset:4096
	s_wait_dscnt 0x0
	s_barrier_signal -1
	s_barrier_wait -1
.LBB1719_18:
	v_mul_u32_u24_e32 v30, 5, v0
	s_add_nc_u64 s[0:1], s[24:25], s[26:27]
	s_and_b32 vcc_lo, exec_lo, s29
	s_add_nc_u64 s[0:1], s[0:1], s[16:17]
	s_delay_alu instid0(VALU_DEP_1)
	v_lshlrev_b32_e32 v31, 3, v30
	s_mov_b32 s16, -1
	ds_load_2addr_b64 v[14:17], v31 offset1:1
	ds_load_2addr_b64 v[10:13], v31 offset0:2 offset1:3
	ds_load_b64 v[20:21], v31 offset:32
	s_wait_dscnt 0x0
	s_barrier_signal -1
	s_barrier_wait -1
	s_cbranch_vccz .LBB1719_20
; %bb.19:
	s_clause 0x4
	global_load_b64 v[2:3], v0, s[0:1] scale_offset
	global_load_b64 v[4:5], v0, s[0:1] offset:1024 scale_offset
	global_load_b64 v[6:7], v0, s[0:1] offset:2048 scale_offset
	;; [unrolled: 1-line block ×4, first 2 shown]
	v_lshlrev_b32_e32 v22, 3, v0
	s_mov_b32 s16, 0
	s_wait_loadcnt 0x3
	ds_store_2addr_stride64_b64 v22, v[2:3], v[4:5] offset1:2
	s_wait_loadcnt 0x1
	ds_store_2addr_stride64_b64 v22, v[6:7], v[8:9] offset0:4 offset1:6
	s_wait_loadcnt 0x0
	ds_store_b64 v22, v[18:19] offset:4096
	s_wait_dscnt 0x0
	s_barrier_signal -1
	s_barrier_wait -1
.LBB1719_20:
	s_and_not1_b32 vcc_lo, exec_lo, s16
	s_cbranch_vccnz .LBB1719_32
; %bb.21:
	s_mov_b32 s16, exec_lo
                                        ; implicit-def: $vgpr2_vgpr3
	v_cmpx_gt_u32_e64 s31, v0
	s_cbranch_execz .LBB1719_23
; %bb.22:
	global_load_b64 v[2:3], v0, s[0:1] scale_offset
.LBB1719_23:
	s_wait_xcnt 0x0
	s_or_b32 exec_lo, exec_lo, s16
	v_or_b32_e32 v4, 0x80, v0
	s_delay_alu instid0(VALU_DEP_1)
	v_cmp_gt_u32_e32 vcc_lo, s31, v4
                                        ; implicit-def: $vgpr4_vgpr5
	s_and_saveexec_b32 s16, vcc_lo
	s_cbranch_execz .LBB1719_25
; %bb.24:
	global_load_b64 v[4:5], v0, s[0:1] offset:1024 scale_offset
.LBB1719_25:
	s_wait_xcnt 0x0
	s_or_b32 exec_lo, exec_lo, s16
	v_or_b32_e32 v6, 0x100, v0
	s_delay_alu instid0(VALU_DEP_1)
	v_cmp_gt_u32_e32 vcc_lo, s31, v6
                                        ; implicit-def: $vgpr6_vgpr7
	s_and_saveexec_b32 s16, vcc_lo
	s_cbranch_execz .LBB1719_27
; %bb.26:
	global_load_b64 v[6:7], v0, s[0:1] offset:2048 scale_offset
.LBB1719_27:
	s_wait_xcnt 0x0
	s_or_b32 exec_lo, exec_lo, s16
	v_or_b32_e32 v8, 0x180, v0
	s_delay_alu instid0(VALU_DEP_1)
	v_cmp_gt_u32_e32 vcc_lo, s31, v8
                                        ; implicit-def: $vgpr8_vgpr9
	s_and_saveexec_b32 s16, vcc_lo
	s_cbranch_execz .LBB1719_29
; %bb.28:
	global_load_b64 v[8:9], v0, s[0:1] offset:3072 scale_offset
.LBB1719_29:
	s_wait_xcnt 0x0
	s_or_b32 exec_lo, exec_lo, s16
	v_or_b32_e32 v18, 0x200, v0
	s_delay_alu instid0(VALU_DEP_1)
	v_cmp_gt_u32_e32 vcc_lo, s31, v18
                                        ; implicit-def: $vgpr18_vgpr19
	s_and_saveexec_b32 s16, vcc_lo
	s_cbranch_execz .LBB1719_31
; %bb.30:
	global_load_b64 v[18:19], v0, s[0:1] offset:4096 scale_offset
.LBB1719_31:
	s_wait_xcnt 0x0
	s_or_b32 exec_lo, exec_lo, s16
	v_lshlrev_b32_e32 v22, 5, v0
	s_delay_alu instid0(VALU_DEP_1)
	v_sub_nc_u32_e32 v22, v31, v22
	s_wait_loadcnt 0x0
	ds_store_2addr_stride64_b64 v22, v[2:3], v[4:5] offset1:2
	ds_store_2addr_stride64_b64 v22, v[6:7], v[8:9] offset0:4 offset1:6
	ds_store_b64 v22, v[18:19] offset:4096
	s_wait_dscnt 0x0
	s_barrier_signal -1
	s_barrier_wait -1
.LBB1719_32:
	ds_load_b64 v[18:19], v31 offset:32
	ds_load_2addr_b64 v[2:5], v31 offset0:2 offset1:3
	ds_load_2addr_b64 v[6:9], v31 offset1:1
	s_cmp_lg_u32 s30, 0
	s_wait_dscnt 0x0
	s_cselect_b32 s16, -1, 0
	s_cmp_lg_u64 s[6:7], 0
	v_cmp_gt_i64_e64 s7, s[18:19], 0
	s_cselect_b32 s0, -1, 0
	s_mov_b32 s6, 0
	s_or_b32 s0, s0, s16
	s_barrier_signal -1
	s_and_b32 vcc_lo, exec_lo, s0
	s_barrier_wait -1
	s_cbranch_vccz .LBB1719_44
; %bb.33:
	v_dual_mov_b32 v26, 0 :: v_dual_lshlrev_b32 v33, 3, v0
	v_cndmask_b32_e64 v32, 0, 1, s7
	s_and_b32 vcc_lo, exec_lo, s29
	global_load_b64 v[22:23], v26, s[4:5] offset:-8
	ds_store_b64 v33, v[20:21]
	v_cmp_ne_u32_e64 s0, 1, v32
	s_cbranch_vccz .LBB1719_46
; %bb.34:
	s_and_b32 vcc_lo, exec_lo, s0
	s_cbranch_vccnz .LBB1719_47
; %bb.35:
	v_mul_u64_e32 v[24:25], s[18:19], v[12:13]
	s_wait_xcnt 0x0
	v_mul_u64_e32 v[26:27], s[18:19], v[20:21]
	s_add_nc_u64 s[4:5], s[18:19], -1
	s_mov_b32 s17, 0
	s_mov_b64 s[0:1], s[4:5]
                                        ; implicit-def: $sgpr6
	s_delay_alu instid0(VALU_DEP_2) | instskip(NEXT) | instid1(VALU_DEP_2)
	v_lshl_add_u64 v[24:25], v[24:25], 3, s[8:9]
	v_lshl_add_u64 v[26:27], v[26:27], 3, s[8:9]
	s_delay_alu instid0(VALU_DEP_2)
	v_mov_b64_e32 v[28:29], v[24:25]
.LBB1719_36:                            ; =>This Inner Loop Header: Depth=1
	global_load_b64 v[34:35], v[28:29], off
	global_load_b64 v[36:37], v[26:27], off
	s_cmp_eq_u64 s[0:1], 0
	s_add_nc_u64 s[24:25], s[0:1], -1
	s_cselect_b32 s1, -1, 0
	s_wait_xcnt 0x1
	v_add_nc_u64_e32 v[28:29], 8, v[28:29]
	s_wait_xcnt 0x0
	v_add_nc_u64_e32 v[26:27], 8, v[26:27]
	s_wait_loadcnt 0x0
	v_cmp_ne_u64_e32 vcc_lo, v[34:35], v[36:37]
	v_cmp_eq_u64_e64 s0, v[34:35], v[36:37]
	s_or_b32 s1, vcc_lo, s1
	s_delay_alu instid0(SALU_CYCLE_1) | instskip(NEXT) | instid1(SALU_CYCLE_1)
	s_and_b32 s1, exec_lo, s1
	s_or_b32 s17, s1, s17
	s_and_not1_b32 s6, s6, exec_lo
	s_and_b32 s26, s0, exec_lo
	s_mov_b64 s[0:1], s[24:25]
	s_or_b32 s6, s6, s26
	s_and_not1_b32 exec_lo, exec_lo, s17
	s_cbranch_execnz .LBB1719_36
; %bb.37:
	s_or_b32 exec_lo, exec_lo, s17
	v_mul_u64_e32 v[26:27], s[18:19], v[10:11]
	s_mov_b32 s24, 0
	s_mov_b64 s[0:1], s[4:5]
                                        ; implicit-def: $sgpr17
	s_delay_alu instid0(VALU_DEP_1) | instskip(NEXT) | instid1(VALU_DEP_1)
	v_lshl_add_u64 v[26:27], v[26:27], 3, s[8:9]
	v_mov_b64_e32 v[28:29], v[26:27]
.LBB1719_38:                            ; =>This Inner Loop Header: Depth=1
	global_load_b64 v[34:35], v[28:29], off
	global_load_b64 v[36:37], v[24:25], off
	s_cmp_eq_u64 s[0:1], 0
	s_add_nc_u64 s[26:27], s[0:1], -1
	s_cselect_b32 s1, -1, 0
	s_wait_xcnt 0x1
	v_add_nc_u64_e32 v[28:29], 8, v[28:29]
	s_wait_xcnt 0x0
	v_add_nc_u64_e32 v[24:25], 8, v[24:25]
	s_wait_loadcnt 0x0
	v_cmp_ne_u64_e32 vcc_lo, v[34:35], v[36:37]
	v_cmp_eq_u64_e64 s0, v[34:35], v[36:37]
	s_or_b32 s1, vcc_lo, s1
	s_delay_alu instid0(SALU_CYCLE_1) | instskip(NEXT) | instid1(SALU_CYCLE_1)
	s_and_b32 s1, exec_lo, s1
	s_or_b32 s24, s1, s24
	s_and_not1_b32 s17, s17, exec_lo
	s_and_b32 s25, s0, exec_lo
	s_mov_b64 s[0:1], s[26:27]
	s_or_b32 s17, s17, s25
	s_and_not1_b32 exec_lo, exec_lo, s24
	s_cbranch_execnz .LBB1719_38
; %bb.39:
	s_or_b32 exec_lo, exec_lo, s24
	v_mul_u64_e32 v[24:25], s[18:19], v[16:17]
	s_mov_b32 s25, 0
	s_mov_b64 s[0:1], s[4:5]
                                        ; implicit-def: $sgpr24
	s_delay_alu instid0(VALU_DEP_1) | instskip(NEXT) | instid1(VALU_DEP_1)
	v_lshl_add_u64 v[24:25], v[24:25], 3, s[8:9]
	v_mov_b64_e32 v[28:29], v[24:25]
.LBB1719_40:                            ; =>This Inner Loop Header: Depth=1
	global_load_b64 v[34:35], v[28:29], off
	global_load_b64 v[36:37], v[26:27], off
	s_cmp_eq_u64 s[0:1], 0
	s_add_nc_u64 s[26:27], s[0:1], -1
	s_cselect_b32 s1, -1, 0
	s_wait_xcnt 0x1
	v_add_nc_u64_e32 v[28:29], 8, v[28:29]
	s_wait_xcnt 0x0
	v_add_nc_u64_e32 v[26:27], 8, v[26:27]
	s_wait_loadcnt 0x0
	v_cmp_ne_u64_e32 vcc_lo, v[34:35], v[36:37]
	v_cmp_eq_u64_e64 s0, v[34:35], v[36:37]
	s_or_b32 s1, vcc_lo, s1
	s_delay_alu instid0(SALU_CYCLE_1) | instskip(NEXT) | instid1(SALU_CYCLE_1)
	s_and_b32 s1, exec_lo, s1
	s_or_b32 s25, s1, s25
	s_and_not1_b32 s24, s24, exec_lo
	s_and_b32 s34, s0, exec_lo
	s_mov_b64 s[0:1], s[26:27]
	s_or_b32 s24, s24, s34
	s_and_not1_b32 exec_lo, exec_lo, s25
	s_cbranch_execnz .LBB1719_40
; %bb.41:
	s_or_b32 exec_lo, exec_lo, s25
	v_mul_u64_e32 v[26:27], s[18:19], v[14:15]
	s_mov_b32 s25, 0
                                        ; implicit-def: $sgpr1
	s_delay_alu instid0(VALU_DEP_1)
	v_lshl_add_u64 v[26:27], v[26:27], 3, s[8:9]
.LBB1719_42:                            ; =>This Inner Loop Header: Depth=1
	global_load_b64 v[28:29], v[26:27], off
	global_load_b64 v[34:35], v[24:25], off
	s_cmp_eq_u64 s[4:5], 0
	s_add_nc_u64 s[26:27], s[4:5], -1
	s_cselect_b32 s4, -1, 0
	s_wait_xcnt 0x1
	v_add_nc_u64_e32 v[26:27], 8, v[26:27]
	s_wait_xcnt 0x0
	v_add_nc_u64_e32 v[24:25], 8, v[24:25]
	s_wait_loadcnt 0x0
	v_cmp_ne_u64_e32 vcc_lo, v[28:29], v[34:35]
	v_cmp_eq_u64_e64 s0, v[28:29], v[34:35]
	s_or_b32 s4, vcc_lo, s4
	s_delay_alu instid0(SALU_CYCLE_1) | instskip(NEXT) | instid1(SALU_CYCLE_1)
	s_and_b32 s4, exec_lo, s4
	s_or_b32 s25, s4, s25
	s_and_not1_b32 s1, s1, exec_lo
	s_and_b32 s0, s0, exec_lo
	s_mov_b64 s[4:5], s[26:27]
	s_or_b32 s1, s1, s0
	s_and_not1_b32 exec_lo, exec_lo, s25
	s_cbranch_execnz .LBB1719_42
; %bb.43:
	s_or_b32 exec_lo, exec_lo, s25
	s_xor_b32 s0, s17, -1
	s_delay_alu instid0(SALU_CYCLE_1) | instskip(SKIP_1) | instid1(SALU_CYCLE_1)
	v_cndmask_b32_e64 v24, 0, 1, s0
	s_xor_b32 s0, s24, -1
	v_cndmask_b32_e64 v25, 0, 1, s0
	s_xor_b32 s0, s6, -1
	s_delay_alu instid0(VALU_DEP_2) | instskip(SKIP_2) | instid1(VALU_DEP_2)
	v_lshlrev_b16 v24, 8, v24
	v_cndmask_b32_e64 v34, 0, 1, s0
	s_xor_b32 s0, s1, -1
	v_lshrrev_b32_e32 v24, 8, v24
	s_delay_alu instid0(VALU_DEP_1) | instskip(NEXT) | instid1(VALU_DEP_1)
	v_lshlrev_b16 v24, 8, v24
	v_or_b32_e32 v24, v25, v24
	s_delay_alu instid0(VALU_DEP_1)
	v_lshlrev_b32_e32 v26, 16, v24
	s_branch .LBB1719_48
.LBB1719_44:
                                        ; implicit-def: $sgpr0
                                        ; implicit-def: $vgpr34
                                        ; implicit-def: $vgpr25
	s_branch .LBB1719_89
.LBB1719_45:
                                        ; implicit-def: $vgpr24
                                        ; implicit-def: $vgpr23
                                        ; implicit-def: $vgpr35
                                        ; implicit-def: $vgpr22
	s_branch .LBB1719_142
.LBB1719_46:
	s_wait_xcnt 0x0
                                        ; implicit-def: $sgpr0
                                        ; implicit-def: $vgpr34
                                        ; implicit-def: $vgpr25
	s_cbranch_execnz .LBB1719_55
	s_branch .LBB1719_88
.LBB1719_47:
	v_mov_b32_e32 v34, 0
	s_mov_b32 s0, 0
.LBB1719_48:
	s_wait_loadcnt 0x0
	v_mov_b64_e32 v[24:25], v[22:23]
	s_wait_dscnt 0x0
	s_barrier_signal -1
	s_barrier_wait -1
	s_and_saveexec_b32 s1, s3
; %bb.49:
	v_add_nc_u32_e32 v24, -8, v33
	ds_load_b64 v[24:25], v24
; %bb.50:
	s_or_b32 exec_lo, exec_lo, s1
	v_cndmask_b32_e64 v27, 0, 1, s0
	v_lshrrev_b32_e32 v28, 16, v26
	s_mov_b32 s4, 0
	s_and_not1_b32 vcc_lo, exec_lo, s7
	s_mov_b32 s0, 0
	v_lshlrev_b16 v27, 8, v27
	v_perm_b32 v28, v28, v26, 0xc0c0304
	s_delay_alu instid0(VALU_DEP_2) | instskip(NEXT) | instid1(VALU_DEP_1)
	v_bitop3_b16 v27, v26, v27, 0xff bitop3:0xec
	v_and_b32_e32 v29, 0xffff, v27
	s_cbranch_vccnz .LBB1719_54
; %bb.51:
	s_wait_dscnt 0x0
	v_mul_u64_e32 v[24:25], s[18:19], v[24:25]
	v_mul_u64_e32 v[26:27], s[18:19], v[14:15]
	s_add_nc_u64 s[0:1], s[18:19], -1
	s_mov_b32 s5, 0
                                        ; implicit-def: $sgpr6
	s_delay_alu instid0(VALU_DEP_2) | instskip(NEXT) | instid1(VALU_DEP_2)
	v_lshl_add_u64 v[24:25], v[24:25], 3, s[8:9]
	v_lshl_add_u64 v[26:27], v[26:27], 3, s[8:9]
.LBB1719_52:                            ; =>This Inner Loop Header: Depth=1
	global_load_b64 v[36:37], v[24:25], off
	global_load_b64 v[38:39], v[26:27], off
	s_cmp_eq_u64 s[0:1], 0
	s_add_nc_u64 s[24:25], s[0:1], -1
	s_cselect_b32 s1, -1, 0
	s_wait_xcnt 0x1
	v_add_nc_u64_e32 v[24:25], 8, v[24:25]
	s_wait_xcnt 0x0
	v_add_nc_u64_e32 v[26:27], 8, v[26:27]
	s_wait_loadcnt 0x0
	v_cmp_ne_u64_e32 vcc_lo, v[36:37], v[38:39]
	v_cmp_eq_u64_e64 s0, v[36:37], v[38:39]
	s_or_b32 s1, vcc_lo, s1
	s_delay_alu instid0(SALU_CYCLE_1) | instskip(NEXT) | instid1(SALU_CYCLE_1)
	s_and_b32 s1, exec_lo, s1
	s_or_b32 s5, s1, s5
	s_and_not1_b32 s6, s6, exec_lo
	s_and_b32 s17, s0, exec_lo
	s_mov_b64 s[0:1], s[24:25]
	s_or_b32 s6, s6, s17
	s_and_not1_b32 exec_lo, exec_lo, s5
	s_cbranch_execnz .LBB1719_52
; %bb.53:
	s_or_b32 exec_lo, exec_lo, s5
	s_xor_b32 s0, s6, -1
.LBB1719_54:
	s_wait_dscnt 0x0
	s_delay_alu instid0(VALU_DEP_1)
	v_lshl_or_b32 v25, v28, 16, v29
	s_and_b32 vcc_lo, exec_lo, s4
	s_cbranch_vccz .LBB1719_88
.LBB1719_55:
	v_add_nc_u32_e32 v24, 4, v30
	s_mov_b32 s5, 0
	s_mov_b32 s4, 0
	s_mov_b32 s6, exec_lo
	s_delay_alu instid0(VALU_DEP_1)
	v_cmpx_gt_u32_e64 s31, v24
	s_cbranch_execz .LBB1719_61
; %bb.56:
	s_and_not1_b32 vcc_lo, exec_lo, s7
	s_mov_b32 s0, 0
	s_cbranch_vccnz .LBB1719_60
; %bb.57:
	v_mul_u64_e32 v[24:25], s[18:19], v[12:13]
	v_mul_u64_e32 v[26:27], s[18:19], v[20:21]
	s_add_nc_u64 s[0:1], s[18:19], -1
                                        ; implicit-def: $sgpr7
	s_delay_alu instid0(VALU_DEP_2) | instskip(NEXT) | instid1(VALU_DEP_2)
	v_lshl_add_u64 v[24:25], v[24:25], 3, s[8:9]
	v_lshl_add_u64 v[26:27], v[26:27], 3, s[8:9]
.LBB1719_58:                            ; =>This Inner Loop Header: Depth=1
	global_load_b64 v[28:29], v[24:25], off
	global_load_b64 v[34:35], v[26:27], off
	s_cmp_eq_u64 s[0:1], 0
	s_add_nc_u64 s[24:25], s[0:1], -1
	s_cselect_b32 s1, -1, 0
	s_wait_xcnt 0x1
	v_add_nc_u64_e32 v[24:25], 8, v[24:25]
	s_wait_xcnt 0x0
	v_add_nc_u64_e32 v[26:27], 8, v[26:27]
	s_wait_loadcnt 0x0
	v_cmp_ne_u64_e32 vcc_lo, v[28:29], v[34:35]
	v_cmp_eq_u64_e64 s0, v[28:29], v[34:35]
	s_or_b32 s1, vcc_lo, s1
	s_delay_alu instid0(SALU_CYCLE_1) | instskip(NEXT) | instid1(SALU_CYCLE_1)
	s_and_b32 s1, exec_lo, s1
	s_or_b32 s4, s1, s4
	s_and_not1_b32 s7, s7, exec_lo
	s_and_b32 s17, s0, exec_lo
	s_mov_b64 s[0:1], s[24:25]
	s_or_b32 s7, s7, s17
	s_and_not1_b32 exec_lo, exec_lo, s4
	s_cbranch_execnz .LBB1719_58
; %bb.59:
	s_or_b32 exec_lo, exec_lo, s4
	s_xor_b32 s0, s7, -1
.LBB1719_60:
	s_delay_alu instid0(SALU_CYCLE_1)
	s_and_b32 s4, s0, exec_lo
.LBB1719_61:
	s_or_b32 exec_lo, exec_lo, s6
	v_add_nc_u32_e32 v24, 3, v30
	s_mov_b32 s6, exec_lo
	s_delay_alu instid0(VALU_DEP_1)
	v_cmpx_gt_u32_e64 s31, v24
	s_cbranch_execz .LBB1719_67
; %bb.62:
	v_cmp_ne_u32_e32 vcc_lo, 1, v32
	s_mov_b32 s0, 0
	s_cbranch_vccnz .LBB1719_66
; %bb.63:
	v_mul_u64_e32 v[24:25], s[18:19], v[10:11]
	v_mul_u64_e32 v[26:27], s[18:19], v[12:13]
	s_add_nc_u64 s[0:1], s[18:19], -1
	s_mov_b32 s5, 0
                                        ; implicit-def: $sgpr7
	s_delay_alu instid0(VALU_DEP_2) | instskip(NEXT) | instid1(VALU_DEP_2)
	v_lshl_add_u64 v[24:25], v[24:25], 3, s[8:9]
	v_lshl_add_u64 v[26:27], v[26:27], 3, s[8:9]
.LBB1719_64:                            ; =>This Inner Loop Header: Depth=1
	global_load_b64 v[28:29], v[24:25], off
	global_load_b64 v[34:35], v[26:27], off
	s_cmp_eq_u64 s[0:1], 0
	s_add_nc_u64 s[24:25], s[0:1], -1
	s_cselect_b32 s1, -1, 0
	s_wait_xcnt 0x1
	v_add_nc_u64_e32 v[24:25], 8, v[24:25]
	s_wait_xcnt 0x0
	v_add_nc_u64_e32 v[26:27], 8, v[26:27]
	s_wait_loadcnt 0x0
	v_cmp_ne_u64_e32 vcc_lo, v[28:29], v[34:35]
	v_cmp_eq_u64_e64 s0, v[28:29], v[34:35]
	s_or_b32 s1, vcc_lo, s1
	s_delay_alu instid0(SALU_CYCLE_1) | instskip(NEXT) | instid1(SALU_CYCLE_1)
	s_and_b32 s1, exec_lo, s1
	s_or_b32 s5, s1, s5
	s_and_not1_b32 s7, s7, exec_lo
	s_and_b32 s17, s0, exec_lo
	s_mov_b64 s[0:1], s[24:25]
	s_or_b32 s7, s7, s17
	s_and_not1_b32 exec_lo, exec_lo, s5
	s_cbranch_execnz .LBB1719_64
; %bb.65:
	s_or_b32 exec_lo, exec_lo, s5
	s_xor_b32 s0, s7, -1
.LBB1719_66:
	s_delay_alu instid0(SALU_CYCLE_1)
	s_and_b32 s5, s0, exec_lo
.LBB1719_67:
	s_or_b32 exec_lo, exec_lo, s6
	v_add_nc_u32_e32 v24, 2, v30
	s_mov_b32 s6, 0
	s_mov_b32 s7, 0
	s_mov_b32 s17, exec_lo
	s_delay_alu instid0(VALU_DEP_1)
	v_cmpx_gt_u32_e64 s31, v24
	s_cbranch_execz .LBB1719_73
; %bb.68:
	v_cmp_ne_u32_e32 vcc_lo, 1, v32
	s_mov_b32 s0, 0
	s_cbranch_vccnz .LBB1719_72
; %bb.69:
	v_mul_u64_e32 v[24:25], s[18:19], v[16:17]
	v_mul_u64_e32 v[26:27], s[18:19], v[10:11]
	s_add_nc_u64 s[0:1], s[18:19], -1
                                        ; implicit-def: $sgpr24
	s_delay_alu instid0(VALU_DEP_2) | instskip(NEXT) | instid1(VALU_DEP_2)
	v_lshl_add_u64 v[24:25], v[24:25], 3, s[8:9]
	v_lshl_add_u64 v[26:27], v[26:27], 3, s[8:9]
.LBB1719_70:                            ; =>This Inner Loop Header: Depth=1
	global_load_b64 v[28:29], v[24:25], off
	global_load_b64 v[34:35], v[26:27], off
	s_cmp_eq_u64 s[0:1], 0
	s_add_nc_u64 s[26:27], s[0:1], -1
	s_cselect_b32 s1, -1, 0
	s_wait_xcnt 0x1
	v_add_nc_u64_e32 v[24:25], 8, v[24:25]
	s_wait_xcnt 0x0
	v_add_nc_u64_e32 v[26:27], 8, v[26:27]
	s_wait_loadcnt 0x0
	v_cmp_ne_u64_e32 vcc_lo, v[28:29], v[34:35]
	v_cmp_eq_u64_e64 s0, v[28:29], v[34:35]
	s_or_b32 s1, vcc_lo, s1
	s_delay_alu instid0(SALU_CYCLE_1) | instskip(NEXT) | instid1(SALU_CYCLE_1)
	s_and_b32 s1, exec_lo, s1
	s_or_b32 s7, s1, s7
	s_and_not1_b32 s24, s24, exec_lo
	s_and_b32 s25, s0, exec_lo
	s_mov_b64 s[0:1], s[26:27]
	s_or_b32 s24, s24, s25
	s_and_not1_b32 exec_lo, exec_lo, s7
	s_cbranch_execnz .LBB1719_70
; %bb.71:
	s_or_b32 exec_lo, exec_lo, s7
	s_xor_b32 s0, s24, -1
.LBB1719_72:
	s_delay_alu instid0(SALU_CYCLE_1)
	s_and_b32 s7, s0, exec_lo
.LBB1719_73:
	s_or_b32 exec_lo, exec_lo, s17
	v_add_nc_u32_e32 v24, 1, v30
	s_mov_b32 s17, exec_lo
	s_delay_alu instid0(VALU_DEP_1)
	v_cmpx_gt_u32_e64 s31, v24
	s_cbranch_execz .LBB1719_79
; %bb.74:
	v_cmp_ne_u32_e32 vcc_lo, 1, v32
	s_mov_b32 s0, 0
	s_cbranch_vccnz .LBB1719_78
; %bb.75:
	v_mul_u64_e32 v[24:25], s[18:19], v[14:15]
	v_mul_u64_e32 v[26:27], s[18:19], v[16:17]
	s_add_nc_u64 s[0:1], s[18:19], -1
	s_mov_b32 s6, 0
                                        ; implicit-def: $sgpr24
	s_delay_alu instid0(VALU_DEP_2) | instskip(NEXT) | instid1(VALU_DEP_2)
	v_lshl_add_u64 v[24:25], v[24:25], 3, s[8:9]
	v_lshl_add_u64 v[26:27], v[26:27], 3, s[8:9]
.LBB1719_76:                            ; =>This Inner Loop Header: Depth=1
	global_load_b64 v[28:29], v[24:25], off
	global_load_b64 v[34:35], v[26:27], off
	s_cmp_eq_u64 s[0:1], 0
	s_add_nc_u64 s[26:27], s[0:1], -1
	s_cselect_b32 s1, -1, 0
	s_wait_xcnt 0x1
	v_add_nc_u64_e32 v[24:25], 8, v[24:25]
	s_wait_xcnt 0x0
	v_add_nc_u64_e32 v[26:27], 8, v[26:27]
	s_wait_loadcnt 0x0
	v_cmp_ne_u64_e32 vcc_lo, v[28:29], v[34:35]
	v_cmp_eq_u64_e64 s0, v[28:29], v[34:35]
	s_or_b32 s1, vcc_lo, s1
	s_delay_alu instid0(SALU_CYCLE_1) | instskip(NEXT) | instid1(SALU_CYCLE_1)
	s_and_b32 s1, exec_lo, s1
	s_or_b32 s6, s1, s6
	s_and_not1_b32 s24, s24, exec_lo
	s_and_b32 s25, s0, exec_lo
	s_mov_b64 s[0:1], s[26:27]
	s_or_b32 s24, s24, s25
	s_and_not1_b32 exec_lo, exec_lo, s6
	s_cbranch_execnz .LBB1719_76
; %bb.77:
	s_or_b32 exec_lo, exec_lo, s6
	s_xor_b32 s0, s24, -1
.LBB1719_78:
	s_delay_alu instid0(SALU_CYCLE_1)
	s_and_b32 s6, s0, exec_lo
.LBB1719_79:
	s_or_b32 exec_lo, exec_lo, s17
	s_wait_loadcnt_dscnt 0x0
	s_barrier_signal -1
	s_barrier_wait -1
	s_and_saveexec_b32 s0, s3
; %bb.80:
	v_add_nc_u32_e32 v22, -8, v33
	ds_load_b64 v[22:23], v22
; %bb.81:
	s_or_b32 exec_lo, exec_lo, s0
	v_cndmask_b32_e64 v24, 0, 1, s5
	v_cndmask_b32_e64 v25, 0, 1, s7
	;; [unrolled: 1-line block ×3, first 2 shown]
	s_mov_b32 s0, 0
	s_mov_b32 s5, exec_lo
	v_lshlrev_b16 v24, 8, v24
	s_delay_alu instid0(VALU_DEP_2) | instskip(NEXT) | instid1(VALU_DEP_2)
	v_lshlrev_b16 v26, 8, v26
	v_or_b32_e32 v24, v25, v24
	s_delay_alu instid0(VALU_DEP_2) | instskip(NEXT) | instid1(VALU_DEP_2)
	v_and_b32_e32 v26, 0xffff, v26
	v_lshlrev_b32_e32 v27, 16, v24
	v_cmpx_gt_u32_e64 s31, v30
	s_cbranch_execz .LBB1719_87
; %bb.82:
	v_cmp_ne_u32_e32 vcc_lo, 1, v32
	s_cbranch_vccnz .LBB1719_86
; %bb.83:
	s_wait_dscnt 0x0
	v_mul_u64_e32 v[22:23], s[18:19], v[22:23]
	v_mul_u64_e32 v[24:25], s[18:19], v[14:15]
	s_add_nc_u64 s[0:1], s[18:19], -1
	s_mov_b32 s6, 0
                                        ; implicit-def: $sgpr7
	s_delay_alu instid0(VALU_DEP_2) | instskip(NEXT) | instid1(VALU_DEP_2)
	v_lshl_add_u64 v[22:23], v[22:23], 3, s[8:9]
	v_lshl_add_u64 v[24:25], v[24:25], 3, s[8:9]
.LBB1719_84:                            ; =>This Inner Loop Header: Depth=1
	global_load_b64 v[28:29], v[22:23], off
	global_load_b64 v[32:33], v[24:25], off
	s_cmp_eq_u64 s[0:1], 0
	s_add_nc_u64 s[24:25], s[0:1], -1
	s_cselect_b32 s1, -1, 0
	s_wait_xcnt 0x1
	v_add_nc_u64_e32 v[22:23], 8, v[22:23]
	s_wait_xcnt 0x0
	v_add_nc_u64_e32 v[24:25], 8, v[24:25]
	s_wait_loadcnt 0x0
	v_cmp_ne_u64_e32 vcc_lo, v[28:29], v[32:33]
	v_cmp_eq_u64_e64 s0, v[28:29], v[32:33]
	s_or_b32 s1, vcc_lo, s1
	s_delay_alu instid0(SALU_CYCLE_1) | instskip(NEXT) | instid1(SALU_CYCLE_1)
	s_and_b32 s1, exec_lo, s1
	s_or_b32 s6, s1, s6
	s_and_not1_b32 s7, s7, exec_lo
	s_and_b32 s17, s0, exec_lo
	s_mov_b64 s[0:1], s[24:25]
	s_or_b32 s7, s7, s17
	s_and_not1_b32 exec_lo, exec_lo, s6
	s_cbranch_execnz .LBB1719_84
; %bb.85:
	s_or_b32 exec_lo, exec_lo, s6
	s_xor_b32 s0, s7, -1
.LBB1719_86:
	s_delay_alu instid0(SALU_CYCLE_1)
	s_and_b32 s0, s0, exec_lo
.LBB1719_87:
	s_or_b32 exec_lo, exec_lo, s5
	v_cndmask_b32_e64 v34, 0, 1, s4
	v_or_b32_e32 v25, v26, v27
.LBB1719_88:
	s_mov_b32 s6, -1
	s_cbranch_execnz .LBB1719_45
.LBB1719_89:
	s_wait_loadcnt_dscnt 0x0
	v_lshlrev_b32_e32 v22, 5, v0
	v_cmp_gt_i64_e64 s7, s[18:19], 0
	s_and_b32 vcc_lo, exec_lo, s29
	v_sub_nc_u32_e32 v31, v31, v22
	ds_store_b64 v31, v[20:21]
	s_cbranch_vccz .LBB1719_100
; %bb.90:
	s_and_not1_b32 vcc_lo, exec_lo, s7
	s_cbranch_vccnz .LBB1719_101
; %bb.91:
	v_mul_u64_e32 v[22:23], s[18:19], v[12:13]
	v_mul_u64_e32 v[24:25], s[18:19], v[20:21]
	s_add_nc_u64 s[4:5], s[18:19], -1
	s_mov_b32 s24, 0
	s_mov_b64 s[0:1], s[4:5]
                                        ; implicit-def: $sgpr17
	s_delay_alu instid0(VALU_DEP_2) | instskip(NEXT) | instid1(VALU_DEP_2)
	v_lshl_add_u64 v[22:23], v[22:23], 3, s[8:9]
	v_lshl_add_u64 v[24:25], v[24:25], 3, s[8:9]
	s_delay_alu instid0(VALU_DEP_2)
	v_mov_b64_e32 v[26:27], v[22:23]
.LBB1719_92:                            ; =>This Inner Loop Header: Depth=1
	global_load_b64 v[28:29], v[26:27], off
	global_load_b64 v[32:33], v[24:25], off
	s_cmp_eq_u64 s[0:1], 0
	s_add_nc_u64 s[26:27], s[0:1], -1
	s_cselect_b32 s1, -1, 0
	s_wait_xcnt 0x1
	v_add_nc_u64_e32 v[26:27], 8, v[26:27]
	s_wait_xcnt 0x0
	v_add_nc_u64_e32 v[24:25], 8, v[24:25]
	s_wait_loadcnt 0x0
	v_cmp_ne_u64_e32 vcc_lo, v[28:29], v[32:33]
	v_cmp_eq_u64_e64 s0, v[28:29], v[32:33]
	s_or_b32 s1, vcc_lo, s1
	s_delay_alu instid0(SALU_CYCLE_1) | instskip(NEXT) | instid1(SALU_CYCLE_1)
	s_and_b32 s1, exec_lo, s1
	s_or_b32 s24, s1, s24
	s_and_not1_b32 s17, s17, exec_lo
	s_and_b32 s25, s0, exec_lo
	s_mov_b64 s[0:1], s[26:27]
	s_or_b32 s17, s17, s25
	s_and_not1_b32 exec_lo, exec_lo, s24
	s_cbranch_execnz .LBB1719_92
; %bb.93:
	s_or_b32 exec_lo, exec_lo, s24
	v_mul_u64_e32 v[24:25], s[18:19], v[10:11]
	s_mov_b32 s25, 0
	s_mov_b64 s[0:1], s[4:5]
                                        ; implicit-def: $sgpr24
	s_delay_alu instid0(VALU_DEP_1) | instskip(NEXT) | instid1(VALU_DEP_1)
	v_lshl_add_u64 v[24:25], v[24:25], 3, s[8:9]
	v_mov_b64_e32 v[26:27], v[24:25]
.LBB1719_94:                            ; =>This Inner Loop Header: Depth=1
	global_load_b64 v[28:29], v[26:27], off
	global_load_b64 v[32:33], v[22:23], off
	s_cmp_eq_u64 s[0:1], 0
	s_add_nc_u64 s[26:27], s[0:1], -1
	s_cselect_b32 s1, -1, 0
	s_wait_xcnt 0x1
	v_add_nc_u64_e32 v[26:27], 8, v[26:27]
	s_wait_xcnt 0x0
	v_add_nc_u64_e32 v[22:23], 8, v[22:23]
	s_wait_loadcnt 0x0
	v_cmp_ne_u64_e32 vcc_lo, v[28:29], v[32:33]
	v_cmp_eq_u64_e64 s0, v[28:29], v[32:33]
	s_or_b32 s1, vcc_lo, s1
	s_delay_alu instid0(SALU_CYCLE_1) | instskip(NEXT) | instid1(SALU_CYCLE_1)
	s_and_b32 s1, exec_lo, s1
	s_or_b32 s25, s1, s25
	s_and_not1_b32 s24, s24, exec_lo
	s_and_b32 s34, s0, exec_lo
	s_mov_b64 s[0:1], s[26:27]
	s_or_b32 s24, s24, s34
	s_and_not1_b32 exec_lo, exec_lo, s25
	s_cbranch_execnz .LBB1719_94
; %bb.95:
	s_or_b32 exec_lo, exec_lo, s25
	v_mul_u64_e32 v[22:23], s[18:19], v[16:17]
	s_mov_b32 s26, 0
	s_mov_b64 s[0:1], s[4:5]
                                        ; implicit-def: $sgpr25
	s_delay_alu instid0(VALU_DEP_1) | instskip(NEXT) | instid1(VALU_DEP_1)
	v_lshl_add_u64 v[22:23], v[22:23], 3, s[8:9]
	v_mov_b64_e32 v[26:27], v[22:23]
.LBB1719_96:                            ; =>This Inner Loop Header: Depth=1
	global_load_b64 v[28:29], v[26:27], off
	global_load_b64 v[32:33], v[24:25], off
	s_cmp_eq_u64 s[0:1], 0
	s_add_nc_u64 s[34:35], s[0:1], -1
	s_cselect_b32 s1, -1, 0
	s_wait_xcnt 0x1
	v_add_nc_u64_e32 v[26:27], 8, v[26:27]
	s_wait_xcnt 0x0
	v_add_nc_u64_e32 v[24:25], 8, v[24:25]
	s_wait_loadcnt 0x0
	v_cmp_ne_u64_e32 vcc_lo, v[28:29], v[32:33]
	v_cmp_eq_u64_e64 s0, v[28:29], v[32:33]
	s_or_b32 s1, vcc_lo, s1
	s_delay_alu instid0(SALU_CYCLE_1) | instskip(NEXT) | instid1(SALU_CYCLE_1)
	s_and_b32 s1, exec_lo, s1
	s_or_b32 s26, s1, s26
	s_and_not1_b32 s25, s25, exec_lo
	s_and_b32 s27, s0, exec_lo
	s_mov_b64 s[0:1], s[34:35]
	s_or_b32 s25, s25, s27
	s_and_not1_b32 exec_lo, exec_lo, s26
	s_cbranch_execnz .LBB1719_96
; %bb.97:
	s_or_b32 exec_lo, exec_lo, s26
	v_mul_u64_e32 v[24:25], s[18:19], v[14:15]
	s_mov_b32 s26, 0
                                        ; implicit-def: $sgpr1
	s_delay_alu instid0(VALU_DEP_1)
	v_lshl_add_u64 v[24:25], v[24:25], 3, s[8:9]
.LBB1719_98:                            ; =>This Inner Loop Header: Depth=1
	global_load_b64 v[26:27], v[24:25], off
	global_load_b64 v[28:29], v[22:23], off
	s_cmp_eq_u64 s[4:5], 0
	s_add_nc_u64 s[34:35], s[4:5], -1
	s_cselect_b32 s4, -1, 0
	s_wait_xcnt 0x1
	v_add_nc_u64_e32 v[24:25], 8, v[24:25]
	s_wait_xcnt 0x0
	v_add_nc_u64_e32 v[22:23], 8, v[22:23]
	s_wait_loadcnt 0x0
	v_cmp_ne_u64_e32 vcc_lo, v[26:27], v[28:29]
	v_cmp_eq_u64_e64 s0, v[26:27], v[28:29]
	s_or_b32 s4, vcc_lo, s4
	s_delay_alu instid0(SALU_CYCLE_1) | instskip(NEXT) | instid1(SALU_CYCLE_1)
	s_and_b32 s4, exec_lo, s4
	s_or_b32 s26, s4, s26
	s_and_not1_b32 s1, s1, exec_lo
	s_and_b32 s0, s0, exec_lo
	s_mov_b64 s[4:5], s[34:35]
	s_or_b32 s1, s1, s0
	s_and_not1_b32 exec_lo, exec_lo, s26
	s_cbranch_execnz .LBB1719_98
; %bb.99:
	s_or_b32 exec_lo, exec_lo, s26
	s_xor_b32 s0, s24, -1
	s_delay_alu instid0(SALU_CYCLE_1) | instskip(SKIP_1) | instid1(SALU_CYCLE_1)
	v_cndmask_b32_e64 v22, 0, 1, s0
	s_xor_b32 s0, s25, -1
	v_cndmask_b32_e64 v23, 0, 1, s0
	s_xor_b32 s0, s17, -1
	s_delay_alu instid0(VALU_DEP_2) | instskip(SKIP_2) | instid1(VALU_DEP_2)
	v_lshlrev_b16 v22, 8, v22
	v_cndmask_b32_e64 v34, 0, 1, s0
	s_xor_b32 s0, s1, -1
	v_lshrrev_b32_e32 v22, 8, v22
	s_delay_alu instid0(VALU_DEP_1) | instskip(NEXT) | instid1(VALU_DEP_1)
	v_lshlrev_b16 v22, 8, v22
	v_or_b32_e32 v22, v23, v22
	s_delay_alu instid0(VALU_DEP_1)
	v_lshlrev_b32_e32 v22, 16, v22
	s_branch .LBB1719_102
.LBB1719_100:
                                        ; implicit-def: $sgpr0
                                        ; implicit-def: $vgpr34
                                        ; implicit-def: $vgpr25
                                        ; implicit-def: $vgpr24
                                        ; implicit-def: $vgpr23
                                        ; implicit-def: $vgpr35
                                        ; implicit-def: $vgpr22
	s_cbranch_execnz .LBB1719_109
	s_branch .LBB1719_142
.LBB1719_101:
	v_dual_mov_b32 v22, 0 :: v_dual_mov_b32 v34, 0
	s_mov_b32 s0, 0
.LBB1719_102:
	s_delay_alu instid0(VALU_DEP_1)
	v_dual_lshrrev_b32 v35, 16, v22 :: v_dual_lshrrev_b32 v22, 24, v22
	v_cndmask_b32_e64 v23, 0, 1, s0
	v_mov_b32_e32 v24, 1
	s_wait_dscnt 0x0
	s_barrier_signal -1
	s_barrier_wait -1
                                        ; implicit-def: $sgpr0
                                        ; implicit-def: $vgpr25
	s_and_saveexec_b32 s1, s3
	s_delay_alu instid0(SALU_CYCLE_1)
	s_xor_b32 s4, exec_lo, s1
	s_cbranch_execz .LBB1719_108
; %bb.103:
	v_lshlrev_b16 v25, 8, v22
	v_lshlrev_b16 v26, 8, v23
	s_and_not1_b32 vcc_lo, exec_lo, s7
	s_mov_b32 s0, 0
	s_delay_alu instid0(VALU_DEP_2) | instskip(NEXT) | instid1(VALU_DEP_1)
	v_bitop3_b16 v25, v35, v25, 0xff bitop3:0xec
	v_dual_lshlrev_b32 v25, 16, v25 :: v_dual_bitop2_b32 v26, 1, v26 bitop3:0x54
	s_delay_alu instid0(VALU_DEP_1) | instskip(NEXT) | instid1(VALU_DEP_1)
	v_and_b32_e32 v26, 0xffff, v26
	v_or_b32_e32 v25, v26, v25
	s_cbranch_vccnz .LBB1719_107
; %bb.104:
	v_add_nc_u32_e32 v26, -8, v31
	v_mul_u64_e32 v[28:29], s[18:19], v[14:15]
	s_add_nc_u64 s[0:1], s[18:19], -1
	s_mov_b32 s5, 0
                                        ; implicit-def: $sgpr17
	ds_load_b64 v[26:27], v26
	s_wait_dscnt 0x0
	v_mul_u64_e32 v[26:27], s[18:19], v[26:27]
	v_lshl_add_u64 v[28:29], v[28:29], 3, s[8:9]
	s_delay_alu instid0(VALU_DEP_2)
	v_lshl_add_u64 v[26:27], v[26:27], 3, s[8:9]
.LBB1719_105:                           ; =>This Inner Loop Header: Depth=1
	global_load_b64 v[32:33], v[26:27], off
	global_load_b64 v[36:37], v[28:29], off
	s_cmp_eq_u64 s[0:1], 0
	s_add_nc_u64 s[24:25], s[0:1], -1
	s_cselect_b32 s1, -1, 0
	s_wait_xcnt 0x1
	v_add_nc_u64_e32 v[26:27], 8, v[26:27]
	s_wait_xcnt 0x0
	v_add_nc_u64_e32 v[28:29], 8, v[28:29]
	s_wait_loadcnt 0x0
	v_cmp_ne_u64_e32 vcc_lo, v[32:33], v[36:37]
	v_cmp_eq_u64_e64 s0, v[32:33], v[36:37]
	s_or_b32 s1, vcc_lo, s1
	s_delay_alu instid0(SALU_CYCLE_1) | instskip(NEXT) | instid1(SALU_CYCLE_1)
	s_and_b32 s1, exec_lo, s1
	s_or_b32 s5, s1, s5
	s_and_not1_b32 s17, s17, exec_lo
	s_and_b32 s26, s0, exec_lo
	s_mov_b64 s[0:1], s[24:25]
	s_or_b32 s17, s17, s26
	s_and_not1_b32 exec_lo, exec_lo, s5
	s_cbranch_execnz .LBB1719_105
; %bb.106:
	s_or_b32 exec_lo, exec_lo, s5
	s_xor_b32 s0, s17, -1
.LBB1719_107:
	s_delay_alu instid0(VALU_DEP_1)
	v_perm_b32 v25, v25, v25, 0x3020104
	s_or_b32 s6, s6, exec_lo
.LBB1719_108:
	s_or_b32 exec_lo, exec_lo, s4
	s_branch .LBB1719_142
.LBB1719_109:
	v_add_nc_u32_e32 v22, 4, v30
	s_mov_b32 s4, 0
	s_mov_b32 s5, 0
	s_mov_b32 s17, exec_lo
	s_delay_alu instid0(VALU_DEP_1)
	v_cmpx_gt_u32_e64 s31, v22
	s_cbranch_execz .LBB1719_115
; %bb.110:
	s_and_not1_b32 vcc_lo, exec_lo, s7
	s_mov_b32 s0, 0
	s_cbranch_vccnz .LBB1719_114
; %bb.111:
	v_mul_u64_e32 v[22:23], s[18:19], v[12:13]
	v_mul_u64_e32 v[24:25], s[18:19], v[20:21]
	s_add_nc_u64 s[0:1], s[18:19], -1
                                        ; implicit-def: $sgpr24
	s_delay_alu instid0(VALU_DEP_2) | instskip(NEXT) | instid1(VALU_DEP_2)
	v_lshl_add_u64 v[22:23], v[22:23], 3, s[8:9]
	v_lshl_add_u64 v[24:25], v[24:25], 3, s[8:9]
.LBB1719_112:                           ; =>This Inner Loop Header: Depth=1
	global_load_b64 v[26:27], v[22:23], off
	global_load_b64 v[28:29], v[24:25], off
	s_cmp_eq_u64 s[0:1], 0
	s_add_nc_u64 s[26:27], s[0:1], -1
	s_cselect_b32 s1, -1, 0
	s_wait_xcnt 0x1
	v_add_nc_u64_e32 v[22:23], 8, v[22:23]
	s_wait_xcnt 0x0
	v_add_nc_u64_e32 v[24:25], 8, v[24:25]
	s_wait_loadcnt 0x0
	v_cmp_ne_u64_e32 vcc_lo, v[26:27], v[28:29]
	v_cmp_eq_u64_e64 s0, v[26:27], v[28:29]
	s_or_b32 s1, vcc_lo, s1
	s_delay_alu instid0(SALU_CYCLE_1) | instskip(NEXT) | instid1(SALU_CYCLE_1)
	s_and_b32 s1, exec_lo, s1
	s_or_b32 s5, s1, s5
	s_and_not1_b32 s24, s24, exec_lo
	s_and_b32 s25, s0, exec_lo
	s_mov_b64 s[0:1], s[26:27]
	s_or_b32 s24, s24, s25
	s_and_not1_b32 exec_lo, exec_lo, s5
	s_cbranch_execnz .LBB1719_112
; %bb.113:
	s_or_b32 exec_lo, exec_lo, s5
	s_xor_b32 s0, s24, -1
.LBB1719_114:
	s_delay_alu instid0(SALU_CYCLE_1)
	s_and_b32 s5, s0, exec_lo
.LBB1719_115:
	s_or_b32 exec_lo, exec_lo, s17
	v_add_nc_u32_e32 v22, 3, v30
	s_mov_b32 s17, exec_lo
	s_delay_alu instid0(VALU_DEP_1)
	v_cmpx_gt_u32_e64 s31, v22
	s_cbranch_execz .LBB1719_121
; %bb.116:
	s_and_not1_b32 vcc_lo, exec_lo, s7
	s_mov_b32 s0, 0
	s_cbranch_vccnz .LBB1719_120
; %bb.117:
	v_mul_u64_e32 v[22:23], s[18:19], v[10:11]
	v_mul_u64_e32 v[24:25], s[18:19], v[12:13]
	s_add_nc_u64 s[0:1], s[18:19], -1
	s_mov_b32 s4, 0
                                        ; implicit-def: $sgpr24
	s_delay_alu instid0(VALU_DEP_2) | instskip(NEXT) | instid1(VALU_DEP_2)
	v_lshl_add_u64 v[22:23], v[22:23], 3, s[8:9]
	v_lshl_add_u64 v[24:25], v[24:25], 3, s[8:9]
.LBB1719_118:                           ; =>This Inner Loop Header: Depth=1
	global_load_b64 v[26:27], v[22:23], off
	global_load_b64 v[28:29], v[24:25], off
	s_cmp_eq_u64 s[0:1], 0
	s_add_nc_u64 s[26:27], s[0:1], -1
	s_cselect_b32 s1, -1, 0
	s_wait_xcnt 0x1
	v_add_nc_u64_e32 v[22:23], 8, v[22:23]
	s_wait_xcnt 0x0
	v_add_nc_u64_e32 v[24:25], 8, v[24:25]
	s_wait_loadcnt 0x0
	v_cmp_ne_u64_e32 vcc_lo, v[26:27], v[28:29]
	v_cmp_eq_u64_e64 s0, v[26:27], v[28:29]
	s_or_b32 s1, vcc_lo, s1
	s_delay_alu instid0(SALU_CYCLE_1) | instskip(NEXT) | instid1(SALU_CYCLE_1)
	s_and_b32 s1, exec_lo, s1
	s_or_b32 s4, s1, s4
	s_and_not1_b32 s24, s24, exec_lo
	s_and_b32 s25, s0, exec_lo
	s_mov_b64 s[0:1], s[26:27]
	s_or_b32 s24, s24, s25
	s_and_not1_b32 exec_lo, exec_lo, s4
	s_cbranch_execnz .LBB1719_118
; %bb.119:
	s_or_b32 exec_lo, exec_lo, s4
	s_xor_b32 s0, s24, -1
.LBB1719_120:
	s_delay_alu instid0(SALU_CYCLE_1)
	s_and_b32 s4, s0, exec_lo
.LBB1719_121:
	s_or_b32 exec_lo, exec_lo, s17
	v_add_nc_u32_e32 v22, 2, v30
	s_mov_b32 s17, 0
	s_mov_b32 s24, 0
	s_mov_b32 s25, exec_lo
	s_delay_alu instid0(VALU_DEP_1)
	v_cmpx_gt_u32_e64 s31, v22
	s_cbranch_execz .LBB1719_127
; %bb.122:
	s_and_not1_b32 vcc_lo, exec_lo, s7
	s_mov_b32 s0, 0
	s_cbranch_vccnz .LBB1719_126
; %bb.123:
	v_mul_u64_e32 v[22:23], s[18:19], v[16:17]
	v_mul_u64_e32 v[24:25], s[18:19], v[10:11]
	s_add_nc_u64 s[0:1], s[18:19], -1
                                        ; implicit-def: $sgpr26
	s_delay_alu instid0(VALU_DEP_2) | instskip(NEXT) | instid1(VALU_DEP_2)
	v_lshl_add_u64 v[22:23], v[22:23], 3, s[8:9]
	v_lshl_add_u64 v[24:25], v[24:25], 3, s[8:9]
.LBB1719_124:                           ; =>This Inner Loop Header: Depth=1
	global_load_b64 v[26:27], v[22:23], off
	global_load_b64 v[28:29], v[24:25], off
	s_cmp_eq_u64 s[0:1], 0
	s_add_nc_u64 s[34:35], s[0:1], -1
	s_cselect_b32 s1, -1, 0
	s_wait_xcnt 0x1
	v_add_nc_u64_e32 v[22:23], 8, v[22:23]
	s_wait_xcnt 0x0
	v_add_nc_u64_e32 v[24:25], 8, v[24:25]
	s_wait_loadcnt 0x0
	v_cmp_ne_u64_e32 vcc_lo, v[26:27], v[28:29]
	v_cmp_eq_u64_e64 s0, v[26:27], v[28:29]
	s_or_b32 s1, vcc_lo, s1
	s_delay_alu instid0(SALU_CYCLE_1) | instskip(NEXT) | instid1(SALU_CYCLE_1)
	s_and_b32 s1, exec_lo, s1
	s_or_b32 s24, s1, s24
	s_and_not1_b32 s26, s26, exec_lo
	s_and_b32 s27, s0, exec_lo
	s_mov_b64 s[0:1], s[34:35]
	s_or_b32 s26, s26, s27
	s_and_not1_b32 exec_lo, exec_lo, s24
	s_cbranch_execnz .LBB1719_124
; %bb.125:
	s_or_b32 exec_lo, exec_lo, s24
	s_xor_b32 s0, s26, -1
.LBB1719_126:
	s_delay_alu instid0(SALU_CYCLE_1)
	s_and_b32 s24, s0, exec_lo
.LBB1719_127:
	s_or_b32 exec_lo, exec_lo, s25
	v_add_nc_u32_e32 v22, 1, v30
	s_mov_b32 s25, exec_lo
	s_delay_alu instid0(VALU_DEP_1)
	v_cmpx_gt_u32_e64 s31, v22
	s_cbranch_execz .LBB1719_133
; %bb.128:
	s_and_not1_b32 vcc_lo, exec_lo, s7
	s_mov_b32 s0, 0
	s_cbranch_vccnz .LBB1719_132
; %bb.129:
	v_mul_u64_e32 v[22:23], s[18:19], v[14:15]
	v_mul_u64_e32 v[24:25], s[18:19], v[16:17]
	s_add_nc_u64 s[0:1], s[18:19], -1
	s_mov_b32 s17, 0
                                        ; implicit-def: $sgpr26
	s_delay_alu instid0(VALU_DEP_2) | instskip(NEXT) | instid1(VALU_DEP_2)
	v_lshl_add_u64 v[22:23], v[22:23], 3, s[8:9]
	v_lshl_add_u64 v[24:25], v[24:25], 3, s[8:9]
.LBB1719_130:                           ; =>This Inner Loop Header: Depth=1
	global_load_b64 v[26:27], v[22:23], off
	global_load_b64 v[28:29], v[24:25], off
	s_cmp_eq_u64 s[0:1], 0
	s_add_nc_u64 s[34:35], s[0:1], -1
	s_cselect_b32 s1, -1, 0
	s_wait_xcnt 0x1
	v_add_nc_u64_e32 v[22:23], 8, v[22:23]
	s_wait_xcnt 0x0
	v_add_nc_u64_e32 v[24:25], 8, v[24:25]
	s_wait_loadcnt 0x0
	v_cmp_ne_u64_e32 vcc_lo, v[26:27], v[28:29]
	v_cmp_eq_u64_e64 s0, v[26:27], v[28:29]
	s_or_b32 s1, vcc_lo, s1
	s_delay_alu instid0(SALU_CYCLE_1) | instskip(NEXT) | instid1(SALU_CYCLE_1)
	s_and_b32 s1, exec_lo, s1
	s_or_b32 s17, s1, s17
	s_and_not1_b32 s26, s26, exec_lo
	s_and_b32 s27, s0, exec_lo
	s_mov_b64 s[0:1], s[34:35]
	s_or_b32 s26, s26, s27
	s_and_not1_b32 exec_lo, exec_lo, s17
	s_cbranch_execnz .LBB1719_130
; %bb.131:
	s_or_b32 exec_lo, exec_lo, s17
	s_xor_b32 s0, s26, -1
.LBB1719_132:
	s_delay_alu instid0(SALU_CYCLE_1)
	s_and_b32 s17, s0, exec_lo
.LBB1719_133:
	s_or_b32 exec_lo, exec_lo, s25
	v_cndmask_b32_e64 v34, 0, 1, s5
	v_cndmask_b32_e64 v35, 0, 1, s24
	;; [unrolled: 1-line block ×4, first 2 shown]
	v_mov_b32_e32 v24, 1
	s_wait_dscnt 0x0
	s_barrier_signal -1
	s_barrier_wait -1
                                        ; implicit-def: $sgpr0
                                        ; implicit-def: $vgpr25
	s_and_saveexec_b32 s4, s3
	s_cbranch_execz .LBB1719_141
; %bb.134:
	v_lshlrev_b16 v25, 8, v23
	v_lshlrev_b16 v26, 8, v22
	s_mov_b32 s0, 0
	s_mov_b32 s3, exec_lo
	s_delay_alu instid0(VALU_DEP_1) | instskip(NEXT) | instid1(VALU_DEP_1)
	v_or_b32_e32 v26, v35, v26
	v_dual_lshlrev_b32 v26, 16, v26 :: v_dual_bitop2_b32 v25, 1, v25 bitop3:0x54
	s_delay_alu instid0(VALU_DEP_1) | instskip(NEXT) | instid1(VALU_DEP_1)
	v_and_b32_e32 v25, 0xffff, v25
	v_or_b32_e32 v25, v25, v26
	v_cmpx_gt_u32_e64 s31, v30
	s_cbranch_execz .LBB1719_140
; %bb.135:
	s_and_not1_b32 vcc_lo, exec_lo, s7
	s_cbranch_vccnz .LBB1719_139
; %bb.136:
	v_add_nc_u32_e32 v26, -8, v31
	v_mul_u64_e32 v[28:29], s[18:19], v[14:15]
	s_add_nc_u64 s[0:1], s[18:19], -1
	s_mov_b32 s5, 0
                                        ; implicit-def: $sgpr7
	ds_load_b64 v[26:27], v26
	s_wait_dscnt 0x0
	v_mul_u64_e32 v[26:27], s[18:19], v[26:27]
	v_lshl_add_u64 v[28:29], v[28:29], 3, s[8:9]
	s_delay_alu instid0(VALU_DEP_2)
	v_lshl_add_u64 v[26:27], v[26:27], 3, s[8:9]
.LBB1719_137:                           ; =>This Inner Loop Header: Depth=1
	global_load_b64 v[32:33], v[26:27], off
	global_load_b64 v[36:37], v[28:29], off
	s_cmp_eq_u64 s[0:1], 0
	s_add_nc_u64 s[8:9], s[0:1], -1
	s_cselect_b32 s1, -1, 0
	s_wait_xcnt 0x1
	v_add_nc_u64_e32 v[26:27], 8, v[26:27]
	s_wait_xcnt 0x0
	v_add_nc_u64_e32 v[28:29], 8, v[28:29]
	s_wait_loadcnt 0x0
	v_cmp_ne_u64_e32 vcc_lo, v[32:33], v[36:37]
	v_cmp_eq_u64_e64 s0, v[32:33], v[36:37]
	s_or_b32 s1, vcc_lo, s1
	s_delay_alu instid0(SALU_CYCLE_1) | instskip(NEXT) | instid1(SALU_CYCLE_1)
	s_and_b32 s1, exec_lo, s1
	s_or_b32 s5, s1, s5
	s_and_not1_b32 s7, s7, exec_lo
	s_and_b32 s17, s0, exec_lo
	s_mov_b64 s[0:1], s[8:9]
	s_or_b32 s7, s7, s17
	s_and_not1_b32 exec_lo, exec_lo, s5
	s_cbranch_execnz .LBB1719_137
; %bb.138:
	s_or_b32 exec_lo, exec_lo, s5
	s_xor_b32 s0, s7, -1
.LBB1719_139:
	s_delay_alu instid0(SALU_CYCLE_1)
	s_and_b32 s0, s0, exec_lo
.LBB1719_140:
	s_or_b32 exec_lo, exec_lo, s3
	s_delay_alu instid0(VALU_DEP_2)
	v_perm_b32 v25, v25, v25, 0x3020104
	s_or_b32 s6, s6, exec_lo
.LBB1719_141:
	s_or_b32 exec_lo, exec_lo, s4
.LBB1719_142:
	s_and_saveexec_b32 s1, s6
	s_cbranch_execz .LBB1719_144
; %bb.143:
	s_wait_loadcnt_dscnt 0x0
	v_dual_lshrrev_b32 v22, 24, v25 :: v_dual_lshrrev_b32 v35, 16, v25
	v_lshrrev_b32_e32 v23, 8, v25
	v_cndmask_b32_e64 v24, 0, 1, s0
.LBB1719_144:
	s_or_b32 exec_lo, exec_lo, s1
	s_delay_alu instid0(SALU_CYCLE_1)
	s_and_not1_b32 vcc_lo, exec_lo, s33
	s_cbranch_vccnz .LBB1719_148
; %bb.145:
	s_wait_loadcnt_dscnt 0x0
	v_perm_b32 v23, v24, v23, 0xc0c0004
	v_perm_b32 v22, v35, v22, 0xc0c0004
	v_cmp_gt_u32_e32 vcc_lo, s31, v30
	v_dual_add_nc_u32 v24, 1, v30 :: v_dual_add_nc_u32 v26, 4, v30
	v_and_b32_e32 v34, 0xff, v34
	s_delay_alu instid0(VALU_DEP_4) | instskip(SKIP_1) | instid1(VALU_DEP_2)
	v_lshl_or_b32 v22, v22, 16, v23
	s_mov_b32 s0, exec_lo
	v_and_b32_e32 v25, 0xffff, v34
	s_delay_alu instid0(VALU_DEP_2) | instskip(SKIP_2) | instid1(VALU_DEP_3)
	v_cndmask_b32_e32 v23, 0, v22, vcc_lo
	v_cmp_gt_u32_e32 vcc_lo, s31, v24
	v_add_nc_u32_e32 v24, 2, v30
	v_and_b32_e32 v23, 0xff, v23
	s_delay_alu instid0(VALU_DEP_1) | instskip(NEXT) | instid1(VALU_DEP_3)
	v_cndmask_b32_e32 v23, v23, v22, vcc_lo
	v_cmp_gt_u32_e32 vcc_lo, s31, v24
	v_add_nc_u32_e32 v24, 3, v30
	s_delay_alu instid0(VALU_DEP_3) | instskip(NEXT) | instid1(VALU_DEP_1)
	v_and_b32_e32 v23, 0xffff, v23
	v_cndmask_b32_e32 v23, v23, v22, vcc_lo
	s_delay_alu instid0(VALU_DEP_3) | instskip(NEXT) | instid1(VALU_DEP_2)
	v_cmp_gt_u32_e32 vcc_lo, s31, v24
	v_and_b32_e32 v23, 0xffffff, v23
	s_delay_alu instid0(VALU_DEP_1) | instskip(NEXT) | instid1(VALU_DEP_1)
	v_cndmask_b32_e32 v24, v23, v22, vcc_lo
	v_lshrrev_b64 v[22:23], 24, v[24:25]
	v_dual_lshrrev_b32 v35, 16, v24 :: v_dual_lshrrev_b32 v23, 8, v24
	v_cmpx_le_u32_e64 s31, v26
; %bb.146:
	v_mov_b32_e32 v34, 0
; %bb.147:
	s_or_b32 exec_lo, exec_lo, s0
.LBB1719_148:
	s_delay_alu instid0(VALU_DEP_1)
	v_and_b32_e32 v25, 0xff, v24
	s_wait_loadcnt_dscnt 0x0
	v_and_b32_e32 v36, 0xff, v23
	v_and_b32_e32 v37, 0xff, v35
	v_mbcnt_lo_u32_b32 v39, -1, 0
	v_and_b32_e32 v38, 0xff, v22
	v_and_b32_e32 v26, 0xff, v34
	v_lshrrev_b32_e32 v40, 5, v0
	v_add3_u32 v27, v36, v25, v37
	v_and_b32_e32 v28, 15, v39
	s_and_b32 vcc_lo, exec_lo, s16
	s_mov_b32 s7, -1
	s_delay_alu instid0(VALU_DEP_2)
	v_add3_u32 v41, v27, v38, v26
	v_and_b32_e32 v26, 16, v39
	v_or_b32_e32 v27, 31, v0
	v_cmp_eq_u32_e64 s3, 0, v28
	v_cmp_lt_u32_e64 s5, 1, v28
	v_cmp_lt_u32_e64 s6, 3, v28
	;; [unrolled: 1-line block ×3, first 2 shown]
	v_cmp_eq_u32_e64 s1, 0, v26
	v_cmp_eq_u32_e64 s0, v0, v27
	s_barrier_signal -1
	s_barrier_wait -1
                                        ; implicit-def: $vgpr30
                                        ; implicit-def: $vgpr31
                                        ; implicit-def: $vgpr32
                                        ; implicit-def: $vgpr33
                                        ; implicit-def: $vgpr42
                                        ; implicit-def: $vgpr28
                                        ; implicit-def: $vgpr26
	s_cbranch_vccz .LBB1719_175
; %bb.149:
	v_mov_b32_dpp v26, v41 row_shr:1 row_mask:0xf bank_mask:0xf
	s_delay_alu instid0(VALU_DEP_1) | instskip(NEXT) | instid1(VALU_DEP_1)
	v_cndmask_b32_e64 v26, v26, 0, s3
	v_add_nc_u32_e32 v26, v26, v41
	s_delay_alu instid0(VALU_DEP_1) | instskip(NEXT) | instid1(VALU_DEP_1)
	v_mov_b32_dpp v27, v26 row_shr:2 row_mask:0xf bank_mask:0xf
	v_cndmask_b32_e64 v27, 0, v27, s5
	s_delay_alu instid0(VALU_DEP_1) | instskip(NEXT) | instid1(VALU_DEP_1)
	v_add_nc_u32_e32 v26, v26, v27
	v_mov_b32_dpp v27, v26 row_shr:4 row_mask:0xf bank_mask:0xf
	s_delay_alu instid0(VALU_DEP_1) | instskip(NEXT) | instid1(VALU_DEP_1)
	v_cndmask_b32_e64 v27, 0, v27, s6
	v_add_nc_u32_e32 v26, v26, v27
	s_delay_alu instid0(VALU_DEP_1) | instskip(NEXT) | instid1(VALU_DEP_1)
	v_mov_b32_dpp v27, v26 row_shr:8 row_mask:0xf bank_mask:0xf
	v_cndmask_b32_e64 v27, 0, v27, s4
	s_delay_alu instid0(VALU_DEP_1) | instskip(SKIP_3) | instid1(VALU_DEP_1)
	v_add_nc_u32_e32 v26, v26, v27
	ds_swizzle_b32 v27, v26 offset:swizzle(BROADCAST,32,15)
	s_wait_dscnt 0x0
	v_cndmask_b32_e64 v27, v27, 0, s1
	v_add_nc_u32_e32 v26, v26, v27
	s_and_saveexec_b32 s7, s0
; %bb.150:
	v_lshlrev_b32_e32 v27, 2, v40
	ds_store_b32 v27, v26
; %bb.151:
	s_or_b32 exec_lo, exec_lo, s7
	s_delay_alu instid0(SALU_CYCLE_1)
	s_mov_b32 s7, exec_lo
	s_wait_dscnt 0x0
	s_barrier_signal -1
	s_barrier_wait -1
	v_cmpx_gt_u32_e32 4, v0
	s_cbranch_execz .LBB1719_153
; %bb.152:
	v_dual_lshlrev_b32 v27, 2, v0 :: v_dual_bitop2_b32 v29, 3, v39 bitop3:0x40
	ds_load_b32 v28, v27
	v_cmp_ne_u32_e32 vcc_lo, 0, v29
	s_wait_dscnt 0x0
	v_mov_b32_dpp v30, v28 row_shr:1 row_mask:0xf bank_mask:0xf
	s_delay_alu instid0(VALU_DEP_1) | instskip(SKIP_1) | instid1(VALU_DEP_2)
	v_cndmask_b32_e32 v30, 0, v30, vcc_lo
	v_cmp_lt_u32_e32 vcc_lo, 1, v29
	v_add_nc_u32_e32 v28, v30, v28
	s_delay_alu instid0(VALU_DEP_1) | instskip(NEXT) | instid1(VALU_DEP_1)
	v_mov_b32_dpp v30, v28 row_shr:2 row_mask:0xf bank_mask:0xf
	v_cndmask_b32_e32 v29, 0, v30, vcc_lo
	s_delay_alu instid0(VALU_DEP_1)
	v_add_nc_u32_e32 v28, v28, v29
	ds_store_b32 v27, v28
.LBB1719_153:
	s_or_b32 exec_lo, exec_lo, s7
	s_delay_alu instid0(SALU_CYCLE_1)
	s_mov_b32 s8, exec_lo
	v_cmp_gt_u32_e32 vcc_lo, 32, v0
	s_wait_dscnt 0x0
	s_barrier_signal -1
	s_barrier_wait -1
                                        ; implicit-def: $vgpr42
	v_cmpx_lt_u32_e32 31, v0
	s_cbranch_execz .LBB1719_155
; %bb.154:
	v_lshl_add_u32 v27, v40, 2, -4
	ds_load_b32 v42, v27
	s_wait_dscnt 0x0
	v_add_nc_u32_e32 v26, v42, v26
.LBB1719_155:
	s_or_b32 exec_lo, exec_lo, s8
	v_sub_co_u32 v27, s7, v39, 1
	s_delay_alu instid0(VALU_DEP_1) | instskip(NEXT) | instid1(VALU_DEP_1)
	v_cmp_gt_i32_e64 s8, 0, v27
	v_cndmask_b32_e64 v27, v27, v39, s8
	s_delay_alu instid0(VALU_DEP_1)
	v_lshlrev_b32_e32 v27, 2, v27
	ds_bpermute_b32 v43, v27, v26
	s_and_saveexec_b32 s8, vcc_lo
	s_cbranch_execz .LBB1719_174
; %bb.156:
	v_mov_b32_e32 v33, 0
	ds_load_b32 v26, v33 offset:12
	s_and_saveexec_b32 s9, s7
	s_cbranch_execz .LBB1719_158
; %bb.157:
	s_add_co_i32 s16, s30, 32
	s_delay_alu instid0(SALU_CYCLE_1)
	v_dual_mov_b32 v27, 1 :: v_dual_mov_b32 v28, s16
	s_wait_dscnt 0x0
	global_store_b64 v28, v[26:27], s[10:11] scale_offset scope:SCOPE_DEV
.LBB1719_158:
	s_wait_xcnt 0x0
	s_or_b32 exec_lo, exec_lo, s9
	v_xad_u32 v28, v39, -1, s30
	s_mov_b32 s16, 0
	s_mov_b32 s9, exec_lo
	s_delay_alu instid0(VALU_DEP_1) | instskip(SKIP_4) | instid1(VALU_DEP_1)
	v_add_nc_u32_e32 v32, 32, v28
	global_load_b64 v[30:31], v32, s[10:11] scale_offset scope:SCOPE_DEV
	s_wait_loadcnt 0x0
	v_and_b32_e32 v27, 0xff, v31
	s_wait_xcnt 0x0
	v_cmpx_eq_u16_e32 0, v27
	s_cbranch_execz .LBB1719_162
; %bb.159:
	v_lshl_add_u64 v[32:33], v[32:33], 3, s[10:11]
.LBB1719_160:                           ; =>This Inner Loop Header: Depth=1
	global_load_b64 v[30:31], v[32:33], off scope:SCOPE_DEV
	s_wait_loadcnt 0x0
	v_and_b32_e32 v27, 0xff, v31
	s_delay_alu instid0(VALU_DEP_1)
	v_cmp_ne_u16_e32 vcc_lo, 0, v27
	s_or_b32 s16, vcc_lo, s16
	s_wait_xcnt 0x0
	s_and_not1_b32 exec_lo, exec_lo, s16
	s_cbranch_execnz .LBB1719_160
; %bb.161:
	s_or_b32 exec_lo, exec_lo, s16
.LBB1719_162:
	s_delay_alu instid0(SALU_CYCLE_1)
	s_or_b32 exec_lo, exec_lo, s9
	v_cmp_ne_u32_e32 vcc_lo, 31, v39
	v_lshlrev_b32_e64 v45, v39, -1
	v_lshl_or_b32 v52, v39, 2, 64
	v_dual_add_nc_u32 v47, 2, v39 :: v_dual_add_nc_u32 v49, 4, v39
	v_add_co_ci_u32_e64 v27, null, 0, v39, vcc_lo
	v_dual_add_nc_u32 v51, 8, v39 :: v_dual_add_nc_u32 v53, 16, v39
	s_delay_alu instid0(VALU_DEP_2)
	v_lshlrev_b32_e32 v44, 2, v27
	v_and_b32_e32 v27, 0xff, v31
	ds_bpermute_b32 v29, v44, v30
	v_cmp_eq_u16_e32 vcc_lo, 2, v27
	v_and_or_b32 v27, vcc_lo, v45, 0x80000000
	v_cmp_gt_u32_e32 vcc_lo, 30, v39
	s_delay_alu instid0(VALU_DEP_2) | instskip(SKIP_1) | instid1(VALU_DEP_2)
	v_ctz_i32_b32_e32 v27, v27
	v_cndmask_b32_e64 v32, 0, 2, vcc_lo
	v_cmp_lt_u32_e32 vcc_lo, v39, v27
	s_delay_alu instid0(VALU_DEP_2) | instskip(SKIP_3) | instid1(VALU_DEP_2)
	v_add_lshl_u32 v46, v32, v39, 2
	s_wait_dscnt 0x0
	v_cndmask_b32_e32 v29, 0, v29, vcc_lo
	v_cmp_gt_u32_e32 vcc_lo, 28, v39
	v_add_nc_u32_e32 v29, v29, v30
	v_cndmask_b32_e64 v32, 0, 4, vcc_lo
	v_cmp_le_u32_e32 vcc_lo, v47, v27
	ds_bpermute_b32 v30, v46, v29
	v_add_lshl_u32 v48, v32, v39, 2
	s_wait_dscnt 0x0
	v_cndmask_b32_e32 v30, 0, v30, vcc_lo
	v_cmp_gt_u32_e32 vcc_lo, 24, v39
	v_cndmask_b32_e64 v32, 0, 8, vcc_lo
	v_cmp_le_u32_e32 vcc_lo, v49, v27
	s_delay_alu instid0(VALU_DEP_4) | instskip(NEXT) | instid1(VALU_DEP_3)
	v_add_nc_u32_e32 v29, v29, v30
	v_add_lshl_u32 v50, v32, v39, 2
	ds_bpermute_b32 v30, v48, v29
	s_wait_dscnt 0x0
	v_cndmask_b32_e32 v30, 0, v30, vcc_lo
	v_cmp_le_u32_e32 vcc_lo, v51, v27
	s_delay_alu instid0(VALU_DEP_2) | instskip(SKIP_4) | instid1(VALU_DEP_2)
	v_add_nc_u32_e32 v29, v29, v30
	ds_bpermute_b32 v30, v50, v29
	s_wait_dscnt 0x0
	v_cndmask_b32_e32 v30, 0, v30, vcc_lo
	v_cmp_le_u32_e32 vcc_lo, v53, v27
	v_add_nc_u32_e32 v29, v29, v30
	ds_bpermute_b32 v30, v52, v29
	s_wait_dscnt 0x0
	v_cndmask_b32_e32 v27, 0, v30, vcc_lo
	s_delay_alu instid0(VALU_DEP_1)
	v_dual_mov_b32 v29, 0 :: v_dual_add_nc_u32 v30, v29, v27
	s_branch .LBB1719_165
.LBB1719_163:                           ;   in Loop: Header=BB1719_165 Depth=1
	s_or_b32 exec_lo, exec_lo, s9
	v_and_b32_e32 v32, 0xff, v31
	ds_bpermute_b32 v33, v44, v30
	v_subrev_nc_u32_e32 v28, 32, v28
	s_mov_b32 s9, 0
	v_cmp_eq_u16_e32 vcc_lo, 2, v32
	v_and_or_b32 v32, vcc_lo, v45, 0x80000000
	s_delay_alu instid0(VALU_DEP_1) | instskip(NEXT) | instid1(VALU_DEP_1)
	v_ctz_i32_b32_e32 v32, v32
	v_cmp_lt_u32_e32 vcc_lo, v39, v32
	s_wait_dscnt 0x0
	v_cndmask_b32_e32 v33, 0, v33, vcc_lo
	v_cmp_le_u32_e32 vcc_lo, v47, v32
	s_delay_alu instid0(VALU_DEP_2) | instskip(SKIP_4) | instid1(VALU_DEP_2)
	v_add_nc_u32_e32 v30, v33, v30
	ds_bpermute_b32 v33, v46, v30
	s_wait_dscnt 0x0
	v_cndmask_b32_e32 v33, 0, v33, vcc_lo
	v_cmp_le_u32_e32 vcc_lo, v49, v32
	v_add_nc_u32_e32 v30, v30, v33
	ds_bpermute_b32 v33, v48, v30
	s_wait_dscnt 0x0
	v_cndmask_b32_e32 v33, 0, v33, vcc_lo
	v_cmp_le_u32_e32 vcc_lo, v51, v32
	s_delay_alu instid0(VALU_DEP_2) | instskip(SKIP_4) | instid1(VALU_DEP_2)
	v_add_nc_u32_e32 v30, v30, v33
	ds_bpermute_b32 v33, v50, v30
	s_wait_dscnt 0x0
	v_cndmask_b32_e32 v33, 0, v33, vcc_lo
	v_cmp_le_u32_e32 vcc_lo, v53, v32
	v_add_nc_u32_e32 v30, v30, v33
	ds_bpermute_b32 v33, v52, v30
	s_wait_dscnt 0x0
	v_cndmask_b32_e32 v32, 0, v33, vcc_lo
	s_delay_alu instid0(VALU_DEP_1)
	v_add3_u32 v30, v32, v27, v30
.LBB1719_164:                           ;   in Loop: Header=BB1719_165 Depth=1
	s_and_b32 vcc_lo, exec_lo, s9
	s_cbranch_vccnz .LBB1719_170
.LBB1719_165:                           ; =>This Loop Header: Depth=1
                                        ;     Child Loop BB1719_168 Depth 2
	v_and_b32_e32 v27, 0xff, v31
	s_mov_b32 s9, -1
                                        ; implicit-def: $vgpr31
	s_delay_alu instid0(VALU_DEP_1)
	v_cmp_ne_u16_e32 vcc_lo, 2, v27
	v_mov_b32_e32 v27, v30
                                        ; implicit-def: $vgpr30
	s_cmp_lg_u32 vcc_lo, exec_lo
	s_cbranch_scc1 .LBB1719_164
; %bb.166:                              ;   in Loop: Header=BB1719_165 Depth=1
	global_load_b64 v[30:31], v28, s[10:11] scale_offset scope:SCOPE_DEV
	s_mov_b32 s9, exec_lo
	s_wait_loadcnt 0x0
	v_and_b32_e32 v32, 0xff, v31
	s_wait_xcnt 0x0
	s_delay_alu instid0(VALU_DEP_1)
	v_cmpx_eq_u16_e32 0, v32
	s_cbranch_execz .LBB1719_163
; %bb.167:                              ;   in Loop: Header=BB1719_165 Depth=1
	v_lshl_add_u64 v[32:33], v[28:29], 3, s[10:11]
	s_mov_b32 s16, 0
.LBB1719_168:                           ;   Parent Loop BB1719_165 Depth=1
                                        ; =>  This Inner Loop Header: Depth=2
	global_load_b64 v[30:31], v[32:33], off scope:SCOPE_DEV
	s_wait_loadcnt 0x0
	v_and_b32_e32 v54, 0xff, v31
	s_delay_alu instid0(VALU_DEP_1)
	v_cmp_ne_u16_e32 vcc_lo, 0, v54
	s_or_b32 s16, vcc_lo, s16
	s_wait_xcnt 0x0
	s_and_not1_b32 exec_lo, exec_lo, s16
	s_cbranch_execnz .LBB1719_168
; %bb.169:                              ;   in Loop: Header=BB1719_165 Depth=1
	s_or_b32 exec_lo, exec_lo, s16
	s_branch .LBB1719_163
.LBB1719_170:
	s_and_saveexec_b32 s9, s7
	s_cbranch_execz .LBB1719_172
; %bb.171:
	s_add_co_i32 s16, s30, 32
	v_dual_mov_b32 v29, 2 :: v_dual_add_nc_u32 v28, v27, v26
	v_dual_mov_b32 v30, s16 :: v_dual_mov_b32 v31, 0
	global_store_b64 v30, v[28:29], s[10:11] scale_offset scope:SCOPE_DEV
	ds_store_b64 v31, v[26:27] offset:5120
.LBB1719_172:
	s_wait_xcnt 0x0
	s_or_b32 exec_lo, exec_lo, s9
	s_delay_alu instid0(SALU_CYCLE_1)
	s_and_b32 exec_lo, exec_lo, s2
; %bb.173:
	v_mov_b32_e32 v26, 0
	ds_store_b32 v26, v27 offset:12
.LBB1719_174:
	s_or_b32 exec_lo, exec_lo, s8
	s_wait_dscnt 0x0
	v_dual_mov_b32 v26, 0 :: v_dual_cndmask_b32 v28, v43, v42, s7
	s_wait_storecnt 0x0
	s_barrier_signal -1
	s_barrier_wait -1
	ds_load_b32 v27, v26 offset:12
	v_cndmask_b32_e64 v28, v28, 0, s2
	s_wait_dscnt 0x0
	s_barrier_signal -1
	s_barrier_wait -1
	s_mov_b32 s7, 0
	v_add_nc_u32_e32 v42, v27, v28
	ds_load_b64 v[26:27], v26 offset:5120
	v_add_nc_u32_e32 v33, v42, v25
	s_wait_dscnt 0x0
	s_delay_alu instid0(VALU_DEP_1) | instskip(NEXT) | instid1(VALU_DEP_1)
	v_dual_add_nc_u32 v32, v33, v36 :: v_dual_mov_b32 v28, v27
	v_add_nc_u32_e32 v31, v32, v37
	s_delay_alu instid0(VALU_DEP_1)
	v_add_nc_u32_e32 v30, v31, v38
.LBB1719_175:
	s_and_b32 vcc_lo, exec_lo, s7
	s_cbranch_vccz .LBB1719_185
; %bb.176:
	v_mov_b32_dpp v26, v41 row_shr:1 row_mask:0xf bank_mask:0xf
	s_delay_alu instid0(VALU_DEP_1) | instskip(NEXT) | instid1(VALU_DEP_1)
	v_cndmask_b32_e64 v26, v26, 0, s3
	v_add_nc_u32_e32 v26, v26, v41
	s_delay_alu instid0(VALU_DEP_1) | instskip(NEXT) | instid1(VALU_DEP_1)
	v_mov_b32_dpp v27, v26 row_shr:2 row_mask:0xf bank_mask:0xf
	v_cndmask_b32_e64 v27, 0, v27, s5
	s_delay_alu instid0(VALU_DEP_1) | instskip(NEXT) | instid1(VALU_DEP_1)
	v_add_nc_u32_e32 v26, v26, v27
	v_mov_b32_dpp v27, v26 row_shr:4 row_mask:0xf bank_mask:0xf
	s_delay_alu instid0(VALU_DEP_1) | instskip(NEXT) | instid1(VALU_DEP_1)
	v_cndmask_b32_e64 v27, 0, v27, s6
	v_add_nc_u32_e32 v26, v26, v27
	s_delay_alu instid0(VALU_DEP_1) | instskip(NEXT) | instid1(VALU_DEP_1)
	v_mov_b32_dpp v27, v26 row_shr:8 row_mask:0xf bank_mask:0xf
	v_cndmask_b32_e64 v27, 0, v27, s4
	s_delay_alu instid0(VALU_DEP_1) | instskip(SKIP_3) | instid1(VALU_DEP_1)
	v_add_nc_u32_e32 v26, v26, v27
	ds_swizzle_b32 v27, v26 offset:swizzle(BROADCAST,32,15)
	s_wait_dscnt 0x0
	v_cndmask_b32_e64 v27, v27, 0, s1
	v_add_nc_u32_e32 v26, v26, v27
	s_and_saveexec_b32 s1, s0
; %bb.177:
	v_lshlrev_b32_e32 v27, 2, v40
	ds_store_b32 v27, v26
; %bb.178:
	s_or_b32 exec_lo, exec_lo, s1
	s_delay_alu instid0(SALU_CYCLE_1)
	s_mov_b32 s0, exec_lo
	s_wait_dscnt 0x0
	s_barrier_signal -1
	s_barrier_wait -1
	v_cmpx_gt_u32_e32 4, v0
	s_cbranch_execz .LBB1719_180
; %bb.179:
	v_dual_lshlrev_b32 v27, 2, v0 :: v_dual_bitop2_b32 v29, 3, v39 bitop3:0x40
	ds_load_b32 v28, v27
	v_cmp_ne_u32_e32 vcc_lo, 0, v29
	s_wait_dscnt 0x0
	v_mov_b32_dpp v30, v28 row_shr:1 row_mask:0xf bank_mask:0xf
	s_delay_alu instid0(VALU_DEP_1) | instskip(SKIP_1) | instid1(VALU_DEP_2)
	v_cndmask_b32_e32 v30, 0, v30, vcc_lo
	v_cmp_lt_u32_e32 vcc_lo, 1, v29
	v_add_nc_u32_e32 v28, v30, v28
	s_delay_alu instid0(VALU_DEP_1) | instskip(NEXT) | instid1(VALU_DEP_1)
	v_mov_b32_dpp v30, v28 row_shr:2 row_mask:0xf bank_mask:0xf
	v_cndmask_b32_e32 v29, 0, v30, vcc_lo
	s_delay_alu instid0(VALU_DEP_1)
	v_add_nc_u32_e32 v28, v28, v29
	ds_store_b32 v27, v28
.LBB1719_180:
	s_or_b32 exec_lo, exec_lo, s0
	v_dual_mov_b32 v27, 0 :: v_dual_mov_b32 v28, 0
	s_mov_b32 s0, exec_lo
	s_wait_dscnt 0x0
	s_barrier_signal -1
	s_barrier_wait -1
	v_cmpx_lt_u32_e32 31, v0
; %bb.181:
	v_lshl_add_u32 v28, v40, 2, -4
	ds_load_b32 v28, v28
; %bb.182:
	s_or_b32 exec_lo, exec_lo, s0
	v_sub_co_u32 v29, vcc_lo, v39, 1
	s_wait_dscnt 0x0
	v_add_nc_u32_e32 v26, v28, v26
	s_delay_alu instid0(VALU_DEP_2) | instskip(NEXT) | instid1(VALU_DEP_1)
	v_cmp_gt_i32_e64 s0, 0, v29
	v_cndmask_b32_e64 v29, v29, v39, s0
	s_delay_alu instid0(VALU_DEP_1)
	v_lshlrev_b32_e32 v29, 2, v29
	ds_bpermute_b32 v29, v29, v26
	ds_load_b32 v26, v27 offset:12
	s_and_saveexec_b32 s0, s2
	s_cbranch_execz .LBB1719_184
; %bb.183:
	v_dual_mov_b32 v30, 0 :: v_dual_mov_b32 v27, 2
	s_wait_dscnt 0x0
	global_store_b64 v30, v[26:27], s[10:11] offset:256 scope:SCOPE_DEV
.LBB1719_184:
	s_wait_xcnt 0x0
	s_or_b32 exec_lo, exec_lo, s0
	s_wait_dscnt 0x1
	v_cndmask_b32_e32 v27, v29, v28, vcc_lo
	s_wait_storecnt_dscnt 0x0
	s_barrier_signal -1
	s_barrier_wait -1
	s_delay_alu instid0(VALU_DEP_1) | instskip(NEXT) | instid1(VALU_DEP_1)
	v_cndmask_b32_e64 v42, v27, 0, s2
	v_dual_mov_b32 v28, 0 :: v_dual_add_nc_u32 v33, v42, v25
	s_delay_alu instid0(VALU_DEP_1) | instskip(NEXT) | instid1(VALU_DEP_1)
	v_add_nc_u32_e32 v32, v33, v36
	v_add_nc_u32_e32 v31, v32, v37
	s_delay_alu instid0(VALU_DEP_1)
	v_add_nc_u32_e32 v30, v31, v38
.LBB1719_185:
	s_delay_alu instid0(VALU_DEP_4)
	v_dual_add_nc_u32 v25, v28, v26 :: v_dual_bitop2_b32 v24, 1, v24 bitop3:0x40
	v_cmp_gt_u32_e64 s0, 0x81, v26
	s_mov_b32 s4, -1
	v_cmp_lt_u32_e64 s1, v42, v25
	v_cmp_eq_u32_e64 s3, 1, v24
	s_and_b32 vcc_lo, exec_lo, s0
	s_cbranch_vccz .LBB1719_197
; %bb.186:
	s_or_b32 s1, s29, s1
	s_delay_alu instid0(SALU_CYCLE_1) | instskip(NEXT) | instid1(SALU_CYCLE_1)
	s_and_b32 s3, s1, s3
	s_and_saveexec_b32 s1, s3
	s_cbranch_execz .LBB1719_188
; %bb.187:
	s_lshl_b64 s[4:5], s[14:15], 3
	s_delay_alu instid0(SALU_CYCLE_1)
	s_add_nc_u64 s[4:5], s[20:21], s[4:5]
	global_store_b64 v42, v[14:15], s[4:5] scale_offset
.LBB1719_188:
	s_wait_xcnt 0x0
	s_or_b32 exec_lo, exec_lo, s1
	v_and_b32_e32 v27, 1, v23
	v_cmp_lt_u32_e32 vcc_lo, v33, v25
	s_delay_alu instid0(VALU_DEP_2) | instskip(SKIP_1) | instid1(SALU_CYCLE_1)
	v_cmp_eq_u32_e64 s1, 1, v27
	s_or_b32 s3, s29, vcc_lo
	s_and_b32 s3, s3, s1
	s_delay_alu instid0(SALU_CYCLE_1)
	s_and_saveexec_b32 s1, s3
	s_cbranch_execz .LBB1719_190
; %bb.189:
	s_lshl_b64 s[4:5], s[14:15], 3
	s_delay_alu instid0(SALU_CYCLE_1)
	s_add_nc_u64 s[4:5], s[20:21], s[4:5]
	global_store_b64 v33, v[16:17], s[4:5] scale_offset
.LBB1719_190:
	s_wait_xcnt 0x0
	s_or_b32 exec_lo, exec_lo, s1
	v_and_b32_e32 v27, 1, v35
	v_cmp_lt_u32_e32 vcc_lo, v32, v25
	s_delay_alu instid0(VALU_DEP_2) | instskip(SKIP_1) | instid1(SALU_CYCLE_1)
	v_cmp_eq_u32_e64 s1, 1, v27
	s_or_b32 s3, s29, vcc_lo
	s_and_b32 s3, s3, s1
	s_delay_alu instid0(SALU_CYCLE_1)
	;; [unrolled: 17-line block ×4, first 2 shown]
	s_and_saveexec_b32 s1, s3
	s_cbranch_execz .LBB1719_196
; %bb.195:
	s_lshl_b64 s[4:5], s[14:15], 3
	s_delay_alu instid0(SALU_CYCLE_1)
	s_add_nc_u64 s[4:5], s[20:21], s[4:5]
	global_store_b64 v30, v[20:21], s[4:5] scale_offset
.LBB1719_196:
	s_wait_xcnt 0x0
	s_or_b32 exec_lo, exec_lo, s1
	s_mov_b32 s4, 0
.LBB1719_197:
	s_delay_alu instid0(SALU_CYCLE_1)
	s_and_b32 vcc_lo, exec_lo, s4
	s_cbranch_vccz .LBB1719_211
; %bb.198:
	s_mov_b32 s1, exec_lo
	v_cmpx_eq_u32_e32 1, v24
; %bb.199:
	v_sub_nc_u32_e32 v27, v42, v28
	s_delay_alu instid0(VALU_DEP_1)
	v_lshlrev_b32_e32 v27, 3, v27
	ds_store_b64 v27, v[14:15]
; %bb.200:
	s_or_b32 exec_lo, exec_lo, s1
	v_and_b32_e32 v14, 1, v23
	s_mov_b32 s1, exec_lo
	s_delay_alu instid0(VALU_DEP_1)
	v_cmpx_eq_u32_e32 1, v14
; %bb.201:
	v_sub_nc_u32_e32 v14, v33, v28
	s_delay_alu instid0(VALU_DEP_1)
	v_lshlrev_b32_e32 v14, 3, v14
	ds_store_b64 v14, v[16:17]
; %bb.202:
	s_or_b32 exec_lo, exec_lo, s1
	v_and_b32_e32 v14, 1, v35
	s_mov_b32 s1, exec_lo
	s_delay_alu instid0(VALU_DEP_1)
	;; [unrolled: 11-line block ×4, first 2 shown]
	v_cmpx_eq_u32_e32 1, v10
; %bb.207:
	v_sub_nc_u32_e32 v10, v30, v28
	s_delay_alu instid0(VALU_DEP_1)
	v_lshlrev_b32_e32 v10, 3, v10
	ds_store_b64 v10, v[20:21]
; %bb.208:
	s_or_b32 exec_lo, exec_lo, s1
	v_dual_mov_b32 v29, 0 :: v_dual_lshlrev_b32 v12, 3, v0
	s_lshl_b64 s[4:5], s[14:15], 3
	v_mov_b32_e32 v13, v0
	s_mov_b32 s1, 0
	s_delay_alu instid0(VALU_DEP_2) | instskip(SKIP_3) | instid1(VALU_DEP_1)
	v_lshlrev_b64_e32 v[10:11], 3, v[28:29]
	s_wait_storecnt_dscnt 0x0
	s_barrier_signal -1
	s_barrier_wait -1
	v_add_nc_u64_e32 v[10:11], s[20:21], v[10:11]
	s_delay_alu instid0(VALU_DEP_1)
	v_add_nc_u64_e32 v[10:11], s[4:5], v[10:11]
.LBB1719_209:                           ; =>This Inner Loop Header: Depth=1
	ds_load_b64 v[14:15], v12
	v_readfirstlane_b32 s4, v10
	v_readfirstlane_b32 s5, v11
	v_add_nc_u32_e32 v12, 0x400, v12
	s_wait_dscnt 0x0
	global_store_b64 v13, v[14:15], s[4:5] scale_offset
	s_wait_xcnt 0x0
	v_add_nc_u32_e32 v13, 0x80, v13
	s_delay_alu instid0(VALU_DEP_1) | instskip(SKIP_1) | instid1(SALU_CYCLE_1)
	v_cmp_ge_u32_e32 vcc_lo, v13, v26
	s_or_b32 s1, vcc_lo, s1
	s_and_not1_b32 exec_lo, exec_lo, s1
	s_cbranch_execnz .LBB1719_209
; %bb.210:
	s_or_b32 exec_lo, exec_lo, s1
.LBB1719_211:
	s_delay_alu instid0(SALU_CYCLE_1)
	s_and_b32 vcc_lo, exec_lo, s0
	s_mov_b32 s0, -1
	s_wait_storecnt 0x0
	s_barrier_signal -1
	s_barrier_wait -1
	s_cbranch_vccnz .LBB1719_215
; %bb.212:
	s_and_b32 vcc_lo, exec_lo, s0
	s_cbranch_vccnz .LBB1719_226
.LBB1719_213:
	s_and_b32 s0, s2, s28
	s_delay_alu instid0(SALU_CYCLE_1)
	s_and_saveexec_b32 s1, s0
	s_cbranch_execnz .LBB1719_239
.LBB1719_214:
	s_endpgm
.LBB1719_215:
	v_cmp_lt_u32_e32 vcc_lo, v42, v25
	v_cmp_eq_u32_e64 s0, 1, v24
	s_or_b32 s1, s29, vcc_lo
	s_delay_alu instid0(SALU_CYCLE_1) | instskip(NEXT) | instid1(SALU_CYCLE_1)
	s_and_b32 s1, s1, s0
	s_and_saveexec_b32 s0, s1
	s_cbranch_execz .LBB1719_217
; %bb.216:
	s_lshl_b64 s[4:5], s[14:15], 3
	s_delay_alu instid0(SALU_CYCLE_1)
	s_add_nc_u64 s[4:5], s[22:23], s[4:5]
	global_store_b64 v42, v[6:7], s[4:5] scale_offset
.LBB1719_217:
	s_wait_xcnt 0x0
	s_or_b32 exec_lo, exec_lo, s0
	v_and_b32_e32 v10, 1, v23
	v_cmp_lt_u32_e32 vcc_lo, v33, v25
	s_delay_alu instid0(VALU_DEP_2) | instskip(SKIP_1) | instid1(SALU_CYCLE_1)
	v_cmp_eq_u32_e64 s0, 1, v10
	s_or_b32 s1, s29, vcc_lo
	s_and_b32 s1, s1, s0
	s_delay_alu instid0(SALU_CYCLE_1)
	s_and_saveexec_b32 s0, s1
	s_cbranch_execz .LBB1719_219
; %bb.218:
	s_lshl_b64 s[4:5], s[14:15], 3
	s_delay_alu instid0(SALU_CYCLE_1)
	s_add_nc_u64 s[4:5], s[22:23], s[4:5]
	global_store_b64 v33, v[8:9], s[4:5] scale_offset
.LBB1719_219:
	s_wait_xcnt 0x0
	s_or_b32 exec_lo, exec_lo, s0
	v_and_b32_e32 v10, 1, v35
	v_cmp_lt_u32_e32 vcc_lo, v32, v25
	s_delay_alu instid0(VALU_DEP_2) | instskip(SKIP_1) | instid1(SALU_CYCLE_1)
	v_cmp_eq_u32_e64 s0, 1, v10
	s_or_b32 s1, s29, vcc_lo
	s_and_b32 s1, s1, s0
	s_delay_alu instid0(SALU_CYCLE_1)
	;; [unrolled: 17-line block ×4, first 2 shown]
	s_and_saveexec_b32 s0, s1
	s_cbranch_execz .LBB1719_225
; %bb.224:
	s_lshl_b64 s[4:5], s[14:15], 3
	s_delay_alu instid0(SALU_CYCLE_1)
	s_add_nc_u64 s[4:5], s[22:23], s[4:5]
	global_store_b64 v30, v[18:19], s[4:5] scale_offset
.LBB1719_225:
	s_wait_xcnt 0x0
	s_or_b32 exec_lo, exec_lo, s0
	s_branch .LBB1719_213
.LBB1719_226:
	s_mov_b32 s0, exec_lo
	v_cmpx_eq_u32_e32 1, v24
; %bb.227:
	v_sub_nc_u32_e32 v10, v42, v28
	s_delay_alu instid0(VALU_DEP_1)
	v_lshlrev_b32_e32 v10, 3, v10
	ds_store_b64 v10, v[6:7]
; %bb.228:
	s_or_b32 exec_lo, exec_lo, s0
	v_and_b32_e32 v6, 1, v23
	s_mov_b32 s0, exec_lo
	s_delay_alu instid0(VALU_DEP_1)
	v_cmpx_eq_u32_e32 1, v6
; %bb.229:
	v_sub_nc_u32_e32 v6, v33, v28
	s_delay_alu instid0(VALU_DEP_1)
	v_lshlrev_b32_e32 v6, 3, v6
	ds_store_b64 v6, v[8:9]
; %bb.230:
	s_or_b32 exec_lo, exec_lo, s0
	v_and_b32_e32 v6, 1, v35
	s_mov_b32 s0, exec_lo
	s_delay_alu instid0(VALU_DEP_1)
	;; [unrolled: 11-line block ×4, first 2 shown]
	v_cmpx_eq_u32_e32 1, v2
; %bb.235:
	v_sub_nc_u32_e32 v2, v30, v28
	s_delay_alu instid0(VALU_DEP_1)
	v_lshlrev_b32_e32 v2, 3, v2
	ds_store_b64 v2, v[18:19]
; %bb.236:
	s_or_b32 exec_lo, exec_lo, s0
	v_mov_b32_e32 v29, 0
	s_lshl_b64 s[0:1], s[14:15], 3
	s_wait_storecnt_dscnt 0x0
	s_barrier_signal -1
	s_barrier_wait -1
	v_lshlrev_b64_e32 v[2:3], 3, v[28:29]
	s_delay_alu instid0(VALU_DEP_1) | instskip(NEXT) | instid1(VALU_DEP_1)
	v_add_nc_u64_e32 v[2:3], s[22:23], v[2:3]
	v_add_nc_u64_e32 v[2:3], s[0:1], v[2:3]
	s_mov_b32 s0, 0
.LBB1719_237:                           ; =>This Inner Loop Header: Depth=1
	ds_load_b64 v[4:5], v1
	v_readfirstlane_b32 s4, v2
	v_readfirstlane_b32 s5, v3
	v_add_nc_u32_e32 v1, 0x400, v1
	s_wait_dscnt 0x0
	global_store_b64 v0, v[4:5], s[4:5] scale_offset
	s_wait_xcnt 0x0
	v_add_nc_u32_e32 v0, 0x80, v0
	s_delay_alu instid0(VALU_DEP_1) | instskip(SKIP_1) | instid1(SALU_CYCLE_1)
	v_cmp_ge_u32_e32 vcc_lo, v0, v26
	s_or_b32 s0, vcc_lo, s0
	s_and_not1_b32 exec_lo, exec_lo, s0
	s_cbranch_execnz .LBB1719_237
; %bb.238:
	s_or_b32 exec_lo, exec_lo, s0
	s_and_b32 s0, s2, s28
	s_delay_alu instid0(SALU_CYCLE_1)
	s_and_saveexec_b32 s1, s0
	s_cbranch_execz .LBB1719_214
.LBB1719_239:
	v_mov_b32_e32 v27, 0
	s_delay_alu instid0(VALU_DEP_1) | instskip(SKIP_1) | instid1(VALU_DEP_1)
	v_add_nc_u64_e32 v[0:1], s[14:15], v[26:27]
	v_mov_b32_e32 v29, v27
	v_add_nc_u64_e32 v[0:1], v[0:1], v[28:29]
	global_store_b64 v27, v[0:1], s[12:13]
	s_endpgm
	.section	.rodata,"a",@progbits
	.p2align	6, 0x0
	.amdhsa_kernel _ZN7rocprim17ROCPRIM_400000_NS6detail17trampoline_kernelINS0_14default_configENS1_25partition_config_selectorILNS1_17partition_subalgoE9EllbEEZZNS1_14partition_implILS5_9ELb0ES3_jPlS8_PNS0_10empty_typeENS0_5tupleIJS8_S9_EEENSB_IJS8_SA_EEENS0_18inequality_wrapperIZN2at6native12_GLOBAL__N_124unique_dim_cuda_templateImEESt5tupleIJNSF_6TensorESK_SK_EERKSK_lbbbEUlllE0_EEPmJS9_EEE10hipError_tPvRmT3_T4_T5_T6_T7_T9_mT8_P12ihipStream_tbDpT10_ENKUlT_T0_E_clISt17integral_constantIbLb0EES19_IbLb1EEEEDaS15_S16_EUlS15_E_NS1_11comp_targetILNS1_3genE0ELNS1_11target_archE4294967295ELNS1_3gpuE0ELNS1_3repE0EEENS1_30default_config_static_selectorELNS0_4arch9wavefront6targetE0EEEvT1_
		.amdhsa_group_segment_fixed_size 5128
		.amdhsa_private_segment_fixed_size 0
		.amdhsa_kernarg_size 136
		.amdhsa_user_sgpr_count 2
		.amdhsa_user_sgpr_dispatch_ptr 0
		.amdhsa_user_sgpr_queue_ptr 0
		.amdhsa_user_sgpr_kernarg_segment_ptr 1
		.amdhsa_user_sgpr_dispatch_id 0
		.amdhsa_user_sgpr_kernarg_preload_length 0
		.amdhsa_user_sgpr_kernarg_preload_offset 0
		.amdhsa_user_sgpr_private_segment_size 0
		.amdhsa_wavefront_size32 1
		.amdhsa_uses_dynamic_stack 0
		.amdhsa_enable_private_segment 0
		.amdhsa_system_sgpr_workgroup_id_x 1
		.amdhsa_system_sgpr_workgroup_id_y 0
		.amdhsa_system_sgpr_workgroup_id_z 0
		.amdhsa_system_sgpr_workgroup_info 0
		.amdhsa_system_vgpr_workitem_id 0
		.amdhsa_next_free_vgpr 55
		.amdhsa_next_free_sgpr 36
		.amdhsa_named_barrier_count 0
		.amdhsa_reserve_vcc 1
		.amdhsa_float_round_mode_32 0
		.amdhsa_float_round_mode_16_64 0
		.amdhsa_float_denorm_mode_32 3
		.amdhsa_float_denorm_mode_16_64 3
		.amdhsa_fp16_overflow 0
		.amdhsa_memory_ordered 1
		.amdhsa_forward_progress 1
		.amdhsa_inst_pref_size 75
		.amdhsa_round_robin_scheduling 0
		.amdhsa_exception_fp_ieee_invalid_op 0
		.amdhsa_exception_fp_denorm_src 0
		.amdhsa_exception_fp_ieee_div_zero 0
		.amdhsa_exception_fp_ieee_overflow 0
		.amdhsa_exception_fp_ieee_underflow 0
		.amdhsa_exception_fp_ieee_inexact 0
		.amdhsa_exception_int_div_zero 0
	.end_amdhsa_kernel
	.section	.text._ZN7rocprim17ROCPRIM_400000_NS6detail17trampoline_kernelINS0_14default_configENS1_25partition_config_selectorILNS1_17partition_subalgoE9EllbEEZZNS1_14partition_implILS5_9ELb0ES3_jPlS8_PNS0_10empty_typeENS0_5tupleIJS8_S9_EEENSB_IJS8_SA_EEENS0_18inequality_wrapperIZN2at6native12_GLOBAL__N_124unique_dim_cuda_templateImEESt5tupleIJNSF_6TensorESK_SK_EERKSK_lbbbEUlllE0_EEPmJS9_EEE10hipError_tPvRmT3_T4_T5_T6_T7_T9_mT8_P12ihipStream_tbDpT10_ENKUlT_T0_E_clISt17integral_constantIbLb0EES19_IbLb1EEEEDaS15_S16_EUlS15_E_NS1_11comp_targetILNS1_3genE0ELNS1_11target_archE4294967295ELNS1_3gpuE0ELNS1_3repE0EEENS1_30default_config_static_selectorELNS0_4arch9wavefront6targetE0EEEvT1_,"axG",@progbits,_ZN7rocprim17ROCPRIM_400000_NS6detail17trampoline_kernelINS0_14default_configENS1_25partition_config_selectorILNS1_17partition_subalgoE9EllbEEZZNS1_14partition_implILS5_9ELb0ES3_jPlS8_PNS0_10empty_typeENS0_5tupleIJS8_S9_EEENSB_IJS8_SA_EEENS0_18inequality_wrapperIZN2at6native12_GLOBAL__N_124unique_dim_cuda_templateImEESt5tupleIJNSF_6TensorESK_SK_EERKSK_lbbbEUlllE0_EEPmJS9_EEE10hipError_tPvRmT3_T4_T5_T6_T7_T9_mT8_P12ihipStream_tbDpT10_ENKUlT_T0_E_clISt17integral_constantIbLb0EES19_IbLb1EEEEDaS15_S16_EUlS15_E_NS1_11comp_targetILNS1_3genE0ELNS1_11target_archE4294967295ELNS1_3gpuE0ELNS1_3repE0EEENS1_30default_config_static_selectorELNS0_4arch9wavefront6targetE0EEEvT1_,comdat
.Lfunc_end1719:
	.size	_ZN7rocprim17ROCPRIM_400000_NS6detail17trampoline_kernelINS0_14default_configENS1_25partition_config_selectorILNS1_17partition_subalgoE9EllbEEZZNS1_14partition_implILS5_9ELb0ES3_jPlS8_PNS0_10empty_typeENS0_5tupleIJS8_S9_EEENSB_IJS8_SA_EEENS0_18inequality_wrapperIZN2at6native12_GLOBAL__N_124unique_dim_cuda_templateImEESt5tupleIJNSF_6TensorESK_SK_EERKSK_lbbbEUlllE0_EEPmJS9_EEE10hipError_tPvRmT3_T4_T5_T6_T7_T9_mT8_P12ihipStream_tbDpT10_ENKUlT_T0_E_clISt17integral_constantIbLb0EES19_IbLb1EEEEDaS15_S16_EUlS15_E_NS1_11comp_targetILNS1_3genE0ELNS1_11target_archE4294967295ELNS1_3gpuE0ELNS1_3repE0EEENS1_30default_config_static_selectorELNS0_4arch9wavefront6targetE0EEEvT1_, .Lfunc_end1719-_ZN7rocprim17ROCPRIM_400000_NS6detail17trampoline_kernelINS0_14default_configENS1_25partition_config_selectorILNS1_17partition_subalgoE9EllbEEZZNS1_14partition_implILS5_9ELb0ES3_jPlS8_PNS0_10empty_typeENS0_5tupleIJS8_S9_EEENSB_IJS8_SA_EEENS0_18inequality_wrapperIZN2at6native12_GLOBAL__N_124unique_dim_cuda_templateImEESt5tupleIJNSF_6TensorESK_SK_EERKSK_lbbbEUlllE0_EEPmJS9_EEE10hipError_tPvRmT3_T4_T5_T6_T7_T9_mT8_P12ihipStream_tbDpT10_ENKUlT_T0_E_clISt17integral_constantIbLb0EES19_IbLb1EEEEDaS15_S16_EUlS15_E_NS1_11comp_targetILNS1_3genE0ELNS1_11target_archE4294967295ELNS1_3gpuE0ELNS1_3repE0EEENS1_30default_config_static_selectorELNS0_4arch9wavefront6targetE0EEEvT1_
                                        ; -- End function
	.set _ZN7rocprim17ROCPRIM_400000_NS6detail17trampoline_kernelINS0_14default_configENS1_25partition_config_selectorILNS1_17partition_subalgoE9EllbEEZZNS1_14partition_implILS5_9ELb0ES3_jPlS8_PNS0_10empty_typeENS0_5tupleIJS8_S9_EEENSB_IJS8_SA_EEENS0_18inequality_wrapperIZN2at6native12_GLOBAL__N_124unique_dim_cuda_templateImEESt5tupleIJNSF_6TensorESK_SK_EERKSK_lbbbEUlllE0_EEPmJS9_EEE10hipError_tPvRmT3_T4_T5_T6_T7_T9_mT8_P12ihipStream_tbDpT10_ENKUlT_T0_E_clISt17integral_constantIbLb0EES19_IbLb1EEEEDaS15_S16_EUlS15_E_NS1_11comp_targetILNS1_3genE0ELNS1_11target_archE4294967295ELNS1_3gpuE0ELNS1_3repE0EEENS1_30default_config_static_selectorELNS0_4arch9wavefront6targetE0EEEvT1_.num_vgpr, 55
	.set _ZN7rocprim17ROCPRIM_400000_NS6detail17trampoline_kernelINS0_14default_configENS1_25partition_config_selectorILNS1_17partition_subalgoE9EllbEEZZNS1_14partition_implILS5_9ELb0ES3_jPlS8_PNS0_10empty_typeENS0_5tupleIJS8_S9_EEENSB_IJS8_SA_EEENS0_18inequality_wrapperIZN2at6native12_GLOBAL__N_124unique_dim_cuda_templateImEESt5tupleIJNSF_6TensorESK_SK_EERKSK_lbbbEUlllE0_EEPmJS9_EEE10hipError_tPvRmT3_T4_T5_T6_T7_T9_mT8_P12ihipStream_tbDpT10_ENKUlT_T0_E_clISt17integral_constantIbLb0EES19_IbLb1EEEEDaS15_S16_EUlS15_E_NS1_11comp_targetILNS1_3genE0ELNS1_11target_archE4294967295ELNS1_3gpuE0ELNS1_3repE0EEENS1_30default_config_static_selectorELNS0_4arch9wavefront6targetE0EEEvT1_.num_agpr, 0
	.set _ZN7rocprim17ROCPRIM_400000_NS6detail17trampoline_kernelINS0_14default_configENS1_25partition_config_selectorILNS1_17partition_subalgoE9EllbEEZZNS1_14partition_implILS5_9ELb0ES3_jPlS8_PNS0_10empty_typeENS0_5tupleIJS8_S9_EEENSB_IJS8_SA_EEENS0_18inequality_wrapperIZN2at6native12_GLOBAL__N_124unique_dim_cuda_templateImEESt5tupleIJNSF_6TensorESK_SK_EERKSK_lbbbEUlllE0_EEPmJS9_EEE10hipError_tPvRmT3_T4_T5_T6_T7_T9_mT8_P12ihipStream_tbDpT10_ENKUlT_T0_E_clISt17integral_constantIbLb0EES19_IbLb1EEEEDaS15_S16_EUlS15_E_NS1_11comp_targetILNS1_3genE0ELNS1_11target_archE4294967295ELNS1_3gpuE0ELNS1_3repE0EEENS1_30default_config_static_selectorELNS0_4arch9wavefront6targetE0EEEvT1_.numbered_sgpr, 36
	.set _ZN7rocprim17ROCPRIM_400000_NS6detail17trampoline_kernelINS0_14default_configENS1_25partition_config_selectorILNS1_17partition_subalgoE9EllbEEZZNS1_14partition_implILS5_9ELb0ES3_jPlS8_PNS0_10empty_typeENS0_5tupleIJS8_S9_EEENSB_IJS8_SA_EEENS0_18inequality_wrapperIZN2at6native12_GLOBAL__N_124unique_dim_cuda_templateImEESt5tupleIJNSF_6TensorESK_SK_EERKSK_lbbbEUlllE0_EEPmJS9_EEE10hipError_tPvRmT3_T4_T5_T6_T7_T9_mT8_P12ihipStream_tbDpT10_ENKUlT_T0_E_clISt17integral_constantIbLb0EES19_IbLb1EEEEDaS15_S16_EUlS15_E_NS1_11comp_targetILNS1_3genE0ELNS1_11target_archE4294967295ELNS1_3gpuE0ELNS1_3repE0EEENS1_30default_config_static_selectorELNS0_4arch9wavefront6targetE0EEEvT1_.num_named_barrier, 0
	.set _ZN7rocprim17ROCPRIM_400000_NS6detail17trampoline_kernelINS0_14default_configENS1_25partition_config_selectorILNS1_17partition_subalgoE9EllbEEZZNS1_14partition_implILS5_9ELb0ES3_jPlS8_PNS0_10empty_typeENS0_5tupleIJS8_S9_EEENSB_IJS8_SA_EEENS0_18inequality_wrapperIZN2at6native12_GLOBAL__N_124unique_dim_cuda_templateImEESt5tupleIJNSF_6TensorESK_SK_EERKSK_lbbbEUlllE0_EEPmJS9_EEE10hipError_tPvRmT3_T4_T5_T6_T7_T9_mT8_P12ihipStream_tbDpT10_ENKUlT_T0_E_clISt17integral_constantIbLb0EES19_IbLb1EEEEDaS15_S16_EUlS15_E_NS1_11comp_targetILNS1_3genE0ELNS1_11target_archE4294967295ELNS1_3gpuE0ELNS1_3repE0EEENS1_30default_config_static_selectorELNS0_4arch9wavefront6targetE0EEEvT1_.private_seg_size, 0
	.set _ZN7rocprim17ROCPRIM_400000_NS6detail17trampoline_kernelINS0_14default_configENS1_25partition_config_selectorILNS1_17partition_subalgoE9EllbEEZZNS1_14partition_implILS5_9ELb0ES3_jPlS8_PNS0_10empty_typeENS0_5tupleIJS8_S9_EEENSB_IJS8_SA_EEENS0_18inequality_wrapperIZN2at6native12_GLOBAL__N_124unique_dim_cuda_templateImEESt5tupleIJNSF_6TensorESK_SK_EERKSK_lbbbEUlllE0_EEPmJS9_EEE10hipError_tPvRmT3_T4_T5_T6_T7_T9_mT8_P12ihipStream_tbDpT10_ENKUlT_T0_E_clISt17integral_constantIbLb0EES19_IbLb1EEEEDaS15_S16_EUlS15_E_NS1_11comp_targetILNS1_3genE0ELNS1_11target_archE4294967295ELNS1_3gpuE0ELNS1_3repE0EEENS1_30default_config_static_selectorELNS0_4arch9wavefront6targetE0EEEvT1_.uses_vcc, 1
	.set _ZN7rocprim17ROCPRIM_400000_NS6detail17trampoline_kernelINS0_14default_configENS1_25partition_config_selectorILNS1_17partition_subalgoE9EllbEEZZNS1_14partition_implILS5_9ELb0ES3_jPlS8_PNS0_10empty_typeENS0_5tupleIJS8_S9_EEENSB_IJS8_SA_EEENS0_18inequality_wrapperIZN2at6native12_GLOBAL__N_124unique_dim_cuda_templateImEESt5tupleIJNSF_6TensorESK_SK_EERKSK_lbbbEUlllE0_EEPmJS9_EEE10hipError_tPvRmT3_T4_T5_T6_T7_T9_mT8_P12ihipStream_tbDpT10_ENKUlT_T0_E_clISt17integral_constantIbLb0EES19_IbLb1EEEEDaS15_S16_EUlS15_E_NS1_11comp_targetILNS1_3genE0ELNS1_11target_archE4294967295ELNS1_3gpuE0ELNS1_3repE0EEENS1_30default_config_static_selectorELNS0_4arch9wavefront6targetE0EEEvT1_.uses_flat_scratch, 0
	.set _ZN7rocprim17ROCPRIM_400000_NS6detail17trampoline_kernelINS0_14default_configENS1_25partition_config_selectorILNS1_17partition_subalgoE9EllbEEZZNS1_14partition_implILS5_9ELb0ES3_jPlS8_PNS0_10empty_typeENS0_5tupleIJS8_S9_EEENSB_IJS8_SA_EEENS0_18inequality_wrapperIZN2at6native12_GLOBAL__N_124unique_dim_cuda_templateImEESt5tupleIJNSF_6TensorESK_SK_EERKSK_lbbbEUlllE0_EEPmJS9_EEE10hipError_tPvRmT3_T4_T5_T6_T7_T9_mT8_P12ihipStream_tbDpT10_ENKUlT_T0_E_clISt17integral_constantIbLb0EES19_IbLb1EEEEDaS15_S16_EUlS15_E_NS1_11comp_targetILNS1_3genE0ELNS1_11target_archE4294967295ELNS1_3gpuE0ELNS1_3repE0EEENS1_30default_config_static_selectorELNS0_4arch9wavefront6targetE0EEEvT1_.has_dyn_sized_stack, 0
	.set _ZN7rocprim17ROCPRIM_400000_NS6detail17trampoline_kernelINS0_14default_configENS1_25partition_config_selectorILNS1_17partition_subalgoE9EllbEEZZNS1_14partition_implILS5_9ELb0ES3_jPlS8_PNS0_10empty_typeENS0_5tupleIJS8_S9_EEENSB_IJS8_SA_EEENS0_18inequality_wrapperIZN2at6native12_GLOBAL__N_124unique_dim_cuda_templateImEESt5tupleIJNSF_6TensorESK_SK_EERKSK_lbbbEUlllE0_EEPmJS9_EEE10hipError_tPvRmT3_T4_T5_T6_T7_T9_mT8_P12ihipStream_tbDpT10_ENKUlT_T0_E_clISt17integral_constantIbLb0EES19_IbLb1EEEEDaS15_S16_EUlS15_E_NS1_11comp_targetILNS1_3genE0ELNS1_11target_archE4294967295ELNS1_3gpuE0ELNS1_3repE0EEENS1_30default_config_static_selectorELNS0_4arch9wavefront6targetE0EEEvT1_.has_recursion, 0
	.set _ZN7rocprim17ROCPRIM_400000_NS6detail17trampoline_kernelINS0_14default_configENS1_25partition_config_selectorILNS1_17partition_subalgoE9EllbEEZZNS1_14partition_implILS5_9ELb0ES3_jPlS8_PNS0_10empty_typeENS0_5tupleIJS8_S9_EEENSB_IJS8_SA_EEENS0_18inequality_wrapperIZN2at6native12_GLOBAL__N_124unique_dim_cuda_templateImEESt5tupleIJNSF_6TensorESK_SK_EERKSK_lbbbEUlllE0_EEPmJS9_EEE10hipError_tPvRmT3_T4_T5_T6_T7_T9_mT8_P12ihipStream_tbDpT10_ENKUlT_T0_E_clISt17integral_constantIbLb0EES19_IbLb1EEEEDaS15_S16_EUlS15_E_NS1_11comp_targetILNS1_3genE0ELNS1_11target_archE4294967295ELNS1_3gpuE0ELNS1_3repE0EEENS1_30default_config_static_selectorELNS0_4arch9wavefront6targetE0EEEvT1_.has_indirect_call, 0
	.section	.AMDGPU.csdata,"",@progbits
; Kernel info:
; codeLenInByte = 9540
; TotalNumSgprs: 38
; NumVgprs: 55
; ScratchSize: 0
; MemoryBound: 0
; FloatMode: 240
; IeeeMode: 1
; LDSByteSize: 5128 bytes/workgroup (compile time only)
; SGPRBlocks: 0
; VGPRBlocks: 3
; NumSGPRsForWavesPerEU: 38
; NumVGPRsForWavesPerEU: 55
; NamedBarCnt: 0
; Occupancy: 16
; WaveLimiterHint : 1
; COMPUTE_PGM_RSRC2:SCRATCH_EN: 0
; COMPUTE_PGM_RSRC2:USER_SGPR: 2
; COMPUTE_PGM_RSRC2:TRAP_HANDLER: 0
; COMPUTE_PGM_RSRC2:TGID_X_EN: 1
; COMPUTE_PGM_RSRC2:TGID_Y_EN: 0
; COMPUTE_PGM_RSRC2:TGID_Z_EN: 0
; COMPUTE_PGM_RSRC2:TIDIG_COMP_CNT: 0
	.section	.text._ZN7rocprim17ROCPRIM_400000_NS6detail17trampoline_kernelINS0_14default_configENS1_25partition_config_selectorILNS1_17partition_subalgoE9EllbEEZZNS1_14partition_implILS5_9ELb0ES3_jPlS8_PNS0_10empty_typeENS0_5tupleIJS8_S9_EEENSB_IJS8_SA_EEENS0_18inequality_wrapperIZN2at6native12_GLOBAL__N_124unique_dim_cuda_templateImEESt5tupleIJNSF_6TensorESK_SK_EERKSK_lbbbEUlllE0_EEPmJS9_EEE10hipError_tPvRmT3_T4_T5_T6_T7_T9_mT8_P12ihipStream_tbDpT10_ENKUlT_T0_E_clISt17integral_constantIbLb0EES19_IbLb1EEEEDaS15_S16_EUlS15_E_NS1_11comp_targetILNS1_3genE5ELNS1_11target_archE942ELNS1_3gpuE9ELNS1_3repE0EEENS1_30default_config_static_selectorELNS0_4arch9wavefront6targetE0EEEvT1_,"axG",@progbits,_ZN7rocprim17ROCPRIM_400000_NS6detail17trampoline_kernelINS0_14default_configENS1_25partition_config_selectorILNS1_17partition_subalgoE9EllbEEZZNS1_14partition_implILS5_9ELb0ES3_jPlS8_PNS0_10empty_typeENS0_5tupleIJS8_S9_EEENSB_IJS8_SA_EEENS0_18inequality_wrapperIZN2at6native12_GLOBAL__N_124unique_dim_cuda_templateImEESt5tupleIJNSF_6TensorESK_SK_EERKSK_lbbbEUlllE0_EEPmJS9_EEE10hipError_tPvRmT3_T4_T5_T6_T7_T9_mT8_P12ihipStream_tbDpT10_ENKUlT_T0_E_clISt17integral_constantIbLb0EES19_IbLb1EEEEDaS15_S16_EUlS15_E_NS1_11comp_targetILNS1_3genE5ELNS1_11target_archE942ELNS1_3gpuE9ELNS1_3repE0EEENS1_30default_config_static_selectorELNS0_4arch9wavefront6targetE0EEEvT1_,comdat
	.globl	_ZN7rocprim17ROCPRIM_400000_NS6detail17trampoline_kernelINS0_14default_configENS1_25partition_config_selectorILNS1_17partition_subalgoE9EllbEEZZNS1_14partition_implILS5_9ELb0ES3_jPlS8_PNS0_10empty_typeENS0_5tupleIJS8_S9_EEENSB_IJS8_SA_EEENS0_18inequality_wrapperIZN2at6native12_GLOBAL__N_124unique_dim_cuda_templateImEESt5tupleIJNSF_6TensorESK_SK_EERKSK_lbbbEUlllE0_EEPmJS9_EEE10hipError_tPvRmT3_T4_T5_T6_T7_T9_mT8_P12ihipStream_tbDpT10_ENKUlT_T0_E_clISt17integral_constantIbLb0EES19_IbLb1EEEEDaS15_S16_EUlS15_E_NS1_11comp_targetILNS1_3genE5ELNS1_11target_archE942ELNS1_3gpuE9ELNS1_3repE0EEENS1_30default_config_static_selectorELNS0_4arch9wavefront6targetE0EEEvT1_ ; -- Begin function _ZN7rocprim17ROCPRIM_400000_NS6detail17trampoline_kernelINS0_14default_configENS1_25partition_config_selectorILNS1_17partition_subalgoE9EllbEEZZNS1_14partition_implILS5_9ELb0ES3_jPlS8_PNS0_10empty_typeENS0_5tupleIJS8_S9_EEENSB_IJS8_SA_EEENS0_18inequality_wrapperIZN2at6native12_GLOBAL__N_124unique_dim_cuda_templateImEESt5tupleIJNSF_6TensorESK_SK_EERKSK_lbbbEUlllE0_EEPmJS9_EEE10hipError_tPvRmT3_T4_T5_T6_T7_T9_mT8_P12ihipStream_tbDpT10_ENKUlT_T0_E_clISt17integral_constantIbLb0EES19_IbLb1EEEEDaS15_S16_EUlS15_E_NS1_11comp_targetILNS1_3genE5ELNS1_11target_archE942ELNS1_3gpuE9ELNS1_3repE0EEENS1_30default_config_static_selectorELNS0_4arch9wavefront6targetE0EEEvT1_
	.p2align	8
	.type	_ZN7rocprim17ROCPRIM_400000_NS6detail17trampoline_kernelINS0_14default_configENS1_25partition_config_selectorILNS1_17partition_subalgoE9EllbEEZZNS1_14partition_implILS5_9ELb0ES3_jPlS8_PNS0_10empty_typeENS0_5tupleIJS8_S9_EEENSB_IJS8_SA_EEENS0_18inequality_wrapperIZN2at6native12_GLOBAL__N_124unique_dim_cuda_templateImEESt5tupleIJNSF_6TensorESK_SK_EERKSK_lbbbEUlllE0_EEPmJS9_EEE10hipError_tPvRmT3_T4_T5_T6_T7_T9_mT8_P12ihipStream_tbDpT10_ENKUlT_T0_E_clISt17integral_constantIbLb0EES19_IbLb1EEEEDaS15_S16_EUlS15_E_NS1_11comp_targetILNS1_3genE5ELNS1_11target_archE942ELNS1_3gpuE9ELNS1_3repE0EEENS1_30default_config_static_selectorELNS0_4arch9wavefront6targetE0EEEvT1_,@function
_ZN7rocprim17ROCPRIM_400000_NS6detail17trampoline_kernelINS0_14default_configENS1_25partition_config_selectorILNS1_17partition_subalgoE9EllbEEZZNS1_14partition_implILS5_9ELb0ES3_jPlS8_PNS0_10empty_typeENS0_5tupleIJS8_S9_EEENSB_IJS8_SA_EEENS0_18inequality_wrapperIZN2at6native12_GLOBAL__N_124unique_dim_cuda_templateImEESt5tupleIJNSF_6TensorESK_SK_EERKSK_lbbbEUlllE0_EEPmJS9_EEE10hipError_tPvRmT3_T4_T5_T6_T7_T9_mT8_P12ihipStream_tbDpT10_ENKUlT_T0_E_clISt17integral_constantIbLb0EES19_IbLb1EEEEDaS15_S16_EUlS15_E_NS1_11comp_targetILNS1_3genE5ELNS1_11target_archE942ELNS1_3gpuE9ELNS1_3repE0EEENS1_30default_config_static_selectorELNS0_4arch9wavefront6targetE0EEEvT1_: ; @_ZN7rocprim17ROCPRIM_400000_NS6detail17trampoline_kernelINS0_14default_configENS1_25partition_config_selectorILNS1_17partition_subalgoE9EllbEEZZNS1_14partition_implILS5_9ELb0ES3_jPlS8_PNS0_10empty_typeENS0_5tupleIJS8_S9_EEENSB_IJS8_SA_EEENS0_18inequality_wrapperIZN2at6native12_GLOBAL__N_124unique_dim_cuda_templateImEESt5tupleIJNSF_6TensorESK_SK_EERKSK_lbbbEUlllE0_EEPmJS9_EEE10hipError_tPvRmT3_T4_T5_T6_T7_T9_mT8_P12ihipStream_tbDpT10_ENKUlT_T0_E_clISt17integral_constantIbLb0EES19_IbLb1EEEEDaS15_S16_EUlS15_E_NS1_11comp_targetILNS1_3genE5ELNS1_11target_archE942ELNS1_3gpuE9ELNS1_3repE0EEENS1_30default_config_static_selectorELNS0_4arch9wavefront6targetE0EEEvT1_
; %bb.0:
	.section	.rodata,"a",@progbits
	.p2align	6, 0x0
	.amdhsa_kernel _ZN7rocprim17ROCPRIM_400000_NS6detail17trampoline_kernelINS0_14default_configENS1_25partition_config_selectorILNS1_17partition_subalgoE9EllbEEZZNS1_14partition_implILS5_9ELb0ES3_jPlS8_PNS0_10empty_typeENS0_5tupleIJS8_S9_EEENSB_IJS8_SA_EEENS0_18inequality_wrapperIZN2at6native12_GLOBAL__N_124unique_dim_cuda_templateImEESt5tupleIJNSF_6TensorESK_SK_EERKSK_lbbbEUlllE0_EEPmJS9_EEE10hipError_tPvRmT3_T4_T5_T6_T7_T9_mT8_P12ihipStream_tbDpT10_ENKUlT_T0_E_clISt17integral_constantIbLb0EES19_IbLb1EEEEDaS15_S16_EUlS15_E_NS1_11comp_targetILNS1_3genE5ELNS1_11target_archE942ELNS1_3gpuE9ELNS1_3repE0EEENS1_30default_config_static_selectorELNS0_4arch9wavefront6targetE0EEEvT1_
		.amdhsa_group_segment_fixed_size 0
		.amdhsa_private_segment_fixed_size 0
		.amdhsa_kernarg_size 136
		.amdhsa_user_sgpr_count 2
		.amdhsa_user_sgpr_dispatch_ptr 0
		.amdhsa_user_sgpr_queue_ptr 0
		.amdhsa_user_sgpr_kernarg_segment_ptr 1
		.amdhsa_user_sgpr_dispatch_id 0
		.amdhsa_user_sgpr_kernarg_preload_length 0
		.amdhsa_user_sgpr_kernarg_preload_offset 0
		.amdhsa_user_sgpr_private_segment_size 0
		.amdhsa_wavefront_size32 1
		.amdhsa_uses_dynamic_stack 0
		.amdhsa_enable_private_segment 0
		.amdhsa_system_sgpr_workgroup_id_x 1
		.amdhsa_system_sgpr_workgroup_id_y 0
		.amdhsa_system_sgpr_workgroup_id_z 0
		.amdhsa_system_sgpr_workgroup_info 0
		.amdhsa_system_vgpr_workitem_id 0
		.amdhsa_next_free_vgpr 1
		.amdhsa_next_free_sgpr 1
		.amdhsa_named_barrier_count 0
		.amdhsa_reserve_vcc 0
		.amdhsa_float_round_mode_32 0
		.amdhsa_float_round_mode_16_64 0
		.amdhsa_float_denorm_mode_32 3
		.amdhsa_float_denorm_mode_16_64 3
		.amdhsa_fp16_overflow 0
		.amdhsa_memory_ordered 1
		.amdhsa_forward_progress 1
		.amdhsa_inst_pref_size 0
		.amdhsa_round_robin_scheduling 0
		.amdhsa_exception_fp_ieee_invalid_op 0
		.amdhsa_exception_fp_denorm_src 0
		.amdhsa_exception_fp_ieee_div_zero 0
		.amdhsa_exception_fp_ieee_overflow 0
		.amdhsa_exception_fp_ieee_underflow 0
		.amdhsa_exception_fp_ieee_inexact 0
		.amdhsa_exception_int_div_zero 0
	.end_amdhsa_kernel
	.section	.text._ZN7rocprim17ROCPRIM_400000_NS6detail17trampoline_kernelINS0_14default_configENS1_25partition_config_selectorILNS1_17partition_subalgoE9EllbEEZZNS1_14partition_implILS5_9ELb0ES3_jPlS8_PNS0_10empty_typeENS0_5tupleIJS8_S9_EEENSB_IJS8_SA_EEENS0_18inequality_wrapperIZN2at6native12_GLOBAL__N_124unique_dim_cuda_templateImEESt5tupleIJNSF_6TensorESK_SK_EERKSK_lbbbEUlllE0_EEPmJS9_EEE10hipError_tPvRmT3_T4_T5_T6_T7_T9_mT8_P12ihipStream_tbDpT10_ENKUlT_T0_E_clISt17integral_constantIbLb0EES19_IbLb1EEEEDaS15_S16_EUlS15_E_NS1_11comp_targetILNS1_3genE5ELNS1_11target_archE942ELNS1_3gpuE9ELNS1_3repE0EEENS1_30default_config_static_selectorELNS0_4arch9wavefront6targetE0EEEvT1_,"axG",@progbits,_ZN7rocprim17ROCPRIM_400000_NS6detail17trampoline_kernelINS0_14default_configENS1_25partition_config_selectorILNS1_17partition_subalgoE9EllbEEZZNS1_14partition_implILS5_9ELb0ES3_jPlS8_PNS0_10empty_typeENS0_5tupleIJS8_S9_EEENSB_IJS8_SA_EEENS0_18inequality_wrapperIZN2at6native12_GLOBAL__N_124unique_dim_cuda_templateImEESt5tupleIJNSF_6TensorESK_SK_EERKSK_lbbbEUlllE0_EEPmJS9_EEE10hipError_tPvRmT3_T4_T5_T6_T7_T9_mT8_P12ihipStream_tbDpT10_ENKUlT_T0_E_clISt17integral_constantIbLb0EES19_IbLb1EEEEDaS15_S16_EUlS15_E_NS1_11comp_targetILNS1_3genE5ELNS1_11target_archE942ELNS1_3gpuE9ELNS1_3repE0EEENS1_30default_config_static_selectorELNS0_4arch9wavefront6targetE0EEEvT1_,comdat
.Lfunc_end1720:
	.size	_ZN7rocprim17ROCPRIM_400000_NS6detail17trampoline_kernelINS0_14default_configENS1_25partition_config_selectorILNS1_17partition_subalgoE9EllbEEZZNS1_14partition_implILS5_9ELb0ES3_jPlS8_PNS0_10empty_typeENS0_5tupleIJS8_S9_EEENSB_IJS8_SA_EEENS0_18inequality_wrapperIZN2at6native12_GLOBAL__N_124unique_dim_cuda_templateImEESt5tupleIJNSF_6TensorESK_SK_EERKSK_lbbbEUlllE0_EEPmJS9_EEE10hipError_tPvRmT3_T4_T5_T6_T7_T9_mT8_P12ihipStream_tbDpT10_ENKUlT_T0_E_clISt17integral_constantIbLb0EES19_IbLb1EEEEDaS15_S16_EUlS15_E_NS1_11comp_targetILNS1_3genE5ELNS1_11target_archE942ELNS1_3gpuE9ELNS1_3repE0EEENS1_30default_config_static_selectorELNS0_4arch9wavefront6targetE0EEEvT1_, .Lfunc_end1720-_ZN7rocprim17ROCPRIM_400000_NS6detail17trampoline_kernelINS0_14default_configENS1_25partition_config_selectorILNS1_17partition_subalgoE9EllbEEZZNS1_14partition_implILS5_9ELb0ES3_jPlS8_PNS0_10empty_typeENS0_5tupleIJS8_S9_EEENSB_IJS8_SA_EEENS0_18inequality_wrapperIZN2at6native12_GLOBAL__N_124unique_dim_cuda_templateImEESt5tupleIJNSF_6TensorESK_SK_EERKSK_lbbbEUlllE0_EEPmJS9_EEE10hipError_tPvRmT3_T4_T5_T6_T7_T9_mT8_P12ihipStream_tbDpT10_ENKUlT_T0_E_clISt17integral_constantIbLb0EES19_IbLb1EEEEDaS15_S16_EUlS15_E_NS1_11comp_targetILNS1_3genE5ELNS1_11target_archE942ELNS1_3gpuE9ELNS1_3repE0EEENS1_30default_config_static_selectorELNS0_4arch9wavefront6targetE0EEEvT1_
                                        ; -- End function
	.set _ZN7rocprim17ROCPRIM_400000_NS6detail17trampoline_kernelINS0_14default_configENS1_25partition_config_selectorILNS1_17partition_subalgoE9EllbEEZZNS1_14partition_implILS5_9ELb0ES3_jPlS8_PNS0_10empty_typeENS0_5tupleIJS8_S9_EEENSB_IJS8_SA_EEENS0_18inequality_wrapperIZN2at6native12_GLOBAL__N_124unique_dim_cuda_templateImEESt5tupleIJNSF_6TensorESK_SK_EERKSK_lbbbEUlllE0_EEPmJS9_EEE10hipError_tPvRmT3_T4_T5_T6_T7_T9_mT8_P12ihipStream_tbDpT10_ENKUlT_T0_E_clISt17integral_constantIbLb0EES19_IbLb1EEEEDaS15_S16_EUlS15_E_NS1_11comp_targetILNS1_3genE5ELNS1_11target_archE942ELNS1_3gpuE9ELNS1_3repE0EEENS1_30default_config_static_selectorELNS0_4arch9wavefront6targetE0EEEvT1_.num_vgpr, 0
	.set _ZN7rocprim17ROCPRIM_400000_NS6detail17trampoline_kernelINS0_14default_configENS1_25partition_config_selectorILNS1_17partition_subalgoE9EllbEEZZNS1_14partition_implILS5_9ELb0ES3_jPlS8_PNS0_10empty_typeENS0_5tupleIJS8_S9_EEENSB_IJS8_SA_EEENS0_18inequality_wrapperIZN2at6native12_GLOBAL__N_124unique_dim_cuda_templateImEESt5tupleIJNSF_6TensorESK_SK_EERKSK_lbbbEUlllE0_EEPmJS9_EEE10hipError_tPvRmT3_T4_T5_T6_T7_T9_mT8_P12ihipStream_tbDpT10_ENKUlT_T0_E_clISt17integral_constantIbLb0EES19_IbLb1EEEEDaS15_S16_EUlS15_E_NS1_11comp_targetILNS1_3genE5ELNS1_11target_archE942ELNS1_3gpuE9ELNS1_3repE0EEENS1_30default_config_static_selectorELNS0_4arch9wavefront6targetE0EEEvT1_.num_agpr, 0
	.set _ZN7rocprim17ROCPRIM_400000_NS6detail17trampoline_kernelINS0_14default_configENS1_25partition_config_selectorILNS1_17partition_subalgoE9EllbEEZZNS1_14partition_implILS5_9ELb0ES3_jPlS8_PNS0_10empty_typeENS0_5tupleIJS8_S9_EEENSB_IJS8_SA_EEENS0_18inequality_wrapperIZN2at6native12_GLOBAL__N_124unique_dim_cuda_templateImEESt5tupleIJNSF_6TensorESK_SK_EERKSK_lbbbEUlllE0_EEPmJS9_EEE10hipError_tPvRmT3_T4_T5_T6_T7_T9_mT8_P12ihipStream_tbDpT10_ENKUlT_T0_E_clISt17integral_constantIbLb0EES19_IbLb1EEEEDaS15_S16_EUlS15_E_NS1_11comp_targetILNS1_3genE5ELNS1_11target_archE942ELNS1_3gpuE9ELNS1_3repE0EEENS1_30default_config_static_selectorELNS0_4arch9wavefront6targetE0EEEvT1_.numbered_sgpr, 0
	.set _ZN7rocprim17ROCPRIM_400000_NS6detail17trampoline_kernelINS0_14default_configENS1_25partition_config_selectorILNS1_17partition_subalgoE9EllbEEZZNS1_14partition_implILS5_9ELb0ES3_jPlS8_PNS0_10empty_typeENS0_5tupleIJS8_S9_EEENSB_IJS8_SA_EEENS0_18inequality_wrapperIZN2at6native12_GLOBAL__N_124unique_dim_cuda_templateImEESt5tupleIJNSF_6TensorESK_SK_EERKSK_lbbbEUlllE0_EEPmJS9_EEE10hipError_tPvRmT3_T4_T5_T6_T7_T9_mT8_P12ihipStream_tbDpT10_ENKUlT_T0_E_clISt17integral_constantIbLb0EES19_IbLb1EEEEDaS15_S16_EUlS15_E_NS1_11comp_targetILNS1_3genE5ELNS1_11target_archE942ELNS1_3gpuE9ELNS1_3repE0EEENS1_30default_config_static_selectorELNS0_4arch9wavefront6targetE0EEEvT1_.num_named_barrier, 0
	.set _ZN7rocprim17ROCPRIM_400000_NS6detail17trampoline_kernelINS0_14default_configENS1_25partition_config_selectorILNS1_17partition_subalgoE9EllbEEZZNS1_14partition_implILS5_9ELb0ES3_jPlS8_PNS0_10empty_typeENS0_5tupleIJS8_S9_EEENSB_IJS8_SA_EEENS0_18inequality_wrapperIZN2at6native12_GLOBAL__N_124unique_dim_cuda_templateImEESt5tupleIJNSF_6TensorESK_SK_EERKSK_lbbbEUlllE0_EEPmJS9_EEE10hipError_tPvRmT3_T4_T5_T6_T7_T9_mT8_P12ihipStream_tbDpT10_ENKUlT_T0_E_clISt17integral_constantIbLb0EES19_IbLb1EEEEDaS15_S16_EUlS15_E_NS1_11comp_targetILNS1_3genE5ELNS1_11target_archE942ELNS1_3gpuE9ELNS1_3repE0EEENS1_30default_config_static_selectorELNS0_4arch9wavefront6targetE0EEEvT1_.private_seg_size, 0
	.set _ZN7rocprim17ROCPRIM_400000_NS6detail17trampoline_kernelINS0_14default_configENS1_25partition_config_selectorILNS1_17partition_subalgoE9EllbEEZZNS1_14partition_implILS5_9ELb0ES3_jPlS8_PNS0_10empty_typeENS0_5tupleIJS8_S9_EEENSB_IJS8_SA_EEENS0_18inequality_wrapperIZN2at6native12_GLOBAL__N_124unique_dim_cuda_templateImEESt5tupleIJNSF_6TensorESK_SK_EERKSK_lbbbEUlllE0_EEPmJS9_EEE10hipError_tPvRmT3_T4_T5_T6_T7_T9_mT8_P12ihipStream_tbDpT10_ENKUlT_T0_E_clISt17integral_constantIbLb0EES19_IbLb1EEEEDaS15_S16_EUlS15_E_NS1_11comp_targetILNS1_3genE5ELNS1_11target_archE942ELNS1_3gpuE9ELNS1_3repE0EEENS1_30default_config_static_selectorELNS0_4arch9wavefront6targetE0EEEvT1_.uses_vcc, 0
	.set _ZN7rocprim17ROCPRIM_400000_NS6detail17trampoline_kernelINS0_14default_configENS1_25partition_config_selectorILNS1_17partition_subalgoE9EllbEEZZNS1_14partition_implILS5_9ELb0ES3_jPlS8_PNS0_10empty_typeENS0_5tupleIJS8_S9_EEENSB_IJS8_SA_EEENS0_18inequality_wrapperIZN2at6native12_GLOBAL__N_124unique_dim_cuda_templateImEESt5tupleIJNSF_6TensorESK_SK_EERKSK_lbbbEUlllE0_EEPmJS9_EEE10hipError_tPvRmT3_T4_T5_T6_T7_T9_mT8_P12ihipStream_tbDpT10_ENKUlT_T0_E_clISt17integral_constantIbLb0EES19_IbLb1EEEEDaS15_S16_EUlS15_E_NS1_11comp_targetILNS1_3genE5ELNS1_11target_archE942ELNS1_3gpuE9ELNS1_3repE0EEENS1_30default_config_static_selectorELNS0_4arch9wavefront6targetE0EEEvT1_.uses_flat_scratch, 0
	.set _ZN7rocprim17ROCPRIM_400000_NS6detail17trampoline_kernelINS0_14default_configENS1_25partition_config_selectorILNS1_17partition_subalgoE9EllbEEZZNS1_14partition_implILS5_9ELb0ES3_jPlS8_PNS0_10empty_typeENS0_5tupleIJS8_S9_EEENSB_IJS8_SA_EEENS0_18inequality_wrapperIZN2at6native12_GLOBAL__N_124unique_dim_cuda_templateImEESt5tupleIJNSF_6TensorESK_SK_EERKSK_lbbbEUlllE0_EEPmJS9_EEE10hipError_tPvRmT3_T4_T5_T6_T7_T9_mT8_P12ihipStream_tbDpT10_ENKUlT_T0_E_clISt17integral_constantIbLb0EES19_IbLb1EEEEDaS15_S16_EUlS15_E_NS1_11comp_targetILNS1_3genE5ELNS1_11target_archE942ELNS1_3gpuE9ELNS1_3repE0EEENS1_30default_config_static_selectorELNS0_4arch9wavefront6targetE0EEEvT1_.has_dyn_sized_stack, 0
	.set _ZN7rocprim17ROCPRIM_400000_NS6detail17trampoline_kernelINS0_14default_configENS1_25partition_config_selectorILNS1_17partition_subalgoE9EllbEEZZNS1_14partition_implILS5_9ELb0ES3_jPlS8_PNS0_10empty_typeENS0_5tupleIJS8_S9_EEENSB_IJS8_SA_EEENS0_18inequality_wrapperIZN2at6native12_GLOBAL__N_124unique_dim_cuda_templateImEESt5tupleIJNSF_6TensorESK_SK_EERKSK_lbbbEUlllE0_EEPmJS9_EEE10hipError_tPvRmT3_T4_T5_T6_T7_T9_mT8_P12ihipStream_tbDpT10_ENKUlT_T0_E_clISt17integral_constantIbLb0EES19_IbLb1EEEEDaS15_S16_EUlS15_E_NS1_11comp_targetILNS1_3genE5ELNS1_11target_archE942ELNS1_3gpuE9ELNS1_3repE0EEENS1_30default_config_static_selectorELNS0_4arch9wavefront6targetE0EEEvT1_.has_recursion, 0
	.set _ZN7rocprim17ROCPRIM_400000_NS6detail17trampoline_kernelINS0_14default_configENS1_25partition_config_selectorILNS1_17partition_subalgoE9EllbEEZZNS1_14partition_implILS5_9ELb0ES3_jPlS8_PNS0_10empty_typeENS0_5tupleIJS8_S9_EEENSB_IJS8_SA_EEENS0_18inequality_wrapperIZN2at6native12_GLOBAL__N_124unique_dim_cuda_templateImEESt5tupleIJNSF_6TensorESK_SK_EERKSK_lbbbEUlllE0_EEPmJS9_EEE10hipError_tPvRmT3_T4_T5_T6_T7_T9_mT8_P12ihipStream_tbDpT10_ENKUlT_T0_E_clISt17integral_constantIbLb0EES19_IbLb1EEEEDaS15_S16_EUlS15_E_NS1_11comp_targetILNS1_3genE5ELNS1_11target_archE942ELNS1_3gpuE9ELNS1_3repE0EEENS1_30default_config_static_selectorELNS0_4arch9wavefront6targetE0EEEvT1_.has_indirect_call, 0
	.section	.AMDGPU.csdata,"",@progbits
; Kernel info:
; codeLenInByte = 0
; TotalNumSgprs: 0
; NumVgprs: 0
; ScratchSize: 0
; MemoryBound: 0
; FloatMode: 240
; IeeeMode: 1
; LDSByteSize: 0 bytes/workgroup (compile time only)
; SGPRBlocks: 0
; VGPRBlocks: 0
; NumSGPRsForWavesPerEU: 1
; NumVGPRsForWavesPerEU: 1
; NamedBarCnt: 0
; Occupancy: 16
; WaveLimiterHint : 0
; COMPUTE_PGM_RSRC2:SCRATCH_EN: 0
; COMPUTE_PGM_RSRC2:USER_SGPR: 2
; COMPUTE_PGM_RSRC2:TRAP_HANDLER: 0
; COMPUTE_PGM_RSRC2:TGID_X_EN: 1
; COMPUTE_PGM_RSRC2:TGID_Y_EN: 0
; COMPUTE_PGM_RSRC2:TGID_Z_EN: 0
; COMPUTE_PGM_RSRC2:TIDIG_COMP_CNT: 0
	.section	.text._ZN7rocprim17ROCPRIM_400000_NS6detail17trampoline_kernelINS0_14default_configENS1_25partition_config_selectorILNS1_17partition_subalgoE9EllbEEZZNS1_14partition_implILS5_9ELb0ES3_jPlS8_PNS0_10empty_typeENS0_5tupleIJS8_S9_EEENSB_IJS8_SA_EEENS0_18inequality_wrapperIZN2at6native12_GLOBAL__N_124unique_dim_cuda_templateImEESt5tupleIJNSF_6TensorESK_SK_EERKSK_lbbbEUlllE0_EEPmJS9_EEE10hipError_tPvRmT3_T4_T5_T6_T7_T9_mT8_P12ihipStream_tbDpT10_ENKUlT_T0_E_clISt17integral_constantIbLb0EES19_IbLb1EEEEDaS15_S16_EUlS15_E_NS1_11comp_targetILNS1_3genE4ELNS1_11target_archE910ELNS1_3gpuE8ELNS1_3repE0EEENS1_30default_config_static_selectorELNS0_4arch9wavefront6targetE0EEEvT1_,"axG",@progbits,_ZN7rocprim17ROCPRIM_400000_NS6detail17trampoline_kernelINS0_14default_configENS1_25partition_config_selectorILNS1_17partition_subalgoE9EllbEEZZNS1_14partition_implILS5_9ELb0ES3_jPlS8_PNS0_10empty_typeENS0_5tupleIJS8_S9_EEENSB_IJS8_SA_EEENS0_18inequality_wrapperIZN2at6native12_GLOBAL__N_124unique_dim_cuda_templateImEESt5tupleIJNSF_6TensorESK_SK_EERKSK_lbbbEUlllE0_EEPmJS9_EEE10hipError_tPvRmT3_T4_T5_T6_T7_T9_mT8_P12ihipStream_tbDpT10_ENKUlT_T0_E_clISt17integral_constantIbLb0EES19_IbLb1EEEEDaS15_S16_EUlS15_E_NS1_11comp_targetILNS1_3genE4ELNS1_11target_archE910ELNS1_3gpuE8ELNS1_3repE0EEENS1_30default_config_static_selectorELNS0_4arch9wavefront6targetE0EEEvT1_,comdat
	.globl	_ZN7rocprim17ROCPRIM_400000_NS6detail17trampoline_kernelINS0_14default_configENS1_25partition_config_selectorILNS1_17partition_subalgoE9EllbEEZZNS1_14partition_implILS5_9ELb0ES3_jPlS8_PNS0_10empty_typeENS0_5tupleIJS8_S9_EEENSB_IJS8_SA_EEENS0_18inequality_wrapperIZN2at6native12_GLOBAL__N_124unique_dim_cuda_templateImEESt5tupleIJNSF_6TensorESK_SK_EERKSK_lbbbEUlllE0_EEPmJS9_EEE10hipError_tPvRmT3_T4_T5_T6_T7_T9_mT8_P12ihipStream_tbDpT10_ENKUlT_T0_E_clISt17integral_constantIbLb0EES19_IbLb1EEEEDaS15_S16_EUlS15_E_NS1_11comp_targetILNS1_3genE4ELNS1_11target_archE910ELNS1_3gpuE8ELNS1_3repE0EEENS1_30default_config_static_selectorELNS0_4arch9wavefront6targetE0EEEvT1_ ; -- Begin function _ZN7rocprim17ROCPRIM_400000_NS6detail17trampoline_kernelINS0_14default_configENS1_25partition_config_selectorILNS1_17partition_subalgoE9EllbEEZZNS1_14partition_implILS5_9ELb0ES3_jPlS8_PNS0_10empty_typeENS0_5tupleIJS8_S9_EEENSB_IJS8_SA_EEENS0_18inequality_wrapperIZN2at6native12_GLOBAL__N_124unique_dim_cuda_templateImEESt5tupleIJNSF_6TensorESK_SK_EERKSK_lbbbEUlllE0_EEPmJS9_EEE10hipError_tPvRmT3_T4_T5_T6_T7_T9_mT8_P12ihipStream_tbDpT10_ENKUlT_T0_E_clISt17integral_constantIbLb0EES19_IbLb1EEEEDaS15_S16_EUlS15_E_NS1_11comp_targetILNS1_3genE4ELNS1_11target_archE910ELNS1_3gpuE8ELNS1_3repE0EEENS1_30default_config_static_selectorELNS0_4arch9wavefront6targetE0EEEvT1_
	.p2align	8
	.type	_ZN7rocprim17ROCPRIM_400000_NS6detail17trampoline_kernelINS0_14default_configENS1_25partition_config_selectorILNS1_17partition_subalgoE9EllbEEZZNS1_14partition_implILS5_9ELb0ES3_jPlS8_PNS0_10empty_typeENS0_5tupleIJS8_S9_EEENSB_IJS8_SA_EEENS0_18inequality_wrapperIZN2at6native12_GLOBAL__N_124unique_dim_cuda_templateImEESt5tupleIJNSF_6TensorESK_SK_EERKSK_lbbbEUlllE0_EEPmJS9_EEE10hipError_tPvRmT3_T4_T5_T6_T7_T9_mT8_P12ihipStream_tbDpT10_ENKUlT_T0_E_clISt17integral_constantIbLb0EES19_IbLb1EEEEDaS15_S16_EUlS15_E_NS1_11comp_targetILNS1_3genE4ELNS1_11target_archE910ELNS1_3gpuE8ELNS1_3repE0EEENS1_30default_config_static_selectorELNS0_4arch9wavefront6targetE0EEEvT1_,@function
_ZN7rocprim17ROCPRIM_400000_NS6detail17trampoline_kernelINS0_14default_configENS1_25partition_config_selectorILNS1_17partition_subalgoE9EllbEEZZNS1_14partition_implILS5_9ELb0ES3_jPlS8_PNS0_10empty_typeENS0_5tupleIJS8_S9_EEENSB_IJS8_SA_EEENS0_18inequality_wrapperIZN2at6native12_GLOBAL__N_124unique_dim_cuda_templateImEESt5tupleIJNSF_6TensorESK_SK_EERKSK_lbbbEUlllE0_EEPmJS9_EEE10hipError_tPvRmT3_T4_T5_T6_T7_T9_mT8_P12ihipStream_tbDpT10_ENKUlT_T0_E_clISt17integral_constantIbLb0EES19_IbLb1EEEEDaS15_S16_EUlS15_E_NS1_11comp_targetILNS1_3genE4ELNS1_11target_archE910ELNS1_3gpuE8ELNS1_3repE0EEENS1_30default_config_static_selectorELNS0_4arch9wavefront6targetE0EEEvT1_: ; @_ZN7rocprim17ROCPRIM_400000_NS6detail17trampoline_kernelINS0_14default_configENS1_25partition_config_selectorILNS1_17partition_subalgoE9EllbEEZZNS1_14partition_implILS5_9ELb0ES3_jPlS8_PNS0_10empty_typeENS0_5tupleIJS8_S9_EEENSB_IJS8_SA_EEENS0_18inequality_wrapperIZN2at6native12_GLOBAL__N_124unique_dim_cuda_templateImEESt5tupleIJNSF_6TensorESK_SK_EERKSK_lbbbEUlllE0_EEPmJS9_EEE10hipError_tPvRmT3_T4_T5_T6_T7_T9_mT8_P12ihipStream_tbDpT10_ENKUlT_T0_E_clISt17integral_constantIbLb0EES19_IbLb1EEEEDaS15_S16_EUlS15_E_NS1_11comp_targetILNS1_3genE4ELNS1_11target_archE910ELNS1_3gpuE8ELNS1_3repE0EEENS1_30default_config_static_selectorELNS0_4arch9wavefront6targetE0EEEvT1_
; %bb.0:
	.section	.rodata,"a",@progbits
	.p2align	6, 0x0
	.amdhsa_kernel _ZN7rocprim17ROCPRIM_400000_NS6detail17trampoline_kernelINS0_14default_configENS1_25partition_config_selectorILNS1_17partition_subalgoE9EllbEEZZNS1_14partition_implILS5_9ELb0ES3_jPlS8_PNS0_10empty_typeENS0_5tupleIJS8_S9_EEENSB_IJS8_SA_EEENS0_18inequality_wrapperIZN2at6native12_GLOBAL__N_124unique_dim_cuda_templateImEESt5tupleIJNSF_6TensorESK_SK_EERKSK_lbbbEUlllE0_EEPmJS9_EEE10hipError_tPvRmT3_T4_T5_T6_T7_T9_mT8_P12ihipStream_tbDpT10_ENKUlT_T0_E_clISt17integral_constantIbLb0EES19_IbLb1EEEEDaS15_S16_EUlS15_E_NS1_11comp_targetILNS1_3genE4ELNS1_11target_archE910ELNS1_3gpuE8ELNS1_3repE0EEENS1_30default_config_static_selectorELNS0_4arch9wavefront6targetE0EEEvT1_
		.amdhsa_group_segment_fixed_size 0
		.amdhsa_private_segment_fixed_size 0
		.amdhsa_kernarg_size 136
		.amdhsa_user_sgpr_count 2
		.amdhsa_user_sgpr_dispatch_ptr 0
		.amdhsa_user_sgpr_queue_ptr 0
		.amdhsa_user_sgpr_kernarg_segment_ptr 1
		.amdhsa_user_sgpr_dispatch_id 0
		.amdhsa_user_sgpr_kernarg_preload_length 0
		.amdhsa_user_sgpr_kernarg_preload_offset 0
		.amdhsa_user_sgpr_private_segment_size 0
		.amdhsa_wavefront_size32 1
		.amdhsa_uses_dynamic_stack 0
		.amdhsa_enable_private_segment 0
		.amdhsa_system_sgpr_workgroup_id_x 1
		.amdhsa_system_sgpr_workgroup_id_y 0
		.amdhsa_system_sgpr_workgroup_id_z 0
		.amdhsa_system_sgpr_workgroup_info 0
		.amdhsa_system_vgpr_workitem_id 0
		.amdhsa_next_free_vgpr 1
		.amdhsa_next_free_sgpr 1
		.amdhsa_named_barrier_count 0
		.amdhsa_reserve_vcc 0
		.amdhsa_float_round_mode_32 0
		.amdhsa_float_round_mode_16_64 0
		.amdhsa_float_denorm_mode_32 3
		.amdhsa_float_denorm_mode_16_64 3
		.amdhsa_fp16_overflow 0
		.amdhsa_memory_ordered 1
		.amdhsa_forward_progress 1
		.amdhsa_inst_pref_size 0
		.amdhsa_round_robin_scheduling 0
		.amdhsa_exception_fp_ieee_invalid_op 0
		.amdhsa_exception_fp_denorm_src 0
		.amdhsa_exception_fp_ieee_div_zero 0
		.amdhsa_exception_fp_ieee_overflow 0
		.amdhsa_exception_fp_ieee_underflow 0
		.amdhsa_exception_fp_ieee_inexact 0
		.amdhsa_exception_int_div_zero 0
	.end_amdhsa_kernel
	.section	.text._ZN7rocprim17ROCPRIM_400000_NS6detail17trampoline_kernelINS0_14default_configENS1_25partition_config_selectorILNS1_17partition_subalgoE9EllbEEZZNS1_14partition_implILS5_9ELb0ES3_jPlS8_PNS0_10empty_typeENS0_5tupleIJS8_S9_EEENSB_IJS8_SA_EEENS0_18inequality_wrapperIZN2at6native12_GLOBAL__N_124unique_dim_cuda_templateImEESt5tupleIJNSF_6TensorESK_SK_EERKSK_lbbbEUlllE0_EEPmJS9_EEE10hipError_tPvRmT3_T4_T5_T6_T7_T9_mT8_P12ihipStream_tbDpT10_ENKUlT_T0_E_clISt17integral_constantIbLb0EES19_IbLb1EEEEDaS15_S16_EUlS15_E_NS1_11comp_targetILNS1_3genE4ELNS1_11target_archE910ELNS1_3gpuE8ELNS1_3repE0EEENS1_30default_config_static_selectorELNS0_4arch9wavefront6targetE0EEEvT1_,"axG",@progbits,_ZN7rocprim17ROCPRIM_400000_NS6detail17trampoline_kernelINS0_14default_configENS1_25partition_config_selectorILNS1_17partition_subalgoE9EllbEEZZNS1_14partition_implILS5_9ELb0ES3_jPlS8_PNS0_10empty_typeENS0_5tupleIJS8_S9_EEENSB_IJS8_SA_EEENS0_18inequality_wrapperIZN2at6native12_GLOBAL__N_124unique_dim_cuda_templateImEESt5tupleIJNSF_6TensorESK_SK_EERKSK_lbbbEUlllE0_EEPmJS9_EEE10hipError_tPvRmT3_T4_T5_T6_T7_T9_mT8_P12ihipStream_tbDpT10_ENKUlT_T0_E_clISt17integral_constantIbLb0EES19_IbLb1EEEEDaS15_S16_EUlS15_E_NS1_11comp_targetILNS1_3genE4ELNS1_11target_archE910ELNS1_3gpuE8ELNS1_3repE0EEENS1_30default_config_static_selectorELNS0_4arch9wavefront6targetE0EEEvT1_,comdat
.Lfunc_end1721:
	.size	_ZN7rocprim17ROCPRIM_400000_NS6detail17trampoline_kernelINS0_14default_configENS1_25partition_config_selectorILNS1_17partition_subalgoE9EllbEEZZNS1_14partition_implILS5_9ELb0ES3_jPlS8_PNS0_10empty_typeENS0_5tupleIJS8_S9_EEENSB_IJS8_SA_EEENS0_18inequality_wrapperIZN2at6native12_GLOBAL__N_124unique_dim_cuda_templateImEESt5tupleIJNSF_6TensorESK_SK_EERKSK_lbbbEUlllE0_EEPmJS9_EEE10hipError_tPvRmT3_T4_T5_T6_T7_T9_mT8_P12ihipStream_tbDpT10_ENKUlT_T0_E_clISt17integral_constantIbLb0EES19_IbLb1EEEEDaS15_S16_EUlS15_E_NS1_11comp_targetILNS1_3genE4ELNS1_11target_archE910ELNS1_3gpuE8ELNS1_3repE0EEENS1_30default_config_static_selectorELNS0_4arch9wavefront6targetE0EEEvT1_, .Lfunc_end1721-_ZN7rocprim17ROCPRIM_400000_NS6detail17trampoline_kernelINS0_14default_configENS1_25partition_config_selectorILNS1_17partition_subalgoE9EllbEEZZNS1_14partition_implILS5_9ELb0ES3_jPlS8_PNS0_10empty_typeENS0_5tupleIJS8_S9_EEENSB_IJS8_SA_EEENS0_18inequality_wrapperIZN2at6native12_GLOBAL__N_124unique_dim_cuda_templateImEESt5tupleIJNSF_6TensorESK_SK_EERKSK_lbbbEUlllE0_EEPmJS9_EEE10hipError_tPvRmT3_T4_T5_T6_T7_T9_mT8_P12ihipStream_tbDpT10_ENKUlT_T0_E_clISt17integral_constantIbLb0EES19_IbLb1EEEEDaS15_S16_EUlS15_E_NS1_11comp_targetILNS1_3genE4ELNS1_11target_archE910ELNS1_3gpuE8ELNS1_3repE0EEENS1_30default_config_static_selectorELNS0_4arch9wavefront6targetE0EEEvT1_
                                        ; -- End function
	.set _ZN7rocprim17ROCPRIM_400000_NS6detail17trampoline_kernelINS0_14default_configENS1_25partition_config_selectorILNS1_17partition_subalgoE9EllbEEZZNS1_14partition_implILS5_9ELb0ES3_jPlS8_PNS0_10empty_typeENS0_5tupleIJS8_S9_EEENSB_IJS8_SA_EEENS0_18inequality_wrapperIZN2at6native12_GLOBAL__N_124unique_dim_cuda_templateImEESt5tupleIJNSF_6TensorESK_SK_EERKSK_lbbbEUlllE0_EEPmJS9_EEE10hipError_tPvRmT3_T4_T5_T6_T7_T9_mT8_P12ihipStream_tbDpT10_ENKUlT_T0_E_clISt17integral_constantIbLb0EES19_IbLb1EEEEDaS15_S16_EUlS15_E_NS1_11comp_targetILNS1_3genE4ELNS1_11target_archE910ELNS1_3gpuE8ELNS1_3repE0EEENS1_30default_config_static_selectorELNS0_4arch9wavefront6targetE0EEEvT1_.num_vgpr, 0
	.set _ZN7rocprim17ROCPRIM_400000_NS6detail17trampoline_kernelINS0_14default_configENS1_25partition_config_selectorILNS1_17partition_subalgoE9EllbEEZZNS1_14partition_implILS5_9ELb0ES3_jPlS8_PNS0_10empty_typeENS0_5tupleIJS8_S9_EEENSB_IJS8_SA_EEENS0_18inequality_wrapperIZN2at6native12_GLOBAL__N_124unique_dim_cuda_templateImEESt5tupleIJNSF_6TensorESK_SK_EERKSK_lbbbEUlllE0_EEPmJS9_EEE10hipError_tPvRmT3_T4_T5_T6_T7_T9_mT8_P12ihipStream_tbDpT10_ENKUlT_T0_E_clISt17integral_constantIbLb0EES19_IbLb1EEEEDaS15_S16_EUlS15_E_NS1_11comp_targetILNS1_3genE4ELNS1_11target_archE910ELNS1_3gpuE8ELNS1_3repE0EEENS1_30default_config_static_selectorELNS0_4arch9wavefront6targetE0EEEvT1_.num_agpr, 0
	.set _ZN7rocprim17ROCPRIM_400000_NS6detail17trampoline_kernelINS0_14default_configENS1_25partition_config_selectorILNS1_17partition_subalgoE9EllbEEZZNS1_14partition_implILS5_9ELb0ES3_jPlS8_PNS0_10empty_typeENS0_5tupleIJS8_S9_EEENSB_IJS8_SA_EEENS0_18inequality_wrapperIZN2at6native12_GLOBAL__N_124unique_dim_cuda_templateImEESt5tupleIJNSF_6TensorESK_SK_EERKSK_lbbbEUlllE0_EEPmJS9_EEE10hipError_tPvRmT3_T4_T5_T6_T7_T9_mT8_P12ihipStream_tbDpT10_ENKUlT_T0_E_clISt17integral_constantIbLb0EES19_IbLb1EEEEDaS15_S16_EUlS15_E_NS1_11comp_targetILNS1_3genE4ELNS1_11target_archE910ELNS1_3gpuE8ELNS1_3repE0EEENS1_30default_config_static_selectorELNS0_4arch9wavefront6targetE0EEEvT1_.numbered_sgpr, 0
	.set _ZN7rocprim17ROCPRIM_400000_NS6detail17trampoline_kernelINS0_14default_configENS1_25partition_config_selectorILNS1_17partition_subalgoE9EllbEEZZNS1_14partition_implILS5_9ELb0ES3_jPlS8_PNS0_10empty_typeENS0_5tupleIJS8_S9_EEENSB_IJS8_SA_EEENS0_18inequality_wrapperIZN2at6native12_GLOBAL__N_124unique_dim_cuda_templateImEESt5tupleIJNSF_6TensorESK_SK_EERKSK_lbbbEUlllE0_EEPmJS9_EEE10hipError_tPvRmT3_T4_T5_T6_T7_T9_mT8_P12ihipStream_tbDpT10_ENKUlT_T0_E_clISt17integral_constantIbLb0EES19_IbLb1EEEEDaS15_S16_EUlS15_E_NS1_11comp_targetILNS1_3genE4ELNS1_11target_archE910ELNS1_3gpuE8ELNS1_3repE0EEENS1_30default_config_static_selectorELNS0_4arch9wavefront6targetE0EEEvT1_.num_named_barrier, 0
	.set _ZN7rocprim17ROCPRIM_400000_NS6detail17trampoline_kernelINS0_14default_configENS1_25partition_config_selectorILNS1_17partition_subalgoE9EllbEEZZNS1_14partition_implILS5_9ELb0ES3_jPlS8_PNS0_10empty_typeENS0_5tupleIJS8_S9_EEENSB_IJS8_SA_EEENS0_18inequality_wrapperIZN2at6native12_GLOBAL__N_124unique_dim_cuda_templateImEESt5tupleIJNSF_6TensorESK_SK_EERKSK_lbbbEUlllE0_EEPmJS9_EEE10hipError_tPvRmT3_T4_T5_T6_T7_T9_mT8_P12ihipStream_tbDpT10_ENKUlT_T0_E_clISt17integral_constantIbLb0EES19_IbLb1EEEEDaS15_S16_EUlS15_E_NS1_11comp_targetILNS1_3genE4ELNS1_11target_archE910ELNS1_3gpuE8ELNS1_3repE0EEENS1_30default_config_static_selectorELNS0_4arch9wavefront6targetE0EEEvT1_.private_seg_size, 0
	.set _ZN7rocprim17ROCPRIM_400000_NS6detail17trampoline_kernelINS0_14default_configENS1_25partition_config_selectorILNS1_17partition_subalgoE9EllbEEZZNS1_14partition_implILS5_9ELb0ES3_jPlS8_PNS0_10empty_typeENS0_5tupleIJS8_S9_EEENSB_IJS8_SA_EEENS0_18inequality_wrapperIZN2at6native12_GLOBAL__N_124unique_dim_cuda_templateImEESt5tupleIJNSF_6TensorESK_SK_EERKSK_lbbbEUlllE0_EEPmJS9_EEE10hipError_tPvRmT3_T4_T5_T6_T7_T9_mT8_P12ihipStream_tbDpT10_ENKUlT_T0_E_clISt17integral_constantIbLb0EES19_IbLb1EEEEDaS15_S16_EUlS15_E_NS1_11comp_targetILNS1_3genE4ELNS1_11target_archE910ELNS1_3gpuE8ELNS1_3repE0EEENS1_30default_config_static_selectorELNS0_4arch9wavefront6targetE0EEEvT1_.uses_vcc, 0
	.set _ZN7rocprim17ROCPRIM_400000_NS6detail17trampoline_kernelINS0_14default_configENS1_25partition_config_selectorILNS1_17partition_subalgoE9EllbEEZZNS1_14partition_implILS5_9ELb0ES3_jPlS8_PNS0_10empty_typeENS0_5tupleIJS8_S9_EEENSB_IJS8_SA_EEENS0_18inequality_wrapperIZN2at6native12_GLOBAL__N_124unique_dim_cuda_templateImEESt5tupleIJNSF_6TensorESK_SK_EERKSK_lbbbEUlllE0_EEPmJS9_EEE10hipError_tPvRmT3_T4_T5_T6_T7_T9_mT8_P12ihipStream_tbDpT10_ENKUlT_T0_E_clISt17integral_constantIbLb0EES19_IbLb1EEEEDaS15_S16_EUlS15_E_NS1_11comp_targetILNS1_3genE4ELNS1_11target_archE910ELNS1_3gpuE8ELNS1_3repE0EEENS1_30default_config_static_selectorELNS0_4arch9wavefront6targetE0EEEvT1_.uses_flat_scratch, 0
	.set _ZN7rocprim17ROCPRIM_400000_NS6detail17trampoline_kernelINS0_14default_configENS1_25partition_config_selectorILNS1_17partition_subalgoE9EllbEEZZNS1_14partition_implILS5_9ELb0ES3_jPlS8_PNS0_10empty_typeENS0_5tupleIJS8_S9_EEENSB_IJS8_SA_EEENS0_18inequality_wrapperIZN2at6native12_GLOBAL__N_124unique_dim_cuda_templateImEESt5tupleIJNSF_6TensorESK_SK_EERKSK_lbbbEUlllE0_EEPmJS9_EEE10hipError_tPvRmT3_T4_T5_T6_T7_T9_mT8_P12ihipStream_tbDpT10_ENKUlT_T0_E_clISt17integral_constantIbLb0EES19_IbLb1EEEEDaS15_S16_EUlS15_E_NS1_11comp_targetILNS1_3genE4ELNS1_11target_archE910ELNS1_3gpuE8ELNS1_3repE0EEENS1_30default_config_static_selectorELNS0_4arch9wavefront6targetE0EEEvT1_.has_dyn_sized_stack, 0
	.set _ZN7rocprim17ROCPRIM_400000_NS6detail17trampoline_kernelINS0_14default_configENS1_25partition_config_selectorILNS1_17partition_subalgoE9EllbEEZZNS1_14partition_implILS5_9ELb0ES3_jPlS8_PNS0_10empty_typeENS0_5tupleIJS8_S9_EEENSB_IJS8_SA_EEENS0_18inequality_wrapperIZN2at6native12_GLOBAL__N_124unique_dim_cuda_templateImEESt5tupleIJNSF_6TensorESK_SK_EERKSK_lbbbEUlllE0_EEPmJS9_EEE10hipError_tPvRmT3_T4_T5_T6_T7_T9_mT8_P12ihipStream_tbDpT10_ENKUlT_T0_E_clISt17integral_constantIbLb0EES19_IbLb1EEEEDaS15_S16_EUlS15_E_NS1_11comp_targetILNS1_3genE4ELNS1_11target_archE910ELNS1_3gpuE8ELNS1_3repE0EEENS1_30default_config_static_selectorELNS0_4arch9wavefront6targetE0EEEvT1_.has_recursion, 0
	.set _ZN7rocprim17ROCPRIM_400000_NS6detail17trampoline_kernelINS0_14default_configENS1_25partition_config_selectorILNS1_17partition_subalgoE9EllbEEZZNS1_14partition_implILS5_9ELb0ES3_jPlS8_PNS0_10empty_typeENS0_5tupleIJS8_S9_EEENSB_IJS8_SA_EEENS0_18inequality_wrapperIZN2at6native12_GLOBAL__N_124unique_dim_cuda_templateImEESt5tupleIJNSF_6TensorESK_SK_EERKSK_lbbbEUlllE0_EEPmJS9_EEE10hipError_tPvRmT3_T4_T5_T6_T7_T9_mT8_P12ihipStream_tbDpT10_ENKUlT_T0_E_clISt17integral_constantIbLb0EES19_IbLb1EEEEDaS15_S16_EUlS15_E_NS1_11comp_targetILNS1_3genE4ELNS1_11target_archE910ELNS1_3gpuE8ELNS1_3repE0EEENS1_30default_config_static_selectorELNS0_4arch9wavefront6targetE0EEEvT1_.has_indirect_call, 0
	.section	.AMDGPU.csdata,"",@progbits
; Kernel info:
; codeLenInByte = 0
; TotalNumSgprs: 0
; NumVgprs: 0
; ScratchSize: 0
; MemoryBound: 0
; FloatMode: 240
; IeeeMode: 1
; LDSByteSize: 0 bytes/workgroup (compile time only)
; SGPRBlocks: 0
; VGPRBlocks: 0
; NumSGPRsForWavesPerEU: 1
; NumVGPRsForWavesPerEU: 1
; NamedBarCnt: 0
; Occupancy: 16
; WaveLimiterHint : 0
; COMPUTE_PGM_RSRC2:SCRATCH_EN: 0
; COMPUTE_PGM_RSRC2:USER_SGPR: 2
; COMPUTE_PGM_RSRC2:TRAP_HANDLER: 0
; COMPUTE_PGM_RSRC2:TGID_X_EN: 1
; COMPUTE_PGM_RSRC2:TGID_Y_EN: 0
; COMPUTE_PGM_RSRC2:TGID_Z_EN: 0
; COMPUTE_PGM_RSRC2:TIDIG_COMP_CNT: 0
	.section	.text._ZN7rocprim17ROCPRIM_400000_NS6detail17trampoline_kernelINS0_14default_configENS1_25partition_config_selectorILNS1_17partition_subalgoE9EllbEEZZNS1_14partition_implILS5_9ELb0ES3_jPlS8_PNS0_10empty_typeENS0_5tupleIJS8_S9_EEENSB_IJS8_SA_EEENS0_18inequality_wrapperIZN2at6native12_GLOBAL__N_124unique_dim_cuda_templateImEESt5tupleIJNSF_6TensorESK_SK_EERKSK_lbbbEUlllE0_EEPmJS9_EEE10hipError_tPvRmT3_T4_T5_T6_T7_T9_mT8_P12ihipStream_tbDpT10_ENKUlT_T0_E_clISt17integral_constantIbLb0EES19_IbLb1EEEEDaS15_S16_EUlS15_E_NS1_11comp_targetILNS1_3genE3ELNS1_11target_archE908ELNS1_3gpuE7ELNS1_3repE0EEENS1_30default_config_static_selectorELNS0_4arch9wavefront6targetE0EEEvT1_,"axG",@progbits,_ZN7rocprim17ROCPRIM_400000_NS6detail17trampoline_kernelINS0_14default_configENS1_25partition_config_selectorILNS1_17partition_subalgoE9EllbEEZZNS1_14partition_implILS5_9ELb0ES3_jPlS8_PNS0_10empty_typeENS0_5tupleIJS8_S9_EEENSB_IJS8_SA_EEENS0_18inequality_wrapperIZN2at6native12_GLOBAL__N_124unique_dim_cuda_templateImEESt5tupleIJNSF_6TensorESK_SK_EERKSK_lbbbEUlllE0_EEPmJS9_EEE10hipError_tPvRmT3_T4_T5_T6_T7_T9_mT8_P12ihipStream_tbDpT10_ENKUlT_T0_E_clISt17integral_constantIbLb0EES19_IbLb1EEEEDaS15_S16_EUlS15_E_NS1_11comp_targetILNS1_3genE3ELNS1_11target_archE908ELNS1_3gpuE7ELNS1_3repE0EEENS1_30default_config_static_selectorELNS0_4arch9wavefront6targetE0EEEvT1_,comdat
	.globl	_ZN7rocprim17ROCPRIM_400000_NS6detail17trampoline_kernelINS0_14default_configENS1_25partition_config_selectorILNS1_17partition_subalgoE9EllbEEZZNS1_14partition_implILS5_9ELb0ES3_jPlS8_PNS0_10empty_typeENS0_5tupleIJS8_S9_EEENSB_IJS8_SA_EEENS0_18inequality_wrapperIZN2at6native12_GLOBAL__N_124unique_dim_cuda_templateImEESt5tupleIJNSF_6TensorESK_SK_EERKSK_lbbbEUlllE0_EEPmJS9_EEE10hipError_tPvRmT3_T4_T5_T6_T7_T9_mT8_P12ihipStream_tbDpT10_ENKUlT_T0_E_clISt17integral_constantIbLb0EES19_IbLb1EEEEDaS15_S16_EUlS15_E_NS1_11comp_targetILNS1_3genE3ELNS1_11target_archE908ELNS1_3gpuE7ELNS1_3repE0EEENS1_30default_config_static_selectorELNS0_4arch9wavefront6targetE0EEEvT1_ ; -- Begin function _ZN7rocprim17ROCPRIM_400000_NS6detail17trampoline_kernelINS0_14default_configENS1_25partition_config_selectorILNS1_17partition_subalgoE9EllbEEZZNS1_14partition_implILS5_9ELb0ES3_jPlS8_PNS0_10empty_typeENS0_5tupleIJS8_S9_EEENSB_IJS8_SA_EEENS0_18inequality_wrapperIZN2at6native12_GLOBAL__N_124unique_dim_cuda_templateImEESt5tupleIJNSF_6TensorESK_SK_EERKSK_lbbbEUlllE0_EEPmJS9_EEE10hipError_tPvRmT3_T4_T5_T6_T7_T9_mT8_P12ihipStream_tbDpT10_ENKUlT_T0_E_clISt17integral_constantIbLb0EES19_IbLb1EEEEDaS15_S16_EUlS15_E_NS1_11comp_targetILNS1_3genE3ELNS1_11target_archE908ELNS1_3gpuE7ELNS1_3repE0EEENS1_30default_config_static_selectorELNS0_4arch9wavefront6targetE0EEEvT1_
	.p2align	8
	.type	_ZN7rocprim17ROCPRIM_400000_NS6detail17trampoline_kernelINS0_14default_configENS1_25partition_config_selectorILNS1_17partition_subalgoE9EllbEEZZNS1_14partition_implILS5_9ELb0ES3_jPlS8_PNS0_10empty_typeENS0_5tupleIJS8_S9_EEENSB_IJS8_SA_EEENS0_18inequality_wrapperIZN2at6native12_GLOBAL__N_124unique_dim_cuda_templateImEESt5tupleIJNSF_6TensorESK_SK_EERKSK_lbbbEUlllE0_EEPmJS9_EEE10hipError_tPvRmT3_T4_T5_T6_T7_T9_mT8_P12ihipStream_tbDpT10_ENKUlT_T0_E_clISt17integral_constantIbLb0EES19_IbLb1EEEEDaS15_S16_EUlS15_E_NS1_11comp_targetILNS1_3genE3ELNS1_11target_archE908ELNS1_3gpuE7ELNS1_3repE0EEENS1_30default_config_static_selectorELNS0_4arch9wavefront6targetE0EEEvT1_,@function
_ZN7rocprim17ROCPRIM_400000_NS6detail17trampoline_kernelINS0_14default_configENS1_25partition_config_selectorILNS1_17partition_subalgoE9EllbEEZZNS1_14partition_implILS5_9ELb0ES3_jPlS8_PNS0_10empty_typeENS0_5tupleIJS8_S9_EEENSB_IJS8_SA_EEENS0_18inequality_wrapperIZN2at6native12_GLOBAL__N_124unique_dim_cuda_templateImEESt5tupleIJNSF_6TensorESK_SK_EERKSK_lbbbEUlllE0_EEPmJS9_EEE10hipError_tPvRmT3_T4_T5_T6_T7_T9_mT8_P12ihipStream_tbDpT10_ENKUlT_T0_E_clISt17integral_constantIbLb0EES19_IbLb1EEEEDaS15_S16_EUlS15_E_NS1_11comp_targetILNS1_3genE3ELNS1_11target_archE908ELNS1_3gpuE7ELNS1_3repE0EEENS1_30default_config_static_selectorELNS0_4arch9wavefront6targetE0EEEvT1_: ; @_ZN7rocprim17ROCPRIM_400000_NS6detail17trampoline_kernelINS0_14default_configENS1_25partition_config_selectorILNS1_17partition_subalgoE9EllbEEZZNS1_14partition_implILS5_9ELb0ES3_jPlS8_PNS0_10empty_typeENS0_5tupleIJS8_S9_EEENSB_IJS8_SA_EEENS0_18inequality_wrapperIZN2at6native12_GLOBAL__N_124unique_dim_cuda_templateImEESt5tupleIJNSF_6TensorESK_SK_EERKSK_lbbbEUlllE0_EEPmJS9_EEE10hipError_tPvRmT3_T4_T5_T6_T7_T9_mT8_P12ihipStream_tbDpT10_ENKUlT_T0_E_clISt17integral_constantIbLb0EES19_IbLb1EEEEDaS15_S16_EUlS15_E_NS1_11comp_targetILNS1_3genE3ELNS1_11target_archE908ELNS1_3gpuE7ELNS1_3repE0EEENS1_30default_config_static_selectorELNS0_4arch9wavefront6targetE0EEEvT1_
; %bb.0:
	.section	.rodata,"a",@progbits
	.p2align	6, 0x0
	.amdhsa_kernel _ZN7rocprim17ROCPRIM_400000_NS6detail17trampoline_kernelINS0_14default_configENS1_25partition_config_selectorILNS1_17partition_subalgoE9EllbEEZZNS1_14partition_implILS5_9ELb0ES3_jPlS8_PNS0_10empty_typeENS0_5tupleIJS8_S9_EEENSB_IJS8_SA_EEENS0_18inequality_wrapperIZN2at6native12_GLOBAL__N_124unique_dim_cuda_templateImEESt5tupleIJNSF_6TensorESK_SK_EERKSK_lbbbEUlllE0_EEPmJS9_EEE10hipError_tPvRmT3_T4_T5_T6_T7_T9_mT8_P12ihipStream_tbDpT10_ENKUlT_T0_E_clISt17integral_constantIbLb0EES19_IbLb1EEEEDaS15_S16_EUlS15_E_NS1_11comp_targetILNS1_3genE3ELNS1_11target_archE908ELNS1_3gpuE7ELNS1_3repE0EEENS1_30default_config_static_selectorELNS0_4arch9wavefront6targetE0EEEvT1_
		.amdhsa_group_segment_fixed_size 0
		.amdhsa_private_segment_fixed_size 0
		.amdhsa_kernarg_size 136
		.amdhsa_user_sgpr_count 2
		.amdhsa_user_sgpr_dispatch_ptr 0
		.amdhsa_user_sgpr_queue_ptr 0
		.amdhsa_user_sgpr_kernarg_segment_ptr 1
		.amdhsa_user_sgpr_dispatch_id 0
		.amdhsa_user_sgpr_kernarg_preload_length 0
		.amdhsa_user_sgpr_kernarg_preload_offset 0
		.amdhsa_user_sgpr_private_segment_size 0
		.amdhsa_wavefront_size32 1
		.amdhsa_uses_dynamic_stack 0
		.amdhsa_enable_private_segment 0
		.amdhsa_system_sgpr_workgroup_id_x 1
		.amdhsa_system_sgpr_workgroup_id_y 0
		.amdhsa_system_sgpr_workgroup_id_z 0
		.amdhsa_system_sgpr_workgroup_info 0
		.amdhsa_system_vgpr_workitem_id 0
		.amdhsa_next_free_vgpr 1
		.amdhsa_next_free_sgpr 1
		.amdhsa_named_barrier_count 0
		.amdhsa_reserve_vcc 0
		.amdhsa_float_round_mode_32 0
		.amdhsa_float_round_mode_16_64 0
		.amdhsa_float_denorm_mode_32 3
		.amdhsa_float_denorm_mode_16_64 3
		.amdhsa_fp16_overflow 0
		.amdhsa_memory_ordered 1
		.amdhsa_forward_progress 1
		.amdhsa_inst_pref_size 0
		.amdhsa_round_robin_scheduling 0
		.amdhsa_exception_fp_ieee_invalid_op 0
		.amdhsa_exception_fp_denorm_src 0
		.amdhsa_exception_fp_ieee_div_zero 0
		.amdhsa_exception_fp_ieee_overflow 0
		.amdhsa_exception_fp_ieee_underflow 0
		.amdhsa_exception_fp_ieee_inexact 0
		.amdhsa_exception_int_div_zero 0
	.end_amdhsa_kernel
	.section	.text._ZN7rocprim17ROCPRIM_400000_NS6detail17trampoline_kernelINS0_14default_configENS1_25partition_config_selectorILNS1_17partition_subalgoE9EllbEEZZNS1_14partition_implILS5_9ELb0ES3_jPlS8_PNS0_10empty_typeENS0_5tupleIJS8_S9_EEENSB_IJS8_SA_EEENS0_18inequality_wrapperIZN2at6native12_GLOBAL__N_124unique_dim_cuda_templateImEESt5tupleIJNSF_6TensorESK_SK_EERKSK_lbbbEUlllE0_EEPmJS9_EEE10hipError_tPvRmT3_T4_T5_T6_T7_T9_mT8_P12ihipStream_tbDpT10_ENKUlT_T0_E_clISt17integral_constantIbLb0EES19_IbLb1EEEEDaS15_S16_EUlS15_E_NS1_11comp_targetILNS1_3genE3ELNS1_11target_archE908ELNS1_3gpuE7ELNS1_3repE0EEENS1_30default_config_static_selectorELNS0_4arch9wavefront6targetE0EEEvT1_,"axG",@progbits,_ZN7rocprim17ROCPRIM_400000_NS6detail17trampoline_kernelINS0_14default_configENS1_25partition_config_selectorILNS1_17partition_subalgoE9EllbEEZZNS1_14partition_implILS5_9ELb0ES3_jPlS8_PNS0_10empty_typeENS0_5tupleIJS8_S9_EEENSB_IJS8_SA_EEENS0_18inequality_wrapperIZN2at6native12_GLOBAL__N_124unique_dim_cuda_templateImEESt5tupleIJNSF_6TensorESK_SK_EERKSK_lbbbEUlllE0_EEPmJS9_EEE10hipError_tPvRmT3_T4_T5_T6_T7_T9_mT8_P12ihipStream_tbDpT10_ENKUlT_T0_E_clISt17integral_constantIbLb0EES19_IbLb1EEEEDaS15_S16_EUlS15_E_NS1_11comp_targetILNS1_3genE3ELNS1_11target_archE908ELNS1_3gpuE7ELNS1_3repE0EEENS1_30default_config_static_selectorELNS0_4arch9wavefront6targetE0EEEvT1_,comdat
.Lfunc_end1722:
	.size	_ZN7rocprim17ROCPRIM_400000_NS6detail17trampoline_kernelINS0_14default_configENS1_25partition_config_selectorILNS1_17partition_subalgoE9EllbEEZZNS1_14partition_implILS5_9ELb0ES3_jPlS8_PNS0_10empty_typeENS0_5tupleIJS8_S9_EEENSB_IJS8_SA_EEENS0_18inequality_wrapperIZN2at6native12_GLOBAL__N_124unique_dim_cuda_templateImEESt5tupleIJNSF_6TensorESK_SK_EERKSK_lbbbEUlllE0_EEPmJS9_EEE10hipError_tPvRmT3_T4_T5_T6_T7_T9_mT8_P12ihipStream_tbDpT10_ENKUlT_T0_E_clISt17integral_constantIbLb0EES19_IbLb1EEEEDaS15_S16_EUlS15_E_NS1_11comp_targetILNS1_3genE3ELNS1_11target_archE908ELNS1_3gpuE7ELNS1_3repE0EEENS1_30default_config_static_selectorELNS0_4arch9wavefront6targetE0EEEvT1_, .Lfunc_end1722-_ZN7rocprim17ROCPRIM_400000_NS6detail17trampoline_kernelINS0_14default_configENS1_25partition_config_selectorILNS1_17partition_subalgoE9EllbEEZZNS1_14partition_implILS5_9ELb0ES3_jPlS8_PNS0_10empty_typeENS0_5tupleIJS8_S9_EEENSB_IJS8_SA_EEENS0_18inequality_wrapperIZN2at6native12_GLOBAL__N_124unique_dim_cuda_templateImEESt5tupleIJNSF_6TensorESK_SK_EERKSK_lbbbEUlllE0_EEPmJS9_EEE10hipError_tPvRmT3_T4_T5_T6_T7_T9_mT8_P12ihipStream_tbDpT10_ENKUlT_T0_E_clISt17integral_constantIbLb0EES19_IbLb1EEEEDaS15_S16_EUlS15_E_NS1_11comp_targetILNS1_3genE3ELNS1_11target_archE908ELNS1_3gpuE7ELNS1_3repE0EEENS1_30default_config_static_selectorELNS0_4arch9wavefront6targetE0EEEvT1_
                                        ; -- End function
	.set _ZN7rocprim17ROCPRIM_400000_NS6detail17trampoline_kernelINS0_14default_configENS1_25partition_config_selectorILNS1_17partition_subalgoE9EllbEEZZNS1_14partition_implILS5_9ELb0ES3_jPlS8_PNS0_10empty_typeENS0_5tupleIJS8_S9_EEENSB_IJS8_SA_EEENS0_18inequality_wrapperIZN2at6native12_GLOBAL__N_124unique_dim_cuda_templateImEESt5tupleIJNSF_6TensorESK_SK_EERKSK_lbbbEUlllE0_EEPmJS9_EEE10hipError_tPvRmT3_T4_T5_T6_T7_T9_mT8_P12ihipStream_tbDpT10_ENKUlT_T0_E_clISt17integral_constantIbLb0EES19_IbLb1EEEEDaS15_S16_EUlS15_E_NS1_11comp_targetILNS1_3genE3ELNS1_11target_archE908ELNS1_3gpuE7ELNS1_3repE0EEENS1_30default_config_static_selectorELNS0_4arch9wavefront6targetE0EEEvT1_.num_vgpr, 0
	.set _ZN7rocprim17ROCPRIM_400000_NS6detail17trampoline_kernelINS0_14default_configENS1_25partition_config_selectorILNS1_17partition_subalgoE9EllbEEZZNS1_14partition_implILS5_9ELb0ES3_jPlS8_PNS0_10empty_typeENS0_5tupleIJS8_S9_EEENSB_IJS8_SA_EEENS0_18inequality_wrapperIZN2at6native12_GLOBAL__N_124unique_dim_cuda_templateImEESt5tupleIJNSF_6TensorESK_SK_EERKSK_lbbbEUlllE0_EEPmJS9_EEE10hipError_tPvRmT3_T4_T5_T6_T7_T9_mT8_P12ihipStream_tbDpT10_ENKUlT_T0_E_clISt17integral_constantIbLb0EES19_IbLb1EEEEDaS15_S16_EUlS15_E_NS1_11comp_targetILNS1_3genE3ELNS1_11target_archE908ELNS1_3gpuE7ELNS1_3repE0EEENS1_30default_config_static_selectorELNS0_4arch9wavefront6targetE0EEEvT1_.num_agpr, 0
	.set _ZN7rocprim17ROCPRIM_400000_NS6detail17trampoline_kernelINS0_14default_configENS1_25partition_config_selectorILNS1_17partition_subalgoE9EllbEEZZNS1_14partition_implILS5_9ELb0ES3_jPlS8_PNS0_10empty_typeENS0_5tupleIJS8_S9_EEENSB_IJS8_SA_EEENS0_18inequality_wrapperIZN2at6native12_GLOBAL__N_124unique_dim_cuda_templateImEESt5tupleIJNSF_6TensorESK_SK_EERKSK_lbbbEUlllE0_EEPmJS9_EEE10hipError_tPvRmT3_T4_T5_T6_T7_T9_mT8_P12ihipStream_tbDpT10_ENKUlT_T0_E_clISt17integral_constantIbLb0EES19_IbLb1EEEEDaS15_S16_EUlS15_E_NS1_11comp_targetILNS1_3genE3ELNS1_11target_archE908ELNS1_3gpuE7ELNS1_3repE0EEENS1_30default_config_static_selectorELNS0_4arch9wavefront6targetE0EEEvT1_.numbered_sgpr, 0
	.set _ZN7rocprim17ROCPRIM_400000_NS6detail17trampoline_kernelINS0_14default_configENS1_25partition_config_selectorILNS1_17partition_subalgoE9EllbEEZZNS1_14partition_implILS5_9ELb0ES3_jPlS8_PNS0_10empty_typeENS0_5tupleIJS8_S9_EEENSB_IJS8_SA_EEENS0_18inequality_wrapperIZN2at6native12_GLOBAL__N_124unique_dim_cuda_templateImEESt5tupleIJNSF_6TensorESK_SK_EERKSK_lbbbEUlllE0_EEPmJS9_EEE10hipError_tPvRmT3_T4_T5_T6_T7_T9_mT8_P12ihipStream_tbDpT10_ENKUlT_T0_E_clISt17integral_constantIbLb0EES19_IbLb1EEEEDaS15_S16_EUlS15_E_NS1_11comp_targetILNS1_3genE3ELNS1_11target_archE908ELNS1_3gpuE7ELNS1_3repE0EEENS1_30default_config_static_selectorELNS0_4arch9wavefront6targetE0EEEvT1_.num_named_barrier, 0
	.set _ZN7rocprim17ROCPRIM_400000_NS6detail17trampoline_kernelINS0_14default_configENS1_25partition_config_selectorILNS1_17partition_subalgoE9EllbEEZZNS1_14partition_implILS5_9ELb0ES3_jPlS8_PNS0_10empty_typeENS0_5tupleIJS8_S9_EEENSB_IJS8_SA_EEENS0_18inequality_wrapperIZN2at6native12_GLOBAL__N_124unique_dim_cuda_templateImEESt5tupleIJNSF_6TensorESK_SK_EERKSK_lbbbEUlllE0_EEPmJS9_EEE10hipError_tPvRmT3_T4_T5_T6_T7_T9_mT8_P12ihipStream_tbDpT10_ENKUlT_T0_E_clISt17integral_constantIbLb0EES19_IbLb1EEEEDaS15_S16_EUlS15_E_NS1_11comp_targetILNS1_3genE3ELNS1_11target_archE908ELNS1_3gpuE7ELNS1_3repE0EEENS1_30default_config_static_selectorELNS0_4arch9wavefront6targetE0EEEvT1_.private_seg_size, 0
	.set _ZN7rocprim17ROCPRIM_400000_NS6detail17trampoline_kernelINS0_14default_configENS1_25partition_config_selectorILNS1_17partition_subalgoE9EllbEEZZNS1_14partition_implILS5_9ELb0ES3_jPlS8_PNS0_10empty_typeENS0_5tupleIJS8_S9_EEENSB_IJS8_SA_EEENS0_18inequality_wrapperIZN2at6native12_GLOBAL__N_124unique_dim_cuda_templateImEESt5tupleIJNSF_6TensorESK_SK_EERKSK_lbbbEUlllE0_EEPmJS9_EEE10hipError_tPvRmT3_T4_T5_T6_T7_T9_mT8_P12ihipStream_tbDpT10_ENKUlT_T0_E_clISt17integral_constantIbLb0EES19_IbLb1EEEEDaS15_S16_EUlS15_E_NS1_11comp_targetILNS1_3genE3ELNS1_11target_archE908ELNS1_3gpuE7ELNS1_3repE0EEENS1_30default_config_static_selectorELNS0_4arch9wavefront6targetE0EEEvT1_.uses_vcc, 0
	.set _ZN7rocprim17ROCPRIM_400000_NS6detail17trampoline_kernelINS0_14default_configENS1_25partition_config_selectorILNS1_17partition_subalgoE9EllbEEZZNS1_14partition_implILS5_9ELb0ES3_jPlS8_PNS0_10empty_typeENS0_5tupleIJS8_S9_EEENSB_IJS8_SA_EEENS0_18inequality_wrapperIZN2at6native12_GLOBAL__N_124unique_dim_cuda_templateImEESt5tupleIJNSF_6TensorESK_SK_EERKSK_lbbbEUlllE0_EEPmJS9_EEE10hipError_tPvRmT3_T4_T5_T6_T7_T9_mT8_P12ihipStream_tbDpT10_ENKUlT_T0_E_clISt17integral_constantIbLb0EES19_IbLb1EEEEDaS15_S16_EUlS15_E_NS1_11comp_targetILNS1_3genE3ELNS1_11target_archE908ELNS1_3gpuE7ELNS1_3repE0EEENS1_30default_config_static_selectorELNS0_4arch9wavefront6targetE0EEEvT1_.uses_flat_scratch, 0
	.set _ZN7rocprim17ROCPRIM_400000_NS6detail17trampoline_kernelINS0_14default_configENS1_25partition_config_selectorILNS1_17partition_subalgoE9EllbEEZZNS1_14partition_implILS5_9ELb0ES3_jPlS8_PNS0_10empty_typeENS0_5tupleIJS8_S9_EEENSB_IJS8_SA_EEENS0_18inequality_wrapperIZN2at6native12_GLOBAL__N_124unique_dim_cuda_templateImEESt5tupleIJNSF_6TensorESK_SK_EERKSK_lbbbEUlllE0_EEPmJS9_EEE10hipError_tPvRmT3_T4_T5_T6_T7_T9_mT8_P12ihipStream_tbDpT10_ENKUlT_T0_E_clISt17integral_constantIbLb0EES19_IbLb1EEEEDaS15_S16_EUlS15_E_NS1_11comp_targetILNS1_3genE3ELNS1_11target_archE908ELNS1_3gpuE7ELNS1_3repE0EEENS1_30default_config_static_selectorELNS0_4arch9wavefront6targetE0EEEvT1_.has_dyn_sized_stack, 0
	.set _ZN7rocprim17ROCPRIM_400000_NS6detail17trampoline_kernelINS0_14default_configENS1_25partition_config_selectorILNS1_17partition_subalgoE9EllbEEZZNS1_14partition_implILS5_9ELb0ES3_jPlS8_PNS0_10empty_typeENS0_5tupleIJS8_S9_EEENSB_IJS8_SA_EEENS0_18inequality_wrapperIZN2at6native12_GLOBAL__N_124unique_dim_cuda_templateImEESt5tupleIJNSF_6TensorESK_SK_EERKSK_lbbbEUlllE0_EEPmJS9_EEE10hipError_tPvRmT3_T4_T5_T6_T7_T9_mT8_P12ihipStream_tbDpT10_ENKUlT_T0_E_clISt17integral_constantIbLb0EES19_IbLb1EEEEDaS15_S16_EUlS15_E_NS1_11comp_targetILNS1_3genE3ELNS1_11target_archE908ELNS1_3gpuE7ELNS1_3repE0EEENS1_30default_config_static_selectorELNS0_4arch9wavefront6targetE0EEEvT1_.has_recursion, 0
	.set _ZN7rocprim17ROCPRIM_400000_NS6detail17trampoline_kernelINS0_14default_configENS1_25partition_config_selectorILNS1_17partition_subalgoE9EllbEEZZNS1_14partition_implILS5_9ELb0ES3_jPlS8_PNS0_10empty_typeENS0_5tupleIJS8_S9_EEENSB_IJS8_SA_EEENS0_18inequality_wrapperIZN2at6native12_GLOBAL__N_124unique_dim_cuda_templateImEESt5tupleIJNSF_6TensorESK_SK_EERKSK_lbbbEUlllE0_EEPmJS9_EEE10hipError_tPvRmT3_T4_T5_T6_T7_T9_mT8_P12ihipStream_tbDpT10_ENKUlT_T0_E_clISt17integral_constantIbLb0EES19_IbLb1EEEEDaS15_S16_EUlS15_E_NS1_11comp_targetILNS1_3genE3ELNS1_11target_archE908ELNS1_3gpuE7ELNS1_3repE0EEENS1_30default_config_static_selectorELNS0_4arch9wavefront6targetE0EEEvT1_.has_indirect_call, 0
	.section	.AMDGPU.csdata,"",@progbits
; Kernel info:
; codeLenInByte = 0
; TotalNumSgprs: 0
; NumVgprs: 0
; ScratchSize: 0
; MemoryBound: 0
; FloatMode: 240
; IeeeMode: 1
; LDSByteSize: 0 bytes/workgroup (compile time only)
; SGPRBlocks: 0
; VGPRBlocks: 0
; NumSGPRsForWavesPerEU: 1
; NumVGPRsForWavesPerEU: 1
; NamedBarCnt: 0
; Occupancy: 16
; WaveLimiterHint : 0
; COMPUTE_PGM_RSRC2:SCRATCH_EN: 0
; COMPUTE_PGM_RSRC2:USER_SGPR: 2
; COMPUTE_PGM_RSRC2:TRAP_HANDLER: 0
; COMPUTE_PGM_RSRC2:TGID_X_EN: 1
; COMPUTE_PGM_RSRC2:TGID_Y_EN: 0
; COMPUTE_PGM_RSRC2:TGID_Z_EN: 0
; COMPUTE_PGM_RSRC2:TIDIG_COMP_CNT: 0
	.section	.text._ZN7rocprim17ROCPRIM_400000_NS6detail17trampoline_kernelINS0_14default_configENS1_25partition_config_selectorILNS1_17partition_subalgoE9EllbEEZZNS1_14partition_implILS5_9ELb0ES3_jPlS8_PNS0_10empty_typeENS0_5tupleIJS8_S9_EEENSB_IJS8_SA_EEENS0_18inequality_wrapperIZN2at6native12_GLOBAL__N_124unique_dim_cuda_templateImEESt5tupleIJNSF_6TensorESK_SK_EERKSK_lbbbEUlllE0_EEPmJS9_EEE10hipError_tPvRmT3_T4_T5_T6_T7_T9_mT8_P12ihipStream_tbDpT10_ENKUlT_T0_E_clISt17integral_constantIbLb0EES19_IbLb1EEEEDaS15_S16_EUlS15_E_NS1_11comp_targetILNS1_3genE2ELNS1_11target_archE906ELNS1_3gpuE6ELNS1_3repE0EEENS1_30default_config_static_selectorELNS0_4arch9wavefront6targetE0EEEvT1_,"axG",@progbits,_ZN7rocprim17ROCPRIM_400000_NS6detail17trampoline_kernelINS0_14default_configENS1_25partition_config_selectorILNS1_17partition_subalgoE9EllbEEZZNS1_14partition_implILS5_9ELb0ES3_jPlS8_PNS0_10empty_typeENS0_5tupleIJS8_S9_EEENSB_IJS8_SA_EEENS0_18inequality_wrapperIZN2at6native12_GLOBAL__N_124unique_dim_cuda_templateImEESt5tupleIJNSF_6TensorESK_SK_EERKSK_lbbbEUlllE0_EEPmJS9_EEE10hipError_tPvRmT3_T4_T5_T6_T7_T9_mT8_P12ihipStream_tbDpT10_ENKUlT_T0_E_clISt17integral_constantIbLb0EES19_IbLb1EEEEDaS15_S16_EUlS15_E_NS1_11comp_targetILNS1_3genE2ELNS1_11target_archE906ELNS1_3gpuE6ELNS1_3repE0EEENS1_30default_config_static_selectorELNS0_4arch9wavefront6targetE0EEEvT1_,comdat
	.globl	_ZN7rocprim17ROCPRIM_400000_NS6detail17trampoline_kernelINS0_14default_configENS1_25partition_config_selectorILNS1_17partition_subalgoE9EllbEEZZNS1_14partition_implILS5_9ELb0ES3_jPlS8_PNS0_10empty_typeENS0_5tupleIJS8_S9_EEENSB_IJS8_SA_EEENS0_18inequality_wrapperIZN2at6native12_GLOBAL__N_124unique_dim_cuda_templateImEESt5tupleIJNSF_6TensorESK_SK_EERKSK_lbbbEUlllE0_EEPmJS9_EEE10hipError_tPvRmT3_T4_T5_T6_T7_T9_mT8_P12ihipStream_tbDpT10_ENKUlT_T0_E_clISt17integral_constantIbLb0EES19_IbLb1EEEEDaS15_S16_EUlS15_E_NS1_11comp_targetILNS1_3genE2ELNS1_11target_archE906ELNS1_3gpuE6ELNS1_3repE0EEENS1_30default_config_static_selectorELNS0_4arch9wavefront6targetE0EEEvT1_ ; -- Begin function _ZN7rocprim17ROCPRIM_400000_NS6detail17trampoline_kernelINS0_14default_configENS1_25partition_config_selectorILNS1_17partition_subalgoE9EllbEEZZNS1_14partition_implILS5_9ELb0ES3_jPlS8_PNS0_10empty_typeENS0_5tupleIJS8_S9_EEENSB_IJS8_SA_EEENS0_18inequality_wrapperIZN2at6native12_GLOBAL__N_124unique_dim_cuda_templateImEESt5tupleIJNSF_6TensorESK_SK_EERKSK_lbbbEUlllE0_EEPmJS9_EEE10hipError_tPvRmT3_T4_T5_T6_T7_T9_mT8_P12ihipStream_tbDpT10_ENKUlT_T0_E_clISt17integral_constantIbLb0EES19_IbLb1EEEEDaS15_S16_EUlS15_E_NS1_11comp_targetILNS1_3genE2ELNS1_11target_archE906ELNS1_3gpuE6ELNS1_3repE0EEENS1_30default_config_static_selectorELNS0_4arch9wavefront6targetE0EEEvT1_
	.p2align	8
	.type	_ZN7rocprim17ROCPRIM_400000_NS6detail17trampoline_kernelINS0_14default_configENS1_25partition_config_selectorILNS1_17partition_subalgoE9EllbEEZZNS1_14partition_implILS5_9ELb0ES3_jPlS8_PNS0_10empty_typeENS0_5tupleIJS8_S9_EEENSB_IJS8_SA_EEENS0_18inequality_wrapperIZN2at6native12_GLOBAL__N_124unique_dim_cuda_templateImEESt5tupleIJNSF_6TensorESK_SK_EERKSK_lbbbEUlllE0_EEPmJS9_EEE10hipError_tPvRmT3_T4_T5_T6_T7_T9_mT8_P12ihipStream_tbDpT10_ENKUlT_T0_E_clISt17integral_constantIbLb0EES19_IbLb1EEEEDaS15_S16_EUlS15_E_NS1_11comp_targetILNS1_3genE2ELNS1_11target_archE906ELNS1_3gpuE6ELNS1_3repE0EEENS1_30default_config_static_selectorELNS0_4arch9wavefront6targetE0EEEvT1_,@function
_ZN7rocprim17ROCPRIM_400000_NS6detail17trampoline_kernelINS0_14default_configENS1_25partition_config_selectorILNS1_17partition_subalgoE9EllbEEZZNS1_14partition_implILS5_9ELb0ES3_jPlS8_PNS0_10empty_typeENS0_5tupleIJS8_S9_EEENSB_IJS8_SA_EEENS0_18inequality_wrapperIZN2at6native12_GLOBAL__N_124unique_dim_cuda_templateImEESt5tupleIJNSF_6TensorESK_SK_EERKSK_lbbbEUlllE0_EEPmJS9_EEE10hipError_tPvRmT3_T4_T5_T6_T7_T9_mT8_P12ihipStream_tbDpT10_ENKUlT_T0_E_clISt17integral_constantIbLb0EES19_IbLb1EEEEDaS15_S16_EUlS15_E_NS1_11comp_targetILNS1_3genE2ELNS1_11target_archE906ELNS1_3gpuE6ELNS1_3repE0EEENS1_30default_config_static_selectorELNS0_4arch9wavefront6targetE0EEEvT1_: ; @_ZN7rocprim17ROCPRIM_400000_NS6detail17trampoline_kernelINS0_14default_configENS1_25partition_config_selectorILNS1_17partition_subalgoE9EllbEEZZNS1_14partition_implILS5_9ELb0ES3_jPlS8_PNS0_10empty_typeENS0_5tupleIJS8_S9_EEENSB_IJS8_SA_EEENS0_18inequality_wrapperIZN2at6native12_GLOBAL__N_124unique_dim_cuda_templateImEESt5tupleIJNSF_6TensorESK_SK_EERKSK_lbbbEUlllE0_EEPmJS9_EEE10hipError_tPvRmT3_T4_T5_T6_T7_T9_mT8_P12ihipStream_tbDpT10_ENKUlT_T0_E_clISt17integral_constantIbLb0EES19_IbLb1EEEEDaS15_S16_EUlS15_E_NS1_11comp_targetILNS1_3genE2ELNS1_11target_archE906ELNS1_3gpuE6ELNS1_3repE0EEENS1_30default_config_static_selectorELNS0_4arch9wavefront6targetE0EEEvT1_
; %bb.0:
	.section	.rodata,"a",@progbits
	.p2align	6, 0x0
	.amdhsa_kernel _ZN7rocprim17ROCPRIM_400000_NS6detail17trampoline_kernelINS0_14default_configENS1_25partition_config_selectorILNS1_17partition_subalgoE9EllbEEZZNS1_14partition_implILS5_9ELb0ES3_jPlS8_PNS0_10empty_typeENS0_5tupleIJS8_S9_EEENSB_IJS8_SA_EEENS0_18inequality_wrapperIZN2at6native12_GLOBAL__N_124unique_dim_cuda_templateImEESt5tupleIJNSF_6TensorESK_SK_EERKSK_lbbbEUlllE0_EEPmJS9_EEE10hipError_tPvRmT3_T4_T5_T6_T7_T9_mT8_P12ihipStream_tbDpT10_ENKUlT_T0_E_clISt17integral_constantIbLb0EES19_IbLb1EEEEDaS15_S16_EUlS15_E_NS1_11comp_targetILNS1_3genE2ELNS1_11target_archE906ELNS1_3gpuE6ELNS1_3repE0EEENS1_30default_config_static_selectorELNS0_4arch9wavefront6targetE0EEEvT1_
		.amdhsa_group_segment_fixed_size 0
		.amdhsa_private_segment_fixed_size 0
		.amdhsa_kernarg_size 136
		.amdhsa_user_sgpr_count 2
		.amdhsa_user_sgpr_dispatch_ptr 0
		.amdhsa_user_sgpr_queue_ptr 0
		.amdhsa_user_sgpr_kernarg_segment_ptr 1
		.amdhsa_user_sgpr_dispatch_id 0
		.amdhsa_user_sgpr_kernarg_preload_length 0
		.amdhsa_user_sgpr_kernarg_preload_offset 0
		.amdhsa_user_sgpr_private_segment_size 0
		.amdhsa_wavefront_size32 1
		.amdhsa_uses_dynamic_stack 0
		.amdhsa_enable_private_segment 0
		.amdhsa_system_sgpr_workgroup_id_x 1
		.amdhsa_system_sgpr_workgroup_id_y 0
		.amdhsa_system_sgpr_workgroup_id_z 0
		.amdhsa_system_sgpr_workgroup_info 0
		.amdhsa_system_vgpr_workitem_id 0
		.amdhsa_next_free_vgpr 1
		.amdhsa_next_free_sgpr 1
		.amdhsa_named_barrier_count 0
		.amdhsa_reserve_vcc 0
		.amdhsa_float_round_mode_32 0
		.amdhsa_float_round_mode_16_64 0
		.amdhsa_float_denorm_mode_32 3
		.amdhsa_float_denorm_mode_16_64 3
		.amdhsa_fp16_overflow 0
		.amdhsa_memory_ordered 1
		.amdhsa_forward_progress 1
		.amdhsa_inst_pref_size 0
		.amdhsa_round_robin_scheduling 0
		.amdhsa_exception_fp_ieee_invalid_op 0
		.amdhsa_exception_fp_denorm_src 0
		.amdhsa_exception_fp_ieee_div_zero 0
		.amdhsa_exception_fp_ieee_overflow 0
		.amdhsa_exception_fp_ieee_underflow 0
		.amdhsa_exception_fp_ieee_inexact 0
		.amdhsa_exception_int_div_zero 0
	.end_amdhsa_kernel
	.section	.text._ZN7rocprim17ROCPRIM_400000_NS6detail17trampoline_kernelINS0_14default_configENS1_25partition_config_selectorILNS1_17partition_subalgoE9EllbEEZZNS1_14partition_implILS5_9ELb0ES3_jPlS8_PNS0_10empty_typeENS0_5tupleIJS8_S9_EEENSB_IJS8_SA_EEENS0_18inequality_wrapperIZN2at6native12_GLOBAL__N_124unique_dim_cuda_templateImEESt5tupleIJNSF_6TensorESK_SK_EERKSK_lbbbEUlllE0_EEPmJS9_EEE10hipError_tPvRmT3_T4_T5_T6_T7_T9_mT8_P12ihipStream_tbDpT10_ENKUlT_T0_E_clISt17integral_constantIbLb0EES19_IbLb1EEEEDaS15_S16_EUlS15_E_NS1_11comp_targetILNS1_3genE2ELNS1_11target_archE906ELNS1_3gpuE6ELNS1_3repE0EEENS1_30default_config_static_selectorELNS0_4arch9wavefront6targetE0EEEvT1_,"axG",@progbits,_ZN7rocprim17ROCPRIM_400000_NS6detail17trampoline_kernelINS0_14default_configENS1_25partition_config_selectorILNS1_17partition_subalgoE9EllbEEZZNS1_14partition_implILS5_9ELb0ES3_jPlS8_PNS0_10empty_typeENS0_5tupleIJS8_S9_EEENSB_IJS8_SA_EEENS0_18inequality_wrapperIZN2at6native12_GLOBAL__N_124unique_dim_cuda_templateImEESt5tupleIJNSF_6TensorESK_SK_EERKSK_lbbbEUlllE0_EEPmJS9_EEE10hipError_tPvRmT3_T4_T5_T6_T7_T9_mT8_P12ihipStream_tbDpT10_ENKUlT_T0_E_clISt17integral_constantIbLb0EES19_IbLb1EEEEDaS15_S16_EUlS15_E_NS1_11comp_targetILNS1_3genE2ELNS1_11target_archE906ELNS1_3gpuE6ELNS1_3repE0EEENS1_30default_config_static_selectorELNS0_4arch9wavefront6targetE0EEEvT1_,comdat
.Lfunc_end1723:
	.size	_ZN7rocprim17ROCPRIM_400000_NS6detail17trampoline_kernelINS0_14default_configENS1_25partition_config_selectorILNS1_17partition_subalgoE9EllbEEZZNS1_14partition_implILS5_9ELb0ES3_jPlS8_PNS0_10empty_typeENS0_5tupleIJS8_S9_EEENSB_IJS8_SA_EEENS0_18inequality_wrapperIZN2at6native12_GLOBAL__N_124unique_dim_cuda_templateImEESt5tupleIJNSF_6TensorESK_SK_EERKSK_lbbbEUlllE0_EEPmJS9_EEE10hipError_tPvRmT3_T4_T5_T6_T7_T9_mT8_P12ihipStream_tbDpT10_ENKUlT_T0_E_clISt17integral_constantIbLb0EES19_IbLb1EEEEDaS15_S16_EUlS15_E_NS1_11comp_targetILNS1_3genE2ELNS1_11target_archE906ELNS1_3gpuE6ELNS1_3repE0EEENS1_30default_config_static_selectorELNS0_4arch9wavefront6targetE0EEEvT1_, .Lfunc_end1723-_ZN7rocprim17ROCPRIM_400000_NS6detail17trampoline_kernelINS0_14default_configENS1_25partition_config_selectorILNS1_17partition_subalgoE9EllbEEZZNS1_14partition_implILS5_9ELb0ES3_jPlS8_PNS0_10empty_typeENS0_5tupleIJS8_S9_EEENSB_IJS8_SA_EEENS0_18inequality_wrapperIZN2at6native12_GLOBAL__N_124unique_dim_cuda_templateImEESt5tupleIJNSF_6TensorESK_SK_EERKSK_lbbbEUlllE0_EEPmJS9_EEE10hipError_tPvRmT3_T4_T5_T6_T7_T9_mT8_P12ihipStream_tbDpT10_ENKUlT_T0_E_clISt17integral_constantIbLb0EES19_IbLb1EEEEDaS15_S16_EUlS15_E_NS1_11comp_targetILNS1_3genE2ELNS1_11target_archE906ELNS1_3gpuE6ELNS1_3repE0EEENS1_30default_config_static_selectorELNS0_4arch9wavefront6targetE0EEEvT1_
                                        ; -- End function
	.set _ZN7rocprim17ROCPRIM_400000_NS6detail17trampoline_kernelINS0_14default_configENS1_25partition_config_selectorILNS1_17partition_subalgoE9EllbEEZZNS1_14partition_implILS5_9ELb0ES3_jPlS8_PNS0_10empty_typeENS0_5tupleIJS8_S9_EEENSB_IJS8_SA_EEENS0_18inequality_wrapperIZN2at6native12_GLOBAL__N_124unique_dim_cuda_templateImEESt5tupleIJNSF_6TensorESK_SK_EERKSK_lbbbEUlllE0_EEPmJS9_EEE10hipError_tPvRmT3_T4_T5_T6_T7_T9_mT8_P12ihipStream_tbDpT10_ENKUlT_T0_E_clISt17integral_constantIbLb0EES19_IbLb1EEEEDaS15_S16_EUlS15_E_NS1_11comp_targetILNS1_3genE2ELNS1_11target_archE906ELNS1_3gpuE6ELNS1_3repE0EEENS1_30default_config_static_selectorELNS0_4arch9wavefront6targetE0EEEvT1_.num_vgpr, 0
	.set _ZN7rocprim17ROCPRIM_400000_NS6detail17trampoline_kernelINS0_14default_configENS1_25partition_config_selectorILNS1_17partition_subalgoE9EllbEEZZNS1_14partition_implILS5_9ELb0ES3_jPlS8_PNS0_10empty_typeENS0_5tupleIJS8_S9_EEENSB_IJS8_SA_EEENS0_18inequality_wrapperIZN2at6native12_GLOBAL__N_124unique_dim_cuda_templateImEESt5tupleIJNSF_6TensorESK_SK_EERKSK_lbbbEUlllE0_EEPmJS9_EEE10hipError_tPvRmT3_T4_T5_T6_T7_T9_mT8_P12ihipStream_tbDpT10_ENKUlT_T0_E_clISt17integral_constantIbLb0EES19_IbLb1EEEEDaS15_S16_EUlS15_E_NS1_11comp_targetILNS1_3genE2ELNS1_11target_archE906ELNS1_3gpuE6ELNS1_3repE0EEENS1_30default_config_static_selectorELNS0_4arch9wavefront6targetE0EEEvT1_.num_agpr, 0
	.set _ZN7rocprim17ROCPRIM_400000_NS6detail17trampoline_kernelINS0_14default_configENS1_25partition_config_selectorILNS1_17partition_subalgoE9EllbEEZZNS1_14partition_implILS5_9ELb0ES3_jPlS8_PNS0_10empty_typeENS0_5tupleIJS8_S9_EEENSB_IJS8_SA_EEENS0_18inequality_wrapperIZN2at6native12_GLOBAL__N_124unique_dim_cuda_templateImEESt5tupleIJNSF_6TensorESK_SK_EERKSK_lbbbEUlllE0_EEPmJS9_EEE10hipError_tPvRmT3_T4_T5_T6_T7_T9_mT8_P12ihipStream_tbDpT10_ENKUlT_T0_E_clISt17integral_constantIbLb0EES19_IbLb1EEEEDaS15_S16_EUlS15_E_NS1_11comp_targetILNS1_3genE2ELNS1_11target_archE906ELNS1_3gpuE6ELNS1_3repE0EEENS1_30default_config_static_selectorELNS0_4arch9wavefront6targetE0EEEvT1_.numbered_sgpr, 0
	.set _ZN7rocprim17ROCPRIM_400000_NS6detail17trampoline_kernelINS0_14default_configENS1_25partition_config_selectorILNS1_17partition_subalgoE9EllbEEZZNS1_14partition_implILS5_9ELb0ES3_jPlS8_PNS0_10empty_typeENS0_5tupleIJS8_S9_EEENSB_IJS8_SA_EEENS0_18inequality_wrapperIZN2at6native12_GLOBAL__N_124unique_dim_cuda_templateImEESt5tupleIJNSF_6TensorESK_SK_EERKSK_lbbbEUlllE0_EEPmJS9_EEE10hipError_tPvRmT3_T4_T5_T6_T7_T9_mT8_P12ihipStream_tbDpT10_ENKUlT_T0_E_clISt17integral_constantIbLb0EES19_IbLb1EEEEDaS15_S16_EUlS15_E_NS1_11comp_targetILNS1_3genE2ELNS1_11target_archE906ELNS1_3gpuE6ELNS1_3repE0EEENS1_30default_config_static_selectorELNS0_4arch9wavefront6targetE0EEEvT1_.num_named_barrier, 0
	.set _ZN7rocprim17ROCPRIM_400000_NS6detail17trampoline_kernelINS0_14default_configENS1_25partition_config_selectorILNS1_17partition_subalgoE9EllbEEZZNS1_14partition_implILS5_9ELb0ES3_jPlS8_PNS0_10empty_typeENS0_5tupleIJS8_S9_EEENSB_IJS8_SA_EEENS0_18inequality_wrapperIZN2at6native12_GLOBAL__N_124unique_dim_cuda_templateImEESt5tupleIJNSF_6TensorESK_SK_EERKSK_lbbbEUlllE0_EEPmJS9_EEE10hipError_tPvRmT3_T4_T5_T6_T7_T9_mT8_P12ihipStream_tbDpT10_ENKUlT_T0_E_clISt17integral_constantIbLb0EES19_IbLb1EEEEDaS15_S16_EUlS15_E_NS1_11comp_targetILNS1_3genE2ELNS1_11target_archE906ELNS1_3gpuE6ELNS1_3repE0EEENS1_30default_config_static_selectorELNS0_4arch9wavefront6targetE0EEEvT1_.private_seg_size, 0
	.set _ZN7rocprim17ROCPRIM_400000_NS6detail17trampoline_kernelINS0_14default_configENS1_25partition_config_selectorILNS1_17partition_subalgoE9EllbEEZZNS1_14partition_implILS5_9ELb0ES3_jPlS8_PNS0_10empty_typeENS0_5tupleIJS8_S9_EEENSB_IJS8_SA_EEENS0_18inequality_wrapperIZN2at6native12_GLOBAL__N_124unique_dim_cuda_templateImEESt5tupleIJNSF_6TensorESK_SK_EERKSK_lbbbEUlllE0_EEPmJS9_EEE10hipError_tPvRmT3_T4_T5_T6_T7_T9_mT8_P12ihipStream_tbDpT10_ENKUlT_T0_E_clISt17integral_constantIbLb0EES19_IbLb1EEEEDaS15_S16_EUlS15_E_NS1_11comp_targetILNS1_3genE2ELNS1_11target_archE906ELNS1_3gpuE6ELNS1_3repE0EEENS1_30default_config_static_selectorELNS0_4arch9wavefront6targetE0EEEvT1_.uses_vcc, 0
	.set _ZN7rocprim17ROCPRIM_400000_NS6detail17trampoline_kernelINS0_14default_configENS1_25partition_config_selectorILNS1_17partition_subalgoE9EllbEEZZNS1_14partition_implILS5_9ELb0ES3_jPlS8_PNS0_10empty_typeENS0_5tupleIJS8_S9_EEENSB_IJS8_SA_EEENS0_18inequality_wrapperIZN2at6native12_GLOBAL__N_124unique_dim_cuda_templateImEESt5tupleIJNSF_6TensorESK_SK_EERKSK_lbbbEUlllE0_EEPmJS9_EEE10hipError_tPvRmT3_T4_T5_T6_T7_T9_mT8_P12ihipStream_tbDpT10_ENKUlT_T0_E_clISt17integral_constantIbLb0EES19_IbLb1EEEEDaS15_S16_EUlS15_E_NS1_11comp_targetILNS1_3genE2ELNS1_11target_archE906ELNS1_3gpuE6ELNS1_3repE0EEENS1_30default_config_static_selectorELNS0_4arch9wavefront6targetE0EEEvT1_.uses_flat_scratch, 0
	.set _ZN7rocprim17ROCPRIM_400000_NS6detail17trampoline_kernelINS0_14default_configENS1_25partition_config_selectorILNS1_17partition_subalgoE9EllbEEZZNS1_14partition_implILS5_9ELb0ES3_jPlS8_PNS0_10empty_typeENS0_5tupleIJS8_S9_EEENSB_IJS8_SA_EEENS0_18inequality_wrapperIZN2at6native12_GLOBAL__N_124unique_dim_cuda_templateImEESt5tupleIJNSF_6TensorESK_SK_EERKSK_lbbbEUlllE0_EEPmJS9_EEE10hipError_tPvRmT3_T4_T5_T6_T7_T9_mT8_P12ihipStream_tbDpT10_ENKUlT_T0_E_clISt17integral_constantIbLb0EES19_IbLb1EEEEDaS15_S16_EUlS15_E_NS1_11comp_targetILNS1_3genE2ELNS1_11target_archE906ELNS1_3gpuE6ELNS1_3repE0EEENS1_30default_config_static_selectorELNS0_4arch9wavefront6targetE0EEEvT1_.has_dyn_sized_stack, 0
	.set _ZN7rocprim17ROCPRIM_400000_NS6detail17trampoline_kernelINS0_14default_configENS1_25partition_config_selectorILNS1_17partition_subalgoE9EllbEEZZNS1_14partition_implILS5_9ELb0ES3_jPlS8_PNS0_10empty_typeENS0_5tupleIJS8_S9_EEENSB_IJS8_SA_EEENS0_18inequality_wrapperIZN2at6native12_GLOBAL__N_124unique_dim_cuda_templateImEESt5tupleIJNSF_6TensorESK_SK_EERKSK_lbbbEUlllE0_EEPmJS9_EEE10hipError_tPvRmT3_T4_T5_T6_T7_T9_mT8_P12ihipStream_tbDpT10_ENKUlT_T0_E_clISt17integral_constantIbLb0EES19_IbLb1EEEEDaS15_S16_EUlS15_E_NS1_11comp_targetILNS1_3genE2ELNS1_11target_archE906ELNS1_3gpuE6ELNS1_3repE0EEENS1_30default_config_static_selectorELNS0_4arch9wavefront6targetE0EEEvT1_.has_recursion, 0
	.set _ZN7rocprim17ROCPRIM_400000_NS6detail17trampoline_kernelINS0_14default_configENS1_25partition_config_selectorILNS1_17partition_subalgoE9EllbEEZZNS1_14partition_implILS5_9ELb0ES3_jPlS8_PNS0_10empty_typeENS0_5tupleIJS8_S9_EEENSB_IJS8_SA_EEENS0_18inequality_wrapperIZN2at6native12_GLOBAL__N_124unique_dim_cuda_templateImEESt5tupleIJNSF_6TensorESK_SK_EERKSK_lbbbEUlllE0_EEPmJS9_EEE10hipError_tPvRmT3_T4_T5_T6_T7_T9_mT8_P12ihipStream_tbDpT10_ENKUlT_T0_E_clISt17integral_constantIbLb0EES19_IbLb1EEEEDaS15_S16_EUlS15_E_NS1_11comp_targetILNS1_3genE2ELNS1_11target_archE906ELNS1_3gpuE6ELNS1_3repE0EEENS1_30default_config_static_selectorELNS0_4arch9wavefront6targetE0EEEvT1_.has_indirect_call, 0
	.section	.AMDGPU.csdata,"",@progbits
; Kernel info:
; codeLenInByte = 0
; TotalNumSgprs: 0
; NumVgprs: 0
; ScratchSize: 0
; MemoryBound: 0
; FloatMode: 240
; IeeeMode: 1
; LDSByteSize: 0 bytes/workgroup (compile time only)
; SGPRBlocks: 0
; VGPRBlocks: 0
; NumSGPRsForWavesPerEU: 1
; NumVGPRsForWavesPerEU: 1
; NamedBarCnt: 0
; Occupancy: 16
; WaveLimiterHint : 0
; COMPUTE_PGM_RSRC2:SCRATCH_EN: 0
; COMPUTE_PGM_RSRC2:USER_SGPR: 2
; COMPUTE_PGM_RSRC2:TRAP_HANDLER: 0
; COMPUTE_PGM_RSRC2:TGID_X_EN: 1
; COMPUTE_PGM_RSRC2:TGID_Y_EN: 0
; COMPUTE_PGM_RSRC2:TGID_Z_EN: 0
; COMPUTE_PGM_RSRC2:TIDIG_COMP_CNT: 0
	.section	.text._ZN7rocprim17ROCPRIM_400000_NS6detail17trampoline_kernelINS0_14default_configENS1_25partition_config_selectorILNS1_17partition_subalgoE9EllbEEZZNS1_14partition_implILS5_9ELb0ES3_jPlS8_PNS0_10empty_typeENS0_5tupleIJS8_S9_EEENSB_IJS8_SA_EEENS0_18inequality_wrapperIZN2at6native12_GLOBAL__N_124unique_dim_cuda_templateImEESt5tupleIJNSF_6TensorESK_SK_EERKSK_lbbbEUlllE0_EEPmJS9_EEE10hipError_tPvRmT3_T4_T5_T6_T7_T9_mT8_P12ihipStream_tbDpT10_ENKUlT_T0_E_clISt17integral_constantIbLb0EES19_IbLb1EEEEDaS15_S16_EUlS15_E_NS1_11comp_targetILNS1_3genE10ELNS1_11target_archE1200ELNS1_3gpuE4ELNS1_3repE0EEENS1_30default_config_static_selectorELNS0_4arch9wavefront6targetE0EEEvT1_,"axG",@progbits,_ZN7rocprim17ROCPRIM_400000_NS6detail17trampoline_kernelINS0_14default_configENS1_25partition_config_selectorILNS1_17partition_subalgoE9EllbEEZZNS1_14partition_implILS5_9ELb0ES3_jPlS8_PNS0_10empty_typeENS0_5tupleIJS8_S9_EEENSB_IJS8_SA_EEENS0_18inequality_wrapperIZN2at6native12_GLOBAL__N_124unique_dim_cuda_templateImEESt5tupleIJNSF_6TensorESK_SK_EERKSK_lbbbEUlllE0_EEPmJS9_EEE10hipError_tPvRmT3_T4_T5_T6_T7_T9_mT8_P12ihipStream_tbDpT10_ENKUlT_T0_E_clISt17integral_constantIbLb0EES19_IbLb1EEEEDaS15_S16_EUlS15_E_NS1_11comp_targetILNS1_3genE10ELNS1_11target_archE1200ELNS1_3gpuE4ELNS1_3repE0EEENS1_30default_config_static_selectorELNS0_4arch9wavefront6targetE0EEEvT1_,comdat
	.globl	_ZN7rocprim17ROCPRIM_400000_NS6detail17trampoline_kernelINS0_14default_configENS1_25partition_config_selectorILNS1_17partition_subalgoE9EllbEEZZNS1_14partition_implILS5_9ELb0ES3_jPlS8_PNS0_10empty_typeENS0_5tupleIJS8_S9_EEENSB_IJS8_SA_EEENS0_18inequality_wrapperIZN2at6native12_GLOBAL__N_124unique_dim_cuda_templateImEESt5tupleIJNSF_6TensorESK_SK_EERKSK_lbbbEUlllE0_EEPmJS9_EEE10hipError_tPvRmT3_T4_T5_T6_T7_T9_mT8_P12ihipStream_tbDpT10_ENKUlT_T0_E_clISt17integral_constantIbLb0EES19_IbLb1EEEEDaS15_S16_EUlS15_E_NS1_11comp_targetILNS1_3genE10ELNS1_11target_archE1200ELNS1_3gpuE4ELNS1_3repE0EEENS1_30default_config_static_selectorELNS0_4arch9wavefront6targetE0EEEvT1_ ; -- Begin function _ZN7rocprim17ROCPRIM_400000_NS6detail17trampoline_kernelINS0_14default_configENS1_25partition_config_selectorILNS1_17partition_subalgoE9EllbEEZZNS1_14partition_implILS5_9ELb0ES3_jPlS8_PNS0_10empty_typeENS0_5tupleIJS8_S9_EEENSB_IJS8_SA_EEENS0_18inequality_wrapperIZN2at6native12_GLOBAL__N_124unique_dim_cuda_templateImEESt5tupleIJNSF_6TensorESK_SK_EERKSK_lbbbEUlllE0_EEPmJS9_EEE10hipError_tPvRmT3_T4_T5_T6_T7_T9_mT8_P12ihipStream_tbDpT10_ENKUlT_T0_E_clISt17integral_constantIbLb0EES19_IbLb1EEEEDaS15_S16_EUlS15_E_NS1_11comp_targetILNS1_3genE10ELNS1_11target_archE1200ELNS1_3gpuE4ELNS1_3repE0EEENS1_30default_config_static_selectorELNS0_4arch9wavefront6targetE0EEEvT1_
	.p2align	8
	.type	_ZN7rocprim17ROCPRIM_400000_NS6detail17trampoline_kernelINS0_14default_configENS1_25partition_config_selectorILNS1_17partition_subalgoE9EllbEEZZNS1_14partition_implILS5_9ELb0ES3_jPlS8_PNS0_10empty_typeENS0_5tupleIJS8_S9_EEENSB_IJS8_SA_EEENS0_18inequality_wrapperIZN2at6native12_GLOBAL__N_124unique_dim_cuda_templateImEESt5tupleIJNSF_6TensorESK_SK_EERKSK_lbbbEUlllE0_EEPmJS9_EEE10hipError_tPvRmT3_T4_T5_T6_T7_T9_mT8_P12ihipStream_tbDpT10_ENKUlT_T0_E_clISt17integral_constantIbLb0EES19_IbLb1EEEEDaS15_S16_EUlS15_E_NS1_11comp_targetILNS1_3genE10ELNS1_11target_archE1200ELNS1_3gpuE4ELNS1_3repE0EEENS1_30default_config_static_selectorELNS0_4arch9wavefront6targetE0EEEvT1_,@function
_ZN7rocprim17ROCPRIM_400000_NS6detail17trampoline_kernelINS0_14default_configENS1_25partition_config_selectorILNS1_17partition_subalgoE9EllbEEZZNS1_14partition_implILS5_9ELb0ES3_jPlS8_PNS0_10empty_typeENS0_5tupleIJS8_S9_EEENSB_IJS8_SA_EEENS0_18inequality_wrapperIZN2at6native12_GLOBAL__N_124unique_dim_cuda_templateImEESt5tupleIJNSF_6TensorESK_SK_EERKSK_lbbbEUlllE0_EEPmJS9_EEE10hipError_tPvRmT3_T4_T5_T6_T7_T9_mT8_P12ihipStream_tbDpT10_ENKUlT_T0_E_clISt17integral_constantIbLb0EES19_IbLb1EEEEDaS15_S16_EUlS15_E_NS1_11comp_targetILNS1_3genE10ELNS1_11target_archE1200ELNS1_3gpuE4ELNS1_3repE0EEENS1_30default_config_static_selectorELNS0_4arch9wavefront6targetE0EEEvT1_: ; @_ZN7rocprim17ROCPRIM_400000_NS6detail17trampoline_kernelINS0_14default_configENS1_25partition_config_selectorILNS1_17partition_subalgoE9EllbEEZZNS1_14partition_implILS5_9ELb0ES3_jPlS8_PNS0_10empty_typeENS0_5tupleIJS8_S9_EEENSB_IJS8_SA_EEENS0_18inequality_wrapperIZN2at6native12_GLOBAL__N_124unique_dim_cuda_templateImEESt5tupleIJNSF_6TensorESK_SK_EERKSK_lbbbEUlllE0_EEPmJS9_EEE10hipError_tPvRmT3_T4_T5_T6_T7_T9_mT8_P12ihipStream_tbDpT10_ENKUlT_T0_E_clISt17integral_constantIbLb0EES19_IbLb1EEEEDaS15_S16_EUlS15_E_NS1_11comp_targetILNS1_3genE10ELNS1_11target_archE1200ELNS1_3gpuE4ELNS1_3repE0EEENS1_30default_config_static_selectorELNS0_4arch9wavefront6targetE0EEEvT1_
; %bb.0:
	.section	.rodata,"a",@progbits
	.p2align	6, 0x0
	.amdhsa_kernel _ZN7rocprim17ROCPRIM_400000_NS6detail17trampoline_kernelINS0_14default_configENS1_25partition_config_selectorILNS1_17partition_subalgoE9EllbEEZZNS1_14partition_implILS5_9ELb0ES3_jPlS8_PNS0_10empty_typeENS0_5tupleIJS8_S9_EEENSB_IJS8_SA_EEENS0_18inequality_wrapperIZN2at6native12_GLOBAL__N_124unique_dim_cuda_templateImEESt5tupleIJNSF_6TensorESK_SK_EERKSK_lbbbEUlllE0_EEPmJS9_EEE10hipError_tPvRmT3_T4_T5_T6_T7_T9_mT8_P12ihipStream_tbDpT10_ENKUlT_T0_E_clISt17integral_constantIbLb0EES19_IbLb1EEEEDaS15_S16_EUlS15_E_NS1_11comp_targetILNS1_3genE10ELNS1_11target_archE1200ELNS1_3gpuE4ELNS1_3repE0EEENS1_30default_config_static_selectorELNS0_4arch9wavefront6targetE0EEEvT1_
		.amdhsa_group_segment_fixed_size 0
		.amdhsa_private_segment_fixed_size 0
		.amdhsa_kernarg_size 136
		.amdhsa_user_sgpr_count 2
		.amdhsa_user_sgpr_dispatch_ptr 0
		.amdhsa_user_sgpr_queue_ptr 0
		.amdhsa_user_sgpr_kernarg_segment_ptr 1
		.amdhsa_user_sgpr_dispatch_id 0
		.amdhsa_user_sgpr_kernarg_preload_length 0
		.amdhsa_user_sgpr_kernarg_preload_offset 0
		.amdhsa_user_sgpr_private_segment_size 0
		.amdhsa_wavefront_size32 1
		.amdhsa_uses_dynamic_stack 0
		.amdhsa_enable_private_segment 0
		.amdhsa_system_sgpr_workgroup_id_x 1
		.amdhsa_system_sgpr_workgroup_id_y 0
		.amdhsa_system_sgpr_workgroup_id_z 0
		.amdhsa_system_sgpr_workgroup_info 0
		.amdhsa_system_vgpr_workitem_id 0
		.amdhsa_next_free_vgpr 1
		.amdhsa_next_free_sgpr 1
		.amdhsa_named_barrier_count 0
		.amdhsa_reserve_vcc 0
		.amdhsa_float_round_mode_32 0
		.amdhsa_float_round_mode_16_64 0
		.amdhsa_float_denorm_mode_32 3
		.amdhsa_float_denorm_mode_16_64 3
		.amdhsa_fp16_overflow 0
		.amdhsa_memory_ordered 1
		.amdhsa_forward_progress 1
		.amdhsa_inst_pref_size 0
		.amdhsa_round_robin_scheduling 0
		.amdhsa_exception_fp_ieee_invalid_op 0
		.amdhsa_exception_fp_denorm_src 0
		.amdhsa_exception_fp_ieee_div_zero 0
		.amdhsa_exception_fp_ieee_overflow 0
		.amdhsa_exception_fp_ieee_underflow 0
		.amdhsa_exception_fp_ieee_inexact 0
		.amdhsa_exception_int_div_zero 0
	.end_amdhsa_kernel
	.section	.text._ZN7rocprim17ROCPRIM_400000_NS6detail17trampoline_kernelINS0_14default_configENS1_25partition_config_selectorILNS1_17partition_subalgoE9EllbEEZZNS1_14partition_implILS5_9ELb0ES3_jPlS8_PNS0_10empty_typeENS0_5tupleIJS8_S9_EEENSB_IJS8_SA_EEENS0_18inequality_wrapperIZN2at6native12_GLOBAL__N_124unique_dim_cuda_templateImEESt5tupleIJNSF_6TensorESK_SK_EERKSK_lbbbEUlllE0_EEPmJS9_EEE10hipError_tPvRmT3_T4_T5_T6_T7_T9_mT8_P12ihipStream_tbDpT10_ENKUlT_T0_E_clISt17integral_constantIbLb0EES19_IbLb1EEEEDaS15_S16_EUlS15_E_NS1_11comp_targetILNS1_3genE10ELNS1_11target_archE1200ELNS1_3gpuE4ELNS1_3repE0EEENS1_30default_config_static_selectorELNS0_4arch9wavefront6targetE0EEEvT1_,"axG",@progbits,_ZN7rocprim17ROCPRIM_400000_NS6detail17trampoline_kernelINS0_14default_configENS1_25partition_config_selectorILNS1_17partition_subalgoE9EllbEEZZNS1_14partition_implILS5_9ELb0ES3_jPlS8_PNS0_10empty_typeENS0_5tupleIJS8_S9_EEENSB_IJS8_SA_EEENS0_18inequality_wrapperIZN2at6native12_GLOBAL__N_124unique_dim_cuda_templateImEESt5tupleIJNSF_6TensorESK_SK_EERKSK_lbbbEUlllE0_EEPmJS9_EEE10hipError_tPvRmT3_T4_T5_T6_T7_T9_mT8_P12ihipStream_tbDpT10_ENKUlT_T0_E_clISt17integral_constantIbLb0EES19_IbLb1EEEEDaS15_S16_EUlS15_E_NS1_11comp_targetILNS1_3genE10ELNS1_11target_archE1200ELNS1_3gpuE4ELNS1_3repE0EEENS1_30default_config_static_selectorELNS0_4arch9wavefront6targetE0EEEvT1_,comdat
.Lfunc_end1724:
	.size	_ZN7rocprim17ROCPRIM_400000_NS6detail17trampoline_kernelINS0_14default_configENS1_25partition_config_selectorILNS1_17partition_subalgoE9EllbEEZZNS1_14partition_implILS5_9ELb0ES3_jPlS8_PNS0_10empty_typeENS0_5tupleIJS8_S9_EEENSB_IJS8_SA_EEENS0_18inequality_wrapperIZN2at6native12_GLOBAL__N_124unique_dim_cuda_templateImEESt5tupleIJNSF_6TensorESK_SK_EERKSK_lbbbEUlllE0_EEPmJS9_EEE10hipError_tPvRmT3_T4_T5_T6_T7_T9_mT8_P12ihipStream_tbDpT10_ENKUlT_T0_E_clISt17integral_constantIbLb0EES19_IbLb1EEEEDaS15_S16_EUlS15_E_NS1_11comp_targetILNS1_3genE10ELNS1_11target_archE1200ELNS1_3gpuE4ELNS1_3repE0EEENS1_30default_config_static_selectorELNS0_4arch9wavefront6targetE0EEEvT1_, .Lfunc_end1724-_ZN7rocprim17ROCPRIM_400000_NS6detail17trampoline_kernelINS0_14default_configENS1_25partition_config_selectorILNS1_17partition_subalgoE9EllbEEZZNS1_14partition_implILS5_9ELb0ES3_jPlS8_PNS0_10empty_typeENS0_5tupleIJS8_S9_EEENSB_IJS8_SA_EEENS0_18inequality_wrapperIZN2at6native12_GLOBAL__N_124unique_dim_cuda_templateImEESt5tupleIJNSF_6TensorESK_SK_EERKSK_lbbbEUlllE0_EEPmJS9_EEE10hipError_tPvRmT3_T4_T5_T6_T7_T9_mT8_P12ihipStream_tbDpT10_ENKUlT_T0_E_clISt17integral_constantIbLb0EES19_IbLb1EEEEDaS15_S16_EUlS15_E_NS1_11comp_targetILNS1_3genE10ELNS1_11target_archE1200ELNS1_3gpuE4ELNS1_3repE0EEENS1_30default_config_static_selectorELNS0_4arch9wavefront6targetE0EEEvT1_
                                        ; -- End function
	.set _ZN7rocprim17ROCPRIM_400000_NS6detail17trampoline_kernelINS0_14default_configENS1_25partition_config_selectorILNS1_17partition_subalgoE9EllbEEZZNS1_14partition_implILS5_9ELb0ES3_jPlS8_PNS0_10empty_typeENS0_5tupleIJS8_S9_EEENSB_IJS8_SA_EEENS0_18inequality_wrapperIZN2at6native12_GLOBAL__N_124unique_dim_cuda_templateImEESt5tupleIJNSF_6TensorESK_SK_EERKSK_lbbbEUlllE0_EEPmJS9_EEE10hipError_tPvRmT3_T4_T5_T6_T7_T9_mT8_P12ihipStream_tbDpT10_ENKUlT_T0_E_clISt17integral_constantIbLb0EES19_IbLb1EEEEDaS15_S16_EUlS15_E_NS1_11comp_targetILNS1_3genE10ELNS1_11target_archE1200ELNS1_3gpuE4ELNS1_3repE0EEENS1_30default_config_static_selectorELNS0_4arch9wavefront6targetE0EEEvT1_.num_vgpr, 0
	.set _ZN7rocprim17ROCPRIM_400000_NS6detail17trampoline_kernelINS0_14default_configENS1_25partition_config_selectorILNS1_17partition_subalgoE9EllbEEZZNS1_14partition_implILS5_9ELb0ES3_jPlS8_PNS0_10empty_typeENS0_5tupleIJS8_S9_EEENSB_IJS8_SA_EEENS0_18inequality_wrapperIZN2at6native12_GLOBAL__N_124unique_dim_cuda_templateImEESt5tupleIJNSF_6TensorESK_SK_EERKSK_lbbbEUlllE0_EEPmJS9_EEE10hipError_tPvRmT3_T4_T5_T6_T7_T9_mT8_P12ihipStream_tbDpT10_ENKUlT_T0_E_clISt17integral_constantIbLb0EES19_IbLb1EEEEDaS15_S16_EUlS15_E_NS1_11comp_targetILNS1_3genE10ELNS1_11target_archE1200ELNS1_3gpuE4ELNS1_3repE0EEENS1_30default_config_static_selectorELNS0_4arch9wavefront6targetE0EEEvT1_.num_agpr, 0
	.set _ZN7rocprim17ROCPRIM_400000_NS6detail17trampoline_kernelINS0_14default_configENS1_25partition_config_selectorILNS1_17partition_subalgoE9EllbEEZZNS1_14partition_implILS5_9ELb0ES3_jPlS8_PNS0_10empty_typeENS0_5tupleIJS8_S9_EEENSB_IJS8_SA_EEENS0_18inequality_wrapperIZN2at6native12_GLOBAL__N_124unique_dim_cuda_templateImEESt5tupleIJNSF_6TensorESK_SK_EERKSK_lbbbEUlllE0_EEPmJS9_EEE10hipError_tPvRmT3_T4_T5_T6_T7_T9_mT8_P12ihipStream_tbDpT10_ENKUlT_T0_E_clISt17integral_constantIbLb0EES19_IbLb1EEEEDaS15_S16_EUlS15_E_NS1_11comp_targetILNS1_3genE10ELNS1_11target_archE1200ELNS1_3gpuE4ELNS1_3repE0EEENS1_30default_config_static_selectorELNS0_4arch9wavefront6targetE0EEEvT1_.numbered_sgpr, 0
	.set _ZN7rocprim17ROCPRIM_400000_NS6detail17trampoline_kernelINS0_14default_configENS1_25partition_config_selectorILNS1_17partition_subalgoE9EllbEEZZNS1_14partition_implILS5_9ELb0ES3_jPlS8_PNS0_10empty_typeENS0_5tupleIJS8_S9_EEENSB_IJS8_SA_EEENS0_18inequality_wrapperIZN2at6native12_GLOBAL__N_124unique_dim_cuda_templateImEESt5tupleIJNSF_6TensorESK_SK_EERKSK_lbbbEUlllE0_EEPmJS9_EEE10hipError_tPvRmT3_T4_T5_T6_T7_T9_mT8_P12ihipStream_tbDpT10_ENKUlT_T0_E_clISt17integral_constantIbLb0EES19_IbLb1EEEEDaS15_S16_EUlS15_E_NS1_11comp_targetILNS1_3genE10ELNS1_11target_archE1200ELNS1_3gpuE4ELNS1_3repE0EEENS1_30default_config_static_selectorELNS0_4arch9wavefront6targetE0EEEvT1_.num_named_barrier, 0
	.set _ZN7rocprim17ROCPRIM_400000_NS6detail17trampoline_kernelINS0_14default_configENS1_25partition_config_selectorILNS1_17partition_subalgoE9EllbEEZZNS1_14partition_implILS5_9ELb0ES3_jPlS8_PNS0_10empty_typeENS0_5tupleIJS8_S9_EEENSB_IJS8_SA_EEENS0_18inequality_wrapperIZN2at6native12_GLOBAL__N_124unique_dim_cuda_templateImEESt5tupleIJNSF_6TensorESK_SK_EERKSK_lbbbEUlllE0_EEPmJS9_EEE10hipError_tPvRmT3_T4_T5_T6_T7_T9_mT8_P12ihipStream_tbDpT10_ENKUlT_T0_E_clISt17integral_constantIbLb0EES19_IbLb1EEEEDaS15_S16_EUlS15_E_NS1_11comp_targetILNS1_3genE10ELNS1_11target_archE1200ELNS1_3gpuE4ELNS1_3repE0EEENS1_30default_config_static_selectorELNS0_4arch9wavefront6targetE0EEEvT1_.private_seg_size, 0
	.set _ZN7rocprim17ROCPRIM_400000_NS6detail17trampoline_kernelINS0_14default_configENS1_25partition_config_selectorILNS1_17partition_subalgoE9EllbEEZZNS1_14partition_implILS5_9ELb0ES3_jPlS8_PNS0_10empty_typeENS0_5tupleIJS8_S9_EEENSB_IJS8_SA_EEENS0_18inequality_wrapperIZN2at6native12_GLOBAL__N_124unique_dim_cuda_templateImEESt5tupleIJNSF_6TensorESK_SK_EERKSK_lbbbEUlllE0_EEPmJS9_EEE10hipError_tPvRmT3_T4_T5_T6_T7_T9_mT8_P12ihipStream_tbDpT10_ENKUlT_T0_E_clISt17integral_constantIbLb0EES19_IbLb1EEEEDaS15_S16_EUlS15_E_NS1_11comp_targetILNS1_3genE10ELNS1_11target_archE1200ELNS1_3gpuE4ELNS1_3repE0EEENS1_30default_config_static_selectorELNS0_4arch9wavefront6targetE0EEEvT1_.uses_vcc, 0
	.set _ZN7rocprim17ROCPRIM_400000_NS6detail17trampoline_kernelINS0_14default_configENS1_25partition_config_selectorILNS1_17partition_subalgoE9EllbEEZZNS1_14partition_implILS5_9ELb0ES3_jPlS8_PNS0_10empty_typeENS0_5tupleIJS8_S9_EEENSB_IJS8_SA_EEENS0_18inequality_wrapperIZN2at6native12_GLOBAL__N_124unique_dim_cuda_templateImEESt5tupleIJNSF_6TensorESK_SK_EERKSK_lbbbEUlllE0_EEPmJS9_EEE10hipError_tPvRmT3_T4_T5_T6_T7_T9_mT8_P12ihipStream_tbDpT10_ENKUlT_T0_E_clISt17integral_constantIbLb0EES19_IbLb1EEEEDaS15_S16_EUlS15_E_NS1_11comp_targetILNS1_3genE10ELNS1_11target_archE1200ELNS1_3gpuE4ELNS1_3repE0EEENS1_30default_config_static_selectorELNS0_4arch9wavefront6targetE0EEEvT1_.uses_flat_scratch, 0
	.set _ZN7rocprim17ROCPRIM_400000_NS6detail17trampoline_kernelINS0_14default_configENS1_25partition_config_selectorILNS1_17partition_subalgoE9EllbEEZZNS1_14partition_implILS5_9ELb0ES3_jPlS8_PNS0_10empty_typeENS0_5tupleIJS8_S9_EEENSB_IJS8_SA_EEENS0_18inequality_wrapperIZN2at6native12_GLOBAL__N_124unique_dim_cuda_templateImEESt5tupleIJNSF_6TensorESK_SK_EERKSK_lbbbEUlllE0_EEPmJS9_EEE10hipError_tPvRmT3_T4_T5_T6_T7_T9_mT8_P12ihipStream_tbDpT10_ENKUlT_T0_E_clISt17integral_constantIbLb0EES19_IbLb1EEEEDaS15_S16_EUlS15_E_NS1_11comp_targetILNS1_3genE10ELNS1_11target_archE1200ELNS1_3gpuE4ELNS1_3repE0EEENS1_30default_config_static_selectorELNS0_4arch9wavefront6targetE0EEEvT1_.has_dyn_sized_stack, 0
	.set _ZN7rocprim17ROCPRIM_400000_NS6detail17trampoline_kernelINS0_14default_configENS1_25partition_config_selectorILNS1_17partition_subalgoE9EllbEEZZNS1_14partition_implILS5_9ELb0ES3_jPlS8_PNS0_10empty_typeENS0_5tupleIJS8_S9_EEENSB_IJS8_SA_EEENS0_18inequality_wrapperIZN2at6native12_GLOBAL__N_124unique_dim_cuda_templateImEESt5tupleIJNSF_6TensorESK_SK_EERKSK_lbbbEUlllE0_EEPmJS9_EEE10hipError_tPvRmT3_T4_T5_T6_T7_T9_mT8_P12ihipStream_tbDpT10_ENKUlT_T0_E_clISt17integral_constantIbLb0EES19_IbLb1EEEEDaS15_S16_EUlS15_E_NS1_11comp_targetILNS1_3genE10ELNS1_11target_archE1200ELNS1_3gpuE4ELNS1_3repE0EEENS1_30default_config_static_selectorELNS0_4arch9wavefront6targetE0EEEvT1_.has_recursion, 0
	.set _ZN7rocprim17ROCPRIM_400000_NS6detail17trampoline_kernelINS0_14default_configENS1_25partition_config_selectorILNS1_17partition_subalgoE9EllbEEZZNS1_14partition_implILS5_9ELb0ES3_jPlS8_PNS0_10empty_typeENS0_5tupleIJS8_S9_EEENSB_IJS8_SA_EEENS0_18inequality_wrapperIZN2at6native12_GLOBAL__N_124unique_dim_cuda_templateImEESt5tupleIJNSF_6TensorESK_SK_EERKSK_lbbbEUlllE0_EEPmJS9_EEE10hipError_tPvRmT3_T4_T5_T6_T7_T9_mT8_P12ihipStream_tbDpT10_ENKUlT_T0_E_clISt17integral_constantIbLb0EES19_IbLb1EEEEDaS15_S16_EUlS15_E_NS1_11comp_targetILNS1_3genE10ELNS1_11target_archE1200ELNS1_3gpuE4ELNS1_3repE0EEENS1_30default_config_static_selectorELNS0_4arch9wavefront6targetE0EEEvT1_.has_indirect_call, 0
	.section	.AMDGPU.csdata,"",@progbits
; Kernel info:
; codeLenInByte = 0
; TotalNumSgprs: 0
; NumVgprs: 0
; ScratchSize: 0
; MemoryBound: 0
; FloatMode: 240
; IeeeMode: 1
; LDSByteSize: 0 bytes/workgroup (compile time only)
; SGPRBlocks: 0
; VGPRBlocks: 0
; NumSGPRsForWavesPerEU: 1
; NumVGPRsForWavesPerEU: 1
; NamedBarCnt: 0
; Occupancy: 16
; WaveLimiterHint : 0
; COMPUTE_PGM_RSRC2:SCRATCH_EN: 0
; COMPUTE_PGM_RSRC2:USER_SGPR: 2
; COMPUTE_PGM_RSRC2:TRAP_HANDLER: 0
; COMPUTE_PGM_RSRC2:TGID_X_EN: 1
; COMPUTE_PGM_RSRC2:TGID_Y_EN: 0
; COMPUTE_PGM_RSRC2:TGID_Z_EN: 0
; COMPUTE_PGM_RSRC2:TIDIG_COMP_CNT: 0
	.section	.text._ZN7rocprim17ROCPRIM_400000_NS6detail17trampoline_kernelINS0_14default_configENS1_25partition_config_selectorILNS1_17partition_subalgoE9EllbEEZZNS1_14partition_implILS5_9ELb0ES3_jPlS8_PNS0_10empty_typeENS0_5tupleIJS8_S9_EEENSB_IJS8_SA_EEENS0_18inequality_wrapperIZN2at6native12_GLOBAL__N_124unique_dim_cuda_templateImEESt5tupleIJNSF_6TensorESK_SK_EERKSK_lbbbEUlllE0_EEPmJS9_EEE10hipError_tPvRmT3_T4_T5_T6_T7_T9_mT8_P12ihipStream_tbDpT10_ENKUlT_T0_E_clISt17integral_constantIbLb0EES19_IbLb1EEEEDaS15_S16_EUlS15_E_NS1_11comp_targetILNS1_3genE9ELNS1_11target_archE1100ELNS1_3gpuE3ELNS1_3repE0EEENS1_30default_config_static_selectorELNS0_4arch9wavefront6targetE0EEEvT1_,"axG",@progbits,_ZN7rocprim17ROCPRIM_400000_NS6detail17trampoline_kernelINS0_14default_configENS1_25partition_config_selectorILNS1_17partition_subalgoE9EllbEEZZNS1_14partition_implILS5_9ELb0ES3_jPlS8_PNS0_10empty_typeENS0_5tupleIJS8_S9_EEENSB_IJS8_SA_EEENS0_18inequality_wrapperIZN2at6native12_GLOBAL__N_124unique_dim_cuda_templateImEESt5tupleIJNSF_6TensorESK_SK_EERKSK_lbbbEUlllE0_EEPmJS9_EEE10hipError_tPvRmT3_T4_T5_T6_T7_T9_mT8_P12ihipStream_tbDpT10_ENKUlT_T0_E_clISt17integral_constantIbLb0EES19_IbLb1EEEEDaS15_S16_EUlS15_E_NS1_11comp_targetILNS1_3genE9ELNS1_11target_archE1100ELNS1_3gpuE3ELNS1_3repE0EEENS1_30default_config_static_selectorELNS0_4arch9wavefront6targetE0EEEvT1_,comdat
	.globl	_ZN7rocprim17ROCPRIM_400000_NS6detail17trampoline_kernelINS0_14default_configENS1_25partition_config_selectorILNS1_17partition_subalgoE9EllbEEZZNS1_14partition_implILS5_9ELb0ES3_jPlS8_PNS0_10empty_typeENS0_5tupleIJS8_S9_EEENSB_IJS8_SA_EEENS0_18inequality_wrapperIZN2at6native12_GLOBAL__N_124unique_dim_cuda_templateImEESt5tupleIJNSF_6TensorESK_SK_EERKSK_lbbbEUlllE0_EEPmJS9_EEE10hipError_tPvRmT3_T4_T5_T6_T7_T9_mT8_P12ihipStream_tbDpT10_ENKUlT_T0_E_clISt17integral_constantIbLb0EES19_IbLb1EEEEDaS15_S16_EUlS15_E_NS1_11comp_targetILNS1_3genE9ELNS1_11target_archE1100ELNS1_3gpuE3ELNS1_3repE0EEENS1_30default_config_static_selectorELNS0_4arch9wavefront6targetE0EEEvT1_ ; -- Begin function _ZN7rocprim17ROCPRIM_400000_NS6detail17trampoline_kernelINS0_14default_configENS1_25partition_config_selectorILNS1_17partition_subalgoE9EllbEEZZNS1_14partition_implILS5_9ELb0ES3_jPlS8_PNS0_10empty_typeENS0_5tupleIJS8_S9_EEENSB_IJS8_SA_EEENS0_18inequality_wrapperIZN2at6native12_GLOBAL__N_124unique_dim_cuda_templateImEESt5tupleIJNSF_6TensorESK_SK_EERKSK_lbbbEUlllE0_EEPmJS9_EEE10hipError_tPvRmT3_T4_T5_T6_T7_T9_mT8_P12ihipStream_tbDpT10_ENKUlT_T0_E_clISt17integral_constantIbLb0EES19_IbLb1EEEEDaS15_S16_EUlS15_E_NS1_11comp_targetILNS1_3genE9ELNS1_11target_archE1100ELNS1_3gpuE3ELNS1_3repE0EEENS1_30default_config_static_selectorELNS0_4arch9wavefront6targetE0EEEvT1_
	.p2align	8
	.type	_ZN7rocprim17ROCPRIM_400000_NS6detail17trampoline_kernelINS0_14default_configENS1_25partition_config_selectorILNS1_17partition_subalgoE9EllbEEZZNS1_14partition_implILS5_9ELb0ES3_jPlS8_PNS0_10empty_typeENS0_5tupleIJS8_S9_EEENSB_IJS8_SA_EEENS0_18inequality_wrapperIZN2at6native12_GLOBAL__N_124unique_dim_cuda_templateImEESt5tupleIJNSF_6TensorESK_SK_EERKSK_lbbbEUlllE0_EEPmJS9_EEE10hipError_tPvRmT3_T4_T5_T6_T7_T9_mT8_P12ihipStream_tbDpT10_ENKUlT_T0_E_clISt17integral_constantIbLb0EES19_IbLb1EEEEDaS15_S16_EUlS15_E_NS1_11comp_targetILNS1_3genE9ELNS1_11target_archE1100ELNS1_3gpuE3ELNS1_3repE0EEENS1_30default_config_static_selectorELNS0_4arch9wavefront6targetE0EEEvT1_,@function
_ZN7rocprim17ROCPRIM_400000_NS6detail17trampoline_kernelINS0_14default_configENS1_25partition_config_selectorILNS1_17partition_subalgoE9EllbEEZZNS1_14partition_implILS5_9ELb0ES3_jPlS8_PNS0_10empty_typeENS0_5tupleIJS8_S9_EEENSB_IJS8_SA_EEENS0_18inequality_wrapperIZN2at6native12_GLOBAL__N_124unique_dim_cuda_templateImEESt5tupleIJNSF_6TensorESK_SK_EERKSK_lbbbEUlllE0_EEPmJS9_EEE10hipError_tPvRmT3_T4_T5_T6_T7_T9_mT8_P12ihipStream_tbDpT10_ENKUlT_T0_E_clISt17integral_constantIbLb0EES19_IbLb1EEEEDaS15_S16_EUlS15_E_NS1_11comp_targetILNS1_3genE9ELNS1_11target_archE1100ELNS1_3gpuE3ELNS1_3repE0EEENS1_30default_config_static_selectorELNS0_4arch9wavefront6targetE0EEEvT1_: ; @_ZN7rocprim17ROCPRIM_400000_NS6detail17trampoline_kernelINS0_14default_configENS1_25partition_config_selectorILNS1_17partition_subalgoE9EllbEEZZNS1_14partition_implILS5_9ELb0ES3_jPlS8_PNS0_10empty_typeENS0_5tupleIJS8_S9_EEENSB_IJS8_SA_EEENS0_18inequality_wrapperIZN2at6native12_GLOBAL__N_124unique_dim_cuda_templateImEESt5tupleIJNSF_6TensorESK_SK_EERKSK_lbbbEUlllE0_EEPmJS9_EEE10hipError_tPvRmT3_T4_T5_T6_T7_T9_mT8_P12ihipStream_tbDpT10_ENKUlT_T0_E_clISt17integral_constantIbLb0EES19_IbLb1EEEEDaS15_S16_EUlS15_E_NS1_11comp_targetILNS1_3genE9ELNS1_11target_archE1100ELNS1_3gpuE3ELNS1_3repE0EEENS1_30default_config_static_selectorELNS0_4arch9wavefront6targetE0EEEvT1_
; %bb.0:
	.section	.rodata,"a",@progbits
	.p2align	6, 0x0
	.amdhsa_kernel _ZN7rocprim17ROCPRIM_400000_NS6detail17trampoline_kernelINS0_14default_configENS1_25partition_config_selectorILNS1_17partition_subalgoE9EllbEEZZNS1_14partition_implILS5_9ELb0ES3_jPlS8_PNS0_10empty_typeENS0_5tupleIJS8_S9_EEENSB_IJS8_SA_EEENS0_18inequality_wrapperIZN2at6native12_GLOBAL__N_124unique_dim_cuda_templateImEESt5tupleIJNSF_6TensorESK_SK_EERKSK_lbbbEUlllE0_EEPmJS9_EEE10hipError_tPvRmT3_T4_T5_T6_T7_T9_mT8_P12ihipStream_tbDpT10_ENKUlT_T0_E_clISt17integral_constantIbLb0EES19_IbLb1EEEEDaS15_S16_EUlS15_E_NS1_11comp_targetILNS1_3genE9ELNS1_11target_archE1100ELNS1_3gpuE3ELNS1_3repE0EEENS1_30default_config_static_selectorELNS0_4arch9wavefront6targetE0EEEvT1_
		.amdhsa_group_segment_fixed_size 0
		.amdhsa_private_segment_fixed_size 0
		.amdhsa_kernarg_size 136
		.amdhsa_user_sgpr_count 2
		.amdhsa_user_sgpr_dispatch_ptr 0
		.amdhsa_user_sgpr_queue_ptr 0
		.amdhsa_user_sgpr_kernarg_segment_ptr 1
		.amdhsa_user_sgpr_dispatch_id 0
		.amdhsa_user_sgpr_kernarg_preload_length 0
		.amdhsa_user_sgpr_kernarg_preload_offset 0
		.amdhsa_user_sgpr_private_segment_size 0
		.amdhsa_wavefront_size32 1
		.amdhsa_uses_dynamic_stack 0
		.amdhsa_enable_private_segment 0
		.amdhsa_system_sgpr_workgroup_id_x 1
		.amdhsa_system_sgpr_workgroup_id_y 0
		.amdhsa_system_sgpr_workgroup_id_z 0
		.amdhsa_system_sgpr_workgroup_info 0
		.amdhsa_system_vgpr_workitem_id 0
		.amdhsa_next_free_vgpr 1
		.amdhsa_next_free_sgpr 1
		.amdhsa_named_barrier_count 0
		.amdhsa_reserve_vcc 0
		.amdhsa_float_round_mode_32 0
		.amdhsa_float_round_mode_16_64 0
		.amdhsa_float_denorm_mode_32 3
		.amdhsa_float_denorm_mode_16_64 3
		.amdhsa_fp16_overflow 0
		.amdhsa_memory_ordered 1
		.amdhsa_forward_progress 1
		.amdhsa_inst_pref_size 0
		.amdhsa_round_robin_scheduling 0
		.amdhsa_exception_fp_ieee_invalid_op 0
		.amdhsa_exception_fp_denorm_src 0
		.amdhsa_exception_fp_ieee_div_zero 0
		.amdhsa_exception_fp_ieee_overflow 0
		.amdhsa_exception_fp_ieee_underflow 0
		.amdhsa_exception_fp_ieee_inexact 0
		.amdhsa_exception_int_div_zero 0
	.end_amdhsa_kernel
	.section	.text._ZN7rocprim17ROCPRIM_400000_NS6detail17trampoline_kernelINS0_14default_configENS1_25partition_config_selectorILNS1_17partition_subalgoE9EllbEEZZNS1_14partition_implILS5_9ELb0ES3_jPlS8_PNS0_10empty_typeENS0_5tupleIJS8_S9_EEENSB_IJS8_SA_EEENS0_18inequality_wrapperIZN2at6native12_GLOBAL__N_124unique_dim_cuda_templateImEESt5tupleIJNSF_6TensorESK_SK_EERKSK_lbbbEUlllE0_EEPmJS9_EEE10hipError_tPvRmT3_T4_T5_T6_T7_T9_mT8_P12ihipStream_tbDpT10_ENKUlT_T0_E_clISt17integral_constantIbLb0EES19_IbLb1EEEEDaS15_S16_EUlS15_E_NS1_11comp_targetILNS1_3genE9ELNS1_11target_archE1100ELNS1_3gpuE3ELNS1_3repE0EEENS1_30default_config_static_selectorELNS0_4arch9wavefront6targetE0EEEvT1_,"axG",@progbits,_ZN7rocprim17ROCPRIM_400000_NS6detail17trampoline_kernelINS0_14default_configENS1_25partition_config_selectorILNS1_17partition_subalgoE9EllbEEZZNS1_14partition_implILS5_9ELb0ES3_jPlS8_PNS0_10empty_typeENS0_5tupleIJS8_S9_EEENSB_IJS8_SA_EEENS0_18inequality_wrapperIZN2at6native12_GLOBAL__N_124unique_dim_cuda_templateImEESt5tupleIJNSF_6TensorESK_SK_EERKSK_lbbbEUlllE0_EEPmJS9_EEE10hipError_tPvRmT3_T4_T5_T6_T7_T9_mT8_P12ihipStream_tbDpT10_ENKUlT_T0_E_clISt17integral_constantIbLb0EES19_IbLb1EEEEDaS15_S16_EUlS15_E_NS1_11comp_targetILNS1_3genE9ELNS1_11target_archE1100ELNS1_3gpuE3ELNS1_3repE0EEENS1_30default_config_static_selectorELNS0_4arch9wavefront6targetE0EEEvT1_,comdat
.Lfunc_end1725:
	.size	_ZN7rocprim17ROCPRIM_400000_NS6detail17trampoline_kernelINS0_14default_configENS1_25partition_config_selectorILNS1_17partition_subalgoE9EllbEEZZNS1_14partition_implILS5_9ELb0ES3_jPlS8_PNS0_10empty_typeENS0_5tupleIJS8_S9_EEENSB_IJS8_SA_EEENS0_18inequality_wrapperIZN2at6native12_GLOBAL__N_124unique_dim_cuda_templateImEESt5tupleIJNSF_6TensorESK_SK_EERKSK_lbbbEUlllE0_EEPmJS9_EEE10hipError_tPvRmT3_T4_T5_T6_T7_T9_mT8_P12ihipStream_tbDpT10_ENKUlT_T0_E_clISt17integral_constantIbLb0EES19_IbLb1EEEEDaS15_S16_EUlS15_E_NS1_11comp_targetILNS1_3genE9ELNS1_11target_archE1100ELNS1_3gpuE3ELNS1_3repE0EEENS1_30default_config_static_selectorELNS0_4arch9wavefront6targetE0EEEvT1_, .Lfunc_end1725-_ZN7rocprim17ROCPRIM_400000_NS6detail17trampoline_kernelINS0_14default_configENS1_25partition_config_selectorILNS1_17partition_subalgoE9EllbEEZZNS1_14partition_implILS5_9ELb0ES3_jPlS8_PNS0_10empty_typeENS0_5tupleIJS8_S9_EEENSB_IJS8_SA_EEENS0_18inequality_wrapperIZN2at6native12_GLOBAL__N_124unique_dim_cuda_templateImEESt5tupleIJNSF_6TensorESK_SK_EERKSK_lbbbEUlllE0_EEPmJS9_EEE10hipError_tPvRmT3_T4_T5_T6_T7_T9_mT8_P12ihipStream_tbDpT10_ENKUlT_T0_E_clISt17integral_constantIbLb0EES19_IbLb1EEEEDaS15_S16_EUlS15_E_NS1_11comp_targetILNS1_3genE9ELNS1_11target_archE1100ELNS1_3gpuE3ELNS1_3repE0EEENS1_30default_config_static_selectorELNS0_4arch9wavefront6targetE0EEEvT1_
                                        ; -- End function
	.set _ZN7rocprim17ROCPRIM_400000_NS6detail17trampoline_kernelINS0_14default_configENS1_25partition_config_selectorILNS1_17partition_subalgoE9EllbEEZZNS1_14partition_implILS5_9ELb0ES3_jPlS8_PNS0_10empty_typeENS0_5tupleIJS8_S9_EEENSB_IJS8_SA_EEENS0_18inequality_wrapperIZN2at6native12_GLOBAL__N_124unique_dim_cuda_templateImEESt5tupleIJNSF_6TensorESK_SK_EERKSK_lbbbEUlllE0_EEPmJS9_EEE10hipError_tPvRmT3_T4_T5_T6_T7_T9_mT8_P12ihipStream_tbDpT10_ENKUlT_T0_E_clISt17integral_constantIbLb0EES19_IbLb1EEEEDaS15_S16_EUlS15_E_NS1_11comp_targetILNS1_3genE9ELNS1_11target_archE1100ELNS1_3gpuE3ELNS1_3repE0EEENS1_30default_config_static_selectorELNS0_4arch9wavefront6targetE0EEEvT1_.num_vgpr, 0
	.set _ZN7rocprim17ROCPRIM_400000_NS6detail17trampoline_kernelINS0_14default_configENS1_25partition_config_selectorILNS1_17partition_subalgoE9EllbEEZZNS1_14partition_implILS5_9ELb0ES3_jPlS8_PNS0_10empty_typeENS0_5tupleIJS8_S9_EEENSB_IJS8_SA_EEENS0_18inequality_wrapperIZN2at6native12_GLOBAL__N_124unique_dim_cuda_templateImEESt5tupleIJNSF_6TensorESK_SK_EERKSK_lbbbEUlllE0_EEPmJS9_EEE10hipError_tPvRmT3_T4_T5_T6_T7_T9_mT8_P12ihipStream_tbDpT10_ENKUlT_T0_E_clISt17integral_constantIbLb0EES19_IbLb1EEEEDaS15_S16_EUlS15_E_NS1_11comp_targetILNS1_3genE9ELNS1_11target_archE1100ELNS1_3gpuE3ELNS1_3repE0EEENS1_30default_config_static_selectorELNS0_4arch9wavefront6targetE0EEEvT1_.num_agpr, 0
	.set _ZN7rocprim17ROCPRIM_400000_NS6detail17trampoline_kernelINS0_14default_configENS1_25partition_config_selectorILNS1_17partition_subalgoE9EllbEEZZNS1_14partition_implILS5_9ELb0ES3_jPlS8_PNS0_10empty_typeENS0_5tupleIJS8_S9_EEENSB_IJS8_SA_EEENS0_18inequality_wrapperIZN2at6native12_GLOBAL__N_124unique_dim_cuda_templateImEESt5tupleIJNSF_6TensorESK_SK_EERKSK_lbbbEUlllE0_EEPmJS9_EEE10hipError_tPvRmT3_T4_T5_T6_T7_T9_mT8_P12ihipStream_tbDpT10_ENKUlT_T0_E_clISt17integral_constantIbLb0EES19_IbLb1EEEEDaS15_S16_EUlS15_E_NS1_11comp_targetILNS1_3genE9ELNS1_11target_archE1100ELNS1_3gpuE3ELNS1_3repE0EEENS1_30default_config_static_selectorELNS0_4arch9wavefront6targetE0EEEvT1_.numbered_sgpr, 0
	.set _ZN7rocprim17ROCPRIM_400000_NS6detail17trampoline_kernelINS0_14default_configENS1_25partition_config_selectorILNS1_17partition_subalgoE9EllbEEZZNS1_14partition_implILS5_9ELb0ES3_jPlS8_PNS0_10empty_typeENS0_5tupleIJS8_S9_EEENSB_IJS8_SA_EEENS0_18inequality_wrapperIZN2at6native12_GLOBAL__N_124unique_dim_cuda_templateImEESt5tupleIJNSF_6TensorESK_SK_EERKSK_lbbbEUlllE0_EEPmJS9_EEE10hipError_tPvRmT3_T4_T5_T6_T7_T9_mT8_P12ihipStream_tbDpT10_ENKUlT_T0_E_clISt17integral_constantIbLb0EES19_IbLb1EEEEDaS15_S16_EUlS15_E_NS1_11comp_targetILNS1_3genE9ELNS1_11target_archE1100ELNS1_3gpuE3ELNS1_3repE0EEENS1_30default_config_static_selectorELNS0_4arch9wavefront6targetE0EEEvT1_.num_named_barrier, 0
	.set _ZN7rocprim17ROCPRIM_400000_NS6detail17trampoline_kernelINS0_14default_configENS1_25partition_config_selectorILNS1_17partition_subalgoE9EllbEEZZNS1_14partition_implILS5_9ELb0ES3_jPlS8_PNS0_10empty_typeENS0_5tupleIJS8_S9_EEENSB_IJS8_SA_EEENS0_18inequality_wrapperIZN2at6native12_GLOBAL__N_124unique_dim_cuda_templateImEESt5tupleIJNSF_6TensorESK_SK_EERKSK_lbbbEUlllE0_EEPmJS9_EEE10hipError_tPvRmT3_T4_T5_T6_T7_T9_mT8_P12ihipStream_tbDpT10_ENKUlT_T0_E_clISt17integral_constantIbLb0EES19_IbLb1EEEEDaS15_S16_EUlS15_E_NS1_11comp_targetILNS1_3genE9ELNS1_11target_archE1100ELNS1_3gpuE3ELNS1_3repE0EEENS1_30default_config_static_selectorELNS0_4arch9wavefront6targetE0EEEvT1_.private_seg_size, 0
	.set _ZN7rocprim17ROCPRIM_400000_NS6detail17trampoline_kernelINS0_14default_configENS1_25partition_config_selectorILNS1_17partition_subalgoE9EllbEEZZNS1_14partition_implILS5_9ELb0ES3_jPlS8_PNS0_10empty_typeENS0_5tupleIJS8_S9_EEENSB_IJS8_SA_EEENS0_18inequality_wrapperIZN2at6native12_GLOBAL__N_124unique_dim_cuda_templateImEESt5tupleIJNSF_6TensorESK_SK_EERKSK_lbbbEUlllE0_EEPmJS9_EEE10hipError_tPvRmT3_T4_T5_T6_T7_T9_mT8_P12ihipStream_tbDpT10_ENKUlT_T0_E_clISt17integral_constantIbLb0EES19_IbLb1EEEEDaS15_S16_EUlS15_E_NS1_11comp_targetILNS1_3genE9ELNS1_11target_archE1100ELNS1_3gpuE3ELNS1_3repE0EEENS1_30default_config_static_selectorELNS0_4arch9wavefront6targetE0EEEvT1_.uses_vcc, 0
	.set _ZN7rocprim17ROCPRIM_400000_NS6detail17trampoline_kernelINS0_14default_configENS1_25partition_config_selectorILNS1_17partition_subalgoE9EllbEEZZNS1_14partition_implILS5_9ELb0ES3_jPlS8_PNS0_10empty_typeENS0_5tupleIJS8_S9_EEENSB_IJS8_SA_EEENS0_18inequality_wrapperIZN2at6native12_GLOBAL__N_124unique_dim_cuda_templateImEESt5tupleIJNSF_6TensorESK_SK_EERKSK_lbbbEUlllE0_EEPmJS9_EEE10hipError_tPvRmT3_T4_T5_T6_T7_T9_mT8_P12ihipStream_tbDpT10_ENKUlT_T0_E_clISt17integral_constantIbLb0EES19_IbLb1EEEEDaS15_S16_EUlS15_E_NS1_11comp_targetILNS1_3genE9ELNS1_11target_archE1100ELNS1_3gpuE3ELNS1_3repE0EEENS1_30default_config_static_selectorELNS0_4arch9wavefront6targetE0EEEvT1_.uses_flat_scratch, 0
	.set _ZN7rocprim17ROCPRIM_400000_NS6detail17trampoline_kernelINS0_14default_configENS1_25partition_config_selectorILNS1_17partition_subalgoE9EllbEEZZNS1_14partition_implILS5_9ELb0ES3_jPlS8_PNS0_10empty_typeENS0_5tupleIJS8_S9_EEENSB_IJS8_SA_EEENS0_18inequality_wrapperIZN2at6native12_GLOBAL__N_124unique_dim_cuda_templateImEESt5tupleIJNSF_6TensorESK_SK_EERKSK_lbbbEUlllE0_EEPmJS9_EEE10hipError_tPvRmT3_T4_T5_T6_T7_T9_mT8_P12ihipStream_tbDpT10_ENKUlT_T0_E_clISt17integral_constantIbLb0EES19_IbLb1EEEEDaS15_S16_EUlS15_E_NS1_11comp_targetILNS1_3genE9ELNS1_11target_archE1100ELNS1_3gpuE3ELNS1_3repE0EEENS1_30default_config_static_selectorELNS0_4arch9wavefront6targetE0EEEvT1_.has_dyn_sized_stack, 0
	.set _ZN7rocprim17ROCPRIM_400000_NS6detail17trampoline_kernelINS0_14default_configENS1_25partition_config_selectorILNS1_17partition_subalgoE9EllbEEZZNS1_14partition_implILS5_9ELb0ES3_jPlS8_PNS0_10empty_typeENS0_5tupleIJS8_S9_EEENSB_IJS8_SA_EEENS0_18inequality_wrapperIZN2at6native12_GLOBAL__N_124unique_dim_cuda_templateImEESt5tupleIJNSF_6TensorESK_SK_EERKSK_lbbbEUlllE0_EEPmJS9_EEE10hipError_tPvRmT3_T4_T5_T6_T7_T9_mT8_P12ihipStream_tbDpT10_ENKUlT_T0_E_clISt17integral_constantIbLb0EES19_IbLb1EEEEDaS15_S16_EUlS15_E_NS1_11comp_targetILNS1_3genE9ELNS1_11target_archE1100ELNS1_3gpuE3ELNS1_3repE0EEENS1_30default_config_static_selectorELNS0_4arch9wavefront6targetE0EEEvT1_.has_recursion, 0
	.set _ZN7rocprim17ROCPRIM_400000_NS6detail17trampoline_kernelINS0_14default_configENS1_25partition_config_selectorILNS1_17partition_subalgoE9EllbEEZZNS1_14partition_implILS5_9ELb0ES3_jPlS8_PNS0_10empty_typeENS0_5tupleIJS8_S9_EEENSB_IJS8_SA_EEENS0_18inequality_wrapperIZN2at6native12_GLOBAL__N_124unique_dim_cuda_templateImEESt5tupleIJNSF_6TensorESK_SK_EERKSK_lbbbEUlllE0_EEPmJS9_EEE10hipError_tPvRmT3_T4_T5_T6_T7_T9_mT8_P12ihipStream_tbDpT10_ENKUlT_T0_E_clISt17integral_constantIbLb0EES19_IbLb1EEEEDaS15_S16_EUlS15_E_NS1_11comp_targetILNS1_3genE9ELNS1_11target_archE1100ELNS1_3gpuE3ELNS1_3repE0EEENS1_30default_config_static_selectorELNS0_4arch9wavefront6targetE0EEEvT1_.has_indirect_call, 0
	.section	.AMDGPU.csdata,"",@progbits
; Kernel info:
; codeLenInByte = 0
; TotalNumSgprs: 0
; NumVgprs: 0
; ScratchSize: 0
; MemoryBound: 0
; FloatMode: 240
; IeeeMode: 1
; LDSByteSize: 0 bytes/workgroup (compile time only)
; SGPRBlocks: 0
; VGPRBlocks: 0
; NumSGPRsForWavesPerEU: 1
; NumVGPRsForWavesPerEU: 1
; NamedBarCnt: 0
; Occupancy: 16
; WaveLimiterHint : 0
; COMPUTE_PGM_RSRC2:SCRATCH_EN: 0
; COMPUTE_PGM_RSRC2:USER_SGPR: 2
; COMPUTE_PGM_RSRC2:TRAP_HANDLER: 0
; COMPUTE_PGM_RSRC2:TGID_X_EN: 1
; COMPUTE_PGM_RSRC2:TGID_Y_EN: 0
; COMPUTE_PGM_RSRC2:TGID_Z_EN: 0
; COMPUTE_PGM_RSRC2:TIDIG_COMP_CNT: 0
	.section	.text._ZN7rocprim17ROCPRIM_400000_NS6detail17trampoline_kernelINS0_14default_configENS1_25partition_config_selectorILNS1_17partition_subalgoE9EllbEEZZNS1_14partition_implILS5_9ELb0ES3_jPlS8_PNS0_10empty_typeENS0_5tupleIJS8_S9_EEENSB_IJS8_SA_EEENS0_18inequality_wrapperIZN2at6native12_GLOBAL__N_124unique_dim_cuda_templateImEESt5tupleIJNSF_6TensorESK_SK_EERKSK_lbbbEUlllE0_EEPmJS9_EEE10hipError_tPvRmT3_T4_T5_T6_T7_T9_mT8_P12ihipStream_tbDpT10_ENKUlT_T0_E_clISt17integral_constantIbLb0EES19_IbLb1EEEEDaS15_S16_EUlS15_E_NS1_11comp_targetILNS1_3genE8ELNS1_11target_archE1030ELNS1_3gpuE2ELNS1_3repE0EEENS1_30default_config_static_selectorELNS0_4arch9wavefront6targetE0EEEvT1_,"axG",@progbits,_ZN7rocprim17ROCPRIM_400000_NS6detail17trampoline_kernelINS0_14default_configENS1_25partition_config_selectorILNS1_17partition_subalgoE9EllbEEZZNS1_14partition_implILS5_9ELb0ES3_jPlS8_PNS0_10empty_typeENS0_5tupleIJS8_S9_EEENSB_IJS8_SA_EEENS0_18inequality_wrapperIZN2at6native12_GLOBAL__N_124unique_dim_cuda_templateImEESt5tupleIJNSF_6TensorESK_SK_EERKSK_lbbbEUlllE0_EEPmJS9_EEE10hipError_tPvRmT3_T4_T5_T6_T7_T9_mT8_P12ihipStream_tbDpT10_ENKUlT_T0_E_clISt17integral_constantIbLb0EES19_IbLb1EEEEDaS15_S16_EUlS15_E_NS1_11comp_targetILNS1_3genE8ELNS1_11target_archE1030ELNS1_3gpuE2ELNS1_3repE0EEENS1_30default_config_static_selectorELNS0_4arch9wavefront6targetE0EEEvT1_,comdat
	.globl	_ZN7rocprim17ROCPRIM_400000_NS6detail17trampoline_kernelINS0_14default_configENS1_25partition_config_selectorILNS1_17partition_subalgoE9EllbEEZZNS1_14partition_implILS5_9ELb0ES3_jPlS8_PNS0_10empty_typeENS0_5tupleIJS8_S9_EEENSB_IJS8_SA_EEENS0_18inequality_wrapperIZN2at6native12_GLOBAL__N_124unique_dim_cuda_templateImEESt5tupleIJNSF_6TensorESK_SK_EERKSK_lbbbEUlllE0_EEPmJS9_EEE10hipError_tPvRmT3_T4_T5_T6_T7_T9_mT8_P12ihipStream_tbDpT10_ENKUlT_T0_E_clISt17integral_constantIbLb0EES19_IbLb1EEEEDaS15_S16_EUlS15_E_NS1_11comp_targetILNS1_3genE8ELNS1_11target_archE1030ELNS1_3gpuE2ELNS1_3repE0EEENS1_30default_config_static_selectorELNS0_4arch9wavefront6targetE0EEEvT1_ ; -- Begin function _ZN7rocprim17ROCPRIM_400000_NS6detail17trampoline_kernelINS0_14default_configENS1_25partition_config_selectorILNS1_17partition_subalgoE9EllbEEZZNS1_14partition_implILS5_9ELb0ES3_jPlS8_PNS0_10empty_typeENS0_5tupleIJS8_S9_EEENSB_IJS8_SA_EEENS0_18inequality_wrapperIZN2at6native12_GLOBAL__N_124unique_dim_cuda_templateImEESt5tupleIJNSF_6TensorESK_SK_EERKSK_lbbbEUlllE0_EEPmJS9_EEE10hipError_tPvRmT3_T4_T5_T6_T7_T9_mT8_P12ihipStream_tbDpT10_ENKUlT_T0_E_clISt17integral_constantIbLb0EES19_IbLb1EEEEDaS15_S16_EUlS15_E_NS1_11comp_targetILNS1_3genE8ELNS1_11target_archE1030ELNS1_3gpuE2ELNS1_3repE0EEENS1_30default_config_static_selectorELNS0_4arch9wavefront6targetE0EEEvT1_
	.p2align	8
	.type	_ZN7rocprim17ROCPRIM_400000_NS6detail17trampoline_kernelINS0_14default_configENS1_25partition_config_selectorILNS1_17partition_subalgoE9EllbEEZZNS1_14partition_implILS5_9ELb0ES3_jPlS8_PNS0_10empty_typeENS0_5tupleIJS8_S9_EEENSB_IJS8_SA_EEENS0_18inequality_wrapperIZN2at6native12_GLOBAL__N_124unique_dim_cuda_templateImEESt5tupleIJNSF_6TensorESK_SK_EERKSK_lbbbEUlllE0_EEPmJS9_EEE10hipError_tPvRmT3_T4_T5_T6_T7_T9_mT8_P12ihipStream_tbDpT10_ENKUlT_T0_E_clISt17integral_constantIbLb0EES19_IbLb1EEEEDaS15_S16_EUlS15_E_NS1_11comp_targetILNS1_3genE8ELNS1_11target_archE1030ELNS1_3gpuE2ELNS1_3repE0EEENS1_30default_config_static_selectorELNS0_4arch9wavefront6targetE0EEEvT1_,@function
_ZN7rocprim17ROCPRIM_400000_NS6detail17trampoline_kernelINS0_14default_configENS1_25partition_config_selectorILNS1_17partition_subalgoE9EllbEEZZNS1_14partition_implILS5_9ELb0ES3_jPlS8_PNS0_10empty_typeENS0_5tupleIJS8_S9_EEENSB_IJS8_SA_EEENS0_18inequality_wrapperIZN2at6native12_GLOBAL__N_124unique_dim_cuda_templateImEESt5tupleIJNSF_6TensorESK_SK_EERKSK_lbbbEUlllE0_EEPmJS9_EEE10hipError_tPvRmT3_T4_T5_T6_T7_T9_mT8_P12ihipStream_tbDpT10_ENKUlT_T0_E_clISt17integral_constantIbLb0EES19_IbLb1EEEEDaS15_S16_EUlS15_E_NS1_11comp_targetILNS1_3genE8ELNS1_11target_archE1030ELNS1_3gpuE2ELNS1_3repE0EEENS1_30default_config_static_selectorELNS0_4arch9wavefront6targetE0EEEvT1_: ; @_ZN7rocprim17ROCPRIM_400000_NS6detail17trampoline_kernelINS0_14default_configENS1_25partition_config_selectorILNS1_17partition_subalgoE9EllbEEZZNS1_14partition_implILS5_9ELb0ES3_jPlS8_PNS0_10empty_typeENS0_5tupleIJS8_S9_EEENSB_IJS8_SA_EEENS0_18inequality_wrapperIZN2at6native12_GLOBAL__N_124unique_dim_cuda_templateImEESt5tupleIJNSF_6TensorESK_SK_EERKSK_lbbbEUlllE0_EEPmJS9_EEE10hipError_tPvRmT3_T4_T5_T6_T7_T9_mT8_P12ihipStream_tbDpT10_ENKUlT_T0_E_clISt17integral_constantIbLb0EES19_IbLb1EEEEDaS15_S16_EUlS15_E_NS1_11comp_targetILNS1_3genE8ELNS1_11target_archE1030ELNS1_3gpuE2ELNS1_3repE0EEENS1_30default_config_static_selectorELNS0_4arch9wavefront6targetE0EEEvT1_
; %bb.0:
	.section	.rodata,"a",@progbits
	.p2align	6, 0x0
	.amdhsa_kernel _ZN7rocprim17ROCPRIM_400000_NS6detail17trampoline_kernelINS0_14default_configENS1_25partition_config_selectorILNS1_17partition_subalgoE9EllbEEZZNS1_14partition_implILS5_9ELb0ES3_jPlS8_PNS0_10empty_typeENS0_5tupleIJS8_S9_EEENSB_IJS8_SA_EEENS0_18inequality_wrapperIZN2at6native12_GLOBAL__N_124unique_dim_cuda_templateImEESt5tupleIJNSF_6TensorESK_SK_EERKSK_lbbbEUlllE0_EEPmJS9_EEE10hipError_tPvRmT3_T4_T5_T6_T7_T9_mT8_P12ihipStream_tbDpT10_ENKUlT_T0_E_clISt17integral_constantIbLb0EES19_IbLb1EEEEDaS15_S16_EUlS15_E_NS1_11comp_targetILNS1_3genE8ELNS1_11target_archE1030ELNS1_3gpuE2ELNS1_3repE0EEENS1_30default_config_static_selectorELNS0_4arch9wavefront6targetE0EEEvT1_
		.amdhsa_group_segment_fixed_size 0
		.amdhsa_private_segment_fixed_size 0
		.amdhsa_kernarg_size 136
		.amdhsa_user_sgpr_count 2
		.amdhsa_user_sgpr_dispatch_ptr 0
		.amdhsa_user_sgpr_queue_ptr 0
		.amdhsa_user_sgpr_kernarg_segment_ptr 1
		.amdhsa_user_sgpr_dispatch_id 0
		.amdhsa_user_sgpr_kernarg_preload_length 0
		.amdhsa_user_sgpr_kernarg_preload_offset 0
		.amdhsa_user_sgpr_private_segment_size 0
		.amdhsa_wavefront_size32 1
		.amdhsa_uses_dynamic_stack 0
		.amdhsa_enable_private_segment 0
		.amdhsa_system_sgpr_workgroup_id_x 1
		.amdhsa_system_sgpr_workgroup_id_y 0
		.amdhsa_system_sgpr_workgroup_id_z 0
		.amdhsa_system_sgpr_workgroup_info 0
		.amdhsa_system_vgpr_workitem_id 0
		.amdhsa_next_free_vgpr 1
		.amdhsa_next_free_sgpr 1
		.amdhsa_named_barrier_count 0
		.amdhsa_reserve_vcc 0
		.amdhsa_float_round_mode_32 0
		.amdhsa_float_round_mode_16_64 0
		.amdhsa_float_denorm_mode_32 3
		.amdhsa_float_denorm_mode_16_64 3
		.amdhsa_fp16_overflow 0
		.amdhsa_memory_ordered 1
		.amdhsa_forward_progress 1
		.amdhsa_inst_pref_size 0
		.amdhsa_round_robin_scheduling 0
		.amdhsa_exception_fp_ieee_invalid_op 0
		.amdhsa_exception_fp_denorm_src 0
		.amdhsa_exception_fp_ieee_div_zero 0
		.amdhsa_exception_fp_ieee_overflow 0
		.amdhsa_exception_fp_ieee_underflow 0
		.amdhsa_exception_fp_ieee_inexact 0
		.amdhsa_exception_int_div_zero 0
	.end_amdhsa_kernel
	.section	.text._ZN7rocprim17ROCPRIM_400000_NS6detail17trampoline_kernelINS0_14default_configENS1_25partition_config_selectorILNS1_17partition_subalgoE9EllbEEZZNS1_14partition_implILS5_9ELb0ES3_jPlS8_PNS0_10empty_typeENS0_5tupleIJS8_S9_EEENSB_IJS8_SA_EEENS0_18inequality_wrapperIZN2at6native12_GLOBAL__N_124unique_dim_cuda_templateImEESt5tupleIJNSF_6TensorESK_SK_EERKSK_lbbbEUlllE0_EEPmJS9_EEE10hipError_tPvRmT3_T4_T5_T6_T7_T9_mT8_P12ihipStream_tbDpT10_ENKUlT_T0_E_clISt17integral_constantIbLb0EES19_IbLb1EEEEDaS15_S16_EUlS15_E_NS1_11comp_targetILNS1_3genE8ELNS1_11target_archE1030ELNS1_3gpuE2ELNS1_3repE0EEENS1_30default_config_static_selectorELNS0_4arch9wavefront6targetE0EEEvT1_,"axG",@progbits,_ZN7rocprim17ROCPRIM_400000_NS6detail17trampoline_kernelINS0_14default_configENS1_25partition_config_selectorILNS1_17partition_subalgoE9EllbEEZZNS1_14partition_implILS5_9ELb0ES3_jPlS8_PNS0_10empty_typeENS0_5tupleIJS8_S9_EEENSB_IJS8_SA_EEENS0_18inequality_wrapperIZN2at6native12_GLOBAL__N_124unique_dim_cuda_templateImEESt5tupleIJNSF_6TensorESK_SK_EERKSK_lbbbEUlllE0_EEPmJS9_EEE10hipError_tPvRmT3_T4_T5_T6_T7_T9_mT8_P12ihipStream_tbDpT10_ENKUlT_T0_E_clISt17integral_constantIbLb0EES19_IbLb1EEEEDaS15_S16_EUlS15_E_NS1_11comp_targetILNS1_3genE8ELNS1_11target_archE1030ELNS1_3gpuE2ELNS1_3repE0EEENS1_30default_config_static_selectorELNS0_4arch9wavefront6targetE0EEEvT1_,comdat
.Lfunc_end1726:
	.size	_ZN7rocprim17ROCPRIM_400000_NS6detail17trampoline_kernelINS0_14default_configENS1_25partition_config_selectorILNS1_17partition_subalgoE9EllbEEZZNS1_14partition_implILS5_9ELb0ES3_jPlS8_PNS0_10empty_typeENS0_5tupleIJS8_S9_EEENSB_IJS8_SA_EEENS0_18inequality_wrapperIZN2at6native12_GLOBAL__N_124unique_dim_cuda_templateImEESt5tupleIJNSF_6TensorESK_SK_EERKSK_lbbbEUlllE0_EEPmJS9_EEE10hipError_tPvRmT3_T4_T5_T6_T7_T9_mT8_P12ihipStream_tbDpT10_ENKUlT_T0_E_clISt17integral_constantIbLb0EES19_IbLb1EEEEDaS15_S16_EUlS15_E_NS1_11comp_targetILNS1_3genE8ELNS1_11target_archE1030ELNS1_3gpuE2ELNS1_3repE0EEENS1_30default_config_static_selectorELNS0_4arch9wavefront6targetE0EEEvT1_, .Lfunc_end1726-_ZN7rocprim17ROCPRIM_400000_NS6detail17trampoline_kernelINS0_14default_configENS1_25partition_config_selectorILNS1_17partition_subalgoE9EllbEEZZNS1_14partition_implILS5_9ELb0ES3_jPlS8_PNS0_10empty_typeENS0_5tupleIJS8_S9_EEENSB_IJS8_SA_EEENS0_18inequality_wrapperIZN2at6native12_GLOBAL__N_124unique_dim_cuda_templateImEESt5tupleIJNSF_6TensorESK_SK_EERKSK_lbbbEUlllE0_EEPmJS9_EEE10hipError_tPvRmT3_T4_T5_T6_T7_T9_mT8_P12ihipStream_tbDpT10_ENKUlT_T0_E_clISt17integral_constantIbLb0EES19_IbLb1EEEEDaS15_S16_EUlS15_E_NS1_11comp_targetILNS1_3genE8ELNS1_11target_archE1030ELNS1_3gpuE2ELNS1_3repE0EEENS1_30default_config_static_selectorELNS0_4arch9wavefront6targetE0EEEvT1_
                                        ; -- End function
	.set _ZN7rocprim17ROCPRIM_400000_NS6detail17trampoline_kernelINS0_14default_configENS1_25partition_config_selectorILNS1_17partition_subalgoE9EllbEEZZNS1_14partition_implILS5_9ELb0ES3_jPlS8_PNS0_10empty_typeENS0_5tupleIJS8_S9_EEENSB_IJS8_SA_EEENS0_18inequality_wrapperIZN2at6native12_GLOBAL__N_124unique_dim_cuda_templateImEESt5tupleIJNSF_6TensorESK_SK_EERKSK_lbbbEUlllE0_EEPmJS9_EEE10hipError_tPvRmT3_T4_T5_T6_T7_T9_mT8_P12ihipStream_tbDpT10_ENKUlT_T0_E_clISt17integral_constantIbLb0EES19_IbLb1EEEEDaS15_S16_EUlS15_E_NS1_11comp_targetILNS1_3genE8ELNS1_11target_archE1030ELNS1_3gpuE2ELNS1_3repE0EEENS1_30default_config_static_selectorELNS0_4arch9wavefront6targetE0EEEvT1_.num_vgpr, 0
	.set _ZN7rocprim17ROCPRIM_400000_NS6detail17trampoline_kernelINS0_14default_configENS1_25partition_config_selectorILNS1_17partition_subalgoE9EllbEEZZNS1_14partition_implILS5_9ELb0ES3_jPlS8_PNS0_10empty_typeENS0_5tupleIJS8_S9_EEENSB_IJS8_SA_EEENS0_18inequality_wrapperIZN2at6native12_GLOBAL__N_124unique_dim_cuda_templateImEESt5tupleIJNSF_6TensorESK_SK_EERKSK_lbbbEUlllE0_EEPmJS9_EEE10hipError_tPvRmT3_T4_T5_T6_T7_T9_mT8_P12ihipStream_tbDpT10_ENKUlT_T0_E_clISt17integral_constantIbLb0EES19_IbLb1EEEEDaS15_S16_EUlS15_E_NS1_11comp_targetILNS1_3genE8ELNS1_11target_archE1030ELNS1_3gpuE2ELNS1_3repE0EEENS1_30default_config_static_selectorELNS0_4arch9wavefront6targetE0EEEvT1_.num_agpr, 0
	.set _ZN7rocprim17ROCPRIM_400000_NS6detail17trampoline_kernelINS0_14default_configENS1_25partition_config_selectorILNS1_17partition_subalgoE9EllbEEZZNS1_14partition_implILS5_9ELb0ES3_jPlS8_PNS0_10empty_typeENS0_5tupleIJS8_S9_EEENSB_IJS8_SA_EEENS0_18inequality_wrapperIZN2at6native12_GLOBAL__N_124unique_dim_cuda_templateImEESt5tupleIJNSF_6TensorESK_SK_EERKSK_lbbbEUlllE0_EEPmJS9_EEE10hipError_tPvRmT3_T4_T5_T6_T7_T9_mT8_P12ihipStream_tbDpT10_ENKUlT_T0_E_clISt17integral_constantIbLb0EES19_IbLb1EEEEDaS15_S16_EUlS15_E_NS1_11comp_targetILNS1_3genE8ELNS1_11target_archE1030ELNS1_3gpuE2ELNS1_3repE0EEENS1_30default_config_static_selectorELNS0_4arch9wavefront6targetE0EEEvT1_.numbered_sgpr, 0
	.set _ZN7rocprim17ROCPRIM_400000_NS6detail17trampoline_kernelINS0_14default_configENS1_25partition_config_selectorILNS1_17partition_subalgoE9EllbEEZZNS1_14partition_implILS5_9ELb0ES3_jPlS8_PNS0_10empty_typeENS0_5tupleIJS8_S9_EEENSB_IJS8_SA_EEENS0_18inequality_wrapperIZN2at6native12_GLOBAL__N_124unique_dim_cuda_templateImEESt5tupleIJNSF_6TensorESK_SK_EERKSK_lbbbEUlllE0_EEPmJS9_EEE10hipError_tPvRmT3_T4_T5_T6_T7_T9_mT8_P12ihipStream_tbDpT10_ENKUlT_T0_E_clISt17integral_constantIbLb0EES19_IbLb1EEEEDaS15_S16_EUlS15_E_NS1_11comp_targetILNS1_3genE8ELNS1_11target_archE1030ELNS1_3gpuE2ELNS1_3repE0EEENS1_30default_config_static_selectorELNS0_4arch9wavefront6targetE0EEEvT1_.num_named_barrier, 0
	.set _ZN7rocprim17ROCPRIM_400000_NS6detail17trampoline_kernelINS0_14default_configENS1_25partition_config_selectorILNS1_17partition_subalgoE9EllbEEZZNS1_14partition_implILS5_9ELb0ES3_jPlS8_PNS0_10empty_typeENS0_5tupleIJS8_S9_EEENSB_IJS8_SA_EEENS0_18inequality_wrapperIZN2at6native12_GLOBAL__N_124unique_dim_cuda_templateImEESt5tupleIJNSF_6TensorESK_SK_EERKSK_lbbbEUlllE0_EEPmJS9_EEE10hipError_tPvRmT3_T4_T5_T6_T7_T9_mT8_P12ihipStream_tbDpT10_ENKUlT_T0_E_clISt17integral_constantIbLb0EES19_IbLb1EEEEDaS15_S16_EUlS15_E_NS1_11comp_targetILNS1_3genE8ELNS1_11target_archE1030ELNS1_3gpuE2ELNS1_3repE0EEENS1_30default_config_static_selectorELNS0_4arch9wavefront6targetE0EEEvT1_.private_seg_size, 0
	.set _ZN7rocprim17ROCPRIM_400000_NS6detail17trampoline_kernelINS0_14default_configENS1_25partition_config_selectorILNS1_17partition_subalgoE9EllbEEZZNS1_14partition_implILS5_9ELb0ES3_jPlS8_PNS0_10empty_typeENS0_5tupleIJS8_S9_EEENSB_IJS8_SA_EEENS0_18inequality_wrapperIZN2at6native12_GLOBAL__N_124unique_dim_cuda_templateImEESt5tupleIJNSF_6TensorESK_SK_EERKSK_lbbbEUlllE0_EEPmJS9_EEE10hipError_tPvRmT3_T4_T5_T6_T7_T9_mT8_P12ihipStream_tbDpT10_ENKUlT_T0_E_clISt17integral_constantIbLb0EES19_IbLb1EEEEDaS15_S16_EUlS15_E_NS1_11comp_targetILNS1_3genE8ELNS1_11target_archE1030ELNS1_3gpuE2ELNS1_3repE0EEENS1_30default_config_static_selectorELNS0_4arch9wavefront6targetE0EEEvT1_.uses_vcc, 0
	.set _ZN7rocprim17ROCPRIM_400000_NS6detail17trampoline_kernelINS0_14default_configENS1_25partition_config_selectorILNS1_17partition_subalgoE9EllbEEZZNS1_14partition_implILS5_9ELb0ES3_jPlS8_PNS0_10empty_typeENS0_5tupleIJS8_S9_EEENSB_IJS8_SA_EEENS0_18inequality_wrapperIZN2at6native12_GLOBAL__N_124unique_dim_cuda_templateImEESt5tupleIJNSF_6TensorESK_SK_EERKSK_lbbbEUlllE0_EEPmJS9_EEE10hipError_tPvRmT3_T4_T5_T6_T7_T9_mT8_P12ihipStream_tbDpT10_ENKUlT_T0_E_clISt17integral_constantIbLb0EES19_IbLb1EEEEDaS15_S16_EUlS15_E_NS1_11comp_targetILNS1_3genE8ELNS1_11target_archE1030ELNS1_3gpuE2ELNS1_3repE0EEENS1_30default_config_static_selectorELNS0_4arch9wavefront6targetE0EEEvT1_.uses_flat_scratch, 0
	.set _ZN7rocprim17ROCPRIM_400000_NS6detail17trampoline_kernelINS0_14default_configENS1_25partition_config_selectorILNS1_17partition_subalgoE9EllbEEZZNS1_14partition_implILS5_9ELb0ES3_jPlS8_PNS0_10empty_typeENS0_5tupleIJS8_S9_EEENSB_IJS8_SA_EEENS0_18inequality_wrapperIZN2at6native12_GLOBAL__N_124unique_dim_cuda_templateImEESt5tupleIJNSF_6TensorESK_SK_EERKSK_lbbbEUlllE0_EEPmJS9_EEE10hipError_tPvRmT3_T4_T5_T6_T7_T9_mT8_P12ihipStream_tbDpT10_ENKUlT_T0_E_clISt17integral_constantIbLb0EES19_IbLb1EEEEDaS15_S16_EUlS15_E_NS1_11comp_targetILNS1_3genE8ELNS1_11target_archE1030ELNS1_3gpuE2ELNS1_3repE0EEENS1_30default_config_static_selectorELNS0_4arch9wavefront6targetE0EEEvT1_.has_dyn_sized_stack, 0
	.set _ZN7rocprim17ROCPRIM_400000_NS6detail17trampoline_kernelINS0_14default_configENS1_25partition_config_selectorILNS1_17partition_subalgoE9EllbEEZZNS1_14partition_implILS5_9ELb0ES3_jPlS8_PNS0_10empty_typeENS0_5tupleIJS8_S9_EEENSB_IJS8_SA_EEENS0_18inequality_wrapperIZN2at6native12_GLOBAL__N_124unique_dim_cuda_templateImEESt5tupleIJNSF_6TensorESK_SK_EERKSK_lbbbEUlllE0_EEPmJS9_EEE10hipError_tPvRmT3_T4_T5_T6_T7_T9_mT8_P12ihipStream_tbDpT10_ENKUlT_T0_E_clISt17integral_constantIbLb0EES19_IbLb1EEEEDaS15_S16_EUlS15_E_NS1_11comp_targetILNS1_3genE8ELNS1_11target_archE1030ELNS1_3gpuE2ELNS1_3repE0EEENS1_30default_config_static_selectorELNS0_4arch9wavefront6targetE0EEEvT1_.has_recursion, 0
	.set _ZN7rocprim17ROCPRIM_400000_NS6detail17trampoline_kernelINS0_14default_configENS1_25partition_config_selectorILNS1_17partition_subalgoE9EllbEEZZNS1_14partition_implILS5_9ELb0ES3_jPlS8_PNS0_10empty_typeENS0_5tupleIJS8_S9_EEENSB_IJS8_SA_EEENS0_18inequality_wrapperIZN2at6native12_GLOBAL__N_124unique_dim_cuda_templateImEESt5tupleIJNSF_6TensorESK_SK_EERKSK_lbbbEUlllE0_EEPmJS9_EEE10hipError_tPvRmT3_T4_T5_T6_T7_T9_mT8_P12ihipStream_tbDpT10_ENKUlT_T0_E_clISt17integral_constantIbLb0EES19_IbLb1EEEEDaS15_S16_EUlS15_E_NS1_11comp_targetILNS1_3genE8ELNS1_11target_archE1030ELNS1_3gpuE2ELNS1_3repE0EEENS1_30default_config_static_selectorELNS0_4arch9wavefront6targetE0EEEvT1_.has_indirect_call, 0
	.section	.AMDGPU.csdata,"",@progbits
; Kernel info:
; codeLenInByte = 0
; TotalNumSgprs: 0
; NumVgprs: 0
; ScratchSize: 0
; MemoryBound: 0
; FloatMode: 240
; IeeeMode: 1
; LDSByteSize: 0 bytes/workgroup (compile time only)
; SGPRBlocks: 0
; VGPRBlocks: 0
; NumSGPRsForWavesPerEU: 1
; NumVGPRsForWavesPerEU: 1
; NamedBarCnt: 0
; Occupancy: 16
; WaveLimiterHint : 0
; COMPUTE_PGM_RSRC2:SCRATCH_EN: 0
; COMPUTE_PGM_RSRC2:USER_SGPR: 2
; COMPUTE_PGM_RSRC2:TRAP_HANDLER: 0
; COMPUTE_PGM_RSRC2:TGID_X_EN: 1
; COMPUTE_PGM_RSRC2:TGID_Y_EN: 0
; COMPUTE_PGM_RSRC2:TGID_Z_EN: 0
; COMPUTE_PGM_RSRC2:TIDIG_COMP_CNT: 0
	.text
	.p2alignl 7, 3214868480
	.fill 96, 4, 3214868480
	.section	.AMDGPU.gpr_maximums,"",@progbits
	.set amdgpu.max_num_vgpr, 120
	.set amdgpu.max_num_agpr, 0
	.set amdgpu.max_num_sgpr, 44
	.text
	.type	__hip_cuid_b672fb1c0ac3ade0,@object ; @__hip_cuid_b672fb1c0ac3ade0
	.section	.bss,"aw",@nobits
	.globl	__hip_cuid_b672fb1c0ac3ade0
__hip_cuid_b672fb1c0ac3ade0:
	.byte	0                               ; 0x0
	.size	__hip_cuid_b672fb1c0ac3ade0, 1

	.ident	"AMD clang version 22.0.0git (https://github.com/RadeonOpenCompute/llvm-project roc-7.2.4 26084 f58b06dce1f9c15707c5f808fd002e18c2accf7e)"
	.section	".note.GNU-stack","",@progbits
	.addrsig
	.addrsig_sym __hip_cuid_b672fb1c0ac3ade0
	.amdgpu_metadata
---
amdhsa.kernels:
  - .args:           []
    .group_segment_fixed_size: 0
    .kernarg_segment_align: 4
    .kernarg_segment_size: 0
    .language:       OpenCL C
    .language_version:
      - 2
      - 0
    .max_flat_workgroup_size: 1024
    .name:           _ZN7rocprim17ROCPRIM_400000_NS6detail44device_merge_sort_compile_time_verifier_archINS1_11comp_targetILNS1_3genE0ELNS1_11target_archE4294967295ELNS1_3gpuE0ELNS1_3repE0EEES8_NS0_14default_configES9_NS1_37merge_sort_block_sort_config_selectorIlNS0_10empty_typeEEENS1_38merge_sort_block_merge_config_selectorIlSB_EEEEvv
    .private_segment_fixed_size: 0
    .sgpr_count:     0
    .sgpr_spill_count: 0
    .symbol:         _ZN7rocprim17ROCPRIM_400000_NS6detail44device_merge_sort_compile_time_verifier_archINS1_11comp_targetILNS1_3genE0ELNS1_11target_archE4294967295ELNS1_3gpuE0ELNS1_3repE0EEES8_NS0_14default_configES9_NS1_37merge_sort_block_sort_config_selectorIlNS0_10empty_typeEEENS1_38merge_sort_block_merge_config_selectorIlSB_EEEEvv.kd
    .uniform_work_group_size: 1
    .uses_dynamic_stack: false
    .vgpr_count:     0
    .vgpr_spill_count: 0
    .wavefront_size: 32
  - .args:           []
    .group_segment_fixed_size: 0
    .kernarg_segment_align: 4
    .kernarg_segment_size: 0
    .language:       OpenCL C
    .language_version:
      - 2
      - 0
    .max_flat_workgroup_size: 1024
    .name:           _ZN7rocprim17ROCPRIM_400000_NS6detail44device_merge_sort_compile_time_verifier_archINS1_11comp_targetILNS1_3genE5ELNS1_11target_archE942ELNS1_3gpuE9ELNS1_3repE0EEES8_NS0_14default_configES9_NS1_37merge_sort_block_sort_config_selectorIlNS0_10empty_typeEEENS1_38merge_sort_block_merge_config_selectorIlSB_EEEEvv
    .private_segment_fixed_size: 0
    .sgpr_count:     0
    .sgpr_spill_count: 0
    .symbol:         _ZN7rocprim17ROCPRIM_400000_NS6detail44device_merge_sort_compile_time_verifier_archINS1_11comp_targetILNS1_3genE5ELNS1_11target_archE942ELNS1_3gpuE9ELNS1_3repE0EEES8_NS0_14default_configES9_NS1_37merge_sort_block_sort_config_selectorIlNS0_10empty_typeEEENS1_38merge_sort_block_merge_config_selectorIlSB_EEEEvv.kd
    .uniform_work_group_size: 1
    .uses_dynamic_stack: false
    .vgpr_count:     0
    .vgpr_spill_count: 0
    .wavefront_size: 32
  - .args:           []
    .group_segment_fixed_size: 0
    .kernarg_segment_align: 4
    .kernarg_segment_size: 0
    .language:       OpenCL C
    .language_version:
      - 2
      - 0
    .max_flat_workgroup_size: 1024
    .name:           _ZN7rocprim17ROCPRIM_400000_NS6detail44device_merge_sort_compile_time_verifier_archINS1_11comp_targetILNS1_3genE4ELNS1_11target_archE910ELNS1_3gpuE8ELNS1_3repE0EEES8_NS0_14default_configES9_NS1_37merge_sort_block_sort_config_selectorIlNS0_10empty_typeEEENS1_38merge_sort_block_merge_config_selectorIlSB_EEEEvv
    .private_segment_fixed_size: 0
    .sgpr_count:     0
    .sgpr_spill_count: 0
    .symbol:         _ZN7rocprim17ROCPRIM_400000_NS6detail44device_merge_sort_compile_time_verifier_archINS1_11comp_targetILNS1_3genE4ELNS1_11target_archE910ELNS1_3gpuE8ELNS1_3repE0EEES8_NS0_14default_configES9_NS1_37merge_sort_block_sort_config_selectorIlNS0_10empty_typeEEENS1_38merge_sort_block_merge_config_selectorIlSB_EEEEvv.kd
    .uniform_work_group_size: 1
    .uses_dynamic_stack: false
    .vgpr_count:     0
    .vgpr_spill_count: 0
    .wavefront_size: 32
  - .args:           []
    .group_segment_fixed_size: 0
    .kernarg_segment_align: 4
    .kernarg_segment_size: 0
    .language:       OpenCL C
    .language_version:
      - 2
      - 0
    .max_flat_workgroup_size: 1024
    .name:           _ZN7rocprim17ROCPRIM_400000_NS6detail44device_merge_sort_compile_time_verifier_archINS1_11comp_targetILNS1_3genE3ELNS1_11target_archE908ELNS1_3gpuE7ELNS1_3repE0EEES8_NS0_14default_configES9_NS1_37merge_sort_block_sort_config_selectorIlNS0_10empty_typeEEENS1_38merge_sort_block_merge_config_selectorIlSB_EEEEvv
    .private_segment_fixed_size: 0
    .sgpr_count:     0
    .sgpr_spill_count: 0
    .symbol:         _ZN7rocprim17ROCPRIM_400000_NS6detail44device_merge_sort_compile_time_verifier_archINS1_11comp_targetILNS1_3genE3ELNS1_11target_archE908ELNS1_3gpuE7ELNS1_3repE0EEES8_NS0_14default_configES9_NS1_37merge_sort_block_sort_config_selectorIlNS0_10empty_typeEEENS1_38merge_sort_block_merge_config_selectorIlSB_EEEEvv.kd
    .uniform_work_group_size: 1
    .uses_dynamic_stack: false
    .vgpr_count:     0
    .vgpr_spill_count: 0
    .wavefront_size: 32
  - .args:           []
    .group_segment_fixed_size: 0
    .kernarg_segment_align: 4
    .kernarg_segment_size: 0
    .language:       OpenCL C
    .language_version:
      - 2
      - 0
    .max_flat_workgroup_size: 1024
    .name:           _ZN7rocprim17ROCPRIM_400000_NS6detail44device_merge_sort_compile_time_verifier_archINS1_11comp_targetILNS1_3genE2ELNS1_11target_archE906ELNS1_3gpuE6ELNS1_3repE0EEES8_NS0_14default_configES9_NS1_37merge_sort_block_sort_config_selectorIlNS0_10empty_typeEEENS1_38merge_sort_block_merge_config_selectorIlSB_EEEEvv
    .private_segment_fixed_size: 0
    .sgpr_count:     0
    .sgpr_spill_count: 0
    .symbol:         _ZN7rocprim17ROCPRIM_400000_NS6detail44device_merge_sort_compile_time_verifier_archINS1_11comp_targetILNS1_3genE2ELNS1_11target_archE906ELNS1_3gpuE6ELNS1_3repE0EEES8_NS0_14default_configES9_NS1_37merge_sort_block_sort_config_selectorIlNS0_10empty_typeEEENS1_38merge_sort_block_merge_config_selectorIlSB_EEEEvv.kd
    .uniform_work_group_size: 1
    .uses_dynamic_stack: false
    .vgpr_count:     0
    .vgpr_spill_count: 0
    .wavefront_size: 32
  - .args:           []
    .group_segment_fixed_size: 0
    .kernarg_segment_align: 4
    .kernarg_segment_size: 0
    .language:       OpenCL C
    .language_version:
      - 2
      - 0
    .max_flat_workgroup_size: 1024
    .name:           _ZN7rocprim17ROCPRIM_400000_NS6detail44device_merge_sort_compile_time_verifier_archINS1_11comp_targetILNS1_3genE10ELNS1_11target_archE1201ELNS1_3gpuE5ELNS1_3repE0EEES8_NS0_14default_configES9_NS1_37merge_sort_block_sort_config_selectorIlNS0_10empty_typeEEENS1_38merge_sort_block_merge_config_selectorIlSB_EEEEvv
    .private_segment_fixed_size: 0
    .sgpr_count:     0
    .sgpr_spill_count: 0
    .symbol:         _ZN7rocprim17ROCPRIM_400000_NS6detail44device_merge_sort_compile_time_verifier_archINS1_11comp_targetILNS1_3genE10ELNS1_11target_archE1201ELNS1_3gpuE5ELNS1_3repE0EEES8_NS0_14default_configES9_NS1_37merge_sort_block_sort_config_selectorIlNS0_10empty_typeEEENS1_38merge_sort_block_merge_config_selectorIlSB_EEEEvv.kd
    .uniform_work_group_size: 1
    .uses_dynamic_stack: false
    .vgpr_count:     0
    .vgpr_spill_count: 0
    .wavefront_size: 32
  - .args:           []
    .group_segment_fixed_size: 0
    .kernarg_segment_align: 4
    .kernarg_segment_size: 0
    .language:       OpenCL C
    .language_version:
      - 2
      - 0
    .max_flat_workgroup_size: 1024
    .name:           _ZN7rocprim17ROCPRIM_400000_NS6detail44device_merge_sort_compile_time_verifier_archINS1_11comp_targetILNS1_3genE10ELNS1_11target_archE1200ELNS1_3gpuE4ELNS1_3repE0EEENS3_ILS4_10ELS5_1201ELS6_5ELS7_0EEENS0_14default_configESA_NS1_37merge_sort_block_sort_config_selectorIlNS0_10empty_typeEEENS1_38merge_sort_block_merge_config_selectorIlSC_EEEEvv
    .private_segment_fixed_size: 0
    .sgpr_count:     0
    .sgpr_spill_count: 0
    .symbol:         _ZN7rocprim17ROCPRIM_400000_NS6detail44device_merge_sort_compile_time_verifier_archINS1_11comp_targetILNS1_3genE10ELNS1_11target_archE1200ELNS1_3gpuE4ELNS1_3repE0EEENS3_ILS4_10ELS5_1201ELS6_5ELS7_0EEENS0_14default_configESA_NS1_37merge_sort_block_sort_config_selectorIlNS0_10empty_typeEEENS1_38merge_sort_block_merge_config_selectorIlSC_EEEEvv.kd
    .uniform_work_group_size: 1
    .uses_dynamic_stack: false
    .vgpr_count:     0
    .vgpr_spill_count: 0
    .wavefront_size: 32
  - .args:           []
    .group_segment_fixed_size: 0
    .kernarg_segment_align: 4
    .kernarg_segment_size: 0
    .language:       OpenCL C
    .language_version:
      - 2
      - 0
    .max_flat_workgroup_size: 1024
    .name:           _ZN7rocprim17ROCPRIM_400000_NS6detail44device_merge_sort_compile_time_verifier_archINS1_11comp_targetILNS1_3genE9ELNS1_11target_archE1100ELNS1_3gpuE3ELNS1_3repE0EEES8_NS0_14default_configES9_NS1_37merge_sort_block_sort_config_selectorIlNS0_10empty_typeEEENS1_38merge_sort_block_merge_config_selectorIlSB_EEEEvv
    .private_segment_fixed_size: 0
    .sgpr_count:     0
    .sgpr_spill_count: 0
    .symbol:         _ZN7rocprim17ROCPRIM_400000_NS6detail44device_merge_sort_compile_time_verifier_archINS1_11comp_targetILNS1_3genE9ELNS1_11target_archE1100ELNS1_3gpuE3ELNS1_3repE0EEES8_NS0_14default_configES9_NS1_37merge_sort_block_sort_config_selectorIlNS0_10empty_typeEEENS1_38merge_sort_block_merge_config_selectorIlSB_EEEEvv.kd
    .uniform_work_group_size: 1
    .uses_dynamic_stack: false
    .vgpr_count:     0
    .vgpr_spill_count: 0
    .wavefront_size: 32
  - .args:           []
    .group_segment_fixed_size: 0
    .kernarg_segment_align: 4
    .kernarg_segment_size: 0
    .language:       OpenCL C
    .language_version:
      - 2
      - 0
    .max_flat_workgroup_size: 1024
    .name:           _ZN7rocprim17ROCPRIM_400000_NS6detail44device_merge_sort_compile_time_verifier_archINS1_11comp_targetILNS1_3genE8ELNS1_11target_archE1030ELNS1_3gpuE2ELNS1_3repE0EEES8_NS0_14default_configES9_NS1_37merge_sort_block_sort_config_selectorIlNS0_10empty_typeEEENS1_38merge_sort_block_merge_config_selectorIlSB_EEEEvv
    .private_segment_fixed_size: 0
    .sgpr_count:     0
    .sgpr_spill_count: 0
    .symbol:         _ZN7rocprim17ROCPRIM_400000_NS6detail44device_merge_sort_compile_time_verifier_archINS1_11comp_targetILNS1_3genE8ELNS1_11target_archE1030ELNS1_3gpuE2ELNS1_3repE0EEES8_NS0_14default_configES9_NS1_37merge_sort_block_sort_config_selectorIlNS0_10empty_typeEEENS1_38merge_sort_block_merge_config_selectorIlSB_EEEEvv.kd
    .uniform_work_group_size: 1
    .uses_dynamic_stack: false
    .vgpr_count:     0
    .vgpr_spill_count: 0
    .wavefront_size: 32
  - .args:
      - .offset:         0
        .size:           72
        .value_kind:     by_value
      - .offset:         72
        .size:           4
        .value_kind:     hidden_block_count_x
      - .offset:         76
        .size:           4
        .value_kind:     hidden_block_count_y
      - .offset:         80
        .size:           4
        .value_kind:     hidden_block_count_z
      - .offset:         84
        .size:           2
        .value_kind:     hidden_group_size_x
      - .offset:         86
        .size:           2
        .value_kind:     hidden_group_size_y
      - .offset:         88
        .size:           2
        .value_kind:     hidden_group_size_z
      - .offset:         90
        .size:           2
        .value_kind:     hidden_remainder_x
      - .offset:         92
        .size:           2
        .value_kind:     hidden_remainder_y
      - .offset:         94
        .size:           2
        .value_kind:     hidden_remainder_z
      - .offset:         112
        .size:           8
        .value_kind:     hidden_global_offset_x
      - .offset:         120
        .size:           8
        .value_kind:     hidden_global_offset_y
      - .offset:         128
        .size:           8
        .value_kind:     hidden_global_offset_z
      - .offset:         136
        .size:           2
        .value_kind:     hidden_grid_dims
    .group_segment_fixed_size: 16896
    .kernarg_segment_align: 8
    .kernarg_segment_size: 328
    .language:       OpenCL C
    .language_version:
      - 2
      - 0
    .max_flat_workgroup_size: 256
    .name:           _ZN7rocprim17ROCPRIM_400000_NS6detail17trampoline_kernelINS0_14default_configENS1_37merge_sort_block_sort_config_selectorIlNS0_10empty_typeEEEZNS1_21merge_sort_block_sortIS3_PlS8_PS5_S9_ZN2at6native12_GLOBAL__N_124unique_dim_cuda_templateIhEESt5tupleIJNSA_6TensorESF_SF_EERKSF_lbbbEUlllE_EE10hipError_tT0_T1_T2_T3_mRjT4_P12ihipStream_tbNS1_7vsmem_tEEUlT_E_NS1_11comp_targetILNS1_3genE0ELNS1_11target_archE4294967295ELNS1_3gpuE0ELNS1_3repE0EEENS1_30default_config_static_selectorELNS0_4arch9wavefront6targetE0EEEvSM_
    .private_segment_fixed_size: 0
    .sgpr_count:     39
    .sgpr_spill_count: 0
    .symbol:         _ZN7rocprim17ROCPRIM_400000_NS6detail17trampoline_kernelINS0_14default_configENS1_37merge_sort_block_sort_config_selectorIlNS0_10empty_typeEEEZNS1_21merge_sort_block_sortIS3_PlS8_PS5_S9_ZN2at6native12_GLOBAL__N_124unique_dim_cuda_templateIhEESt5tupleIJNSA_6TensorESF_SF_EERKSF_lbbbEUlllE_EE10hipError_tT0_T1_T2_T3_mRjT4_P12ihipStream_tbNS1_7vsmem_tEEUlT_E_NS1_11comp_targetILNS1_3genE0ELNS1_11target_archE4294967295ELNS1_3gpuE0ELNS1_3repE0EEENS1_30default_config_static_selectorELNS0_4arch9wavefront6targetE0EEEvSM_.kd
    .uniform_work_group_size: 1
    .uses_dynamic_stack: false
    .vgpr_count:     57
    .vgpr_spill_count: 0
    .wavefront_size: 32
  - .args:
      - .offset:         0
        .size:           72
        .value_kind:     by_value
    .group_segment_fixed_size: 0
    .kernarg_segment_align: 8
    .kernarg_segment_size: 72
    .language:       OpenCL C
    .language_version:
      - 2
      - 0
    .max_flat_workgroup_size: 256
    .name:           _ZN7rocprim17ROCPRIM_400000_NS6detail17trampoline_kernelINS0_14default_configENS1_37merge_sort_block_sort_config_selectorIlNS0_10empty_typeEEEZNS1_21merge_sort_block_sortIS3_PlS8_PS5_S9_ZN2at6native12_GLOBAL__N_124unique_dim_cuda_templateIhEESt5tupleIJNSA_6TensorESF_SF_EERKSF_lbbbEUlllE_EE10hipError_tT0_T1_T2_T3_mRjT4_P12ihipStream_tbNS1_7vsmem_tEEUlT_E_NS1_11comp_targetILNS1_3genE5ELNS1_11target_archE942ELNS1_3gpuE9ELNS1_3repE0EEENS1_30default_config_static_selectorELNS0_4arch9wavefront6targetE0EEEvSM_
    .private_segment_fixed_size: 0
    .sgpr_count:     0
    .sgpr_spill_count: 0
    .symbol:         _ZN7rocprim17ROCPRIM_400000_NS6detail17trampoline_kernelINS0_14default_configENS1_37merge_sort_block_sort_config_selectorIlNS0_10empty_typeEEEZNS1_21merge_sort_block_sortIS3_PlS8_PS5_S9_ZN2at6native12_GLOBAL__N_124unique_dim_cuda_templateIhEESt5tupleIJNSA_6TensorESF_SF_EERKSF_lbbbEUlllE_EE10hipError_tT0_T1_T2_T3_mRjT4_P12ihipStream_tbNS1_7vsmem_tEEUlT_E_NS1_11comp_targetILNS1_3genE5ELNS1_11target_archE942ELNS1_3gpuE9ELNS1_3repE0EEENS1_30default_config_static_selectorELNS0_4arch9wavefront6targetE0EEEvSM_.kd
    .uniform_work_group_size: 1
    .uses_dynamic_stack: false
    .vgpr_count:     0
    .vgpr_spill_count: 0
    .wavefront_size: 32
  - .args:
      - .offset:         0
        .size:           72
        .value_kind:     by_value
    .group_segment_fixed_size: 0
    .kernarg_segment_align: 8
    .kernarg_segment_size: 72
    .language:       OpenCL C
    .language_version:
      - 2
      - 0
    .max_flat_workgroup_size: 256
    .name:           _ZN7rocprim17ROCPRIM_400000_NS6detail17trampoline_kernelINS0_14default_configENS1_37merge_sort_block_sort_config_selectorIlNS0_10empty_typeEEEZNS1_21merge_sort_block_sortIS3_PlS8_PS5_S9_ZN2at6native12_GLOBAL__N_124unique_dim_cuda_templateIhEESt5tupleIJNSA_6TensorESF_SF_EERKSF_lbbbEUlllE_EE10hipError_tT0_T1_T2_T3_mRjT4_P12ihipStream_tbNS1_7vsmem_tEEUlT_E_NS1_11comp_targetILNS1_3genE4ELNS1_11target_archE910ELNS1_3gpuE8ELNS1_3repE0EEENS1_30default_config_static_selectorELNS0_4arch9wavefront6targetE0EEEvSM_
    .private_segment_fixed_size: 0
    .sgpr_count:     0
    .sgpr_spill_count: 0
    .symbol:         _ZN7rocprim17ROCPRIM_400000_NS6detail17trampoline_kernelINS0_14default_configENS1_37merge_sort_block_sort_config_selectorIlNS0_10empty_typeEEEZNS1_21merge_sort_block_sortIS3_PlS8_PS5_S9_ZN2at6native12_GLOBAL__N_124unique_dim_cuda_templateIhEESt5tupleIJNSA_6TensorESF_SF_EERKSF_lbbbEUlllE_EE10hipError_tT0_T1_T2_T3_mRjT4_P12ihipStream_tbNS1_7vsmem_tEEUlT_E_NS1_11comp_targetILNS1_3genE4ELNS1_11target_archE910ELNS1_3gpuE8ELNS1_3repE0EEENS1_30default_config_static_selectorELNS0_4arch9wavefront6targetE0EEEvSM_.kd
    .uniform_work_group_size: 1
    .uses_dynamic_stack: false
    .vgpr_count:     0
    .vgpr_spill_count: 0
    .wavefront_size: 32
  - .args:
      - .offset:         0
        .size:           72
        .value_kind:     by_value
    .group_segment_fixed_size: 0
    .kernarg_segment_align: 8
    .kernarg_segment_size: 72
    .language:       OpenCL C
    .language_version:
      - 2
      - 0
    .max_flat_workgroup_size: 256
    .name:           _ZN7rocprim17ROCPRIM_400000_NS6detail17trampoline_kernelINS0_14default_configENS1_37merge_sort_block_sort_config_selectorIlNS0_10empty_typeEEEZNS1_21merge_sort_block_sortIS3_PlS8_PS5_S9_ZN2at6native12_GLOBAL__N_124unique_dim_cuda_templateIhEESt5tupleIJNSA_6TensorESF_SF_EERKSF_lbbbEUlllE_EE10hipError_tT0_T1_T2_T3_mRjT4_P12ihipStream_tbNS1_7vsmem_tEEUlT_E_NS1_11comp_targetILNS1_3genE3ELNS1_11target_archE908ELNS1_3gpuE7ELNS1_3repE0EEENS1_30default_config_static_selectorELNS0_4arch9wavefront6targetE0EEEvSM_
    .private_segment_fixed_size: 0
    .sgpr_count:     0
    .sgpr_spill_count: 0
    .symbol:         _ZN7rocprim17ROCPRIM_400000_NS6detail17trampoline_kernelINS0_14default_configENS1_37merge_sort_block_sort_config_selectorIlNS0_10empty_typeEEEZNS1_21merge_sort_block_sortIS3_PlS8_PS5_S9_ZN2at6native12_GLOBAL__N_124unique_dim_cuda_templateIhEESt5tupleIJNSA_6TensorESF_SF_EERKSF_lbbbEUlllE_EE10hipError_tT0_T1_T2_T3_mRjT4_P12ihipStream_tbNS1_7vsmem_tEEUlT_E_NS1_11comp_targetILNS1_3genE3ELNS1_11target_archE908ELNS1_3gpuE7ELNS1_3repE0EEENS1_30default_config_static_selectorELNS0_4arch9wavefront6targetE0EEEvSM_.kd
    .uniform_work_group_size: 1
    .uses_dynamic_stack: false
    .vgpr_count:     0
    .vgpr_spill_count: 0
    .wavefront_size: 32
  - .args:
      - .offset:         0
        .size:           72
        .value_kind:     by_value
    .group_segment_fixed_size: 0
    .kernarg_segment_align: 8
    .kernarg_segment_size: 72
    .language:       OpenCL C
    .language_version:
      - 2
      - 0
    .max_flat_workgroup_size: 256
    .name:           _ZN7rocprim17ROCPRIM_400000_NS6detail17trampoline_kernelINS0_14default_configENS1_37merge_sort_block_sort_config_selectorIlNS0_10empty_typeEEEZNS1_21merge_sort_block_sortIS3_PlS8_PS5_S9_ZN2at6native12_GLOBAL__N_124unique_dim_cuda_templateIhEESt5tupleIJNSA_6TensorESF_SF_EERKSF_lbbbEUlllE_EE10hipError_tT0_T1_T2_T3_mRjT4_P12ihipStream_tbNS1_7vsmem_tEEUlT_E_NS1_11comp_targetILNS1_3genE2ELNS1_11target_archE906ELNS1_3gpuE6ELNS1_3repE0EEENS1_30default_config_static_selectorELNS0_4arch9wavefront6targetE0EEEvSM_
    .private_segment_fixed_size: 0
    .sgpr_count:     0
    .sgpr_spill_count: 0
    .symbol:         _ZN7rocprim17ROCPRIM_400000_NS6detail17trampoline_kernelINS0_14default_configENS1_37merge_sort_block_sort_config_selectorIlNS0_10empty_typeEEEZNS1_21merge_sort_block_sortIS3_PlS8_PS5_S9_ZN2at6native12_GLOBAL__N_124unique_dim_cuda_templateIhEESt5tupleIJNSA_6TensorESF_SF_EERKSF_lbbbEUlllE_EE10hipError_tT0_T1_T2_T3_mRjT4_P12ihipStream_tbNS1_7vsmem_tEEUlT_E_NS1_11comp_targetILNS1_3genE2ELNS1_11target_archE906ELNS1_3gpuE6ELNS1_3repE0EEENS1_30default_config_static_selectorELNS0_4arch9wavefront6targetE0EEEvSM_.kd
    .uniform_work_group_size: 1
    .uses_dynamic_stack: false
    .vgpr_count:     0
    .vgpr_spill_count: 0
    .wavefront_size: 32
  - .args:
      - .offset:         0
        .size:           72
        .value_kind:     by_value
    .group_segment_fixed_size: 0
    .kernarg_segment_align: 8
    .kernarg_segment_size: 72
    .language:       OpenCL C
    .language_version:
      - 2
      - 0
    .max_flat_workgroup_size: 256
    .name:           _ZN7rocprim17ROCPRIM_400000_NS6detail17trampoline_kernelINS0_14default_configENS1_37merge_sort_block_sort_config_selectorIlNS0_10empty_typeEEEZNS1_21merge_sort_block_sortIS3_PlS8_PS5_S9_ZN2at6native12_GLOBAL__N_124unique_dim_cuda_templateIhEESt5tupleIJNSA_6TensorESF_SF_EERKSF_lbbbEUlllE_EE10hipError_tT0_T1_T2_T3_mRjT4_P12ihipStream_tbNS1_7vsmem_tEEUlT_E_NS1_11comp_targetILNS1_3genE10ELNS1_11target_archE1201ELNS1_3gpuE5ELNS1_3repE0EEENS1_30default_config_static_selectorELNS0_4arch9wavefront6targetE0EEEvSM_
    .private_segment_fixed_size: 0
    .sgpr_count:     0
    .sgpr_spill_count: 0
    .symbol:         _ZN7rocprim17ROCPRIM_400000_NS6detail17trampoline_kernelINS0_14default_configENS1_37merge_sort_block_sort_config_selectorIlNS0_10empty_typeEEEZNS1_21merge_sort_block_sortIS3_PlS8_PS5_S9_ZN2at6native12_GLOBAL__N_124unique_dim_cuda_templateIhEESt5tupleIJNSA_6TensorESF_SF_EERKSF_lbbbEUlllE_EE10hipError_tT0_T1_T2_T3_mRjT4_P12ihipStream_tbNS1_7vsmem_tEEUlT_E_NS1_11comp_targetILNS1_3genE10ELNS1_11target_archE1201ELNS1_3gpuE5ELNS1_3repE0EEENS1_30default_config_static_selectorELNS0_4arch9wavefront6targetE0EEEvSM_.kd
    .uniform_work_group_size: 1
    .uses_dynamic_stack: false
    .vgpr_count:     0
    .vgpr_spill_count: 0
    .wavefront_size: 32
  - .args:
      - .offset:         0
        .size:           72
        .value_kind:     by_value
    .group_segment_fixed_size: 0
    .kernarg_segment_align: 8
    .kernarg_segment_size: 72
    .language:       OpenCL C
    .language_version:
      - 2
      - 0
    .max_flat_workgroup_size: 512
    .name:           _ZN7rocprim17ROCPRIM_400000_NS6detail17trampoline_kernelINS0_14default_configENS1_37merge_sort_block_sort_config_selectorIlNS0_10empty_typeEEEZNS1_21merge_sort_block_sortIS3_PlS8_PS5_S9_ZN2at6native12_GLOBAL__N_124unique_dim_cuda_templateIhEESt5tupleIJNSA_6TensorESF_SF_EERKSF_lbbbEUlllE_EE10hipError_tT0_T1_T2_T3_mRjT4_P12ihipStream_tbNS1_7vsmem_tEEUlT_E_NS1_11comp_targetILNS1_3genE10ELNS1_11target_archE1200ELNS1_3gpuE4ELNS1_3repE0EEENS1_30default_config_static_selectorELNS0_4arch9wavefront6targetE0EEEvSM_
    .private_segment_fixed_size: 0
    .sgpr_count:     0
    .sgpr_spill_count: 0
    .symbol:         _ZN7rocprim17ROCPRIM_400000_NS6detail17trampoline_kernelINS0_14default_configENS1_37merge_sort_block_sort_config_selectorIlNS0_10empty_typeEEEZNS1_21merge_sort_block_sortIS3_PlS8_PS5_S9_ZN2at6native12_GLOBAL__N_124unique_dim_cuda_templateIhEESt5tupleIJNSA_6TensorESF_SF_EERKSF_lbbbEUlllE_EE10hipError_tT0_T1_T2_T3_mRjT4_P12ihipStream_tbNS1_7vsmem_tEEUlT_E_NS1_11comp_targetILNS1_3genE10ELNS1_11target_archE1200ELNS1_3gpuE4ELNS1_3repE0EEENS1_30default_config_static_selectorELNS0_4arch9wavefront6targetE0EEEvSM_.kd
    .uniform_work_group_size: 1
    .uses_dynamic_stack: false
    .vgpr_count:     0
    .vgpr_spill_count: 0
    .wavefront_size: 32
  - .args:
      - .offset:         0
        .size:           72
        .value_kind:     by_value
    .group_segment_fixed_size: 0
    .kernarg_segment_align: 8
    .kernarg_segment_size: 72
    .language:       OpenCL C
    .language_version:
      - 2
      - 0
    .max_flat_workgroup_size: 256
    .name:           _ZN7rocprim17ROCPRIM_400000_NS6detail17trampoline_kernelINS0_14default_configENS1_37merge_sort_block_sort_config_selectorIlNS0_10empty_typeEEEZNS1_21merge_sort_block_sortIS3_PlS8_PS5_S9_ZN2at6native12_GLOBAL__N_124unique_dim_cuda_templateIhEESt5tupleIJNSA_6TensorESF_SF_EERKSF_lbbbEUlllE_EE10hipError_tT0_T1_T2_T3_mRjT4_P12ihipStream_tbNS1_7vsmem_tEEUlT_E_NS1_11comp_targetILNS1_3genE9ELNS1_11target_archE1100ELNS1_3gpuE3ELNS1_3repE0EEENS1_30default_config_static_selectorELNS0_4arch9wavefront6targetE0EEEvSM_
    .private_segment_fixed_size: 0
    .sgpr_count:     0
    .sgpr_spill_count: 0
    .symbol:         _ZN7rocprim17ROCPRIM_400000_NS6detail17trampoline_kernelINS0_14default_configENS1_37merge_sort_block_sort_config_selectorIlNS0_10empty_typeEEEZNS1_21merge_sort_block_sortIS3_PlS8_PS5_S9_ZN2at6native12_GLOBAL__N_124unique_dim_cuda_templateIhEESt5tupleIJNSA_6TensorESF_SF_EERKSF_lbbbEUlllE_EE10hipError_tT0_T1_T2_T3_mRjT4_P12ihipStream_tbNS1_7vsmem_tEEUlT_E_NS1_11comp_targetILNS1_3genE9ELNS1_11target_archE1100ELNS1_3gpuE3ELNS1_3repE0EEENS1_30default_config_static_selectorELNS0_4arch9wavefront6targetE0EEEvSM_.kd
    .uniform_work_group_size: 1
    .uses_dynamic_stack: false
    .vgpr_count:     0
    .vgpr_spill_count: 0
    .wavefront_size: 32
  - .args:
      - .offset:         0
        .size:           72
        .value_kind:     by_value
    .group_segment_fixed_size: 0
    .kernarg_segment_align: 8
    .kernarg_segment_size: 72
    .language:       OpenCL C
    .language_version:
      - 2
      - 0
    .max_flat_workgroup_size: 256
    .name:           _ZN7rocprim17ROCPRIM_400000_NS6detail17trampoline_kernelINS0_14default_configENS1_37merge_sort_block_sort_config_selectorIlNS0_10empty_typeEEEZNS1_21merge_sort_block_sortIS3_PlS8_PS5_S9_ZN2at6native12_GLOBAL__N_124unique_dim_cuda_templateIhEESt5tupleIJNSA_6TensorESF_SF_EERKSF_lbbbEUlllE_EE10hipError_tT0_T1_T2_T3_mRjT4_P12ihipStream_tbNS1_7vsmem_tEEUlT_E_NS1_11comp_targetILNS1_3genE8ELNS1_11target_archE1030ELNS1_3gpuE2ELNS1_3repE0EEENS1_30default_config_static_selectorELNS0_4arch9wavefront6targetE0EEEvSM_
    .private_segment_fixed_size: 0
    .sgpr_count:     0
    .sgpr_spill_count: 0
    .symbol:         _ZN7rocprim17ROCPRIM_400000_NS6detail17trampoline_kernelINS0_14default_configENS1_37merge_sort_block_sort_config_selectorIlNS0_10empty_typeEEEZNS1_21merge_sort_block_sortIS3_PlS8_PS5_S9_ZN2at6native12_GLOBAL__N_124unique_dim_cuda_templateIhEESt5tupleIJNSA_6TensorESF_SF_EERKSF_lbbbEUlllE_EE10hipError_tT0_T1_T2_T3_mRjT4_P12ihipStream_tbNS1_7vsmem_tEEUlT_E_NS1_11comp_targetILNS1_3genE8ELNS1_11target_archE1030ELNS1_3gpuE2ELNS1_3repE0EEENS1_30default_config_static_selectorELNS0_4arch9wavefront6targetE0EEEvSM_.kd
    .uniform_work_group_size: 1
    .uses_dynamic_stack: false
    .vgpr_count:     0
    .vgpr_spill_count: 0
    .wavefront_size: 32
  - .args:
      - .offset:         0
        .size:           56
        .value_kind:     by_value
    .group_segment_fixed_size: 0
    .kernarg_segment_align: 8
    .kernarg_segment_size: 56
    .language:       OpenCL C
    .language_version:
      - 2
      - 0
    .max_flat_workgroup_size: 128
    .name:           _ZN7rocprim17ROCPRIM_400000_NS6detail17trampoline_kernelINS0_14default_configENS1_38merge_sort_block_merge_config_selectorIlNS0_10empty_typeEEEZZNS1_27merge_sort_block_merge_implIS3_PlPS5_mZN2at6native12_GLOBAL__N_124unique_dim_cuda_templateIhEESt5tupleIJNSA_6TensorESF_SF_EERKSF_lbbbEUlllE_EE10hipError_tT0_T1_T2_jT3_P12ihipStream_tbPNSt15iterator_traitsISL_E10value_typeEPNSR_ISM_E10value_typeEPSN_NS1_7vsmem_tEENKUlT_SL_SM_SN_E_clIS8_S8_S9_S9_EESK_S10_SL_SM_SN_EUlS10_E_NS1_11comp_targetILNS1_3genE0ELNS1_11target_archE4294967295ELNS1_3gpuE0ELNS1_3repE0EEENS1_48merge_mergepath_partition_config_static_selectorELNS0_4arch9wavefront6targetE0EEEvSM_
    .private_segment_fixed_size: 0
    .sgpr_count:     20
    .sgpr_spill_count: 0
    .symbol:         _ZN7rocprim17ROCPRIM_400000_NS6detail17trampoline_kernelINS0_14default_configENS1_38merge_sort_block_merge_config_selectorIlNS0_10empty_typeEEEZZNS1_27merge_sort_block_merge_implIS3_PlPS5_mZN2at6native12_GLOBAL__N_124unique_dim_cuda_templateIhEESt5tupleIJNSA_6TensorESF_SF_EERKSF_lbbbEUlllE_EE10hipError_tT0_T1_T2_jT3_P12ihipStream_tbPNSt15iterator_traitsISL_E10value_typeEPNSR_ISM_E10value_typeEPSN_NS1_7vsmem_tEENKUlT_SL_SM_SN_E_clIS8_S8_S9_S9_EESK_S10_SL_SM_SN_EUlS10_E_NS1_11comp_targetILNS1_3genE0ELNS1_11target_archE4294967295ELNS1_3gpuE0ELNS1_3repE0EEENS1_48merge_mergepath_partition_config_static_selectorELNS0_4arch9wavefront6targetE0EEEvSM_.kd
    .uniform_work_group_size: 1
    .uses_dynamic_stack: false
    .vgpr_count:     22
    .vgpr_spill_count: 0
    .wavefront_size: 32
  - .args:
      - .offset:         0
        .size:           56
        .value_kind:     by_value
    .group_segment_fixed_size: 0
    .kernarg_segment_align: 8
    .kernarg_segment_size: 56
    .language:       OpenCL C
    .language_version:
      - 2
      - 0
    .max_flat_workgroup_size: 128
    .name:           _ZN7rocprim17ROCPRIM_400000_NS6detail17trampoline_kernelINS0_14default_configENS1_38merge_sort_block_merge_config_selectorIlNS0_10empty_typeEEEZZNS1_27merge_sort_block_merge_implIS3_PlPS5_mZN2at6native12_GLOBAL__N_124unique_dim_cuda_templateIhEESt5tupleIJNSA_6TensorESF_SF_EERKSF_lbbbEUlllE_EE10hipError_tT0_T1_T2_jT3_P12ihipStream_tbPNSt15iterator_traitsISL_E10value_typeEPNSR_ISM_E10value_typeEPSN_NS1_7vsmem_tEENKUlT_SL_SM_SN_E_clIS8_S8_S9_S9_EESK_S10_SL_SM_SN_EUlS10_E_NS1_11comp_targetILNS1_3genE10ELNS1_11target_archE1201ELNS1_3gpuE5ELNS1_3repE0EEENS1_48merge_mergepath_partition_config_static_selectorELNS0_4arch9wavefront6targetE0EEEvSM_
    .private_segment_fixed_size: 0
    .sgpr_count:     0
    .sgpr_spill_count: 0
    .symbol:         _ZN7rocprim17ROCPRIM_400000_NS6detail17trampoline_kernelINS0_14default_configENS1_38merge_sort_block_merge_config_selectorIlNS0_10empty_typeEEEZZNS1_27merge_sort_block_merge_implIS3_PlPS5_mZN2at6native12_GLOBAL__N_124unique_dim_cuda_templateIhEESt5tupleIJNSA_6TensorESF_SF_EERKSF_lbbbEUlllE_EE10hipError_tT0_T1_T2_jT3_P12ihipStream_tbPNSt15iterator_traitsISL_E10value_typeEPNSR_ISM_E10value_typeEPSN_NS1_7vsmem_tEENKUlT_SL_SM_SN_E_clIS8_S8_S9_S9_EESK_S10_SL_SM_SN_EUlS10_E_NS1_11comp_targetILNS1_3genE10ELNS1_11target_archE1201ELNS1_3gpuE5ELNS1_3repE0EEENS1_48merge_mergepath_partition_config_static_selectorELNS0_4arch9wavefront6targetE0EEEvSM_.kd
    .uniform_work_group_size: 1
    .uses_dynamic_stack: false
    .vgpr_count:     0
    .vgpr_spill_count: 0
    .wavefront_size: 32
  - .args:
      - .offset:         0
        .size:           56
        .value_kind:     by_value
    .group_segment_fixed_size: 0
    .kernarg_segment_align: 8
    .kernarg_segment_size: 56
    .language:       OpenCL C
    .language_version:
      - 2
      - 0
    .max_flat_workgroup_size: 128
    .name:           _ZN7rocprim17ROCPRIM_400000_NS6detail17trampoline_kernelINS0_14default_configENS1_38merge_sort_block_merge_config_selectorIlNS0_10empty_typeEEEZZNS1_27merge_sort_block_merge_implIS3_PlPS5_mZN2at6native12_GLOBAL__N_124unique_dim_cuda_templateIhEESt5tupleIJNSA_6TensorESF_SF_EERKSF_lbbbEUlllE_EE10hipError_tT0_T1_T2_jT3_P12ihipStream_tbPNSt15iterator_traitsISL_E10value_typeEPNSR_ISM_E10value_typeEPSN_NS1_7vsmem_tEENKUlT_SL_SM_SN_E_clIS8_S8_S9_S9_EESK_S10_SL_SM_SN_EUlS10_E_NS1_11comp_targetILNS1_3genE5ELNS1_11target_archE942ELNS1_3gpuE9ELNS1_3repE0EEENS1_48merge_mergepath_partition_config_static_selectorELNS0_4arch9wavefront6targetE0EEEvSM_
    .private_segment_fixed_size: 0
    .sgpr_count:     0
    .sgpr_spill_count: 0
    .symbol:         _ZN7rocprim17ROCPRIM_400000_NS6detail17trampoline_kernelINS0_14default_configENS1_38merge_sort_block_merge_config_selectorIlNS0_10empty_typeEEEZZNS1_27merge_sort_block_merge_implIS3_PlPS5_mZN2at6native12_GLOBAL__N_124unique_dim_cuda_templateIhEESt5tupleIJNSA_6TensorESF_SF_EERKSF_lbbbEUlllE_EE10hipError_tT0_T1_T2_jT3_P12ihipStream_tbPNSt15iterator_traitsISL_E10value_typeEPNSR_ISM_E10value_typeEPSN_NS1_7vsmem_tEENKUlT_SL_SM_SN_E_clIS8_S8_S9_S9_EESK_S10_SL_SM_SN_EUlS10_E_NS1_11comp_targetILNS1_3genE5ELNS1_11target_archE942ELNS1_3gpuE9ELNS1_3repE0EEENS1_48merge_mergepath_partition_config_static_selectorELNS0_4arch9wavefront6targetE0EEEvSM_.kd
    .uniform_work_group_size: 1
    .uses_dynamic_stack: false
    .vgpr_count:     0
    .vgpr_spill_count: 0
    .wavefront_size: 32
  - .args:
      - .offset:         0
        .size:           56
        .value_kind:     by_value
    .group_segment_fixed_size: 0
    .kernarg_segment_align: 8
    .kernarg_segment_size: 56
    .language:       OpenCL C
    .language_version:
      - 2
      - 0
    .max_flat_workgroup_size: 128
    .name:           _ZN7rocprim17ROCPRIM_400000_NS6detail17trampoline_kernelINS0_14default_configENS1_38merge_sort_block_merge_config_selectorIlNS0_10empty_typeEEEZZNS1_27merge_sort_block_merge_implIS3_PlPS5_mZN2at6native12_GLOBAL__N_124unique_dim_cuda_templateIhEESt5tupleIJNSA_6TensorESF_SF_EERKSF_lbbbEUlllE_EE10hipError_tT0_T1_T2_jT3_P12ihipStream_tbPNSt15iterator_traitsISL_E10value_typeEPNSR_ISM_E10value_typeEPSN_NS1_7vsmem_tEENKUlT_SL_SM_SN_E_clIS8_S8_S9_S9_EESK_S10_SL_SM_SN_EUlS10_E_NS1_11comp_targetILNS1_3genE4ELNS1_11target_archE910ELNS1_3gpuE8ELNS1_3repE0EEENS1_48merge_mergepath_partition_config_static_selectorELNS0_4arch9wavefront6targetE0EEEvSM_
    .private_segment_fixed_size: 0
    .sgpr_count:     0
    .sgpr_spill_count: 0
    .symbol:         _ZN7rocprim17ROCPRIM_400000_NS6detail17trampoline_kernelINS0_14default_configENS1_38merge_sort_block_merge_config_selectorIlNS0_10empty_typeEEEZZNS1_27merge_sort_block_merge_implIS3_PlPS5_mZN2at6native12_GLOBAL__N_124unique_dim_cuda_templateIhEESt5tupleIJNSA_6TensorESF_SF_EERKSF_lbbbEUlllE_EE10hipError_tT0_T1_T2_jT3_P12ihipStream_tbPNSt15iterator_traitsISL_E10value_typeEPNSR_ISM_E10value_typeEPSN_NS1_7vsmem_tEENKUlT_SL_SM_SN_E_clIS8_S8_S9_S9_EESK_S10_SL_SM_SN_EUlS10_E_NS1_11comp_targetILNS1_3genE4ELNS1_11target_archE910ELNS1_3gpuE8ELNS1_3repE0EEENS1_48merge_mergepath_partition_config_static_selectorELNS0_4arch9wavefront6targetE0EEEvSM_.kd
    .uniform_work_group_size: 1
    .uses_dynamic_stack: false
    .vgpr_count:     0
    .vgpr_spill_count: 0
    .wavefront_size: 32
  - .args:
      - .offset:         0
        .size:           56
        .value_kind:     by_value
    .group_segment_fixed_size: 0
    .kernarg_segment_align: 8
    .kernarg_segment_size: 56
    .language:       OpenCL C
    .language_version:
      - 2
      - 0
    .max_flat_workgroup_size: 128
    .name:           _ZN7rocprim17ROCPRIM_400000_NS6detail17trampoline_kernelINS0_14default_configENS1_38merge_sort_block_merge_config_selectorIlNS0_10empty_typeEEEZZNS1_27merge_sort_block_merge_implIS3_PlPS5_mZN2at6native12_GLOBAL__N_124unique_dim_cuda_templateIhEESt5tupleIJNSA_6TensorESF_SF_EERKSF_lbbbEUlllE_EE10hipError_tT0_T1_T2_jT3_P12ihipStream_tbPNSt15iterator_traitsISL_E10value_typeEPNSR_ISM_E10value_typeEPSN_NS1_7vsmem_tEENKUlT_SL_SM_SN_E_clIS8_S8_S9_S9_EESK_S10_SL_SM_SN_EUlS10_E_NS1_11comp_targetILNS1_3genE3ELNS1_11target_archE908ELNS1_3gpuE7ELNS1_3repE0EEENS1_48merge_mergepath_partition_config_static_selectorELNS0_4arch9wavefront6targetE0EEEvSM_
    .private_segment_fixed_size: 0
    .sgpr_count:     0
    .sgpr_spill_count: 0
    .symbol:         _ZN7rocprim17ROCPRIM_400000_NS6detail17trampoline_kernelINS0_14default_configENS1_38merge_sort_block_merge_config_selectorIlNS0_10empty_typeEEEZZNS1_27merge_sort_block_merge_implIS3_PlPS5_mZN2at6native12_GLOBAL__N_124unique_dim_cuda_templateIhEESt5tupleIJNSA_6TensorESF_SF_EERKSF_lbbbEUlllE_EE10hipError_tT0_T1_T2_jT3_P12ihipStream_tbPNSt15iterator_traitsISL_E10value_typeEPNSR_ISM_E10value_typeEPSN_NS1_7vsmem_tEENKUlT_SL_SM_SN_E_clIS8_S8_S9_S9_EESK_S10_SL_SM_SN_EUlS10_E_NS1_11comp_targetILNS1_3genE3ELNS1_11target_archE908ELNS1_3gpuE7ELNS1_3repE0EEENS1_48merge_mergepath_partition_config_static_selectorELNS0_4arch9wavefront6targetE0EEEvSM_.kd
    .uniform_work_group_size: 1
    .uses_dynamic_stack: false
    .vgpr_count:     0
    .vgpr_spill_count: 0
    .wavefront_size: 32
  - .args:
      - .offset:         0
        .size:           56
        .value_kind:     by_value
    .group_segment_fixed_size: 0
    .kernarg_segment_align: 8
    .kernarg_segment_size: 56
    .language:       OpenCL C
    .language_version:
      - 2
      - 0
    .max_flat_workgroup_size: 128
    .name:           _ZN7rocprim17ROCPRIM_400000_NS6detail17trampoline_kernelINS0_14default_configENS1_38merge_sort_block_merge_config_selectorIlNS0_10empty_typeEEEZZNS1_27merge_sort_block_merge_implIS3_PlPS5_mZN2at6native12_GLOBAL__N_124unique_dim_cuda_templateIhEESt5tupleIJNSA_6TensorESF_SF_EERKSF_lbbbEUlllE_EE10hipError_tT0_T1_T2_jT3_P12ihipStream_tbPNSt15iterator_traitsISL_E10value_typeEPNSR_ISM_E10value_typeEPSN_NS1_7vsmem_tEENKUlT_SL_SM_SN_E_clIS8_S8_S9_S9_EESK_S10_SL_SM_SN_EUlS10_E_NS1_11comp_targetILNS1_3genE2ELNS1_11target_archE906ELNS1_3gpuE6ELNS1_3repE0EEENS1_48merge_mergepath_partition_config_static_selectorELNS0_4arch9wavefront6targetE0EEEvSM_
    .private_segment_fixed_size: 0
    .sgpr_count:     0
    .sgpr_spill_count: 0
    .symbol:         _ZN7rocprim17ROCPRIM_400000_NS6detail17trampoline_kernelINS0_14default_configENS1_38merge_sort_block_merge_config_selectorIlNS0_10empty_typeEEEZZNS1_27merge_sort_block_merge_implIS3_PlPS5_mZN2at6native12_GLOBAL__N_124unique_dim_cuda_templateIhEESt5tupleIJNSA_6TensorESF_SF_EERKSF_lbbbEUlllE_EE10hipError_tT0_T1_T2_jT3_P12ihipStream_tbPNSt15iterator_traitsISL_E10value_typeEPNSR_ISM_E10value_typeEPSN_NS1_7vsmem_tEENKUlT_SL_SM_SN_E_clIS8_S8_S9_S9_EESK_S10_SL_SM_SN_EUlS10_E_NS1_11comp_targetILNS1_3genE2ELNS1_11target_archE906ELNS1_3gpuE6ELNS1_3repE0EEENS1_48merge_mergepath_partition_config_static_selectorELNS0_4arch9wavefront6targetE0EEEvSM_.kd
    .uniform_work_group_size: 1
    .uses_dynamic_stack: false
    .vgpr_count:     0
    .vgpr_spill_count: 0
    .wavefront_size: 32
  - .args:
      - .offset:         0
        .size:           56
        .value_kind:     by_value
    .group_segment_fixed_size: 0
    .kernarg_segment_align: 8
    .kernarg_segment_size: 56
    .language:       OpenCL C
    .language_version:
      - 2
      - 0
    .max_flat_workgroup_size: 128
    .name:           _ZN7rocprim17ROCPRIM_400000_NS6detail17trampoline_kernelINS0_14default_configENS1_38merge_sort_block_merge_config_selectorIlNS0_10empty_typeEEEZZNS1_27merge_sort_block_merge_implIS3_PlPS5_mZN2at6native12_GLOBAL__N_124unique_dim_cuda_templateIhEESt5tupleIJNSA_6TensorESF_SF_EERKSF_lbbbEUlllE_EE10hipError_tT0_T1_T2_jT3_P12ihipStream_tbPNSt15iterator_traitsISL_E10value_typeEPNSR_ISM_E10value_typeEPSN_NS1_7vsmem_tEENKUlT_SL_SM_SN_E_clIS8_S8_S9_S9_EESK_S10_SL_SM_SN_EUlS10_E_NS1_11comp_targetILNS1_3genE9ELNS1_11target_archE1100ELNS1_3gpuE3ELNS1_3repE0EEENS1_48merge_mergepath_partition_config_static_selectorELNS0_4arch9wavefront6targetE0EEEvSM_
    .private_segment_fixed_size: 0
    .sgpr_count:     0
    .sgpr_spill_count: 0
    .symbol:         _ZN7rocprim17ROCPRIM_400000_NS6detail17trampoline_kernelINS0_14default_configENS1_38merge_sort_block_merge_config_selectorIlNS0_10empty_typeEEEZZNS1_27merge_sort_block_merge_implIS3_PlPS5_mZN2at6native12_GLOBAL__N_124unique_dim_cuda_templateIhEESt5tupleIJNSA_6TensorESF_SF_EERKSF_lbbbEUlllE_EE10hipError_tT0_T1_T2_jT3_P12ihipStream_tbPNSt15iterator_traitsISL_E10value_typeEPNSR_ISM_E10value_typeEPSN_NS1_7vsmem_tEENKUlT_SL_SM_SN_E_clIS8_S8_S9_S9_EESK_S10_SL_SM_SN_EUlS10_E_NS1_11comp_targetILNS1_3genE9ELNS1_11target_archE1100ELNS1_3gpuE3ELNS1_3repE0EEENS1_48merge_mergepath_partition_config_static_selectorELNS0_4arch9wavefront6targetE0EEEvSM_.kd
    .uniform_work_group_size: 1
    .uses_dynamic_stack: false
    .vgpr_count:     0
    .vgpr_spill_count: 0
    .wavefront_size: 32
  - .args:
      - .offset:         0
        .size:           56
        .value_kind:     by_value
    .group_segment_fixed_size: 0
    .kernarg_segment_align: 8
    .kernarg_segment_size: 56
    .language:       OpenCL C
    .language_version:
      - 2
      - 0
    .max_flat_workgroup_size: 128
    .name:           _ZN7rocprim17ROCPRIM_400000_NS6detail17trampoline_kernelINS0_14default_configENS1_38merge_sort_block_merge_config_selectorIlNS0_10empty_typeEEEZZNS1_27merge_sort_block_merge_implIS3_PlPS5_mZN2at6native12_GLOBAL__N_124unique_dim_cuda_templateIhEESt5tupleIJNSA_6TensorESF_SF_EERKSF_lbbbEUlllE_EE10hipError_tT0_T1_T2_jT3_P12ihipStream_tbPNSt15iterator_traitsISL_E10value_typeEPNSR_ISM_E10value_typeEPSN_NS1_7vsmem_tEENKUlT_SL_SM_SN_E_clIS8_S8_S9_S9_EESK_S10_SL_SM_SN_EUlS10_E_NS1_11comp_targetILNS1_3genE8ELNS1_11target_archE1030ELNS1_3gpuE2ELNS1_3repE0EEENS1_48merge_mergepath_partition_config_static_selectorELNS0_4arch9wavefront6targetE0EEEvSM_
    .private_segment_fixed_size: 0
    .sgpr_count:     0
    .sgpr_spill_count: 0
    .symbol:         _ZN7rocprim17ROCPRIM_400000_NS6detail17trampoline_kernelINS0_14default_configENS1_38merge_sort_block_merge_config_selectorIlNS0_10empty_typeEEEZZNS1_27merge_sort_block_merge_implIS3_PlPS5_mZN2at6native12_GLOBAL__N_124unique_dim_cuda_templateIhEESt5tupleIJNSA_6TensorESF_SF_EERKSF_lbbbEUlllE_EE10hipError_tT0_T1_T2_jT3_P12ihipStream_tbPNSt15iterator_traitsISL_E10value_typeEPNSR_ISM_E10value_typeEPSN_NS1_7vsmem_tEENKUlT_SL_SM_SN_E_clIS8_S8_S9_S9_EESK_S10_SL_SM_SN_EUlS10_E_NS1_11comp_targetILNS1_3genE8ELNS1_11target_archE1030ELNS1_3gpuE2ELNS1_3repE0EEENS1_48merge_mergepath_partition_config_static_selectorELNS0_4arch9wavefront6targetE0EEEvSM_.kd
    .uniform_work_group_size: 1
    .uses_dynamic_stack: false
    .vgpr_count:     0
    .vgpr_spill_count: 0
    .wavefront_size: 32
  - .args:
      - .offset:         0
        .size:           88
        .value_kind:     by_value
      - .offset:         88
        .size:           4
        .value_kind:     hidden_block_count_x
      - .offset:         92
        .size:           4
        .value_kind:     hidden_block_count_y
      - .offset:         96
        .size:           4
        .value_kind:     hidden_block_count_z
      - .offset:         100
        .size:           2
        .value_kind:     hidden_group_size_x
      - .offset:         102
        .size:           2
        .value_kind:     hidden_group_size_y
      - .offset:         104
        .size:           2
        .value_kind:     hidden_group_size_z
      - .offset:         106
        .size:           2
        .value_kind:     hidden_remainder_x
      - .offset:         108
        .size:           2
        .value_kind:     hidden_remainder_y
      - .offset:         110
        .size:           2
        .value_kind:     hidden_remainder_z
      - .offset:         128
        .size:           8
        .value_kind:     hidden_global_offset_x
      - .offset:         136
        .size:           8
        .value_kind:     hidden_global_offset_y
      - .offset:         144
        .size:           8
        .value_kind:     hidden_global_offset_z
      - .offset:         152
        .size:           2
        .value_kind:     hidden_grid_dims
    .group_segment_fixed_size: 8448
    .kernarg_segment_align: 8
    .kernarg_segment_size: 344
    .language:       OpenCL C
    .language_version:
      - 2
      - 0
    .max_flat_workgroup_size: 128
    .name:           _ZN7rocprim17ROCPRIM_400000_NS6detail17trampoline_kernelINS0_14default_configENS1_38merge_sort_block_merge_config_selectorIlNS0_10empty_typeEEEZZNS1_27merge_sort_block_merge_implIS3_PlPS5_mZN2at6native12_GLOBAL__N_124unique_dim_cuda_templateIhEESt5tupleIJNSA_6TensorESF_SF_EERKSF_lbbbEUlllE_EE10hipError_tT0_T1_T2_jT3_P12ihipStream_tbPNSt15iterator_traitsISL_E10value_typeEPNSR_ISM_E10value_typeEPSN_NS1_7vsmem_tEENKUlT_SL_SM_SN_E_clIS8_S8_S9_S9_EESK_S10_SL_SM_SN_EUlS10_E0_NS1_11comp_targetILNS1_3genE0ELNS1_11target_archE4294967295ELNS1_3gpuE0ELNS1_3repE0EEENS1_38merge_mergepath_config_static_selectorELNS0_4arch9wavefront6targetE0EEEvSM_
    .private_segment_fixed_size: 0
    .sgpr_count:     33
    .sgpr_spill_count: 0
    .symbol:         _ZN7rocprim17ROCPRIM_400000_NS6detail17trampoline_kernelINS0_14default_configENS1_38merge_sort_block_merge_config_selectorIlNS0_10empty_typeEEEZZNS1_27merge_sort_block_merge_implIS3_PlPS5_mZN2at6native12_GLOBAL__N_124unique_dim_cuda_templateIhEESt5tupleIJNSA_6TensorESF_SF_EERKSF_lbbbEUlllE_EE10hipError_tT0_T1_T2_jT3_P12ihipStream_tbPNSt15iterator_traitsISL_E10value_typeEPNSR_ISM_E10value_typeEPSN_NS1_7vsmem_tEENKUlT_SL_SM_SN_E_clIS8_S8_S9_S9_EESK_S10_SL_SM_SN_EUlS10_E0_NS1_11comp_targetILNS1_3genE0ELNS1_11target_archE4294967295ELNS1_3gpuE0ELNS1_3repE0EEENS1_38merge_mergepath_config_static_selectorELNS0_4arch9wavefront6targetE0EEEvSM_.kd
    .uniform_work_group_size: 1
    .uses_dynamic_stack: false
    .vgpr_count:     41
    .vgpr_spill_count: 0
    .wavefront_size: 32
  - .args:
      - .offset:         0
        .size:           88
        .value_kind:     by_value
    .group_segment_fixed_size: 0
    .kernarg_segment_align: 8
    .kernarg_segment_size: 88
    .language:       OpenCL C
    .language_version:
      - 2
      - 0
    .max_flat_workgroup_size: 512
    .name:           _ZN7rocprim17ROCPRIM_400000_NS6detail17trampoline_kernelINS0_14default_configENS1_38merge_sort_block_merge_config_selectorIlNS0_10empty_typeEEEZZNS1_27merge_sort_block_merge_implIS3_PlPS5_mZN2at6native12_GLOBAL__N_124unique_dim_cuda_templateIhEESt5tupleIJNSA_6TensorESF_SF_EERKSF_lbbbEUlllE_EE10hipError_tT0_T1_T2_jT3_P12ihipStream_tbPNSt15iterator_traitsISL_E10value_typeEPNSR_ISM_E10value_typeEPSN_NS1_7vsmem_tEENKUlT_SL_SM_SN_E_clIS8_S8_S9_S9_EESK_S10_SL_SM_SN_EUlS10_E0_NS1_11comp_targetILNS1_3genE10ELNS1_11target_archE1201ELNS1_3gpuE5ELNS1_3repE0EEENS1_38merge_mergepath_config_static_selectorELNS0_4arch9wavefront6targetE0EEEvSM_
    .private_segment_fixed_size: 0
    .sgpr_count:     0
    .sgpr_spill_count: 0
    .symbol:         _ZN7rocprim17ROCPRIM_400000_NS6detail17trampoline_kernelINS0_14default_configENS1_38merge_sort_block_merge_config_selectorIlNS0_10empty_typeEEEZZNS1_27merge_sort_block_merge_implIS3_PlPS5_mZN2at6native12_GLOBAL__N_124unique_dim_cuda_templateIhEESt5tupleIJNSA_6TensorESF_SF_EERKSF_lbbbEUlllE_EE10hipError_tT0_T1_T2_jT3_P12ihipStream_tbPNSt15iterator_traitsISL_E10value_typeEPNSR_ISM_E10value_typeEPSN_NS1_7vsmem_tEENKUlT_SL_SM_SN_E_clIS8_S8_S9_S9_EESK_S10_SL_SM_SN_EUlS10_E0_NS1_11comp_targetILNS1_3genE10ELNS1_11target_archE1201ELNS1_3gpuE5ELNS1_3repE0EEENS1_38merge_mergepath_config_static_selectorELNS0_4arch9wavefront6targetE0EEEvSM_.kd
    .uniform_work_group_size: 1
    .uses_dynamic_stack: false
    .vgpr_count:     0
    .vgpr_spill_count: 0
    .wavefront_size: 32
  - .args:
      - .offset:         0
        .size:           88
        .value_kind:     by_value
    .group_segment_fixed_size: 0
    .kernarg_segment_align: 8
    .kernarg_segment_size: 88
    .language:       OpenCL C
    .language_version:
      - 2
      - 0
    .max_flat_workgroup_size: 128
    .name:           _ZN7rocprim17ROCPRIM_400000_NS6detail17trampoline_kernelINS0_14default_configENS1_38merge_sort_block_merge_config_selectorIlNS0_10empty_typeEEEZZNS1_27merge_sort_block_merge_implIS3_PlPS5_mZN2at6native12_GLOBAL__N_124unique_dim_cuda_templateIhEESt5tupleIJNSA_6TensorESF_SF_EERKSF_lbbbEUlllE_EE10hipError_tT0_T1_T2_jT3_P12ihipStream_tbPNSt15iterator_traitsISL_E10value_typeEPNSR_ISM_E10value_typeEPSN_NS1_7vsmem_tEENKUlT_SL_SM_SN_E_clIS8_S8_S9_S9_EESK_S10_SL_SM_SN_EUlS10_E0_NS1_11comp_targetILNS1_3genE5ELNS1_11target_archE942ELNS1_3gpuE9ELNS1_3repE0EEENS1_38merge_mergepath_config_static_selectorELNS0_4arch9wavefront6targetE0EEEvSM_
    .private_segment_fixed_size: 0
    .sgpr_count:     0
    .sgpr_spill_count: 0
    .symbol:         _ZN7rocprim17ROCPRIM_400000_NS6detail17trampoline_kernelINS0_14default_configENS1_38merge_sort_block_merge_config_selectorIlNS0_10empty_typeEEEZZNS1_27merge_sort_block_merge_implIS3_PlPS5_mZN2at6native12_GLOBAL__N_124unique_dim_cuda_templateIhEESt5tupleIJNSA_6TensorESF_SF_EERKSF_lbbbEUlllE_EE10hipError_tT0_T1_T2_jT3_P12ihipStream_tbPNSt15iterator_traitsISL_E10value_typeEPNSR_ISM_E10value_typeEPSN_NS1_7vsmem_tEENKUlT_SL_SM_SN_E_clIS8_S8_S9_S9_EESK_S10_SL_SM_SN_EUlS10_E0_NS1_11comp_targetILNS1_3genE5ELNS1_11target_archE942ELNS1_3gpuE9ELNS1_3repE0EEENS1_38merge_mergepath_config_static_selectorELNS0_4arch9wavefront6targetE0EEEvSM_.kd
    .uniform_work_group_size: 1
    .uses_dynamic_stack: false
    .vgpr_count:     0
    .vgpr_spill_count: 0
    .wavefront_size: 32
  - .args:
      - .offset:         0
        .size:           88
        .value_kind:     by_value
    .group_segment_fixed_size: 0
    .kernarg_segment_align: 8
    .kernarg_segment_size: 88
    .language:       OpenCL C
    .language_version:
      - 2
      - 0
    .max_flat_workgroup_size: 256
    .name:           _ZN7rocprim17ROCPRIM_400000_NS6detail17trampoline_kernelINS0_14default_configENS1_38merge_sort_block_merge_config_selectorIlNS0_10empty_typeEEEZZNS1_27merge_sort_block_merge_implIS3_PlPS5_mZN2at6native12_GLOBAL__N_124unique_dim_cuda_templateIhEESt5tupleIJNSA_6TensorESF_SF_EERKSF_lbbbEUlllE_EE10hipError_tT0_T1_T2_jT3_P12ihipStream_tbPNSt15iterator_traitsISL_E10value_typeEPNSR_ISM_E10value_typeEPSN_NS1_7vsmem_tEENKUlT_SL_SM_SN_E_clIS8_S8_S9_S9_EESK_S10_SL_SM_SN_EUlS10_E0_NS1_11comp_targetILNS1_3genE4ELNS1_11target_archE910ELNS1_3gpuE8ELNS1_3repE0EEENS1_38merge_mergepath_config_static_selectorELNS0_4arch9wavefront6targetE0EEEvSM_
    .private_segment_fixed_size: 0
    .sgpr_count:     0
    .sgpr_spill_count: 0
    .symbol:         _ZN7rocprim17ROCPRIM_400000_NS6detail17trampoline_kernelINS0_14default_configENS1_38merge_sort_block_merge_config_selectorIlNS0_10empty_typeEEEZZNS1_27merge_sort_block_merge_implIS3_PlPS5_mZN2at6native12_GLOBAL__N_124unique_dim_cuda_templateIhEESt5tupleIJNSA_6TensorESF_SF_EERKSF_lbbbEUlllE_EE10hipError_tT0_T1_T2_jT3_P12ihipStream_tbPNSt15iterator_traitsISL_E10value_typeEPNSR_ISM_E10value_typeEPSN_NS1_7vsmem_tEENKUlT_SL_SM_SN_E_clIS8_S8_S9_S9_EESK_S10_SL_SM_SN_EUlS10_E0_NS1_11comp_targetILNS1_3genE4ELNS1_11target_archE910ELNS1_3gpuE8ELNS1_3repE0EEENS1_38merge_mergepath_config_static_selectorELNS0_4arch9wavefront6targetE0EEEvSM_.kd
    .uniform_work_group_size: 1
    .uses_dynamic_stack: false
    .vgpr_count:     0
    .vgpr_spill_count: 0
    .wavefront_size: 32
  - .args:
      - .offset:         0
        .size:           88
        .value_kind:     by_value
    .group_segment_fixed_size: 0
    .kernarg_segment_align: 8
    .kernarg_segment_size: 88
    .language:       OpenCL C
    .language_version:
      - 2
      - 0
    .max_flat_workgroup_size: 128
    .name:           _ZN7rocprim17ROCPRIM_400000_NS6detail17trampoline_kernelINS0_14default_configENS1_38merge_sort_block_merge_config_selectorIlNS0_10empty_typeEEEZZNS1_27merge_sort_block_merge_implIS3_PlPS5_mZN2at6native12_GLOBAL__N_124unique_dim_cuda_templateIhEESt5tupleIJNSA_6TensorESF_SF_EERKSF_lbbbEUlllE_EE10hipError_tT0_T1_T2_jT3_P12ihipStream_tbPNSt15iterator_traitsISL_E10value_typeEPNSR_ISM_E10value_typeEPSN_NS1_7vsmem_tEENKUlT_SL_SM_SN_E_clIS8_S8_S9_S9_EESK_S10_SL_SM_SN_EUlS10_E0_NS1_11comp_targetILNS1_3genE3ELNS1_11target_archE908ELNS1_3gpuE7ELNS1_3repE0EEENS1_38merge_mergepath_config_static_selectorELNS0_4arch9wavefront6targetE0EEEvSM_
    .private_segment_fixed_size: 0
    .sgpr_count:     0
    .sgpr_spill_count: 0
    .symbol:         _ZN7rocprim17ROCPRIM_400000_NS6detail17trampoline_kernelINS0_14default_configENS1_38merge_sort_block_merge_config_selectorIlNS0_10empty_typeEEEZZNS1_27merge_sort_block_merge_implIS3_PlPS5_mZN2at6native12_GLOBAL__N_124unique_dim_cuda_templateIhEESt5tupleIJNSA_6TensorESF_SF_EERKSF_lbbbEUlllE_EE10hipError_tT0_T1_T2_jT3_P12ihipStream_tbPNSt15iterator_traitsISL_E10value_typeEPNSR_ISM_E10value_typeEPSN_NS1_7vsmem_tEENKUlT_SL_SM_SN_E_clIS8_S8_S9_S9_EESK_S10_SL_SM_SN_EUlS10_E0_NS1_11comp_targetILNS1_3genE3ELNS1_11target_archE908ELNS1_3gpuE7ELNS1_3repE0EEENS1_38merge_mergepath_config_static_selectorELNS0_4arch9wavefront6targetE0EEEvSM_.kd
    .uniform_work_group_size: 1
    .uses_dynamic_stack: false
    .vgpr_count:     0
    .vgpr_spill_count: 0
    .wavefront_size: 32
  - .args:
      - .offset:         0
        .size:           88
        .value_kind:     by_value
    .group_segment_fixed_size: 0
    .kernarg_segment_align: 8
    .kernarg_segment_size: 88
    .language:       OpenCL C
    .language_version:
      - 2
      - 0
    .max_flat_workgroup_size: 256
    .name:           _ZN7rocprim17ROCPRIM_400000_NS6detail17trampoline_kernelINS0_14default_configENS1_38merge_sort_block_merge_config_selectorIlNS0_10empty_typeEEEZZNS1_27merge_sort_block_merge_implIS3_PlPS5_mZN2at6native12_GLOBAL__N_124unique_dim_cuda_templateIhEESt5tupleIJNSA_6TensorESF_SF_EERKSF_lbbbEUlllE_EE10hipError_tT0_T1_T2_jT3_P12ihipStream_tbPNSt15iterator_traitsISL_E10value_typeEPNSR_ISM_E10value_typeEPSN_NS1_7vsmem_tEENKUlT_SL_SM_SN_E_clIS8_S8_S9_S9_EESK_S10_SL_SM_SN_EUlS10_E0_NS1_11comp_targetILNS1_3genE2ELNS1_11target_archE906ELNS1_3gpuE6ELNS1_3repE0EEENS1_38merge_mergepath_config_static_selectorELNS0_4arch9wavefront6targetE0EEEvSM_
    .private_segment_fixed_size: 0
    .sgpr_count:     0
    .sgpr_spill_count: 0
    .symbol:         _ZN7rocprim17ROCPRIM_400000_NS6detail17trampoline_kernelINS0_14default_configENS1_38merge_sort_block_merge_config_selectorIlNS0_10empty_typeEEEZZNS1_27merge_sort_block_merge_implIS3_PlPS5_mZN2at6native12_GLOBAL__N_124unique_dim_cuda_templateIhEESt5tupleIJNSA_6TensorESF_SF_EERKSF_lbbbEUlllE_EE10hipError_tT0_T1_T2_jT3_P12ihipStream_tbPNSt15iterator_traitsISL_E10value_typeEPNSR_ISM_E10value_typeEPSN_NS1_7vsmem_tEENKUlT_SL_SM_SN_E_clIS8_S8_S9_S9_EESK_S10_SL_SM_SN_EUlS10_E0_NS1_11comp_targetILNS1_3genE2ELNS1_11target_archE906ELNS1_3gpuE6ELNS1_3repE0EEENS1_38merge_mergepath_config_static_selectorELNS0_4arch9wavefront6targetE0EEEvSM_.kd
    .uniform_work_group_size: 1
    .uses_dynamic_stack: false
    .vgpr_count:     0
    .vgpr_spill_count: 0
    .wavefront_size: 32
  - .args:
      - .offset:         0
        .size:           88
        .value_kind:     by_value
    .group_segment_fixed_size: 0
    .kernarg_segment_align: 8
    .kernarg_segment_size: 88
    .language:       OpenCL C
    .language_version:
      - 2
      - 0
    .max_flat_workgroup_size: 512
    .name:           _ZN7rocprim17ROCPRIM_400000_NS6detail17trampoline_kernelINS0_14default_configENS1_38merge_sort_block_merge_config_selectorIlNS0_10empty_typeEEEZZNS1_27merge_sort_block_merge_implIS3_PlPS5_mZN2at6native12_GLOBAL__N_124unique_dim_cuda_templateIhEESt5tupleIJNSA_6TensorESF_SF_EERKSF_lbbbEUlllE_EE10hipError_tT0_T1_T2_jT3_P12ihipStream_tbPNSt15iterator_traitsISL_E10value_typeEPNSR_ISM_E10value_typeEPSN_NS1_7vsmem_tEENKUlT_SL_SM_SN_E_clIS8_S8_S9_S9_EESK_S10_SL_SM_SN_EUlS10_E0_NS1_11comp_targetILNS1_3genE9ELNS1_11target_archE1100ELNS1_3gpuE3ELNS1_3repE0EEENS1_38merge_mergepath_config_static_selectorELNS0_4arch9wavefront6targetE0EEEvSM_
    .private_segment_fixed_size: 0
    .sgpr_count:     0
    .sgpr_spill_count: 0
    .symbol:         _ZN7rocprim17ROCPRIM_400000_NS6detail17trampoline_kernelINS0_14default_configENS1_38merge_sort_block_merge_config_selectorIlNS0_10empty_typeEEEZZNS1_27merge_sort_block_merge_implIS3_PlPS5_mZN2at6native12_GLOBAL__N_124unique_dim_cuda_templateIhEESt5tupleIJNSA_6TensorESF_SF_EERKSF_lbbbEUlllE_EE10hipError_tT0_T1_T2_jT3_P12ihipStream_tbPNSt15iterator_traitsISL_E10value_typeEPNSR_ISM_E10value_typeEPSN_NS1_7vsmem_tEENKUlT_SL_SM_SN_E_clIS8_S8_S9_S9_EESK_S10_SL_SM_SN_EUlS10_E0_NS1_11comp_targetILNS1_3genE9ELNS1_11target_archE1100ELNS1_3gpuE3ELNS1_3repE0EEENS1_38merge_mergepath_config_static_selectorELNS0_4arch9wavefront6targetE0EEEvSM_.kd
    .uniform_work_group_size: 1
    .uses_dynamic_stack: false
    .vgpr_count:     0
    .vgpr_spill_count: 0
    .wavefront_size: 32
  - .args:
      - .offset:         0
        .size:           88
        .value_kind:     by_value
    .group_segment_fixed_size: 0
    .kernarg_segment_align: 8
    .kernarg_segment_size: 88
    .language:       OpenCL C
    .language_version:
      - 2
      - 0
    .max_flat_workgroup_size: 1024
    .name:           _ZN7rocprim17ROCPRIM_400000_NS6detail17trampoline_kernelINS0_14default_configENS1_38merge_sort_block_merge_config_selectorIlNS0_10empty_typeEEEZZNS1_27merge_sort_block_merge_implIS3_PlPS5_mZN2at6native12_GLOBAL__N_124unique_dim_cuda_templateIhEESt5tupleIJNSA_6TensorESF_SF_EERKSF_lbbbEUlllE_EE10hipError_tT0_T1_T2_jT3_P12ihipStream_tbPNSt15iterator_traitsISL_E10value_typeEPNSR_ISM_E10value_typeEPSN_NS1_7vsmem_tEENKUlT_SL_SM_SN_E_clIS8_S8_S9_S9_EESK_S10_SL_SM_SN_EUlS10_E0_NS1_11comp_targetILNS1_3genE8ELNS1_11target_archE1030ELNS1_3gpuE2ELNS1_3repE0EEENS1_38merge_mergepath_config_static_selectorELNS0_4arch9wavefront6targetE0EEEvSM_
    .private_segment_fixed_size: 0
    .sgpr_count:     0
    .sgpr_spill_count: 0
    .symbol:         _ZN7rocprim17ROCPRIM_400000_NS6detail17trampoline_kernelINS0_14default_configENS1_38merge_sort_block_merge_config_selectorIlNS0_10empty_typeEEEZZNS1_27merge_sort_block_merge_implIS3_PlPS5_mZN2at6native12_GLOBAL__N_124unique_dim_cuda_templateIhEESt5tupleIJNSA_6TensorESF_SF_EERKSF_lbbbEUlllE_EE10hipError_tT0_T1_T2_jT3_P12ihipStream_tbPNSt15iterator_traitsISL_E10value_typeEPNSR_ISM_E10value_typeEPSN_NS1_7vsmem_tEENKUlT_SL_SM_SN_E_clIS8_S8_S9_S9_EESK_S10_SL_SM_SN_EUlS10_E0_NS1_11comp_targetILNS1_3genE8ELNS1_11target_archE1030ELNS1_3gpuE2ELNS1_3repE0EEENS1_38merge_mergepath_config_static_selectorELNS0_4arch9wavefront6targetE0EEEvSM_.kd
    .uniform_work_group_size: 1
    .uses_dynamic_stack: false
    .vgpr_count:     0
    .vgpr_spill_count: 0
    .wavefront_size: 32
  - .args:
      - .offset:         0
        .size:           64
        .value_kind:     by_value
    .group_segment_fixed_size: 0
    .kernarg_segment_align: 8
    .kernarg_segment_size: 64
    .language:       OpenCL C
    .language_version:
      - 2
      - 0
    .max_flat_workgroup_size: 256
    .name:           _ZN7rocprim17ROCPRIM_400000_NS6detail17trampoline_kernelINS0_14default_configENS1_38merge_sort_block_merge_config_selectorIlNS0_10empty_typeEEEZZNS1_27merge_sort_block_merge_implIS3_PlPS5_mZN2at6native12_GLOBAL__N_124unique_dim_cuda_templateIhEESt5tupleIJNSA_6TensorESF_SF_EERKSF_lbbbEUlllE_EE10hipError_tT0_T1_T2_jT3_P12ihipStream_tbPNSt15iterator_traitsISL_E10value_typeEPNSR_ISM_E10value_typeEPSN_NS1_7vsmem_tEENKUlT_SL_SM_SN_E_clIS8_S8_S9_S9_EESK_S10_SL_SM_SN_EUlS10_E1_NS1_11comp_targetILNS1_3genE0ELNS1_11target_archE4294967295ELNS1_3gpuE0ELNS1_3repE0EEENS1_36merge_oddeven_config_static_selectorELNS0_4arch9wavefront6targetE0EEEvSM_
    .private_segment_fixed_size: 0
    .sgpr_count:     27
    .sgpr_spill_count: 0
    .symbol:         _ZN7rocprim17ROCPRIM_400000_NS6detail17trampoline_kernelINS0_14default_configENS1_38merge_sort_block_merge_config_selectorIlNS0_10empty_typeEEEZZNS1_27merge_sort_block_merge_implIS3_PlPS5_mZN2at6native12_GLOBAL__N_124unique_dim_cuda_templateIhEESt5tupleIJNSA_6TensorESF_SF_EERKSF_lbbbEUlllE_EE10hipError_tT0_T1_T2_jT3_P12ihipStream_tbPNSt15iterator_traitsISL_E10value_typeEPNSR_ISM_E10value_typeEPSN_NS1_7vsmem_tEENKUlT_SL_SM_SN_E_clIS8_S8_S9_S9_EESK_S10_SL_SM_SN_EUlS10_E1_NS1_11comp_targetILNS1_3genE0ELNS1_11target_archE4294967295ELNS1_3gpuE0ELNS1_3repE0EEENS1_36merge_oddeven_config_static_selectorELNS0_4arch9wavefront6targetE0EEEvSM_.kd
    .uniform_work_group_size: 1
    .uses_dynamic_stack: false
    .vgpr_count:     18
    .vgpr_spill_count: 0
    .wavefront_size: 32
  - .args:
      - .offset:         0
        .size:           64
        .value_kind:     by_value
    .group_segment_fixed_size: 0
    .kernarg_segment_align: 8
    .kernarg_segment_size: 64
    .language:       OpenCL C
    .language_version:
      - 2
      - 0
    .max_flat_workgroup_size: 256
    .name:           _ZN7rocprim17ROCPRIM_400000_NS6detail17trampoline_kernelINS0_14default_configENS1_38merge_sort_block_merge_config_selectorIlNS0_10empty_typeEEEZZNS1_27merge_sort_block_merge_implIS3_PlPS5_mZN2at6native12_GLOBAL__N_124unique_dim_cuda_templateIhEESt5tupleIJNSA_6TensorESF_SF_EERKSF_lbbbEUlllE_EE10hipError_tT0_T1_T2_jT3_P12ihipStream_tbPNSt15iterator_traitsISL_E10value_typeEPNSR_ISM_E10value_typeEPSN_NS1_7vsmem_tEENKUlT_SL_SM_SN_E_clIS8_S8_S9_S9_EESK_S10_SL_SM_SN_EUlS10_E1_NS1_11comp_targetILNS1_3genE10ELNS1_11target_archE1201ELNS1_3gpuE5ELNS1_3repE0EEENS1_36merge_oddeven_config_static_selectorELNS0_4arch9wavefront6targetE0EEEvSM_
    .private_segment_fixed_size: 0
    .sgpr_count:     0
    .sgpr_spill_count: 0
    .symbol:         _ZN7rocprim17ROCPRIM_400000_NS6detail17trampoline_kernelINS0_14default_configENS1_38merge_sort_block_merge_config_selectorIlNS0_10empty_typeEEEZZNS1_27merge_sort_block_merge_implIS3_PlPS5_mZN2at6native12_GLOBAL__N_124unique_dim_cuda_templateIhEESt5tupleIJNSA_6TensorESF_SF_EERKSF_lbbbEUlllE_EE10hipError_tT0_T1_T2_jT3_P12ihipStream_tbPNSt15iterator_traitsISL_E10value_typeEPNSR_ISM_E10value_typeEPSN_NS1_7vsmem_tEENKUlT_SL_SM_SN_E_clIS8_S8_S9_S9_EESK_S10_SL_SM_SN_EUlS10_E1_NS1_11comp_targetILNS1_3genE10ELNS1_11target_archE1201ELNS1_3gpuE5ELNS1_3repE0EEENS1_36merge_oddeven_config_static_selectorELNS0_4arch9wavefront6targetE0EEEvSM_.kd
    .uniform_work_group_size: 1
    .uses_dynamic_stack: false
    .vgpr_count:     0
    .vgpr_spill_count: 0
    .wavefront_size: 32
  - .args:
      - .offset:         0
        .size:           64
        .value_kind:     by_value
    .group_segment_fixed_size: 0
    .kernarg_segment_align: 8
    .kernarg_segment_size: 64
    .language:       OpenCL C
    .language_version:
      - 2
      - 0
    .max_flat_workgroup_size: 256
    .name:           _ZN7rocprim17ROCPRIM_400000_NS6detail17trampoline_kernelINS0_14default_configENS1_38merge_sort_block_merge_config_selectorIlNS0_10empty_typeEEEZZNS1_27merge_sort_block_merge_implIS3_PlPS5_mZN2at6native12_GLOBAL__N_124unique_dim_cuda_templateIhEESt5tupleIJNSA_6TensorESF_SF_EERKSF_lbbbEUlllE_EE10hipError_tT0_T1_T2_jT3_P12ihipStream_tbPNSt15iterator_traitsISL_E10value_typeEPNSR_ISM_E10value_typeEPSN_NS1_7vsmem_tEENKUlT_SL_SM_SN_E_clIS8_S8_S9_S9_EESK_S10_SL_SM_SN_EUlS10_E1_NS1_11comp_targetILNS1_3genE5ELNS1_11target_archE942ELNS1_3gpuE9ELNS1_3repE0EEENS1_36merge_oddeven_config_static_selectorELNS0_4arch9wavefront6targetE0EEEvSM_
    .private_segment_fixed_size: 0
    .sgpr_count:     0
    .sgpr_spill_count: 0
    .symbol:         _ZN7rocprim17ROCPRIM_400000_NS6detail17trampoline_kernelINS0_14default_configENS1_38merge_sort_block_merge_config_selectorIlNS0_10empty_typeEEEZZNS1_27merge_sort_block_merge_implIS3_PlPS5_mZN2at6native12_GLOBAL__N_124unique_dim_cuda_templateIhEESt5tupleIJNSA_6TensorESF_SF_EERKSF_lbbbEUlllE_EE10hipError_tT0_T1_T2_jT3_P12ihipStream_tbPNSt15iterator_traitsISL_E10value_typeEPNSR_ISM_E10value_typeEPSN_NS1_7vsmem_tEENKUlT_SL_SM_SN_E_clIS8_S8_S9_S9_EESK_S10_SL_SM_SN_EUlS10_E1_NS1_11comp_targetILNS1_3genE5ELNS1_11target_archE942ELNS1_3gpuE9ELNS1_3repE0EEENS1_36merge_oddeven_config_static_selectorELNS0_4arch9wavefront6targetE0EEEvSM_.kd
    .uniform_work_group_size: 1
    .uses_dynamic_stack: false
    .vgpr_count:     0
    .vgpr_spill_count: 0
    .wavefront_size: 32
  - .args:
      - .offset:         0
        .size:           64
        .value_kind:     by_value
    .group_segment_fixed_size: 0
    .kernarg_segment_align: 8
    .kernarg_segment_size: 64
    .language:       OpenCL C
    .language_version:
      - 2
      - 0
    .max_flat_workgroup_size: 256
    .name:           _ZN7rocprim17ROCPRIM_400000_NS6detail17trampoline_kernelINS0_14default_configENS1_38merge_sort_block_merge_config_selectorIlNS0_10empty_typeEEEZZNS1_27merge_sort_block_merge_implIS3_PlPS5_mZN2at6native12_GLOBAL__N_124unique_dim_cuda_templateIhEESt5tupleIJNSA_6TensorESF_SF_EERKSF_lbbbEUlllE_EE10hipError_tT0_T1_T2_jT3_P12ihipStream_tbPNSt15iterator_traitsISL_E10value_typeEPNSR_ISM_E10value_typeEPSN_NS1_7vsmem_tEENKUlT_SL_SM_SN_E_clIS8_S8_S9_S9_EESK_S10_SL_SM_SN_EUlS10_E1_NS1_11comp_targetILNS1_3genE4ELNS1_11target_archE910ELNS1_3gpuE8ELNS1_3repE0EEENS1_36merge_oddeven_config_static_selectorELNS0_4arch9wavefront6targetE0EEEvSM_
    .private_segment_fixed_size: 0
    .sgpr_count:     0
    .sgpr_spill_count: 0
    .symbol:         _ZN7rocprim17ROCPRIM_400000_NS6detail17trampoline_kernelINS0_14default_configENS1_38merge_sort_block_merge_config_selectorIlNS0_10empty_typeEEEZZNS1_27merge_sort_block_merge_implIS3_PlPS5_mZN2at6native12_GLOBAL__N_124unique_dim_cuda_templateIhEESt5tupleIJNSA_6TensorESF_SF_EERKSF_lbbbEUlllE_EE10hipError_tT0_T1_T2_jT3_P12ihipStream_tbPNSt15iterator_traitsISL_E10value_typeEPNSR_ISM_E10value_typeEPSN_NS1_7vsmem_tEENKUlT_SL_SM_SN_E_clIS8_S8_S9_S9_EESK_S10_SL_SM_SN_EUlS10_E1_NS1_11comp_targetILNS1_3genE4ELNS1_11target_archE910ELNS1_3gpuE8ELNS1_3repE0EEENS1_36merge_oddeven_config_static_selectorELNS0_4arch9wavefront6targetE0EEEvSM_.kd
    .uniform_work_group_size: 1
    .uses_dynamic_stack: false
    .vgpr_count:     0
    .vgpr_spill_count: 0
    .wavefront_size: 32
  - .args:
      - .offset:         0
        .size:           64
        .value_kind:     by_value
    .group_segment_fixed_size: 0
    .kernarg_segment_align: 8
    .kernarg_segment_size: 64
    .language:       OpenCL C
    .language_version:
      - 2
      - 0
    .max_flat_workgroup_size: 256
    .name:           _ZN7rocprim17ROCPRIM_400000_NS6detail17trampoline_kernelINS0_14default_configENS1_38merge_sort_block_merge_config_selectorIlNS0_10empty_typeEEEZZNS1_27merge_sort_block_merge_implIS3_PlPS5_mZN2at6native12_GLOBAL__N_124unique_dim_cuda_templateIhEESt5tupleIJNSA_6TensorESF_SF_EERKSF_lbbbEUlllE_EE10hipError_tT0_T1_T2_jT3_P12ihipStream_tbPNSt15iterator_traitsISL_E10value_typeEPNSR_ISM_E10value_typeEPSN_NS1_7vsmem_tEENKUlT_SL_SM_SN_E_clIS8_S8_S9_S9_EESK_S10_SL_SM_SN_EUlS10_E1_NS1_11comp_targetILNS1_3genE3ELNS1_11target_archE908ELNS1_3gpuE7ELNS1_3repE0EEENS1_36merge_oddeven_config_static_selectorELNS0_4arch9wavefront6targetE0EEEvSM_
    .private_segment_fixed_size: 0
    .sgpr_count:     0
    .sgpr_spill_count: 0
    .symbol:         _ZN7rocprim17ROCPRIM_400000_NS6detail17trampoline_kernelINS0_14default_configENS1_38merge_sort_block_merge_config_selectorIlNS0_10empty_typeEEEZZNS1_27merge_sort_block_merge_implIS3_PlPS5_mZN2at6native12_GLOBAL__N_124unique_dim_cuda_templateIhEESt5tupleIJNSA_6TensorESF_SF_EERKSF_lbbbEUlllE_EE10hipError_tT0_T1_T2_jT3_P12ihipStream_tbPNSt15iterator_traitsISL_E10value_typeEPNSR_ISM_E10value_typeEPSN_NS1_7vsmem_tEENKUlT_SL_SM_SN_E_clIS8_S8_S9_S9_EESK_S10_SL_SM_SN_EUlS10_E1_NS1_11comp_targetILNS1_3genE3ELNS1_11target_archE908ELNS1_3gpuE7ELNS1_3repE0EEENS1_36merge_oddeven_config_static_selectorELNS0_4arch9wavefront6targetE0EEEvSM_.kd
    .uniform_work_group_size: 1
    .uses_dynamic_stack: false
    .vgpr_count:     0
    .vgpr_spill_count: 0
    .wavefront_size: 32
  - .args:
      - .offset:         0
        .size:           64
        .value_kind:     by_value
    .group_segment_fixed_size: 0
    .kernarg_segment_align: 8
    .kernarg_segment_size: 64
    .language:       OpenCL C
    .language_version:
      - 2
      - 0
    .max_flat_workgroup_size: 256
    .name:           _ZN7rocprim17ROCPRIM_400000_NS6detail17trampoline_kernelINS0_14default_configENS1_38merge_sort_block_merge_config_selectorIlNS0_10empty_typeEEEZZNS1_27merge_sort_block_merge_implIS3_PlPS5_mZN2at6native12_GLOBAL__N_124unique_dim_cuda_templateIhEESt5tupleIJNSA_6TensorESF_SF_EERKSF_lbbbEUlllE_EE10hipError_tT0_T1_T2_jT3_P12ihipStream_tbPNSt15iterator_traitsISL_E10value_typeEPNSR_ISM_E10value_typeEPSN_NS1_7vsmem_tEENKUlT_SL_SM_SN_E_clIS8_S8_S9_S9_EESK_S10_SL_SM_SN_EUlS10_E1_NS1_11comp_targetILNS1_3genE2ELNS1_11target_archE906ELNS1_3gpuE6ELNS1_3repE0EEENS1_36merge_oddeven_config_static_selectorELNS0_4arch9wavefront6targetE0EEEvSM_
    .private_segment_fixed_size: 0
    .sgpr_count:     0
    .sgpr_spill_count: 0
    .symbol:         _ZN7rocprim17ROCPRIM_400000_NS6detail17trampoline_kernelINS0_14default_configENS1_38merge_sort_block_merge_config_selectorIlNS0_10empty_typeEEEZZNS1_27merge_sort_block_merge_implIS3_PlPS5_mZN2at6native12_GLOBAL__N_124unique_dim_cuda_templateIhEESt5tupleIJNSA_6TensorESF_SF_EERKSF_lbbbEUlllE_EE10hipError_tT0_T1_T2_jT3_P12ihipStream_tbPNSt15iterator_traitsISL_E10value_typeEPNSR_ISM_E10value_typeEPSN_NS1_7vsmem_tEENKUlT_SL_SM_SN_E_clIS8_S8_S9_S9_EESK_S10_SL_SM_SN_EUlS10_E1_NS1_11comp_targetILNS1_3genE2ELNS1_11target_archE906ELNS1_3gpuE6ELNS1_3repE0EEENS1_36merge_oddeven_config_static_selectorELNS0_4arch9wavefront6targetE0EEEvSM_.kd
    .uniform_work_group_size: 1
    .uses_dynamic_stack: false
    .vgpr_count:     0
    .vgpr_spill_count: 0
    .wavefront_size: 32
  - .args:
      - .offset:         0
        .size:           64
        .value_kind:     by_value
    .group_segment_fixed_size: 0
    .kernarg_segment_align: 8
    .kernarg_segment_size: 64
    .language:       OpenCL C
    .language_version:
      - 2
      - 0
    .max_flat_workgroup_size: 256
    .name:           _ZN7rocprim17ROCPRIM_400000_NS6detail17trampoline_kernelINS0_14default_configENS1_38merge_sort_block_merge_config_selectorIlNS0_10empty_typeEEEZZNS1_27merge_sort_block_merge_implIS3_PlPS5_mZN2at6native12_GLOBAL__N_124unique_dim_cuda_templateIhEESt5tupleIJNSA_6TensorESF_SF_EERKSF_lbbbEUlllE_EE10hipError_tT0_T1_T2_jT3_P12ihipStream_tbPNSt15iterator_traitsISL_E10value_typeEPNSR_ISM_E10value_typeEPSN_NS1_7vsmem_tEENKUlT_SL_SM_SN_E_clIS8_S8_S9_S9_EESK_S10_SL_SM_SN_EUlS10_E1_NS1_11comp_targetILNS1_3genE9ELNS1_11target_archE1100ELNS1_3gpuE3ELNS1_3repE0EEENS1_36merge_oddeven_config_static_selectorELNS0_4arch9wavefront6targetE0EEEvSM_
    .private_segment_fixed_size: 0
    .sgpr_count:     0
    .sgpr_spill_count: 0
    .symbol:         _ZN7rocprim17ROCPRIM_400000_NS6detail17trampoline_kernelINS0_14default_configENS1_38merge_sort_block_merge_config_selectorIlNS0_10empty_typeEEEZZNS1_27merge_sort_block_merge_implIS3_PlPS5_mZN2at6native12_GLOBAL__N_124unique_dim_cuda_templateIhEESt5tupleIJNSA_6TensorESF_SF_EERKSF_lbbbEUlllE_EE10hipError_tT0_T1_T2_jT3_P12ihipStream_tbPNSt15iterator_traitsISL_E10value_typeEPNSR_ISM_E10value_typeEPSN_NS1_7vsmem_tEENKUlT_SL_SM_SN_E_clIS8_S8_S9_S9_EESK_S10_SL_SM_SN_EUlS10_E1_NS1_11comp_targetILNS1_3genE9ELNS1_11target_archE1100ELNS1_3gpuE3ELNS1_3repE0EEENS1_36merge_oddeven_config_static_selectorELNS0_4arch9wavefront6targetE0EEEvSM_.kd
    .uniform_work_group_size: 1
    .uses_dynamic_stack: false
    .vgpr_count:     0
    .vgpr_spill_count: 0
    .wavefront_size: 32
  - .args:
      - .offset:         0
        .size:           64
        .value_kind:     by_value
    .group_segment_fixed_size: 0
    .kernarg_segment_align: 8
    .kernarg_segment_size: 64
    .language:       OpenCL C
    .language_version:
      - 2
      - 0
    .max_flat_workgroup_size: 256
    .name:           _ZN7rocprim17ROCPRIM_400000_NS6detail17trampoline_kernelINS0_14default_configENS1_38merge_sort_block_merge_config_selectorIlNS0_10empty_typeEEEZZNS1_27merge_sort_block_merge_implIS3_PlPS5_mZN2at6native12_GLOBAL__N_124unique_dim_cuda_templateIhEESt5tupleIJNSA_6TensorESF_SF_EERKSF_lbbbEUlllE_EE10hipError_tT0_T1_T2_jT3_P12ihipStream_tbPNSt15iterator_traitsISL_E10value_typeEPNSR_ISM_E10value_typeEPSN_NS1_7vsmem_tEENKUlT_SL_SM_SN_E_clIS8_S8_S9_S9_EESK_S10_SL_SM_SN_EUlS10_E1_NS1_11comp_targetILNS1_3genE8ELNS1_11target_archE1030ELNS1_3gpuE2ELNS1_3repE0EEENS1_36merge_oddeven_config_static_selectorELNS0_4arch9wavefront6targetE0EEEvSM_
    .private_segment_fixed_size: 0
    .sgpr_count:     0
    .sgpr_spill_count: 0
    .symbol:         _ZN7rocprim17ROCPRIM_400000_NS6detail17trampoline_kernelINS0_14default_configENS1_38merge_sort_block_merge_config_selectorIlNS0_10empty_typeEEEZZNS1_27merge_sort_block_merge_implIS3_PlPS5_mZN2at6native12_GLOBAL__N_124unique_dim_cuda_templateIhEESt5tupleIJNSA_6TensorESF_SF_EERKSF_lbbbEUlllE_EE10hipError_tT0_T1_T2_jT3_P12ihipStream_tbPNSt15iterator_traitsISL_E10value_typeEPNSR_ISM_E10value_typeEPSN_NS1_7vsmem_tEENKUlT_SL_SM_SN_E_clIS8_S8_S9_S9_EESK_S10_SL_SM_SN_EUlS10_E1_NS1_11comp_targetILNS1_3genE8ELNS1_11target_archE1030ELNS1_3gpuE2ELNS1_3repE0EEENS1_36merge_oddeven_config_static_selectorELNS0_4arch9wavefront6targetE0EEEvSM_.kd
    .uniform_work_group_size: 1
    .uses_dynamic_stack: false
    .vgpr_count:     0
    .vgpr_spill_count: 0
    .wavefront_size: 32
  - .args:
      - .offset:         0
        .size:           40
        .value_kind:     by_value
      - .offset:         40
        .size:           4
        .value_kind:     hidden_block_count_x
      - .offset:         44
        .size:           4
        .value_kind:     hidden_block_count_y
      - .offset:         48
        .size:           4
        .value_kind:     hidden_block_count_z
      - .offset:         52
        .size:           2
        .value_kind:     hidden_group_size_x
      - .offset:         54
        .size:           2
        .value_kind:     hidden_group_size_y
      - .offset:         56
        .size:           2
        .value_kind:     hidden_group_size_z
      - .offset:         58
        .size:           2
        .value_kind:     hidden_remainder_x
      - .offset:         60
        .size:           2
        .value_kind:     hidden_remainder_y
      - .offset:         62
        .size:           2
        .value_kind:     hidden_remainder_z
      - .offset:         80
        .size:           8
        .value_kind:     hidden_global_offset_x
      - .offset:         88
        .size:           8
        .value_kind:     hidden_global_offset_y
      - .offset:         96
        .size:           8
        .value_kind:     hidden_global_offset_z
      - .offset:         104
        .size:           2
        .value_kind:     hidden_grid_dims
    .group_segment_fixed_size: 0
    .kernarg_segment_align: 8
    .kernarg_segment_size: 296
    .language:       OpenCL C
    .language_version:
      - 2
      - 0
    .max_flat_workgroup_size: 128
    .name:           _ZN7rocprim17ROCPRIM_400000_NS6detail17trampoline_kernelINS0_14default_configENS1_25transform_config_selectorIlLb1EEEZNS1_14transform_implILb1ES3_S5_PlS7_NS0_8identityIlEEEE10hipError_tT2_T3_mT4_P12ihipStream_tbEUlT_E_NS1_11comp_targetILNS1_3genE0ELNS1_11target_archE4294967295ELNS1_3gpuE0ELNS1_3repE0EEENS1_30default_config_static_selectorELNS0_4arch9wavefront6targetE0EEEvT1_
    .private_segment_fixed_size: 0
    .sgpr_count:     12
    .sgpr_spill_count: 0
    .symbol:         _ZN7rocprim17ROCPRIM_400000_NS6detail17trampoline_kernelINS0_14default_configENS1_25transform_config_selectorIlLb1EEEZNS1_14transform_implILb1ES3_S5_PlS7_NS0_8identityIlEEEE10hipError_tT2_T3_mT4_P12ihipStream_tbEUlT_E_NS1_11comp_targetILNS1_3genE0ELNS1_11target_archE4294967295ELNS1_3gpuE0ELNS1_3repE0EEENS1_30default_config_static_selectorELNS0_4arch9wavefront6targetE0EEEvT1_.kd
    .uniform_work_group_size: 1
    .uses_dynamic_stack: false
    .vgpr_count:     4
    .vgpr_spill_count: 0
    .wavefront_size: 32
  - .args:
      - .offset:         0
        .size:           40
        .value_kind:     by_value
    .group_segment_fixed_size: 0
    .kernarg_segment_align: 8
    .kernarg_segment_size: 40
    .language:       OpenCL C
    .language_version:
      - 2
      - 0
    .max_flat_workgroup_size: 1024
    .name:           _ZN7rocprim17ROCPRIM_400000_NS6detail17trampoline_kernelINS0_14default_configENS1_25transform_config_selectorIlLb1EEEZNS1_14transform_implILb1ES3_S5_PlS7_NS0_8identityIlEEEE10hipError_tT2_T3_mT4_P12ihipStream_tbEUlT_E_NS1_11comp_targetILNS1_3genE10ELNS1_11target_archE1201ELNS1_3gpuE5ELNS1_3repE0EEENS1_30default_config_static_selectorELNS0_4arch9wavefront6targetE0EEEvT1_
    .private_segment_fixed_size: 0
    .sgpr_count:     0
    .sgpr_spill_count: 0
    .symbol:         _ZN7rocprim17ROCPRIM_400000_NS6detail17trampoline_kernelINS0_14default_configENS1_25transform_config_selectorIlLb1EEEZNS1_14transform_implILb1ES3_S5_PlS7_NS0_8identityIlEEEE10hipError_tT2_T3_mT4_P12ihipStream_tbEUlT_E_NS1_11comp_targetILNS1_3genE10ELNS1_11target_archE1201ELNS1_3gpuE5ELNS1_3repE0EEENS1_30default_config_static_selectorELNS0_4arch9wavefront6targetE0EEEvT1_.kd
    .uniform_work_group_size: 1
    .uses_dynamic_stack: false
    .vgpr_count:     0
    .vgpr_spill_count: 0
    .wavefront_size: 32
  - .args:
      - .offset:         0
        .size:           40
        .value_kind:     by_value
    .group_segment_fixed_size: 0
    .kernarg_segment_align: 8
    .kernarg_segment_size: 40
    .language:       OpenCL C
    .language_version:
      - 2
      - 0
    .max_flat_workgroup_size: 512
    .name:           _ZN7rocprim17ROCPRIM_400000_NS6detail17trampoline_kernelINS0_14default_configENS1_25transform_config_selectorIlLb1EEEZNS1_14transform_implILb1ES3_S5_PlS7_NS0_8identityIlEEEE10hipError_tT2_T3_mT4_P12ihipStream_tbEUlT_E_NS1_11comp_targetILNS1_3genE5ELNS1_11target_archE942ELNS1_3gpuE9ELNS1_3repE0EEENS1_30default_config_static_selectorELNS0_4arch9wavefront6targetE0EEEvT1_
    .private_segment_fixed_size: 0
    .sgpr_count:     0
    .sgpr_spill_count: 0
    .symbol:         _ZN7rocprim17ROCPRIM_400000_NS6detail17trampoline_kernelINS0_14default_configENS1_25transform_config_selectorIlLb1EEEZNS1_14transform_implILb1ES3_S5_PlS7_NS0_8identityIlEEEE10hipError_tT2_T3_mT4_P12ihipStream_tbEUlT_E_NS1_11comp_targetILNS1_3genE5ELNS1_11target_archE942ELNS1_3gpuE9ELNS1_3repE0EEENS1_30default_config_static_selectorELNS0_4arch9wavefront6targetE0EEEvT1_.kd
    .uniform_work_group_size: 1
    .uses_dynamic_stack: false
    .vgpr_count:     0
    .vgpr_spill_count: 0
    .wavefront_size: 32
  - .args:
      - .offset:         0
        .size:           40
        .value_kind:     by_value
    .group_segment_fixed_size: 0
    .kernarg_segment_align: 8
    .kernarg_segment_size: 40
    .language:       OpenCL C
    .language_version:
      - 2
      - 0
    .max_flat_workgroup_size: 1024
    .name:           _ZN7rocprim17ROCPRIM_400000_NS6detail17trampoline_kernelINS0_14default_configENS1_25transform_config_selectorIlLb1EEEZNS1_14transform_implILb1ES3_S5_PlS7_NS0_8identityIlEEEE10hipError_tT2_T3_mT4_P12ihipStream_tbEUlT_E_NS1_11comp_targetILNS1_3genE4ELNS1_11target_archE910ELNS1_3gpuE8ELNS1_3repE0EEENS1_30default_config_static_selectorELNS0_4arch9wavefront6targetE0EEEvT1_
    .private_segment_fixed_size: 0
    .sgpr_count:     0
    .sgpr_spill_count: 0
    .symbol:         _ZN7rocprim17ROCPRIM_400000_NS6detail17trampoline_kernelINS0_14default_configENS1_25transform_config_selectorIlLb1EEEZNS1_14transform_implILb1ES3_S5_PlS7_NS0_8identityIlEEEE10hipError_tT2_T3_mT4_P12ihipStream_tbEUlT_E_NS1_11comp_targetILNS1_3genE4ELNS1_11target_archE910ELNS1_3gpuE8ELNS1_3repE0EEENS1_30default_config_static_selectorELNS0_4arch9wavefront6targetE0EEEvT1_.kd
    .uniform_work_group_size: 1
    .uses_dynamic_stack: false
    .vgpr_count:     0
    .vgpr_spill_count: 0
    .wavefront_size: 32
  - .args:
      - .offset:         0
        .size:           40
        .value_kind:     by_value
    .group_segment_fixed_size: 0
    .kernarg_segment_align: 8
    .kernarg_segment_size: 40
    .language:       OpenCL C
    .language_version:
      - 2
      - 0
    .max_flat_workgroup_size: 128
    .name:           _ZN7rocprim17ROCPRIM_400000_NS6detail17trampoline_kernelINS0_14default_configENS1_25transform_config_selectorIlLb1EEEZNS1_14transform_implILb1ES3_S5_PlS7_NS0_8identityIlEEEE10hipError_tT2_T3_mT4_P12ihipStream_tbEUlT_E_NS1_11comp_targetILNS1_3genE3ELNS1_11target_archE908ELNS1_3gpuE7ELNS1_3repE0EEENS1_30default_config_static_selectorELNS0_4arch9wavefront6targetE0EEEvT1_
    .private_segment_fixed_size: 0
    .sgpr_count:     0
    .sgpr_spill_count: 0
    .symbol:         _ZN7rocprim17ROCPRIM_400000_NS6detail17trampoline_kernelINS0_14default_configENS1_25transform_config_selectorIlLb1EEEZNS1_14transform_implILb1ES3_S5_PlS7_NS0_8identityIlEEEE10hipError_tT2_T3_mT4_P12ihipStream_tbEUlT_E_NS1_11comp_targetILNS1_3genE3ELNS1_11target_archE908ELNS1_3gpuE7ELNS1_3repE0EEENS1_30default_config_static_selectorELNS0_4arch9wavefront6targetE0EEEvT1_.kd
    .uniform_work_group_size: 1
    .uses_dynamic_stack: false
    .vgpr_count:     0
    .vgpr_spill_count: 0
    .wavefront_size: 32
  - .args:
      - .offset:         0
        .size:           40
        .value_kind:     by_value
    .group_segment_fixed_size: 0
    .kernarg_segment_align: 8
    .kernarg_segment_size: 40
    .language:       OpenCL C
    .language_version:
      - 2
      - 0
    .max_flat_workgroup_size: 512
    .name:           _ZN7rocprim17ROCPRIM_400000_NS6detail17trampoline_kernelINS0_14default_configENS1_25transform_config_selectorIlLb1EEEZNS1_14transform_implILb1ES3_S5_PlS7_NS0_8identityIlEEEE10hipError_tT2_T3_mT4_P12ihipStream_tbEUlT_E_NS1_11comp_targetILNS1_3genE2ELNS1_11target_archE906ELNS1_3gpuE6ELNS1_3repE0EEENS1_30default_config_static_selectorELNS0_4arch9wavefront6targetE0EEEvT1_
    .private_segment_fixed_size: 0
    .sgpr_count:     0
    .sgpr_spill_count: 0
    .symbol:         _ZN7rocprim17ROCPRIM_400000_NS6detail17trampoline_kernelINS0_14default_configENS1_25transform_config_selectorIlLb1EEEZNS1_14transform_implILb1ES3_S5_PlS7_NS0_8identityIlEEEE10hipError_tT2_T3_mT4_P12ihipStream_tbEUlT_E_NS1_11comp_targetILNS1_3genE2ELNS1_11target_archE906ELNS1_3gpuE6ELNS1_3repE0EEENS1_30default_config_static_selectorELNS0_4arch9wavefront6targetE0EEEvT1_.kd
    .uniform_work_group_size: 1
    .uses_dynamic_stack: false
    .vgpr_count:     0
    .vgpr_spill_count: 0
    .wavefront_size: 32
  - .args:
      - .offset:         0
        .size:           40
        .value_kind:     by_value
    .group_segment_fixed_size: 0
    .kernarg_segment_align: 8
    .kernarg_segment_size: 40
    .language:       OpenCL C
    .language_version:
      - 2
      - 0
    .max_flat_workgroup_size: 1024
    .name:           _ZN7rocprim17ROCPRIM_400000_NS6detail17trampoline_kernelINS0_14default_configENS1_25transform_config_selectorIlLb1EEEZNS1_14transform_implILb1ES3_S5_PlS7_NS0_8identityIlEEEE10hipError_tT2_T3_mT4_P12ihipStream_tbEUlT_E_NS1_11comp_targetILNS1_3genE9ELNS1_11target_archE1100ELNS1_3gpuE3ELNS1_3repE0EEENS1_30default_config_static_selectorELNS0_4arch9wavefront6targetE0EEEvT1_
    .private_segment_fixed_size: 0
    .sgpr_count:     0
    .sgpr_spill_count: 0
    .symbol:         _ZN7rocprim17ROCPRIM_400000_NS6detail17trampoline_kernelINS0_14default_configENS1_25transform_config_selectorIlLb1EEEZNS1_14transform_implILb1ES3_S5_PlS7_NS0_8identityIlEEEE10hipError_tT2_T3_mT4_P12ihipStream_tbEUlT_E_NS1_11comp_targetILNS1_3genE9ELNS1_11target_archE1100ELNS1_3gpuE3ELNS1_3repE0EEENS1_30default_config_static_selectorELNS0_4arch9wavefront6targetE0EEEvT1_.kd
    .uniform_work_group_size: 1
    .uses_dynamic_stack: false
    .vgpr_count:     0
    .vgpr_spill_count: 0
    .wavefront_size: 32
  - .args:
      - .offset:         0
        .size:           40
        .value_kind:     by_value
    .group_segment_fixed_size: 0
    .kernarg_segment_align: 8
    .kernarg_segment_size: 40
    .language:       OpenCL C
    .language_version:
      - 2
      - 0
    .max_flat_workgroup_size: 1024
    .name:           _ZN7rocprim17ROCPRIM_400000_NS6detail17trampoline_kernelINS0_14default_configENS1_25transform_config_selectorIlLb1EEEZNS1_14transform_implILb1ES3_S5_PlS7_NS0_8identityIlEEEE10hipError_tT2_T3_mT4_P12ihipStream_tbEUlT_E_NS1_11comp_targetILNS1_3genE8ELNS1_11target_archE1030ELNS1_3gpuE2ELNS1_3repE0EEENS1_30default_config_static_selectorELNS0_4arch9wavefront6targetE0EEEvT1_
    .private_segment_fixed_size: 0
    .sgpr_count:     0
    .sgpr_spill_count: 0
    .symbol:         _ZN7rocprim17ROCPRIM_400000_NS6detail17trampoline_kernelINS0_14default_configENS1_25transform_config_selectorIlLb1EEEZNS1_14transform_implILb1ES3_S5_PlS7_NS0_8identityIlEEEE10hipError_tT2_T3_mT4_P12ihipStream_tbEUlT_E_NS1_11comp_targetILNS1_3genE8ELNS1_11target_archE1030ELNS1_3gpuE2ELNS1_3repE0EEENS1_30default_config_static_selectorELNS0_4arch9wavefront6targetE0EEEvT1_.kd
    .uniform_work_group_size: 1
    .uses_dynamic_stack: false
    .vgpr_count:     0
    .vgpr_spill_count: 0
    .wavefront_size: 32
  - .args:
      - .offset:         0
        .size:           40
        .value_kind:     by_value
    .group_segment_fixed_size: 0
    .kernarg_segment_align: 8
    .kernarg_segment_size: 40
    .language:       OpenCL C
    .language_version:
      - 2
      - 0
    .max_flat_workgroup_size: 128
    .name:           _ZN7rocprim17ROCPRIM_400000_NS6detail17trampoline_kernelINS0_14default_configENS1_25transform_config_selectorINS0_10empty_typeELb1EEEZNS1_14transform_implILb1ES3_S6_PS5_S8_NS0_8identityIS5_EEEE10hipError_tT2_T3_mT4_P12ihipStream_tbEUlT_E_NS1_11comp_targetILNS1_3genE0ELNS1_11target_archE4294967295ELNS1_3gpuE0ELNS1_3repE0EEENS1_30default_config_static_selectorELNS0_4arch9wavefront6targetE0EEEvT1_
    .private_segment_fixed_size: 0
    .sgpr_count:     0
    .sgpr_spill_count: 0
    .symbol:         _ZN7rocprim17ROCPRIM_400000_NS6detail17trampoline_kernelINS0_14default_configENS1_25transform_config_selectorINS0_10empty_typeELb1EEEZNS1_14transform_implILb1ES3_S6_PS5_S8_NS0_8identityIS5_EEEE10hipError_tT2_T3_mT4_P12ihipStream_tbEUlT_E_NS1_11comp_targetILNS1_3genE0ELNS1_11target_archE4294967295ELNS1_3gpuE0ELNS1_3repE0EEENS1_30default_config_static_selectorELNS0_4arch9wavefront6targetE0EEEvT1_.kd
    .uniform_work_group_size: 1
    .uses_dynamic_stack: false
    .vgpr_count:     0
    .vgpr_spill_count: 0
    .wavefront_size: 32
  - .args:
      - .offset:         0
        .size:           40
        .value_kind:     by_value
    .group_segment_fixed_size: 0
    .kernarg_segment_align: 8
    .kernarg_segment_size: 40
    .language:       OpenCL C
    .language_version:
      - 2
      - 0
    .max_flat_workgroup_size: 1024
    .name:           _ZN7rocprim17ROCPRIM_400000_NS6detail17trampoline_kernelINS0_14default_configENS1_25transform_config_selectorINS0_10empty_typeELb1EEEZNS1_14transform_implILb1ES3_S6_PS5_S8_NS0_8identityIS5_EEEE10hipError_tT2_T3_mT4_P12ihipStream_tbEUlT_E_NS1_11comp_targetILNS1_3genE10ELNS1_11target_archE1201ELNS1_3gpuE5ELNS1_3repE0EEENS1_30default_config_static_selectorELNS0_4arch9wavefront6targetE0EEEvT1_
    .private_segment_fixed_size: 0
    .sgpr_count:     0
    .sgpr_spill_count: 0
    .symbol:         _ZN7rocprim17ROCPRIM_400000_NS6detail17trampoline_kernelINS0_14default_configENS1_25transform_config_selectorINS0_10empty_typeELb1EEEZNS1_14transform_implILb1ES3_S6_PS5_S8_NS0_8identityIS5_EEEE10hipError_tT2_T3_mT4_P12ihipStream_tbEUlT_E_NS1_11comp_targetILNS1_3genE10ELNS1_11target_archE1201ELNS1_3gpuE5ELNS1_3repE0EEENS1_30default_config_static_selectorELNS0_4arch9wavefront6targetE0EEEvT1_.kd
    .uniform_work_group_size: 1
    .uses_dynamic_stack: false
    .vgpr_count:     0
    .vgpr_spill_count: 0
    .wavefront_size: 32
  - .args:
      - .offset:         0
        .size:           40
        .value_kind:     by_value
    .group_segment_fixed_size: 0
    .kernarg_segment_align: 8
    .kernarg_segment_size: 40
    .language:       OpenCL C
    .language_version:
      - 2
      - 0
    .max_flat_workgroup_size: 256
    .name:           _ZN7rocprim17ROCPRIM_400000_NS6detail17trampoline_kernelINS0_14default_configENS1_25transform_config_selectorINS0_10empty_typeELb1EEEZNS1_14transform_implILb1ES3_S6_PS5_S8_NS0_8identityIS5_EEEE10hipError_tT2_T3_mT4_P12ihipStream_tbEUlT_E_NS1_11comp_targetILNS1_3genE5ELNS1_11target_archE942ELNS1_3gpuE9ELNS1_3repE0EEENS1_30default_config_static_selectorELNS0_4arch9wavefront6targetE0EEEvT1_
    .private_segment_fixed_size: 0
    .sgpr_count:     0
    .sgpr_spill_count: 0
    .symbol:         _ZN7rocprim17ROCPRIM_400000_NS6detail17trampoline_kernelINS0_14default_configENS1_25transform_config_selectorINS0_10empty_typeELb1EEEZNS1_14transform_implILb1ES3_S6_PS5_S8_NS0_8identityIS5_EEEE10hipError_tT2_T3_mT4_P12ihipStream_tbEUlT_E_NS1_11comp_targetILNS1_3genE5ELNS1_11target_archE942ELNS1_3gpuE9ELNS1_3repE0EEENS1_30default_config_static_selectorELNS0_4arch9wavefront6targetE0EEEvT1_.kd
    .uniform_work_group_size: 1
    .uses_dynamic_stack: false
    .vgpr_count:     0
    .vgpr_spill_count: 0
    .wavefront_size: 32
  - .args:
      - .offset:         0
        .size:           40
        .value_kind:     by_value
    .group_segment_fixed_size: 0
    .kernarg_segment_align: 8
    .kernarg_segment_size: 40
    .language:       OpenCL C
    .language_version:
      - 2
      - 0
    .max_flat_workgroup_size: 1024
    .name:           _ZN7rocprim17ROCPRIM_400000_NS6detail17trampoline_kernelINS0_14default_configENS1_25transform_config_selectorINS0_10empty_typeELb1EEEZNS1_14transform_implILb1ES3_S6_PS5_S8_NS0_8identityIS5_EEEE10hipError_tT2_T3_mT4_P12ihipStream_tbEUlT_E_NS1_11comp_targetILNS1_3genE4ELNS1_11target_archE910ELNS1_3gpuE8ELNS1_3repE0EEENS1_30default_config_static_selectorELNS0_4arch9wavefront6targetE0EEEvT1_
    .private_segment_fixed_size: 0
    .sgpr_count:     0
    .sgpr_spill_count: 0
    .symbol:         _ZN7rocprim17ROCPRIM_400000_NS6detail17trampoline_kernelINS0_14default_configENS1_25transform_config_selectorINS0_10empty_typeELb1EEEZNS1_14transform_implILb1ES3_S6_PS5_S8_NS0_8identityIS5_EEEE10hipError_tT2_T3_mT4_P12ihipStream_tbEUlT_E_NS1_11comp_targetILNS1_3genE4ELNS1_11target_archE910ELNS1_3gpuE8ELNS1_3repE0EEENS1_30default_config_static_selectorELNS0_4arch9wavefront6targetE0EEEvT1_.kd
    .uniform_work_group_size: 1
    .uses_dynamic_stack: false
    .vgpr_count:     0
    .vgpr_spill_count: 0
    .wavefront_size: 32
  - .args:
      - .offset:         0
        .size:           40
        .value_kind:     by_value
    .group_segment_fixed_size: 0
    .kernarg_segment_align: 8
    .kernarg_segment_size: 40
    .language:       OpenCL C
    .language_version:
      - 2
      - 0
    .max_flat_workgroup_size: 128
    .name:           _ZN7rocprim17ROCPRIM_400000_NS6detail17trampoline_kernelINS0_14default_configENS1_25transform_config_selectorINS0_10empty_typeELb1EEEZNS1_14transform_implILb1ES3_S6_PS5_S8_NS0_8identityIS5_EEEE10hipError_tT2_T3_mT4_P12ihipStream_tbEUlT_E_NS1_11comp_targetILNS1_3genE3ELNS1_11target_archE908ELNS1_3gpuE7ELNS1_3repE0EEENS1_30default_config_static_selectorELNS0_4arch9wavefront6targetE0EEEvT1_
    .private_segment_fixed_size: 0
    .sgpr_count:     0
    .sgpr_spill_count: 0
    .symbol:         _ZN7rocprim17ROCPRIM_400000_NS6detail17trampoline_kernelINS0_14default_configENS1_25transform_config_selectorINS0_10empty_typeELb1EEEZNS1_14transform_implILb1ES3_S6_PS5_S8_NS0_8identityIS5_EEEE10hipError_tT2_T3_mT4_P12ihipStream_tbEUlT_E_NS1_11comp_targetILNS1_3genE3ELNS1_11target_archE908ELNS1_3gpuE7ELNS1_3repE0EEENS1_30default_config_static_selectorELNS0_4arch9wavefront6targetE0EEEvT1_.kd
    .uniform_work_group_size: 1
    .uses_dynamic_stack: false
    .vgpr_count:     0
    .vgpr_spill_count: 0
    .wavefront_size: 32
  - .args:
      - .offset:         0
        .size:           40
        .value_kind:     by_value
    .group_segment_fixed_size: 0
    .kernarg_segment_align: 8
    .kernarg_segment_size: 40
    .language:       OpenCL C
    .language_version:
      - 2
      - 0
    .max_flat_workgroup_size: 512
    .name:           _ZN7rocprim17ROCPRIM_400000_NS6detail17trampoline_kernelINS0_14default_configENS1_25transform_config_selectorINS0_10empty_typeELb1EEEZNS1_14transform_implILb1ES3_S6_PS5_S8_NS0_8identityIS5_EEEE10hipError_tT2_T3_mT4_P12ihipStream_tbEUlT_E_NS1_11comp_targetILNS1_3genE2ELNS1_11target_archE906ELNS1_3gpuE6ELNS1_3repE0EEENS1_30default_config_static_selectorELNS0_4arch9wavefront6targetE0EEEvT1_
    .private_segment_fixed_size: 0
    .sgpr_count:     0
    .sgpr_spill_count: 0
    .symbol:         _ZN7rocprim17ROCPRIM_400000_NS6detail17trampoline_kernelINS0_14default_configENS1_25transform_config_selectorINS0_10empty_typeELb1EEEZNS1_14transform_implILb1ES3_S6_PS5_S8_NS0_8identityIS5_EEEE10hipError_tT2_T3_mT4_P12ihipStream_tbEUlT_E_NS1_11comp_targetILNS1_3genE2ELNS1_11target_archE906ELNS1_3gpuE6ELNS1_3repE0EEENS1_30default_config_static_selectorELNS0_4arch9wavefront6targetE0EEEvT1_.kd
    .uniform_work_group_size: 1
    .uses_dynamic_stack: false
    .vgpr_count:     0
    .vgpr_spill_count: 0
    .wavefront_size: 32
  - .args:
      - .offset:         0
        .size:           40
        .value_kind:     by_value
    .group_segment_fixed_size: 0
    .kernarg_segment_align: 8
    .kernarg_segment_size: 40
    .language:       OpenCL C
    .language_version:
      - 2
      - 0
    .max_flat_workgroup_size: 1024
    .name:           _ZN7rocprim17ROCPRIM_400000_NS6detail17trampoline_kernelINS0_14default_configENS1_25transform_config_selectorINS0_10empty_typeELb1EEEZNS1_14transform_implILb1ES3_S6_PS5_S8_NS0_8identityIS5_EEEE10hipError_tT2_T3_mT4_P12ihipStream_tbEUlT_E_NS1_11comp_targetILNS1_3genE9ELNS1_11target_archE1100ELNS1_3gpuE3ELNS1_3repE0EEENS1_30default_config_static_selectorELNS0_4arch9wavefront6targetE0EEEvT1_
    .private_segment_fixed_size: 0
    .sgpr_count:     0
    .sgpr_spill_count: 0
    .symbol:         _ZN7rocprim17ROCPRIM_400000_NS6detail17trampoline_kernelINS0_14default_configENS1_25transform_config_selectorINS0_10empty_typeELb1EEEZNS1_14transform_implILb1ES3_S6_PS5_S8_NS0_8identityIS5_EEEE10hipError_tT2_T3_mT4_P12ihipStream_tbEUlT_E_NS1_11comp_targetILNS1_3genE9ELNS1_11target_archE1100ELNS1_3gpuE3ELNS1_3repE0EEENS1_30default_config_static_selectorELNS0_4arch9wavefront6targetE0EEEvT1_.kd
    .uniform_work_group_size: 1
    .uses_dynamic_stack: false
    .vgpr_count:     0
    .vgpr_spill_count: 0
    .wavefront_size: 32
  - .args:
      - .offset:         0
        .size:           40
        .value_kind:     by_value
    .group_segment_fixed_size: 0
    .kernarg_segment_align: 8
    .kernarg_segment_size: 40
    .language:       OpenCL C
    .language_version:
      - 2
      - 0
    .max_flat_workgroup_size: 1024
    .name:           _ZN7rocprim17ROCPRIM_400000_NS6detail17trampoline_kernelINS0_14default_configENS1_25transform_config_selectorINS0_10empty_typeELb1EEEZNS1_14transform_implILb1ES3_S6_PS5_S8_NS0_8identityIS5_EEEE10hipError_tT2_T3_mT4_P12ihipStream_tbEUlT_E_NS1_11comp_targetILNS1_3genE8ELNS1_11target_archE1030ELNS1_3gpuE2ELNS1_3repE0EEENS1_30default_config_static_selectorELNS0_4arch9wavefront6targetE0EEEvT1_
    .private_segment_fixed_size: 0
    .sgpr_count:     0
    .sgpr_spill_count: 0
    .symbol:         _ZN7rocprim17ROCPRIM_400000_NS6detail17trampoline_kernelINS0_14default_configENS1_25transform_config_selectorINS0_10empty_typeELb1EEEZNS1_14transform_implILb1ES3_S6_PS5_S8_NS0_8identityIS5_EEEE10hipError_tT2_T3_mT4_P12ihipStream_tbEUlT_E_NS1_11comp_targetILNS1_3genE8ELNS1_11target_archE1030ELNS1_3gpuE2ELNS1_3repE0EEENS1_30default_config_static_selectorELNS0_4arch9wavefront6targetE0EEEvT1_.kd
    .uniform_work_group_size: 1
    .uses_dynamic_stack: false
    .vgpr_count:     0
    .vgpr_spill_count: 0
    .wavefront_size: 32
  - .args:
      - .offset:         0
        .size:           64
        .value_kind:     by_value
    .group_segment_fixed_size: 2048
    .kernarg_segment_align: 8
    .kernarg_segment_size: 64
    .language:       OpenCL C
    .language_version:
      - 2
      - 0
    .max_flat_workgroup_size: 128
    .name:           _ZN7rocprim17ROCPRIM_400000_NS6detail17trampoline_kernelINS0_14default_configENS1_35adjacent_difference_config_selectorILb0ElEEZNS1_24adjacent_difference_implIS3_Lb0ELb0EPlS7_ZN2at6native12_GLOBAL__N_124unique_dim_cuda_templateIhEESt5tupleIJNS8_6TensorESD_SD_EERKSD_lbbbEUlllE1_EE10hipError_tPvRmT2_T3_mT4_P12ihipStream_tbEUlT_E_NS1_11comp_targetILNS1_3genE0ELNS1_11target_archE4294967295ELNS1_3gpuE0ELNS1_3repE0EEENS1_30default_config_static_selectorELNS0_4arch9wavefront6targetE0EEEvT1_
    .private_segment_fixed_size: 0
    .sgpr_count:     26
    .sgpr_spill_count: 0
    .symbol:         _ZN7rocprim17ROCPRIM_400000_NS6detail17trampoline_kernelINS0_14default_configENS1_35adjacent_difference_config_selectorILb0ElEEZNS1_24adjacent_difference_implIS3_Lb0ELb0EPlS7_ZN2at6native12_GLOBAL__N_124unique_dim_cuda_templateIhEESt5tupleIJNS8_6TensorESD_SD_EERKSD_lbbbEUlllE1_EE10hipError_tPvRmT2_T3_mT4_P12ihipStream_tbEUlT_E_NS1_11comp_targetILNS1_3genE0ELNS1_11target_archE4294967295ELNS1_3gpuE0ELNS1_3repE0EEENS1_30default_config_static_selectorELNS0_4arch9wavefront6targetE0EEEvT1_.kd
    .uniform_work_group_size: 1
    .uses_dynamic_stack: false
    .vgpr_count:     12
    .vgpr_spill_count: 0
    .wavefront_size: 32
  - .args:
      - .offset:         0
        .size:           64
        .value_kind:     by_value
    .group_segment_fixed_size: 0
    .kernarg_segment_align: 8
    .kernarg_segment_size: 64
    .language:       OpenCL C
    .language_version:
      - 2
      - 0
    .max_flat_workgroup_size: 128
    .name:           _ZN7rocprim17ROCPRIM_400000_NS6detail17trampoline_kernelINS0_14default_configENS1_35adjacent_difference_config_selectorILb0ElEEZNS1_24adjacent_difference_implIS3_Lb0ELb0EPlS7_ZN2at6native12_GLOBAL__N_124unique_dim_cuda_templateIhEESt5tupleIJNS8_6TensorESD_SD_EERKSD_lbbbEUlllE1_EE10hipError_tPvRmT2_T3_mT4_P12ihipStream_tbEUlT_E_NS1_11comp_targetILNS1_3genE10ELNS1_11target_archE1201ELNS1_3gpuE5ELNS1_3repE0EEENS1_30default_config_static_selectorELNS0_4arch9wavefront6targetE0EEEvT1_
    .private_segment_fixed_size: 0
    .sgpr_count:     0
    .sgpr_spill_count: 0
    .symbol:         _ZN7rocprim17ROCPRIM_400000_NS6detail17trampoline_kernelINS0_14default_configENS1_35adjacent_difference_config_selectorILb0ElEEZNS1_24adjacent_difference_implIS3_Lb0ELb0EPlS7_ZN2at6native12_GLOBAL__N_124unique_dim_cuda_templateIhEESt5tupleIJNS8_6TensorESD_SD_EERKSD_lbbbEUlllE1_EE10hipError_tPvRmT2_T3_mT4_P12ihipStream_tbEUlT_E_NS1_11comp_targetILNS1_3genE10ELNS1_11target_archE1201ELNS1_3gpuE5ELNS1_3repE0EEENS1_30default_config_static_selectorELNS0_4arch9wavefront6targetE0EEEvT1_.kd
    .uniform_work_group_size: 1
    .uses_dynamic_stack: false
    .vgpr_count:     0
    .vgpr_spill_count: 0
    .wavefront_size: 32
  - .args:
      - .offset:         0
        .size:           64
        .value_kind:     by_value
    .group_segment_fixed_size: 0
    .kernarg_segment_align: 8
    .kernarg_segment_size: 64
    .language:       OpenCL C
    .language_version:
      - 2
      - 0
    .max_flat_workgroup_size: 64
    .name:           _ZN7rocprim17ROCPRIM_400000_NS6detail17trampoline_kernelINS0_14default_configENS1_35adjacent_difference_config_selectorILb0ElEEZNS1_24adjacent_difference_implIS3_Lb0ELb0EPlS7_ZN2at6native12_GLOBAL__N_124unique_dim_cuda_templateIhEESt5tupleIJNS8_6TensorESD_SD_EERKSD_lbbbEUlllE1_EE10hipError_tPvRmT2_T3_mT4_P12ihipStream_tbEUlT_E_NS1_11comp_targetILNS1_3genE5ELNS1_11target_archE942ELNS1_3gpuE9ELNS1_3repE0EEENS1_30default_config_static_selectorELNS0_4arch9wavefront6targetE0EEEvT1_
    .private_segment_fixed_size: 0
    .sgpr_count:     0
    .sgpr_spill_count: 0
    .symbol:         _ZN7rocprim17ROCPRIM_400000_NS6detail17trampoline_kernelINS0_14default_configENS1_35adjacent_difference_config_selectorILb0ElEEZNS1_24adjacent_difference_implIS3_Lb0ELb0EPlS7_ZN2at6native12_GLOBAL__N_124unique_dim_cuda_templateIhEESt5tupleIJNS8_6TensorESD_SD_EERKSD_lbbbEUlllE1_EE10hipError_tPvRmT2_T3_mT4_P12ihipStream_tbEUlT_E_NS1_11comp_targetILNS1_3genE5ELNS1_11target_archE942ELNS1_3gpuE9ELNS1_3repE0EEENS1_30default_config_static_selectorELNS0_4arch9wavefront6targetE0EEEvT1_.kd
    .uniform_work_group_size: 1
    .uses_dynamic_stack: false
    .vgpr_count:     0
    .vgpr_spill_count: 0
    .wavefront_size: 32
  - .args:
      - .offset:         0
        .size:           64
        .value_kind:     by_value
    .group_segment_fixed_size: 0
    .kernarg_segment_align: 8
    .kernarg_segment_size: 64
    .language:       OpenCL C
    .language_version:
      - 2
      - 0
    .max_flat_workgroup_size: 256
    .name:           _ZN7rocprim17ROCPRIM_400000_NS6detail17trampoline_kernelINS0_14default_configENS1_35adjacent_difference_config_selectorILb0ElEEZNS1_24adjacent_difference_implIS3_Lb0ELb0EPlS7_ZN2at6native12_GLOBAL__N_124unique_dim_cuda_templateIhEESt5tupleIJNS8_6TensorESD_SD_EERKSD_lbbbEUlllE1_EE10hipError_tPvRmT2_T3_mT4_P12ihipStream_tbEUlT_E_NS1_11comp_targetILNS1_3genE4ELNS1_11target_archE910ELNS1_3gpuE8ELNS1_3repE0EEENS1_30default_config_static_selectorELNS0_4arch9wavefront6targetE0EEEvT1_
    .private_segment_fixed_size: 0
    .sgpr_count:     0
    .sgpr_spill_count: 0
    .symbol:         _ZN7rocprim17ROCPRIM_400000_NS6detail17trampoline_kernelINS0_14default_configENS1_35adjacent_difference_config_selectorILb0ElEEZNS1_24adjacent_difference_implIS3_Lb0ELb0EPlS7_ZN2at6native12_GLOBAL__N_124unique_dim_cuda_templateIhEESt5tupleIJNS8_6TensorESD_SD_EERKSD_lbbbEUlllE1_EE10hipError_tPvRmT2_T3_mT4_P12ihipStream_tbEUlT_E_NS1_11comp_targetILNS1_3genE4ELNS1_11target_archE910ELNS1_3gpuE8ELNS1_3repE0EEENS1_30default_config_static_selectorELNS0_4arch9wavefront6targetE0EEEvT1_.kd
    .uniform_work_group_size: 1
    .uses_dynamic_stack: false
    .vgpr_count:     0
    .vgpr_spill_count: 0
    .wavefront_size: 32
  - .args:
      - .offset:         0
        .size:           64
        .value_kind:     by_value
    .group_segment_fixed_size: 0
    .kernarg_segment_align: 8
    .kernarg_segment_size: 64
    .language:       OpenCL C
    .language_version:
      - 2
      - 0
    .max_flat_workgroup_size: 128
    .name:           _ZN7rocprim17ROCPRIM_400000_NS6detail17trampoline_kernelINS0_14default_configENS1_35adjacent_difference_config_selectorILb0ElEEZNS1_24adjacent_difference_implIS3_Lb0ELb0EPlS7_ZN2at6native12_GLOBAL__N_124unique_dim_cuda_templateIhEESt5tupleIJNS8_6TensorESD_SD_EERKSD_lbbbEUlllE1_EE10hipError_tPvRmT2_T3_mT4_P12ihipStream_tbEUlT_E_NS1_11comp_targetILNS1_3genE3ELNS1_11target_archE908ELNS1_3gpuE7ELNS1_3repE0EEENS1_30default_config_static_selectorELNS0_4arch9wavefront6targetE0EEEvT1_
    .private_segment_fixed_size: 0
    .sgpr_count:     0
    .sgpr_spill_count: 0
    .symbol:         _ZN7rocprim17ROCPRIM_400000_NS6detail17trampoline_kernelINS0_14default_configENS1_35adjacent_difference_config_selectorILb0ElEEZNS1_24adjacent_difference_implIS3_Lb0ELb0EPlS7_ZN2at6native12_GLOBAL__N_124unique_dim_cuda_templateIhEESt5tupleIJNS8_6TensorESD_SD_EERKSD_lbbbEUlllE1_EE10hipError_tPvRmT2_T3_mT4_P12ihipStream_tbEUlT_E_NS1_11comp_targetILNS1_3genE3ELNS1_11target_archE908ELNS1_3gpuE7ELNS1_3repE0EEENS1_30default_config_static_selectorELNS0_4arch9wavefront6targetE0EEEvT1_.kd
    .uniform_work_group_size: 1
    .uses_dynamic_stack: false
    .vgpr_count:     0
    .vgpr_spill_count: 0
    .wavefront_size: 32
  - .args:
      - .offset:         0
        .size:           64
        .value_kind:     by_value
    .group_segment_fixed_size: 0
    .kernarg_segment_align: 8
    .kernarg_segment_size: 64
    .language:       OpenCL C
    .language_version:
      - 2
      - 0
    .max_flat_workgroup_size: 128
    .name:           _ZN7rocprim17ROCPRIM_400000_NS6detail17trampoline_kernelINS0_14default_configENS1_35adjacent_difference_config_selectorILb0ElEEZNS1_24adjacent_difference_implIS3_Lb0ELb0EPlS7_ZN2at6native12_GLOBAL__N_124unique_dim_cuda_templateIhEESt5tupleIJNS8_6TensorESD_SD_EERKSD_lbbbEUlllE1_EE10hipError_tPvRmT2_T3_mT4_P12ihipStream_tbEUlT_E_NS1_11comp_targetILNS1_3genE2ELNS1_11target_archE906ELNS1_3gpuE6ELNS1_3repE0EEENS1_30default_config_static_selectorELNS0_4arch9wavefront6targetE0EEEvT1_
    .private_segment_fixed_size: 0
    .sgpr_count:     0
    .sgpr_spill_count: 0
    .symbol:         _ZN7rocprim17ROCPRIM_400000_NS6detail17trampoline_kernelINS0_14default_configENS1_35adjacent_difference_config_selectorILb0ElEEZNS1_24adjacent_difference_implIS3_Lb0ELb0EPlS7_ZN2at6native12_GLOBAL__N_124unique_dim_cuda_templateIhEESt5tupleIJNS8_6TensorESD_SD_EERKSD_lbbbEUlllE1_EE10hipError_tPvRmT2_T3_mT4_P12ihipStream_tbEUlT_E_NS1_11comp_targetILNS1_3genE2ELNS1_11target_archE906ELNS1_3gpuE6ELNS1_3repE0EEENS1_30default_config_static_selectorELNS0_4arch9wavefront6targetE0EEEvT1_.kd
    .uniform_work_group_size: 1
    .uses_dynamic_stack: false
    .vgpr_count:     0
    .vgpr_spill_count: 0
    .wavefront_size: 32
  - .args:
      - .offset:         0
        .size:           64
        .value_kind:     by_value
    .group_segment_fixed_size: 0
    .kernarg_segment_align: 8
    .kernarg_segment_size: 64
    .language:       OpenCL C
    .language_version:
      - 2
      - 0
    .max_flat_workgroup_size: 512
    .name:           _ZN7rocprim17ROCPRIM_400000_NS6detail17trampoline_kernelINS0_14default_configENS1_35adjacent_difference_config_selectorILb0ElEEZNS1_24adjacent_difference_implIS3_Lb0ELb0EPlS7_ZN2at6native12_GLOBAL__N_124unique_dim_cuda_templateIhEESt5tupleIJNS8_6TensorESD_SD_EERKSD_lbbbEUlllE1_EE10hipError_tPvRmT2_T3_mT4_P12ihipStream_tbEUlT_E_NS1_11comp_targetILNS1_3genE9ELNS1_11target_archE1100ELNS1_3gpuE3ELNS1_3repE0EEENS1_30default_config_static_selectorELNS0_4arch9wavefront6targetE0EEEvT1_
    .private_segment_fixed_size: 0
    .sgpr_count:     0
    .sgpr_spill_count: 0
    .symbol:         _ZN7rocprim17ROCPRIM_400000_NS6detail17trampoline_kernelINS0_14default_configENS1_35adjacent_difference_config_selectorILb0ElEEZNS1_24adjacent_difference_implIS3_Lb0ELb0EPlS7_ZN2at6native12_GLOBAL__N_124unique_dim_cuda_templateIhEESt5tupleIJNS8_6TensorESD_SD_EERKSD_lbbbEUlllE1_EE10hipError_tPvRmT2_T3_mT4_P12ihipStream_tbEUlT_E_NS1_11comp_targetILNS1_3genE9ELNS1_11target_archE1100ELNS1_3gpuE3ELNS1_3repE0EEENS1_30default_config_static_selectorELNS0_4arch9wavefront6targetE0EEEvT1_.kd
    .uniform_work_group_size: 1
    .uses_dynamic_stack: false
    .vgpr_count:     0
    .vgpr_spill_count: 0
    .wavefront_size: 32
  - .args:
      - .offset:         0
        .size:           64
        .value_kind:     by_value
    .group_segment_fixed_size: 0
    .kernarg_segment_align: 8
    .kernarg_segment_size: 64
    .language:       OpenCL C
    .language_version:
      - 2
      - 0
    .max_flat_workgroup_size: 1024
    .name:           _ZN7rocprim17ROCPRIM_400000_NS6detail17trampoline_kernelINS0_14default_configENS1_35adjacent_difference_config_selectorILb0ElEEZNS1_24adjacent_difference_implIS3_Lb0ELb0EPlS7_ZN2at6native12_GLOBAL__N_124unique_dim_cuda_templateIhEESt5tupleIJNS8_6TensorESD_SD_EERKSD_lbbbEUlllE1_EE10hipError_tPvRmT2_T3_mT4_P12ihipStream_tbEUlT_E_NS1_11comp_targetILNS1_3genE8ELNS1_11target_archE1030ELNS1_3gpuE2ELNS1_3repE0EEENS1_30default_config_static_selectorELNS0_4arch9wavefront6targetE0EEEvT1_
    .private_segment_fixed_size: 0
    .sgpr_count:     0
    .sgpr_spill_count: 0
    .symbol:         _ZN7rocprim17ROCPRIM_400000_NS6detail17trampoline_kernelINS0_14default_configENS1_35adjacent_difference_config_selectorILb0ElEEZNS1_24adjacent_difference_implIS3_Lb0ELb0EPlS7_ZN2at6native12_GLOBAL__N_124unique_dim_cuda_templateIhEESt5tupleIJNS8_6TensorESD_SD_EERKSD_lbbbEUlllE1_EE10hipError_tPvRmT2_T3_mT4_P12ihipStream_tbEUlT_E_NS1_11comp_targetILNS1_3genE8ELNS1_11target_archE1030ELNS1_3gpuE2ELNS1_3repE0EEENS1_30default_config_static_selectorELNS0_4arch9wavefront6targetE0EEEvT1_.kd
    .uniform_work_group_size: 1
    .uses_dynamic_stack: false
    .vgpr_count:     0
    .vgpr_spill_count: 0
    .wavefront_size: 32
  - .args:
      - .offset:         0
        .size:           56
        .value_kind:     by_value
      - .offset:         56
        .size:           4
        .value_kind:     hidden_block_count_x
      - .offset:         60
        .size:           4
        .value_kind:     hidden_block_count_y
      - .offset:         64
        .size:           4
        .value_kind:     hidden_block_count_z
      - .offset:         68
        .size:           2
        .value_kind:     hidden_group_size_x
      - .offset:         70
        .size:           2
        .value_kind:     hidden_group_size_y
      - .offset:         72
        .size:           2
        .value_kind:     hidden_group_size_z
      - .offset:         74
        .size:           2
        .value_kind:     hidden_remainder_x
      - .offset:         76
        .size:           2
        .value_kind:     hidden_remainder_y
      - .offset:         78
        .size:           2
        .value_kind:     hidden_remainder_z
      - .offset:         96
        .size:           8
        .value_kind:     hidden_global_offset_x
      - .offset:         104
        .size:           8
        .value_kind:     hidden_global_offset_y
      - .offset:         112
        .size:           8
        .value_kind:     hidden_global_offset_z
      - .offset:         120
        .size:           2
        .value_kind:     hidden_grid_dims
    .group_segment_fixed_size: 0
    .kernarg_segment_align: 8
    .kernarg_segment_size: 312
    .language:       OpenCL C
    .language_version:
      - 2
      - 0
    .max_flat_workgroup_size: 128
    .name:           _ZN7rocprim17ROCPRIM_400000_NS6detail17trampoline_kernelINS0_14default_configENS1_25transform_config_selectorIlLb0EEEZNS1_14transform_implILb0ES3_S5_NS0_18transform_iteratorINS0_17counting_iteratorImlEEZNS1_24adjacent_difference_implIS3_Lb1ELb0EPlSB_ZN2at6native12_GLOBAL__N_124unique_dim_cuda_templateIhEESt5tupleIJNSC_6TensorESH_SH_EERKSH_lbbbEUlllE1_EE10hipError_tPvRmT2_T3_mT4_P12ihipStream_tbEUlmE_lEESB_NS0_8identityIvEEEESM_SP_SQ_mSR_ST_bEUlT_E_NS1_11comp_targetILNS1_3genE0ELNS1_11target_archE4294967295ELNS1_3gpuE0ELNS1_3repE0EEENS1_30default_config_static_selectorELNS0_4arch9wavefront6targetE0EEEvT1_
    .private_segment_fixed_size: 0
    .sgpr_count:     16
    .sgpr_spill_count: 0
    .symbol:         _ZN7rocprim17ROCPRIM_400000_NS6detail17trampoline_kernelINS0_14default_configENS1_25transform_config_selectorIlLb0EEEZNS1_14transform_implILb0ES3_S5_NS0_18transform_iteratorINS0_17counting_iteratorImlEEZNS1_24adjacent_difference_implIS3_Lb1ELb0EPlSB_ZN2at6native12_GLOBAL__N_124unique_dim_cuda_templateIhEESt5tupleIJNSC_6TensorESH_SH_EERKSH_lbbbEUlllE1_EE10hipError_tPvRmT2_T3_mT4_P12ihipStream_tbEUlmE_lEESB_NS0_8identityIvEEEESM_SP_SQ_mSR_ST_bEUlT_E_NS1_11comp_targetILNS1_3genE0ELNS1_11target_archE4294967295ELNS1_3gpuE0ELNS1_3repE0EEENS1_30default_config_static_selectorELNS0_4arch9wavefront6targetE0EEEvT1_.kd
    .uniform_work_group_size: 1
    .uses_dynamic_stack: false
    .vgpr_count:     4
    .vgpr_spill_count: 0
    .wavefront_size: 32
  - .args:
      - .offset:         0
        .size:           56
        .value_kind:     by_value
    .group_segment_fixed_size: 0
    .kernarg_segment_align: 8
    .kernarg_segment_size: 56
    .language:       OpenCL C
    .language_version:
      - 2
      - 0
    .max_flat_workgroup_size: 512
    .name:           _ZN7rocprim17ROCPRIM_400000_NS6detail17trampoline_kernelINS0_14default_configENS1_25transform_config_selectorIlLb0EEEZNS1_14transform_implILb0ES3_S5_NS0_18transform_iteratorINS0_17counting_iteratorImlEEZNS1_24adjacent_difference_implIS3_Lb1ELb0EPlSB_ZN2at6native12_GLOBAL__N_124unique_dim_cuda_templateIhEESt5tupleIJNSC_6TensorESH_SH_EERKSH_lbbbEUlllE1_EE10hipError_tPvRmT2_T3_mT4_P12ihipStream_tbEUlmE_lEESB_NS0_8identityIvEEEESM_SP_SQ_mSR_ST_bEUlT_E_NS1_11comp_targetILNS1_3genE5ELNS1_11target_archE942ELNS1_3gpuE9ELNS1_3repE0EEENS1_30default_config_static_selectorELNS0_4arch9wavefront6targetE0EEEvT1_
    .private_segment_fixed_size: 0
    .sgpr_count:     0
    .sgpr_spill_count: 0
    .symbol:         _ZN7rocprim17ROCPRIM_400000_NS6detail17trampoline_kernelINS0_14default_configENS1_25transform_config_selectorIlLb0EEEZNS1_14transform_implILb0ES3_S5_NS0_18transform_iteratorINS0_17counting_iteratorImlEEZNS1_24adjacent_difference_implIS3_Lb1ELb0EPlSB_ZN2at6native12_GLOBAL__N_124unique_dim_cuda_templateIhEESt5tupleIJNSC_6TensorESH_SH_EERKSH_lbbbEUlllE1_EE10hipError_tPvRmT2_T3_mT4_P12ihipStream_tbEUlmE_lEESB_NS0_8identityIvEEEESM_SP_SQ_mSR_ST_bEUlT_E_NS1_11comp_targetILNS1_3genE5ELNS1_11target_archE942ELNS1_3gpuE9ELNS1_3repE0EEENS1_30default_config_static_selectorELNS0_4arch9wavefront6targetE0EEEvT1_.kd
    .uniform_work_group_size: 1
    .uses_dynamic_stack: false
    .vgpr_count:     0
    .vgpr_spill_count: 0
    .wavefront_size: 32
  - .args:
      - .offset:         0
        .size:           56
        .value_kind:     by_value
    .group_segment_fixed_size: 0
    .kernarg_segment_align: 8
    .kernarg_segment_size: 56
    .language:       OpenCL C
    .language_version:
      - 2
      - 0
    .max_flat_workgroup_size: 256
    .name:           _ZN7rocprim17ROCPRIM_400000_NS6detail17trampoline_kernelINS0_14default_configENS1_25transform_config_selectorIlLb0EEEZNS1_14transform_implILb0ES3_S5_NS0_18transform_iteratorINS0_17counting_iteratorImlEEZNS1_24adjacent_difference_implIS3_Lb1ELb0EPlSB_ZN2at6native12_GLOBAL__N_124unique_dim_cuda_templateIhEESt5tupleIJNSC_6TensorESH_SH_EERKSH_lbbbEUlllE1_EE10hipError_tPvRmT2_T3_mT4_P12ihipStream_tbEUlmE_lEESB_NS0_8identityIvEEEESM_SP_SQ_mSR_ST_bEUlT_E_NS1_11comp_targetILNS1_3genE4ELNS1_11target_archE910ELNS1_3gpuE8ELNS1_3repE0EEENS1_30default_config_static_selectorELNS0_4arch9wavefront6targetE0EEEvT1_
    .private_segment_fixed_size: 0
    .sgpr_count:     0
    .sgpr_spill_count: 0
    .symbol:         _ZN7rocprim17ROCPRIM_400000_NS6detail17trampoline_kernelINS0_14default_configENS1_25transform_config_selectorIlLb0EEEZNS1_14transform_implILb0ES3_S5_NS0_18transform_iteratorINS0_17counting_iteratorImlEEZNS1_24adjacent_difference_implIS3_Lb1ELb0EPlSB_ZN2at6native12_GLOBAL__N_124unique_dim_cuda_templateIhEESt5tupleIJNSC_6TensorESH_SH_EERKSH_lbbbEUlllE1_EE10hipError_tPvRmT2_T3_mT4_P12ihipStream_tbEUlmE_lEESB_NS0_8identityIvEEEESM_SP_SQ_mSR_ST_bEUlT_E_NS1_11comp_targetILNS1_3genE4ELNS1_11target_archE910ELNS1_3gpuE8ELNS1_3repE0EEENS1_30default_config_static_selectorELNS0_4arch9wavefront6targetE0EEEvT1_.kd
    .uniform_work_group_size: 1
    .uses_dynamic_stack: false
    .vgpr_count:     0
    .vgpr_spill_count: 0
    .wavefront_size: 32
  - .args:
      - .offset:         0
        .size:           56
        .value_kind:     by_value
    .group_segment_fixed_size: 0
    .kernarg_segment_align: 8
    .kernarg_segment_size: 56
    .language:       OpenCL C
    .language_version:
      - 2
      - 0
    .max_flat_workgroup_size: 128
    .name:           _ZN7rocprim17ROCPRIM_400000_NS6detail17trampoline_kernelINS0_14default_configENS1_25transform_config_selectorIlLb0EEEZNS1_14transform_implILb0ES3_S5_NS0_18transform_iteratorINS0_17counting_iteratorImlEEZNS1_24adjacent_difference_implIS3_Lb1ELb0EPlSB_ZN2at6native12_GLOBAL__N_124unique_dim_cuda_templateIhEESt5tupleIJNSC_6TensorESH_SH_EERKSH_lbbbEUlllE1_EE10hipError_tPvRmT2_T3_mT4_P12ihipStream_tbEUlmE_lEESB_NS0_8identityIvEEEESM_SP_SQ_mSR_ST_bEUlT_E_NS1_11comp_targetILNS1_3genE3ELNS1_11target_archE908ELNS1_3gpuE7ELNS1_3repE0EEENS1_30default_config_static_selectorELNS0_4arch9wavefront6targetE0EEEvT1_
    .private_segment_fixed_size: 0
    .sgpr_count:     0
    .sgpr_spill_count: 0
    .symbol:         _ZN7rocprim17ROCPRIM_400000_NS6detail17trampoline_kernelINS0_14default_configENS1_25transform_config_selectorIlLb0EEEZNS1_14transform_implILb0ES3_S5_NS0_18transform_iteratorINS0_17counting_iteratorImlEEZNS1_24adjacent_difference_implIS3_Lb1ELb0EPlSB_ZN2at6native12_GLOBAL__N_124unique_dim_cuda_templateIhEESt5tupleIJNSC_6TensorESH_SH_EERKSH_lbbbEUlllE1_EE10hipError_tPvRmT2_T3_mT4_P12ihipStream_tbEUlmE_lEESB_NS0_8identityIvEEEESM_SP_SQ_mSR_ST_bEUlT_E_NS1_11comp_targetILNS1_3genE3ELNS1_11target_archE908ELNS1_3gpuE7ELNS1_3repE0EEENS1_30default_config_static_selectorELNS0_4arch9wavefront6targetE0EEEvT1_.kd
    .uniform_work_group_size: 1
    .uses_dynamic_stack: false
    .vgpr_count:     0
    .vgpr_spill_count: 0
    .wavefront_size: 32
  - .args:
      - .offset:         0
        .size:           56
        .value_kind:     by_value
    .group_segment_fixed_size: 0
    .kernarg_segment_align: 8
    .kernarg_segment_size: 56
    .language:       OpenCL C
    .language_version:
      - 2
      - 0
    .max_flat_workgroup_size: 512
    .name:           _ZN7rocprim17ROCPRIM_400000_NS6detail17trampoline_kernelINS0_14default_configENS1_25transform_config_selectorIlLb0EEEZNS1_14transform_implILb0ES3_S5_NS0_18transform_iteratorINS0_17counting_iteratorImlEEZNS1_24adjacent_difference_implIS3_Lb1ELb0EPlSB_ZN2at6native12_GLOBAL__N_124unique_dim_cuda_templateIhEESt5tupleIJNSC_6TensorESH_SH_EERKSH_lbbbEUlllE1_EE10hipError_tPvRmT2_T3_mT4_P12ihipStream_tbEUlmE_lEESB_NS0_8identityIvEEEESM_SP_SQ_mSR_ST_bEUlT_E_NS1_11comp_targetILNS1_3genE2ELNS1_11target_archE906ELNS1_3gpuE6ELNS1_3repE0EEENS1_30default_config_static_selectorELNS0_4arch9wavefront6targetE0EEEvT1_
    .private_segment_fixed_size: 0
    .sgpr_count:     0
    .sgpr_spill_count: 0
    .symbol:         _ZN7rocprim17ROCPRIM_400000_NS6detail17trampoline_kernelINS0_14default_configENS1_25transform_config_selectorIlLb0EEEZNS1_14transform_implILb0ES3_S5_NS0_18transform_iteratorINS0_17counting_iteratorImlEEZNS1_24adjacent_difference_implIS3_Lb1ELb0EPlSB_ZN2at6native12_GLOBAL__N_124unique_dim_cuda_templateIhEESt5tupleIJNSC_6TensorESH_SH_EERKSH_lbbbEUlllE1_EE10hipError_tPvRmT2_T3_mT4_P12ihipStream_tbEUlmE_lEESB_NS0_8identityIvEEEESM_SP_SQ_mSR_ST_bEUlT_E_NS1_11comp_targetILNS1_3genE2ELNS1_11target_archE906ELNS1_3gpuE6ELNS1_3repE0EEENS1_30default_config_static_selectorELNS0_4arch9wavefront6targetE0EEEvT1_.kd
    .uniform_work_group_size: 1
    .uses_dynamic_stack: false
    .vgpr_count:     0
    .vgpr_spill_count: 0
    .wavefront_size: 32
  - .args:
      - .offset:         0
        .size:           56
        .value_kind:     by_value
    .group_segment_fixed_size: 0
    .kernarg_segment_align: 8
    .kernarg_segment_size: 56
    .language:       OpenCL C
    .language_version:
      - 2
      - 0
    .max_flat_workgroup_size: 1024
    .name:           _ZN7rocprim17ROCPRIM_400000_NS6detail17trampoline_kernelINS0_14default_configENS1_25transform_config_selectorIlLb0EEEZNS1_14transform_implILb0ES3_S5_NS0_18transform_iteratorINS0_17counting_iteratorImlEEZNS1_24adjacent_difference_implIS3_Lb1ELb0EPlSB_ZN2at6native12_GLOBAL__N_124unique_dim_cuda_templateIhEESt5tupleIJNSC_6TensorESH_SH_EERKSH_lbbbEUlllE1_EE10hipError_tPvRmT2_T3_mT4_P12ihipStream_tbEUlmE_lEESB_NS0_8identityIvEEEESM_SP_SQ_mSR_ST_bEUlT_E_NS1_11comp_targetILNS1_3genE10ELNS1_11target_archE1201ELNS1_3gpuE5ELNS1_3repE0EEENS1_30default_config_static_selectorELNS0_4arch9wavefront6targetE0EEEvT1_
    .private_segment_fixed_size: 0
    .sgpr_count:     0
    .sgpr_spill_count: 0
    .symbol:         _ZN7rocprim17ROCPRIM_400000_NS6detail17trampoline_kernelINS0_14default_configENS1_25transform_config_selectorIlLb0EEEZNS1_14transform_implILb0ES3_S5_NS0_18transform_iteratorINS0_17counting_iteratorImlEEZNS1_24adjacent_difference_implIS3_Lb1ELb0EPlSB_ZN2at6native12_GLOBAL__N_124unique_dim_cuda_templateIhEESt5tupleIJNSC_6TensorESH_SH_EERKSH_lbbbEUlllE1_EE10hipError_tPvRmT2_T3_mT4_P12ihipStream_tbEUlmE_lEESB_NS0_8identityIvEEEESM_SP_SQ_mSR_ST_bEUlT_E_NS1_11comp_targetILNS1_3genE10ELNS1_11target_archE1201ELNS1_3gpuE5ELNS1_3repE0EEENS1_30default_config_static_selectorELNS0_4arch9wavefront6targetE0EEEvT1_.kd
    .uniform_work_group_size: 1
    .uses_dynamic_stack: false
    .vgpr_count:     0
    .vgpr_spill_count: 0
    .wavefront_size: 32
  - .args:
      - .offset:         0
        .size:           56
        .value_kind:     by_value
    .group_segment_fixed_size: 0
    .kernarg_segment_align: 8
    .kernarg_segment_size: 56
    .language:       OpenCL C
    .language_version:
      - 2
      - 0
    .max_flat_workgroup_size: 512
    .name:           _ZN7rocprim17ROCPRIM_400000_NS6detail17trampoline_kernelINS0_14default_configENS1_25transform_config_selectorIlLb0EEEZNS1_14transform_implILb0ES3_S5_NS0_18transform_iteratorINS0_17counting_iteratorImlEEZNS1_24adjacent_difference_implIS3_Lb1ELb0EPlSB_ZN2at6native12_GLOBAL__N_124unique_dim_cuda_templateIhEESt5tupleIJNSC_6TensorESH_SH_EERKSH_lbbbEUlllE1_EE10hipError_tPvRmT2_T3_mT4_P12ihipStream_tbEUlmE_lEESB_NS0_8identityIvEEEESM_SP_SQ_mSR_ST_bEUlT_E_NS1_11comp_targetILNS1_3genE10ELNS1_11target_archE1200ELNS1_3gpuE4ELNS1_3repE0EEENS1_30default_config_static_selectorELNS0_4arch9wavefront6targetE0EEEvT1_
    .private_segment_fixed_size: 0
    .sgpr_count:     0
    .sgpr_spill_count: 0
    .symbol:         _ZN7rocprim17ROCPRIM_400000_NS6detail17trampoline_kernelINS0_14default_configENS1_25transform_config_selectorIlLb0EEEZNS1_14transform_implILb0ES3_S5_NS0_18transform_iteratorINS0_17counting_iteratorImlEEZNS1_24adjacent_difference_implIS3_Lb1ELb0EPlSB_ZN2at6native12_GLOBAL__N_124unique_dim_cuda_templateIhEESt5tupleIJNSC_6TensorESH_SH_EERKSH_lbbbEUlllE1_EE10hipError_tPvRmT2_T3_mT4_P12ihipStream_tbEUlmE_lEESB_NS0_8identityIvEEEESM_SP_SQ_mSR_ST_bEUlT_E_NS1_11comp_targetILNS1_3genE10ELNS1_11target_archE1200ELNS1_3gpuE4ELNS1_3repE0EEENS1_30default_config_static_selectorELNS0_4arch9wavefront6targetE0EEEvT1_.kd
    .uniform_work_group_size: 1
    .uses_dynamic_stack: false
    .vgpr_count:     0
    .vgpr_spill_count: 0
    .wavefront_size: 32
  - .args:
      - .offset:         0
        .size:           56
        .value_kind:     by_value
    .group_segment_fixed_size: 0
    .kernarg_segment_align: 8
    .kernarg_segment_size: 56
    .language:       OpenCL C
    .language_version:
      - 2
      - 0
    .max_flat_workgroup_size: 512
    .name:           _ZN7rocprim17ROCPRIM_400000_NS6detail17trampoline_kernelINS0_14default_configENS1_25transform_config_selectorIlLb0EEEZNS1_14transform_implILb0ES3_S5_NS0_18transform_iteratorINS0_17counting_iteratorImlEEZNS1_24adjacent_difference_implIS3_Lb1ELb0EPlSB_ZN2at6native12_GLOBAL__N_124unique_dim_cuda_templateIhEESt5tupleIJNSC_6TensorESH_SH_EERKSH_lbbbEUlllE1_EE10hipError_tPvRmT2_T3_mT4_P12ihipStream_tbEUlmE_lEESB_NS0_8identityIvEEEESM_SP_SQ_mSR_ST_bEUlT_E_NS1_11comp_targetILNS1_3genE9ELNS1_11target_archE1100ELNS1_3gpuE3ELNS1_3repE0EEENS1_30default_config_static_selectorELNS0_4arch9wavefront6targetE0EEEvT1_
    .private_segment_fixed_size: 0
    .sgpr_count:     0
    .sgpr_spill_count: 0
    .symbol:         _ZN7rocprim17ROCPRIM_400000_NS6detail17trampoline_kernelINS0_14default_configENS1_25transform_config_selectorIlLb0EEEZNS1_14transform_implILb0ES3_S5_NS0_18transform_iteratorINS0_17counting_iteratorImlEEZNS1_24adjacent_difference_implIS3_Lb1ELb0EPlSB_ZN2at6native12_GLOBAL__N_124unique_dim_cuda_templateIhEESt5tupleIJNSC_6TensorESH_SH_EERKSH_lbbbEUlllE1_EE10hipError_tPvRmT2_T3_mT4_P12ihipStream_tbEUlmE_lEESB_NS0_8identityIvEEEESM_SP_SQ_mSR_ST_bEUlT_E_NS1_11comp_targetILNS1_3genE9ELNS1_11target_archE1100ELNS1_3gpuE3ELNS1_3repE0EEENS1_30default_config_static_selectorELNS0_4arch9wavefront6targetE0EEEvT1_.kd
    .uniform_work_group_size: 1
    .uses_dynamic_stack: false
    .vgpr_count:     0
    .vgpr_spill_count: 0
    .wavefront_size: 32
  - .args:
      - .offset:         0
        .size:           56
        .value_kind:     by_value
    .group_segment_fixed_size: 0
    .kernarg_segment_align: 8
    .kernarg_segment_size: 56
    .language:       OpenCL C
    .language_version:
      - 2
      - 0
    .max_flat_workgroup_size: 512
    .name:           _ZN7rocprim17ROCPRIM_400000_NS6detail17trampoline_kernelINS0_14default_configENS1_25transform_config_selectorIlLb0EEEZNS1_14transform_implILb0ES3_S5_NS0_18transform_iteratorINS0_17counting_iteratorImlEEZNS1_24adjacent_difference_implIS3_Lb1ELb0EPlSB_ZN2at6native12_GLOBAL__N_124unique_dim_cuda_templateIhEESt5tupleIJNSC_6TensorESH_SH_EERKSH_lbbbEUlllE1_EE10hipError_tPvRmT2_T3_mT4_P12ihipStream_tbEUlmE_lEESB_NS0_8identityIvEEEESM_SP_SQ_mSR_ST_bEUlT_E_NS1_11comp_targetILNS1_3genE8ELNS1_11target_archE1030ELNS1_3gpuE2ELNS1_3repE0EEENS1_30default_config_static_selectorELNS0_4arch9wavefront6targetE0EEEvT1_
    .private_segment_fixed_size: 0
    .sgpr_count:     0
    .sgpr_spill_count: 0
    .symbol:         _ZN7rocprim17ROCPRIM_400000_NS6detail17trampoline_kernelINS0_14default_configENS1_25transform_config_selectorIlLb0EEEZNS1_14transform_implILb0ES3_S5_NS0_18transform_iteratorINS0_17counting_iteratorImlEEZNS1_24adjacent_difference_implIS3_Lb1ELb0EPlSB_ZN2at6native12_GLOBAL__N_124unique_dim_cuda_templateIhEESt5tupleIJNSC_6TensorESH_SH_EERKSH_lbbbEUlllE1_EE10hipError_tPvRmT2_T3_mT4_P12ihipStream_tbEUlmE_lEESB_NS0_8identityIvEEEESM_SP_SQ_mSR_ST_bEUlT_E_NS1_11comp_targetILNS1_3genE8ELNS1_11target_archE1030ELNS1_3gpuE2ELNS1_3repE0EEENS1_30default_config_static_selectorELNS0_4arch9wavefront6targetE0EEEvT1_.kd
    .uniform_work_group_size: 1
    .uses_dynamic_stack: false
    .vgpr_count:     0
    .vgpr_spill_count: 0
    .wavefront_size: 32
  - .args:
      - .offset:         0
        .size:           64
        .value_kind:     by_value
    .group_segment_fixed_size: 8448
    .kernarg_segment_align: 8
    .kernarg_segment_size: 64
    .language:       OpenCL C
    .language_version:
      - 2
      - 0
    .max_flat_workgroup_size: 512
    .name:           _ZN7rocprim17ROCPRIM_400000_NS6detail17trampoline_kernelINS0_14default_configENS1_35adjacent_difference_config_selectorILb1ElEEZNS1_24adjacent_difference_implIS3_Lb1ELb0EPlS7_ZN2at6native12_GLOBAL__N_124unique_dim_cuda_templateIhEESt5tupleIJNS8_6TensorESD_SD_EERKSD_lbbbEUlllE1_EE10hipError_tPvRmT2_T3_mT4_P12ihipStream_tbEUlT_E_NS1_11comp_targetILNS1_3genE0ELNS1_11target_archE4294967295ELNS1_3gpuE0ELNS1_3repE0EEENS1_30default_config_static_selectorELNS0_4arch9wavefront6targetE0EEEvT1_
    .private_segment_fixed_size: 0
    .sgpr_count:     31
    .sgpr_spill_count: 0
    .symbol:         _ZN7rocprim17ROCPRIM_400000_NS6detail17trampoline_kernelINS0_14default_configENS1_35adjacent_difference_config_selectorILb1ElEEZNS1_24adjacent_difference_implIS3_Lb1ELb0EPlS7_ZN2at6native12_GLOBAL__N_124unique_dim_cuda_templateIhEESt5tupleIJNS8_6TensorESD_SD_EERKSD_lbbbEUlllE1_EE10hipError_tPvRmT2_T3_mT4_P12ihipStream_tbEUlT_E_NS1_11comp_targetILNS1_3genE0ELNS1_11target_archE4294967295ELNS1_3gpuE0ELNS1_3repE0EEENS1_30default_config_static_selectorELNS0_4arch9wavefront6targetE0EEEvT1_.kd
    .uniform_work_group_size: 1
    .uses_dynamic_stack: false
    .vgpr_count:     16
    .vgpr_spill_count: 0
    .wavefront_size: 32
  - .args:
      - .offset:         0
        .size:           64
        .value_kind:     by_value
    .group_segment_fixed_size: 0
    .kernarg_segment_align: 8
    .kernarg_segment_size: 64
    .language:       OpenCL C
    .language_version:
      - 2
      - 0
    .max_flat_workgroup_size: 32
    .name:           _ZN7rocprim17ROCPRIM_400000_NS6detail17trampoline_kernelINS0_14default_configENS1_35adjacent_difference_config_selectorILb1ElEEZNS1_24adjacent_difference_implIS3_Lb1ELb0EPlS7_ZN2at6native12_GLOBAL__N_124unique_dim_cuda_templateIhEESt5tupleIJNS8_6TensorESD_SD_EERKSD_lbbbEUlllE1_EE10hipError_tPvRmT2_T3_mT4_P12ihipStream_tbEUlT_E_NS1_11comp_targetILNS1_3genE10ELNS1_11target_archE1201ELNS1_3gpuE5ELNS1_3repE0EEENS1_30default_config_static_selectorELNS0_4arch9wavefront6targetE0EEEvT1_
    .private_segment_fixed_size: 0
    .sgpr_count:     0
    .sgpr_spill_count: 0
    .symbol:         _ZN7rocprim17ROCPRIM_400000_NS6detail17trampoline_kernelINS0_14default_configENS1_35adjacent_difference_config_selectorILb1ElEEZNS1_24adjacent_difference_implIS3_Lb1ELb0EPlS7_ZN2at6native12_GLOBAL__N_124unique_dim_cuda_templateIhEESt5tupleIJNS8_6TensorESD_SD_EERKSD_lbbbEUlllE1_EE10hipError_tPvRmT2_T3_mT4_P12ihipStream_tbEUlT_E_NS1_11comp_targetILNS1_3genE10ELNS1_11target_archE1201ELNS1_3gpuE5ELNS1_3repE0EEENS1_30default_config_static_selectorELNS0_4arch9wavefront6targetE0EEEvT1_.kd
    .uniform_work_group_size: 1
    .uses_dynamic_stack: false
    .vgpr_count:     0
    .vgpr_spill_count: 0
    .wavefront_size: 32
  - .args:
      - .offset:         0
        .size:           64
        .value_kind:     by_value
    .group_segment_fixed_size: 0
    .kernarg_segment_align: 8
    .kernarg_segment_size: 64
    .language:       OpenCL C
    .language_version:
      - 2
      - 0
    .max_flat_workgroup_size: 256
    .name:           _ZN7rocprim17ROCPRIM_400000_NS6detail17trampoline_kernelINS0_14default_configENS1_35adjacent_difference_config_selectorILb1ElEEZNS1_24adjacent_difference_implIS3_Lb1ELb0EPlS7_ZN2at6native12_GLOBAL__N_124unique_dim_cuda_templateIhEESt5tupleIJNS8_6TensorESD_SD_EERKSD_lbbbEUlllE1_EE10hipError_tPvRmT2_T3_mT4_P12ihipStream_tbEUlT_E_NS1_11comp_targetILNS1_3genE5ELNS1_11target_archE942ELNS1_3gpuE9ELNS1_3repE0EEENS1_30default_config_static_selectorELNS0_4arch9wavefront6targetE0EEEvT1_
    .private_segment_fixed_size: 0
    .sgpr_count:     0
    .sgpr_spill_count: 0
    .symbol:         _ZN7rocprim17ROCPRIM_400000_NS6detail17trampoline_kernelINS0_14default_configENS1_35adjacent_difference_config_selectorILb1ElEEZNS1_24adjacent_difference_implIS3_Lb1ELb0EPlS7_ZN2at6native12_GLOBAL__N_124unique_dim_cuda_templateIhEESt5tupleIJNS8_6TensorESD_SD_EERKSD_lbbbEUlllE1_EE10hipError_tPvRmT2_T3_mT4_P12ihipStream_tbEUlT_E_NS1_11comp_targetILNS1_3genE5ELNS1_11target_archE942ELNS1_3gpuE9ELNS1_3repE0EEENS1_30default_config_static_selectorELNS0_4arch9wavefront6targetE0EEEvT1_.kd
    .uniform_work_group_size: 1
    .uses_dynamic_stack: false
    .vgpr_count:     0
    .vgpr_spill_count: 0
    .wavefront_size: 32
  - .args:
      - .offset:         0
        .size:           64
        .value_kind:     by_value
    .group_segment_fixed_size: 0
    .kernarg_segment_align: 8
    .kernarg_segment_size: 64
    .language:       OpenCL C
    .language_version:
      - 2
      - 0
    .max_flat_workgroup_size: 512
    .name:           _ZN7rocprim17ROCPRIM_400000_NS6detail17trampoline_kernelINS0_14default_configENS1_35adjacent_difference_config_selectorILb1ElEEZNS1_24adjacent_difference_implIS3_Lb1ELb0EPlS7_ZN2at6native12_GLOBAL__N_124unique_dim_cuda_templateIhEESt5tupleIJNS8_6TensorESD_SD_EERKSD_lbbbEUlllE1_EE10hipError_tPvRmT2_T3_mT4_P12ihipStream_tbEUlT_E_NS1_11comp_targetILNS1_3genE4ELNS1_11target_archE910ELNS1_3gpuE8ELNS1_3repE0EEENS1_30default_config_static_selectorELNS0_4arch9wavefront6targetE0EEEvT1_
    .private_segment_fixed_size: 0
    .sgpr_count:     0
    .sgpr_spill_count: 0
    .symbol:         _ZN7rocprim17ROCPRIM_400000_NS6detail17trampoline_kernelINS0_14default_configENS1_35adjacent_difference_config_selectorILb1ElEEZNS1_24adjacent_difference_implIS3_Lb1ELb0EPlS7_ZN2at6native12_GLOBAL__N_124unique_dim_cuda_templateIhEESt5tupleIJNS8_6TensorESD_SD_EERKSD_lbbbEUlllE1_EE10hipError_tPvRmT2_T3_mT4_P12ihipStream_tbEUlT_E_NS1_11comp_targetILNS1_3genE4ELNS1_11target_archE910ELNS1_3gpuE8ELNS1_3repE0EEENS1_30default_config_static_selectorELNS0_4arch9wavefront6targetE0EEEvT1_.kd
    .uniform_work_group_size: 1
    .uses_dynamic_stack: false
    .vgpr_count:     0
    .vgpr_spill_count: 0
    .wavefront_size: 32
  - .args:
      - .offset:         0
        .size:           64
        .value_kind:     by_value
    .group_segment_fixed_size: 0
    .kernarg_segment_align: 8
    .kernarg_segment_size: 64
    .language:       OpenCL C
    .language_version:
      - 2
      - 0
    .max_flat_workgroup_size: 512
    .name:           _ZN7rocprim17ROCPRIM_400000_NS6detail17trampoline_kernelINS0_14default_configENS1_35adjacent_difference_config_selectorILb1ElEEZNS1_24adjacent_difference_implIS3_Lb1ELb0EPlS7_ZN2at6native12_GLOBAL__N_124unique_dim_cuda_templateIhEESt5tupleIJNS8_6TensorESD_SD_EERKSD_lbbbEUlllE1_EE10hipError_tPvRmT2_T3_mT4_P12ihipStream_tbEUlT_E_NS1_11comp_targetILNS1_3genE3ELNS1_11target_archE908ELNS1_3gpuE7ELNS1_3repE0EEENS1_30default_config_static_selectorELNS0_4arch9wavefront6targetE0EEEvT1_
    .private_segment_fixed_size: 0
    .sgpr_count:     0
    .sgpr_spill_count: 0
    .symbol:         _ZN7rocprim17ROCPRIM_400000_NS6detail17trampoline_kernelINS0_14default_configENS1_35adjacent_difference_config_selectorILb1ElEEZNS1_24adjacent_difference_implIS3_Lb1ELb0EPlS7_ZN2at6native12_GLOBAL__N_124unique_dim_cuda_templateIhEESt5tupleIJNS8_6TensorESD_SD_EERKSD_lbbbEUlllE1_EE10hipError_tPvRmT2_T3_mT4_P12ihipStream_tbEUlT_E_NS1_11comp_targetILNS1_3genE3ELNS1_11target_archE908ELNS1_3gpuE7ELNS1_3repE0EEENS1_30default_config_static_selectorELNS0_4arch9wavefront6targetE0EEEvT1_.kd
    .uniform_work_group_size: 1
    .uses_dynamic_stack: false
    .vgpr_count:     0
    .vgpr_spill_count: 0
    .wavefront_size: 32
  - .args:
      - .offset:         0
        .size:           64
        .value_kind:     by_value
    .group_segment_fixed_size: 0
    .kernarg_segment_align: 8
    .kernarg_segment_size: 64
    .language:       OpenCL C
    .language_version:
      - 2
      - 0
    .max_flat_workgroup_size: 128
    .name:           _ZN7rocprim17ROCPRIM_400000_NS6detail17trampoline_kernelINS0_14default_configENS1_35adjacent_difference_config_selectorILb1ElEEZNS1_24adjacent_difference_implIS3_Lb1ELb0EPlS7_ZN2at6native12_GLOBAL__N_124unique_dim_cuda_templateIhEESt5tupleIJNS8_6TensorESD_SD_EERKSD_lbbbEUlllE1_EE10hipError_tPvRmT2_T3_mT4_P12ihipStream_tbEUlT_E_NS1_11comp_targetILNS1_3genE2ELNS1_11target_archE906ELNS1_3gpuE6ELNS1_3repE0EEENS1_30default_config_static_selectorELNS0_4arch9wavefront6targetE0EEEvT1_
    .private_segment_fixed_size: 0
    .sgpr_count:     0
    .sgpr_spill_count: 0
    .symbol:         _ZN7rocprim17ROCPRIM_400000_NS6detail17trampoline_kernelINS0_14default_configENS1_35adjacent_difference_config_selectorILb1ElEEZNS1_24adjacent_difference_implIS3_Lb1ELb0EPlS7_ZN2at6native12_GLOBAL__N_124unique_dim_cuda_templateIhEESt5tupleIJNS8_6TensorESD_SD_EERKSD_lbbbEUlllE1_EE10hipError_tPvRmT2_T3_mT4_P12ihipStream_tbEUlT_E_NS1_11comp_targetILNS1_3genE2ELNS1_11target_archE906ELNS1_3gpuE6ELNS1_3repE0EEENS1_30default_config_static_selectorELNS0_4arch9wavefront6targetE0EEEvT1_.kd
    .uniform_work_group_size: 1
    .uses_dynamic_stack: false
    .vgpr_count:     0
    .vgpr_spill_count: 0
    .wavefront_size: 32
  - .args:
      - .offset:         0
        .size:           64
        .value_kind:     by_value
    .group_segment_fixed_size: 0
    .kernarg_segment_align: 8
    .kernarg_segment_size: 64
    .language:       OpenCL C
    .language_version:
      - 2
      - 0
    .max_flat_workgroup_size: 128
    .name:           _ZN7rocprim17ROCPRIM_400000_NS6detail17trampoline_kernelINS0_14default_configENS1_35adjacent_difference_config_selectorILb1ElEEZNS1_24adjacent_difference_implIS3_Lb1ELb0EPlS7_ZN2at6native12_GLOBAL__N_124unique_dim_cuda_templateIhEESt5tupleIJNS8_6TensorESD_SD_EERKSD_lbbbEUlllE1_EE10hipError_tPvRmT2_T3_mT4_P12ihipStream_tbEUlT_E_NS1_11comp_targetILNS1_3genE9ELNS1_11target_archE1100ELNS1_3gpuE3ELNS1_3repE0EEENS1_30default_config_static_selectorELNS0_4arch9wavefront6targetE0EEEvT1_
    .private_segment_fixed_size: 0
    .sgpr_count:     0
    .sgpr_spill_count: 0
    .symbol:         _ZN7rocprim17ROCPRIM_400000_NS6detail17trampoline_kernelINS0_14default_configENS1_35adjacent_difference_config_selectorILb1ElEEZNS1_24adjacent_difference_implIS3_Lb1ELb0EPlS7_ZN2at6native12_GLOBAL__N_124unique_dim_cuda_templateIhEESt5tupleIJNS8_6TensorESD_SD_EERKSD_lbbbEUlllE1_EE10hipError_tPvRmT2_T3_mT4_P12ihipStream_tbEUlT_E_NS1_11comp_targetILNS1_3genE9ELNS1_11target_archE1100ELNS1_3gpuE3ELNS1_3repE0EEENS1_30default_config_static_selectorELNS0_4arch9wavefront6targetE0EEEvT1_.kd
    .uniform_work_group_size: 1
    .uses_dynamic_stack: false
    .vgpr_count:     0
    .vgpr_spill_count: 0
    .wavefront_size: 32
  - .args:
      - .offset:         0
        .size:           64
        .value_kind:     by_value
    .group_segment_fixed_size: 0
    .kernarg_segment_align: 8
    .kernarg_segment_size: 64
    .language:       OpenCL C
    .language_version:
      - 2
      - 0
    .max_flat_workgroup_size: 32
    .name:           _ZN7rocprim17ROCPRIM_400000_NS6detail17trampoline_kernelINS0_14default_configENS1_35adjacent_difference_config_selectorILb1ElEEZNS1_24adjacent_difference_implIS3_Lb1ELb0EPlS7_ZN2at6native12_GLOBAL__N_124unique_dim_cuda_templateIhEESt5tupleIJNS8_6TensorESD_SD_EERKSD_lbbbEUlllE1_EE10hipError_tPvRmT2_T3_mT4_P12ihipStream_tbEUlT_E_NS1_11comp_targetILNS1_3genE8ELNS1_11target_archE1030ELNS1_3gpuE2ELNS1_3repE0EEENS1_30default_config_static_selectorELNS0_4arch9wavefront6targetE0EEEvT1_
    .private_segment_fixed_size: 0
    .sgpr_count:     0
    .sgpr_spill_count: 0
    .symbol:         _ZN7rocprim17ROCPRIM_400000_NS6detail17trampoline_kernelINS0_14default_configENS1_35adjacent_difference_config_selectorILb1ElEEZNS1_24adjacent_difference_implIS3_Lb1ELb0EPlS7_ZN2at6native12_GLOBAL__N_124unique_dim_cuda_templateIhEESt5tupleIJNS8_6TensorESD_SD_EERKSD_lbbbEUlllE1_EE10hipError_tPvRmT2_T3_mT4_P12ihipStream_tbEUlT_E_NS1_11comp_targetILNS1_3genE8ELNS1_11target_archE1030ELNS1_3gpuE2ELNS1_3repE0EEENS1_30default_config_static_selectorELNS0_4arch9wavefront6targetE0EEEvT1_.kd
    .uniform_work_group_size: 1
    .uses_dynamic_stack: false
    .vgpr_count:     0
    .vgpr_spill_count: 0
    .wavefront_size: 32
  - .args:
      - .address_space:  global
        .offset:         0
        .size:           8
        .value_kind:     global_buffer
      - .offset:         8
        .size:           4
        .value_kind:     by_value
      - .offset:         12
        .size:           1
        .value_kind:     by_value
      - .offset:         16
        .size:           4
        .value_kind:     by_value
      - .address_space:  global
        .offset:         24
        .size:           8
        .value_kind:     global_buffer
      - .offset:         32
        .size:           4
        .value_kind:     hidden_block_count_x
      - .offset:         36
        .size:           4
        .value_kind:     hidden_block_count_y
      - .offset:         40
        .size:           4
        .value_kind:     hidden_block_count_z
      - .offset:         44
        .size:           2
        .value_kind:     hidden_group_size_x
      - .offset:         46
        .size:           2
        .value_kind:     hidden_group_size_y
      - .offset:         48
        .size:           2
        .value_kind:     hidden_group_size_z
      - .offset:         50
        .size:           2
        .value_kind:     hidden_remainder_x
      - .offset:         52
        .size:           2
        .value_kind:     hidden_remainder_y
      - .offset:         54
        .size:           2
        .value_kind:     hidden_remainder_z
      - .offset:         72
        .size:           8
        .value_kind:     hidden_global_offset_x
      - .offset:         80
        .size:           8
        .value_kind:     hidden_global_offset_y
      - .offset:         88
        .size:           8
        .value_kind:     hidden_global_offset_z
      - .offset:         96
        .size:           2
        .value_kind:     hidden_grid_dims
    .group_segment_fixed_size: 0
    .kernarg_segment_align: 8
    .kernarg_segment_size: 288
    .language:       OpenCL C
    .language_version:
      - 2
      - 0
    .max_flat_workgroup_size: 256
    .name:           _ZN7rocprim17ROCPRIM_400000_NS6detail31init_lookback_scan_state_kernelINS1_19lookback_scan_stateIlLb0ELb1EEENS1_16block_id_wrapperIjLb0EEEEEvT_jT0_jPNS7_10value_typeE
    .private_segment_fixed_size: 0
    .sgpr_count:     13
    .sgpr_spill_count: 0
    .symbol:         _ZN7rocprim17ROCPRIM_400000_NS6detail31init_lookback_scan_state_kernelINS1_19lookback_scan_stateIlLb0ELb1EEENS1_16block_id_wrapperIjLb0EEEEEvT_jT0_jPNS7_10value_typeE.kd
    .uniform_work_group_size: 1
    .uses_dynamic_stack: false
    .vgpr_count:     9
    .vgpr_spill_count: 0
    .wavefront_size: 32
  - .args:
      - .offset:         0
        .size:           104
        .value_kind:     by_value
    .group_segment_fixed_size: 12288
    .kernarg_segment_align: 8
    .kernarg_segment_size: 104
    .language:       OpenCL C
    .language_version:
      - 2
      - 0
    .max_flat_workgroup_size: 256
    .name:           _ZN7rocprim17ROCPRIM_400000_NS6detail17trampoline_kernelINS0_14default_configENS1_20scan_config_selectorIlEEZZNS1_9scan_implILNS1_25lookback_scan_determinismE0ELb0ELb0ES3_PlS8_lN6thrust23THRUST_200600_302600_NS4plusIvEElEEDaPvRmT3_T4_T5_mT6_P12ihipStream_tbENKUlT_T0_E_clISt17integral_constantIbLb0EESQ_EEDaSL_SM_EUlSL_E_NS1_11comp_targetILNS1_3genE0ELNS1_11target_archE4294967295ELNS1_3gpuE0ELNS1_3repE0EEENS1_30default_config_static_selectorELNS0_4arch9wavefront6targetE0EEEvT1_
    .private_segment_fixed_size: 0
    .sgpr_count:     30
    .sgpr_spill_count: 0
    .symbol:         _ZN7rocprim17ROCPRIM_400000_NS6detail17trampoline_kernelINS0_14default_configENS1_20scan_config_selectorIlEEZZNS1_9scan_implILNS1_25lookback_scan_determinismE0ELb0ELb0ES3_PlS8_lN6thrust23THRUST_200600_302600_NS4plusIvEElEEDaPvRmT3_T4_T5_mT6_P12ihipStream_tbENKUlT_T0_E_clISt17integral_constantIbLb0EESQ_EEDaSL_SM_EUlSL_E_NS1_11comp_targetILNS1_3genE0ELNS1_11target_archE4294967295ELNS1_3gpuE0ELNS1_3repE0EEENS1_30default_config_static_selectorELNS0_4arch9wavefront6targetE0EEEvT1_.kd
    .uniform_work_group_size: 1
    .uses_dynamic_stack: false
    .vgpr_count:     46
    .vgpr_spill_count: 0
    .wavefront_size: 32
  - .args:
      - .offset:         0
        .size:           104
        .value_kind:     by_value
    .group_segment_fixed_size: 0
    .kernarg_segment_align: 8
    .kernarg_segment_size: 104
    .language:       OpenCL C
    .language_version:
      - 2
      - 0
    .max_flat_workgroup_size: 256
    .name:           _ZN7rocprim17ROCPRIM_400000_NS6detail17trampoline_kernelINS0_14default_configENS1_20scan_config_selectorIlEEZZNS1_9scan_implILNS1_25lookback_scan_determinismE0ELb0ELb0ES3_PlS8_lN6thrust23THRUST_200600_302600_NS4plusIvEElEEDaPvRmT3_T4_T5_mT6_P12ihipStream_tbENKUlT_T0_E_clISt17integral_constantIbLb0EESQ_EEDaSL_SM_EUlSL_E_NS1_11comp_targetILNS1_3genE5ELNS1_11target_archE942ELNS1_3gpuE9ELNS1_3repE0EEENS1_30default_config_static_selectorELNS0_4arch9wavefront6targetE0EEEvT1_
    .private_segment_fixed_size: 0
    .sgpr_count:     0
    .sgpr_spill_count: 0
    .symbol:         _ZN7rocprim17ROCPRIM_400000_NS6detail17trampoline_kernelINS0_14default_configENS1_20scan_config_selectorIlEEZZNS1_9scan_implILNS1_25lookback_scan_determinismE0ELb0ELb0ES3_PlS8_lN6thrust23THRUST_200600_302600_NS4plusIvEElEEDaPvRmT3_T4_T5_mT6_P12ihipStream_tbENKUlT_T0_E_clISt17integral_constantIbLb0EESQ_EEDaSL_SM_EUlSL_E_NS1_11comp_targetILNS1_3genE5ELNS1_11target_archE942ELNS1_3gpuE9ELNS1_3repE0EEENS1_30default_config_static_selectorELNS0_4arch9wavefront6targetE0EEEvT1_.kd
    .uniform_work_group_size: 1
    .uses_dynamic_stack: false
    .vgpr_count:     0
    .vgpr_spill_count: 0
    .wavefront_size: 32
  - .args:
      - .offset:         0
        .size:           104
        .value_kind:     by_value
    .group_segment_fixed_size: 0
    .kernarg_segment_align: 8
    .kernarg_segment_size: 104
    .language:       OpenCL C
    .language_version:
      - 2
      - 0
    .max_flat_workgroup_size: 128
    .name:           _ZN7rocprim17ROCPRIM_400000_NS6detail17trampoline_kernelINS0_14default_configENS1_20scan_config_selectorIlEEZZNS1_9scan_implILNS1_25lookback_scan_determinismE0ELb0ELb0ES3_PlS8_lN6thrust23THRUST_200600_302600_NS4plusIvEElEEDaPvRmT3_T4_T5_mT6_P12ihipStream_tbENKUlT_T0_E_clISt17integral_constantIbLb0EESQ_EEDaSL_SM_EUlSL_E_NS1_11comp_targetILNS1_3genE4ELNS1_11target_archE910ELNS1_3gpuE8ELNS1_3repE0EEENS1_30default_config_static_selectorELNS0_4arch9wavefront6targetE0EEEvT1_
    .private_segment_fixed_size: 0
    .sgpr_count:     0
    .sgpr_spill_count: 0
    .symbol:         _ZN7rocprim17ROCPRIM_400000_NS6detail17trampoline_kernelINS0_14default_configENS1_20scan_config_selectorIlEEZZNS1_9scan_implILNS1_25lookback_scan_determinismE0ELb0ELb0ES3_PlS8_lN6thrust23THRUST_200600_302600_NS4plusIvEElEEDaPvRmT3_T4_T5_mT6_P12ihipStream_tbENKUlT_T0_E_clISt17integral_constantIbLb0EESQ_EEDaSL_SM_EUlSL_E_NS1_11comp_targetILNS1_3genE4ELNS1_11target_archE910ELNS1_3gpuE8ELNS1_3repE0EEENS1_30default_config_static_selectorELNS0_4arch9wavefront6targetE0EEEvT1_.kd
    .uniform_work_group_size: 1
    .uses_dynamic_stack: false
    .vgpr_count:     0
    .vgpr_spill_count: 0
    .wavefront_size: 32
  - .args:
      - .offset:         0
        .size:           104
        .value_kind:     by_value
    .group_segment_fixed_size: 0
    .kernarg_segment_align: 8
    .kernarg_segment_size: 104
    .language:       OpenCL C
    .language_version:
      - 2
      - 0
    .max_flat_workgroup_size: 256
    .name:           _ZN7rocprim17ROCPRIM_400000_NS6detail17trampoline_kernelINS0_14default_configENS1_20scan_config_selectorIlEEZZNS1_9scan_implILNS1_25lookback_scan_determinismE0ELb0ELb0ES3_PlS8_lN6thrust23THRUST_200600_302600_NS4plusIvEElEEDaPvRmT3_T4_T5_mT6_P12ihipStream_tbENKUlT_T0_E_clISt17integral_constantIbLb0EESQ_EEDaSL_SM_EUlSL_E_NS1_11comp_targetILNS1_3genE3ELNS1_11target_archE908ELNS1_3gpuE7ELNS1_3repE0EEENS1_30default_config_static_selectorELNS0_4arch9wavefront6targetE0EEEvT1_
    .private_segment_fixed_size: 0
    .sgpr_count:     0
    .sgpr_spill_count: 0
    .symbol:         _ZN7rocprim17ROCPRIM_400000_NS6detail17trampoline_kernelINS0_14default_configENS1_20scan_config_selectorIlEEZZNS1_9scan_implILNS1_25lookback_scan_determinismE0ELb0ELb0ES3_PlS8_lN6thrust23THRUST_200600_302600_NS4plusIvEElEEDaPvRmT3_T4_T5_mT6_P12ihipStream_tbENKUlT_T0_E_clISt17integral_constantIbLb0EESQ_EEDaSL_SM_EUlSL_E_NS1_11comp_targetILNS1_3genE3ELNS1_11target_archE908ELNS1_3gpuE7ELNS1_3repE0EEENS1_30default_config_static_selectorELNS0_4arch9wavefront6targetE0EEEvT1_.kd
    .uniform_work_group_size: 1
    .uses_dynamic_stack: false
    .vgpr_count:     0
    .vgpr_spill_count: 0
    .wavefront_size: 32
  - .args:
      - .offset:         0
        .size:           104
        .value_kind:     by_value
    .group_segment_fixed_size: 0
    .kernarg_segment_align: 8
    .kernarg_segment_size: 104
    .language:       OpenCL C
    .language_version:
      - 2
      - 0
    .max_flat_workgroup_size: 64
    .name:           _ZN7rocprim17ROCPRIM_400000_NS6detail17trampoline_kernelINS0_14default_configENS1_20scan_config_selectorIlEEZZNS1_9scan_implILNS1_25lookback_scan_determinismE0ELb0ELb0ES3_PlS8_lN6thrust23THRUST_200600_302600_NS4plusIvEElEEDaPvRmT3_T4_T5_mT6_P12ihipStream_tbENKUlT_T0_E_clISt17integral_constantIbLb0EESQ_EEDaSL_SM_EUlSL_E_NS1_11comp_targetILNS1_3genE2ELNS1_11target_archE906ELNS1_3gpuE6ELNS1_3repE0EEENS1_30default_config_static_selectorELNS0_4arch9wavefront6targetE0EEEvT1_
    .private_segment_fixed_size: 0
    .sgpr_count:     0
    .sgpr_spill_count: 0
    .symbol:         _ZN7rocprim17ROCPRIM_400000_NS6detail17trampoline_kernelINS0_14default_configENS1_20scan_config_selectorIlEEZZNS1_9scan_implILNS1_25lookback_scan_determinismE0ELb0ELb0ES3_PlS8_lN6thrust23THRUST_200600_302600_NS4plusIvEElEEDaPvRmT3_T4_T5_mT6_P12ihipStream_tbENKUlT_T0_E_clISt17integral_constantIbLb0EESQ_EEDaSL_SM_EUlSL_E_NS1_11comp_targetILNS1_3genE2ELNS1_11target_archE906ELNS1_3gpuE6ELNS1_3repE0EEENS1_30default_config_static_selectorELNS0_4arch9wavefront6targetE0EEEvT1_.kd
    .uniform_work_group_size: 1
    .uses_dynamic_stack: false
    .vgpr_count:     0
    .vgpr_spill_count: 0
    .wavefront_size: 32
  - .args:
      - .offset:         0
        .size:           104
        .value_kind:     by_value
    .group_segment_fixed_size: 0
    .kernarg_segment_align: 8
    .kernarg_segment_size: 104
    .language:       OpenCL C
    .language_version:
      - 2
      - 0
    .max_flat_workgroup_size: 256
    .name:           _ZN7rocprim17ROCPRIM_400000_NS6detail17trampoline_kernelINS0_14default_configENS1_20scan_config_selectorIlEEZZNS1_9scan_implILNS1_25lookback_scan_determinismE0ELb0ELb0ES3_PlS8_lN6thrust23THRUST_200600_302600_NS4plusIvEElEEDaPvRmT3_T4_T5_mT6_P12ihipStream_tbENKUlT_T0_E_clISt17integral_constantIbLb0EESQ_EEDaSL_SM_EUlSL_E_NS1_11comp_targetILNS1_3genE10ELNS1_11target_archE1201ELNS1_3gpuE5ELNS1_3repE0EEENS1_30default_config_static_selectorELNS0_4arch9wavefront6targetE0EEEvT1_
    .private_segment_fixed_size: 0
    .sgpr_count:     0
    .sgpr_spill_count: 0
    .symbol:         _ZN7rocprim17ROCPRIM_400000_NS6detail17trampoline_kernelINS0_14default_configENS1_20scan_config_selectorIlEEZZNS1_9scan_implILNS1_25lookback_scan_determinismE0ELb0ELb0ES3_PlS8_lN6thrust23THRUST_200600_302600_NS4plusIvEElEEDaPvRmT3_T4_T5_mT6_P12ihipStream_tbENKUlT_T0_E_clISt17integral_constantIbLb0EESQ_EEDaSL_SM_EUlSL_E_NS1_11comp_targetILNS1_3genE10ELNS1_11target_archE1201ELNS1_3gpuE5ELNS1_3repE0EEENS1_30default_config_static_selectorELNS0_4arch9wavefront6targetE0EEEvT1_.kd
    .uniform_work_group_size: 1
    .uses_dynamic_stack: false
    .vgpr_count:     0
    .vgpr_spill_count: 0
    .wavefront_size: 32
  - .args:
      - .offset:         0
        .size:           104
        .value_kind:     by_value
    .group_segment_fixed_size: 0
    .kernarg_segment_align: 8
    .kernarg_segment_size: 104
    .language:       OpenCL C
    .language_version:
      - 2
      - 0
    .max_flat_workgroup_size: 256
    .name:           _ZN7rocprim17ROCPRIM_400000_NS6detail17trampoline_kernelINS0_14default_configENS1_20scan_config_selectorIlEEZZNS1_9scan_implILNS1_25lookback_scan_determinismE0ELb0ELb0ES3_PlS8_lN6thrust23THRUST_200600_302600_NS4plusIvEElEEDaPvRmT3_T4_T5_mT6_P12ihipStream_tbENKUlT_T0_E_clISt17integral_constantIbLb0EESQ_EEDaSL_SM_EUlSL_E_NS1_11comp_targetILNS1_3genE10ELNS1_11target_archE1200ELNS1_3gpuE4ELNS1_3repE0EEENS1_30default_config_static_selectorELNS0_4arch9wavefront6targetE0EEEvT1_
    .private_segment_fixed_size: 0
    .sgpr_count:     0
    .sgpr_spill_count: 0
    .symbol:         _ZN7rocprim17ROCPRIM_400000_NS6detail17trampoline_kernelINS0_14default_configENS1_20scan_config_selectorIlEEZZNS1_9scan_implILNS1_25lookback_scan_determinismE0ELb0ELb0ES3_PlS8_lN6thrust23THRUST_200600_302600_NS4plusIvEElEEDaPvRmT3_T4_T5_mT6_P12ihipStream_tbENKUlT_T0_E_clISt17integral_constantIbLb0EESQ_EEDaSL_SM_EUlSL_E_NS1_11comp_targetILNS1_3genE10ELNS1_11target_archE1200ELNS1_3gpuE4ELNS1_3repE0EEENS1_30default_config_static_selectorELNS0_4arch9wavefront6targetE0EEEvT1_.kd
    .uniform_work_group_size: 1
    .uses_dynamic_stack: false
    .vgpr_count:     0
    .vgpr_spill_count: 0
    .wavefront_size: 32
  - .args:
      - .offset:         0
        .size:           104
        .value_kind:     by_value
    .group_segment_fixed_size: 0
    .kernarg_segment_align: 8
    .kernarg_segment_size: 104
    .language:       OpenCL C
    .language_version:
      - 2
      - 0
    .max_flat_workgroup_size: 256
    .name:           _ZN7rocprim17ROCPRIM_400000_NS6detail17trampoline_kernelINS0_14default_configENS1_20scan_config_selectorIlEEZZNS1_9scan_implILNS1_25lookback_scan_determinismE0ELb0ELb0ES3_PlS8_lN6thrust23THRUST_200600_302600_NS4plusIvEElEEDaPvRmT3_T4_T5_mT6_P12ihipStream_tbENKUlT_T0_E_clISt17integral_constantIbLb0EESQ_EEDaSL_SM_EUlSL_E_NS1_11comp_targetILNS1_3genE9ELNS1_11target_archE1100ELNS1_3gpuE3ELNS1_3repE0EEENS1_30default_config_static_selectorELNS0_4arch9wavefront6targetE0EEEvT1_
    .private_segment_fixed_size: 0
    .sgpr_count:     0
    .sgpr_spill_count: 0
    .symbol:         _ZN7rocprim17ROCPRIM_400000_NS6detail17trampoline_kernelINS0_14default_configENS1_20scan_config_selectorIlEEZZNS1_9scan_implILNS1_25lookback_scan_determinismE0ELb0ELb0ES3_PlS8_lN6thrust23THRUST_200600_302600_NS4plusIvEElEEDaPvRmT3_T4_T5_mT6_P12ihipStream_tbENKUlT_T0_E_clISt17integral_constantIbLb0EESQ_EEDaSL_SM_EUlSL_E_NS1_11comp_targetILNS1_3genE9ELNS1_11target_archE1100ELNS1_3gpuE3ELNS1_3repE0EEENS1_30default_config_static_selectorELNS0_4arch9wavefront6targetE0EEEvT1_.kd
    .uniform_work_group_size: 1
    .uses_dynamic_stack: false
    .vgpr_count:     0
    .vgpr_spill_count: 0
    .wavefront_size: 32
  - .args:
      - .offset:         0
        .size:           104
        .value_kind:     by_value
    .group_segment_fixed_size: 0
    .kernarg_segment_align: 8
    .kernarg_segment_size: 104
    .language:       OpenCL C
    .language_version:
      - 2
      - 0
    .max_flat_workgroup_size: 256
    .name:           _ZN7rocprim17ROCPRIM_400000_NS6detail17trampoline_kernelINS0_14default_configENS1_20scan_config_selectorIlEEZZNS1_9scan_implILNS1_25lookback_scan_determinismE0ELb0ELb0ES3_PlS8_lN6thrust23THRUST_200600_302600_NS4plusIvEElEEDaPvRmT3_T4_T5_mT6_P12ihipStream_tbENKUlT_T0_E_clISt17integral_constantIbLb0EESQ_EEDaSL_SM_EUlSL_E_NS1_11comp_targetILNS1_3genE8ELNS1_11target_archE1030ELNS1_3gpuE2ELNS1_3repE0EEENS1_30default_config_static_selectorELNS0_4arch9wavefront6targetE0EEEvT1_
    .private_segment_fixed_size: 0
    .sgpr_count:     0
    .sgpr_spill_count: 0
    .symbol:         _ZN7rocprim17ROCPRIM_400000_NS6detail17trampoline_kernelINS0_14default_configENS1_20scan_config_selectorIlEEZZNS1_9scan_implILNS1_25lookback_scan_determinismE0ELb0ELb0ES3_PlS8_lN6thrust23THRUST_200600_302600_NS4plusIvEElEEDaPvRmT3_T4_T5_mT6_P12ihipStream_tbENKUlT_T0_E_clISt17integral_constantIbLb0EESQ_EEDaSL_SM_EUlSL_E_NS1_11comp_targetILNS1_3genE8ELNS1_11target_archE1030ELNS1_3gpuE2ELNS1_3repE0EEENS1_30default_config_static_selectorELNS0_4arch9wavefront6targetE0EEEvT1_.kd
    .uniform_work_group_size: 1
    .uses_dynamic_stack: false
    .vgpr_count:     0
    .vgpr_spill_count: 0
    .wavefront_size: 32
  - .args:
      - .offset:         0
        .size:           40
        .value_kind:     by_value
    .group_segment_fixed_size: 12288
    .kernarg_segment_align: 8
    .kernarg_segment_size: 40
    .language:       OpenCL C
    .language_version:
      - 2
      - 0
    .max_flat_workgroup_size: 256
    .name:           _ZN7rocprim17ROCPRIM_400000_NS6detail17trampoline_kernelINS0_14default_configENS1_20scan_config_selectorIlEEZZNS1_9scan_implILNS1_25lookback_scan_determinismE0ELb0ELb0ES3_PlS8_lN6thrust23THRUST_200600_302600_NS4plusIvEElEEDaPvRmT3_T4_T5_mT6_P12ihipStream_tbENKUlT_T0_E_clISt17integral_constantIbLb0EESQ_EEDaSL_SM_EUlSL_E0_NS1_11comp_targetILNS1_3genE0ELNS1_11target_archE4294967295ELNS1_3gpuE0ELNS1_3repE0EEENS1_30default_config_static_selectorELNS0_4arch9wavefront6targetE0EEEvT1_
    .private_segment_fixed_size: 0
    .sgpr_count:     16
    .sgpr_spill_count: 0
    .symbol:         _ZN7rocprim17ROCPRIM_400000_NS6detail17trampoline_kernelINS0_14default_configENS1_20scan_config_selectorIlEEZZNS1_9scan_implILNS1_25lookback_scan_determinismE0ELb0ELb0ES3_PlS8_lN6thrust23THRUST_200600_302600_NS4plusIvEElEEDaPvRmT3_T4_T5_mT6_P12ihipStream_tbENKUlT_T0_E_clISt17integral_constantIbLb0EESQ_EEDaSL_SM_EUlSL_E0_NS1_11comp_targetILNS1_3genE0ELNS1_11target_archE4294967295ELNS1_3gpuE0ELNS1_3repE0EEENS1_30default_config_static_selectorELNS0_4arch9wavefront6targetE0EEEvT1_.kd
    .uniform_work_group_size: 1
    .uses_dynamic_stack: false
    .vgpr_count:     37
    .vgpr_spill_count: 0
    .wavefront_size: 32
  - .args:
      - .offset:         0
        .size:           40
        .value_kind:     by_value
    .group_segment_fixed_size: 0
    .kernarg_segment_align: 8
    .kernarg_segment_size: 40
    .language:       OpenCL C
    .language_version:
      - 2
      - 0
    .max_flat_workgroup_size: 256
    .name:           _ZN7rocprim17ROCPRIM_400000_NS6detail17trampoline_kernelINS0_14default_configENS1_20scan_config_selectorIlEEZZNS1_9scan_implILNS1_25lookback_scan_determinismE0ELb0ELb0ES3_PlS8_lN6thrust23THRUST_200600_302600_NS4plusIvEElEEDaPvRmT3_T4_T5_mT6_P12ihipStream_tbENKUlT_T0_E_clISt17integral_constantIbLb0EESQ_EEDaSL_SM_EUlSL_E0_NS1_11comp_targetILNS1_3genE5ELNS1_11target_archE942ELNS1_3gpuE9ELNS1_3repE0EEENS1_30default_config_static_selectorELNS0_4arch9wavefront6targetE0EEEvT1_
    .private_segment_fixed_size: 0
    .sgpr_count:     0
    .sgpr_spill_count: 0
    .symbol:         _ZN7rocprim17ROCPRIM_400000_NS6detail17trampoline_kernelINS0_14default_configENS1_20scan_config_selectorIlEEZZNS1_9scan_implILNS1_25lookback_scan_determinismE0ELb0ELb0ES3_PlS8_lN6thrust23THRUST_200600_302600_NS4plusIvEElEEDaPvRmT3_T4_T5_mT6_P12ihipStream_tbENKUlT_T0_E_clISt17integral_constantIbLb0EESQ_EEDaSL_SM_EUlSL_E0_NS1_11comp_targetILNS1_3genE5ELNS1_11target_archE942ELNS1_3gpuE9ELNS1_3repE0EEENS1_30default_config_static_selectorELNS0_4arch9wavefront6targetE0EEEvT1_.kd
    .uniform_work_group_size: 1
    .uses_dynamic_stack: false
    .vgpr_count:     0
    .vgpr_spill_count: 0
    .wavefront_size: 32
  - .args:
      - .offset:         0
        .size:           40
        .value_kind:     by_value
    .group_segment_fixed_size: 0
    .kernarg_segment_align: 8
    .kernarg_segment_size: 40
    .language:       OpenCL C
    .language_version:
      - 2
      - 0
    .max_flat_workgroup_size: 128
    .name:           _ZN7rocprim17ROCPRIM_400000_NS6detail17trampoline_kernelINS0_14default_configENS1_20scan_config_selectorIlEEZZNS1_9scan_implILNS1_25lookback_scan_determinismE0ELb0ELb0ES3_PlS8_lN6thrust23THRUST_200600_302600_NS4plusIvEElEEDaPvRmT3_T4_T5_mT6_P12ihipStream_tbENKUlT_T0_E_clISt17integral_constantIbLb0EESQ_EEDaSL_SM_EUlSL_E0_NS1_11comp_targetILNS1_3genE4ELNS1_11target_archE910ELNS1_3gpuE8ELNS1_3repE0EEENS1_30default_config_static_selectorELNS0_4arch9wavefront6targetE0EEEvT1_
    .private_segment_fixed_size: 0
    .sgpr_count:     0
    .sgpr_spill_count: 0
    .symbol:         _ZN7rocprim17ROCPRIM_400000_NS6detail17trampoline_kernelINS0_14default_configENS1_20scan_config_selectorIlEEZZNS1_9scan_implILNS1_25lookback_scan_determinismE0ELb0ELb0ES3_PlS8_lN6thrust23THRUST_200600_302600_NS4plusIvEElEEDaPvRmT3_T4_T5_mT6_P12ihipStream_tbENKUlT_T0_E_clISt17integral_constantIbLb0EESQ_EEDaSL_SM_EUlSL_E0_NS1_11comp_targetILNS1_3genE4ELNS1_11target_archE910ELNS1_3gpuE8ELNS1_3repE0EEENS1_30default_config_static_selectorELNS0_4arch9wavefront6targetE0EEEvT1_.kd
    .uniform_work_group_size: 1
    .uses_dynamic_stack: false
    .vgpr_count:     0
    .vgpr_spill_count: 0
    .wavefront_size: 32
  - .args:
      - .offset:         0
        .size:           40
        .value_kind:     by_value
    .group_segment_fixed_size: 0
    .kernarg_segment_align: 8
    .kernarg_segment_size: 40
    .language:       OpenCL C
    .language_version:
      - 2
      - 0
    .max_flat_workgroup_size: 256
    .name:           _ZN7rocprim17ROCPRIM_400000_NS6detail17trampoline_kernelINS0_14default_configENS1_20scan_config_selectorIlEEZZNS1_9scan_implILNS1_25lookback_scan_determinismE0ELb0ELb0ES3_PlS8_lN6thrust23THRUST_200600_302600_NS4plusIvEElEEDaPvRmT3_T4_T5_mT6_P12ihipStream_tbENKUlT_T0_E_clISt17integral_constantIbLb0EESQ_EEDaSL_SM_EUlSL_E0_NS1_11comp_targetILNS1_3genE3ELNS1_11target_archE908ELNS1_3gpuE7ELNS1_3repE0EEENS1_30default_config_static_selectorELNS0_4arch9wavefront6targetE0EEEvT1_
    .private_segment_fixed_size: 0
    .sgpr_count:     0
    .sgpr_spill_count: 0
    .symbol:         _ZN7rocprim17ROCPRIM_400000_NS6detail17trampoline_kernelINS0_14default_configENS1_20scan_config_selectorIlEEZZNS1_9scan_implILNS1_25lookback_scan_determinismE0ELb0ELb0ES3_PlS8_lN6thrust23THRUST_200600_302600_NS4plusIvEElEEDaPvRmT3_T4_T5_mT6_P12ihipStream_tbENKUlT_T0_E_clISt17integral_constantIbLb0EESQ_EEDaSL_SM_EUlSL_E0_NS1_11comp_targetILNS1_3genE3ELNS1_11target_archE908ELNS1_3gpuE7ELNS1_3repE0EEENS1_30default_config_static_selectorELNS0_4arch9wavefront6targetE0EEEvT1_.kd
    .uniform_work_group_size: 1
    .uses_dynamic_stack: false
    .vgpr_count:     0
    .vgpr_spill_count: 0
    .wavefront_size: 32
  - .args:
      - .offset:         0
        .size:           40
        .value_kind:     by_value
    .group_segment_fixed_size: 0
    .kernarg_segment_align: 8
    .kernarg_segment_size: 40
    .language:       OpenCL C
    .language_version:
      - 2
      - 0
    .max_flat_workgroup_size: 64
    .name:           _ZN7rocprim17ROCPRIM_400000_NS6detail17trampoline_kernelINS0_14default_configENS1_20scan_config_selectorIlEEZZNS1_9scan_implILNS1_25lookback_scan_determinismE0ELb0ELb0ES3_PlS8_lN6thrust23THRUST_200600_302600_NS4plusIvEElEEDaPvRmT3_T4_T5_mT6_P12ihipStream_tbENKUlT_T0_E_clISt17integral_constantIbLb0EESQ_EEDaSL_SM_EUlSL_E0_NS1_11comp_targetILNS1_3genE2ELNS1_11target_archE906ELNS1_3gpuE6ELNS1_3repE0EEENS1_30default_config_static_selectorELNS0_4arch9wavefront6targetE0EEEvT1_
    .private_segment_fixed_size: 0
    .sgpr_count:     0
    .sgpr_spill_count: 0
    .symbol:         _ZN7rocprim17ROCPRIM_400000_NS6detail17trampoline_kernelINS0_14default_configENS1_20scan_config_selectorIlEEZZNS1_9scan_implILNS1_25lookback_scan_determinismE0ELb0ELb0ES3_PlS8_lN6thrust23THRUST_200600_302600_NS4plusIvEElEEDaPvRmT3_T4_T5_mT6_P12ihipStream_tbENKUlT_T0_E_clISt17integral_constantIbLb0EESQ_EEDaSL_SM_EUlSL_E0_NS1_11comp_targetILNS1_3genE2ELNS1_11target_archE906ELNS1_3gpuE6ELNS1_3repE0EEENS1_30default_config_static_selectorELNS0_4arch9wavefront6targetE0EEEvT1_.kd
    .uniform_work_group_size: 1
    .uses_dynamic_stack: false
    .vgpr_count:     0
    .vgpr_spill_count: 0
    .wavefront_size: 32
  - .args:
      - .offset:         0
        .size:           40
        .value_kind:     by_value
    .group_segment_fixed_size: 0
    .kernarg_segment_align: 8
    .kernarg_segment_size: 40
    .language:       OpenCL C
    .language_version:
      - 2
      - 0
    .max_flat_workgroup_size: 256
    .name:           _ZN7rocprim17ROCPRIM_400000_NS6detail17trampoline_kernelINS0_14default_configENS1_20scan_config_selectorIlEEZZNS1_9scan_implILNS1_25lookback_scan_determinismE0ELb0ELb0ES3_PlS8_lN6thrust23THRUST_200600_302600_NS4plusIvEElEEDaPvRmT3_T4_T5_mT6_P12ihipStream_tbENKUlT_T0_E_clISt17integral_constantIbLb0EESQ_EEDaSL_SM_EUlSL_E0_NS1_11comp_targetILNS1_3genE10ELNS1_11target_archE1201ELNS1_3gpuE5ELNS1_3repE0EEENS1_30default_config_static_selectorELNS0_4arch9wavefront6targetE0EEEvT1_
    .private_segment_fixed_size: 0
    .sgpr_count:     0
    .sgpr_spill_count: 0
    .symbol:         _ZN7rocprim17ROCPRIM_400000_NS6detail17trampoline_kernelINS0_14default_configENS1_20scan_config_selectorIlEEZZNS1_9scan_implILNS1_25lookback_scan_determinismE0ELb0ELb0ES3_PlS8_lN6thrust23THRUST_200600_302600_NS4plusIvEElEEDaPvRmT3_T4_T5_mT6_P12ihipStream_tbENKUlT_T0_E_clISt17integral_constantIbLb0EESQ_EEDaSL_SM_EUlSL_E0_NS1_11comp_targetILNS1_3genE10ELNS1_11target_archE1201ELNS1_3gpuE5ELNS1_3repE0EEENS1_30default_config_static_selectorELNS0_4arch9wavefront6targetE0EEEvT1_.kd
    .uniform_work_group_size: 1
    .uses_dynamic_stack: false
    .vgpr_count:     0
    .vgpr_spill_count: 0
    .wavefront_size: 32
  - .args:
      - .offset:         0
        .size:           40
        .value_kind:     by_value
    .group_segment_fixed_size: 0
    .kernarg_segment_align: 8
    .kernarg_segment_size: 40
    .language:       OpenCL C
    .language_version:
      - 2
      - 0
    .max_flat_workgroup_size: 256
    .name:           _ZN7rocprim17ROCPRIM_400000_NS6detail17trampoline_kernelINS0_14default_configENS1_20scan_config_selectorIlEEZZNS1_9scan_implILNS1_25lookback_scan_determinismE0ELb0ELb0ES3_PlS8_lN6thrust23THRUST_200600_302600_NS4plusIvEElEEDaPvRmT3_T4_T5_mT6_P12ihipStream_tbENKUlT_T0_E_clISt17integral_constantIbLb0EESQ_EEDaSL_SM_EUlSL_E0_NS1_11comp_targetILNS1_3genE10ELNS1_11target_archE1200ELNS1_3gpuE4ELNS1_3repE0EEENS1_30default_config_static_selectorELNS0_4arch9wavefront6targetE0EEEvT1_
    .private_segment_fixed_size: 0
    .sgpr_count:     0
    .sgpr_spill_count: 0
    .symbol:         _ZN7rocprim17ROCPRIM_400000_NS6detail17trampoline_kernelINS0_14default_configENS1_20scan_config_selectorIlEEZZNS1_9scan_implILNS1_25lookback_scan_determinismE0ELb0ELb0ES3_PlS8_lN6thrust23THRUST_200600_302600_NS4plusIvEElEEDaPvRmT3_T4_T5_mT6_P12ihipStream_tbENKUlT_T0_E_clISt17integral_constantIbLb0EESQ_EEDaSL_SM_EUlSL_E0_NS1_11comp_targetILNS1_3genE10ELNS1_11target_archE1200ELNS1_3gpuE4ELNS1_3repE0EEENS1_30default_config_static_selectorELNS0_4arch9wavefront6targetE0EEEvT1_.kd
    .uniform_work_group_size: 1
    .uses_dynamic_stack: false
    .vgpr_count:     0
    .vgpr_spill_count: 0
    .wavefront_size: 32
  - .args:
      - .offset:         0
        .size:           40
        .value_kind:     by_value
    .group_segment_fixed_size: 0
    .kernarg_segment_align: 8
    .kernarg_segment_size: 40
    .language:       OpenCL C
    .language_version:
      - 2
      - 0
    .max_flat_workgroup_size: 256
    .name:           _ZN7rocprim17ROCPRIM_400000_NS6detail17trampoline_kernelINS0_14default_configENS1_20scan_config_selectorIlEEZZNS1_9scan_implILNS1_25lookback_scan_determinismE0ELb0ELb0ES3_PlS8_lN6thrust23THRUST_200600_302600_NS4plusIvEElEEDaPvRmT3_T4_T5_mT6_P12ihipStream_tbENKUlT_T0_E_clISt17integral_constantIbLb0EESQ_EEDaSL_SM_EUlSL_E0_NS1_11comp_targetILNS1_3genE9ELNS1_11target_archE1100ELNS1_3gpuE3ELNS1_3repE0EEENS1_30default_config_static_selectorELNS0_4arch9wavefront6targetE0EEEvT1_
    .private_segment_fixed_size: 0
    .sgpr_count:     0
    .sgpr_spill_count: 0
    .symbol:         _ZN7rocprim17ROCPRIM_400000_NS6detail17trampoline_kernelINS0_14default_configENS1_20scan_config_selectorIlEEZZNS1_9scan_implILNS1_25lookback_scan_determinismE0ELb0ELb0ES3_PlS8_lN6thrust23THRUST_200600_302600_NS4plusIvEElEEDaPvRmT3_T4_T5_mT6_P12ihipStream_tbENKUlT_T0_E_clISt17integral_constantIbLb0EESQ_EEDaSL_SM_EUlSL_E0_NS1_11comp_targetILNS1_3genE9ELNS1_11target_archE1100ELNS1_3gpuE3ELNS1_3repE0EEENS1_30default_config_static_selectorELNS0_4arch9wavefront6targetE0EEEvT1_.kd
    .uniform_work_group_size: 1
    .uses_dynamic_stack: false
    .vgpr_count:     0
    .vgpr_spill_count: 0
    .wavefront_size: 32
  - .args:
      - .offset:         0
        .size:           40
        .value_kind:     by_value
    .group_segment_fixed_size: 0
    .kernarg_segment_align: 8
    .kernarg_segment_size: 40
    .language:       OpenCL C
    .language_version:
      - 2
      - 0
    .max_flat_workgroup_size: 256
    .name:           _ZN7rocprim17ROCPRIM_400000_NS6detail17trampoline_kernelINS0_14default_configENS1_20scan_config_selectorIlEEZZNS1_9scan_implILNS1_25lookback_scan_determinismE0ELb0ELb0ES3_PlS8_lN6thrust23THRUST_200600_302600_NS4plusIvEElEEDaPvRmT3_T4_T5_mT6_P12ihipStream_tbENKUlT_T0_E_clISt17integral_constantIbLb0EESQ_EEDaSL_SM_EUlSL_E0_NS1_11comp_targetILNS1_3genE8ELNS1_11target_archE1030ELNS1_3gpuE2ELNS1_3repE0EEENS1_30default_config_static_selectorELNS0_4arch9wavefront6targetE0EEEvT1_
    .private_segment_fixed_size: 0
    .sgpr_count:     0
    .sgpr_spill_count: 0
    .symbol:         _ZN7rocprim17ROCPRIM_400000_NS6detail17trampoline_kernelINS0_14default_configENS1_20scan_config_selectorIlEEZZNS1_9scan_implILNS1_25lookback_scan_determinismE0ELb0ELb0ES3_PlS8_lN6thrust23THRUST_200600_302600_NS4plusIvEElEEDaPvRmT3_T4_T5_mT6_P12ihipStream_tbENKUlT_T0_E_clISt17integral_constantIbLb0EESQ_EEDaSL_SM_EUlSL_E0_NS1_11comp_targetILNS1_3genE8ELNS1_11target_archE1030ELNS1_3gpuE2ELNS1_3repE0EEENS1_30default_config_static_selectorELNS0_4arch9wavefront6targetE0EEEvT1_.kd
    .uniform_work_group_size: 1
    .uses_dynamic_stack: false
    .vgpr_count:     0
    .vgpr_spill_count: 0
    .wavefront_size: 32
  - .args:
      - .address_space:  global
        .offset:         0
        .size:           8
        .value_kind:     global_buffer
      - .offset:         8
        .size:           4
        .value_kind:     by_value
      - .address_space:  global
        .offset:         16
        .size:           8
        .value_kind:     global_buffer
      - .offset:         24
        .size:           4
        .value_kind:     by_value
      - .address_space:  global
        .offset:         32
        .size:           8
        .value_kind:     global_buffer
      - .offset:         40
        .size:           4
        .value_kind:     hidden_block_count_x
      - .offset:         44
        .size:           4
        .value_kind:     hidden_block_count_y
      - .offset:         48
        .size:           4
        .value_kind:     hidden_block_count_z
      - .offset:         52
        .size:           2
        .value_kind:     hidden_group_size_x
      - .offset:         54
        .size:           2
        .value_kind:     hidden_group_size_y
      - .offset:         56
        .size:           2
        .value_kind:     hidden_group_size_z
      - .offset:         58
        .size:           2
        .value_kind:     hidden_remainder_x
      - .offset:         60
        .size:           2
        .value_kind:     hidden_remainder_y
      - .offset:         62
        .size:           2
        .value_kind:     hidden_remainder_z
      - .offset:         80
        .size:           8
        .value_kind:     hidden_global_offset_x
      - .offset:         88
        .size:           8
        .value_kind:     hidden_global_offset_y
      - .offset:         96
        .size:           8
        .value_kind:     hidden_global_offset_z
      - .offset:         104
        .size:           2
        .value_kind:     hidden_grid_dims
    .group_segment_fixed_size: 0
    .kernarg_segment_align: 8
    .kernarg_segment_size: 296
    .language:       OpenCL C
    .language_version:
      - 2
      - 0
    .max_flat_workgroup_size: 256
    .name:           _ZN7rocprim17ROCPRIM_400000_NS6detail31init_lookback_scan_state_kernelINS1_19lookback_scan_stateIlLb1ELb1EEENS1_16block_id_wrapperIjLb1EEEEEvT_jT0_jPNS7_10value_typeE
    .private_segment_fixed_size: 0
    .sgpr_count:     14
    .sgpr_spill_count: 0
    .symbol:         _ZN7rocprim17ROCPRIM_400000_NS6detail31init_lookback_scan_state_kernelINS1_19lookback_scan_stateIlLb1ELb1EEENS1_16block_id_wrapperIjLb1EEEEEvT_jT0_jPNS7_10value_typeE.kd
    .uniform_work_group_size: 1
    .uses_dynamic_stack: false
    .vgpr_count:     9
    .vgpr_spill_count: 0
    .wavefront_size: 32
  - .args:
      - .offset:         0
        .size:           104
        .value_kind:     by_value
    .group_segment_fixed_size: 0
    .kernarg_segment_align: 8
    .kernarg_segment_size: 104
    .language:       OpenCL C
    .language_version:
      - 2
      - 0
    .max_flat_workgroup_size: 256
    .name:           _ZN7rocprim17ROCPRIM_400000_NS6detail17trampoline_kernelINS0_14default_configENS1_20scan_config_selectorIlEEZZNS1_9scan_implILNS1_25lookback_scan_determinismE0ELb0ELb0ES3_PlS8_lN6thrust23THRUST_200600_302600_NS4plusIvEElEEDaPvRmT3_T4_T5_mT6_P12ihipStream_tbENKUlT_T0_E_clISt17integral_constantIbLb1EESQ_EEDaSL_SM_EUlSL_E_NS1_11comp_targetILNS1_3genE0ELNS1_11target_archE4294967295ELNS1_3gpuE0ELNS1_3repE0EEENS1_30default_config_static_selectorELNS0_4arch9wavefront6targetE0EEEvT1_
    .private_segment_fixed_size: 0
    .sgpr_count:     0
    .sgpr_spill_count: 0
    .symbol:         _ZN7rocprim17ROCPRIM_400000_NS6detail17trampoline_kernelINS0_14default_configENS1_20scan_config_selectorIlEEZZNS1_9scan_implILNS1_25lookback_scan_determinismE0ELb0ELb0ES3_PlS8_lN6thrust23THRUST_200600_302600_NS4plusIvEElEEDaPvRmT3_T4_T5_mT6_P12ihipStream_tbENKUlT_T0_E_clISt17integral_constantIbLb1EESQ_EEDaSL_SM_EUlSL_E_NS1_11comp_targetILNS1_3genE0ELNS1_11target_archE4294967295ELNS1_3gpuE0ELNS1_3repE0EEENS1_30default_config_static_selectorELNS0_4arch9wavefront6targetE0EEEvT1_.kd
    .uniform_work_group_size: 1
    .uses_dynamic_stack: false
    .vgpr_count:     0
    .vgpr_spill_count: 0
    .wavefront_size: 32
  - .args:
      - .offset:         0
        .size:           104
        .value_kind:     by_value
    .group_segment_fixed_size: 0
    .kernarg_segment_align: 8
    .kernarg_segment_size: 104
    .language:       OpenCL C
    .language_version:
      - 2
      - 0
    .max_flat_workgroup_size: 256
    .name:           _ZN7rocprim17ROCPRIM_400000_NS6detail17trampoline_kernelINS0_14default_configENS1_20scan_config_selectorIlEEZZNS1_9scan_implILNS1_25lookback_scan_determinismE0ELb0ELb0ES3_PlS8_lN6thrust23THRUST_200600_302600_NS4plusIvEElEEDaPvRmT3_T4_T5_mT6_P12ihipStream_tbENKUlT_T0_E_clISt17integral_constantIbLb1EESQ_EEDaSL_SM_EUlSL_E_NS1_11comp_targetILNS1_3genE5ELNS1_11target_archE942ELNS1_3gpuE9ELNS1_3repE0EEENS1_30default_config_static_selectorELNS0_4arch9wavefront6targetE0EEEvT1_
    .private_segment_fixed_size: 0
    .sgpr_count:     0
    .sgpr_spill_count: 0
    .symbol:         _ZN7rocprim17ROCPRIM_400000_NS6detail17trampoline_kernelINS0_14default_configENS1_20scan_config_selectorIlEEZZNS1_9scan_implILNS1_25lookback_scan_determinismE0ELb0ELb0ES3_PlS8_lN6thrust23THRUST_200600_302600_NS4plusIvEElEEDaPvRmT3_T4_T5_mT6_P12ihipStream_tbENKUlT_T0_E_clISt17integral_constantIbLb1EESQ_EEDaSL_SM_EUlSL_E_NS1_11comp_targetILNS1_3genE5ELNS1_11target_archE942ELNS1_3gpuE9ELNS1_3repE0EEENS1_30default_config_static_selectorELNS0_4arch9wavefront6targetE0EEEvT1_.kd
    .uniform_work_group_size: 1
    .uses_dynamic_stack: false
    .vgpr_count:     0
    .vgpr_spill_count: 0
    .wavefront_size: 32
  - .args:
      - .offset:         0
        .size:           104
        .value_kind:     by_value
    .group_segment_fixed_size: 0
    .kernarg_segment_align: 8
    .kernarg_segment_size: 104
    .language:       OpenCL C
    .language_version:
      - 2
      - 0
    .max_flat_workgroup_size: 128
    .name:           _ZN7rocprim17ROCPRIM_400000_NS6detail17trampoline_kernelINS0_14default_configENS1_20scan_config_selectorIlEEZZNS1_9scan_implILNS1_25lookback_scan_determinismE0ELb0ELb0ES3_PlS8_lN6thrust23THRUST_200600_302600_NS4plusIvEElEEDaPvRmT3_T4_T5_mT6_P12ihipStream_tbENKUlT_T0_E_clISt17integral_constantIbLb1EESQ_EEDaSL_SM_EUlSL_E_NS1_11comp_targetILNS1_3genE4ELNS1_11target_archE910ELNS1_3gpuE8ELNS1_3repE0EEENS1_30default_config_static_selectorELNS0_4arch9wavefront6targetE0EEEvT1_
    .private_segment_fixed_size: 0
    .sgpr_count:     0
    .sgpr_spill_count: 0
    .symbol:         _ZN7rocprim17ROCPRIM_400000_NS6detail17trampoline_kernelINS0_14default_configENS1_20scan_config_selectorIlEEZZNS1_9scan_implILNS1_25lookback_scan_determinismE0ELb0ELb0ES3_PlS8_lN6thrust23THRUST_200600_302600_NS4plusIvEElEEDaPvRmT3_T4_T5_mT6_P12ihipStream_tbENKUlT_T0_E_clISt17integral_constantIbLb1EESQ_EEDaSL_SM_EUlSL_E_NS1_11comp_targetILNS1_3genE4ELNS1_11target_archE910ELNS1_3gpuE8ELNS1_3repE0EEENS1_30default_config_static_selectorELNS0_4arch9wavefront6targetE0EEEvT1_.kd
    .uniform_work_group_size: 1
    .uses_dynamic_stack: false
    .vgpr_count:     0
    .vgpr_spill_count: 0
    .wavefront_size: 32
  - .args:
      - .offset:         0
        .size:           104
        .value_kind:     by_value
    .group_segment_fixed_size: 0
    .kernarg_segment_align: 8
    .kernarg_segment_size: 104
    .language:       OpenCL C
    .language_version:
      - 2
      - 0
    .max_flat_workgroup_size: 256
    .name:           _ZN7rocprim17ROCPRIM_400000_NS6detail17trampoline_kernelINS0_14default_configENS1_20scan_config_selectorIlEEZZNS1_9scan_implILNS1_25lookback_scan_determinismE0ELb0ELb0ES3_PlS8_lN6thrust23THRUST_200600_302600_NS4plusIvEElEEDaPvRmT3_T4_T5_mT6_P12ihipStream_tbENKUlT_T0_E_clISt17integral_constantIbLb1EESQ_EEDaSL_SM_EUlSL_E_NS1_11comp_targetILNS1_3genE3ELNS1_11target_archE908ELNS1_3gpuE7ELNS1_3repE0EEENS1_30default_config_static_selectorELNS0_4arch9wavefront6targetE0EEEvT1_
    .private_segment_fixed_size: 0
    .sgpr_count:     0
    .sgpr_spill_count: 0
    .symbol:         _ZN7rocprim17ROCPRIM_400000_NS6detail17trampoline_kernelINS0_14default_configENS1_20scan_config_selectorIlEEZZNS1_9scan_implILNS1_25lookback_scan_determinismE0ELb0ELb0ES3_PlS8_lN6thrust23THRUST_200600_302600_NS4plusIvEElEEDaPvRmT3_T4_T5_mT6_P12ihipStream_tbENKUlT_T0_E_clISt17integral_constantIbLb1EESQ_EEDaSL_SM_EUlSL_E_NS1_11comp_targetILNS1_3genE3ELNS1_11target_archE908ELNS1_3gpuE7ELNS1_3repE0EEENS1_30default_config_static_selectorELNS0_4arch9wavefront6targetE0EEEvT1_.kd
    .uniform_work_group_size: 1
    .uses_dynamic_stack: false
    .vgpr_count:     0
    .vgpr_spill_count: 0
    .wavefront_size: 32
  - .args:
      - .offset:         0
        .size:           104
        .value_kind:     by_value
    .group_segment_fixed_size: 0
    .kernarg_segment_align: 8
    .kernarg_segment_size: 104
    .language:       OpenCL C
    .language_version:
      - 2
      - 0
    .max_flat_workgroup_size: 64
    .name:           _ZN7rocprim17ROCPRIM_400000_NS6detail17trampoline_kernelINS0_14default_configENS1_20scan_config_selectorIlEEZZNS1_9scan_implILNS1_25lookback_scan_determinismE0ELb0ELb0ES3_PlS8_lN6thrust23THRUST_200600_302600_NS4plusIvEElEEDaPvRmT3_T4_T5_mT6_P12ihipStream_tbENKUlT_T0_E_clISt17integral_constantIbLb1EESQ_EEDaSL_SM_EUlSL_E_NS1_11comp_targetILNS1_3genE2ELNS1_11target_archE906ELNS1_3gpuE6ELNS1_3repE0EEENS1_30default_config_static_selectorELNS0_4arch9wavefront6targetE0EEEvT1_
    .private_segment_fixed_size: 0
    .sgpr_count:     0
    .sgpr_spill_count: 0
    .symbol:         _ZN7rocprim17ROCPRIM_400000_NS6detail17trampoline_kernelINS0_14default_configENS1_20scan_config_selectorIlEEZZNS1_9scan_implILNS1_25lookback_scan_determinismE0ELb0ELb0ES3_PlS8_lN6thrust23THRUST_200600_302600_NS4plusIvEElEEDaPvRmT3_T4_T5_mT6_P12ihipStream_tbENKUlT_T0_E_clISt17integral_constantIbLb1EESQ_EEDaSL_SM_EUlSL_E_NS1_11comp_targetILNS1_3genE2ELNS1_11target_archE906ELNS1_3gpuE6ELNS1_3repE0EEENS1_30default_config_static_selectorELNS0_4arch9wavefront6targetE0EEEvT1_.kd
    .uniform_work_group_size: 1
    .uses_dynamic_stack: false
    .vgpr_count:     0
    .vgpr_spill_count: 0
    .wavefront_size: 32
  - .args:
      - .offset:         0
        .size:           104
        .value_kind:     by_value
    .group_segment_fixed_size: 0
    .kernarg_segment_align: 8
    .kernarg_segment_size: 104
    .language:       OpenCL C
    .language_version:
      - 2
      - 0
    .max_flat_workgroup_size: 256
    .name:           _ZN7rocprim17ROCPRIM_400000_NS6detail17trampoline_kernelINS0_14default_configENS1_20scan_config_selectorIlEEZZNS1_9scan_implILNS1_25lookback_scan_determinismE0ELb0ELb0ES3_PlS8_lN6thrust23THRUST_200600_302600_NS4plusIvEElEEDaPvRmT3_T4_T5_mT6_P12ihipStream_tbENKUlT_T0_E_clISt17integral_constantIbLb1EESQ_EEDaSL_SM_EUlSL_E_NS1_11comp_targetILNS1_3genE10ELNS1_11target_archE1201ELNS1_3gpuE5ELNS1_3repE0EEENS1_30default_config_static_selectorELNS0_4arch9wavefront6targetE0EEEvT1_
    .private_segment_fixed_size: 0
    .sgpr_count:     0
    .sgpr_spill_count: 0
    .symbol:         _ZN7rocprim17ROCPRIM_400000_NS6detail17trampoline_kernelINS0_14default_configENS1_20scan_config_selectorIlEEZZNS1_9scan_implILNS1_25lookback_scan_determinismE0ELb0ELb0ES3_PlS8_lN6thrust23THRUST_200600_302600_NS4plusIvEElEEDaPvRmT3_T4_T5_mT6_P12ihipStream_tbENKUlT_T0_E_clISt17integral_constantIbLb1EESQ_EEDaSL_SM_EUlSL_E_NS1_11comp_targetILNS1_3genE10ELNS1_11target_archE1201ELNS1_3gpuE5ELNS1_3repE0EEENS1_30default_config_static_selectorELNS0_4arch9wavefront6targetE0EEEvT1_.kd
    .uniform_work_group_size: 1
    .uses_dynamic_stack: false
    .vgpr_count:     0
    .vgpr_spill_count: 0
    .wavefront_size: 32
  - .args:
      - .offset:         0
        .size:           104
        .value_kind:     by_value
    .group_segment_fixed_size: 0
    .kernarg_segment_align: 8
    .kernarg_segment_size: 104
    .language:       OpenCL C
    .language_version:
      - 2
      - 0
    .max_flat_workgroup_size: 256
    .name:           _ZN7rocprim17ROCPRIM_400000_NS6detail17trampoline_kernelINS0_14default_configENS1_20scan_config_selectorIlEEZZNS1_9scan_implILNS1_25lookback_scan_determinismE0ELb0ELb0ES3_PlS8_lN6thrust23THRUST_200600_302600_NS4plusIvEElEEDaPvRmT3_T4_T5_mT6_P12ihipStream_tbENKUlT_T0_E_clISt17integral_constantIbLb1EESQ_EEDaSL_SM_EUlSL_E_NS1_11comp_targetILNS1_3genE10ELNS1_11target_archE1200ELNS1_3gpuE4ELNS1_3repE0EEENS1_30default_config_static_selectorELNS0_4arch9wavefront6targetE0EEEvT1_
    .private_segment_fixed_size: 0
    .sgpr_count:     0
    .sgpr_spill_count: 0
    .symbol:         _ZN7rocprim17ROCPRIM_400000_NS6detail17trampoline_kernelINS0_14default_configENS1_20scan_config_selectorIlEEZZNS1_9scan_implILNS1_25lookback_scan_determinismE0ELb0ELb0ES3_PlS8_lN6thrust23THRUST_200600_302600_NS4plusIvEElEEDaPvRmT3_T4_T5_mT6_P12ihipStream_tbENKUlT_T0_E_clISt17integral_constantIbLb1EESQ_EEDaSL_SM_EUlSL_E_NS1_11comp_targetILNS1_3genE10ELNS1_11target_archE1200ELNS1_3gpuE4ELNS1_3repE0EEENS1_30default_config_static_selectorELNS0_4arch9wavefront6targetE0EEEvT1_.kd
    .uniform_work_group_size: 1
    .uses_dynamic_stack: false
    .vgpr_count:     0
    .vgpr_spill_count: 0
    .wavefront_size: 32
  - .args:
      - .offset:         0
        .size:           104
        .value_kind:     by_value
    .group_segment_fixed_size: 0
    .kernarg_segment_align: 8
    .kernarg_segment_size: 104
    .language:       OpenCL C
    .language_version:
      - 2
      - 0
    .max_flat_workgroup_size: 256
    .name:           _ZN7rocprim17ROCPRIM_400000_NS6detail17trampoline_kernelINS0_14default_configENS1_20scan_config_selectorIlEEZZNS1_9scan_implILNS1_25lookback_scan_determinismE0ELb0ELb0ES3_PlS8_lN6thrust23THRUST_200600_302600_NS4plusIvEElEEDaPvRmT3_T4_T5_mT6_P12ihipStream_tbENKUlT_T0_E_clISt17integral_constantIbLb1EESQ_EEDaSL_SM_EUlSL_E_NS1_11comp_targetILNS1_3genE9ELNS1_11target_archE1100ELNS1_3gpuE3ELNS1_3repE0EEENS1_30default_config_static_selectorELNS0_4arch9wavefront6targetE0EEEvT1_
    .private_segment_fixed_size: 0
    .sgpr_count:     0
    .sgpr_spill_count: 0
    .symbol:         _ZN7rocprim17ROCPRIM_400000_NS6detail17trampoline_kernelINS0_14default_configENS1_20scan_config_selectorIlEEZZNS1_9scan_implILNS1_25lookback_scan_determinismE0ELb0ELb0ES3_PlS8_lN6thrust23THRUST_200600_302600_NS4plusIvEElEEDaPvRmT3_T4_T5_mT6_P12ihipStream_tbENKUlT_T0_E_clISt17integral_constantIbLb1EESQ_EEDaSL_SM_EUlSL_E_NS1_11comp_targetILNS1_3genE9ELNS1_11target_archE1100ELNS1_3gpuE3ELNS1_3repE0EEENS1_30default_config_static_selectorELNS0_4arch9wavefront6targetE0EEEvT1_.kd
    .uniform_work_group_size: 1
    .uses_dynamic_stack: false
    .vgpr_count:     0
    .vgpr_spill_count: 0
    .wavefront_size: 32
  - .args:
      - .offset:         0
        .size:           104
        .value_kind:     by_value
    .group_segment_fixed_size: 0
    .kernarg_segment_align: 8
    .kernarg_segment_size: 104
    .language:       OpenCL C
    .language_version:
      - 2
      - 0
    .max_flat_workgroup_size: 256
    .name:           _ZN7rocprim17ROCPRIM_400000_NS6detail17trampoline_kernelINS0_14default_configENS1_20scan_config_selectorIlEEZZNS1_9scan_implILNS1_25lookback_scan_determinismE0ELb0ELb0ES3_PlS8_lN6thrust23THRUST_200600_302600_NS4plusIvEElEEDaPvRmT3_T4_T5_mT6_P12ihipStream_tbENKUlT_T0_E_clISt17integral_constantIbLb1EESQ_EEDaSL_SM_EUlSL_E_NS1_11comp_targetILNS1_3genE8ELNS1_11target_archE1030ELNS1_3gpuE2ELNS1_3repE0EEENS1_30default_config_static_selectorELNS0_4arch9wavefront6targetE0EEEvT1_
    .private_segment_fixed_size: 0
    .sgpr_count:     0
    .sgpr_spill_count: 0
    .symbol:         _ZN7rocprim17ROCPRIM_400000_NS6detail17trampoline_kernelINS0_14default_configENS1_20scan_config_selectorIlEEZZNS1_9scan_implILNS1_25lookback_scan_determinismE0ELb0ELb0ES3_PlS8_lN6thrust23THRUST_200600_302600_NS4plusIvEElEEDaPvRmT3_T4_T5_mT6_P12ihipStream_tbENKUlT_T0_E_clISt17integral_constantIbLb1EESQ_EEDaSL_SM_EUlSL_E_NS1_11comp_targetILNS1_3genE8ELNS1_11target_archE1030ELNS1_3gpuE2ELNS1_3repE0EEENS1_30default_config_static_selectorELNS0_4arch9wavefront6targetE0EEEvT1_.kd
    .uniform_work_group_size: 1
    .uses_dynamic_stack: false
    .vgpr_count:     0
    .vgpr_spill_count: 0
    .wavefront_size: 32
  - .args:
      - .offset:         0
        .size:           40
        .value_kind:     by_value
    .group_segment_fixed_size: 12288
    .kernarg_segment_align: 8
    .kernarg_segment_size: 40
    .language:       OpenCL C
    .language_version:
      - 2
      - 0
    .max_flat_workgroup_size: 256
    .name:           _ZN7rocprim17ROCPRIM_400000_NS6detail17trampoline_kernelINS0_14default_configENS1_20scan_config_selectorIlEEZZNS1_9scan_implILNS1_25lookback_scan_determinismE0ELb0ELb0ES3_PlS8_lN6thrust23THRUST_200600_302600_NS4plusIvEElEEDaPvRmT3_T4_T5_mT6_P12ihipStream_tbENKUlT_T0_E_clISt17integral_constantIbLb1EESQ_EEDaSL_SM_EUlSL_E0_NS1_11comp_targetILNS1_3genE0ELNS1_11target_archE4294967295ELNS1_3gpuE0ELNS1_3repE0EEENS1_30default_config_static_selectorELNS0_4arch9wavefront6targetE0EEEvT1_
    .private_segment_fixed_size: 0
    .sgpr_count:     16
    .sgpr_spill_count: 0
    .symbol:         _ZN7rocprim17ROCPRIM_400000_NS6detail17trampoline_kernelINS0_14default_configENS1_20scan_config_selectorIlEEZZNS1_9scan_implILNS1_25lookback_scan_determinismE0ELb0ELb0ES3_PlS8_lN6thrust23THRUST_200600_302600_NS4plusIvEElEEDaPvRmT3_T4_T5_mT6_P12ihipStream_tbENKUlT_T0_E_clISt17integral_constantIbLb1EESQ_EEDaSL_SM_EUlSL_E0_NS1_11comp_targetILNS1_3genE0ELNS1_11target_archE4294967295ELNS1_3gpuE0ELNS1_3repE0EEENS1_30default_config_static_selectorELNS0_4arch9wavefront6targetE0EEEvT1_.kd
    .uniform_work_group_size: 1
    .uses_dynamic_stack: false
    .vgpr_count:     37
    .vgpr_spill_count: 0
    .wavefront_size: 32
  - .args:
      - .offset:         0
        .size:           40
        .value_kind:     by_value
    .group_segment_fixed_size: 0
    .kernarg_segment_align: 8
    .kernarg_segment_size: 40
    .language:       OpenCL C
    .language_version:
      - 2
      - 0
    .max_flat_workgroup_size: 256
    .name:           _ZN7rocprim17ROCPRIM_400000_NS6detail17trampoline_kernelINS0_14default_configENS1_20scan_config_selectorIlEEZZNS1_9scan_implILNS1_25lookback_scan_determinismE0ELb0ELb0ES3_PlS8_lN6thrust23THRUST_200600_302600_NS4plusIvEElEEDaPvRmT3_T4_T5_mT6_P12ihipStream_tbENKUlT_T0_E_clISt17integral_constantIbLb1EESQ_EEDaSL_SM_EUlSL_E0_NS1_11comp_targetILNS1_3genE5ELNS1_11target_archE942ELNS1_3gpuE9ELNS1_3repE0EEENS1_30default_config_static_selectorELNS0_4arch9wavefront6targetE0EEEvT1_
    .private_segment_fixed_size: 0
    .sgpr_count:     0
    .sgpr_spill_count: 0
    .symbol:         _ZN7rocprim17ROCPRIM_400000_NS6detail17trampoline_kernelINS0_14default_configENS1_20scan_config_selectorIlEEZZNS1_9scan_implILNS1_25lookback_scan_determinismE0ELb0ELb0ES3_PlS8_lN6thrust23THRUST_200600_302600_NS4plusIvEElEEDaPvRmT3_T4_T5_mT6_P12ihipStream_tbENKUlT_T0_E_clISt17integral_constantIbLb1EESQ_EEDaSL_SM_EUlSL_E0_NS1_11comp_targetILNS1_3genE5ELNS1_11target_archE942ELNS1_3gpuE9ELNS1_3repE0EEENS1_30default_config_static_selectorELNS0_4arch9wavefront6targetE0EEEvT1_.kd
    .uniform_work_group_size: 1
    .uses_dynamic_stack: false
    .vgpr_count:     0
    .vgpr_spill_count: 0
    .wavefront_size: 32
  - .args:
      - .offset:         0
        .size:           40
        .value_kind:     by_value
    .group_segment_fixed_size: 0
    .kernarg_segment_align: 8
    .kernarg_segment_size: 40
    .language:       OpenCL C
    .language_version:
      - 2
      - 0
    .max_flat_workgroup_size: 128
    .name:           _ZN7rocprim17ROCPRIM_400000_NS6detail17trampoline_kernelINS0_14default_configENS1_20scan_config_selectorIlEEZZNS1_9scan_implILNS1_25lookback_scan_determinismE0ELb0ELb0ES3_PlS8_lN6thrust23THRUST_200600_302600_NS4plusIvEElEEDaPvRmT3_T4_T5_mT6_P12ihipStream_tbENKUlT_T0_E_clISt17integral_constantIbLb1EESQ_EEDaSL_SM_EUlSL_E0_NS1_11comp_targetILNS1_3genE4ELNS1_11target_archE910ELNS1_3gpuE8ELNS1_3repE0EEENS1_30default_config_static_selectorELNS0_4arch9wavefront6targetE0EEEvT1_
    .private_segment_fixed_size: 0
    .sgpr_count:     0
    .sgpr_spill_count: 0
    .symbol:         _ZN7rocprim17ROCPRIM_400000_NS6detail17trampoline_kernelINS0_14default_configENS1_20scan_config_selectorIlEEZZNS1_9scan_implILNS1_25lookback_scan_determinismE0ELb0ELb0ES3_PlS8_lN6thrust23THRUST_200600_302600_NS4plusIvEElEEDaPvRmT3_T4_T5_mT6_P12ihipStream_tbENKUlT_T0_E_clISt17integral_constantIbLb1EESQ_EEDaSL_SM_EUlSL_E0_NS1_11comp_targetILNS1_3genE4ELNS1_11target_archE910ELNS1_3gpuE8ELNS1_3repE0EEENS1_30default_config_static_selectorELNS0_4arch9wavefront6targetE0EEEvT1_.kd
    .uniform_work_group_size: 1
    .uses_dynamic_stack: false
    .vgpr_count:     0
    .vgpr_spill_count: 0
    .wavefront_size: 32
  - .args:
      - .offset:         0
        .size:           40
        .value_kind:     by_value
    .group_segment_fixed_size: 0
    .kernarg_segment_align: 8
    .kernarg_segment_size: 40
    .language:       OpenCL C
    .language_version:
      - 2
      - 0
    .max_flat_workgroup_size: 256
    .name:           _ZN7rocprim17ROCPRIM_400000_NS6detail17trampoline_kernelINS0_14default_configENS1_20scan_config_selectorIlEEZZNS1_9scan_implILNS1_25lookback_scan_determinismE0ELb0ELb0ES3_PlS8_lN6thrust23THRUST_200600_302600_NS4plusIvEElEEDaPvRmT3_T4_T5_mT6_P12ihipStream_tbENKUlT_T0_E_clISt17integral_constantIbLb1EESQ_EEDaSL_SM_EUlSL_E0_NS1_11comp_targetILNS1_3genE3ELNS1_11target_archE908ELNS1_3gpuE7ELNS1_3repE0EEENS1_30default_config_static_selectorELNS0_4arch9wavefront6targetE0EEEvT1_
    .private_segment_fixed_size: 0
    .sgpr_count:     0
    .sgpr_spill_count: 0
    .symbol:         _ZN7rocprim17ROCPRIM_400000_NS6detail17trampoline_kernelINS0_14default_configENS1_20scan_config_selectorIlEEZZNS1_9scan_implILNS1_25lookback_scan_determinismE0ELb0ELb0ES3_PlS8_lN6thrust23THRUST_200600_302600_NS4plusIvEElEEDaPvRmT3_T4_T5_mT6_P12ihipStream_tbENKUlT_T0_E_clISt17integral_constantIbLb1EESQ_EEDaSL_SM_EUlSL_E0_NS1_11comp_targetILNS1_3genE3ELNS1_11target_archE908ELNS1_3gpuE7ELNS1_3repE0EEENS1_30default_config_static_selectorELNS0_4arch9wavefront6targetE0EEEvT1_.kd
    .uniform_work_group_size: 1
    .uses_dynamic_stack: false
    .vgpr_count:     0
    .vgpr_spill_count: 0
    .wavefront_size: 32
  - .args:
      - .offset:         0
        .size:           40
        .value_kind:     by_value
    .group_segment_fixed_size: 0
    .kernarg_segment_align: 8
    .kernarg_segment_size: 40
    .language:       OpenCL C
    .language_version:
      - 2
      - 0
    .max_flat_workgroup_size: 64
    .name:           _ZN7rocprim17ROCPRIM_400000_NS6detail17trampoline_kernelINS0_14default_configENS1_20scan_config_selectorIlEEZZNS1_9scan_implILNS1_25lookback_scan_determinismE0ELb0ELb0ES3_PlS8_lN6thrust23THRUST_200600_302600_NS4plusIvEElEEDaPvRmT3_T4_T5_mT6_P12ihipStream_tbENKUlT_T0_E_clISt17integral_constantIbLb1EESQ_EEDaSL_SM_EUlSL_E0_NS1_11comp_targetILNS1_3genE2ELNS1_11target_archE906ELNS1_3gpuE6ELNS1_3repE0EEENS1_30default_config_static_selectorELNS0_4arch9wavefront6targetE0EEEvT1_
    .private_segment_fixed_size: 0
    .sgpr_count:     0
    .sgpr_spill_count: 0
    .symbol:         _ZN7rocprim17ROCPRIM_400000_NS6detail17trampoline_kernelINS0_14default_configENS1_20scan_config_selectorIlEEZZNS1_9scan_implILNS1_25lookback_scan_determinismE0ELb0ELb0ES3_PlS8_lN6thrust23THRUST_200600_302600_NS4plusIvEElEEDaPvRmT3_T4_T5_mT6_P12ihipStream_tbENKUlT_T0_E_clISt17integral_constantIbLb1EESQ_EEDaSL_SM_EUlSL_E0_NS1_11comp_targetILNS1_3genE2ELNS1_11target_archE906ELNS1_3gpuE6ELNS1_3repE0EEENS1_30default_config_static_selectorELNS0_4arch9wavefront6targetE0EEEvT1_.kd
    .uniform_work_group_size: 1
    .uses_dynamic_stack: false
    .vgpr_count:     0
    .vgpr_spill_count: 0
    .wavefront_size: 32
  - .args:
      - .offset:         0
        .size:           40
        .value_kind:     by_value
    .group_segment_fixed_size: 0
    .kernarg_segment_align: 8
    .kernarg_segment_size: 40
    .language:       OpenCL C
    .language_version:
      - 2
      - 0
    .max_flat_workgroup_size: 256
    .name:           _ZN7rocprim17ROCPRIM_400000_NS6detail17trampoline_kernelINS0_14default_configENS1_20scan_config_selectorIlEEZZNS1_9scan_implILNS1_25lookback_scan_determinismE0ELb0ELb0ES3_PlS8_lN6thrust23THRUST_200600_302600_NS4plusIvEElEEDaPvRmT3_T4_T5_mT6_P12ihipStream_tbENKUlT_T0_E_clISt17integral_constantIbLb1EESQ_EEDaSL_SM_EUlSL_E0_NS1_11comp_targetILNS1_3genE10ELNS1_11target_archE1201ELNS1_3gpuE5ELNS1_3repE0EEENS1_30default_config_static_selectorELNS0_4arch9wavefront6targetE0EEEvT1_
    .private_segment_fixed_size: 0
    .sgpr_count:     0
    .sgpr_spill_count: 0
    .symbol:         _ZN7rocprim17ROCPRIM_400000_NS6detail17trampoline_kernelINS0_14default_configENS1_20scan_config_selectorIlEEZZNS1_9scan_implILNS1_25lookback_scan_determinismE0ELb0ELb0ES3_PlS8_lN6thrust23THRUST_200600_302600_NS4plusIvEElEEDaPvRmT3_T4_T5_mT6_P12ihipStream_tbENKUlT_T0_E_clISt17integral_constantIbLb1EESQ_EEDaSL_SM_EUlSL_E0_NS1_11comp_targetILNS1_3genE10ELNS1_11target_archE1201ELNS1_3gpuE5ELNS1_3repE0EEENS1_30default_config_static_selectorELNS0_4arch9wavefront6targetE0EEEvT1_.kd
    .uniform_work_group_size: 1
    .uses_dynamic_stack: false
    .vgpr_count:     0
    .vgpr_spill_count: 0
    .wavefront_size: 32
  - .args:
      - .offset:         0
        .size:           40
        .value_kind:     by_value
    .group_segment_fixed_size: 0
    .kernarg_segment_align: 8
    .kernarg_segment_size: 40
    .language:       OpenCL C
    .language_version:
      - 2
      - 0
    .max_flat_workgroup_size: 256
    .name:           _ZN7rocprim17ROCPRIM_400000_NS6detail17trampoline_kernelINS0_14default_configENS1_20scan_config_selectorIlEEZZNS1_9scan_implILNS1_25lookback_scan_determinismE0ELb0ELb0ES3_PlS8_lN6thrust23THRUST_200600_302600_NS4plusIvEElEEDaPvRmT3_T4_T5_mT6_P12ihipStream_tbENKUlT_T0_E_clISt17integral_constantIbLb1EESQ_EEDaSL_SM_EUlSL_E0_NS1_11comp_targetILNS1_3genE10ELNS1_11target_archE1200ELNS1_3gpuE4ELNS1_3repE0EEENS1_30default_config_static_selectorELNS0_4arch9wavefront6targetE0EEEvT1_
    .private_segment_fixed_size: 0
    .sgpr_count:     0
    .sgpr_spill_count: 0
    .symbol:         _ZN7rocprim17ROCPRIM_400000_NS6detail17trampoline_kernelINS0_14default_configENS1_20scan_config_selectorIlEEZZNS1_9scan_implILNS1_25lookback_scan_determinismE0ELb0ELb0ES3_PlS8_lN6thrust23THRUST_200600_302600_NS4plusIvEElEEDaPvRmT3_T4_T5_mT6_P12ihipStream_tbENKUlT_T0_E_clISt17integral_constantIbLb1EESQ_EEDaSL_SM_EUlSL_E0_NS1_11comp_targetILNS1_3genE10ELNS1_11target_archE1200ELNS1_3gpuE4ELNS1_3repE0EEENS1_30default_config_static_selectorELNS0_4arch9wavefront6targetE0EEEvT1_.kd
    .uniform_work_group_size: 1
    .uses_dynamic_stack: false
    .vgpr_count:     0
    .vgpr_spill_count: 0
    .wavefront_size: 32
  - .args:
      - .offset:         0
        .size:           40
        .value_kind:     by_value
    .group_segment_fixed_size: 0
    .kernarg_segment_align: 8
    .kernarg_segment_size: 40
    .language:       OpenCL C
    .language_version:
      - 2
      - 0
    .max_flat_workgroup_size: 256
    .name:           _ZN7rocprim17ROCPRIM_400000_NS6detail17trampoline_kernelINS0_14default_configENS1_20scan_config_selectorIlEEZZNS1_9scan_implILNS1_25lookback_scan_determinismE0ELb0ELb0ES3_PlS8_lN6thrust23THRUST_200600_302600_NS4plusIvEElEEDaPvRmT3_T4_T5_mT6_P12ihipStream_tbENKUlT_T0_E_clISt17integral_constantIbLb1EESQ_EEDaSL_SM_EUlSL_E0_NS1_11comp_targetILNS1_3genE9ELNS1_11target_archE1100ELNS1_3gpuE3ELNS1_3repE0EEENS1_30default_config_static_selectorELNS0_4arch9wavefront6targetE0EEEvT1_
    .private_segment_fixed_size: 0
    .sgpr_count:     0
    .sgpr_spill_count: 0
    .symbol:         _ZN7rocprim17ROCPRIM_400000_NS6detail17trampoline_kernelINS0_14default_configENS1_20scan_config_selectorIlEEZZNS1_9scan_implILNS1_25lookback_scan_determinismE0ELb0ELb0ES3_PlS8_lN6thrust23THRUST_200600_302600_NS4plusIvEElEEDaPvRmT3_T4_T5_mT6_P12ihipStream_tbENKUlT_T0_E_clISt17integral_constantIbLb1EESQ_EEDaSL_SM_EUlSL_E0_NS1_11comp_targetILNS1_3genE9ELNS1_11target_archE1100ELNS1_3gpuE3ELNS1_3repE0EEENS1_30default_config_static_selectorELNS0_4arch9wavefront6targetE0EEEvT1_.kd
    .uniform_work_group_size: 1
    .uses_dynamic_stack: false
    .vgpr_count:     0
    .vgpr_spill_count: 0
    .wavefront_size: 32
  - .args:
      - .offset:         0
        .size:           40
        .value_kind:     by_value
    .group_segment_fixed_size: 0
    .kernarg_segment_align: 8
    .kernarg_segment_size: 40
    .language:       OpenCL C
    .language_version:
      - 2
      - 0
    .max_flat_workgroup_size: 256
    .name:           _ZN7rocprim17ROCPRIM_400000_NS6detail17trampoline_kernelINS0_14default_configENS1_20scan_config_selectorIlEEZZNS1_9scan_implILNS1_25lookback_scan_determinismE0ELb0ELb0ES3_PlS8_lN6thrust23THRUST_200600_302600_NS4plusIvEElEEDaPvRmT3_T4_T5_mT6_P12ihipStream_tbENKUlT_T0_E_clISt17integral_constantIbLb1EESQ_EEDaSL_SM_EUlSL_E0_NS1_11comp_targetILNS1_3genE8ELNS1_11target_archE1030ELNS1_3gpuE2ELNS1_3repE0EEENS1_30default_config_static_selectorELNS0_4arch9wavefront6targetE0EEEvT1_
    .private_segment_fixed_size: 0
    .sgpr_count:     0
    .sgpr_spill_count: 0
    .symbol:         _ZN7rocprim17ROCPRIM_400000_NS6detail17trampoline_kernelINS0_14default_configENS1_20scan_config_selectorIlEEZZNS1_9scan_implILNS1_25lookback_scan_determinismE0ELb0ELb0ES3_PlS8_lN6thrust23THRUST_200600_302600_NS4plusIvEElEEDaPvRmT3_T4_T5_mT6_P12ihipStream_tbENKUlT_T0_E_clISt17integral_constantIbLb1EESQ_EEDaSL_SM_EUlSL_E0_NS1_11comp_targetILNS1_3genE8ELNS1_11target_archE1030ELNS1_3gpuE2ELNS1_3repE0EEENS1_30default_config_static_selectorELNS0_4arch9wavefront6targetE0EEEvT1_.kd
    .uniform_work_group_size: 1
    .uses_dynamic_stack: false
    .vgpr_count:     0
    .vgpr_spill_count: 0
    .wavefront_size: 32
  - .args:
      - .address_space:  global
        .offset:         0
        .size:           8
        .value_kind:     global_buffer
      - .offset:         8
        .size:           4
        .value_kind:     by_value
      - .offset:         12
        .size:           1
        .value_kind:     by_value
      - .offset:         16
        .size:           4
        .value_kind:     by_value
      - .address_space:  global
        .offset:         24
        .size:           8
        .value_kind:     global_buffer
      - .offset:         32
        .size:           4
        .value_kind:     hidden_block_count_x
      - .offset:         36
        .size:           4
        .value_kind:     hidden_block_count_y
      - .offset:         40
        .size:           4
        .value_kind:     hidden_block_count_z
      - .offset:         44
        .size:           2
        .value_kind:     hidden_group_size_x
      - .offset:         46
        .size:           2
        .value_kind:     hidden_group_size_y
      - .offset:         48
        .size:           2
        .value_kind:     hidden_group_size_z
      - .offset:         50
        .size:           2
        .value_kind:     hidden_remainder_x
      - .offset:         52
        .size:           2
        .value_kind:     hidden_remainder_y
      - .offset:         54
        .size:           2
        .value_kind:     hidden_remainder_z
      - .offset:         72
        .size:           8
        .value_kind:     hidden_global_offset_x
      - .offset:         80
        .size:           8
        .value_kind:     hidden_global_offset_y
      - .offset:         88
        .size:           8
        .value_kind:     hidden_global_offset_z
      - .offset:         96
        .size:           2
        .value_kind:     hidden_grid_dims
    .group_segment_fixed_size: 0
    .kernarg_segment_align: 8
    .kernarg_segment_size: 288
    .language:       OpenCL C
    .language_version:
      - 2
      - 0
    .max_flat_workgroup_size: 256
    .name:           _ZN7rocprim17ROCPRIM_400000_NS6detail31init_lookback_scan_state_kernelINS1_19lookback_scan_stateIlLb1ELb1EEENS1_16block_id_wrapperIjLb0EEEEEvT_jT0_jPNS7_10value_typeE
    .private_segment_fixed_size: 0
    .sgpr_count:     13
    .sgpr_spill_count: 0
    .symbol:         _ZN7rocprim17ROCPRIM_400000_NS6detail31init_lookback_scan_state_kernelINS1_19lookback_scan_stateIlLb1ELb1EEENS1_16block_id_wrapperIjLb0EEEEEvT_jT0_jPNS7_10value_typeE.kd
    .uniform_work_group_size: 1
    .uses_dynamic_stack: false
    .vgpr_count:     9
    .vgpr_spill_count: 0
    .wavefront_size: 32
  - .args:
      - .offset:         0
        .size:           104
        .value_kind:     by_value
    .group_segment_fixed_size: 0
    .kernarg_segment_align: 8
    .kernarg_segment_size: 104
    .language:       OpenCL C
    .language_version:
      - 2
      - 0
    .max_flat_workgroup_size: 256
    .name:           _ZN7rocprim17ROCPRIM_400000_NS6detail17trampoline_kernelINS0_14default_configENS1_20scan_config_selectorIlEEZZNS1_9scan_implILNS1_25lookback_scan_determinismE0ELb0ELb0ES3_PlS8_lN6thrust23THRUST_200600_302600_NS4plusIvEElEEDaPvRmT3_T4_T5_mT6_P12ihipStream_tbENKUlT_T0_E_clISt17integral_constantIbLb1EESP_IbLb0EEEEDaSL_SM_EUlSL_E_NS1_11comp_targetILNS1_3genE0ELNS1_11target_archE4294967295ELNS1_3gpuE0ELNS1_3repE0EEENS1_30default_config_static_selectorELNS0_4arch9wavefront6targetE0EEEvT1_
    .private_segment_fixed_size: 0
    .sgpr_count:     0
    .sgpr_spill_count: 0
    .symbol:         _ZN7rocprim17ROCPRIM_400000_NS6detail17trampoline_kernelINS0_14default_configENS1_20scan_config_selectorIlEEZZNS1_9scan_implILNS1_25lookback_scan_determinismE0ELb0ELb0ES3_PlS8_lN6thrust23THRUST_200600_302600_NS4plusIvEElEEDaPvRmT3_T4_T5_mT6_P12ihipStream_tbENKUlT_T0_E_clISt17integral_constantIbLb1EESP_IbLb0EEEEDaSL_SM_EUlSL_E_NS1_11comp_targetILNS1_3genE0ELNS1_11target_archE4294967295ELNS1_3gpuE0ELNS1_3repE0EEENS1_30default_config_static_selectorELNS0_4arch9wavefront6targetE0EEEvT1_.kd
    .uniform_work_group_size: 1
    .uses_dynamic_stack: false
    .vgpr_count:     0
    .vgpr_spill_count: 0
    .wavefront_size: 32
  - .args:
      - .offset:         0
        .size:           104
        .value_kind:     by_value
    .group_segment_fixed_size: 0
    .kernarg_segment_align: 8
    .kernarg_segment_size: 104
    .language:       OpenCL C
    .language_version:
      - 2
      - 0
    .max_flat_workgroup_size: 256
    .name:           _ZN7rocprim17ROCPRIM_400000_NS6detail17trampoline_kernelINS0_14default_configENS1_20scan_config_selectorIlEEZZNS1_9scan_implILNS1_25lookback_scan_determinismE0ELb0ELb0ES3_PlS8_lN6thrust23THRUST_200600_302600_NS4plusIvEElEEDaPvRmT3_T4_T5_mT6_P12ihipStream_tbENKUlT_T0_E_clISt17integral_constantIbLb1EESP_IbLb0EEEEDaSL_SM_EUlSL_E_NS1_11comp_targetILNS1_3genE5ELNS1_11target_archE942ELNS1_3gpuE9ELNS1_3repE0EEENS1_30default_config_static_selectorELNS0_4arch9wavefront6targetE0EEEvT1_
    .private_segment_fixed_size: 0
    .sgpr_count:     0
    .sgpr_spill_count: 0
    .symbol:         _ZN7rocprim17ROCPRIM_400000_NS6detail17trampoline_kernelINS0_14default_configENS1_20scan_config_selectorIlEEZZNS1_9scan_implILNS1_25lookback_scan_determinismE0ELb0ELb0ES3_PlS8_lN6thrust23THRUST_200600_302600_NS4plusIvEElEEDaPvRmT3_T4_T5_mT6_P12ihipStream_tbENKUlT_T0_E_clISt17integral_constantIbLb1EESP_IbLb0EEEEDaSL_SM_EUlSL_E_NS1_11comp_targetILNS1_3genE5ELNS1_11target_archE942ELNS1_3gpuE9ELNS1_3repE0EEENS1_30default_config_static_selectorELNS0_4arch9wavefront6targetE0EEEvT1_.kd
    .uniform_work_group_size: 1
    .uses_dynamic_stack: false
    .vgpr_count:     0
    .vgpr_spill_count: 0
    .wavefront_size: 32
  - .args:
      - .offset:         0
        .size:           104
        .value_kind:     by_value
    .group_segment_fixed_size: 0
    .kernarg_segment_align: 8
    .kernarg_segment_size: 104
    .language:       OpenCL C
    .language_version:
      - 2
      - 0
    .max_flat_workgroup_size: 128
    .name:           _ZN7rocprim17ROCPRIM_400000_NS6detail17trampoline_kernelINS0_14default_configENS1_20scan_config_selectorIlEEZZNS1_9scan_implILNS1_25lookback_scan_determinismE0ELb0ELb0ES3_PlS8_lN6thrust23THRUST_200600_302600_NS4plusIvEElEEDaPvRmT3_T4_T5_mT6_P12ihipStream_tbENKUlT_T0_E_clISt17integral_constantIbLb1EESP_IbLb0EEEEDaSL_SM_EUlSL_E_NS1_11comp_targetILNS1_3genE4ELNS1_11target_archE910ELNS1_3gpuE8ELNS1_3repE0EEENS1_30default_config_static_selectorELNS0_4arch9wavefront6targetE0EEEvT1_
    .private_segment_fixed_size: 0
    .sgpr_count:     0
    .sgpr_spill_count: 0
    .symbol:         _ZN7rocprim17ROCPRIM_400000_NS6detail17trampoline_kernelINS0_14default_configENS1_20scan_config_selectorIlEEZZNS1_9scan_implILNS1_25lookback_scan_determinismE0ELb0ELb0ES3_PlS8_lN6thrust23THRUST_200600_302600_NS4plusIvEElEEDaPvRmT3_T4_T5_mT6_P12ihipStream_tbENKUlT_T0_E_clISt17integral_constantIbLb1EESP_IbLb0EEEEDaSL_SM_EUlSL_E_NS1_11comp_targetILNS1_3genE4ELNS1_11target_archE910ELNS1_3gpuE8ELNS1_3repE0EEENS1_30default_config_static_selectorELNS0_4arch9wavefront6targetE0EEEvT1_.kd
    .uniform_work_group_size: 1
    .uses_dynamic_stack: false
    .vgpr_count:     0
    .vgpr_spill_count: 0
    .wavefront_size: 32
  - .args:
      - .offset:         0
        .size:           104
        .value_kind:     by_value
    .group_segment_fixed_size: 0
    .kernarg_segment_align: 8
    .kernarg_segment_size: 104
    .language:       OpenCL C
    .language_version:
      - 2
      - 0
    .max_flat_workgroup_size: 256
    .name:           _ZN7rocprim17ROCPRIM_400000_NS6detail17trampoline_kernelINS0_14default_configENS1_20scan_config_selectorIlEEZZNS1_9scan_implILNS1_25lookback_scan_determinismE0ELb0ELb0ES3_PlS8_lN6thrust23THRUST_200600_302600_NS4plusIvEElEEDaPvRmT3_T4_T5_mT6_P12ihipStream_tbENKUlT_T0_E_clISt17integral_constantIbLb1EESP_IbLb0EEEEDaSL_SM_EUlSL_E_NS1_11comp_targetILNS1_3genE3ELNS1_11target_archE908ELNS1_3gpuE7ELNS1_3repE0EEENS1_30default_config_static_selectorELNS0_4arch9wavefront6targetE0EEEvT1_
    .private_segment_fixed_size: 0
    .sgpr_count:     0
    .sgpr_spill_count: 0
    .symbol:         _ZN7rocprim17ROCPRIM_400000_NS6detail17trampoline_kernelINS0_14default_configENS1_20scan_config_selectorIlEEZZNS1_9scan_implILNS1_25lookback_scan_determinismE0ELb0ELb0ES3_PlS8_lN6thrust23THRUST_200600_302600_NS4plusIvEElEEDaPvRmT3_T4_T5_mT6_P12ihipStream_tbENKUlT_T0_E_clISt17integral_constantIbLb1EESP_IbLb0EEEEDaSL_SM_EUlSL_E_NS1_11comp_targetILNS1_3genE3ELNS1_11target_archE908ELNS1_3gpuE7ELNS1_3repE0EEENS1_30default_config_static_selectorELNS0_4arch9wavefront6targetE0EEEvT1_.kd
    .uniform_work_group_size: 1
    .uses_dynamic_stack: false
    .vgpr_count:     0
    .vgpr_spill_count: 0
    .wavefront_size: 32
  - .args:
      - .offset:         0
        .size:           104
        .value_kind:     by_value
    .group_segment_fixed_size: 0
    .kernarg_segment_align: 8
    .kernarg_segment_size: 104
    .language:       OpenCL C
    .language_version:
      - 2
      - 0
    .max_flat_workgroup_size: 64
    .name:           _ZN7rocprim17ROCPRIM_400000_NS6detail17trampoline_kernelINS0_14default_configENS1_20scan_config_selectorIlEEZZNS1_9scan_implILNS1_25lookback_scan_determinismE0ELb0ELb0ES3_PlS8_lN6thrust23THRUST_200600_302600_NS4plusIvEElEEDaPvRmT3_T4_T5_mT6_P12ihipStream_tbENKUlT_T0_E_clISt17integral_constantIbLb1EESP_IbLb0EEEEDaSL_SM_EUlSL_E_NS1_11comp_targetILNS1_3genE2ELNS1_11target_archE906ELNS1_3gpuE6ELNS1_3repE0EEENS1_30default_config_static_selectorELNS0_4arch9wavefront6targetE0EEEvT1_
    .private_segment_fixed_size: 0
    .sgpr_count:     0
    .sgpr_spill_count: 0
    .symbol:         _ZN7rocprim17ROCPRIM_400000_NS6detail17trampoline_kernelINS0_14default_configENS1_20scan_config_selectorIlEEZZNS1_9scan_implILNS1_25lookback_scan_determinismE0ELb0ELb0ES3_PlS8_lN6thrust23THRUST_200600_302600_NS4plusIvEElEEDaPvRmT3_T4_T5_mT6_P12ihipStream_tbENKUlT_T0_E_clISt17integral_constantIbLb1EESP_IbLb0EEEEDaSL_SM_EUlSL_E_NS1_11comp_targetILNS1_3genE2ELNS1_11target_archE906ELNS1_3gpuE6ELNS1_3repE0EEENS1_30default_config_static_selectorELNS0_4arch9wavefront6targetE0EEEvT1_.kd
    .uniform_work_group_size: 1
    .uses_dynamic_stack: false
    .vgpr_count:     0
    .vgpr_spill_count: 0
    .wavefront_size: 32
  - .args:
      - .offset:         0
        .size:           104
        .value_kind:     by_value
    .group_segment_fixed_size: 0
    .kernarg_segment_align: 8
    .kernarg_segment_size: 104
    .language:       OpenCL C
    .language_version:
      - 2
      - 0
    .max_flat_workgroup_size: 256
    .name:           _ZN7rocprim17ROCPRIM_400000_NS6detail17trampoline_kernelINS0_14default_configENS1_20scan_config_selectorIlEEZZNS1_9scan_implILNS1_25lookback_scan_determinismE0ELb0ELb0ES3_PlS8_lN6thrust23THRUST_200600_302600_NS4plusIvEElEEDaPvRmT3_T4_T5_mT6_P12ihipStream_tbENKUlT_T0_E_clISt17integral_constantIbLb1EESP_IbLb0EEEEDaSL_SM_EUlSL_E_NS1_11comp_targetILNS1_3genE10ELNS1_11target_archE1201ELNS1_3gpuE5ELNS1_3repE0EEENS1_30default_config_static_selectorELNS0_4arch9wavefront6targetE0EEEvT1_
    .private_segment_fixed_size: 0
    .sgpr_count:     0
    .sgpr_spill_count: 0
    .symbol:         _ZN7rocprim17ROCPRIM_400000_NS6detail17trampoline_kernelINS0_14default_configENS1_20scan_config_selectorIlEEZZNS1_9scan_implILNS1_25lookback_scan_determinismE0ELb0ELb0ES3_PlS8_lN6thrust23THRUST_200600_302600_NS4plusIvEElEEDaPvRmT3_T4_T5_mT6_P12ihipStream_tbENKUlT_T0_E_clISt17integral_constantIbLb1EESP_IbLb0EEEEDaSL_SM_EUlSL_E_NS1_11comp_targetILNS1_3genE10ELNS1_11target_archE1201ELNS1_3gpuE5ELNS1_3repE0EEENS1_30default_config_static_selectorELNS0_4arch9wavefront6targetE0EEEvT1_.kd
    .uniform_work_group_size: 1
    .uses_dynamic_stack: false
    .vgpr_count:     0
    .vgpr_spill_count: 0
    .wavefront_size: 32
  - .args:
      - .offset:         0
        .size:           104
        .value_kind:     by_value
    .group_segment_fixed_size: 0
    .kernarg_segment_align: 8
    .kernarg_segment_size: 104
    .language:       OpenCL C
    .language_version:
      - 2
      - 0
    .max_flat_workgroup_size: 256
    .name:           _ZN7rocprim17ROCPRIM_400000_NS6detail17trampoline_kernelINS0_14default_configENS1_20scan_config_selectorIlEEZZNS1_9scan_implILNS1_25lookback_scan_determinismE0ELb0ELb0ES3_PlS8_lN6thrust23THRUST_200600_302600_NS4plusIvEElEEDaPvRmT3_T4_T5_mT6_P12ihipStream_tbENKUlT_T0_E_clISt17integral_constantIbLb1EESP_IbLb0EEEEDaSL_SM_EUlSL_E_NS1_11comp_targetILNS1_3genE10ELNS1_11target_archE1200ELNS1_3gpuE4ELNS1_3repE0EEENS1_30default_config_static_selectorELNS0_4arch9wavefront6targetE0EEEvT1_
    .private_segment_fixed_size: 0
    .sgpr_count:     0
    .sgpr_spill_count: 0
    .symbol:         _ZN7rocprim17ROCPRIM_400000_NS6detail17trampoline_kernelINS0_14default_configENS1_20scan_config_selectorIlEEZZNS1_9scan_implILNS1_25lookback_scan_determinismE0ELb0ELb0ES3_PlS8_lN6thrust23THRUST_200600_302600_NS4plusIvEElEEDaPvRmT3_T4_T5_mT6_P12ihipStream_tbENKUlT_T0_E_clISt17integral_constantIbLb1EESP_IbLb0EEEEDaSL_SM_EUlSL_E_NS1_11comp_targetILNS1_3genE10ELNS1_11target_archE1200ELNS1_3gpuE4ELNS1_3repE0EEENS1_30default_config_static_selectorELNS0_4arch9wavefront6targetE0EEEvT1_.kd
    .uniform_work_group_size: 1
    .uses_dynamic_stack: false
    .vgpr_count:     0
    .vgpr_spill_count: 0
    .wavefront_size: 32
  - .args:
      - .offset:         0
        .size:           104
        .value_kind:     by_value
    .group_segment_fixed_size: 0
    .kernarg_segment_align: 8
    .kernarg_segment_size: 104
    .language:       OpenCL C
    .language_version:
      - 2
      - 0
    .max_flat_workgroup_size: 256
    .name:           _ZN7rocprim17ROCPRIM_400000_NS6detail17trampoline_kernelINS0_14default_configENS1_20scan_config_selectorIlEEZZNS1_9scan_implILNS1_25lookback_scan_determinismE0ELb0ELb0ES3_PlS8_lN6thrust23THRUST_200600_302600_NS4plusIvEElEEDaPvRmT3_T4_T5_mT6_P12ihipStream_tbENKUlT_T0_E_clISt17integral_constantIbLb1EESP_IbLb0EEEEDaSL_SM_EUlSL_E_NS1_11comp_targetILNS1_3genE9ELNS1_11target_archE1100ELNS1_3gpuE3ELNS1_3repE0EEENS1_30default_config_static_selectorELNS0_4arch9wavefront6targetE0EEEvT1_
    .private_segment_fixed_size: 0
    .sgpr_count:     0
    .sgpr_spill_count: 0
    .symbol:         _ZN7rocprim17ROCPRIM_400000_NS6detail17trampoline_kernelINS0_14default_configENS1_20scan_config_selectorIlEEZZNS1_9scan_implILNS1_25lookback_scan_determinismE0ELb0ELb0ES3_PlS8_lN6thrust23THRUST_200600_302600_NS4plusIvEElEEDaPvRmT3_T4_T5_mT6_P12ihipStream_tbENKUlT_T0_E_clISt17integral_constantIbLb1EESP_IbLb0EEEEDaSL_SM_EUlSL_E_NS1_11comp_targetILNS1_3genE9ELNS1_11target_archE1100ELNS1_3gpuE3ELNS1_3repE0EEENS1_30default_config_static_selectorELNS0_4arch9wavefront6targetE0EEEvT1_.kd
    .uniform_work_group_size: 1
    .uses_dynamic_stack: false
    .vgpr_count:     0
    .vgpr_spill_count: 0
    .wavefront_size: 32
  - .args:
      - .offset:         0
        .size:           104
        .value_kind:     by_value
    .group_segment_fixed_size: 0
    .kernarg_segment_align: 8
    .kernarg_segment_size: 104
    .language:       OpenCL C
    .language_version:
      - 2
      - 0
    .max_flat_workgroup_size: 256
    .name:           _ZN7rocprim17ROCPRIM_400000_NS6detail17trampoline_kernelINS0_14default_configENS1_20scan_config_selectorIlEEZZNS1_9scan_implILNS1_25lookback_scan_determinismE0ELb0ELb0ES3_PlS8_lN6thrust23THRUST_200600_302600_NS4plusIvEElEEDaPvRmT3_T4_T5_mT6_P12ihipStream_tbENKUlT_T0_E_clISt17integral_constantIbLb1EESP_IbLb0EEEEDaSL_SM_EUlSL_E_NS1_11comp_targetILNS1_3genE8ELNS1_11target_archE1030ELNS1_3gpuE2ELNS1_3repE0EEENS1_30default_config_static_selectorELNS0_4arch9wavefront6targetE0EEEvT1_
    .private_segment_fixed_size: 0
    .sgpr_count:     0
    .sgpr_spill_count: 0
    .symbol:         _ZN7rocprim17ROCPRIM_400000_NS6detail17trampoline_kernelINS0_14default_configENS1_20scan_config_selectorIlEEZZNS1_9scan_implILNS1_25lookback_scan_determinismE0ELb0ELb0ES3_PlS8_lN6thrust23THRUST_200600_302600_NS4plusIvEElEEDaPvRmT3_T4_T5_mT6_P12ihipStream_tbENKUlT_T0_E_clISt17integral_constantIbLb1EESP_IbLb0EEEEDaSL_SM_EUlSL_E_NS1_11comp_targetILNS1_3genE8ELNS1_11target_archE1030ELNS1_3gpuE2ELNS1_3repE0EEENS1_30default_config_static_selectorELNS0_4arch9wavefront6targetE0EEEvT1_.kd
    .uniform_work_group_size: 1
    .uses_dynamic_stack: false
    .vgpr_count:     0
    .vgpr_spill_count: 0
    .wavefront_size: 32
  - .args:
      - .offset:         0
        .size:           40
        .value_kind:     by_value
    .group_segment_fixed_size: 12288
    .kernarg_segment_align: 8
    .kernarg_segment_size: 40
    .language:       OpenCL C
    .language_version:
      - 2
      - 0
    .max_flat_workgroup_size: 256
    .name:           _ZN7rocprim17ROCPRIM_400000_NS6detail17trampoline_kernelINS0_14default_configENS1_20scan_config_selectorIlEEZZNS1_9scan_implILNS1_25lookback_scan_determinismE0ELb0ELb0ES3_PlS8_lN6thrust23THRUST_200600_302600_NS4plusIvEElEEDaPvRmT3_T4_T5_mT6_P12ihipStream_tbENKUlT_T0_E_clISt17integral_constantIbLb1EESP_IbLb0EEEEDaSL_SM_EUlSL_E0_NS1_11comp_targetILNS1_3genE0ELNS1_11target_archE4294967295ELNS1_3gpuE0ELNS1_3repE0EEENS1_30default_config_static_selectorELNS0_4arch9wavefront6targetE0EEEvT1_
    .private_segment_fixed_size: 0
    .sgpr_count:     16
    .sgpr_spill_count: 0
    .symbol:         _ZN7rocprim17ROCPRIM_400000_NS6detail17trampoline_kernelINS0_14default_configENS1_20scan_config_selectorIlEEZZNS1_9scan_implILNS1_25lookback_scan_determinismE0ELb0ELb0ES3_PlS8_lN6thrust23THRUST_200600_302600_NS4plusIvEElEEDaPvRmT3_T4_T5_mT6_P12ihipStream_tbENKUlT_T0_E_clISt17integral_constantIbLb1EESP_IbLb0EEEEDaSL_SM_EUlSL_E0_NS1_11comp_targetILNS1_3genE0ELNS1_11target_archE4294967295ELNS1_3gpuE0ELNS1_3repE0EEENS1_30default_config_static_selectorELNS0_4arch9wavefront6targetE0EEEvT1_.kd
    .uniform_work_group_size: 1
    .uses_dynamic_stack: false
    .vgpr_count:     37
    .vgpr_spill_count: 0
    .wavefront_size: 32
  - .args:
      - .offset:         0
        .size:           40
        .value_kind:     by_value
    .group_segment_fixed_size: 0
    .kernarg_segment_align: 8
    .kernarg_segment_size: 40
    .language:       OpenCL C
    .language_version:
      - 2
      - 0
    .max_flat_workgroup_size: 256
    .name:           _ZN7rocprim17ROCPRIM_400000_NS6detail17trampoline_kernelINS0_14default_configENS1_20scan_config_selectorIlEEZZNS1_9scan_implILNS1_25lookback_scan_determinismE0ELb0ELb0ES3_PlS8_lN6thrust23THRUST_200600_302600_NS4plusIvEElEEDaPvRmT3_T4_T5_mT6_P12ihipStream_tbENKUlT_T0_E_clISt17integral_constantIbLb1EESP_IbLb0EEEEDaSL_SM_EUlSL_E0_NS1_11comp_targetILNS1_3genE5ELNS1_11target_archE942ELNS1_3gpuE9ELNS1_3repE0EEENS1_30default_config_static_selectorELNS0_4arch9wavefront6targetE0EEEvT1_
    .private_segment_fixed_size: 0
    .sgpr_count:     0
    .sgpr_spill_count: 0
    .symbol:         _ZN7rocprim17ROCPRIM_400000_NS6detail17trampoline_kernelINS0_14default_configENS1_20scan_config_selectorIlEEZZNS1_9scan_implILNS1_25lookback_scan_determinismE0ELb0ELb0ES3_PlS8_lN6thrust23THRUST_200600_302600_NS4plusIvEElEEDaPvRmT3_T4_T5_mT6_P12ihipStream_tbENKUlT_T0_E_clISt17integral_constantIbLb1EESP_IbLb0EEEEDaSL_SM_EUlSL_E0_NS1_11comp_targetILNS1_3genE5ELNS1_11target_archE942ELNS1_3gpuE9ELNS1_3repE0EEENS1_30default_config_static_selectorELNS0_4arch9wavefront6targetE0EEEvT1_.kd
    .uniform_work_group_size: 1
    .uses_dynamic_stack: false
    .vgpr_count:     0
    .vgpr_spill_count: 0
    .wavefront_size: 32
  - .args:
      - .offset:         0
        .size:           40
        .value_kind:     by_value
    .group_segment_fixed_size: 0
    .kernarg_segment_align: 8
    .kernarg_segment_size: 40
    .language:       OpenCL C
    .language_version:
      - 2
      - 0
    .max_flat_workgroup_size: 128
    .name:           _ZN7rocprim17ROCPRIM_400000_NS6detail17trampoline_kernelINS0_14default_configENS1_20scan_config_selectorIlEEZZNS1_9scan_implILNS1_25lookback_scan_determinismE0ELb0ELb0ES3_PlS8_lN6thrust23THRUST_200600_302600_NS4plusIvEElEEDaPvRmT3_T4_T5_mT6_P12ihipStream_tbENKUlT_T0_E_clISt17integral_constantIbLb1EESP_IbLb0EEEEDaSL_SM_EUlSL_E0_NS1_11comp_targetILNS1_3genE4ELNS1_11target_archE910ELNS1_3gpuE8ELNS1_3repE0EEENS1_30default_config_static_selectorELNS0_4arch9wavefront6targetE0EEEvT1_
    .private_segment_fixed_size: 0
    .sgpr_count:     0
    .sgpr_spill_count: 0
    .symbol:         _ZN7rocprim17ROCPRIM_400000_NS6detail17trampoline_kernelINS0_14default_configENS1_20scan_config_selectorIlEEZZNS1_9scan_implILNS1_25lookback_scan_determinismE0ELb0ELb0ES3_PlS8_lN6thrust23THRUST_200600_302600_NS4plusIvEElEEDaPvRmT3_T4_T5_mT6_P12ihipStream_tbENKUlT_T0_E_clISt17integral_constantIbLb1EESP_IbLb0EEEEDaSL_SM_EUlSL_E0_NS1_11comp_targetILNS1_3genE4ELNS1_11target_archE910ELNS1_3gpuE8ELNS1_3repE0EEENS1_30default_config_static_selectorELNS0_4arch9wavefront6targetE0EEEvT1_.kd
    .uniform_work_group_size: 1
    .uses_dynamic_stack: false
    .vgpr_count:     0
    .vgpr_spill_count: 0
    .wavefront_size: 32
  - .args:
      - .offset:         0
        .size:           40
        .value_kind:     by_value
    .group_segment_fixed_size: 0
    .kernarg_segment_align: 8
    .kernarg_segment_size: 40
    .language:       OpenCL C
    .language_version:
      - 2
      - 0
    .max_flat_workgroup_size: 256
    .name:           _ZN7rocprim17ROCPRIM_400000_NS6detail17trampoline_kernelINS0_14default_configENS1_20scan_config_selectorIlEEZZNS1_9scan_implILNS1_25lookback_scan_determinismE0ELb0ELb0ES3_PlS8_lN6thrust23THRUST_200600_302600_NS4plusIvEElEEDaPvRmT3_T4_T5_mT6_P12ihipStream_tbENKUlT_T0_E_clISt17integral_constantIbLb1EESP_IbLb0EEEEDaSL_SM_EUlSL_E0_NS1_11comp_targetILNS1_3genE3ELNS1_11target_archE908ELNS1_3gpuE7ELNS1_3repE0EEENS1_30default_config_static_selectorELNS0_4arch9wavefront6targetE0EEEvT1_
    .private_segment_fixed_size: 0
    .sgpr_count:     0
    .sgpr_spill_count: 0
    .symbol:         _ZN7rocprim17ROCPRIM_400000_NS6detail17trampoline_kernelINS0_14default_configENS1_20scan_config_selectorIlEEZZNS1_9scan_implILNS1_25lookback_scan_determinismE0ELb0ELb0ES3_PlS8_lN6thrust23THRUST_200600_302600_NS4plusIvEElEEDaPvRmT3_T4_T5_mT6_P12ihipStream_tbENKUlT_T0_E_clISt17integral_constantIbLb1EESP_IbLb0EEEEDaSL_SM_EUlSL_E0_NS1_11comp_targetILNS1_3genE3ELNS1_11target_archE908ELNS1_3gpuE7ELNS1_3repE0EEENS1_30default_config_static_selectorELNS0_4arch9wavefront6targetE0EEEvT1_.kd
    .uniform_work_group_size: 1
    .uses_dynamic_stack: false
    .vgpr_count:     0
    .vgpr_spill_count: 0
    .wavefront_size: 32
  - .args:
      - .offset:         0
        .size:           40
        .value_kind:     by_value
    .group_segment_fixed_size: 0
    .kernarg_segment_align: 8
    .kernarg_segment_size: 40
    .language:       OpenCL C
    .language_version:
      - 2
      - 0
    .max_flat_workgroup_size: 64
    .name:           _ZN7rocprim17ROCPRIM_400000_NS6detail17trampoline_kernelINS0_14default_configENS1_20scan_config_selectorIlEEZZNS1_9scan_implILNS1_25lookback_scan_determinismE0ELb0ELb0ES3_PlS8_lN6thrust23THRUST_200600_302600_NS4plusIvEElEEDaPvRmT3_T4_T5_mT6_P12ihipStream_tbENKUlT_T0_E_clISt17integral_constantIbLb1EESP_IbLb0EEEEDaSL_SM_EUlSL_E0_NS1_11comp_targetILNS1_3genE2ELNS1_11target_archE906ELNS1_3gpuE6ELNS1_3repE0EEENS1_30default_config_static_selectorELNS0_4arch9wavefront6targetE0EEEvT1_
    .private_segment_fixed_size: 0
    .sgpr_count:     0
    .sgpr_spill_count: 0
    .symbol:         _ZN7rocprim17ROCPRIM_400000_NS6detail17trampoline_kernelINS0_14default_configENS1_20scan_config_selectorIlEEZZNS1_9scan_implILNS1_25lookback_scan_determinismE0ELb0ELb0ES3_PlS8_lN6thrust23THRUST_200600_302600_NS4plusIvEElEEDaPvRmT3_T4_T5_mT6_P12ihipStream_tbENKUlT_T0_E_clISt17integral_constantIbLb1EESP_IbLb0EEEEDaSL_SM_EUlSL_E0_NS1_11comp_targetILNS1_3genE2ELNS1_11target_archE906ELNS1_3gpuE6ELNS1_3repE0EEENS1_30default_config_static_selectorELNS0_4arch9wavefront6targetE0EEEvT1_.kd
    .uniform_work_group_size: 1
    .uses_dynamic_stack: false
    .vgpr_count:     0
    .vgpr_spill_count: 0
    .wavefront_size: 32
  - .args:
      - .offset:         0
        .size:           40
        .value_kind:     by_value
    .group_segment_fixed_size: 0
    .kernarg_segment_align: 8
    .kernarg_segment_size: 40
    .language:       OpenCL C
    .language_version:
      - 2
      - 0
    .max_flat_workgroup_size: 256
    .name:           _ZN7rocprim17ROCPRIM_400000_NS6detail17trampoline_kernelINS0_14default_configENS1_20scan_config_selectorIlEEZZNS1_9scan_implILNS1_25lookback_scan_determinismE0ELb0ELb0ES3_PlS8_lN6thrust23THRUST_200600_302600_NS4plusIvEElEEDaPvRmT3_T4_T5_mT6_P12ihipStream_tbENKUlT_T0_E_clISt17integral_constantIbLb1EESP_IbLb0EEEEDaSL_SM_EUlSL_E0_NS1_11comp_targetILNS1_3genE10ELNS1_11target_archE1201ELNS1_3gpuE5ELNS1_3repE0EEENS1_30default_config_static_selectorELNS0_4arch9wavefront6targetE0EEEvT1_
    .private_segment_fixed_size: 0
    .sgpr_count:     0
    .sgpr_spill_count: 0
    .symbol:         _ZN7rocprim17ROCPRIM_400000_NS6detail17trampoline_kernelINS0_14default_configENS1_20scan_config_selectorIlEEZZNS1_9scan_implILNS1_25lookback_scan_determinismE0ELb0ELb0ES3_PlS8_lN6thrust23THRUST_200600_302600_NS4plusIvEElEEDaPvRmT3_T4_T5_mT6_P12ihipStream_tbENKUlT_T0_E_clISt17integral_constantIbLb1EESP_IbLb0EEEEDaSL_SM_EUlSL_E0_NS1_11comp_targetILNS1_3genE10ELNS1_11target_archE1201ELNS1_3gpuE5ELNS1_3repE0EEENS1_30default_config_static_selectorELNS0_4arch9wavefront6targetE0EEEvT1_.kd
    .uniform_work_group_size: 1
    .uses_dynamic_stack: false
    .vgpr_count:     0
    .vgpr_spill_count: 0
    .wavefront_size: 32
  - .args:
      - .offset:         0
        .size:           40
        .value_kind:     by_value
    .group_segment_fixed_size: 0
    .kernarg_segment_align: 8
    .kernarg_segment_size: 40
    .language:       OpenCL C
    .language_version:
      - 2
      - 0
    .max_flat_workgroup_size: 256
    .name:           _ZN7rocprim17ROCPRIM_400000_NS6detail17trampoline_kernelINS0_14default_configENS1_20scan_config_selectorIlEEZZNS1_9scan_implILNS1_25lookback_scan_determinismE0ELb0ELb0ES3_PlS8_lN6thrust23THRUST_200600_302600_NS4plusIvEElEEDaPvRmT3_T4_T5_mT6_P12ihipStream_tbENKUlT_T0_E_clISt17integral_constantIbLb1EESP_IbLb0EEEEDaSL_SM_EUlSL_E0_NS1_11comp_targetILNS1_3genE10ELNS1_11target_archE1200ELNS1_3gpuE4ELNS1_3repE0EEENS1_30default_config_static_selectorELNS0_4arch9wavefront6targetE0EEEvT1_
    .private_segment_fixed_size: 0
    .sgpr_count:     0
    .sgpr_spill_count: 0
    .symbol:         _ZN7rocprim17ROCPRIM_400000_NS6detail17trampoline_kernelINS0_14default_configENS1_20scan_config_selectorIlEEZZNS1_9scan_implILNS1_25lookback_scan_determinismE0ELb0ELb0ES3_PlS8_lN6thrust23THRUST_200600_302600_NS4plusIvEElEEDaPvRmT3_T4_T5_mT6_P12ihipStream_tbENKUlT_T0_E_clISt17integral_constantIbLb1EESP_IbLb0EEEEDaSL_SM_EUlSL_E0_NS1_11comp_targetILNS1_3genE10ELNS1_11target_archE1200ELNS1_3gpuE4ELNS1_3repE0EEENS1_30default_config_static_selectorELNS0_4arch9wavefront6targetE0EEEvT1_.kd
    .uniform_work_group_size: 1
    .uses_dynamic_stack: false
    .vgpr_count:     0
    .vgpr_spill_count: 0
    .wavefront_size: 32
  - .args:
      - .offset:         0
        .size:           40
        .value_kind:     by_value
    .group_segment_fixed_size: 0
    .kernarg_segment_align: 8
    .kernarg_segment_size: 40
    .language:       OpenCL C
    .language_version:
      - 2
      - 0
    .max_flat_workgroup_size: 256
    .name:           _ZN7rocprim17ROCPRIM_400000_NS6detail17trampoline_kernelINS0_14default_configENS1_20scan_config_selectorIlEEZZNS1_9scan_implILNS1_25lookback_scan_determinismE0ELb0ELb0ES3_PlS8_lN6thrust23THRUST_200600_302600_NS4plusIvEElEEDaPvRmT3_T4_T5_mT6_P12ihipStream_tbENKUlT_T0_E_clISt17integral_constantIbLb1EESP_IbLb0EEEEDaSL_SM_EUlSL_E0_NS1_11comp_targetILNS1_3genE9ELNS1_11target_archE1100ELNS1_3gpuE3ELNS1_3repE0EEENS1_30default_config_static_selectorELNS0_4arch9wavefront6targetE0EEEvT1_
    .private_segment_fixed_size: 0
    .sgpr_count:     0
    .sgpr_spill_count: 0
    .symbol:         _ZN7rocprim17ROCPRIM_400000_NS6detail17trampoline_kernelINS0_14default_configENS1_20scan_config_selectorIlEEZZNS1_9scan_implILNS1_25lookback_scan_determinismE0ELb0ELb0ES3_PlS8_lN6thrust23THRUST_200600_302600_NS4plusIvEElEEDaPvRmT3_T4_T5_mT6_P12ihipStream_tbENKUlT_T0_E_clISt17integral_constantIbLb1EESP_IbLb0EEEEDaSL_SM_EUlSL_E0_NS1_11comp_targetILNS1_3genE9ELNS1_11target_archE1100ELNS1_3gpuE3ELNS1_3repE0EEENS1_30default_config_static_selectorELNS0_4arch9wavefront6targetE0EEEvT1_.kd
    .uniform_work_group_size: 1
    .uses_dynamic_stack: false
    .vgpr_count:     0
    .vgpr_spill_count: 0
    .wavefront_size: 32
  - .args:
      - .offset:         0
        .size:           40
        .value_kind:     by_value
    .group_segment_fixed_size: 0
    .kernarg_segment_align: 8
    .kernarg_segment_size: 40
    .language:       OpenCL C
    .language_version:
      - 2
      - 0
    .max_flat_workgroup_size: 256
    .name:           _ZN7rocprim17ROCPRIM_400000_NS6detail17trampoline_kernelINS0_14default_configENS1_20scan_config_selectorIlEEZZNS1_9scan_implILNS1_25lookback_scan_determinismE0ELb0ELb0ES3_PlS8_lN6thrust23THRUST_200600_302600_NS4plusIvEElEEDaPvRmT3_T4_T5_mT6_P12ihipStream_tbENKUlT_T0_E_clISt17integral_constantIbLb1EESP_IbLb0EEEEDaSL_SM_EUlSL_E0_NS1_11comp_targetILNS1_3genE8ELNS1_11target_archE1030ELNS1_3gpuE2ELNS1_3repE0EEENS1_30default_config_static_selectorELNS0_4arch9wavefront6targetE0EEEvT1_
    .private_segment_fixed_size: 0
    .sgpr_count:     0
    .sgpr_spill_count: 0
    .symbol:         _ZN7rocprim17ROCPRIM_400000_NS6detail17trampoline_kernelINS0_14default_configENS1_20scan_config_selectorIlEEZZNS1_9scan_implILNS1_25lookback_scan_determinismE0ELb0ELb0ES3_PlS8_lN6thrust23THRUST_200600_302600_NS4plusIvEElEEDaPvRmT3_T4_T5_mT6_P12ihipStream_tbENKUlT_T0_E_clISt17integral_constantIbLb1EESP_IbLb0EEEEDaSL_SM_EUlSL_E0_NS1_11comp_targetILNS1_3genE8ELNS1_11target_archE1030ELNS1_3gpuE2ELNS1_3repE0EEENS1_30default_config_static_selectorELNS0_4arch9wavefront6targetE0EEEvT1_.kd
    .uniform_work_group_size: 1
    .uses_dynamic_stack: false
    .vgpr_count:     0
    .vgpr_spill_count: 0
    .wavefront_size: 32
  - .args:
      - .address_space:  global
        .offset:         0
        .size:           8
        .value_kind:     global_buffer
      - .offset:         8
        .size:           4
        .value_kind:     by_value
      - .address_space:  global
        .offset:         16
        .size:           8
        .value_kind:     global_buffer
      - .offset:         24
        .size:           4
        .value_kind:     by_value
      - .address_space:  global
        .offset:         32
        .size:           8
        .value_kind:     global_buffer
      - .offset:         40
        .size:           4
        .value_kind:     hidden_block_count_x
      - .offset:         44
        .size:           4
        .value_kind:     hidden_block_count_y
      - .offset:         48
        .size:           4
        .value_kind:     hidden_block_count_z
      - .offset:         52
        .size:           2
        .value_kind:     hidden_group_size_x
      - .offset:         54
        .size:           2
        .value_kind:     hidden_group_size_y
      - .offset:         56
        .size:           2
        .value_kind:     hidden_group_size_z
      - .offset:         58
        .size:           2
        .value_kind:     hidden_remainder_x
      - .offset:         60
        .size:           2
        .value_kind:     hidden_remainder_y
      - .offset:         62
        .size:           2
        .value_kind:     hidden_remainder_z
      - .offset:         80
        .size:           8
        .value_kind:     hidden_global_offset_x
      - .offset:         88
        .size:           8
        .value_kind:     hidden_global_offset_y
      - .offset:         96
        .size:           8
        .value_kind:     hidden_global_offset_z
      - .offset:         104
        .size:           2
        .value_kind:     hidden_grid_dims
    .group_segment_fixed_size: 0
    .kernarg_segment_align: 8
    .kernarg_segment_size: 296
    .language:       OpenCL C
    .language_version:
      - 2
      - 0
    .max_flat_workgroup_size: 256
    .name:           _ZN7rocprim17ROCPRIM_400000_NS6detail31init_lookback_scan_state_kernelINS1_19lookback_scan_stateIlLb0ELb1EEENS1_16block_id_wrapperIjLb1EEEEEvT_jT0_jPNS7_10value_typeE
    .private_segment_fixed_size: 0
    .sgpr_count:     14
    .sgpr_spill_count: 0
    .symbol:         _ZN7rocprim17ROCPRIM_400000_NS6detail31init_lookback_scan_state_kernelINS1_19lookback_scan_stateIlLb0ELb1EEENS1_16block_id_wrapperIjLb1EEEEEvT_jT0_jPNS7_10value_typeE.kd
    .uniform_work_group_size: 1
    .uses_dynamic_stack: false
    .vgpr_count:     9
    .vgpr_spill_count: 0
    .wavefront_size: 32
  - .args:
      - .offset:         0
        .size:           104
        .value_kind:     by_value
    .group_segment_fixed_size: 12288
    .kernarg_segment_align: 8
    .kernarg_segment_size: 104
    .language:       OpenCL C
    .language_version:
      - 2
      - 0
    .max_flat_workgroup_size: 256
    .name:           _ZN7rocprim17ROCPRIM_400000_NS6detail17trampoline_kernelINS0_14default_configENS1_20scan_config_selectorIlEEZZNS1_9scan_implILNS1_25lookback_scan_determinismE0ELb0ELb0ES3_PlS8_lN6thrust23THRUST_200600_302600_NS4plusIvEElEEDaPvRmT3_T4_T5_mT6_P12ihipStream_tbENKUlT_T0_E_clISt17integral_constantIbLb0EESP_IbLb1EEEEDaSL_SM_EUlSL_E_NS1_11comp_targetILNS1_3genE0ELNS1_11target_archE4294967295ELNS1_3gpuE0ELNS1_3repE0EEENS1_30default_config_static_selectorELNS0_4arch9wavefront6targetE0EEEvT1_
    .private_segment_fixed_size: 0
    .sgpr_count:     30
    .sgpr_spill_count: 0
    .symbol:         _ZN7rocprim17ROCPRIM_400000_NS6detail17trampoline_kernelINS0_14default_configENS1_20scan_config_selectorIlEEZZNS1_9scan_implILNS1_25lookback_scan_determinismE0ELb0ELb0ES3_PlS8_lN6thrust23THRUST_200600_302600_NS4plusIvEElEEDaPvRmT3_T4_T5_mT6_P12ihipStream_tbENKUlT_T0_E_clISt17integral_constantIbLb0EESP_IbLb1EEEEDaSL_SM_EUlSL_E_NS1_11comp_targetILNS1_3genE0ELNS1_11target_archE4294967295ELNS1_3gpuE0ELNS1_3repE0EEENS1_30default_config_static_selectorELNS0_4arch9wavefront6targetE0EEEvT1_.kd
    .uniform_work_group_size: 1
    .uses_dynamic_stack: false
    .vgpr_count:     46
    .vgpr_spill_count: 0
    .wavefront_size: 32
  - .args:
      - .offset:         0
        .size:           104
        .value_kind:     by_value
    .group_segment_fixed_size: 0
    .kernarg_segment_align: 8
    .kernarg_segment_size: 104
    .language:       OpenCL C
    .language_version:
      - 2
      - 0
    .max_flat_workgroup_size: 256
    .name:           _ZN7rocprim17ROCPRIM_400000_NS6detail17trampoline_kernelINS0_14default_configENS1_20scan_config_selectorIlEEZZNS1_9scan_implILNS1_25lookback_scan_determinismE0ELb0ELb0ES3_PlS8_lN6thrust23THRUST_200600_302600_NS4plusIvEElEEDaPvRmT3_T4_T5_mT6_P12ihipStream_tbENKUlT_T0_E_clISt17integral_constantIbLb0EESP_IbLb1EEEEDaSL_SM_EUlSL_E_NS1_11comp_targetILNS1_3genE5ELNS1_11target_archE942ELNS1_3gpuE9ELNS1_3repE0EEENS1_30default_config_static_selectorELNS0_4arch9wavefront6targetE0EEEvT1_
    .private_segment_fixed_size: 0
    .sgpr_count:     0
    .sgpr_spill_count: 0
    .symbol:         _ZN7rocprim17ROCPRIM_400000_NS6detail17trampoline_kernelINS0_14default_configENS1_20scan_config_selectorIlEEZZNS1_9scan_implILNS1_25lookback_scan_determinismE0ELb0ELb0ES3_PlS8_lN6thrust23THRUST_200600_302600_NS4plusIvEElEEDaPvRmT3_T4_T5_mT6_P12ihipStream_tbENKUlT_T0_E_clISt17integral_constantIbLb0EESP_IbLb1EEEEDaSL_SM_EUlSL_E_NS1_11comp_targetILNS1_3genE5ELNS1_11target_archE942ELNS1_3gpuE9ELNS1_3repE0EEENS1_30default_config_static_selectorELNS0_4arch9wavefront6targetE0EEEvT1_.kd
    .uniform_work_group_size: 1
    .uses_dynamic_stack: false
    .vgpr_count:     0
    .vgpr_spill_count: 0
    .wavefront_size: 32
  - .args:
      - .offset:         0
        .size:           104
        .value_kind:     by_value
    .group_segment_fixed_size: 0
    .kernarg_segment_align: 8
    .kernarg_segment_size: 104
    .language:       OpenCL C
    .language_version:
      - 2
      - 0
    .max_flat_workgroup_size: 128
    .name:           _ZN7rocprim17ROCPRIM_400000_NS6detail17trampoline_kernelINS0_14default_configENS1_20scan_config_selectorIlEEZZNS1_9scan_implILNS1_25lookback_scan_determinismE0ELb0ELb0ES3_PlS8_lN6thrust23THRUST_200600_302600_NS4plusIvEElEEDaPvRmT3_T4_T5_mT6_P12ihipStream_tbENKUlT_T0_E_clISt17integral_constantIbLb0EESP_IbLb1EEEEDaSL_SM_EUlSL_E_NS1_11comp_targetILNS1_3genE4ELNS1_11target_archE910ELNS1_3gpuE8ELNS1_3repE0EEENS1_30default_config_static_selectorELNS0_4arch9wavefront6targetE0EEEvT1_
    .private_segment_fixed_size: 0
    .sgpr_count:     0
    .sgpr_spill_count: 0
    .symbol:         _ZN7rocprim17ROCPRIM_400000_NS6detail17trampoline_kernelINS0_14default_configENS1_20scan_config_selectorIlEEZZNS1_9scan_implILNS1_25lookback_scan_determinismE0ELb0ELb0ES3_PlS8_lN6thrust23THRUST_200600_302600_NS4plusIvEElEEDaPvRmT3_T4_T5_mT6_P12ihipStream_tbENKUlT_T0_E_clISt17integral_constantIbLb0EESP_IbLb1EEEEDaSL_SM_EUlSL_E_NS1_11comp_targetILNS1_3genE4ELNS1_11target_archE910ELNS1_3gpuE8ELNS1_3repE0EEENS1_30default_config_static_selectorELNS0_4arch9wavefront6targetE0EEEvT1_.kd
    .uniform_work_group_size: 1
    .uses_dynamic_stack: false
    .vgpr_count:     0
    .vgpr_spill_count: 0
    .wavefront_size: 32
  - .args:
      - .offset:         0
        .size:           104
        .value_kind:     by_value
    .group_segment_fixed_size: 0
    .kernarg_segment_align: 8
    .kernarg_segment_size: 104
    .language:       OpenCL C
    .language_version:
      - 2
      - 0
    .max_flat_workgroup_size: 256
    .name:           _ZN7rocprim17ROCPRIM_400000_NS6detail17trampoline_kernelINS0_14default_configENS1_20scan_config_selectorIlEEZZNS1_9scan_implILNS1_25lookback_scan_determinismE0ELb0ELb0ES3_PlS8_lN6thrust23THRUST_200600_302600_NS4plusIvEElEEDaPvRmT3_T4_T5_mT6_P12ihipStream_tbENKUlT_T0_E_clISt17integral_constantIbLb0EESP_IbLb1EEEEDaSL_SM_EUlSL_E_NS1_11comp_targetILNS1_3genE3ELNS1_11target_archE908ELNS1_3gpuE7ELNS1_3repE0EEENS1_30default_config_static_selectorELNS0_4arch9wavefront6targetE0EEEvT1_
    .private_segment_fixed_size: 0
    .sgpr_count:     0
    .sgpr_spill_count: 0
    .symbol:         _ZN7rocprim17ROCPRIM_400000_NS6detail17trampoline_kernelINS0_14default_configENS1_20scan_config_selectorIlEEZZNS1_9scan_implILNS1_25lookback_scan_determinismE0ELb0ELb0ES3_PlS8_lN6thrust23THRUST_200600_302600_NS4plusIvEElEEDaPvRmT3_T4_T5_mT6_P12ihipStream_tbENKUlT_T0_E_clISt17integral_constantIbLb0EESP_IbLb1EEEEDaSL_SM_EUlSL_E_NS1_11comp_targetILNS1_3genE3ELNS1_11target_archE908ELNS1_3gpuE7ELNS1_3repE0EEENS1_30default_config_static_selectorELNS0_4arch9wavefront6targetE0EEEvT1_.kd
    .uniform_work_group_size: 1
    .uses_dynamic_stack: false
    .vgpr_count:     0
    .vgpr_spill_count: 0
    .wavefront_size: 32
  - .args:
      - .offset:         0
        .size:           104
        .value_kind:     by_value
    .group_segment_fixed_size: 0
    .kernarg_segment_align: 8
    .kernarg_segment_size: 104
    .language:       OpenCL C
    .language_version:
      - 2
      - 0
    .max_flat_workgroup_size: 64
    .name:           _ZN7rocprim17ROCPRIM_400000_NS6detail17trampoline_kernelINS0_14default_configENS1_20scan_config_selectorIlEEZZNS1_9scan_implILNS1_25lookback_scan_determinismE0ELb0ELb0ES3_PlS8_lN6thrust23THRUST_200600_302600_NS4plusIvEElEEDaPvRmT3_T4_T5_mT6_P12ihipStream_tbENKUlT_T0_E_clISt17integral_constantIbLb0EESP_IbLb1EEEEDaSL_SM_EUlSL_E_NS1_11comp_targetILNS1_3genE2ELNS1_11target_archE906ELNS1_3gpuE6ELNS1_3repE0EEENS1_30default_config_static_selectorELNS0_4arch9wavefront6targetE0EEEvT1_
    .private_segment_fixed_size: 0
    .sgpr_count:     0
    .sgpr_spill_count: 0
    .symbol:         _ZN7rocprim17ROCPRIM_400000_NS6detail17trampoline_kernelINS0_14default_configENS1_20scan_config_selectorIlEEZZNS1_9scan_implILNS1_25lookback_scan_determinismE0ELb0ELb0ES3_PlS8_lN6thrust23THRUST_200600_302600_NS4plusIvEElEEDaPvRmT3_T4_T5_mT6_P12ihipStream_tbENKUlT_T0_E_clISt17integral_constantIbLb0EESP_IbLb1EEEEDaSL_SM_EUlSL_E_NS1_11comp_targetILNS1_3genE2ELNS1_11target_archE906ELNS1_3gpuE6ELNS1_3repE0EEENS1_30default_config_static_selectorELNS0_4arch9wavefront6targetE0EEEvT1_.kd
    .uniform_work_group_size: 1
    .uses_dynamic_stack: false
    .vgpr_count:     0
    .vgpr_spill_count: 0
    .wavefront_size: 32
  - .args:
      - .offset:         0
        .size:           104
        .value_kind:     by_value
    .group_segment_fixed_size: 0
    .kernarg_segment_align: 8
    .kernarg_segment_size: 104
    .language:       OpenCL C
    .language_version:
      - 2
      - 0
    .max_flat_workgroup_size: 256
    .name:           _ZN7rocprim17ROCPRIM_400000_NS6detail17trampoline_kernelINS0_14default_configENS1_20scan_config_selectorIlEEZZNS1_9scan_implILNS1_25lookback_scan_determinismE0ELb0ELb0ES3_PlS8_lN6thrust23THRUST_200600_302600_NS4plusIvEElEEDaPvRmT3_T4_T5_mT6_P12ihipStream_tbENKUlT_T0_E_clISt17integral_constantIbLb0EESP_IbLb1EEEEDaSL_SM_EUlSL_E_NS1_11comp_targetILNS1_3genE10ELNS1_11target_archE1201ELNS1_3gpuE5ELNS1_3repE0EEENS1_30default_config_static_selectorELNS0_4arch9wavefront6targetE0EEEvT1_
    .private_segment_fixed_size: 0
    .sgpr_count:     0
    .sgpr_spill_count: 0
    .symbol:         _ZN7rocprim17ROCPRIM_400000_NS6detail17trampoline_kernelINS0_14default_configENS1_20scan_config_selectorIlEEZZNS1_9scan_implILNS1_25lookback_scan_determinismE0ELb0ELb0ES3_PlS8_lN6thrust23THRUST_200600_302600_NS4plusIvEElEEDaPvRmT3_T4_T5_mT6_P12ihipStream_tbENKUlT_T0_E_clISt17integral_constantIbLb0EESP_IbLb1EEEEDaSL_SM_EUlSL_E_NS1_11comp_targetILNS1_3genE10ELNS1_11target_archE1201ELNS1_3gpuE5ELNS1_3repE0EEENS1_30default_config_static_selectorELNS0_4arch9wavefront6targetE0EEEvT1_.kd
    .uniform_work_group_size: 1
    .uses_dynamic_stack: false
    .vgpr_count:     0
    .vgpr_spill_count: 0
    .wavefront_size: 32
  - .args:
      - .offset:         0
        .size:           104
        .value_kind:     by_value
    .group_segment_fixed_size: 0
    .kernarg_segment_align: 8
    .kernarg_segment_size: 104
    .language:       OpenCL C
    .language_version:
      - 2
      - 0
    .max_flat_workgroup_size: 256
    .name:           _ZN7rocprim17ROCPRIM_400000_NS6detail17trampoline_kernelINS0_14default_configENS1_20scan_config_selectorIlEEZZNS1_9scan_implILNS1_25lookback_scan_determinismE0ELb0ELb0ES3_PlS8_lN6thrust23THRUST_200600_302600_NS4plusIvEElEEDaPvRmT3_T4_T5_mT6_P12ihipStream_tbENKUlT_T0_E_clISt17integral_constantIbLb0EESP_IbLb1EEEEDaSL_SM_EUlSL_E_NS1_11comp_targetILNS1_3genE10ELNS1_11target_archE1200ELNS1_3gpuE4ELNS1_3repE0EEENS1_30default_config_static_selectorELNS0_4arch9wavefront6targetE0EEEvT1_
    .private_segment_fixed_size: 0
    .sgpr_count:     0
    .sgpr_spill_count: 0
    .symbol:         _ZN7rocprim17ROCPRIM_400000_NS6detail17trampoline_kernelINS0_14default_configENS1_20scan_config_selectorIlEEZZNS1_9scan_implILNS1_25lookback_scan_determinismE0ELb0ELb0ES3_PlS8_lN6thrust23THRUST_200600_302600_NS4plusIvEElEEDaPvRmT3_T4_T5_mT6_P12ihipStream_tbENKUlT_T0_E_clISt17integral_constantIbLb0EESP_IbLb1EEEEDaSL_SM_EUlSL_E_NS1_11comp_targetILNS1_3genE10ELNS1_11target_archE1200ELNS1_3gpuE4ELNS1_3repE0EEENS1_30default_config_static_selectorELNS0_4arch9wavefront6targetE0EEEvT1_.kd
    .uniform_work_group_size: 1
    .uses_dynamic_stack: false
    .vgpr_count:     0
    .vgpr_spill_count: 0
    .wavefront_size: 32
  - .args:
      - .offset:         0
        .size:           104
        .value_kind:     by_value
    .group_segment_fixed_size: 0
    .kernarg_segment_align: 8
    .kernarg_segment_size: 104
    .language:       OpenCL C
    .language_version:
      - 2
      - 0
    .max_flat_workgroup_size: 256
    .name:           _ZN7rocprim17ROCPRIM_400000_NS6detail17trampoline_kernelINS0_14default_configENS1_20scan_config_selectorIlEEZZNS1_9scan_implILNS1_25lookback_scan_determinismE0ELb0ELb0ES3_PlS8_lN6thrust23THRUST_200600_302600_NS4plusIvEElEEDaPvRmT3_T4_T5_mT6_P12ihipStream_tbENKUlT_T0_E_clISt17integral_constantIbLb0EESP_IbLb1EEEEDaSL_SM_EUlSL_E_NS1_11comp_targetILNS1_3genE9ELNS1_11target_archE1100ELNS1_3gpuE3ELNS1_3repE0EEENS1_30default_config_static_selectorELNS0_4arch9wavefront6targetE0EEEvT1_
    .private_segment_fixed_size: 0
    .sgpr_count:     0
    .sgpr_spill_count: 0
    .symbol:         _ZN7rocprim17ROCPRIM_400000_NS6detail17trampoline_kernelINS0_14default_configENS1_20scan_config_selectorIlEEZZNS1_9scan_implILNS1_25lookback_scan_determinismE0ELb0ELb0ES3_PlS8_lN6thrust23THRUST_200600_302600_NS4plusIvEElEEDaPvRmT3_T4_T5_mT6_P12ihipStream_tbENKUlT_T0_E_clISt17integral_constantIbLb0EESP_IbLb1EEEEDaSL_SM_EUlSL_E_NS1_11comp_targetILNS1_3genE9ELNS1_11target_archE1100ELNS1_3gpuE3ELNS1_3repE0EEENS1_30default_config_static_selectorELNS0_4arch9wavefront6targetE0EEEvT1_.kd
    .uniform_work_group_size: 1
    .uses_dynamic_stack: false
    .vgpr_count:     0
    .vgpr_spill_count: 0
    .wavefront_size: 32
  - .args:
      - .offset:         0
        .size:           104
        .value_kind:     by_value
    .group_segment_fixed_size: 0
    .kernarg_segment_align: 8
    .kernarg_segment_size: 104
    .language:       OpenCL C
    .language_version:
      - 2
      - 0
    .max_flat_workgroup_size: 256
    .name:           _ZN7rocprim17ROCPRIM_400000_NS6detail17trampoline_kernelINS0_14default_configENS1_20scan_config_selectorIlEEZZNS1_9scan_implILNS1_25lookback_scan_determinismE0ELb0ELb0ES3_PlS8_lN6thrust23THRUST_200600_302600_NS4plusIvEElEEDaPvRmT3_T4_T5_mT6_P12ihipStream_tbENKUlT_T0_E_clISt17integral_constantIbLb0EESP_IbLb1EEEEDaSL_SM_EUlSL_E_NS1_11comp_targetILNS1_3genE8ELNS1_11target_archE1030ELNS1_3gpuE2ELNS1_3repE0EEENS1_30default_config_static_selectorELNS0_4arch9wavefront6targetE0EEEvT1_
    .private_segment_fixed_size: 0
    .sgpr_count:     0
    .sgpr_spill_count: 0
    .symbol:         _ZN7rocprim17ROCPRIM_400000_NS6detail17trampoline_kernelINS0_14default_configENS1_20scan_config_selectorIlEEZZNS1_9scan_implILNS1_25lookback_scan_determinismE0ELb0ELb0ES3_PlS8_lN6thrust23THRUST_200600_302600_NS4plusIvEElEEDaPvRmT3_T4_T5_mT6_P12ihipStream_tbENKUlT_T0_E_clISt17integral_constantIbLb0EESP_IbLb1EEEEDaSL_SM_EUlSL_E_NS1_11comp_targetILNS1_3genE8ELNS1_11target_archE1030ELNS1_3gpuE2ELNS1_3repE0EEENS1_30default_config_static_selectorELNS0_4arch9wavefront6targetE0EEEvT1_.kd
    .uniform_work_group_size: 1
    .uses_dynamic_stack: false
    .vgpr_count:     0
    .vgpr_spill_count: 0
    .wavefront_size: 32
  - .args:
      - .offset:         0
        .size:           40
        .value_kind:     by_value
    .group_segment_fixed_size: 12288
    .kernarg_segment_align: 8
    .kernarg_segment_size: 40
    .language:       OpenCL C
    .language_version:
      - 2
      - 0
    .max_flat_workgroup_size: 256
    .name:           _ZN7rocprim17ROCPRIM_400000_NS6detail17trampoline_kernelINS0_14default_configENS1_20scan_config_selectorIlEEZZNS1_9scan_implILNS1_25lookback_scan_determinismE0ELb0ELb0ES3_PlS8_lN6thrust23THRUST_200600_302600_NS4plusIvEElEEDaPvRmT3_T4_T5_mT6_P12ihipStream_tbENKUlT_T0_E_clISt17integral_constantIbLb0EESP_IbLb1EEEEDaSL_SM_EUlSL_E0_NS1_11comp_targetILNS1_3genE0ELNS1_11target_archE4294967295ELNS1_3gpuE0ELNS1_3repE0EEENS1_30default_config_static_selectorELNS0_4arch9wavefront6targetE0EEEvT1_
    .private_segment_fixed_size: 0
    .sgpr_count:     16
    .sgpr_spill_count: 0
    .symbol:         _ZN7rocprim17ROCPRIM_400000_NS6detail17trampoline_kernelINS0_14default_configENS1_20scan_config_selectorIlEEZZNS1_9scan_implILNS1_25lookback_scan_determinismE0ELb0ELb0ES3_PlS8_lN6thrust23THRUST_200600_302600_NS4plusIvEElEEDaPvRmT3_T4_T5_mT6_P12ihipStream_tbENKUlT_T0_E_clISt17integral_constantIbLb0EESP_IbLb1EEEEDaSL_SM_EUlSL_E0_NS1_11comp_targetILNS1_3genE0ELNS1_11target_archE4294967295ELNS1_3gpuE0ELNS1_3repE0EEENS1_30default_config_static_selectorELNS0_4arch9wavefront6targetE0EEEvT1_.kd
    .uniform_work_group_size: 1
    .uses_dynamic_stack: false
    .vgpr_count:     37
    .vgpr_spill_count: 0
    .wavefront_size: 32
  - .args:
      - .offset:         0
        .size:           40
        .value_kind:     by_value
    .group_segment_fixed_size: 0
    .kernarg_segment_align: 8
    .kernarg_segment_size: 40
    .language:       OpenCL C
    .language_version:
      - 2
      - 0
    .max_flat_workgroup_size: 256
    .name:           _ZN7rocprim17ROCPRIM_400000_NS6detail17trampoline_kernelINS0_14default_configENS1_20scan_config_selectorIlEEZZNS1_9scan_implILNS1_25lookback_scan_determinismE0ELb0ELb0ES3_PlS8_lN6thrust23THRUST_200600_302600_NS4plusIvEElEEDaPvRmT3_T4_T5_mT6_P12ihipStream_tbENKUlT_T0_E_clISt17integral_constantIbLb0EESP_IbLb1EEEEDaSL_SM_EUlSL_E0_NS1_11comp_targetILNS1_3genE5ELNS1_11target_archE942ELNS1_3gpuE9ELNS1_3repE0EEENS1_30default_config_static_selectorELNS0_4arch9wavefront6targetE0EEEvT1_
    .private_segment_fixed_size: 0
    .sgpr_count:     0
    .sgpr_spill_count: 0
    .symbol:         _ZN7rocprim17ROCPRIM_400000_NS6detail17trampoline_kernelINS0_14default_configENS1_20scan_config_selectorIlEEZZNS1_9scan_implILNS1_25lookback_scan_determinismE0ELb0ELb0ES3_PlS8_lN6thrust23THRUST_200600_302600_NS4plusIvEElEEDaPvRmT3_T4_T5_mT6_P12ihipStream_tbENKUlT_T0_E_clISt17integral_constantIbLb0EESP_IbLb1EEEEDaSL_SM_EUlSL_E0_NS1_11comp_targetILNS1_3genE5ELNS1_11target_archE942ELNS1_3gpuE9ELNS1_3repE0EEENS1_30default_config_static_selectorELNS0_4arch9wavefront6targetE0EEEvT1_.kd
    .uniform_work_group_size: 1
    .uses_dynamic_stack: false
    .vgpr_count:     0
    .vgpr_spill_count: 0
    .wavefront_size: 32
  - .args:
      - .offset:         0
        .size:           40
        .value_kind:     by_value
    .group_segment_fixed_size: 0
    .kernarg_segment_align: 8
    .kernarg_segment_size: 40
    .language:       OpenCL C
    .language_version:
      - 2
      - 0
    .max_flat_workgroup_size: 128
    .name:           _ZN7rocprim17ROCPRIM_400000_NS6detail17trampoline_kernelINS0_14default_configENS1_20scan_config_selectorIlEEZZNS1_9scan_implILNS1_25lookback_scan_determinismE0ELb0ELb0ES3_PlS8_lN6thrust23THRUST_200600_302600_NS4plusIvEElEEDaPvRmT3_T4_T5_mT6_P12ihipStream_tbENKUlT_T0_E_clISt17integral_constantIbLb0EESP_IbLb1EEEEDaSL_SM_EUlSL_E0_NS1_11comp_targetILNS1_3genE4ELNS1_11target_archE910ELNS1_3gpuE8ELNS1_3repE0EEENS1_30default_config_static_selectorELNS0_4arch9wavefront6targetE0EEEvT1_
    .private_segment_fixed_size: 0
    .sgpr_count:     0
    .sgpr_spill_count: 0
    .symbol:         _ZN7rocprim17ROCPRIM_400000_NS6detail17trampoline_kernelINS0_14default_configENS1_20scan_config_selectorIlEEZZNS1_9scan_implILNS1_25lookback_scan_determinismE0ELb0ELb0ES3_PlS8_lN6thrust23THRUST_200600_302600_NS4plusIvEElEEDaPvRmT3_T4_T5_mT6_P12ihipStream_tbENKUlT_T0_E_clISt17integral_constantIbLb0EESP_IbLb1EEEEDaSL_SM_EUlSL_E0_NS1_11comp_targetILNS1_3genE4ELNS1_11target_archE910ELNS1_3gpuE8ELNS1_3repE0EEENS1_30default_config_static_selectorELNS0_4arch9wavefront6targetE0EEEvT1_.kd
    .uniform_work_group_size: 1
    .uses_dynamic_stack: false
    .vgpr_count:     0
    .vgpr_spill_count: 0
    .wavefront_size: 32
  - .args:
      - .offset:         0
        .size:           40
        .value_kind:     by_value
    .group_segment_fixed_size: 0
    .kernarg_segment_align: 8
    .kernarg_segment_size: 40
    .language:       OpenCL C
    .language_version:
      - 2
      - 0
    .max_flat_workgroup_size: 256
    .name:           _ZN7rocprim17ROCPRIM_400000_NS6detail17trampoline_kernelINS0_14default_configENS1_20scan_config_selectorIlEEZZNS1_9scan_implILNS1_25lookback_scan_determinismE0ELb0ELb0ES3_PlS8_lN6thrust23THRUST_200600_302600_NS4plusIvEElEEDaPvRmT3_T4_T5_mT6_P12ihipStream_tbENKUlT_T0_E_clISt17integral_constantIbLb0EESP_IbLb1EEEEDaSL_SM_EUlSL_E0_NS1_11comp_targetILNS1_3genE3ELNS1_11target_archE908ELNS1_3gpuE7ELNS1_3repE0EEENS1_30default_config_static_selectorELNS0_4arch9wavefront6targetE0EEEvT1_
    .private_segment_fixed_size: 0
    .sgpr_count:     0
    .sgpr_spill_count: 0
    .symbol:         _ZN7rocprim17ROCPRIM_400000_NS6detail17trampoline_kernelINS0_14default_configENS1_20scan_config_selectorIlEEZZNS1_9scan_implILNS1_25lookback_scan_determinismE0ELb0ELb0ES3_PlS8_lN6thrust23THRUST_200600_302600_NS4plusIvEElEEDaPvRmT3_T4_T5_mT6_P12ihipStream_tbENKUlT_T0_E_clISt17integral_constantIbLb0EESP_IbLb1EEEEDaSL_SM_EUlSL_E0_NS1_11comp_targetILNS1_3genE3ELNS1_11target_archE908ELNS1_3gpuE7ELNS1_3repE0EEENS1_30default_config_static_selectorELNS0_4arch9wavefront6targetE0EEEvT1_.kd
    .uniform_work_group_size: 1
    .uses_dynamic_stack: false
    .vgpr_count:     0
    .vgpr_spill_count: 0
    .wavefront_size: 32
  - .args:
      - .offset:         0
        .size:           40
        .value_kind:     by_value
    .group_segment_fixed_size: 0
    .kernarg_segment_align: 8
    .kernarg_segment_size: 40
    .language:       OpenCL C
    .language_version:
      - 2
      - 0
    .max_flat_workgroup_size: 64
    .name:           _ZN7rocprim17ROCPRIM_400000_NS6detail17trampoline_kernelINS0_14default_configENS1_20scan_config_selectorIlEEZZNS1_9scan_implILNS1_25lookback_scan_determinismE0ELb0ELb0ES3_PlS8_lN6thrust23THRUST_200600_302600_NS4plusIvEElEEDaPvRmT3_T4_T5_mT6_P12ihipStream_tbENKUlT_T0_E_clISt17integral_constantIbLb0EESP_IbLb1EEEEDaSL_SM_EUlSL_E0_NS1_11comp_targetILNS1_3genE2ELNS1_11target_archE906ELNS1_3gpuE6ELNS1_3repE0EEENS1_30default_config_static_selectorELNS0_4arch9wavefront6targetE0EEEvT1_
    .private_segment_fixed_size: 0
    .sgpr_count:     0
    .sgpr_spill_count: 0
    .symbol:         _ZN7rocprim17ROCPRIM_400000_NS6detail17trampoline_kernelINS0_14default_configENS1_20scan_config_selectorIlEEZZNS1_9scan_implILNS1_25lookback_scan_determinismE0ELb0ELb0ES3_PlS8_lN6thrust23THRUST_200600_302600_NS4plusIvEElEEDaPvRmT3_T4_T5_mT6_P12ihipStream_tbENKUlT_T0_E_clISt17integral_constantIbLb0EESP_IbLb1EEEEDaSL_SM_EUlSL_E0_NS1_11comp_targetILNS1_3genE2ELNS1_11target_archE906ELNS1_3gpuE6ELNS1_3repE0EEENS1_30default_config_static_selectorELNS0_4arch9wavefront6targetE0EEEvT1_.kd
    .uniform_work_group_size: 1
    .uses_dynamic_stack: false
    .vgpr_count:     0
    .vgpr_spill_count: 0
    .wavefront_size: 32
  - .args:
      - .offset:         0
        .size:           40
        .value_kind:     by_value
    .group_segment_fixed_size: 0
    .kernarg_segment_align: 8
    .kernarg_segment_size: 40
    .language:       OpenCL C
    .language_version:
      - 2
      - 0
    .max_flat_workgroup_size: 256
    .name:           _ZN7rocprim17ROCPRIM_400000_NS6detail17trampoline_kernelINS0_14default_configENS1_20scan_config_selectorIlEEZZNS1_9scan_implILNS1_25lookback_scan_determinismE0ELb0ELb0ES3_PlS8_lN6thrust23THRUST_200600_302600_NS4plusIvEElEEDaPvRmT3_T4_T5_mT6_P12ihipStream_tbENKUlT_T0_E_clISt17integral_constantIbLb0EESP_IbLb1EEEEDaSL_SM_EUlSL_E0_NS1_11comp_targetILNS1_3genE10ELNS1_11target_archE1201ELNS1_3gpuE5ELNS1_3repE0EEENS1_30default_config_static_selectorELNS0_4arch9wavefront6targetE0EEEvT1_
    .private_segment_fixed_size: 0
    .sgpr_count:     0
    .sgpr_spill_count: 0
    .symbol:         _ZN7rocprim17ROCPRIM_400000_NS6detail17trampoline_kernelINS0_14default_configENS1_20scan_config_selectorIlEEZZNS1_9scan_implILNS1_25lookback_scan_determinismE0ELb0ELb0ES3_PlS8_lN6thrust23THRUST_200600_302600_NS4plusIvEElEEDaPvRmT3_T4_T5_mT6_P12ihipStream_tbENKUlT_T0_E_clISt17integral_constantIbLb0EESP_IbLb1EEEEDaSL_SM_EUlSL_E0_NS1_11comp_targetILNS1_3genE10ELNS1_11target_archE1201ELNS1_3gpuE5ELNS1_3repE0EEENS1_30default_config_static_selectorELNS0_4arch9wavefront6targetE0EEEvT1_.kd
    .uniform_work_group_size: 1
    .uses_dynamic_stack: false
    .vgpr_count:     0
    .vgpr_spill_count: 0
    .wavefront_size: 32
  - .args:
      - .offset:         0
        .size:           40
        .value_kind:     by_value
    .group_segment_fixed_size: 0
    .kernarg_segment_align: 8
    .kernarg_segment_size: 40
    .language:       OpenCL C
    .language_version:
      - 2
      - 0
    .max_flat_workgroup_size: 256
    .name:           _ZN7rocprim17ROCPRIM_400000_NS6detail17trampoline_kernelINS0_14default_configENS1_20scan_config_selectorIlEEZZNS1_9scan_implILNS1_25lookback_scan_determinismE0ELb0ELb0ES3_PlS8_lN6thrust23THRUST_200600_302600_NS4plusIvEElEEDaPvRmT3_T4_T5_mT6_P12ihipStream_tbENKUlT_T0_E_clISt17integral_constantIbLb0EESP_IbLb1EEEEDaSL_SM_EUlSL_E0_NS1_11comp_targetILNS1_3genE10ELNS1_11target_archE1200ELNS1_3gpuE4ELNS1_3repE0EEENS1_30default_config_static_selectorELNS0_4arch9wavefront6targetE0EEEvT1_
    .private_segment_fixed_size: 0
    .sgpr_count:     0
    .sgpr_spill_count: 0
    .symbol:         _ZN7rocprim17ROCPRIM_400000_NS6detail17trampoline_kernelINS0_14default_configENS1_20scan_config_selectorIlEEZZNS1_9scan_implILNS1_25lookback_scan_determinismE0ELb0ELb0ES3_PlS8_lN6thrust23THRUST_200600_302600_NS4plusIvEElEEDaPvRmT3_T4_T5_mT6_P12ihipStream_tbENKUlT_T0_E_clISt17integral_constantIbLb0EESP_IbLb1EEEEDaSL_SM_EUlSL_E0_NS1_11comp_targetILNS1_3genE10ELNS1_11target_archE1200ELNS1_3gpuE4ELNS1_3repE0EEENS1_30default_config_static_selectorELNS0_4arch9wavefront6targetE0EEEvT1_.kd
    .uniform_work_group_size: 1
    .uses_dynamic_stack: false
    .vgpr_count:     0
    .vgpr_spill_count: 0
    .wavefront_size: 32
  - .args:
      - .offset:         0
        .size:           40
        .value_kind:     by_value
    .group_segment_fixed_size: 0
    .kernarg_segment_align: 8
    .kernarg_segment_size: 40
    .language:       OpenCL C
    .language_version:
      - 2
      - 0
    .max_flat_workgroup_size: 256
    .name:           _ZN7rocprim17ROCPRIM_400000_NS6detail17trampoline_kernelINS0_14default_configENS1_20scan_config_selectorIlEEZZNS1_9scan_implILNS1_25lookback_scan_determinismE0ELb0ELb0ES3_PlS8_lN6thrust23THRUST_200600_302600_NS4plusIvEElEEDaPvRmT3_T4_T5_mT6_P12ihipStream_tbENKUlT_T0_E_clISt17integral_constantIbLb0EESP_IbLb1EEEEDaSL_SM_EUlSL_E0_NS1_11comp_targetILNS1_3genE9ELNS1_11target_archE1100ELNS1_3gpuE3ELNS1_3repE0EEENS1_30default_config_static_selectorELNS0_4arch9wavefront6targetE0EEEvT1_
    .private_segment_fixed_size: 0
    .sgpr_count:     0
    .sgpr_spill_count: 0
    .symbol:         _ZN7rocprim17ROCPRIM_400000_NS6detail17trampoline_kernelINS0_14default_configENS1_20scan_config_selectorIlEEZZNS1_9scan_implILNS1_25lookback_scan_determinismE0ELb0ELb0ES3_PlS8_lN6thrust23THRUST_200600_302600_NS4plusIvEElEEDaPvRmT3_T4_T5_mT6_P12ihipStream_tbENKUlT_T0_E_clISt17integral_constantIbLb0EESP_IbLb1EEEEDaSL_SM_EUlSL_E0_NS1_11comp_targetILNS1_3genE9ELNS1_11target_archE1100ELNS1_3gpuE3ELNS1_3repE0EEENS1_30default_config_static_selectorELNS0_4arch9wavefront6targetE0EEEvT1_.kd
    .uniform_work_group_size: 1
    .uses_dynamic_stack: false
    .vgpr_count:     0
    .vgpr_spill_count: 0
    .wavefront_size: 32
  - .args:
      - .offset:         0
        .size:           40
        .value_kind:     by_value
    .group_segment_fixed_size: 0
    .kernarg_segment_align: 8
    .kernarg_segment_size: 40
    .language:       OpenCL C
    .language_version:
      - 2
      - 0
    .max_flat_workgroup_size: 256
    .name:           _ZN7rocprim17ROCPRIM_400000_NS6detail17trampoline_kernelINS0_14default_configENS1_20scan_config_selectorIlEEZZNS1_9scan_implILNS1_25lookback_scan_determinismE0ELb0ELb0ES3_PlS8_lN6thrust23THRUST_200600_302600_NS4plusIvEElEEDaPvRmT3_T4_T5_mT6_P12ihipStream_tbENKUlT_T0_E_clISt17integral_constantIbLb0EESP_IbLb1EEEEDaSL_SM_EUlSL_E0_NS1_11comp_targetILNS1_3genE8ELNS1_11target_archE1030ELNS1_3gpuE2ELNS1_3repE0EEENS1_30default_config_static_selectorELNS0_4arch9wavefront6targetE0EEEvT1_
    .private_segment_fixed_size: 0
    .sgpr_count:     0
    .sgpr_spill_count: 0
    .symbol:         _ZN7rocprim17ROCPRIM_400000_NS6detail17trampoline_kernelINS0_14default_configENS1_20scan_config_selectorIlEEZZNS1_9scan_implILNS1_25lookback_scan_determinismE0ELb0ELb0ES3_PlS8_lN6thrust23THRUST_200600_302600_NS4plusIvEElEEDaPvRmT3_T4_T5_mT6_P12ihipStream_tbENKUlT_T0_E_clISt17integral_constantIbLb0EESP_IbLb1EEEEDaSL_SM_EUlSL_E0_NS1_11comp_targetILNS1_3genE8ELNS1_11target_archE1030ELNS1_3gpuE2ELNS1_3repE0EEENS1_30default_config_static_selectorELNS0_4arch9wavefront6targetE0EEEvT1_.kd
    .uniform_work_group_size: 1
    .uses_dynamic_stack: false
    .vgpr_count:     0
    .vgpr_spill_count: 0
    .wavefront_size: 32
  - .args:
      - .offset:         0
        .size:           32
        .value_kind:     by_value
      - .offset:         32
        .size:           8
        .value_kind:     by_value
      - .offset:         40
        .size:           8
        .value_kind:     by_value
    .group_segment_fixed_size: 0
    .kernarg_segment_align: 8
    .kernarg_segment_size: 48
    .language:       OpenCL C
    .language_version:
      - 2
      - 0
    .max_flat_workgroup_size: 256
    .name:           _ZN6thrust23THRUST_200600_302600_NS11hip_rocprim14__parallel_for6kernelILj256ENS1_11__transform17unary_transform_fIPlNS0_20permutation_iteratorIS6_PKlEENS4_14no_stencil_tagENS1_8identityENS4_21always_true_predicateEEElLj1EEEvT0_T1_SG_
    .private_segment_fixed_size: 0
    .sgpr_count:     11
    .sgpr_spill_count: 0
    .symbol:         _ZN6thrust23THRUST_200600_302600_NS11hip_rocprim14__parallel_for6kernelILj256ENS1_11__transform17unary_transform_fIPlNS0_20permutation_iteratorIS6_PKlEENS4_14no_stencil_tagENS1_8identityENS4_21always_true_predicateEEElLj1EEEvT0_T1_SG_.kd
    .uniform_work_group_size: 1
    .uses_dynamic_stack: false
    .vgpr_count:     8
    .vgpr_spill_count: 0
    .wavefront_size: 32
  - .args:
      - .address_space:  global
        .offset:         0
        .size:           8
        .value_kind:     global_buffer
      - .offset:         8
        .size:           4
        .value_kind:     by_value
      - .offset:         12
        .size:           1
        .value_kind:     by_value
      - .offset:         16
        .size:           4
        .value_kind:     by_value
      - .address_space:  global
        .offset:         24
        .size:           8
        .value_kind:     global_buffer
      - .offset:         32
        .size:           4
        .value_kind:     hidden_block_count_x
      - .offset:         36
        .size:           4
        .value_kind:     hidden_block_count_y
      - .offset:         40
        .size:           4
        .value_kind:     hidden_block_count_z
      - .offset:         44
        .size:           2
        .value_kind:     hidden_group_size_x
      - .offset:         46
        .size:           2
        .value_kind:     hidden_group_size_y
      - .offset:         48
        .size:           2
        .value_kind:     hidden_group_size_z
      - .offset:         50
        .size:           2
        .value_kind:     hidden_remainder_x
      - .offset:         52
        .size:           2
        .value_kind:     hidden_remainder_y
      - .offset:         54
        .size:           2
        .value_kind:     hidden_remainder_z
      - .offset:         72
        .size:           8
        .value_kind:     hidden_global_offset_x
      - .offset:         80
        .size:           8
        .value_kind:     hidden_global_offset_y
      - .offset:         88
        .size:           8
        .value_kind:     hidden_global_offset_z
      - .offset:         96
        .size:           2
        .value_kind:     hidden_grid_dims
    .group_segment_fixed_size: 0
    .kernarg_segment_align: 8
    .kernarg_segment_size: 288
    .language:       OpenCL C
    .language_version:
      - 2
      - 0
    .max_flat_workgroup_size: 256
    .name:           _ZN7rocprim17ROCPRIM_400000_NS6detail31init_lookback_scan_state_kernelINS1_19lookback_scan_stateIjLb0ELb1EEENS1_16block_id_wrapperIjLb0EEEEEvT_jT0_jPNS7_10value_typeE
    .private_segment_fixed_size: 0
    .sgpr_count:     13
    .sgpr_spill_count: 0
    .symbol:         _ZN7rocprim17ROCPRIM_400000_NS6detail31init_lookback_scan_state_kernelINS1_19lookback_scan_stateIjLb0ELb1EEENS1_16block_id_wrapperIjLb0EEEEEvT_jT0_jPNS7_10value_typeE.kd
    .uniform_work_group_size: 1
    .uses_dynamic_stack: false
    .vgpr_count:     5
    .vgpr_spill_count: 0
    .wavefront_size: 32
  - .args:
      - .offset:         0
        .size:           120
        .value_kind:     by_value
    .group_segment_fixed_size: 28680
    .kernarg_segment_align: 8
    .kernarg_segment_size: 120
    .language:       OpenCL C
    .language_version:
      - 2
      - 0
    .max_flat_workgroup_size: 512
    .name:           _ZN7rocprim17ROCPRIM_400000_NS6detail17trampoline_kernelINS0_14default_configENS1_25partition_config_selectorILNS1_17partition_subalgoE8ElNS0_10empty_typeEbEEZZNS1_14partition_implILS5_8ELb0ES3_jPlPS6_PKS6_NS0_5tupleIJS9_S6_EEENSD_IJSA_SA_EEENS0_18inequality_wrapperIZN2at6native12_GLOBAL__N_124unique_dim_cuda_templateIhEESt5tupleIJNSH_6TensorESM_SM_EERKSM_lbbbEUlllE0_EEPmJS6_EEE10hipError_tPvRmT3_T4_T5_T6_T7_T9_mT8_P12ihipStream_tbDpT10_ENKUlT_T0_E_clISt17integral_constantIbLb0EES1C_EEDaS17_S18_EUlS17_E_NS1_11comp_targetILNS1_3genE0ELNS1_11target_archE4294967295ELNS1_3gpuE0ELNS1_3repE0EEENS1_30default_config_static_selectorELNS0_4arch9wavefront6targetE0EEEvT1_
    .private_segment_fixed_size: 0
    .sgpr_count:     38
    .sgpr_spill_count: 0
    .symbol:         _ZN7rocprim17ROCPRIM_400000_NS6detail17trampoline_kernelINS0_14default_configENS1_25partition_config_selectorILNS1_17partition_subalgoE8ElNS0_10empty_typeEbEEZZNS1_14partition_implILS5_8ELb0ES3_jPlPS6_PKS6_NS0_5tupleIJS9_S6_EEENSD_IJSA_SA_EEENS0_18inequality_wrapperIZN2at6native12_GLOBAL__N_124unique_dim_cuda_templateIhEESt5tupleIJNSH_6TensorESM_SM_EERKSM_lbbbEUlllE0_EEPmJS6_EEE10hipError_tPvRmT3_T4_T5_T6_T7_T9_mT8_P12ihipStream_tbDpT10_ENKUlT_T0_E_clISt17integral_constantIbLb0EES1C_EEDaS17_S18_EUlS17_E_NS1_11comp_targetILNS1_3genE0ELNS1_11target_archE4294967295ELNS1_3gpuE0ELNS1_3repE0EEENS1_30default_config_static_selectorELNS0_4arch9wavefront6targetE0EEEvT1_.kd
    .uniform_work_group_size: 1
    .uses_dynamic_stack: false
    .vgpr_count:     54
    .vgpr_spill_count: 0
    .wavefront_size: 32
  - .args:
      - .offset:         0
        .size:           120
        .value_kind:     by_value
    .group_segment_fixed_size: 0
    .kernarg_segment_align: 8
    .kernarg_segment_size: 120
    .language:       OpenCL C
    .language_version:
      - 2
      - 0
    .max_flat_workgroup_size: 512
    .name:           _ZN7rocprim17ROCPRIM_400000_NS6detail17trampoline_kernelINS0_14default_configENS1_25partition_config_selectorILNS1_17partition_subalgoE8ElNS0_10empty_typeEbEEZZNS1_14partition_implILS5_8ELb0ES3_jPlPS6_PKS6_NS0_5tupleIJS9_S6_EEENSD_IJSA_SA_EEENS0_18inequality_wrapperIZN2at6native12_GLOBAL__N_124unique_dim_cuda_templateIhEESt5tupleIJNSH_6TensorESM_SM_EERKSM_lbbbEUlllE0_EEPmJS6_EEE10hipError_tPvRmT3_T4_T5_T6_T7_T9_mT8_P12ihipStream_tbDpT10_ENKUlT_T0_E_clISt17integral_constantIbLb0EES1C_EEDaS17_S18_EUlS17_E_NS1_11comp_targetILNS1_3genE5ELNS1_11target_archE942ELNS1_3gpuE9ELNS1_3repE0EEENS1_30default_config_static_selectorELNS0_4arch9wavefront6targetE0EEEvT1_
    .private_segment_fixed_size: 0
    .sgpr_count:     0
    .sgpr_spill_count: 0
    .symbol:         _ZN7rocprim17ROCPRIM_400000_NS6detail17trampoline_kernelINS0_14default_configENS1_25partition_config_selectorILNS1_17partition_subalgoE8ElNS0_10empty_typeEbEEZZNS1_14partition_implILS5_8ELb0ES3_jPlPS6_PKS6_NS0_5tupleIJS9_S6_EEENSD_IJSA_SA_EEENS0_18inequality_wrapperIZN2at6native12_GLOBAL__N_124unique_dim_cuda_templateIhEESt5tupleIJNSH_6TensorESM_SM_EERKSM_lbbbEUlllE0_EEPmJS6_EEE10hipError_tPvRmT3_T4_T5_T6_T7_T9_mT8_P12ihipStream_tbDpT10_ENKUlT_T0_E_clISt17integral_constantIbLb0EES1C_EEDaS17_S18_EUlS17_E_NS1_11comp_targetILNS1_3genE5ELNS1_11target_archE942ELNS1_3gpuE9ELNS1_3repE0EEENS1_30default_config_static_selectorELNS0_4arch9wavefront6targetE0EEEvT1_.kd
    .uniform_work_group_size: 1
    .uses_dynamic_stack: false
    .vgpr_count:     0
    .vgpr_spill_count: 0
    .wavefront_size: 32
  - .args:
      - .offset:         0
        .size:           120
        .value_kind:     by_value
    .group_segment_fixed_size: 0
    .kernarg_segment_align: 8
    .kernarg_segment_size: 120
    .language:       OpenCL C
    .language_version:
      - 2
      - 0
    .max_flat_workgroup_size: 256
    .name:           _ZN7rocprim17ROCPRIM_400000_NS6detail17trampoline_kernelINS0_14default_configENS1_25partition_config_selectorILNS1_17partition_subalgoE8ElNS0_10empty_typeEbEEZZNS1_14partition_implILS5_8ELb0ES3_jPlPS6_PKS6_NS0_5tupleIJS9_S6_EEENSD_IJSA_SA_EEENS0_18inequality_wrapperIZN2at6native12_GLOBAL__N_124unique_dim_cuda_templateIhEESt5tupleIJNSH_6TensorESM_SM_EERKSM_lbbbEUlllE0_EEPmJS6_EEE10hipError_tPvRmT3_T4_T5_T6_T7_T9_mT8_P12ihipStream_tbDpT10_ENKUlT_T0_E_clISt17integral_constantIbLb0EES1C_EEDaS17_S18_EUlS17_E_NS1_11comp_targetILNS1_3genE4ELNS1_11target_archE910ELNS1_3gpuE8ELNS1_3repE0EEENS1_30default_config_static_selectorELNS0_4arch9wavefront6targetE0EEEvT1_
    .private_segment_fixed_size: 0
    .sgpr_count:     0
    .sgpr_spill_count: 0
    .symbol:         _ZN7rocprim17ROCPRIM_400000_NS6detail17trampoline_kernelINS0_14default_configENS1_25partition_config_selectorILNS1_17partition_subalgoE8ElNS0_10empty_typeEbEEZZNS1_14partition_implILS5_8ELb0ES3_jPlPS6_PKS6_NS0_5tupleIJS9_S6_EEENSD_IJSA_SA_EEENS0_18inequality_wrapperIZN2at6native12_GLOBAL__N_124unique_dim_cuda_templateIhEESt5tupleIJNSH_6TensorESM_SM_EERKSM_lbbbEUlllE0_EEPmJS6_EEE10hipError_tPvRmT3_T4_T5_T6_T7_T9_mT8_P12ihipStream_tbDpT10_ENKUlT_T0_E_clISt17integral_constantIbLb0EES1C_EEDaS17_S18_EUlS17_E_NS1_11comp_targetILNS1_3genE4ELNS1_11target_archE910ELNS1_3gpuE8ELNS1_3repE0EEENS1_30default_config_static_selectorELNS0_4arch9wavefront6targetE0EEEvT1_.kd
    .uniform_work_group_size: 1
    .uses_dynamic_stack: false
    .vgpr_count:     0
    .vgpr_spill_count: 0
    .wavefront_size: 32
  - .args:
      - .offset:         0
        .size:           120
        .value_kind:     by_value
    .group_segment_fixed_size: 0
    .kernarg_segment_align: 8
    .kernarg_segment_size: 120
    .language:       OpenCL C
    .language_version:
      - 2
      - 0
    .max_flat_workgroup_size: 512
    .name:           _ZN7rocprim17ROCPRIM_400000_NS6detail17trampoline_kernelINS0_14default_configENS1_25partition_config_selectorILNS1_17partition_subalgoE8ElNS0_10empty_typeEbEEZZNS1_14partition_implILS5_8ELb0ES3_jPlPS6_PKS6_NS0_5tupleIJS9_S6_EEENSD_IJSA_SA_EEENS0_18inequality_wrapperIZN2at6native12_GLOBAL__N_124unique_dim_cuda_templateIhEESt5tupleIJNSH_6TensorESM_SM_EERKSM_lbbbEUlllE0_EEPmJS6_EEE10hipError_tPvRmT3_T4_T5_T6_T7_T9_mT8_P12ihipStream_tbDpT10_ENKUlT_T0_E_clISt17integral_constantIbLb0EES1C_EEDaS17_S18_EUlS17_E_NS1_11comp_targetILNS1_3genE3ELNS1_11target_archE908ELNS1_3gpuE7ELNS1_3repE0EEENS1_30default_config_static_selectorELNS0_4arch9wavefront6targetE0EEEvT1_
    .private_segment_fixed_size: 0
    .sgpr_count:     0
    .sgpr_spill_count: 0
    .symbol:         _ZN7rocprim17ROCPRIM_400000_NS6detail17trampoline_kernelINS0_14default_configENS1_25partition_config_selectorILNS1_17partition_subalgoE8ElNS0_10empty_typeEbEEZZNS1_14partition_implILS5_8ELb0ES3_jPlPS6_PKS6_NS0_5tupleIJS9_S6_EEENSD_IJSA_SA_EEENS0_18inequality_wrapperIZN2at6native12_GLOBAL__N_124unique_dim_cuda_templateIhEESt5tupleIJNSH_6TensorESM_SM_EERKSM_lbbbEUlllE0_EEPmJS6_EEE10hipError_tPvRmT3_T4_T5_T6_T7_T9_mT8_P12ihipStream_tbDpT10_ENKUlT_T0_E_clISt17integral_constantIbLb0EES1C_EEDaS17_S18_EUlS17_E_NS1_11comp_targetILNS1_3genE3ELNS1_11target_archE908ELNS1_3gpuE7ELNS1_3repE0EEENS1_30default_config_static_selectorELNS0_4arch9wavefront6targetE0EEEvT1_.kd
    .uniform_work_group_size: 1
    .uses_dynamic_stack: false
    .vgpr_count:     0
    .vgpr_spill_count: 0
    .wavefront_size: 32
  - .args:
      - .offset:         0
        .size:           120
        .value_kind:     by_value
    .group_segment_fixed_size: 0
    .kernarg_segment_align: 8
    .kernarg_segment_size: 120
    .language:       OpenCL C
    .language_version:
      - 2
      - 0
    .max_flat_workgroup_size: 256
    .name:           _ZN7rocprim17ROCPRIM_400000_NS6detail17trampoline_kernelINS0_14default_configENS1_25partition_config_selectorILNS1_17partition_subalgoE8ElNS0_10empty_typeEbEEZZNS1_14partition_implILS5_8ELb0ES3_jPlPS6_PKS6_NS0_5tupleIJS9_S6_EEENSD_IJSA_SA_EEENS0_18inequality_wrapperIZN2at6native12_GLOBAL__N_124unique_dim_cuda_templateIhEESt5tupleIJNSH_6TensorESM_SM_EERKSM_lbbbEUlllE0_EEPmJS6_EEE10hipError_tPvRmT3_T4_T5_T6_T7_T9_mT8_P12ihipStream_tbDpT10_ENKUlT_T0_E_clISt17integral_constantIbLb0EES1C_EEDaS17_S18_EUlS17_E_NS1_11comp_targetILNS1_3genE2ELNS1_11target_archE906ELNS1_3gpuE6ELNS1_3repE0EEENS1_30default_config_static_selectorELNS0_4arch9wavefront6targetE0EEEvT1_
    .private_segment_fixed_size: 0
    .sgpr_count:     0
    .sgpr_spill_count: 0
    .symbol:         _ZN7rocprim17ROCPRIM_400000_NS6detail17trampoline_kernelINS0_14default_configENS1_25partition_config_selectorILNS1_17partition_subalgoE8ElNS0_10empty_typeEbEEZZNS1_14partition_implILS5_8ELb0ES3_jPlPS6_PKS6_NS0_5tupleIJS9_S6_EEENSD_IJSA_SA_EEENS0_18inequality_wrapperIZN2at6native12_GLOBAL__N_124unique_dim_cuda_templateIhEESt5tupleIJNSH_6TensorESM_SM_EERKSM_lbbbEUlllE0_EEPmJS6_EEE10hipError_tPvRmT3_T4_T5_T6_T7_T9_mT8_P12ihipStream_tbDpT10_ENKUlT_T0_E_clISt17integral_constantIbLb0EES1C_EEDaS17_S18_EUlS17_E_NS1_11comp_targetILNS1_3genE2ELNS1_11target_archE906ELNS1_3gpuE6ELNS1_3repE0EEENS1_30default_config_static_selectorELNS0_4arch9wavefront6targetE0EEEvT1_.kd
    .uniform_work_group_size: 1
    .uses_dynamic_stack: false
    .vgpr_count:     0
    .vgpr_spill_count: 0
    .wavefront_size: 32
  - .args:
      - .offset:         0
        .size:           120
        .value_kind:     by_value
    .group_segment_fixed_size: 0
    .kernarg_segment_align: 8
    .kernarg_segment_size: 120
    .language:       OpenCL C
    .language_version:
      - 2
      - 0
    .max_flat_workgroup_size: 384
    .name:           _ZN7rocprim17ROCPRIM_400000_NS6detail17trampoline_kernelINS0_14default_configENS1_25partition_config_selectorILNS1_17partition_subalgoE8ElNS0_10empty_typeEbEEZZNS1_14partition_implILS5_8ELb0ES3_jPlPS6_PKS6_NS0_5tupleIJS9_S6_EEENSD_IJSA_SA_EEENS0_18inequality_wrapperIZN2at6native12_GLOBAL__N_124unique_dim_cuda_templateIhEESt5tupleIJNSH_6TensorESM_SM_EERKSM_lbbbEUlllE0_EEPmJS6_EEE10hipError_tPvRmT3_T4_T5_T6_T7_T9_mT8_P12ihipStream_tbDpT10_ENKUlT_T0_E_clISt17integral_constantIbLb0EES1C_EEDaS17_S18_EUlS17_E_NS1_11comp_targetILNS1_3genE10ELNS1_11target_archE1200ELNS1_3gpuE4ELNS1_3repE0EEENS1_30default_config_static_selectorELNS0_4arch9wavefront6targetE0EEEvT1_
    .private_segment_fixed_size: 0
    .sgpr_count:     0
    .sgpr_spill_count: 0
    .symbol:         _ZN7rocprim17ROCPRIM_400000_NS6detail17trampoline_kernelINS0_14default_configENS1_25partition_config_selectorILNS1_17partition_subalgoE8ElNS0_10empty_typeEbEEZZNS1_14partition_implILS5_8ELb0ES3_jPlPS6_PKS6_NS0_5tupleIJS9_S6_EEENSD_IJSA_SA_EEENS0_18inequality_wrapperIZN2at6native12_GLOBAL__N_124unique_dim_cuda_templateIhEESt5tupleIJNSH_6TensorESM_SM_EERKSM_lbbbEUlllE0_EEPmJS6_EEE10hipError_tPvRmT3_T4_T5_T6_T7_T9_mT8_P12ihipStream_tbDpT10_ENKUlT_T0_E_clISt17integral_constantIbLb0EES1C_EEDaS17_S18_EUlS17_E_NS1_11comp_targetILNS1_3genE10ELNS1_11target_archE1200ELNS1_3gpuE4ELNS1_3repE0EEENS1_30default_config_static_selectorELNS0_4arch9wavefront6targetE0EEEvT1_.kd
    .uniform_work_group_size: 1
    .uses_dynamic_stack: false
    .vgpr_count:     0
    .vgpr_spill_count: 0
    .wavefront_size: 32
  - .args:
      - .offset:         0
        .size:           120
        .value_kind:     by_value
    .group_segment_fixed_size: 0
    .kernarg_segment_align: 8
    .kernarg_segment_size: 120
    .language:       OpenCL C
    .language_version:
      - 2
      - 0
    .max_flat_workgroup_size: 512
    .name:           _ZN7rocprim17ROCPRIM_400000_NS6detail17trampoline_kernelINS0_14default_configENS1_25partition_config_selectorILNS1_17partition_subalgoE8ElNS0_10empty_typeEbEEZZNS1_14partition_implILS5_8ELb0ES3_jPlPS6_PKS6_NS0_5tupleIJS9_S6_EEENSD_IJSA_SA_EEENS0_18inequality_wrapperIZN2at6native12_GLOBAL__N_124unique_dim_cuda_templateIhEESt5tupleIJNSH_6TensorESM_SM_EERKSM_lbbbEUlllE0_EEPmJS6_EEE10hipError_tPvRmT3_T4_T5_T6_T7_T9_mT8_P12ihipStream_tbDpT10_ENKUlT_T0_E_clISt17integral_constantIbLb0EES1C_EEDaS17_S18_EUlS17_E_NS1_11comp_targetILNS1_3genE9ELNS1_11target_archE1100ELNS1_3gpuE3ELNS1_3repE0EEENS1_30default_config_static_selectorELNS0_4arch9wavefront6targetE0EEEvT1_
    .private_segment_fixed_size: 0
    .sgpr_count:     0
    .sgpr_spill_count: 0
    .symbol:         _ZN7rocprim17ROCPRIM_400000_NS6detail17trampoline_kernelINS0_14default_configENS1_25partition_config_selectorILNS1_17partition_subalgoE8ElNS0_10empty_typeEbEEZZNS1_14partition_implILS5_8ELb0ES3_jPlPS6_PKS6_NS0_5tupleIJS9_S6_EEENSD_IJSA_SA_EEENS0_18inequality_wrapperIZN2at6native12_GLOBAL__N_124unique_dim_cuda_templateIhEESt5tupleIJNSH_6TensorESM_SM_EERKSM_lbbbEUlllE0_EEPmJS6_EEE10hipError_tPvRmT3_T4_T5_T6_T7_T9_mT8_P12ihipStream_tbDpT10_ENKUlT_T0_E_clISt17integral_constantIbLb0EES1C_EEDaS17_S18_EUlS17_E_NS1_11comp_targetILNS1_3genE9ELNS1_11target_archE1100ELNS1_3gpuE3ELNS1_3repE0EEENS1_30default_config_static_selectorELNS0_4arch9wavefront6targetE0EEEvT1_.kd
    .uniform_work_group_size: 1
    .uses_dynamic_stack: false
    .vgpr_count:     0
    .vgpr_spill_count: 0
    .wavefront_size: 32
  - .args:
      - .offset:         0
        .size:           120
        .value_kind:     by_value
    .group_segment_fixed_size: 0
    .kernarg_segment_align: 8
    .kernarg_segment_size: 120
    .language:       OpenCL C
    .language_version:
      - 2
      - 0
    .max_flat_workgroup_size: 512
    .name:           _ZN7rocprim17ROCPRIM_400000_NS6detail17trampoline_kernelINS0_14default_configENS1_25partition_config_selectorILNS1_17partition_subalgoE8ElNS0_10empty_typeEbEEZZNS1_14partition_implILS5_8ELb0ES3_jPlPS6_PKS6_NS0_5tupleIJS9_S6_EEENSD_IJSA_SA_EEENS0_18inequality_wrapperIZN2at6native12_GLOBAL__N_124unique_dim_cuda_templateIhEESt5tupleIJNSH_6TensorESM_SM_EERKSM_lbbbEUlllE0_EEPmJS6_EEE10hipError_tPvRmT3_T4_T5_T6_T7_T9_mT8_P12ihipStream_tbDpT10_ENKUlT_T0_E_clISt17integral_constantIbLb0EES1C_EEDaS17_S18_EUlS17_E_NS1_11comp_targetILNS1_3genE8ELNS1_11target_archE1030ELNS1_3gpuE2ELNS1_3repE0EEENS1_30default_config_static_selectorELNS0_4arch9wavefront6targetE0EEEvT1_
    .private_segment_fixed_size: 0
    .sgpr_count:     0
    .sgpr_spill_count: 0
    .symbol:         _ZN7rocprim17ROCPRIM_400000_NS6detail17trampoline_kernelINS0_14default_configENS1_25partition_config_selectorILNS1_17partition_subalgoE8ElNS0_10empty_typeEbEEZZNS1_14partition_implILS5_8ELb0ES3_jPlPS6_PKS6_NS0_5tupleIJS9_S6_EEENSD_IJSA_SA_EEENS0_18inequality_wrapperIZN2at6native12_GLOBAL__N_124unique_dim_cuda_templateIhEESt5tupleIJNSH_6TensorESM_SM_EERKSM_lbbbEUlllE0_EEPmJS6_EEE10hipError_tPvRmT3_T4_T5_T6_T7_T9_mT8_P12ihipStream_tbDpT10_ENKUlT_T0_E_clISt17integral_constantIbLb0EES1C_EEDaS17_S18_EUlS17_E_NS1_11comp_targetILNS1_3genE8ELNS1_11target_archE1030ELNS1_3gpuE2ELNS1_3repE0EEENS1_30default_config_static_selectorELNS0_4arch9wavefront6targetE0EEEvT1_.kd
    .uniform_work_group_size: 1
    .uses_dynamic_stack: false
    .vgpr_count:     0
    .vgpr_spill_count: 0
    .wavefront_size: 32
  - .args:
      - .offset:         0
        .size:           40
        .value_kind:     by_value
      - .offset:         40
        .size:           4
        .value_kind:     hidden_block_count_x
      - .offset:         44
        .size:           4
        .value_kind:     hidden_block_count_y
      - .offset:         48
        .size:           4
        .value_kind:     hidden_block_count_z
      - .offset:         52
        .size:           2
        .value_kind:     hidden_group_size_x
      - .offset:         54
        .size:           2
        .value_kind:     hidden_group_size_y
      - .offset:         56
        .size:           2
        .value_kind:     hidden_group_size_z
      - .offset:         58
        .size:           2
        .value_kind:     hidden_remainder_x
      - .offset:         60
        .size:           2
        .value_kind:     hidden_remainder_y
      - .offset:         62
        .size:           2
        .value_kind:     hidden_remainder_z
      - .offset:         80
        .size:           8
        .value_kind:     hidden_global_offset_x
      - .offset:         88
        .size:           8
        .value_kind:     hidden_global_offset_y
      - .offset:         96
        .size:           8
        .value_kind:     hidden_global_offset_z
      - .offset:         104
        .size:           2
        .value_kind:     hidden_grid_dims
    .group_segment_fixed_size: 0
    .kernarg_segment_align: 8
    .kernarg_segment_size: 296
    .language:       OpenCL C
    .language_version:
      - 2
      - 0
    .max_flat_workgroup_size: 128
    .name:           _ZN7rocprim17ROCPRIM_400000_NS6detail17trampoline_kernelINS0_14default_configENS1_25transform_config_selectorImLb1EEEZNS1_14transform_implILb1ES3_S5_PmS7_NS0_8identityIvEEEE10hipError_tT2_T3_mT4_P12ihipStream_tbEUlT_E_NS1_11comp_targetILNS1_3genE0ELNS1_11target_archE4294967295ELNS1_3gpuE0ELNS1_3repE0EEENS1_30default_config_static_selectorELNS0_4arch9wavefront6targetE0EEEvT1_
    .private_segment_fixed_size: 0
    .sgpr_count:     12
    .sgpr_spill_count: 0
    .symbol:         _ZN7rocprim17ROCPRIM_400000_NS6detail17trampoline_kernelINS0_14default_configENS1_25transform_config_selectorImLb1EEEZNS1_14transform_implILb1ES3_S5_PmS7_NS0_8identityIvEEEE10hipError_tT2_T3_mT4_P12ihipStream_tbEUlT_E_NS1_11comp_targetILNS1_3genE0ELNS1_11target_archE4294967295ELNS1_3gpuE0ELNS1_3repE0EEENS1_30default_config_static_selectorELNS0_4arch9wavefront6targetE0EEEvT1_.kd
    .uniform_work_group_size: 1
    .uses_dynamic_stack: false
    .vgpr_count:     4
    .vgpr_spill_count: 0
    .wavefront_size: 32
  - .args:
      - .offset:         0
        .size:           40
        .value_kind:     by_value
    .group_segment_fixed_size: 0
    .kernarg_segment_align: 8
    .kernarg_segment_size: 40
    .language:       OpenCL C
    .language_version:
      - 2
      - 0
    .max_flat_workgroup_size: 1024
    .name:           _ZN7rocprim17ROCPRIM_400000_NS6detail17trampoline_kernelINS0_14default_configENS1_25transform_config_selectorImLb1EEEZNS1_14transform_implILb1ES3_S5_PmS7_NS0_8identityIvEEEE10hipError_tT2_T3_mT4_P12ihipStream_tbEUlT_E_NS1_11comp_targetILNS1_3genE10ELNS1_11target_archE1201ELNS1_3gpuE5ELNS1_3repE0EEENS1_30default_config_static_selectorELNS0_4arch9wavefront6targetE0EEEvT1_
    .private_segment_fixed_size: 0
    .sgpr_count:     0
    .sgpr_spill_count: 0
    .symbol:         _ZN7rocprim17ROCPRIM_400000_NS6detail17trampoline_kernelINS0_14default_configENS1_25transform_config_selectorImLb1EEEZNS1_14transform_implILb1ES3_S5_PmS7_NS0_8identityIvEEEE10hipError_tT2_T3_mT4_P12ihipStream_tbEUlT_E_NS1_11comp_targetILNS1_3genE10ELNS1_11target_archE1201ELNS1_3gpuE5ELNS1_3repE0EEENS1_30default_config_static_selectorELNS0_4arch9wavefront6targetE0EEEvT1_.kd
    .uniform_work_group_size: 1
    .uses_dynamic_stack: false
    .vgpr_count:     0
    .vgpr_spill_count: 0
    .wavefront_size: 32
  - .args:
      - .offset:         0
        .size:           40
        .value_kind:     by_value
    .group_segment_fixed_size: 0
    .kernarg_segment_align: 8
    .kernarg_segment_size: 40
    .language:       OpenCL C
    .language_version:
      - 2
      - 0
    .max_flat_workgroup_size: 512
    .name:           _ZN7rocprim17ROCPRIM_400000_NS6detail17trampoline_kernelINS0_14default_configENS1_25transform_config_selectorImLb1EEEZNS1_14transform_implILb1ES3_S5_PmS7_NS0_8identityIvEEEE10hipError_tT2_T3_mT4_P12ihipStream_tbEUlT_E_NS1_11comp_targetILNS1_3genE5ELNS1_11target_archE942ELNS1_3gpuE9ELNS1_3repE0EEENS1_30default_config_static_selectorELNS0_4arch9wavefront6targetE0EEEvT1_
    .private_segment_fixed_size: 0
    .sgpr_count:     0
    .sgpr_spill_count: 0
    .symbol:         _ZN7rocprim17ROCPRIM_400000_NS6detail17trampoline_kernelINS0_14default_configENS1_25transform_config_selectorImLb1EEEZNS1_14transform_implILb1ES3_S5_PmS7_NS0_8identityIvEEEE10hipError_tT2_T3_mT4_P12ihipStream_tbEUlT_E_NS1_11comp_targetILNS1_3genE5ELNS1_11target_archE942ELNS1_3gpuE9ELNS1_3repE0EEENS1_30default_config_static_selectorELNS0_4arch9wavefront6targetE0EEEvT1_.kd
    .uniform_work_group_size: 1
    .uses_dynamic_stack: false
    .vgpr_count:     0
    .vgpr_spill_count: 0
    .wavefront_size: 32
  - .args:
      - .offset:         0
        .size:           40
        .value_kind:     by_value
    .group_segment_fixed_size: 0
    .kernarg_segment_align: 8
    .kernarg_segment_size: 40
    .language:       OpenCL C
    .language_version:
      - 2
      - 0
    .max_flat_workgroup_size: 1024
    .name:           _ZN7rocprim17ROCPRIM_400000_NS6detail17trampoline_kernelINS0_14default_configENS1_25transform_config_selectorImLb1EEEZNS1_14transform_implILb1ES3_S5_PmS7_NS0_8identityIvEEEE10hipError_tT2_T3_mT4_P12ihipStream_tbEUlT_E_NS1_11comp_targetILNS1_3genE4ELNS1_11target_archE910ELNS1_3gpuE8ELNS1_3repE0EEENS1_30default_config_static_selectorELNS0_4arch9wavefront6targetE0EEEvT1_
    .private_segment_fixed_size: 0
    .sgpr_count:     0
    .sgpr_spill_count: 0
    .symbol:         _ZN7rocprim17ROCPRIM_400000_NS6detail17trampoline_kernelINS0_14default_configENS1_25transform_config_selectorImLb1EEEZNS1_14transform_implILb1ES3_S5_PmS7_NS0_8identityIvEEEE10hipError_tT2_T3_mT4_P12ihipStream_tbEUlT_E_NS1_11comp_targetILNS1_3genE4ELNS1_11target_archE910ELNS1_3gpuE8ELNS1_3repE0EEENS1_30default_config_static_selectorELNS0_4arch9wavefront6targetE0EEEvT1_.kd
    .uniform_work_group_size: 1
    .uses_dynamic_stack: false
    .vgpr_count:     0
    .vgpr_spill_count: 0
    .wavefront_size: 32
  - .args:
      - .offset:         0
        .size:           40
        .value_kind:     by_value
    .group_segment_fixed_size: 0
    .kernarg_segment_align: 8
    .kernarg_segment_size: 40
    .language:       OpenCL C
    .language_version:
      - 2
      - 0
    .max_flat_workgroup_size: 128
    .name:           _ZN7rocprim17ROCPRIM_400000_NS6detail17trampoline_kernelINS0_14default_configENS1_25transform_config_selectorImLb1EEEZNS1_14transform_implILb1ES3_S5_PmS7_NS0_8identityIvEEEE10hipError_tT2_T3_mT4_P12ihipStream_tbEUlT_E_NS1_11comp_targetILNS1_3genE3ELNS1_11target_archE908ELNS1_3gpuE7ELNS1_3repE0EEENS1_30default_config_static_selectorELNS0_4arch9wavefront6targetE0EEEvT1_
    .private_segment_fixed_size: 0
    .sgpr_count:     0
    .sgpr_spill_count: 0
    .symbol:         _ZN7rocprim17ROCPRIM_400000_NS6detail17trampoline_kernelINS0_14default_configENS1_25transform_config_selectorImLb1EEEZNS1_14transform_implILb1ES3_S5_PmS7_NS0_8identityIvEEEE10hipError_tT2_T3_mT4_P12ihipStream_tbEUlT_E_NS1_11comp_targetILNS1_3genE3ELNS1_11target_archE908ELNS1_3gpuE7ELNS1_3repE0EEENS1_30default_config_static_selectorELNS0_4arch9wavefront6targetE0EEEvT1_.kd
    .uniform_work_group_size: 1
    .uses_dynamic_stack: false
    .vgpr_count:     0
    .vgpr_spill_count: 0
    .wavefront_size: 32
  - .args:
      - .offset:         0
        .size:           40
        .value_kind:     by_value
    .group_segment_fixed_size: 0
    .kernarg_segment_align: 8
    .kernarg_segment_size: 40
    .language:       OpenCL C
    .language_version:
      - 2
      - 0
    .max_flat_workgroup_size: 512
    .name:           _ZN7rocprim17ROCPRIM_400000_NS6detail17trampoline_kernelINS0_14default_configENS1_25transform_config_selectorImLb1EEEZNS1_14transform_implILb1ES3_S5_PmS7_NS0_8identityIvEEEE10hipError_tT2_T3_mT4_P12ihipStream_tbEUlT_E_NS1_11comp_targetILNS1_3genE2ELNS1_11target_archE906ELNS1_3gpuE6ELNS1_3repE0EEENS1_30default_config_static_selectorELNS0_4arch9wavefront6targetE0EEEvT1_
    .private_segment_fixed_size: 0
    .sgpr_count:     0
    .sgpr_spill_count: 0
    .symbol:         _ZN7rocprim17ROCPRIM_400000_NS6detail17trampoline_kernelINS0_14default_configENS1_25transform_config_selectorImLb1EEEZNS1_14transform_implILb1ES3_S5_PmS7_NS0_8identityIvEEEE10hipError_tT2_T3_mT4_P12ihipStream_tbEUlT_E_NS1_11comp_targetILNS1_3genE2ELNS1_11target_archE906ELNS1_3gpuE6ELNS1_3repE0EEENS1_30default_config_static_selectorELNS0_4arch9wavefront6targetE0EEEvT1_.kd
    .uniform_work_group_size: 1
    .uses_dynamic_stack: false
    .vgpr_count:     0
    .vgpr_spill_count: 0
    .wavefront_size: 32
  - .args:
      - .offset:         0
        .size:           40
        .value_kind:     by_value
    .group_segment_fixed_size: 0
    .kernarg_segment_align: 8
    .kernarg_segment_size: 40
    .language:       OpenCL C
    .language_version:
      - 2
      - 0
    .max_flat_workgroup_size: 1024
    .name:           _ZN7rocprim17ROCPRIM_400000_NS6detail17trampoline_kernelINS0_14default_configENS1_25transform_config_selectorImLb1EEEZNS1_14transform_implILb1ES3_S5_PmS7_NS0_8identityIvEEEE10hipError_tT2_T3_mT4_P12ihipStream_tbEUlT_E_NS1_11comp_targetILNS1_3genE9ELNS1_11target_archE1100ELNS1_3gpuE3ELNS1_3repE0EEENS1_30default_config_static_selectorELNS0_4arch9wavefront6targetE0EEEvT1_
    .private_segment_fixed_size: 0
    .sgpr_count:     0
    .sgpr_spill_count: 0
    .symbol:         _ZN7rocprim17ROCPRIM_400000_NS6detail17trampoline_kernelINS0_14default_configENS1_25transform_config_selectorImLb1EEEZNS1_14transform_implILb1ES3_S5_PmS7_NS0_8identityIvEEEE10hipError_tT2_T3_mT4_P12ihipStream_tbEUlT_E_NS1_11comp_targetILNS1_3genE9ELNS1_11target_archE1100ELNS1_3gpuE3ELNS1_3repE0EEENS1_30default_config_static_selectorELNS0_4arch9wavefront6targetE0EEEvT1_.kd
    .uniform_work_group_size: 1
    .uses_dynamic_stack: false
    .vgpr_count:     0
    .vgpr_spill_count: 0
    .wavefront_size: 32
  - .args:
      - .offset:         0
        .size:           40
        .value_kind:     by_value
    .group_segment_fixed_size: 0
    .kernarg_segment_align: 8
    .kernarg_segment_size: 40
    .language:       OpenCL C
    .language_version:
      - 2
      - 0
    .max_flat_workgroup_size: 1024
    .name:           _ZN7rocprim17ROCPRIM_400000_NS6detail17trampoline_kernelINS0_14default_configENS1_25transform_config_selectorImLb1EEEZNS1_14transform_implILb1ES3_S5_PmS7_NS0_8identityIvEEEE10hipError_tT2_T3_mT4_P12ihipStream_tbEUlT_E_NS1_11comp_targetILNS1_3genE8ELNS1_11target_archE1030ELNS1_3gpuE2ELNS1_3repE0EEENS1_30default_config_static_selectorELNS0_4arch9wavefront6targetE0EEEvT1_
    .private_segment_fixed_size: 0
    .sgpr_count:     0
    .sgpr_spill_count: 0
    .symbol:         _ZN7rocprim17ROCPRIM_400000_NS6detail17trampoline_kernelINS0_14default_configENS1_25transform_config_selectorImLb1EEEZNS1_14transform_implILb1ES3_S5_PmS7_NS0_8identityIvEEEE10hipError_tT2_T3_mT4_P12ihipStream_tbEUlT_E_NS1_11comp_targetILNS1_3genE8ELNS1_11target_archE1030ELNS1_3gpuE2ELNS1_3repE0EEENS1_30default_config_static_selectorELNS0_4arch9wavefront6targetE0EEEvT1_.kd
    .uniform_work_group_size: 1
    .uses_dynamic_stack: false
    .vgpr_count:     0
    .vgpr_spill_count: 0
    .wavefront_size: 32
  - .args:
      - .address_space:  global
        .offset:         0
        .size:           8
        .value_kind:     global_buffer
      - .offset:         8
        .size:           4
        .value_kind:     by_value
      - .address_space:  global
        .offset:         16
        .size:           8
        .value_kind:     global_buffer
      - .offset:         24
        .size:           4
        .value_kind:     by_value
      - .address_space:  global
        .offset:         32
        .size:           8
        .value_kind:     global_buffer
      - .offset:         40
        .size:           4
        .value_kind:     hidden_block_count_x
      - .offset:         44
        .size:           4
        .value_kind:     hidden_block_count_y
      - .offset:         48
        .size:           4
        .value_kind:     hidden_block_count_z
      - .offset:         52
        .size:           2
        .value_kind:     hidden_group_size_x
      - .offset:         54
        .size:           2
        .value_kind:     hidden_group_size_y
      - .offset:         56
        .size:           2
        .value_kind:     hidden_group_size_z
      - .offset:         58
        .size:           2
        .value_kind:     hidden_remainder_x
      - .offset:         60
        .size:           2
        .value_kind:     hidden_remainder_y
      - .offset:         62
        .size:           2
        .value_kind:     hidden_remainder_z
      - .offset:         80
        .size:           8
        .value_kind:     hidden_global_offset_x
      - .offset:         88
        .size:           8
        .value_kind:     hidden_global_offset_y
      - .offset:         96
        .size:           8
        .value_kind:     hidden_global_offset_z
      - .offset:         104
        .size:           2
        .value_kind:     hidden_grid_dims
    .group_segment_fixed_size: 0
    .kernarg_segment_align: 8
    .kernarg_segment_size: 296
    .language:       OpenCL C
    .language_version:
      - 2
      - 0
    .max_flat_workgroup_size: 256
    .name:           _ZN7rocprim17ROCPRIM_400000_NS6detail31init_lookback_scan_state_kernelINS1_19lookback_scan_stateIjLb1ELb1EEENS1_16block_id_wrapperIjLb1EEEEEvT_jT0_jPNS7_10value_typeE
    .private_segment_fixed_size: 0
    .sgpr_count:     14
    .sgpr_spill_count: 0
    .symbol:         _ZN7rocprim17ROCPRIM_400000_NS6detail31init_lookback_scan_state_kernelINS1_19lookback_scan_stateIjLb1ELb1EEENS1_16block_id_wrapperIjLb1EEEEEvT_jT0_jPNS7_10value_typeE.kd
    .uniform_work_group_size: 1
    .uses_dynamic_stack: false
    .vgpr_count:     5
    .vgpr_spill_count: 0
    .wavefront_size: 32
  - .args:
      - .offset:         0
        .size:           136
        .value_kind:     by_value
    .group_segment_fixed_size: 0
    .kernarg_segment_align: 8
    .kernarg_segment_size: 136
    .language:       OpenCL C
    .language_version:
      - 2
      - 0
    .max_flat_workgroup_size: 512
    .name:           _ZN7rocprim17ROCPRIM_400000_NS6detail17trampoline_kernelINS0_14default_configENS1_25partition_config_selectorILNS1_17partition_subalgoE8ElNS0_10empty_typeEbEEZZNS1_14partition_implILS5_8ELb0ES3_jPlPS6_PKS6_NS0_5tupleIJS9_S6_EEENSD_IJSA_SA_EEENS0_18inequality_wrapperIZN2at6native12_GLOBAL__N_124unique_dim_cuda_templateIhEESt5tupleIJNSH_6TensorESM_SM_EERKSM_lbbbEUlllE0_EEPmJS6_EEE10hipError_tPvRmT3_T4_T5_T6_T7_T9_mT8_P12ihipStream_tbDpT10_ENKUlT_T0_E_clISt17integral_constantIbLb1EES1C_EEDaS17_S18_EUlS17_E_NS1_11comp_targetILNS1_3genE0ELNS1_11target_archE4294967295ELNS1_3gpuE0ELNS1_3repE0EEENS1_30default_config_static_selectorELNS0_4arch9wavefront6targetE0EEEvT1_
    .private_segment_fixed_size: 0
    .sgpr_count:     0
    .sgpr_spill_count: 0
    .symbol:         _ZN7rocprim17ROCPRIM_400000_NS6detail17trampoline_kernelINS0_14default_configENS1_25partition_config_selectorILNS1_17partition_subalgoE8ElNS0_10empty_typeEbEEZZNS1_14partition_implILS5_8ELb0ES3_jPlPS6_PKS6_NS0_5tupleIJS9_S6_EEENSD_IJSA_SA_EEENS0_18inequality_wrapperIZN2at6native12_GLOBAL__N_124unique_dim_cuda_templateIhEESt5tupleIJNSH_6TensorESM_SM_EERKSM_lbbbEUlllE0_EEPmJS6_EEE10hipError_tPvRmT3_T4_T5_T6_T7_T9_mT8_P12ihipStream_tbDpT10_ENKUlT_T0_E_clISt17integral_constantIbLb1EES1C_EEDaS17_S18_EUlS17_E_NS1_11comp_targetILNS1_3genE0ELNS1_11target_archE4294967295ELNS1_3gpuE0ELNS1_3repE0EEENS1_30default_config_static_selectorELNS0_4arch9wavefront6targetE0EEEvT1_.kd
    .uniform_work_group_size: 1
    .uses_dynamic_stack: false
    .vgpr_count:     0
    .vgpr_spill_count: 0
    .wavefront_size: 32
  - .args:
      - .offset:         0
        .size:           136
        .value_kind:     by_value
    .group_segment_fixed_size: 0
    .kernarg_segment_align: 8
    .kernarg_segment_size: 136
    .language:       OpenCL C
    .language_version:
      - 2
      - 0
    .max_flat_workgroup_size: 512
    .name:           _ZN7rocprim17ROCPRIM_400000_NS6detail17trampoline_kernelINS0_14default_configENS1_25partition_config_selectorILNS1_17partition_subalgoE8ElNS0_10empty_typeEbEEZZNS1_14partition_implILS5_8ELb0ES3_jPlPS6_PKS6_NS0_5tupleIJS9_S6_EEENSD_IJSA_SA_EEENS0_18inequality_wrapperIZN2at6native12_GLOBAL__N_124unique_dim_cuda_templateIhEESt5tupleIJNSH_6TensorESM_SM_EERKSM_lbbbEUlllE0_EEPmJS6_EEE10hipError_tPvRmT3_T4_T5_T6_T7_T9_mT8_P12ihipStream_tbDpT10_ENKUlT_T0_E_clISt17integral_constantIbLb1EES1C_EEDaS17_S18_EUlS17_E_NS1_11comp_targetILNS1_3genE5ELNS1_11target_archE942ELNS1_3gpuE9ELNS1_3repE0EEENS1_30default_config_static_selectorELNS0_4arch9wavefront6targetE0EEEvT1_
    .private_segment_fixed_size: 0
    .sgpr_count:     0
    .sgpr_spill_count: 0
    .symbol:         _ZN7rocprim17ROCPRIM_400000_NS6detail17trampoline_kernelINS0_14default_configENS1_25partition_config_selectorILNS1_17partition_subalgoE8ElNS0_10empty_typeEbEEZZNS1_14partition_implILS5_8ELb0ES3_jPlPS6_PKS6_NS0_5tupleIJS9_S6_EEENSD_IJSA_SA_EEENS0_18inequality_wrapperIZN2at6native12_GLOBAL__N_124unique_dim_cuda_templateIhEESt5tupleIJNSH_6TensorESM_SM_EERKSM_lbbbEUlllE0_EEPmJS6_EEE10hipError_tPvRmT3_T4_T5_T6_T7_T9_mT8_P12ihipStream_tbDpT10_ENKUlT_T0_E_clISt17integral_constantIbLb1EES1C_EEDaS17_S18_EUlS17_E_NS1_11comp_targetILNS1_3genE5ELNS1_11target_archE942ELNS1_3gpuE9ELNS1_3repE0EEENS1_30default_config_static_selectorELNS0_4arch9wavefront6targetE0EEEvT1_.kd
    .uniform_work_group_size: 1
    .uses_dynamic_stack: false
    .vgpr_count:     0
    .vgpr_spill_count: 0
    .wavefront_size: 32
  - .args:
      - .offset:         0
        .size:           136
        .value_kind:     by_value
    .group_segment_fixed_size: 0
    .kernarg_segment_align: 8
    .kernarg_segment_size: 136
    .language:       OpenCL C
    .language_version:
      - 2
      - 0
    .max_flat_workgroup_size: 256
    .name:           _ZN7rocprim17ROCPRIM_400000_NS6detail17trampoline_kernelINS0_14default_configENS1_25partition_config_selectorILNS1_17partition_subalgoE8ElNS0_10empty_typeEbEEZZNS1_14partition_implILS5_8ELb0ES3_jPlPS6_PKS6_NS0_5tupleIJS9_S6_EEENSD_IJSA_SA_EEENS0_18inequality_wrapperIZN2at6native12_GLOBAL__N_124unique_dim_cuda_templateIhEESt5tupleIJNSH_6TensorESM_SM_EERKSM_lbbbEUlllE0_EEPmJS6_EEE10hipError_tPvRmT3_T4_T5_T6_T7_T9_mT8_P12ihipStream_tbDpT10_ENKUlT_T0_E_clISt17integral_constantIbLb1EES1C_EEDaS17_S18_EUlS17_E_NS1_11comp_targetILNS1_3genE4ELNS1_11target_archE910ELNS1_3gpuE8ELNS1_3repE0EEENS1_30default_config_static_selectorELNS0_4arch9wavefront6targetE0EEEvT1_
    .private_segment_fixed_size: 0
    .sgpr_count:     0
    .sgpr_spill_count: 0
    .symbol:         _ZN7rocprim17ROCPRIM_400000_NS6detail17trampoline_kernelINS0_14default_configENS1_25partition_config_selectorILNS1_17partition_subalgoE8ElNS0_10empty_typeEbEEZZNS1_14partition_implILS5_8ELb0ES3_jPlPS6_PKS6_NS0_5tupleIJS9_S6_EEENSD_IJSA_SA_EEENS0_18inequality_wrapperIZN2at6native12_GLOBAL__N_124unique_dim_cuda_templateIhEESt5tupleIJNSH_6TensorESM_SM_EERKSM_lbbbEUlllE0_EEPmJS6_EEE10hipError_tPvRmT3_T4_T5_T6_T7_T9_mT8_P12ihipStream_tbDpT10_ENKUlT_T0_E_clISt17integral_constantIbLb1EES1C_EEDaS17_S18_EUlS17_E_NS1_11comp_targetILNS1_3genE4ELNS1_11target_archE910ELNS1_3gpuE8ELNS1_3repE0EEENS1_30default_config_static_selectorELNS0_4arch9wavefront6targetE0EEEvT1_.kd
    .uniform_work_group_size: 1
    .uses_dynamic_stack: false
    .vgpr_count:     0
    .vgpr_spill_count: 0
    .wavefront_size: 32
  - .args:
      - .offset:         0
        .size:           136
        .value_kind:     by_value
    .group_segment_fixed_size: 0
    .kernarg_segment_align: 8
    .kernarg_segment_size: 136
    .language:       OpenCL C
    .language_version:
      - 2
      - 0
    .max_flat_workgroup_size: 512
    .name:           _ZN7rocprim17ROCPRIM_400000_NS6detail17trampoline_kernelINS0_14default_configENS1_25partition_config_selectorILNS1_17partition_subalgoE8ElNS0_10empty_typeEbEEZZNS1_14partition_implILS5_8ELb0ES3_jPlPS6_PKS6_NS0_5tupleIJS9_S6_EEENSD_IJSA_SA_EEENS0_18inequality_wrapperIZN2at6native12_GLOBAL__N_124unique_dim_cuda_templateIhEESt5tupleIJNSH_6TensorESM_SM_EERKSM_lbbbEUlllE0_EEPmJS6_EEE10hipError_tPvRmT3_T4_T5_T6_T7_T9_mT8_P12ihipStream_tbDpT10_ENKUlT_T0_E_clISt17integral_constantIbLb1EES1C_EEDaS17_S18_EUlS17_E_NS1_11comp_targetILNS1_3genE3ELNS1_11target_archE908ELNS1_3gpuE7ELNS1_3repE0EEENS1_30default_config_static_selectorELNS0_4arch9wavefront6targetE0EEEvT1_
    .private_segment_fixed_size: 0
    .sgpr_count:     0
    .sgpr_spill_count: 0
    .symbol:         _ZN7rocprim17ROCPRIM_400000_NS6detail17trampoline_kernelINS0_14default_configENS1_25partition_config_selectorILNS1_17partition_subalgoE8ElNS0_10empty_typeEbEEZZNS1_14partition_implILS5_8ELb0ES3_jPlPS6_PKS6_NS0_5tupleIJS9_S6_EEENSD_IJSA_SA_EEENS0_18inequality_wrapperIZN2at6native12_GLOBAL__N_124unique_dim_cuda_templateIhEESt5tupleIJNSH_6TensorESM_SM_EERKSM_lbbbEUlllE0_EEPmJS6_EEE10hipError_tPvRmT3_T4_T5_T6_T7_T9_mT8_P12ihipStream_tbDpT10_ENKUlT_T0_E_clISt17integral_constantIbLb1EES1C_EEDaS17_S18_EUlS17_E_NS1_11comp_targetILNS1_3genE3ELNS1_11target_archE908ELNS1_3gpuE7ELNS1_3repE0EEENS1_30default_config_static_selectorELNS0_4arch9wavefront6targetE0EEEvT1_.kd
    .uniform_work_group_size: 1
    .uses_dynamic_stack: false
    .vgpr_count:     0
    .vgpr_spill_count: 0
    .wavefront_size: 32
  - .args:
      - .offset:         0
        .size:           136
        .value_kind:     by_value
    .group_segment_fixed_size: 0
    .kernarg_segment_align: 8
    .kernarg_segment_size: 136
    .language:       OpenCL C
    .language_version:
      - 2
      - 0
    .max_flat_workgroup_size: 256
    .name:           _ZN7rocprim17ROCPRIM_400000_NS6detail17trampoline_kernelINS0_14default_configENS1_25partition_config_selectorILNS1_17partition_subalgoE8ElNS0_10empty_typeEbEEZZNS1_14partition_implILS5_8ELb0ES3_jPlPS6_PKS6_NS0_5tupleIJS9_S6_EEENSD_IJSA_SA_EEENS0_18inequality_wrapperIZN2at6native12_GLOBAL__N_124unique_dim_cuda_templateIhEESt5tupleIJNSH_6TensorESM_SM_EERKSM_lbbbEUlllE0_EEPmJS6_EEE10hipError_tPvRmT3_T4_T5_T6_T7_T9_mT8_P12ihipStream_tbDpT10_ENKUlT_T0_E_clISt17integral_constantIbLb1EES1C_EEDaS17_S18_EUlS17_E_NS1_11comp_targetILNS1_3genE2ELNS1_11target_archE906ELNS1_3gpuE6ELNS1_3repE0EEENS1_30default_config_static_selectorELNS0_4arch9wavefront6targetE0EEEvT1_
    .private_segment_fixed_size: 0
    .sgpr_count:     0
    .sgpr_spill_count: 0
    .symbol:         _ZN7rocprim17ROCPRIM_400000_NS6detail17trampoline_kernelINS0_14default_configENS1_25partition_config_selectorILNS1_17partition_subalgoE8ElNS0_10empty_typeEbEEZZNS1_14partition_implILS5_8ELb0ES3_jPlPS6_PKS6_NS0_5tupleIJS9_S6_EEENSD_IJSA_SA_EEENS0_18inequality_wrapperIZN2at6native12_GLOBAL__N_124unique_dim_cuda_templateIhEESt5tupleIJNSH_6TensorESM_SM_EERKSM_lbbbEUlllE0_EEPmJS6_EEE10hipError_tPvRmT3_T4_T5_T6_T7_T9_mT8_P12ihipStream_tbDpT10_ENKUlT_T0_E_clISt17integral_constantIbLb1EES1C_EEDaS17_S18_EUlS17_E_NS1_11comp_targetILNS1_3genE2ELNS1_11target_archE906ELNS1_3gpuE6ELNS1_3repE0EEENS1_30default_config_static_selectorELNS0_4arch9wavefront6targetE0EEEvT1_.kd
    .uniform_work_group_size: 1
    .uses_dynamic_stack: false
    .vgpr_count:     0
    .vgpr_spill_count: 0
    .wavefront_size: 32
  - .args:
      - .offset:         0
        .size:           136
        .value_kind:     by_value
    .group_segment_fixed_size: 0
    .kernarg_segment_align: 8
    .kernarg_segment_size: 136
    .language:       OpenCL C
    .language_version:
      - 2
      - 0
    .max_flat_workgroup_size: 384
    .name:           _ZN7rocprim17ROCPRIM_400000_NS6detail17trampoline_kernelINS0_14default_configENS1_25partition_config_selectorILNS1_17partition_subalgoE8ElNS0_10empty_typeEbEEZZNS1_14partition_implILS5_8ELb0ES3_jPlPS6_PKS6_NS0_5tupleIJS9_S6_EEENSD_IJSA_SA_EEENS0_18inequality_wrapperIZN2at6native12_GLOBAL__N_124unique_dim_cuda_templateIhEESt5tupleIJNSH_6TensorESM_SM_EERKSM_lbbbEUlllE0_EEPmJS6_EEE10hipError_tPvRmT3_T4_T5_T6_T7_T9_mT8_P12ihipStream_tbDpT10_ENKUlT_T0_E_clISt17integral_constantIbLb1EES1C_EEDaS17_S18_EUlS17_E_NS1_11comp_targetILNS1_3genE10ELNS1_11target_archE1200ELNS1_3gpuE4ELNS1_3repE0EEENS1_30default_config_static_selectorELNS0_4arch9wavefront6targetE0EEEvT1_
    .private_segment_fixed_size: 0
    .sgpr_count:     0
    .sgpr_spill_count: 0
    .symbol:         _ZN7rocprim17ROCPRIM_400000_NS6detail17trampoline_kernelINS0_14default_configENS1_25partition_config_selectorILNS1_17partition_subalgoE8ElNS0_10empty_typeEbEEZZNS1_14partition_implILS5_8ELb0ES3_jPlPS6_PKS6_NS0_5tupleIJS9_S6_EEENSD_IJSA_SA_EEENS0_18inequality_wrapperIZN2at6native12_GLOBAL__N_124unique_dim_cuda_templateIhEESt5tupleIJNSH_6TensorESM_SM_EERKSM_lbbbEUlllE0_EEPmJS6_EEE10hipError_tPvRmT3_T4_T5_T6_T7_T9_mT8_P12ihipStream_tbDpT10_ENKUlT_T0_E_clISt17integral_constantIbLb1EES1C_EEDaS17_S18_EUlS17_E_NS1_11comp_targetILNS1_3genE10ELNS1_11target_archE1200ELNS1_3gpuE4ELNS1_3repE0EEENS1_30default_config_static_selectorELNS0_4arch9wavefront6targetE0EEEvT1_.kd
    .uniform_work_group_size: 1
    .uses_dynamic_stack: false
    .vgpr_count:     0
    .vgpr_spill_count: 0
    .wavefront_size: 32
  - .args:
      - .offset:         0
        .size:           136
        .value_kind:     by_value
    .group_segment_fixed_size: 0
    .kernarg_segment_align: 8
    .kernarg_segment_size: 136
    .language:       OpenCL C
    .language_version:
      - 2
      - 0
    .max_flat_workgroup_size: 512
    .name:           _ZN7rocprim17ROCPRIM_400000_NS6detail17trampoline_kernelINS0_14default_configENS1_25partition_config_selectorILNS1_17partition_subalgoE8ElNS0_10empty_typeEbEEZZNS1_14partition_implILS5_8ELb0ES3_jPlPS6_PKS6_NS0_5tupleIJS9_S6_EEENSD_IJSA_SA_EEENS0_18inequality_wrapperIZN2at6native12_GLOBAL__N_124unique_dim_cuda_templateIhEESt5tupleIJNSH_6TensorESM_SM_EERKSM_lbbbEUlllE0_EEPmJS6_EEE10hipError_tPvRmT3_T4_T5_T6_T7_T9_mT8_P12ihipStream_tbDpT10_ENKUlT_T0_E_clISt17integral_constantIbLb1EES1C_EEDaS17_S18_EUlS17_E_NS1_11comp_targetILNS1_3genE9ELNS1_11target_archE1100ELNS1_3gpuE3ELNS1_3repE0EEENS1_30default_config_static_selectorELNS0_4arch9wavefront6targetE0EEEvT1_
    .private_segment_fixed_size: 0
    .sgpr_count:     0
    .sgpr_spill_count: 0
    .symbol:         _ZN7rocprim17ROCPRIM_400000_NS6detail17trampoline_kernelINS0_14default_configENS1_25partition_config_selectorILNS1_17partition_subalgoE8ElNS0_10empty_typeEbEEZZNS1_14partition_implILS5_8ELb0ES3_jPlPS6_PKS6_NS0_5tupleIJS9_S6_EEENSD_IJSA_SA_EEENS0_18inequality_wrapperIZN2at6native12_GLOBAL__N_124unique_dim_cuda_templateIhEESt5tupleIJNSH_6TensorESM_SM_EERKSM_lbbbEUlllE0_EEPmJS6_EEE10hipError_tPvRmT3_T4_T5_T6_T7_T9_mT8_P12ihipStream_tbDpT10_ENKUlT_T0_E_clISt17integral_constantIbLb1EES1C_EEDaS17_S18_EUlS17_E_NS1_11comp_targetILNS1_3genE9ELNS1_11target_archE1100ELNS1_3gpuE3ELNS1_3repE0EEENS1_30default_config_static_selectorELNS0_4arch9wavefront6targetE0EEEvT1_.kd
    .uniform_work_group_size: 1
    .uses_dynamic_stack: false
    .vgpr_count:     0
    .vgpr_spill_count: 0
    .wavefront_size: 32
  - .args:
      - .offset:         0
        .size:           136
        .value_kind:     by_value
    .group_segment_fixed_size: 0
    .kernarg_segment_align: 8
    .kernarg_segment_size: 136
    .language:       OpenCL C
    .language_version:
      - 2
      - 0
    .max_flat_workgroup_size: 512
    .name:           _ZN7rocprim17ROCPRIM_400000_NS6detail17trampoline_kernelINS0_14default_configENS1_25partition_config_selectorILNS1_17partition_subalgoE8ElNS0_10empty_typeEbEEZZNS1_14partition_implILS5_8ELb0ES3_jPlPS6_PKS6_NS0_5tupleIJS9_S6_EEENSD_IJSA_SA_EEENS0_18inequality_wrapperIZN2at6native12_GLOBAL__N_124unique_dim_cuda_templateIhEESt5tupleIJNSH_6TensorESM_SM_EERKSM_lbbbEUlllE0_EEPmJS6_EEE10hipError_tPvRmT3_T4_T5_T6_T7_T9_mT8_P12ihipStream_tbDpT10_ENKUlT_T0_E_clISt17integral_constantIbLb1EES1C_EEDaS17_S18_EUlS17_E_NS1_11comp_targetILNS1_3genE8ELNS1_11target_archE1030ELNS1_3gpuE2ELNS1_3repE0EEENS1_30default_config_static_selectorELNS0_4arch9wavefront6targetE0EEEvT1_
    .private_segment_fixed_size: 0
    .sgpr_count:     0
    .sgpr_spill_count: 0
    .symbol:         _ZN7rocprim17ROCPRIM_400000_NS6detail17trampoline_kernelINS0_14default_configENS1_25partition_config_selectorILNS1_17partition_subalgoE8ElNS0_10empty_typeEbEEZZNS1_14partition_implILS5_8ELb0ES3_jPlPS6_PKS6_NS0_5tupleIJS9_S6_EEENSD_IJSA_SA_EEENS0_18inequality_wrapperIZN2at6native12_GLOBAL__N_124unique_dim_cuda_templateIhEESt5tupleIJNSH_6TensorESM_SM_EERKSM_lbbbEUlllE0_EEPmJS6_EEE10hipError_tPvRmT3_T4_T5_T6_T7_T9_mT8_P12ihipStream_tbDpT10_ENKUlT_T0_E_clISt17integral_constantIbLb1EES1C_EEDaS17_S18_EUlS17_E_NS1_11comp_targetILNS1_3genE8ELNS1_11target_archE1030ELNS1_3gpuE2ELNS1_3repE0EEENS1_30default_config_static_selectorELNS0_4arch9wavefront6targetE0EEEvT1_.kd
    .uniform_work_group_size: 1
    .uses_dynamic_stack: false
    .vgpr_count:     0
    .vgpr_spill_count: 0
    .wavefront_size: 32
  - .args:
      - .address_space:  global
        .offset:         0
        .size:           8
        .value_kind:     global_buffer
      - .offset:         8
        .size:           4
        .value_kind:     by_value
      - .offset:         12
        .size:           1
        .value_kind:     by_value
      - .offset:         16
        .size:           4
        .value_kind:     by_value
      - .address_space:  global
        .offset:         24
        .size:           8
        .value_kind:     global_buffer
      - .offset:         32
        .size:           4
        .value_kind:     hidden_block_count_x
      - .offset:         36
        .size:           4
        .value_kind:     hidden_block_count_y
      - .offset:         40
        .size:           4
        .value_kind:     hidden_block_count_z
      - .offset:         44
        .size:           2
        .value_kind:     hidden_group_size_x
      - .offset:         46
        .size:           2
        .value_kind:     hidden_group_size_y
      - .offset:         48
        .size:           2
        .value_kind:     hidden_group_size_z
      - .offset:         50
        .size:           2
        .value_kind:     hidden_remainder_x
      - .offset:         52
        .size:           2
        .value_kind:     hidden_remainder_y
      - .offset:         54
        .size:           2
        .value_kind:     hidden_remainder_z
      - .offset:         72
        .size:           8
        .value_kind:     hidden_global_offset_x
      - .offset:         80
        .size:           8
        .value_kind:     hidden_global_offset_y
      - .offset:         88
        .size:           8
        .value_kind:     hidden_global_offset_z
      - .offset:         96
        .size:           2
        .value_kind:     hidden_grid_dims
    .group_segment_fixed_size: 0
    .kernarg_segment_align: 8
    .kernarg_segment_size: 288
    .language:       OpenCL C
    .language_version:
      - 2
      - 0
    .max_flat_workgroup_size: 256
    .name:           _ZN7rocprim17ROCPRIM_400000_NS6detail31init_lookback_scan_state_kernelINS1_19lookback_scan_stateIjLb1ELb1EEENS1_16block_id_wrapperIjLb0EEEEEvT_jT0_jPNS7_10value_typeE
    .private_segment_fixed_size: 0
    .sgpr_count:     13
    .sgpr_spill_count: 0
    .symbol:         _ZN7rocprim17ROCPRIM_400000_NS6detail31init_lookback_scan_state_kernelINS1_19lookback_scan_stateIjLb1ELb1EEENS1_16block_id_wrapperIjLb0EEEEEvT_jT0_jPNS7_10value_typeE.kd
    .uniform_work_group_size: 1
    .uses_dynamic_stack: false
    .vgpr_count:     5
    .vgpr_spill_count: 0
    .wavefront_size: 32
  - .args:
      - .offset:         0
        .size:           120
        .value_kind:     by_value
    .group_segment_fixed_size: 0
    .kernarg_segment_align: 8
    .kernarg_segment_size: 120
    .language:       OpenCL C
    .language_version:
      - 2
      - 0
    .max_flat_workgroup_size: 512
    .name:           _ZN7rocprim17ROCPRIM_400000_NS6detail17trampoline_kernelINS0_14default_configENS1_25partition_config_selectorILNS1_17partition_subalgoE8ElNS0_10empty_typeEbEEZZNS1_14partition_implILS5_8ELb0ES3_jPlPS6_PKS6_NS0_5tupleIJS9_S6_EEENSD_IJSA_SA_EEENS0_18inequality_wrapperIZN2at6native12_GLOBAL__N_124unique_dim_cuda_templateIhEESt5tupleIJNSH_6TensorESM_SM_EERKSM_lbbbEUlllE0_EEPmJS6_EEE10hipError_tPvRmT3_T4_T5_T6_T7_T9_mT8_P12ihipStream_tbDpT10_ENKUlT_T0_E_clISt17integral_constantIbLb1EES1B_IbLb0EEEEDaS17_S18_EUlS17_E_NS1_11comp_targetILNS1_3genE0ELNS1_11target_archE4294967295ELNS1_3gpuE0ELNS1_3repE0EEENS1_30default_config_static_selectorELNS0_4arch9wavefront6targetE0EEEvT1_
    .private_segment_fixed_size: 0
    .sgpr_count:     0
    .sgpr_spill_count: 0
    .symbol:         _ZN7rocprim17ROCPRIM_400000_NS6detail17trampoline_kernelINS0_14default_configENS1_25partition_config_selectorILNS1_17partition_subalgoE8ElNS0_10empty_typeEbEEZZNS1_14partition_implILS5_8ELb0ES3_jPlPS6_PKS6_NS0_5tupleIJS9_S6_EEENSD_IJSA_SA_EEENS0_18inequality_wrapperIZN2at6native12_GLOBAL__N_124unique_dim_cuda_templateIhEESt5tupleIJNSH_6TensorESM_SM_EERKSM_lbbbEUlllE0_EEPmJS6_EEE10hipError_tPvRmT3_T4_T5_T6_T7_T9_mT8_P12ihipStream_tbDpT10_ENKUlT_T0_E_clISt17integral_constantIbLb1EES1B_IbLb0EEEEDaS17_S18_EUlS17_E_NS1_11comp_targetILNS1_3genE0ELNS1_11target_archE4294967295ELNS1_3gpuE0ELNS1_3repE0EEENS1_30default_config_static_selectorELNS0_4arch9wavefront6targetE0EEEvT1_.kd
    .uniform_work_group_size: 1
    .uses_dynamic_stack: false
    .vgpr_count:     0
    .vgpr_spill_count: 0
    .wavefront_size: 32
  - .args:
      - .offset:         0
        .size:           120
        .value_kind:     by_value
    .group_segment_fixed_size: 0
    .kernarg_segment_align: 8
    .kernarg_segment_size: 120
    .language:       OpenCL C
    .language_version:
      - 2
      - 0
    .max_flat_workgroup_size: 512
    .name:           _ZN7rocprim17ROCPRIM_400000_NS6detail17trampoline_kernelINS0_14default_configENS1_25partition_config_selectorILNS1_17partition_subalgoE8ElNS0_10empty_typeEbEEZZNS1_14partition_implILS5_8ELb0ES3_jPlPS6_PKS6_NS0_5tupleIJS9_S6_EEENSD_IJSA_SA_EEENS0_18inequality_wrapperIZN2at6native12_GLOBAL__N_124unique_dim_cuda_templateIhEESt5tupleIJNSH_6TensorESM_SM_EERKSM_lbbbEUlllE0_EEPmJS6_EEE10hipError_tPvRmT3_T4_T5_T6_T7_T9_mT8_P12ihipStream_tbDpT10_ENKUlT_T0_E_clISt17integral_constantIbLb1EES1B_IbLb0EEEEDaS17_S18_EUlS17_E_NS1_11comp_targetILNS1_3genE5ELNS1_11target_archE942ELNS1_3gpuE9ELNS1_3repE0EEENS1_30default_config_static_selectorELNS0_4arch9wavefront6targetE0EEEvT1_
    .private_segment_fixed_size: 0
    .sgpr_count:     0
    .sgpr_spill_count: 0
    .symbol:         _ZN7rocprim17ROCPRIM_400000_NS6detail17trampoline_kernelINS0_14default_configENS1_25partition_config_selectorILNS1_17partition_subalgoE8ElNS0_10empty_typeEbEEZZNS1_14partition_implILS5_8ELb0ES3_jPlPS6_PKS6_NS0_5tupleIJS9_S6_EEENSD_IJSA_SA_EEENS0_18inequality_wrapperIZN2at6native12_GLOBAL__N_124unique_dim_cuda_templateIhEESt5tupleIJNSH_6TensorESM_SM_EERKSM_lbbbEUlllE0_EEPmJS6_EEE10hipError_tPvRmT3_T4_T5_T6_T7_T9_mT8_P12ihipStream_tbDpT10_ENKUlT_T0_E_clISt17integral_constantIbLb1EES1B_IbLb0EEEEDaS17_S18_EUlS17_E_NS1_11comp_targetILNS1_3genE5ELNS1_11target_archE942ELNS1_3gpuE9ELNS1_3repE0EEENS1_30default_config_static_selectorELNS0_4arch9wavefront6targetE0EEEvT1_.kd
    .uniform_work_group_size: 1
    .uses_dynamic_stack: false
    .vgpr_count:     0
    .vgpr_spill_count: 0
    .wavefront_size: 32
  - .args:
      - .offset:         0
        .size:           120
        .value_kind:     by_value
    .group_segment_fixed_size: 0
    .kernarg_segment_align: 8
    .kernarg_segment_size: 120
    .language:       OpenCL C
    .language_version:
      - 2
      - 0
    .max_flat_workgroup_size: 256
    .name:           _ZN7rocprim17ROCPRIM_400000_NS6detail17trampoline_kernelINS0_14default_configENS1_25partition_config_selectorILNS1_17partition_subalgoE8ElNS0_10empty_typeEbEEZZNS1_14partition_implILS5_8ELb0ES3_jPlPS6_PKS6_NS0_5tupleIJS9_S6_EEENSD_IJSA_SA_EEENS0_18inequality_wrapperIZN2at6native12_GLOBAL__N_124unique_dim_cuda_templateIhEESt5tupleIJNSH_6TensorESM_SM_EERKSM_lbbbEUlllE0_EEPmJS6_EEE10hipError_tPvRmT3_T4_T5_T6_T7_T9_mT8_P12ihipStream_tbDpT10_ENKUlT_T0_E_clISt17integral_constantIbLb1EES1B_IbLb0EEEEDaS17_S18_EUlS17_E_NS1_11comp_targetILNS1_3genE4ELNS1_11target_archE910ELNS1_3gpuE8ELNS1_3repE0EEENS1_30default_config_static_selectorELNS0_4arch9wavefront6targetE0EEEvT1_
    .private_segment_fixed_size: 0
    .sgpr_count:     0
    .sgpr_spill_count: 0
    .symbol:         _ZN7rocprim17ROCPRIM_400000_NS6detail17trampoline_kernelINS0_14default_configENS1_25partition_config_selectorILNS1_17partition_subalgoE8ElNS0_10empty_typeEbEEZZNS1_14partition_implILS5_8ELb0ES3_jPlPS6_PKS6_NS0_5tupleIJS9_S6_EEENSD_IJSA_SA_EEENS0_18inequality_wrapperIZN2at6native12_GLOBAL__N_124unique_dim_cuda_templateIhEESt5tupleIJNSH_6TensorESM_SM_EERKSM_lbbbEUlllE0_EEPmJS6_EEE10hipError_tPvRmT3_T4_T5_T6_T7_T9_mT8_P12ihipStream_tbDpT10_ENKUlT_T0_E_clISt17integral_constantIbLb1EES1B_IbLb0EEEEDaS17_S18_EUlS17_E_NS1_11comp_targetILNS1_3genE4ELNS1_11target_archE910ELNS1_3gpuE8ELNS1_3repE0EEENS1_30default_config_static_selectorELNS0_4arch9wavefront6targetE0EEEvT1_.kd
    .uniform_work_group_size: 1
    .uses_dynamic_stack: false
    .vgpr_count:     0
    .vgpr_spill_count: 0
    .wavefront_size: 32
  - .args:
      - .offset:         0
        .size:           120
        .value_kind:     by_value
    .group_segment_fixed_size: 0
    .kernarg_segment_align: 8
    .kernarg_segment_size: 120
    .language:       OpenCL C
    .language_version:
      - 2
      - 0
    .max_flat_workgroup_size: 512
    .name:           _ZN7rocprim17ROCPRIM_400000_NS6detail17trampoline_kernelINS0_14default_configENS1_25partition_config_selectorILNS1_17partition_subalgoE8ElNS0_10empty_typeEbEEZZNS1_14partition_implILS5_8ELb0ES3_jPlPS6_PKS6_NS0_5tupleIJS9_S6_EEENSD_IJSA_SA_EEENS0_18inequality_wrapperIZN2at6native12_GLOBAL__N_124unique_dim_cuda_templateIhEESt5tupleIJNSH_6TensorESM_SM_EERKSM_lbbbEUlllE0_EEPmJS6_EEE10hipError_tPvRmT3_T4_T5_T6_T7_T9_mT8_P12ihipStream_tbDpT10_ENKUlT_T0_E_clISt17integral_constantIbLb1EES1B_IbLb0EEEEDaS17_S18_EUlS17_E_NS1_11comp_targetILNS1_3genE3ELNS1_11target_archE908ELNS1_3gpuE7ELNS1_3repE0EEENS1_30default_config_static_selectorELNS0_4arch9wavefront6targetE0EEEvT1_
    .private_segment_fixed_size: 0
    .sgpr_count:     0
    .sgpr_spill_count: 0
    .symbol:         _ZN7rocprim17ROCPRIM_400000_NS6detail17trampoline_kernelINS0_14default_configENS1_25partition_config_selectorILNS1_17partition_subalgoE8ElNS0_10empty_typeEbEEZZNS1_14partition_implILS5_8ELb0ES3_jPlPS6_PKS6_NS0_5tupleIJS9_S6_EEENSD_IJSA_SA_EEENS0_18inequality_wrapperIZN2at6native12_GLOBAL__N_124unique_dim_cuda_templateIhEESt5tupleIJNSH_6TensorESM_SM_EERKSM_lbbbEUlllE0_EEPmJS6_EEE10hipError_tPvRmT3_T4_T5_T6_T7_T9_mT8_P12ihipStream_tbDpT10_ENKUlT_T0_E_clISt17integral_constantIbLb1EES1B_IbLb0EEEEDaS17_S18_EUlS17_E_NS1_11comp_targetILNS1_3genE3ELNS1_11target_archE908ELNS1_3gpuE7ELNS1_3repE0EEENS1_30default_config_static_selectorELNS0_4arch9wavefront6targetE0EEEvT1_.kd
    .uniform_work_group_size: 1
    .uses_dynamic_stack: false
    .vgpr_count:     0
    .vgpr_spill_count: 0
    .wavefront_size: 32
  - .args:
      - .offset:         0
        .size:           120
        .value_kind:     by_value
    .group_segment_fixed_size: 0
    .kernarg_segment_align: 8
    .kernarg_segment_size: 120
    .language:       OpenCL C
    .language_version:
      - 2
      - 0
    .max_flat_workgroup_size: 256
    .name:           _ZN7rocprim17ROCPRIM_400000_NS6detail17trampoline_kernelINS0_14default_configENS1_25partition_config_selectorILNS1_17partition_subalgoE8ElNS0_10empty_typeEbEEZZNS1_14partition_implILS5_8ELb0ES3_jPlPS6_PKS6_NS0_5tupleIJS9_S6_EEENSD_IJSA_SA_EEENS0_18inequality_wrapperIZN2at6native12_GLOBAL__N_124unique_dim_cuda_templateIhEESt5tupleIJNSH_6TensorESM_SM_EERKSM_lbbbEUlllE0_EEPmJS6_EEE10hipError_tPvRmT3_T4_T5_T6_T7_T9_mT8_P12ihipStream_tbDpT10_ENKUlT_T0_E_clISt17integral_constantIbLb1EES1B_IbLb0EEEEDaS17_S18_EUlS17_E_NS1_11comp_targetILNS1_3genE2ELNS1_11target_archE906ELNS1_3gpuE6ELNS1_3repE0EEENS1_30default_config_static_selectorELNS0_4arch9wavefront6targetE0EEEvT1_
    .private_segment_fixed_size: 0
    .sgpr_count:     0
    .sgpr_spill_count: 0
    .symbol:         _ZN7rocprim17ROCPRIM_400000_NS6detail17trampoline_kernelINS0_14default_configENS1_25partition_config_selectorILNS1_17partition_subalgoE8ElNS0_10empty_typeEbEEZZNS1_14partition_implILS5_8ELb0ES3_jPlPS6_PKS6_NS0_5tupleIJS9_S6_EEENSD_IJSA_SA_EEENS0_18inequality_wrapperIZN2at6native12_GLOBAL__N_124unique_dim_cuda_templateIhEESt5tupleIJNSH_6TensorESM_SM_EERKSM_lbbbEUlllE0_EEPmJS6_EEE10hipError_tPvRmT3_T4_T5_T6_T7_T9_mT8_P12ihipStream_tbDpT10_ENKUlT_T0_E_clISt17integral_constantIbLb1EES1B_IbLb0EEEEDaS17_S18_EUlS17_E_NS1_11comp_targetILNS1_3genE2ELNS1_11target_archE906ELNS1_3gpuE6ELNS1_3repE0EEENS1_30default_config_static_selectorELNS0_4arch9wavefront6targetE0EEEvT1_.kd
    .uniform_work_group_size: 1
    .uses_dynamic_stack: false
    .vgpr_count:     0
    .vgpr_spill_count: 0
    .wavefront_size: 32
  - .args:
      - .offset:         0
        .size:           120
        .value_kind:     by_value
    .group_segment_fixed_size: 0
    .kernarg_segment_align: 8
    .kernarg_segment_size: 120
    .language:       OpenCL C
    .language_version:
      - 2
      - 0
    .max_flat_workgroup_size: 384
    .name:           _ZN7rocprim17ROCPRIM_400000_NS6detail17trampoline_kernelINS0_14default_configENS1_25partition_config_selectorILNS1_17partition_subalgoE8ElNS0_10empty_typeEbEEZZNS1_14partition_implILS5_8ELb0ES3_jPlPS6_PKS6_NS0_5tupleIJS9_S6_EEENSD_IJSA_SA_EEENS0_18inequality_wrapperIZN2at6native12_GLOBAL__N_124unique_dim_cuda_templateIhEESt5tupleIJNSH_6TensorESM_SM_EERKSM_lbbbEUlllE0_EEPmJS6_EEE10hipError_tPvRmT3_T4_T5_T6_T7_T9_mT8_P12ihipStream_tbDpT10_ENKUlT_T0_E_clISt17integral_constantIbLb1EES1B_IbLb0EEEEDaS17_S18_EUlS17_E_NS1_11comp_targetILNS1_3genE10ELNS1_11target_archE1200ELNS1_3gpuE4ELNS1_3repE0EEENS1_30default_config_static_selectorELNS0_4arch9wavefront6targetE0EEEvT1_
    .private_segment_fixed_size: 0
    .sgpr_count:     0
    .sgpr_spill_count: 0
    .symbol:         _ZN7rocprim17ROCPRIM_400000_NS6detail17trampoline_kernelINS0_14default_configENS1_25partition_config_selectorILNS1_17partition_subalgoE8ElNS0_10empty_typeEbEEZZNS1_14partition_implILS5_8ELb0ES3_jPlPS6_PKS6_NS0_5tupleIJS9_S6_EEENSD_IJSA_SA_EEENS0_18inequality_wrapperIZN2at6native12_GLOBAL__N_124unique_dim_cuda_templateIhEESt5tupleIJNSH_6TensorESM_SM_EERKSM_lbbbEUlllE0_EEPmJS6_EEE10hipError_tPvRmT3_T4_T5_T6_T7_T9_mT8_P12ihipStream_tbDpT10_ENKUlT_T0_E_clISt17integral_constantIbLb1EES1B_IbLb0EEEEDaS17_S18_EUlS17_E_NS1_11comp_targetILNS1_3genE10ELNS1_11target_archE1200ELNS1_3gpuE4ELNS1_3repE0EEENS1_30default_config_static_selectorELNS0_4arch9wavefront6targetE0EEEvT1_.kd
    .uniform_work_group_size: 1
    .uses_dynamic_stack: false
    .vgpr_count:     0
    .vgpr_spill_count: 0
    .wavefront_size: 32
  - .args:
      - .offset:         0
        .size:           120
        .value_kind:     by_value
    .group_segment_fixed_size: 0
    .kernarg_segment_align: 8
    .kernarg_segment_size: 120
    .language:       OpenCL C
    .language_version:
      - 2
      - 0
    .max_flat_workgroup_size: 512
    .name:           _ZN7rocprim17ROCPRIM_400000_NS6detail17trampoline_kernelINS0_14default_configENS1_25partition_config_selectorILNS1_17partition_subalgoE8ElNS0_10empty_typeEbEEZZNS1_14partition_implILS5_8ELb0ES3_jPlPS6_PKS6_NS0_5tupleIJS9_S6_EEENSD_IJSA_SA_EEENS0_18inequality_wrapperIZN2at6native12_GLOBAL__N_124unique_dim_cuda_templateIhEESt5tupleIJNSH_6TensorESM_SM_EERKSM_lbbbEUlllE0_EEPmJS6_EEE10hipError_tPvRmT3_T4_T5_T6_T7_T9_mT8_P12ihipStream_tbDpT10_ENKUlT_T0_E_clISt17integral_constantIbLb1EES1B_IbLb0EEEEDaS17_S18_EUlS17_E_NS1_11comp_targetILNS1_3genE9ELNS1_11target_archE1100ELNS1_3gpuE3ELNS1_3repE0EEENS1_30default_config_static_selectorELNS0_4arch9wavefront6targetE0EEEvT1_
    .private_segment_fixed_size: 0
    .sgpr_count:     0
    .sgpr_spill_count: 0
    .symbol:         _ZN7rocprim17ROCPRIM_400000_NS6detail17trampoline_kernelINS0_14default_configENS1_25partition_config_selectorILNS1_17partition_subalgoE8ElNS0_10empty_typeEbEEZZNS1_14partition_implILS5_8ELb0ES3_jPlPS6_PKS6_NS0_5tupleIJS9_S6_EEENSD_IJSA_SA_EEENS0_18inequality_wrapperIZN2at6native12_GLOBAL__N_124unique_dim_cuda_templateIhEESt5tupleIJNSH_6TensorESM_SM_EERKSM_lbbbEUlllE0_EEPmJS6_EEE10hipError_tPvRmT3_T4_T5_T6_T7_T9_mT8_P12ihipStream_tbDpT10_ENKUlT_T0_E_clISt17integral_constantIbLb1EES1B_IbLb0EEEEDaS17_S18_EUlS17_E_NS1_11comp_targetILNS1_3genE9ELNS1_11target_archE1100ELNS1_3gpuE3ELNS1_3repE0EEENS1_30default_config_static_selectorELNS0_4arch9wavefront6targetE0EEEvT1_.kd
    .uniform_work_group_size: 1
    .uses_dynamic_stack: false
    .vgpr_count:     0
    .vgpr_spill_count: 0
    .wavefront_size: 32
  - .args:
      - .offset:         0
        .size:           120
        .value_kind:     by_value
    .group_segment_fixed_size: 0
    .kernarg_segment_align: 8
    .kernarg_segment_size: 120
    .language:       OpenCL C
    .language_version:
      - 2
      - 0
    .max_flat_workgroup_size: 512
    .name:           _ZN7rocprim17ROCPRIM_400000_NS6detail17trampoline_kernelINS0_14default_configENS1_25partition_config_selectorILNS1_17partition_subalgoE8ElNS0_10empty_typeEbEEZZNS1_14partition_implILS5_8ELb0ES3_jPlPS6_PKS6_NS0_5tupleIJS9_S6_EEENSD_IJSA_SA_EEENS0_18inequality_wrapperIZN2at6native12_GLOBAL__N_124unique_dim_cuda_templateIhEESt5tupleIJNSH_6TensorESM_SM_EERKSM_lbbbEUlllE0_EEPmJS6_EEE10hipError_tPvRmT3_T4_T5_T6_T7_T9_mT8_P12ihipStream_tbDpT10_ENKUlT_T0_E_clISt17integral_constantIbLb1EES1B_IbLb0EEEEDaS17_S18_EUlS17_E_NS1_11comp_targetILNS1_3genE8ELNS1_11target_archE1030ELNS1_3gpuE2ELNS1_3repE0EEENS1_30default_config_static_selectorELNS0_4arch9wavefront6targetE0EEEvT1_
    .private_segment_fixed_size: 0
    .sgpr_count:     0
    .sgpr_spill_count: 0
    .symbol:         _ZN7rocprim17ROCPRIM_400000_NS6detail17trampoline_kernelINS0_14default_configENS1_25partition_config_selectorILNS1_17partition_subalgoE8ElNS0_10empty_typeEbEEZZNS1_14partition_implILS5_8ELb0ES3_jPlPS6_PKS6_NS0_5tupleIJS9_S6_EEENSD_IJSA_SA_EEENS0_18inequality_wrapperIZN2at6native12_GLOBAL__N_124unique_dim_cuda_templateIhEESt5tupleIJNSH_6TensorESM_SM_EERKSM_lbbbEUlllE0_EEPmJS6_EEE10hipError_tPvRmT3_T4_T5_T6_T7_T9_mT8_P12ihipStream_tbDpT10_ENKUlT_T0_E_clISt17integral_constantIbLb1EES1B_IbLb0EEEEDaS17_S18_EUlS17_E_NS1_11comp_targetILNS1_3genE8ELNS1_11target_archE1030ELNS1_3gpuE2ELNS1_3repE0EEENS1_30default_config_static_selectorELNS0_4arch9wavefront6targetE0EEEvT1_.kd
    .uniform_work_group_size: 1
    .uses_dynamic_stack: false
    .vgpr_count:     0
    .vgpr_spill_count: 0
    .wavefront_size: 32
  - .args:
      - .address_space:  global
        .offset:         0
        .size:           8
        .value_kind:     global_buffer
      - .offset:         8
        .size:           4
        .value_kind:     by_value
      - .address_space:  global
        .offset:         16
        .size:           8
        .value_kind:     global_buffer
      - .offset:         24
        .size:           4
        .value_kind:     by_value
      - .address_space:  global
        .offset:         32
        .size:           8
        .value_kind:     global_buffer
      - .offset:         40
        .size:           4
        .value_kind:     hidden_block_count_x
      - .offset:         44
        .size:           4
        .value_kind:     hidden_block_count_y
      - .offset:         48
        .size:           4
        .value_kind:     hidden_block_count_z
      - .offset:         52
        .size:           2
        .value_kind:     hidden_group_size_x
      - .offset:         54
        .size:           2
        .value_kind:     hidden_group_size_y
      - .offset:         56
        .size:           2
        .value_kind:     hidden_group_size_z
      - .offset:         58
        .size:           2
        .value_kind:     hidden_remainder_x
      - .offset:         60
        .size:           2
        .value_kind:     hidden_remainder_y
      - .offset:         62
        .size:           2
        .value_kind:     hidden_remainder_z
      - .offset:         80
        .size:           8
        .value_kind:     hidden_global_offset_x
      - .offset:         88
        .size:           8
        .value_kind:     hidden_global_offset_y
      - .offset:         96
        .size:           8
        .value_kind:     hidden_global_offset_z
      - .offset:         104
        .size:           2
        .value_kind:     hidden_grid_dims
    .group_segment_fixed_size: 0
    .kernarg_segment_align: 8
    .kernarg_segment_size: 296
    .language:       OpenCL C
    .language_version:
      - 2
      - 0
    .max_flat_workgroup_size: 256
    .name:           _ZN7rocprim17ROCPRIM_400000_NS6detail31init_lookback_scan_state_kernelINS1_19lookback_scan_stateIjLb0ELb1EEENS1_16block_id_wrapperIjLb1EEEEEvT_jT0_jPNS7_10value_typeE
    .private_segment_fixed_size: 0
    .sgpr_count:     13
    .sgpr_spill_count: 0
    .symbol:         _ZN7rocprim17ROCPRIM_400000_NS6detail31init_lookback_scan_state_kernelINS1_19lookback_scan_stateIjLb0ELb1EEENS1_16block_id_wrapperIjLb1EEEEEvT_jT0_jPNS7_10value_typeE.kd
    .uniform_work_group_size: 1
    .uses_dynamic_stack: false
    .vgpr_count:     5
    .vgpr_spill_count: 0
    .wavefront_size: 32
  - .args:
      - .offset:         0
        .size:           136
        .value_kind:     by_value
    .group_segment_fixed_size: 28680
    .kernarg_segment_align: 8
    .kernarg_segment_size: 136
    .language:       OpenCL C
    .language_version:
      - 2
      - 0
    .max_flat_workgroup_size: 512
    .name:           _ZN7rocprim17ROCPRIM_400000_NS6detail17trampoline_kernelINS0_14default_configENS1_25partition_config_selectorILNS1_17partition_subalgoE8ElNS0_10empty_typeEbEEZZNS1_14partition_implILS5_8ELb0ES3_jPlPS6_PKS6_NS0_5tupleIJS9_S6_EEENSD_IJSA_SA_EEENS0_18inequality_wrapperIZN2at6native12_GLOBAL__N_124unique_dim_cuda_templateIhEESt5tupleIJNSH_6TensorESM_SM_EERKSM_lbbbEUlllE0_EEPmJS6_EEE10hipError_tPvRmT3_T4_T5_T6_T7_T9_mT8_P12ihipStream_tbDpT10_ENKUlT_T0_E_clISt17integral_constantIbLb0EES1B_IbLb1EEEEDaS17_S18_EUlS17_E_NS1_11comp_targetILNS1_3genE0ELNS1_11target_archE4294967295ELNS1_3gpuE0ELNS1_3repE0EEENS1_30default_config_static_selectorELNS0_4arch9wavefront6targetE0EEEvT1_
    .private_segment_fixed_size: 0
    .sgpr_count:     38
    .sgpr_spill_count: 0
    .symbol:         _ZN7rocprim17ROCPRIM_400000_NS6detail17trampoline_kernelINS0_14default_configENS1_25partition_config_selectorILNS1_17partition_subalgoE8ElNS0_10empty_typeEbEEZZNS1_14partition_implILS5_8ELb0ES3_jPlPS6_PKS6_NS0_5tupleIJS9_S6_EEENSD_IJSA_SA_EEENS0_18inequality_wrapperIZN2at6native12_GLOBAL__N_124unique_dim_cuda_templateIhEESt5tupleIJNSH_6TensorESM_SM_EERKSM_lbbbEUlllE0_EEPmJS6_EEE10hipError_tPvRmT3_T4_T5_T6_T7_T9_mT8_P12ihipStream_tbDpT10_ENKUlT_T0_E_clISt17integral_constantIbLb0EES1B_IbLb1EEEEDaS17_S18_EUlS17_E_NS1_11comp_targetILNS1_3genE0ELNS1_11target_archE4294967295ELNS1_3gpuE0ELNS1_3repE0EEENS1_30default_config_static_selectorELNS0_4arch9wavefront6targetE0EEEvT1_.kd
    .uniform_work_group_size: 1
    .uses_dynamic_stack: false
    .vgpr_count:     53
    .vgpr_spill_count: 0
    .wavefront_size: 32
  - .args:
      - .offset:         0
        .size:           136
        .value_kind:     by_value
    .group_segment_fixed_size: 0
    .kernarg_segment_align: 8
    .kernarg_segment_size: 136
    .language:       OpenCL C
    .language_version:
      - 2
      - 0
    .max_flat_workgroup_size: 512
    .name:           _ZN7rocprim17ROCPRIM_400000_NS6detail17trampoline_kernelINS0_14default_configENS1_25partition_config_selectorILNS1_17partition_subalgoE8ElNS0_10empty_typeEbEEZZNS1_14partition_implILS5_8ELb0ES3_jPlPS6_PKS6_NS0_5tupleIJS9_S6_EEENSD_IJSA_SA_EEENS0_18inequality_wrapperIZN2at6native12_GLOBAL__N_124unique_dim_cuda_templateIhEESt5tupleIJNSH_6TensorESM_SM_EERKSM_lbbbEUlllE0_EEPmJS6_EEE10hipError_tPvRmT3_T4_T5_T6_T7_T9_mT8_P12ihipStream_tbDpT10_ENKUlT_T0_E_clISt17integral_constantIbLb0EES1B_IbLb1EEEEDaS17_S18_EUlS17_E_NS1_11comp_targetILNS1_3genE5ELNS1_11target_archE942ELNS1_3gpuE9ELNS1_3repE0EEENS1_30default_config_static_selectorELNS0_4arch9wavefront6targetE0EEEvT1_
    .private_segment_fixed_size: 0
    .sgpr_count:     0
    .sgpr_spill_count: 0
    .symbol:         _ZN7rocprim17ROCPRIM_400000_NS6detail17trampoline_kernelINS0_14default_configENS1_25partition_config_selectorILNS1_17partition_subalgoE8ElNS0_10empty_typeEbEEZZNS1_14partition_implILS5_8ELb0ES3_jPlPS6_PKS6_NS0_5tupleIJS9_S6_EEENSD_IJSA_SA_EEENS0_18inequality_wrapperIZN2at6native12_GLOBAL__N_124unique_dim_cuda_templateIhEESt5tupleIJNSH_6TensorESM_SM_EERKSM_lbbbEUlllE0_EEPmJS6_EEE10hipError_tPvRmT3_T4_T5_T6_T7_T9_mT8_P12ihipStream_tbDpT10_ENKUlT_T0_E_clISt17integral_constantIbLb0EES1B_IbLb1EEEEDaS17_S18_EUlS17_E_NS1_11comp_targetILNS1_3genE5ELNS1_11target_archE942ELNS1_3gpuE9ELNS1_3repE0EEENS1_30default_config_static_selectorELNS0_4arch9wavefront6targetE0EEEvT1_.kd
    .uniform_work_group_size: 1
    .uses_dynamic_stack: false
    .vgpr_count:     0
    .vgpr_spill_count: 0
    .wavefront_size: 32
  - .args:
      - .offset:         0
        .size:           136
        .value_kind:     by_value
    .group_segment_fixed_size: 0
    .kernarg_segment_align: 8
    .kernarg_segment_size: 136
    .language:       OpenCL C
    .language_version:
      - 2
      - 0
    .max_flat_workgroup_size: 256
    .name:           _ZN7rocprim17ROCPRIM_400000_NS6detail17trampoline_kernelINS0_14default_configENS1_25partition_config_selectorILNS1_17partition_subalgoE8ElNS0_10empty_typeEbEEZZNS1_14partition_implILS5_8ELb0ES3_jPlPS6_PKS6_NS0_5tupleIJS9_S6_EEENSD_IJSA_SA_EEENS0_18inequality_wrapperIZN2at6native12_GLOBAL__N_124unique_dim_cuda_templateIhEESt5tupleIJNSH_6TensorESM_SM_EERKSM_lbbbEUlllE0_EEPmJS6_EEE10hipError_tPvRmT3_T4_T5_T6_T7_T9_mT8_P12ihipStream_tbDpT10_ENKUlT_T0_E_clISt17integral_constantIbLb0EES1B_IbLb1EEEEDaS17_S18_EUlS17_E_NS1_11comp_targetILNS1_3genE4ELNS1_11target_archE910ELNS1_3gpuE8ELNS1_3repE0EEENS1_30default_config_static_selectorELNS0_4arch9wavefront6targetE0EEEvT1_
    .private_segment_fixed_size: 0
    .sgpr_count:     0
    .sgpr_spill_count: 0
    .symbol:         _ZN7rocprim17ROCPRIM_400000_NS6detail17trampoline_kernelINS0_14default_configENS1_25partition_config_selectorILNS1_17partition_subalgoE8ElNS0_10empty_typeEbEEZZNS1_14partition_implILS5_8ELb0ES3_jPlPS6_PKS6_NS0_5tupleIJS9_S6_EEENSD_IJSA_SA_EEENS0_18inequality_wrapperIZN2at6native12_GLOBAL__N_124unique_dim_cuda_templateIhEESt5tupleIJNSH_6TensorESM_SM_EERKSM_lbbbEUlllE0_EEPmJS6_EEE10hipError_tPvRmT3_T4_T5_T6_T7_T9_mT8_P12ihipStream_tbDpT10_ENKUlT_T0_E_clISt17integral_constantIbLb0EES1B_IbLb1EEEEDaS17_S18_EUlS17_E_NS1_11comp_targetILNS1_3genE4ELNS1_11target_archE910ELNS1_3gpuE8ELNS1_3repE0EEENS1_30default_config_static_selectorELNS0_4arch9wavefront6targetE0EEEvT1_.kd
    .uniform_work_group_size: 1
    .uses_dynamic_stack: false
    .vgpr_count:     0
    .vgpr_spill_count: 0
    .wavefront_size: 32
  - .args:
      - .offset:         0
        .size:           136
        .value_kind:     by_value
    .group_segment_fixed_size: 0
    .kernarg_segment_align: 8
    .kernarg_segment_size: 136
    .language:       OpenCL C
    .language_version:
      - 2
      - 0
    .max_flat_workgroup_size: 512
    .name:           _ZN7rocprim17ROCPRIM_400000_NS6detail17trampoline_kernelINS0_14default_configENS1_25partition_config_selectorILNS1_17partition_subalgoE8ElNS0_10empty_typeEbEEZZNS1_14partition_implILS5_8ELb0ES3_jPlPS6_PKS6_NS0_5tupleIJS9_S6_EEENSD_IJSA_SA_EEENS0_18inequality_wrapperIZN2at6native12_GLOBAL__N_124unique_dim_cuda_templateIhEESt5tupleIJNSH_6TensorESM_SM_EERKSM_lbbbEUlllE0_EEPmJS6_EEE10hipError_tPvRmT3_T4_T5_T6_T7_T9_mT8_P12ihipStream_tbDpT10_ENKUlT_T0_E_clISt17integral_constantIbLb0EES1B_IbLb1EEEEDaS17_S18_EUlS17_E_NS1_11comp_targetILNS1_3genE3ELNS1_11target_archE908ELNS1_3gpuE7ELNS1_3repE0EEENS1_30default_config_static_selectorELNS0_4arch9wavefront6targetE0EEEvT1_
    .private_segment_fixed_size: 0
    .sgpr_count:     0
    .sgpr_spill_count: 0
    .symbol:         _ZN7rocprim17ROCPRIM_400000_NS6detail17trampoline_kernelINS0_14default_configENS1_25partition_config_selectorILNS1_17partition_subalgoE8ElNS0_10empty_typeEbEEZZNS1_14partition_implILS5_8ELb0ES3_jPlPS6_PKS6_NS0_5tupleIJS9_S6_EEENSD_IJSA_SA_EEENS0_18inequality_wrapperIZN2at6native12_GLOBAL__N_124unique_dim_cuda_templateIhEESt5tupleIJNSH_6TensorESM_SM_EERKSM_lbbbEUlllE0_EEPmJS6_EEE10hipError_tPvRmT3_T4_T5_T6_T7_T9_mT8_P12ihipStream_tbDpT10_ENKUlT_T0_E_clISt17integral_constantIbLb0EES1B_IbLb1EEEEDaS17_S18_EUlS17_E_NS1_11comp_targetILNS1_3genE3ELNS1_11target_archE908ELNS1_3gpuE7ELNS1_3repE0EEENS1_30default_config_static_selectorELNS0_4arch9wavefront6targetE0EEEvT1_.kd
    .uniform_work_group_size: 1
    .uses_dynamic_stack: false
    .vgpr_count:     0
    .vgpr_spill_count: 0
    .wavefront_size: 32
  - .args:
      - .offset:         0
        .size:           136
        .value_kind:     by_value
    .group_segment_fixed_size: 0
    .kernarg_segment_align: 8
    .kernarg_segment_size: 136
    .language:       OpenCL C
    .language_version:
      - 2
      - 0
    .max_flat_workgroup_size: 256
    .name:           _ZN7rocprim17ROCPRIM_400000_NS6detail17trampoline_kernelINS0_14default_configENS1_25partition_config_selectorILNS1_17partition_subalgoE8ElNS0_10empty_typeEbEEZZNS1_14partition_implILS5_8ELb0ES3_jPlPS6_PKS6_NS0_5tupleIJS9_S6_EEENSD_IJSA_SA_EEENS0_18inequality_wrapperIZN2at6native12_GLOBAL__N_124unique_dim_cuda_templateIhEESt5tupleIJNSH_6TensorESM_SM_EERKSM_lbbbEUlllE0_EEPmJS6_EEE10hipError_tPvRmT3_T4_T5_T6_T7_T9_mT8_P12ihipStream_tbDpT10_ENKUlT_T0_E_clISt17integral_constantIbLb0EES1B_IbLb1EEEEDaS17_S18_EUlS17_E_NS1_11comp_targetILNS1_3genE2ELNS1_11target_archE906ELNS1_3gpuE6ELNS1_3repE0EEENS1_30default_config_static_selectorELNS0_4arch9wavefront6targetE0EEEvT1_
    .private_segment_fixed_size: 0
    .sgpr_count:     0
    .sgpr_spill_count: 0
    .symbol:         _ZN7rocprim17ROCPRIM_400000_NS6detail17trampoline_kernelINS0_14default_configENS1_25partition_config_selectorILNS1_17partition_subalgoE8ElNS0_10empty_typeEbEEZZNS1_14partition_implILS5_8ELb0ES3_jPlPS6_PKS6_NS0_5tupleIJS9_S6_EEENSD_IJSA_SA_EEENS0_18inequality_wrapperIZN2at6native12_GLOBAL__N_124unique_dim_cuda_templateIhEESt5tupleIJNSH_6TensorESM_SM_EERKSM_lbbbEUlllE0_EEPmJS6_EEE10hipError_tPvRmT3_T4_T5_T6_T7_T9_mT8_P12ihipStream_tbDpT10_ENKUlT_T0_E_clISt17integral_constantIbLb0EES1B_IbLb1EEEEDaS17_S18_EUlS17_E_NS1_11comp_targetILNS1_3genE2ELNS1_11target_archE906ELNS1_3gpuE6ELNS1_3repE0EEENS1_30default_config_static_selectorELNS0_4arch9wavefront6targetE0EEEvT1_.kd
    .uniform_work_group_size: 1
    .uses_dynamic_stack: false
    .vgpr_count:     0
    .vgpr_spill_count: 0
    .wavefront_size: 32
  - .args:
      - .offset:         0
        .size:           136
        .value_kind:     by_value
    .group_segment_fixed_size: 0
    .kernarg_segment_align: 8
    .kernarg_segment_size: 136
    .language:       OpenCL C
    .language_version:
      - 2
      - 0
    .max_flat_workgroup_size: 384
    .name:           _ZN7rocprim17ROCPRIM_400000_NS6detail17trampoline_kernelINS0_14default_configENS1_25partition_config_selectorILNS1_17partition_subalgoE8ElNS0_10empty_typeEbEEZZNS1_14partition_implILS5_8ELb0ES3_jPlPS6_PKS6_NS0_5tupleIJS9_S6_EEENSD_IJSA_SA_EEENS0_18inequality_wrapperIZN2at6native12_GLOBAL__N_124unique_dim_cuda_templateIhEESt5tupleIJNSH_6TensorESM_SM_EERKSM_lbbbEUlllE0_EEPmJS6_EEE10hipError_tPvRmT3_T4_T5_T6_T7_T9_mT8_P12ihipStream_tbDpT10_ENKUlT_T0_E_clISt17integral_constantIbLb0EES1B_IbLb1EEEEDaS17_S18_EUlS17_E_NS1_11comp_targetILNS1_3genE10ELNS1_11target_archE1200ELNS1_3gpuE4ELNS1_3repE0EEENS1_30default_config_static_selectorELNS0_4arch9wavefront6targetE0EEEvT1_
    .private_segment_fixed_size: 0
    .sgpr_count:     0
    .sgpr_spill_count: 0
    .symbol:         _ZN7rocprim17ROCPRIM_400000_NS6detail17trampoline_kernelINS0_14default_configENS1_25partition_config_selectorILNS1_17partition_subalgoE8ElNS0_10empty_typeEbEEZZNS1_14partition_implILS5_8ELb0ES3_jPlPS6_PKS6_NS0_5tupleIJS9_S6_EEENSD_IJSA_SA_EEENS0_18inequality_wrapperIZN2at6native12_GLOBAL__N_124unique_dim_cuda_templateIhEESt5tupleIJNSH_6TensorESM_SM_EERKSM_lbbbEUlllE0_EEPmJS6_EEE10hipError_tPvRmT3_T4_T5_T6_T7_T9_mT8_P12ihipStream_tbDpT10_ENKUlT_T0_E_clISt17integral_constantIbLb0EES1B_IbLb1EEEEDaS17_S18_EUlS17_E_NS1_11comp_targetILNS1_3genE10ELNS1_11target_archE1200ELNS1_3gpuE4ELNS1_3repE0EEENS1_30default_config_static_selectorELNS0_4arch9wavefront6targetE0EEEvT1_.kd
    .uniform_work_group_size: 1
    .uses_dynamic_stack: false
    .vgpr_count:     0
    .vgpr_spill_count: 0
    .wavefront_size: 32
  - .args:
      - .offset:         0
        .size:           136
        .value_kind:     by_value
    .group_segment_fixed_size: 0
    .kernarg_segment_align: 8
    .kernarg_segment_size: 136
    .language:       OpenCL C
    .language_version:
      - 2
      - 0
    .max_flat_workgroup_size: 512
    .name:           _ZN7rocprim17ROCPRIM_400000_NS6detail17trampoline_kernelINS0_14default_configENS1_25partition_config_selectorILNS1_17partition_subalgoE8ElNS0_10empty_typeEbEEZZNS1_14partition_implILS5_8ELb0ES3_jPlPS6_PKS6_NS0_5tupleIJS9_S6_EEENSD_IJSA_SA_EEENS0_18inequality_wrapperIZN2at6native12_GLOBAL__N_124unique_dim_cuda_templateIhEESt5tupleIJNSH_6TensorESM_SM_EERKSM_lbbbEUlllE0_EEPmJS6_EEE10hipError_tPvRmT3_T4_T5_T6_T7_T9_mT8_P12ihipStream_tbDpT10_ENKUlT_T0_E_clISt17integral_constantIbLb0EES1B_IbLb1EEEEDaS17_S18_EUlS17_E_NS1_11comp_targetILNS1_3genE9ELNS1_11target_archE1100ELNS1_3gpuE3ELNS1_3repE0EEENS1_30default_config_static_selectorELNS0_4arch9wavefront6targetE0EEEvT1_
    .private_segment_fixed_size: 0
    .sgpr_count:     0
    .sgpr_spill_count: 0
    .symbol:         _ZN7rocprim17ROCPRIM_400000_NS6detail17trampoline_kernelINS0_14default_configENS1_25partition_config_selectorILNS1_17partition_subalgoE8ElNS0_10empty_typeEbEEZZNS1_14partition_implILS5_8ELb0ES3_jPlPS6_PKS6_NS0_5tupleIJS9_S6_EEENSD_IJSA_SA_EEENS0_18inequality_wrapperIZN2at6native12_GLOBAL__N_124unique_dim_cuda_templateIhEESt5tupleIJNSH_6TensorESM_SM_EERKSM_lbbbEUlllE0_EEPmJS6_EEE10hipError_tPvRmT3_T4_T5_T6_T7_T9_mT8_P12ihipStream_tbDpT10_ENKUlT_T0_E_clISt17integral_constantIbLb0EES1B_IbLb1EEEEDaS17_S18_EUlS17_E_NS1_11comp_targetILNS1_3genE9ELNS1_11target_archE1100ELNS1_3gpuE3ELNS1_3repE0EEENS1_30default_config_static_selectorELNS0_4arch9wavefront6targetE0EEEvT1_.kd
    .uniform_work_group_size: 1
    .uses_dynamic_stack: false
    .vgpr_count:     0
    .vgpr_spill_count: 0
    .wavefront_size: 32
  - .args:
      - .offset:         0
        .size:           136
        .value_kind:     by_value
    .group_segment_fixed_size: 0
    .kernarg_segment_align: 8
    .kernarg_segment_size: 136
    .language:       OpenCL C
    .language_version:
      - 2
      - 0
    .max_flat_workgroup_size: 512
    .name:           _ZN7rocprim17ROCPRIM_400000_NS6detail17trampoline_kernelINS0_14default_configENS1_25partition_config_selectorILNS1_17partition_subalgoE8ElNS0_10empty_typeEbEEZZNS1_14partition_implILS5_8ELb0ES3_jPlPS6_PKS6_NS0_5tupleIJS9_S6_EEENSD_IJSA_SA_EEENS0_18inequality_wrapperIZN2at6native12_GLOBAL__N_124unique_dim_cuda_templateIhEESt5tupleIJNSH_6TensorESM_SM_EERKSM_lbbbEUlllE0_EEPmJS6_EEE10hipError_tPvRmT3_T4_T5_T6_T7_T9_mT8_P12ihipStream_tbDpT10_ENKUlT_T0_E_clISt17integral_constantIbLb0EES1B_IbLb1EEEEDaS17_S18_EUlS17_E_NS1_11comp_targetILNS1_3genE8ELNS1_11target_archE1030ELNS1_3gpuE2ELNS1_3repE0EEENS1_30default_config_static_selectorELNS0_4arch9wavefront6targetE0EEEvT1_
    .private_segment_fixed_size: 0
    .sgpr_count:     0
    .sgpr_spill_count: 0
    .symbol:         _ZN7rocprim17ROCPRIM_400000_NS6detail17trampoline_kernelINS0_14default_configENS1_25partition_config_selectorILNS1_17partition_subalgoE8ElNS0_10empty_typeEbEEZZNS1_14partition_implILS5_8ELb0ES3_jPlPS6_PKS6_NS0_5tupleIJS9_S6_EEENSD_IJSA_SA_EEENS0_18inequality_wrapperIZN2at6native12_GLOBAL__N_124unique_dim_cuda_templateIhEESt5tupleIJNSH_6TensorESM_SM_EERKSM_lbbbEUlllE0_EEPmJS6_EEE10hipError_tPvRmT3_T4_T5_T6_T7_T9_mT8_P12ihipStream_tbDpT10_ENKUlT_T0_E_clISt17integral_constantIbLb0EES1B_IbLb1EEEEDaS17_S18_EUlS17_E_NS1_11comp_targetILNS1_3genE8ELNS1_11target_archE1030ELNS1_3gpuE2ELNS1_3repE0EEENS1_30default_config_static_selectorELNS0_4arch9wavefront6targetE0EEEvT1_.kd
    .uniform_work_group_size: 1
    .uses_dynamic_stack: false
    .vgpr_count:     0
    .vgpr_spill_count: 0
    .wavefront_size: 32
  - .args:
      - .offset:         0
        .size:           120
        .value_kind:     by_value
    .group_segment_fixed_size: 5128
    .kernarg_segment_align: 8
    .kernarg_segment_size: 120
    .language:       OpenCL C
    .language_version:
      - 2
      - 0
    .max_flat_workgroup_size: 128
    .name:           _ZN7rocprim17ROCPRIM_400000_NS6detail17trampoline_kernelINS0_14default_configENS1_25partition_config_selectorILNS1_17partition_subalgoE9EllbEEZZNS1_14partition_implILS5_9ELb0ES3_jPlS8_PNS0_10empty_typeENS0_5tupleIJS8_S9_EEENSB_IJS8_SA_EEENS0_18inequality_wrapperIZN2at6native12_GLOBAL__N_124unique_dim_cuda_templateIhEESt5tupleIJNSF_6TensorESK_SK_EERKSK_lbbbEUlllE0_EEPmJS9_EEE10hipError_tPvRmT3_T4_T5_T6_T7_T9_mT8_P12ihipStream_tbDpT10_ENKUlT_T0_E_clISt17integral_constantIbLb0EES1A_EEDaS15_S16_EUlS15_E_NS1_11comp_targetILNS1_3genE0ELNS1_11target_archE4294967295ELNS1_3gpuE0ELNS1_3repE0EEENS1_30default_config_static_selectorELNS0_4arch9wavefront6targetE0EEEvT1_
    .private_segment_fixed_size: 0
    .sgpr_count:     34
    .sgpr_spill_count: 0
    .symbol:         _ZN7rocprim17ROCPRIM_400000_NS6detail17trampoline_kernelINS0_14default_configENS1_25partition_config_selectorILNS1_17partition_subalgoE9EllbEEZZNS1_14partition_implILS5_9ELb0ES3_jPlS8_PNS0_10empty_typeENS0_5tupleIJS8_S9_EEENSB_IJS8_SA_EEENS0_18inequality_wrapperIZN2at6native12_GLOBAL__N_124unique_dim_cuda_templateIhEESt5tupleIJNSF_6TensorESK_SK_EERKSK_lbbbEUlllE0_EEPmJS9_EEE10hipError_tPvRmT3_T4_T5_T6_T7_T9_mT8_P12ihipStream_tbDpT10_ENKUlT_T0_E_clISt17integral_constantIbLb0EES1A_EEDaS15_S16_EUlS15_E_NS1_11comp_targetILNS1_3genE0ELNS1_11target_archE4294967295ELNS1_3gpuE0ELNS1_3repE0EEENS1_30default_config_static_selectorELNS0_4arch9wavefront6targetE0EEEvT1_.kd
    .uniform_work_group_size: 1
    .uses_dynamic_stack: false
    .vgpr_count:     56
    .vgpr_spill_count: 0
    .wavefront_size: 32
  - .args:
      - .offset:         0
        .size:           120
        .value_kind:     by_value
    .group_segment_fixed_size: 0
    .kernarg_segment_align: 8
    .kernarg_segment_size: 120
    .language:       OpenCL C
    .language_version:
      - 2
      - 0
    .max_flat_workgroup_size: 512
    .name:           _ZN7rocprim17ROCPRIM_400000_NS6detail17trampoline_kernelINS0_14default_configENS1_25partition_config_selectorILNS1_17partition_subalgoE9EllbEEZZNS1_14partition_implILS5_9ELb0ES3_jPlS8_PNS0_10empty_typeENS0_5tupleIJS8_S9_EEENSB_IJS8_SA_EEENS0_18inequality_wrapperIZN2at6native12_GLOBAL__N_124unique_dim_cuda_templateIhEESt5tupleIJNSF_6TensorESK_SK_EERKSK_lbbbEUlllE0_EEPmJS9_EEE10hipError_tPvRmT3_T4_T5_T6_T7_T9_mT8_P12ihipStream_tbDpT10_ENKUlT_T0_E_clISt17integral_constantIbLb0EES1A_EEDaS15_S16_EUlS15_E_NS1_11comp_targetILNS1_3genE5ELNS1_11target_archE942ELNS1_3gpuE9ELNS1_3repE0EEENS1_30default_config_static_selectorELNS0_4arch9wavefront6targetE0EEEvT1_
    .private_segment_fixed_size: 0
    .sgpr_count:     0
    .sgpr_spill_count: 0
    .symbol:         _ZN7rocprim17ROCPRIM_400000_NS6detail17trampoline_kernelINS0_14default_configENS1_25partition_config_selectorILNS1_17partition_subalgoE9EllbEEZZNS1_14partition_implILS5_9ELb0ES3_jPlS8_PNS0_10empty_typeENS0_5tupleIJS8_S9_EEENSB_IJS8_SA_EEENS0_18inequality_wrapperIZN2at6native12_GLOBAL__N_124unique_dim_cuda_templateIhEESt5tupleIJNSF_6TensorESK_SK_EERKSK_lbbbEUlllE0_EEPmJS9_EEE10hipError_tPvRmT3_T4_T5_T6_T7_T9_mT8_P12ihipStream_tbDpT10_ENKUlT_T0_E_clISt17integral_constantIbLb0EES1A_EEDaS15_S16_EUlS15_E_NS1_11comp_targetILNS1_3genE5ELNS1_11target_archE942ELNS1_3gpuE9ELNS1_3repE0EEENS1_30default_config_static_selectorELNS0_4arch9wavefront6targetE0EEEvT1_.kd
    .uniform_work_group_size: 1
    .uses_dynamic_stack: false
    .vgpr_count:     0
    .vgpr_spill_count: 0
    .wavefront_size: 32
  - .args:
      - .offset:         0
        .size:           120
        .value_kind:     by_value
    .group_segment_fixed_size: 0
    .kernarg_segment_align: 8
    .kernarg_segment_size: 120
    .language:       OpenCL C
    .language_version:
      - 2
      - 0
    .max_flat_workgroup_size: 128
    .name:           _ZN7rocprim17ROCPRIM_400000_NS6detail17trampoline_kernelINS0_14default_configENS1_25partition_config_selectorILNS1_17partition_subalgoE9EllbEEZZNS1_14partition_implILS5_9ELb0ES3_jPlS8_PNS0_10empty_typeENS0_5tupleIJS8_S9_EEENSB_IJS8_SA_EEENS0_18inequality_wrapperIZN2at6native12_GLOBAL__N_124unique_dim_cuda_templateIhEESt5tupleIJNSF_6TensorESK_SK_EERKSK_lbbbEUlllE0_EEPmJS9_EEE10hipError_tPvRmT3_T4_T5_T6_T7_T9_mT8_P12ihipStream_tbDpT10_ENKUlT_T0_E_clISt17integral_constantIbLb0EES1A_EEDaS15_S16_EUlS15_E_NS1_11comp_targetILNS1_3genE4ELNS1_11target_archE910ELNS1_3gpuE8ELNS1_3repE0EEENS1_30default_config_static_selectorELNS0_4arch9wavefront6targetE0EEEvT1_
    .private_segment_fixed_size: 0
    .sgpr_count:     0
    .sgpr_spill_count: 0
    .symbol:         _ZN7rocprim17ROCPRIM_400000_NS6detail17trampoline_kernelINS0_14default_configENS1_25partition_config_selectorILNS1_17partition_subalgoE9EllbEEZZNS1_14partition_implILS5_9ELb0ES3_jPlS8_PNS0_10empty_typeENS0_5tupleIJS8_S9_EEENSB_IJS8_SA_EEENS0_18inequality_wrapperIZN2at6native12_GLOBAL__N_124unique_dim_cuda_templateIhEESt5tupleIJNSF_6TensorESK_SK_EERKSK_lbbbEUlllE0_EEPmJS9_EEE10hipError_tPvRmT3_T4_T5_T6_T7_T9_mT8_P12ihipStream_tbDpT10_ENKUlT_T0_E_clISt17integral_constantIbLb0EES1A_EEDaS15_S16_EUlS15_E_NS1_11comp_targetILNS1_3genE4ELNS1_11target_archE910ELNS1_3gpuE8ELNS1_3repE0EEENS1_30default_config_static_selectorELNS0_4arch9wavefront6targetE0EEEvT1_.kd
    .uniform_work_group_size: 1
    .uses_dynamic_stack: false
    .vgpr_count:     0
    .vgpr_spill_count: 0
    .wavefront_size: 32
  - .args:
      - .offset:         0
        .size:           120
        .value_kind:     by_value
    .group_segment_fixed_size: 0
    .kernarg_segment_align: 8
    .kernarg_segment_size: 120
    .language:       OpenCL C
    .language_version:
      - 2
      - 0
    .max_flat_workgroup_size: 128
    .name:           _ZN7rocprim17ROCPRIM_400000_NS6detail17trampoline_kernelINS0_14default_configENS1_25partition_config_selectorILNS1_17partition_subalgoE9EllbEEZZNS1_14partition_implILS5_9ELb0ES3_jPlS8_PNS0_10empty_typeENS0_5tupleIJS8_S9_EEENSB_IJS8_SA_EEENS0_18inequality_wrapperIZN2at6native12_GLOBAL__N_124unique_dim_cuda_templateIhEESt5tupleIJNSF_6TensorESK_SK_EERKSK_lbbbEUlllE0_EEPmJS9_EEE10hipError_tPvRmT3_T4_T5_T6_T7_T9_mT8_P12ihipStream_tbDpT10_ENKUlT_T0_E_clISt17integral_constantIbLb0EES1A_EEDaS15_S16_EUlS15_E_NS1_11comp_targetILNS1_3genE3ELNS1_11target_archE908ELNS1_3gpuE7ELNS1_3repE0EEENS1_30default_config_static_selectorELNS0_4arch9wavefront6targetE0EEEvT1_
    .private_segment_fixed_size: 0
    .sgpr_count:     0
    .sgpr_spill_count: 0
    .symbol:         _ZN7rocprim17ROCPRIM_400000_NS6detail17trampoline_kernelINS0_14default_configENS1_25partition_config_selectorILNS1_17partition_subalgoE9EllbEEZZNS1_14partition_implILS5_9ELb0ES3_jPlS8_PNS0_10empty_typeENS0_5tupleIJS8_S9_EEENSB_IJS8_SA_EEENS0_18inequality_wrapperIZN2at6native12_GLOBAL__N_124unique_dim_cuda_templateIhEESt5tupleIJNSF_6TensorESK_SK_EERKSK_lbbbEUlllE0_EEPmJS9_EEE10hipError_tPvRmT3_T4_T5_T6_T7_T9_mT8_P12ihipStream_tbDpT10_ENKUlT_T0_E_clISt17integral_constantIbLb0EES1A_EEDaS15_S16_EUlS15_E_NS1_11comp_targetILNS1_3genE3ELNS1_11target_archE908ELNS1_3gpuE7ELNS1_3repE0EEENS1_30default_config_static_selectorELNS0_4arch9wavefront6targetE0EEEvT1_.kd
    .uniform_work_group_size: 1
    .uses_dynamic_stack: false
    .vgpr_count:     0
    .vgpr_spill_count: 0
    .wavefront_size: 32
  - .args:
      - .offset:         0
        .size:           120
        .value_kind:     by_value
    .group_segment_fixed_size: 0
    .kernarg_segment_align: 8
    .kernarg_segment_size: 120
    .language:       OpenCL C
    .language_version:
      - 2
      - 0
    .max_flat_workgroup_size: 192
    .name:           _ZN7rocprim17ROCPRIM_400000_NS6detail17trampoline_kernelINS0_14default_configENS1_25partition_config_selectorILNS1_17partition_subalgoE9EllbEEZZNS1_14partition_implILS5_9ELb0ES3_jPlS8_PNS0_10empty_typeENS0_5tupleIJS8_S9_EEENSB_IJS8_SA_EEENS0_18inequality_wrapperIZN2at6native12_GLOBAL__N_124unique_dim_cuda_templateIhEESt5tupleIJNSF_6TensorESK_SK_EERKSK_lbbbEUlllE0_EEPmJS9_EEE10hipError_tPvRmT3_T4_T5_T6_T7_T9_mT8_P12ihipStream_tbDpT10_ENKUlT_T0_E_clISt17integral_constantIbLb0EES1A_EEDaS15_S16_EUlS15_E_NS1_11comp_targetILNS1_3genE2ELNS1_11target_archE906ELNS1_3gpuE6ELNS1_3repE0EEENS1_30default_config_static_selectorELNS0_4arch9wavefront6targetE0EEEvT1_
    .private_segment_fixed_size: 0
    .sgpr_count:     0
    .sgpr_spill_count: 0
    .symbol:         _ZN7rocprim17ROCPRIM_400000_NS6detail17trampoline_kernelINS0_14default_configENS1_25partition_config_selectorILNS1_17partition_subalgoE9EllbEEZZNS1_14partition_implILS5_9ELb0ES3_jPlS8_PNS0_10empty_typeENS0_5tupleIJS8_S9_EEENSB_IJS8_SA_EEENS0_18inequality_wrapperIZN2at6native12_GLOBAL__N_124unique_dim_cuda_templateIhEESt5tupleIJNSF_6TensorESK_SK_EERKSK_lbbbEUlllE0_EEPmJS9_EEE10hipError_tPvRmT3_T4_T5_T6_T7_T9_mT8_P12ihipStream_tbDpT10_ENKUlT_T0_E_clISt17integral_constantIbLb0EES1A_EEDaS15_S16_EUlS15_E_NS1_11comp_targetILNS1_3genE2ELNS1_11target_archE906ELNS1_3gpuE6ELNS1_3repE0EEENS1_30default_config_static_selectorELNS0_4arch9wavefront6targetE0EEEvT1_.kd
    .uniform_work_group_size: 1
    .uses_dynamic_stack: false
    .vgpr_count:     0
    .vgpr_spill_count: 0
    .wavefront_size: 32
  - .args:
      - .offset:         0
        .size:           120
        .value_kind:     by_value
    .group_segment_fixed_size: 0
    .kernarg_segment_align: 8
    .kernarg_segment_size: 120
    .language:       OpenCL C
    .language_version:
      - 2
      - 0
    .max_flat_workgroup_size: 384
    .name:           _ZN7rocprim17ROCPRIM_400000_NS6detail17trampoline_kernelINS0_14default_configENS1_25partition_config_selectorILNS1_17partition_subalgoE9EllbEEZZNS1_14partition_implILS5_9ELb0ES3_jPlS8_PNS0_10empty_typeENS0_5tupleIJS8_S9_EEENSB_IJS8_SA_EEENS0_18inequality_wrapperIZN2at6native12_GLOBAL__N_124unique_dim_cuda_templateIhEESt5tupleIJNSF_6TensorESK_SK_EERKSK_lbbbEUlllE0_EEPmJS9_EEE10hipError_tPvRmT3_T4_T5_T6_T7_T9_mT8_P12ihipStream_tbDpT10_ENKUlT_T0_E_clISt17integral_constantIbLb0EES1A_EEDaS15_S16_EUlS15_E_NS1_11comp_targetILNS1_3genE10ELNS1_11target_archE1200ELNS1_3gpuE4ELNS1_3repE0EEENS1_30default_config_static_selectorELNS0_4arch9wavefront6targetE0EEEvT1_
    .private_segment_fixed_size: 0
    .sgpr_count:     0
    .sgpr_spill_count: 0
    .symbol:         _ZN7rocprim17ROCPRIM_400000_NS6detail17trampoline_kernelINS0_14default_configENS1_25partition_config_selectorILNS1_17partition_subalgoE9EllbEEZZNS1_14partition_implILS5_9ELb0ES3_jPlS8_PNS0_10empty_typeENS0_5tupleIJS8_S9_EEENSB_IJS8_SA_EEENS0_18inequality_wrapperIZN2at6native12_GLOBAL__N_124unique_dim_cuda_templateIhEESt5tupleIJNSF_6TensorESK_SK_EERKSK_lbbbEUlllE0_EEPmJS9_EEE10hipError_tPvRmT3_T4_T5_T6_T7_T9_mT8_P12ihipStream_tbDpT10_ENKUlT_T0_E_clISt17integral_constantIbLb0EES1A_EEDaS15_S16_EUlS15_E_NS1_11comp_targetILNS1_3genE10ELNS1_11target_archE1200ELNS1_3gpuE4ELNS1_3repE0EEENS1_30default_config_static_selectorELNS0_4arch9wavefront6targetE0EEEvT1_.kd
    .uniform_work_group_size: 1
    .uses_dynamic_stack: false
    .vgpr_count:     0
    .vgpr_spill_count: 0
    .wavefront_size: 32
  - .args:
      - .offset:         0
        .size:           120
        .value_kind:     by_value
    .group_segment_fixed_size: 0
    .kernarg_segment_align: 8
    .kernarg_segment_size: 120
    .language:       OpenCL C
    .language_version:
      - 2
      - 0
    .max_flat_workgroup_size: 512
    .name:           _ZN7rocprim17ROCPRIM_400000_NS6detail17trampoline_kernelINS0_14default_configENS1_25partition_config_selectorILNS1_17partition_subalgoE9EllbEEZZNS1_14partition_implILS5_9ELb0ES3_jPlS8_PNS0_10empty_typeENS0_5tupleIJS8_S9_EEENSB_IJS8_SA_EEENS0_18inequality_wrapperIZN2at6native12_GLOBAL__N_124unique_dim_cuda_templateIhEESt5tupleIJNSF_6TensorESK_SK_EERKSK_lbbbEUlllE0_EEPmJS9_EEE10hipError_tPvRmT3_T4_T5_T6_T7_T9_mT8_P12ihipStream_tbDpT10_ENKUlT_T0_E_clISt17integral_constantIbLb0EES1A_EEDaS15_S16_EUlS15_E_NS1_11comp_targetILNS1_3genE9ELNS1_11target_archE1100ELNS1_3gpuE3ELNS1_3repE0EEENS1_30default_config_static_selectorELNS0_4arch9wavefront6targetE0EEEvT1_
    .private_segment_fixed_size: 0
    .sgpr_count:     0
    .sgpr_spill_count: 0
    .symbol:         _ZN7rocprim17ROCPRIM_400000_NS6detail17trampoline_kernelINS0_14default_configENS1_25partition_config_selectorILNS1_17partition_subalgoE9EllbEEZZNS1_14partition_implILS5_9ELb0ES3_jPlS8_PNS0_10empty_typeENS0_5tupleIJS8_S9_EEENSB_IJS8_SA_EEENS0_18inequality_wrapperIZN2at6native12_GLOBAL__N_124unique_dim_cuda_templateIhEESt5tupleIJNSF_6TensorESK_SK_EERKSK_lbbbEUlllE0_EEPmJS9_EEE10hipError_tPvRmT3_T4_T5_T6_T7_T9_mT8_P12ihipStream_tbDpT10_ENKUlT_T0_E_clISt17integral_constantIbLb0EES1A_EEDaS15_S16_EUlS15_E_NS1_11comp_targetILNS1_3genE9ELNS1_11target_archE1100ELNS1_3gpuE3ELNS1_3repE0EEENS1_30default_config_static_selectorELNS0_4arch9wavefront6targetE0EEEvT1_.kd
    .uniform_work_group_size: 1
    .uses_dynamic_stack: false
    .vgpr_count:     0
    .vgpr_spill_count: 0
    .wavefront_size: 32
  - .args:
      - .offset:         0
        .size:           120
        .value_kind:     by_value
    .group_segment_fixed_size: 0
    .kernarg_segment_align: 8
    .kernarg_segment_size: 120
    .language:       OpenCL C
    .language_version:
      - 2
      - 0
    .max_flat_workgroup_size: 512
    .name:           _ZN7rocprim17ROCPRIM_400000_NS6detail17trampoline_kernelINS0_14default_configENS1_25partition_config_selectorILNS1_17partition_subalgoE9EllbEEZZNS1_14partition_implILS5_9ELb0ES3_jPlS8_PNS0_10empty_typeENS0_5tupleIJS8_S9_EEENSB_IJS8_SA_EEENS0_18inequality_wrapperIZN2at6native12_GLOBAL__N_124unique_dim_cuda_templateIhEESt5tupleIJNSF_6TensorESK_SK_EERKSK_lbbbEUlllE0_EEPmJS9_EEE10hipError_tPvRmT3_T4_T5_T6_T7_T9_mT8_P12ihipStream_tbDpT10_ENKUlT_T0_E_clISt17integral_constantIbLb0EES1A_EEDaS15_S16_EUlS15_E_NS1_11comp_targetILNS1_3genE8ELNS1_11target_archE1030ELNS1_3gpuE2ELNS1_3repE0EEENS1_30default_config_static_selectorELNS0_4arch9wavefront6targetE0EEEvT1_
    .private_segment_fixed_size: 0
    .sgpr_count:     0
    .sgpr_spill_count: 0
    .symbol:         _ZN7rocprim17ROCPRIM_400000_NS6detail17trampoline_kernelINS0_14default_configENS1_25partition_config_selectorILNS1_17partition_subalgoE9EllbEEZZNS1_14partition_implILS5_9ELb0ES3_jPlS8_PNS0_10empty_typeENS0_5tupleIJS8_S9_EEENSB_IJS8_SA_EEENS0_18inequality_wrapperIZN2at6native12_GLOBAL__N_124unique_dim_cuda_templateIhEESt5tupleIJNSF_6TensorESK_SK_EERKSK_lbbbEUlllE0_EEPmJS9_EEE10hipError_tPvRmT3_T4_T5_T6_T7_T9_mT8_P12ihipStream_tbDpT10_ENKUlT_T0_E_clISt17integral_constantIbLb0EES1A_EEDaS15_S16_EUlS15_E_NS1_11comp_targetILNS1_3genE8ELNS1_11target_archE1030ELNS1_3gpuE2ELNS1_3repE0EEENS1_30default_config_static_selectorELNS0_4arch9wavefront6targetE0EEEvT1_.kd
    .uniform_work_group_size: 1
    .uses_dynamic_stack: false
    .vgpr_count:     0
    .vgpr_spill_count: 0
    .wavefront_size: 32
  - .args:
      - .offset:         0
        .size:           136
        .value_kind:     by_value
    .group_segment_fixed_size: 0
    .kernarg_segment_align: 8
    .kernarg_segment_size: 136
    .language:       OpenCL C
    .language_version:
      - 2
      - 0
    .max_flat_workgroup_size: 128
    .name:           _ZN7rocprim17ROCPRIM_400000_NS6detail17trampoline_kernelINS0_14default_configENS1_25partition_config_selectorILNS1_17partition_subalgoE9EllbEEZZNS1_14partition_implILS5_9ELb0ES3_jPlS8_PNS0_10empty_typeENS0_5tupleIJS8_S9_EEENSB_IJS8_SA_EEENS0_18inequality_wrapperIZN2at6native12_GLOBAL__N_124unique_dim_cuda_templateIhEESt5tupleIJNSF_6TensorESK_SK_EERKSK_lbbbEUlllE0_EEPmJS9_EEE10hipError_tPvRmT3_T4_T5_T6_T7_T9_mT8_P12ihipStream_tbDpT10_ENKUlT_T0_E_clISt17integral_constantIbLb1EES1A_EEDaS15_S16_EUlS15_E_NS1_11comp_targetILNS1_3genE0ELNS1_11target_archE4294967295ELNS1_3gpuE0ELNS1_3repE0EEENS1_30default_config_static_selectorELNS0_4arch9wavefront6targetE0EEEvT1_
    .private_segment_fixed_size: 0
    .sgpr_count:     0
    .sgpr_spill_count: 0
    .symbol:         _ZN7rocprim17ROCPRIM_400000_NS6detail17trampoline_kernelINS0_14default_configENS1_25partition_config_selectorILNS1_17partition_subalgoE9EllbEEZZNS1_14partition_implILS5_9ELb0ES3_jPlS8_PNS0_10empty_typeENS0_5tupleIJS8_S9_EEENSB_IJS8_SA_EEENS0_18inequality_wrapperIZN2at6native12_GLOBAL__N_124unique_dim_cuda_templateIhEESt5tupleIJNSF_6TensorESK_SK_EERKSK_lbbbEUlllE0_EEPmJS9_EEE10hipError_tPvRmT3_T4_T5_T6_T7_T9_mT8_P12ihipStream_tbDpT10_ENKUlT_T0_E_clISt17integral_constantIbLb1EES1A_EEDaS15_S16_EUlS15_E_NS1_11comp_targetILNS1_3genE0ELNS1_11target_archE4294967295ELNS1_3gpuE0ELNS1_3repE0EEENS1_30default_config_static_selectorELNS0_4arch9wavefront6targetE0EEEvT1_.kd
    .uniform_work_group_size: 1
    .uses_dynamic_stack: false
    .vgpr_count:     0
    .vgpr_spill_count: 0
    .wavefront_size: 32
  - .args:
      - .offset:         0
        .size:           136
        .value_kind:     by_value
    .group_segment_fixed_size: 0
    .kernarg_segment_align: 8
    .kernarg_segment_size: 136
    .language:       OpenCL C
    .language_version:
      - 2
      - 0
    .max_flat_workgroup_size: 512
    .name:           _ZN7rocprim17ROCPRIM_400000_NS6detail17trampoline_kernelINS0_14default_configENS1_25partition_config_selectorILNS1_17partition_subalgoE9EllbEEZZNS1_14partition_implILS5_9ELb0ES3_jPlS8_PNS0_10empty_typeENS0_5tupleIJS8_S9_EEENSB_IJS8_SA_EEENS0_18inequality_wrapperIZN2at6native12_GLOBAL__N_124unique_dim_cuda_templateIhEESt5tupleIJNSF_6TensorESK_SK_EERKSK_lbbbEUlllE0_EEPmJS9_EEE10hipError_tPvRmT3_T4_T5_T6_T7_T9_mT8_P12ihipStream_tbDpT10_ENKUlT_T0_E_clISt17integral_constantIbLb1EES1A_EEDaS15_S16_EUlS15_E_NS1_11comp_targetILNS1_3genE5ELNS1_11target_archE942ELNS1_3gpuE9ELNS1_3repE0EEENS1_30default_config_static_selectorELNS0_4arch9wavefront6targetE0EEEvT1_
    .private_segment_fixed_size: 0
    .sgpr_count:     0
    .sgpr_spill_count: 0
    .symbol:         _ZN7rocprim17ROCPRIM_400000_NS6detail17trampoline_kernelINS0_14default_configENS1_25partition_config_selectorILNS1_17partition_subalgoE9EllbEEZZNS1_14partition_implILS5_9ELb0ES3_jPlS8_PNS0_10empty_typeENS0_5tupleIJS8_S9_EEENSB_IJS8_SA_EEENS0_18inequality_wrapperIZN2at6native12_GLOBAL__N_124unique_dim_cuda_templateIhEESt5tupleIJNSF_6TensorESK_SK_EERKSK_lbbbEUlllE0_EEPmJS9_EEE10hipError_tPvRmT3_T4_T5_T6_T7_T9_mT8_P12ihipStream_tbDpT10_ENKUlT_T0_E_clISt17integral_constantIbLb1EES1A_EEDaS15_S16_EUlS15_E_NS1_11comp_targetILNS1_3genE5ELNS1_11target_archE942ELNS1_3gpuE9ELNS1_3repE0EEENS1_30default_config_static_selectorELNS0_4arch9wavefront6targetE0EEEvT1_.kd
    .uniform_work_group_size: 1
    .uses_dynamic_stack: false
    .vgpr_count:     0
    .vgpr_spill_count: 0
    .wavefront_size: 32
  - .args:
      - .offset:         0
        .size:           136
        .value_kind:     by_value
    .group_segment_fixed_size: 0
    .kernarg_segment_align: 8
    .kernarg_segment_size: 136
    .language:       OpenCL C
    .language_version:
      - 2
      - 0
    .max_flat_workgroup_size: 128
    .name:           _ZN7rocprim17ROCPRIM_400000_NS6detail17trampoline_kernelINS0_14default_configENS1_25partition_config_selectorILNS1_17partition_subalgoE9EllbEEZZNS1_14partition_implILS5_9ELb0ES3_jPlS8_PNS0_10empty_typeENS0_5tupleIJS8_S9_EEENSB_IJS8_SA_EEENS0_18inequality_wrapperIZN2at6native12_GLOBAL__N_124unique_dim_cuda_templateIhEESt5tupleIJNSF_6TensorESK_SK_EERKSK_lbbbEUlllE0_EEPmJS9_EEE10hipError_tPvRmT3_T4_T5_T6_T7_T9_mT8_P12ihipStream_tbDpT10_ENKUlT_T0_E_clISt17integral_constantIbLb1EES1A_EEDaS15_S16_EUlS15_E_NS1_11comp_targetILNS1_3genE4ELNS1_11target_archE910ELNS1_3gpuE8ELNS1_3repE0EEENS1_30default_config_static_selectorELNS0_4arch9wavefront6targetE0EEEvT1_
    .private_segment_fixed_size: 0
    .sgpr_count:     0
    .sgpr_spill_count: 0
    .symbol:         _ZN7rocprim17ROCPRIM_400000_NS6detail17trampoline_kernelINS0_14default_configENS1_25partition_config_selectorILNS1_17partition_subalgoE9EllbEEZZNS1_14partition_implILS5_9ELb0ES3_jPlS8_PNS0_10empty_typeENS0_5tupleIJS8_S9_EEENSB_IJS8_SA_EEENS0_18inequality_wrapperIZN2at6native12_GLOBAL__N_124unique_dim_cuda_templateIhEESt5tupleIJNSF_6TensorESK_SK_EERKSK_lbbbEUlllE0_EEPmJS9_EEE10hipError_tPvRmT3_T4_T5_T6_T7_T9_mT8_P12ihipStream_tbDpT10_ENKUlT_T0_E_clISt17integral_constantIbLb1EES1A_EEDaS15_S16_EUlS15_E_NS1_11comp_targetILNS1_3genE4ELNS1_11target_archE910ELNS1_3gpuE8ELNS1_3repE0EEENS1_30default_config_static_selectorELNS0_4arch9wavefront6targetE0EEEvT1_.kd
    .uniform_work_group_size: 1
    .uses_dynamic_stack: false
    .vgpr_count:     0
    .vgpr_spill_count: 0
    .wavefront_size: 32
  - .args:
      - .offset:         0
        .size:           136
        .value_kind:     by_value
    .group_segment_fixed_size: 0
    .kernarg_segment_align: 8
    .kernarg_segment_size: 136
    .language:       OpenCL C
    .language_version:
      - 2
      - 0
    .max_flat_workgroup_size: 128
    .name:           _ZN7rocprim17ROCPRIM_400000_NS6detail17trampoline_kernelINS0_14default_configENS1_25partition_config_selectorILNS1_17partition_subalgoE9EllbEEZZNS1_14partition_implILS5_9ELb0ES3_jPlS8_PNS0_10empty_typeENS0_5tupleIJS8_S9_EEENSB_IJS8_SA_EEENS0_18inequality_wrapperIZN2at6native12_GLOBAL__N_124unique_dim_cuda_templateIhEESt5tupleIJNSF_6TensorESK_SK_EERKSK_lbbbEUlllE0_EEPmJS9_EEE10hipError_tPvRmT3_T4_T5_T6_T7_T9_mT8_P12ihipStream_tbDpT10_ENKUlT_T0_E_clISt17integral_constantIbLb1EES1A_EEDaS15_S16_EUlS15_E_NS1_11comp_targetILNS1_3genE3ELNS1_11target_archE908ELNS1_3gpuE7ELNS1_3repE0EEENS1_30default_config_static_selectorELNS0_4arch9wavefront6targetE0EEEvT1_
    .private_segment_fixed_size: 0
    .sgpr_count:     0
    .sgpr_spill_count: 0
    .symbol:         _ZN7rocprim17ROCPRIM_400000_NS6detail17trampoline_kernelINS0_14default_configENS1_25partition_config_selectorILNS1_17partition_subalgoE9EllbEEZZNS1_14partition_implILS5_9ELb0ES3_jPlS8_PNS0_10empty_typeENS0_5tupleIJS8_S9_EEENSB_IJS8_SA_EEENS0_18inequality_wrapperIZN2at6native12_GLOBAL__N_124unique_dim_cuda_templateIhEESt5tupleIJNSF_6TensorESK_SK_EERKSK_lbbbEUlllE0_EEPmJS9_EEE10hipError_tPvRmT3_T4_T5_T6_T7_T9_mT8_P12ihipStream_tbDpT10_ENKUlT_T0_E_clISt17integral_constantIbLb1EES1A_EEDaS15_S16_EUlS15_E_NS1_11comp_targetILNS1_3genE3ELNS1_11target_archE908ELNS1_3gpuE7ELNS1_3repE0EEENS1_30default_config_static_selectorELNS0_4arch9wavefront6targetE0EEEvT1_.kd
    .uniform_work_group_size: 1
    .uses_dynamic_stack: false
    .vgpr_count:     0
    .vgpr_spill_count: 0
    .wavefront_size: 32
  - .args:
      - .offset:         0
        .size:           136
        .value_kind:     by_value
    .group_segment_fixed_size: 0
    .kernarg_segment_align: 8
    .kernarg_segment_size: 136
    .language:       OpenCL C
    .language_version:
      - 2
      - 0
    .max_flat_workgroup_size: 192
    .name:           _ZN7rocprim17ROCPRIM_400000_NS6detail17trampoline_kernelINS0_14default_configENS1_25partition_config_selectorILNS1_17partition_subalgoE9EllbEEZZNS1_14partition_implILS5_9ELb0ES3_jPlS8_PNS0_10empty_typeENS0_5tupleIJS8_S9_EEENSB_IJS8_SA_EEENS0_18inequality_wrapperIZN2at6native12_GLOBAL__N_124unique_dim_cuda_templateIhEESt5tupleIJNSF_6TensorESK_SK_EERKSK_lbbbEUlllE0_EEPmJS9_EEE10hipError_tPvRmT3_T4_T5_T6_T7_T9_mT8_P12ihipStream_tbDpT10_ENKUlT_T0_E_clISt17integral_constantIbLb1EES1A_EEDaS15_S16_EUlS15_E_NS1_11comp_targetILNS1_3genE2ELNS1_11target_archE906ELNS1_3gpuE6ELNS1_3repE0EEENS1_30default_config_static_selectorELNS0_4arch9wavefront6targetE0EEEvT1_
    .private_segment_fixed_size: 0
    .sgpr_count:     0
    .sgpr_spill_count: 0
    .symbol:         _ZN7rocprim17ROCPRIM_400000_NS6detail17trampoline_kernelINS0_14default_configENS1_25partition_config_selectorILNS1_17partition_subalgoE9EllbEEZZNS1_14partition_implILS5_9ELb0ES3_jPlS8_PNS0_10empty_typeENS0_5tupleIJS8_S9_EEENSB_IJS8_SA_EEENS0_18inequality_wrapperIZN2at6native12_GLOBAL__N_124unique_dim_cuda_templateIhEESt5tupleIJNSF_6TensorESK_SK_EERKSK_lbbbEUlllE0_EEPmJS9_EEE10hipError_tPvRmT3_T4_T5_T6_T7_T9_mT8_P12ihipStream_tbDpT10_ENKUlT_T0_E_clISt17integral_constantIbLb1EES1A_EEDaS15_S16_EUlS15_E_NS1_11comp_targetILNS1_3genE2ELNS1_11target_archE906ELNS1_3gpuE6ELNS1_3repE0EEENS1_30default_config_static_selectorELNS0_4arch9wavefront6targetE0EEEvT1_.kd
    .uniform_work_group_size: 1
    .uses_dynamic_stack: false
    .vgpr_count:     0
    .vgpr_spill_count: 0
    .wavefront_size: 32
  - .args:
      - .offset:         0
        .size:           136
        .value_kind:     by_value
    .group_segment_fixed_size: 0
    .kernarg_segment_align: 8
    .kernarg_segment_size: 136
    .language:       OpenCL C
    .language_version:
      - 2
      - 0
    .max_flat_workgroup_size: 384
    .name:           _ZN7rocprim17ROCPRIM_400000_NS6detail17trampoline_kernelINS0_14default_configENS1_25partition_config_selectorILNS1_17partition_subalgoE9EllbEEZZNS1_14partition_implILS5_9ELb0ES3_jPlS8_PNS0_10empty_typeENS0_5tupleIJS8_S9_EEENSB_IJS8_SA_EEENS0_18inequality_wrapperIZN2at6native12_GLOBAL__N_124unique_dim_cuda_templateIhEESt5tupleIJNSF_6TensorESK_SK_EERKSK_lbbbEUlllE0_EEPmJS9_EEE10hipError_tPvRmT3_T4_T5_T6_T7_T9_mT8_P12ihipStream_tbDpT10_ENKUlT_T0_E_clISt17integral_constantIbLb1EES1A_EEDaS15_S16_EUlS15_E_NS1_11comp_targetILNS1_3genE10ELNS1_11target_archE1200ELNS1_3gpuE4ELNS1_3repE0EEENS1_30default_config_static_selectorELNS0_4arch9wavefront6targetE0EEEvT1_
    .private_segment_fixed_size: 0
    .sgpr_count:     0
    .sgpr_spill_count: 0
    .symbol:         _ZN7rocprim17ROCPRIM_400000_NS6detail17trampoline_kernelINS0_14default_configENS1_25partition_config_selectorILNS1_17partition_subalgoE9EllbEEZZNS1_14partition_implILS5_9ELb0ES3_jPlS8_PNS0_10empty_typeENS0_5tupleIJS8_S9_EEENSB_IJS8_SA_EEENS0_18inequality_wrapperIZN2at6native12_GLOBAL__N_124unique_dim_cuda_templateIhEESt5tupleIJNSF_6TensorESK_SK_EERKSK_lbbbEUlllE0_EEPmJS9_EEE10hipError_tPvRmT3_T4_T5_T6_T7_T9_mT8_P12ihipStream_tbDpT10_ENKUlT_T0_E_clISt17integral_constantIbLb1EES1A_EEDaS15_S16_EUlS15_E_NS1_11comp_targetILNS1_3genE10ELNS1_11target_archE1200ELNS1_3gpuE4ELNS1_3repE0EEENS1_30default_config_static_selectorELNS0_4arch9wavefront6targetE0EEEvT1_.kd
    .uniform_work_group_size: 1
    .uses_dynamic_stack: false
    .vgpr_count:     0
    .vgpr_spill_count: 0
    .wavefront_size: 32
  - .args:
      - .offset:         0
        .size:           136
        .value_kind:     by_value
    .group_segment_fixed_size: 0
    .kernarg_segment_align: 8
    .kernarg_segment_size: 136
    .language:       OpenCL C
    .language_version:
      - 2
      - 0
    .max_flat_workgroup_size: 512
    .name:           _ZN7rocprim17ROCPRIM_400000_NS6detail17trampoline_kernelINS0_14default_configENS1_25partition_config_selectorILNS1_17partition_subalgoE9EllbEEZZNS1_14partition_implILS5_9ELb0ES3_jPlS8_PNS0_10empty_typeENS0_5tupleIJS8_S9_EEENSB_IJS8_SA_EEENS0_18inequality_wrapperIZN2at6native12_GLOBAL__N_124unique_dim_cuda_templateIhEESt5tupleIJNSF_6TensorESK_SK_EERKSK_lbbbEUlllE0_EEPmJS9_EEE10hipError_tPvRmT3_T4_T5_T6_T7_T9_mT8_P12ihipStream_tbDpT10_ENKUlT_T0_E_clISt17integral_constantIbLb1EES1A_EEDaS15_S16_EUlS15_E_NS1_11comp_targetILNS1_3genE9ELNS1_11target_archE1100ELNS1_3gpuE3ELNS1_3repE0EEENS1_30default_config_static_selectorELNS0_4arch9wavefront6targetE0EEEvT1_
    .private_segment_fixed_size: 0
    .sgpr_count:     0
    .sgpr_spill_count: 0
    .symbol:         _ZN7rocprim17ROCPRIM_400000_NS6detail17trampoline_kernelINS0_14default_configENS1_25partition_config_selectorILNS1_17partition_subalgoE9EllbEEZZNS1_14partition_implILS5_9ELb0ES3_jPlS8_PNS0_10empty_typeENS0_5tupleIJS8_S9_EEENSB_IJS8_SA_EEENS0_18inequality_wrapperIZN2at6native12_GLOBAL__N_124unique_dim_cuda_templateIhEESt5tupleIJNSF_6TensorESK_SK_EERKSK_lbbbEUlllE0_EEPmJS9_EEE10hipError_tPvRmT3_T4_T5_T6_T7_T9_mT8_P12ihipStream_tbDpT10_ENKUlT_T0_E_clISt17integral_constantIbLb1EES1A_EEDaS15_S16_EUlS15_E_NS1_11comp_targetILNS1_3genE9ELNS1_11target_archE1100ELNS1_3gpuE3ELNS1_3repE0EEENS1_30default_config_static_selectorELNS0_4arch9wavefront6targetE0EEEvT1_.kd
    .uniform_work_group_size: 1
    .uses_dynamic_stack: false
    .vgpr_count:     0
    .vgpr_spill_count: 0
    .wavefront_size: 32
  - .args:
      - .offset:         0
        .size:           136
        .value_kind:     by_value
    .group_segment_fixed_size: 0
    .kernarg_segment_align: 8
    .kernarg_segment_size: 136
    .language:       OpenCL C
    .language_version:
      - 2
      - 0
    .max_flat_workgroup_size: 512
    .name:           _ZN7rocprim17ROCPRIM_400000_NS6detail17trampoline_kernelINS0_14default_configENS1_25partition_config_selectorILNS1_17partition_subalgoE9EllbEEZZNS1_14partition_implILS5_9ELb0ES3_jPlS8_PNS0_10empty_typeENS0_5tupleIJS8_S9_EEENSB_IJS8_SA_EEENS0_18inequality_wrapperIZN2at6native12_GLOBAL__N_124unique_dim_cuda_templateIhEESt5tupleIJNSF_6TensorESK_SK_EERKSK_lbbbEUlllE0_EEPmJS9_EEE10hipError_tPvRmT3_T4_T5_T6_T7_T9_mT8_P12ihipStream_tbDpT10_ENKUlT_T0_E_clISt17integral_constantIbLb1EES1A_EEDaS15_S16_EUlS15_E_NS1_11comp_targetILNS1_3genE8ELNS1_11target_archE1030ELNS1_3gpuE2ELNS1_3repE0EEENS1_30default_config_static_selectorELNS0_4arch9wavefront6targetE0EEEvT1_
    .private_segment_fixed_size: 0
    .sgpr_count:     0
    .sgpr_spill_count: 0
    .symbol:         _ZN7rocprim17ROCPRIM_400000_NS6detail17trampoline_kernelINS0_14default_configENS1_25partition_config_selectorILNS1_17partition_subalgoE9EllbEEZZNS1_14partition_implILS5_9ELb0ES3_jPlS8_PNS0_10empty_typeENS0_5tupleIJS8_S9_EEENSB_IJS8_SA_EEENS0_18inequality_wrapperIZN2at6native12_GLOBAL__N_124unique_dim_cuda_templateIhEESt5tupleIJNSF_6TensorESK_SK_EERKSK_lbbbEUlllE0_EEPmJS9_EEE10hipError_tPvRmT3_T4_T5_T6_T7_T9_mT8_P12ihipStream_tbDpT10_ENKUlT_T0_E_clISt17integral_constantIbLb1EES1A_EEDaS15_S16_EUlS15_E_NS1_11comp_targetILNS1_3genE8ELNS1_11target_archE1030ELNS1_3gpuE2ELNS1_3repE0EEENS1_30default_config_static_selectorELNS0_4arch9wavefront6targetE0EEEvT1_.kd
    .uniform_work_group_size: 1
    .uses_dynamic_stack: false
    .vgpr_count:     0
    .vgpr_spill_count: 0
    .wavefront_size: 32
  - .args:
      - .offset:         0
        .size:           120
        .value_kind:     by_value
    .group_segment_fixed_size: 0
    .kernarg_segment_align: 8
    .kernarg_segment_size: 120
    .language:       OpenCL C
    .language_version:
      - 2
      - 0
    .max_flat_workgroup_size: 128
    .name:           _ZN7rocprim17ROCPRIM_400000_NS6detail17trampoline_kernelINS0_14default_configENS1_25partition_config_selectorILNS1_17partition_subalgoE9EllbEEZZNS1_14partition_implILS5_9ELb0ES3_jPlS8_PNS0_10empty_typeENS0_5tupleIJS8_S9_EEENSB_IJS8_SA_EEENS0_18inequality_wrapperIZN2at6native12_GLOBAL__N_124unique_dim_cuda_templateIhEESt5tupleIJNSF_6TensorESK_SK_EERKSK_lbbbEUlllE0_EEPmJS9_EEE10hipError_tPvRmT3_T4_T5_T6_T7_T9_mT8_P12ihipStream_tbDpT10_ENKUlT_T0_E_clISt17integral_constantIbLb1EES19_IbLb0EEEEDaS15_S16_EUlS15_E_NS1_11comp_targetILNS1_3genE0ELNS1_11target_archE4294967295ELNS1_3gpuE0ELNS1_3repE0EEENS1_30default_config_static_selectorELNS0_4arch9wavefront6targetE0EEEvT1_
    .private_segment_fixed_size: 0
    .sgpr_count:     0
    .sgpr_spill_count: 0
    .symbol:         _ZN7rocprim17ROCPRIM_400000_NS6detail17trampoline_kernelINS0_14default_configENS1_25partition_config_selectorILNS1_17partition_subalgoE9EllbEEZZNS1_14partition_implILS5_9ELb0ES3_jPlS8_PNS0_10empty_typeENS0_5tupleIJS8_S9_EEENSB_IJS8_SA_EEENS0_18inequality_wrapperIZN2at6native12_GLOBAL__N_124unique_dim_cuda_templateIhEESt5tupleIJNSF_6TensorESK_SK_EERKSK_lbbbEUlllE0_EEPmJS9_EEE10hipError_tPvRmT3_T4_T5_T6_T7_T9_mT8_P12ihipStream_tbDpT10_ENKUlT_T0_E_clISt17integral_constantIbLb1EES19_IbLb0EEEEDaS15_S16_EUlS15_E_NS1_11comp_targetILNS1_3genE0ELNS1_11target_archE4294967295ELNS1_3gpuE0ELNS1_3repE0EEENS1_30default_config_static_selectorELNS0_4arch9wavefront6targetE0EEEvT1_.kd
    .uniform_work_group_size: 1
    .uses_dynamic_stack: false
    .vgpr_count:     0
    .vgpr_spill_count: 0
    .wavefront_size: 32
  - .args:
      - .offset:         0
        .size:           120
        .value_kind:     by_value
    .group_segment_fixed_size: 0
    .kernarg_segment_align: 8
    .kernarg_segment_size: 120
    .language:       OpenCL C
    .language_version:
      - 2
      - 0
    .max_flat_workgroup_size: 512
    .name:           _ZN7rocprim17ROCPRIM_400000_NS6detail17trampoline_kernelINS0_14default_configENS1_25partition_config_selectorILNS1_17partition_subalgoE9EllbEEZZNS1_14partition_implILS5_9ELb0ES3_jPlS8_PNS0_10empty_typeENS0_5tupleIJS8_S9_EEENSB_IJS8_SA_EEENS0_18inequality_wrapperIZN2at6native12_GLOBAL__N_124unique_dim_cuda_templateIhEESt5tupleIJNSF_6TensorESK_SK_EERKSK_lbbbEUlllE0_EEPmJS9_EEE10hipError_tPvRmT3_T4_T5_T6_T7_T9_mT8_P12ihipStream_tbDpT10_ENKUlT_T0_E_clISt17integral_constantIbLb1EES19_IbLb0EEEEDaS15_S16_EUlS15_E_NS1_11comp_targetILNS1_3genE5ELNS1_11target_archE942ELNS1_3gpuE9ELNS1_3repE0EEENS1_30default_config_static_selectorELNS0_4arch9wavefront6targetE0EEEvT1_
    .private_segment_fixed_size: 0
    .sgpr_count:     0
    .sgpr_spill_count: 0
    .symbol:         _ZN7rocprim17ROCPRIM_400000_NS6detail17trampoline_kernelINS0_14default_configENS1_25partition_config_selectorILNS1_17partition_subalgoE9EllbEEZZNS1_14partition_implILS5_9ELb0ES3_jPlS8_PNS0_10empty_typeENS0_5tupleIJS8_S9_EEENSB_IJS8_SA_EEENS0_18inequality_wrapperIZN2at6native12_GLOBAL__N_124unique_dim_cuda_templateIhEESt5tupleIJNSF_6TensorESK_SK_EERKSK_lbbbEUlllE0_EEPmJS9_EEE10hipError_tPvRmT3_T4_T5_T6_T7_T9_mT8_P12ihipStream_tbDpT10_ENKUlT_T0_E_clISt17integral_constantIbLb1EES19_IbLb0EEEEDaS15_S16_EUlS15_E_NS1_11comp_targetILNS1_3genE5ELNS1_11target_archE942ELNS1_3gpuE9ELNS1_3repE0EEENS1_30default_config_static_selectorELNS0_4arch9wavefront6targetE0EEEvT1_.kd
    .uniform_work_group_size: 1
    .uses_dynamic_stack: false
    .vgpr_count:     0
    .vgpr_spill_count: 0
    .wavefront_size: 32
  - .args:
      - .offset:         0
        .size:           120
        .value_kind:     by_value
    .group_segment_fixed_size: 0
    .kernarg_segment_align: 8
    .kernarg_segment_size: 120
    .language:       OpenCL C
    .language_version:
      - 2
      - 0
    .max_flat_workgroup_size: 128
    .name:           _ZN7rocprim17ROCPRIM_400000_NS6detail17trampoline_kernelINS0_14default_configENS1_25partition_config_selectorILNS1_17partition_subalgoE9EllbEEZZNS1_14partition_implILS5_9ELb0ES3_jPlS8_PNS0_10empty_typeENS0_5tupleIJS8_S9_EEENSB_IJS8_SA_EEENS0_18inequality_wrapperIZN2at6native12_GLOBAL__N_124unique_dim_cuda_templateIhEESt5tupleIJNSF_6TensorESK_SK_EERKSK_lbbbEUlllE0_EEPmJS9_EEE10hipError_tPvRmT3_T4_T5_T6_T7_T9_mT8_P12ihipStream_tbDpT10_ENKUlT_T0_E_clISt17integral_constantIbLb1EES19_IbLb0EEEEDaS15_S16_EUlS15_E_NS1_11comp_targetILNS1_3genE4ELNS1_11target_archE910ELNS1_3gpuE8ELNS1_3repE0EEENS1_30default_config_static_selectorELNS0_4arch9wavefront6targetE0EEEvT1_
    .private_segment_fixed_size: 0
    .sgpr_count:     0
    .sgpr_spill_count: 0
    .symbol:         _ZN7rocprim17ROCPRIM_400000_NS6detail17trampoline_kernelINS0_14default_configENS1_25partition_config_selectorILNS1_17partition_subalgoE9EllbEEZZNS1_14partition_implILS5_9ELb0ES3_jPlS8_PNS0_10empty_typeENS0_5tupleIJS8_S9_EEENSB_IJS8_SA_EEENS0_18inequality_wrapperIZN2at6native12_GLOBAL__N_124unique_dim_cuda_templateIhEESt5tupleIJNSF_6TensorESK_SK_EERKSK_lbbbEUlllE0_EEPmJS9_EEE10hipError_tPvRmT3_T4_T5_T6_T7_T9_mT8_P12ihipStream_tbDpT10_ENKUlT_T0_E_clISt17integral_constantIbLb1EES19_IbLb0EEEEDaS15_S16_EUlS15_E_NS1_11comp_targetILNS1_3genE4ELNS1_11target_archE910ELNS1_3gpuE8ELNS1_3repE0EEENS1_30default_config_static_selectorELNS0_4arch9wavefront6targetE0EEEvT1_.kd
    .uniform_work_group_size: 1
    .uses_dynamic_stack: false
    .vgpr_count:     0
    .vgpr_spill_count: 0
    .wavefront_size: 32
  - .args:
      - .offset:         0
        .size:           120
        .value_kind:     by_value
    .group_segment_fixed_size: 0
    .kernarg_segment_align: 8
    .kernarg_segment_size: 120
    .language:       OpenCL C
    .language_version:
      - 2
      - 0
    .max_flat_workgroup_size: 128
    .name:           _ZN7rocprim17ROCPRIM_400000_NS6detail17trampoline_kernelINS0_14default_configENS1_25partition_config_selectorILNS1_17partition_subalgoE9EllbEEZZNS1_14partition_implILS5_9ELb0ES3_jPlS8_PNS0_10empty_typeENS0_5tupleIJS8_S9_EEENSB_IJS8_SA_EEENS0_18inequality_wrapperIZN2at6native12_GLOBAL__N_124unique_dim_cuda_templateIhEESt5tupleIJNSF_6TensorESK_SK_EERKSK_lbbbEUlllE0_EEPmJS9_EEE10hipError_tPvRmT3_T4_T5_T6_T7_T9_mT8_P12ihipStream_tbDpT10_ENKUlT_T0_E_clISt17integral_constantIbLb1EES19_IbLb0EEEEDaS15_S16_EUlS15_E_NS1_11comp_targetILNS1_3genE3ELNS1_11target_archE908ELNS1_3gpuE7ELNS1_3repE0EEENS1_30default_config_static_selectorELNS0_4arch9wavefront6targetE0EEEvT1_
    .private_segment_fixed_size: 0
    .sgpr_count:     0
    .sgpr_spill_count: 0
    .symbol:         _ZN7rocprim17ROCPRIM_400000_NS6detail17trampoline_kernelINS0_14default_configENS1_25partition_config_selectorILNS1_17partition_subalgoE9EllbEEZZNS1_14partition_implILS5_9ELb0ES3_jPlS8_PNS0_10empty_typeENS0_5tupleIJS8_S9_EEENSB_IJS8_SA_EEENS0_18inequality_wrapperIZN2at6native12_GLOBAL__N_124unique_dim_cuda_templateIhEESt5tupleIJNSF_6TensorESK_SK_EERKSK_lbbbEUlllE0_EEPmJS9_EEE10hipError_tPvRmT3_T4_T5_T6_T7_T9_mT8_P12ihipStream_tbDpT10_ENKUlT_T0_E_clISt17integral_constantIbLb1EES19_IbLb0EEEEDaS15_S16_EUlS15_E_NS1_11comp_targetILNS1_3genE3ELNS1_11target_archE908ELNS1_3gpuE7ELNS1_3repE0EEENS1_30default_config_static_selectorELNS0_4arch9wavefront6targetE0EEEvT1_.kd
    .uniform_work_group_size: 1
    .uses_dynamic_stack: false
    .vgpr_count:     0
    .vgpr_spill_count: 0
    .wavefront_size: 32
  - .args:
      - .offset:         0
        .size:           120
        .value_kind:     by_value
    .group_segment_fixed_size: 0
    .kernarg_segment_align: 8
    .kernarg_segment_size: 120
    .language:       OpenCL C
    .language_version:
      - 2
      - 0
    .max_flat_workgroup_size: 192
    .name:           _ZN7rocprim17ROCPRIM_400000_NS6detail17trampoline_kernelINS0_14default_configENS1_25partition_config_selectorILNS1_17partition_subalgoE9EllbEEZZNS1_14partition_implILS5_9ELb0ES3_jPlS8_PNS0_10empty_typeENS0_5tupleIJS8_S9_EEENSB_IJS8_SA_EEENS0_18inequality_wrapperIZN2at6native12_GLOBAL__N_124unique_dim_cuda_templateIhEESt5tupleIJNSF_6TensorESK_SK_EERKSK_lbbbEUlllE0_EEPmJS9_EEE10hipError_tPvRmT3_T4_T5_T6_T7_T9_mT8_P12ihipStream_tbDpT10_ENKUlT_T0_E_clISt17integral_constantIbLb1EES19_IbLb0EEEEDaS15_S16_EUlS15_E_NS1_11comp_targetILNS1_3genE2ELNS1_11target_archE906ELNS1_3gpuE6ELNS1_3repE0EEENS1_30default_config_static_selectorELNS0_4arch9wavefront6targetE0EEEvT1_
    .private_segment_fixed_size: 0
    .sgpr_count:     0
    .sgpr_spill_count: 0
    .symbol:         _ZN7rocprim17ROCPRIM_400000_NS6detail17trampoline_kernelINS0_14default_configENS1_25partition_config_selectorILNS1_17partition_subalgoE9EllbEEZZNS1_14partition_implILS5_9ELb0ES3_jPlS8_PNS0_10empty_typeENS0_5tupleIJS8_S9_EEENSB_IJS8_SA_EEENS0_18inequality_wrapperIZN2at6native12_GLOBAL__N_124unique_dim_cuda_templateIhEESt5tupleIJNSF_6TensorESK_SK_EERKSK_lbbbEUlllE0_EEPmJS9_EEE10hipError_tPvRmT3_T4_T5_T6_T7_T9_mT8_P12ihipStream_tbDpT10_ENKUlT_T0_E_clISt17integral_constantIbLb1EES19_IbLb0EEEEDaS15_S16_EUlS15_E_NS1_11comp_targetILNS1_3genE2ELNS1_11target_archE906ELNS1_3gpuE6ELNS1_3repE0EEENS1_30default_config_static_selectorELNS0_4arch9wavefront6targetE0EEEvT1_.kd
    .uniform_work_group_size: 1
    .uses_dynamic_stack: false
    .vgpr_count:     0
    .vgpr_spill_count: 0
    .wavefront_size: 32
  - .args:
      - .offset:         0
        .size:           120
        .value_kind:     by_value
    .group_segment_fixed_size: 0
    .kernarg_segment_align: 8
    .kernarg_segment_size: 120
    .language:       OpenCL C
    .language_version:
      - 2
      - 0
    .max_flat_workgroup_size: 384
    .name:           _ZN7rocprim17ROCPRIM_400000_NS6detail17trampoline_kernelINS0_14default_configENS1_25partition_config_selectorILNS1_17partition_subalgoE9EllbEEZZNS1_14partition_implILS5_9ELb0ES3_jPlS8_PNS0_10empty_typeENS0_5tupleIJS8_S9_EEENSB_IJS8_SA_EEENS0_18inequality_wrapperIZN2at6native12_GLOBAL__N_124unique_dim_cuda_templateIhEESt5tupleIJNSF_6TensorESK_SK_EERKSK_lbbbEUlllE0_EEPmJS9_EEE10hipError_tPvRmT3_T4_T5_T6_T7_T9_mT8_P12ihipStream_tbDpT10_ENKUlT_T0_E_clISt17integral_constantIbLb1EES19_IbLb0EEEEDaS15_S16_EUlS15_E_NS1_11comp_targetILNS1_3genE10ELNS1_11target_archE1200ELNS1_3gpuE4ELNS1_3repE0EEENS1_30default_config_static_selectorELNS0_4arch9wavefront6targetE0EEEvT1_
    .private_segment_fixed_size: 0
    .sgpr_count:     0
    .sgpr_spill_count: 0
    .symbol:         _ZN7rocprim17ROCPRIM_400000_NS6detail17trampoline_kernelINS0_14default_configENS1_25partition_config_selectorILNS1_17partition_subalgoE9EllbEEZZNS1_14partition_implILS5_9ELb0ES3_jPlS8_PNS0_10empty_typeENS0_5tupleIJS8_S9_EEENSB_IJS8_SA_EEENS0_18inequality_wrapperIZN2at6native12_GLOBAL__N_124unique_dim_cuda_templateIhEESt5tupleIJNSF_6TensorESK_SK_EERKSK_lbbbEUlllE0_EEPmJS9_EEE10hipError_tPvRmT3_T4_T5_T6_T7_T9_mT8_P12ihipStream_tbDpT10_ENKUlT_T0_E_clISt17integral_constantIbLb1EES19_IbLb0EEEEDaS15_S16_EUlS15_E_NS1_11comp_targetILNS1_3genE10ELNS1_11target_archE1200ELNS1_3gpuE4ELNS1_3repE0EEENS1_30default_config_static_selectorELNS0_4arch9wavefront6targetE0EEEvT1_.kd
    .uniform_work_group_size: 1
    .uses_dynamic_stack: false
    .vgpr_count:     0
    .vgpr_spill_count: 0
    .wavefront_size: 32
  - .args:
      - .offset:         0
        .size:           120
        .value_kind:     by_value
    .group_segment_fixed_size: 0
    .kernarg_segment_align: 8
    .kernarg_segment_size: 120
    .language:       OpenCL C
    .language_version:
      - 2
      - 0
    .max_flat_workgroup_size: 512
    .name:           _ZN7rocprim17ROCPRIM_400000_NS6detail17trampoline_kernelINS0_14default_configENS1_25partition_config_selectorILNS1_17partition_subalgoE9EllbEEZZNS1_14partition_implILS5_9ELb0ES3_jPlS8_PNS0_10empty_typeENS0_5tupleIJS8_S9_EEENSB_IJS8_SA_EEENS0_18inequality_wrapperIZN2at6native12_GLOBAL__N_124unique_dim_cuda_templateIhEESt5tupleIJNSF_6TensorESK_SK_EERKSK_lbbbEUlllE0_EEPmJS9_EEE10hipError_tPvRmT3_T4_T5_T6_T7_T9_mT8_P12ihipStream_tbDpT10_ENKUlT_T0_E_clISt17integral_constantIbLb1EES19_IbLb0EEEEDaS15_S16_EUlS15_E_NS1_11comp_targetILNS1_3genE9ELNS1_11target_archE1100ELNS1_3gpuE3ELNS1_3repE0EEENS1_30default_config_static_selectorELNS0_4arch9wavefront6targetE0EEEvT1_
    .private_segment_fixed_size: 0
    .sgpr_count:     0
    .sgpr_spill_count: 0
    .symbol:         _ZN7rocprim17ROCPRIM_400000_NS6detail17trampoline_kernelINS0_14default_configENS1_25partition_config_selectorILNS1_17partition_subalgoE9EllbEEZZNS1_14partition_implILS5_9ELb0ES3_jPlS8_PNS0_10empty_typeENS0_5tupleIJS8_S9_EEENSB_IJS8_SA_EEENS0_18inequality_wrapperIZN2at6native12_GLOBAL__N_124unique_dim_cuda_templateIhEESt5tupleIJNSF_6TensorESK_SK_EERKSK_lbbbEUlllE0_EEPmJS9_EEE10hipError_tPvRmT3_T4_T5_T6_T7_T9_mT8_P12ihipStream_tbDpT10_ENKUlT_T0_E_clISt17integral_constantIbLb1EES19_IbLb0EEEEDaS15_S16_EUlS15_E_NS1_11comp_targetILNS1_3genE9ELNS1_11target_archE1100ELNS1_3gpuE3ELNS1_3repE0EEENS1_30default_config_static_selectorELNS0_4arch9wavefront6targetE0EEEvT1_.kd
    .uniform_work_group_size: 1
    .uses_dynamic_stack: false
    .vgpr_count:     0
    .vgpr_spill_count: 0
    .wavefront_size: 32
  - .args:
      - .offset:         0
        .size:           120
        .value_kind:     by_value
    .group_segment_fixed_size: 0
    .kernarg_segment_align: 8
    .kernarg_segment_size: 120
    .language:       OpenCL C
    .language_version:
      - 2
      - 0
    .max_flat_workgroup_size: 512
    .name:           _ZN7rocprim17ROCPRIM_400000_NS6detail17trampoline_kernelINS0_14default_configENS1_25partition_config_selectorILNS1_17partition_subalgoE9EllbEEZZNS1_14partition_implILS5_9ELb0ES3_jPlS8_PNS0_10empty_typeENS0_5tupleIJS8_S9_EEENSB_IJS8_SA_EEENS0_18inequality_wrapperIZN2at6native12_GLOBAL__N_124unique_dim_cuda_templateIhEESt5tupleIJNSF_6TensorESK_SK_EERKSK_lbbbEUlllE0_EEPmJS9_EEE10hipError_tPvRmT3_T4_T5_T6_T7_T9_mT8_P12ihipStream_tbDpT10_ENKUlT_T0_E_clISt17integral_constantIbLb1EES19_IbLb0EEEEDaS15_S16_EUlS15_E_NS1_11comp_targetILNS1_3genE8ELNS1_11target_archE1030ELNS1_3gpuE2ELNS1_3repE0EEENS1_30default_config_static_selectorELNS0_4arch9wavefront6targetE0EEEvT1_
    .private_segment_fixed_size: 0
    .sgpr_count:     0
    .sgpr_spill_count: 0
    .symbol:         _ZN7rocprim17ROCPRIM_400000_NS6detail17trampoline_kernelINS0_14default_configENS1_25partition_config_selectorILNS1_17partition_subalgoE9EllbEEZZNS1_14partition_implILS5_9ELb0ES3_jPlS8_PNS0_10empty_typeENS0_5tupleIJS8_S9_EEENSB_IJS8_SA_EEENS0_18inequality_wrapperIZN2at6native12_GLOBAL__N_124unique_dim_cuda_templateIhEESt5tupleIJNSF_6TensorESK_SK_EERKSK_lbbbEUlllE0_EEPmJS9_EEE10hipError_tPvRmT3_T4_T5_T6_T7_T9_mT8_P12ihipStream_tbDpT10_ENKUlT_T0_E_clISt17integral_constantIbLb1EES19_IbLb0EEEEDaS15_S16_EUlS15_E_NS1_11comp_targetILNS1_3genE8ELNS1_11target_archE1030ELNS1_3gpuE2ELNS1_3repE0EEENS1_30default_config_static_selectorELNS0_4arch9wavefront6targetE0EEEvT1_.kd
    .uniform_work_group_size: 1
    .uses_dynamic_stack: false
    .vgpr_count:     0
    .vgpr_spill_count: 0
    .wavefront_size: 32
  - .args:
      - .offset:         0
        .size:           136
        .value_kind:     by_value
    .group_segment_fixed_size: 5128
    .kernarg_segment_align: 8
    .kernarg_segment_size: 136
    .language:       OpenCL C
    .language_version:
      - 2
      - 0
    .max_flat_workgroup_size: 128
    .name:           _ZN7rocprim17ROCPRIM_400000_NS6detail17trampoline_kernelINS0_14default_configENS1_25partition_config_selectorILNS1_17partition_subalgoE9EllbEEZZNS1_14partition_implILS5_9ELb0ES3_jPlS8_PNS0_10empty_typeENS0_5tupleIJS8_S9_EEENSB_IJS8_SA_EEENS0_18inequality_wrapperIZN2at6native12_GLOBAL__N_124unique_dim_cuda_templateIhEESt5tupleIJNSF_6TensorESK_SK_EERKSK_lbbbEUlllE0_EEPmJS9_EEE10hipError_tPvRmT3_T4_T5_T6_T7_T9_mT8_P12ihipStream_tbDpT10_ENKUlT_T0_E_clISt17integral_constantIbLb0EES19_IbLb1EEEEDaS15_S16_EUlS15_E_NS1_11comp_targetILNS1_3genE0ELNS1_11target_archE4294967295ELNS1_3gpuE0ELNS1_3repE0EEENS1_30default_config_static_selectorELNS0_4arch9wavefront6targetE0EEEvT1_
    .private_segment_fixed_size: 0
    .sgpr_count:     38
    .sgpr_spill_count: 0
    .symbol:         _ZN7rocprim17ROCPRIM_400000_NS6detail17trampoline_kernelINS0_14default_configENS1_25partition_config_selectorILNS1_17partition_subalgoE9EllbEEZZNS1_14partition_implILS5_9ELb0ES3_jPlS8_PNS0_10empty_typeENS0_5tupleIJS8_S9_EEENSB_IJS8_SA_EEENS0_18inequality_wrapperIZN2at6native12_GLOBAL__N_124unique_dim_cuda_templateIhEESt5tupleIJNSF_6TensorESK_SK_EERKSK_lbbbEUlllE0_EEPmJS9_EEE10hipError_tPvRmT3_T4_T5_T6_T7_T9_mT8_P12ihipStream_tbDpT10_ENKUlT_T0_E_clISt17integral_constantIbLb0EES19_IbLb1EEEEDaS15_S16_EUlS15_E_NS1_11comp_targetILNS1_3genE0ELNS1_11target_archE4294967295ELNS1_3gpuE0ELNS1_3repE0EEENS1_30default_config_static_selectorELNS0_4arch9wavefront6targetE0EEEvT1_.kd
    .uniform_work_group_size: 1
    .uses_dynamic_stack: false
    .vgpr_count:     55
    .vgpr_spill_count: 0
    .wavefront_size: 32
  - .args:
      - .offset:         0
        .size:           136
        .value_kind:     by_value
    .group_segment_fixed_size: 0
    .kernarg_segment_align: 8
    .kernarg_segment_size: 136
    .language:       OpenCL C
    .language_version:
      - 2
      - 0
    .max_flat_workgroup_size: 512
    .name:           _ZN7rocprim17ROCPRIM_400000_NS6detail17trampoline_kernelINS0_14default_configENS1_25partition_config_selectorILNS1_17partition_subalgoE9EllbEEZZNS1_14partition_implILS5_9ELb0ES3_jPlS8_PNS0_10empty_typeENS0_5tupleIJS8_S9_EEENSB_IJS8_SA_EEENS0_18inequality_wrapperIZN2at6native12_GLOBAL__N_124unique_dim_cuda_templateIhEESt5tupleIJNSF_6TensorESK_SK_EERKSK_lbbbEUlllE0_EEPmJS9_EEE10hipError_tPvRmT3_T4_T5_T6_T7_T9_mT8_P12ihipStream_tbDpT10_ENKUlT_T0_E_clISt17integral_constantIbLb0EES19_IbLb1EEEEDaS15_S16_EUlS15_E_NS1_11comp_targetILNS1_3genE5ELNS1_11target_archE942ELNS1_3gpuE9ELNS1_3repE0EEENS1_30default_config_static_selectorELNS0_4arch9wavefront6targetE0EEEvT1_
    .private_segment_fixed_size: 0
    .sgpr_count:     0
    .sgpr_spill_count: 0
    .symbol:         _ZN7rocprim17ROCPRIM_400000_NS6detail17trampoline_kernelINS0_14default_configENS1_25partition_config_selectorILNS1_17partition_subalgoE9EllbEEZZNS1_14partition_implILS5_9ELb0ES3_jPlS8_PNS0_10empty_typeENS0_5tupleIJS8_S9_EEENSB_IJS8_SA_EEENS0_18inequality_wrapperIZN2at6native12_GLOBAL__N_124unique_dim_cuda_templateIhEESt5tupleIJNSF_6TensorESK_SK_EERKSK_lbbbEUlllE0_EEPmJS9_EEE10hipError_tPvRmT3_T4_T5_T6_T7_T9_mT8_P12ihipStream_tbDpT10_ENKUlT_T0_E_clISt17integral_constantIbLb0EES19_IbLb1EEEEDaS15_S16_EUlS15_E_NS1_11comp_targetILNS1_3genE5ELNS1_11target_archE942ELNS1_3gpuE9ELNS1_3repE0EEENS1_30default_config_static_selectorELNS0_4arch9wavefront6targetE0EEEvT1_.kd
    .uniform_work_group_size: 1
    .uses_dynamic_stack: false
    .vgpr_count:     0
    .vgpr_spill_count: 0
    .wavefront_size: 32
  - .args:
      - .offset:         0
        .size:           136
        .value_kind:     by_value
    .group_segment_fixed_size: 0
    .kernarg_segment_align: 8
    .kernarg_segment_size: 136
    .language:       OpenCL C
    .language_version:
      - 2
      - 0
    .max_flat_workgroup_size: 128
    .name:           _ZN7rocprim17ROCPRIM_400000_NS6detail17trampoline_kernelINS0_14default_configENS1_25partition_config_selectorILNS1_17partition_subalgoE9EllbEEZZNS1_14partition_implILS5_9ELb0ES3_jPlS8_PNS0_10empty_typeENS0_5tupleIJS8_S9_EEENSB_IJS8_SA_EEENS0_18inequality_wrapperIZN2at6native12_GLOBAL__N_124unique_dim_cuda_templateIhEESt5tupleIJNSF_6TensorESK_SK_EERKSK_lbbbEUlllE0_EEPmJS9_EEE10hipError_tPvRmT3_T4_T5_T6_T7_T9_mT8_P12ihipStream_tbDpT10_ENKUlT_T0_E_clISt17integral_constantIbLb0EES19_IbLb1EEEEDaS15_S16_EUlS15_E_NS1_11comp_targetILNS1_3genE4ELNS1_11target_archE910ELNS1_3gpuE8ELNS1_3repE0EEENS1_30default_config_static_selectorELNS0_4arch9wavefront6targetE0EEEvT1_
    .private_segment_fixed_size: 0
    .sgpr_count:     0
    .sgpr_spill_count: 0
    .symbol:         _ZN7rocprim17ROCPRIM_400000_NS6detail17trampoline_kernelINS0_14default_configENS1_25partition_config_selectorILNS1_17partition_subalgoE9EllbEEZZNS1_14partition_implILS5_9ELb0ES3_jPlS8_PNS0_10empty_typeENS0_5tupleIJS8_S9_EEENSB_IJS8_SA_EEENS0_18inequality_wrapperIZN2at6native12_GLOBAL__N_124unique_dim_cuda_templateIhEESt5tupleIJNSF_6TensorESK_SK_EERKSK_lbbbEUlllE0_EEPmJS9_EEE10hipError_tPvRmT3_T4_T5_T6_T7_T9_mT8_P12ihipStream_tbDpT10_ENKUlT_T0_E_clISt17integral_constantIbLb0EES19_IbLb1EEEEDaS15_S16_EUlS15_E_NS1_11comp_targetILNS1_3genE4ELNS1_11target_archE910ELNS1_3gpuE8ELNS1_3repE0EEENS1_30default_config_static_selectorELNS0_4arch9wavefront6targetE0EEEvT1_.kd
    .uniform_work_group_size: 1
    .uses_dynamic_stack: false
    .vgpr_count:     0
    .vgpr_spill_count: 0
    .wavefront_size: 32
  - .args:
      - .offset:         0
        .size:           136
        .value_kind:     by_value
    .group_segment_fixed_size: 0
    .kernarg_segment_align: 8
    .kernarg_segment_size: 136
    .language:       OpenCL C
    .language_version:
      - 2
      - 0
    .max_flat_workgroup_size: 128
    .name:           _ZN7rocprim17ROCPRIM_400000_NS6detail17trampoline_kernelINS0_14default_configENS1_25partition_config_selectorILNS1_17partition_subalgoE9EllbEEZZNS1_14partition_implILS5_9ELb0ES3_jPlS8_PNS0_10empty_typeENS0_5tupleIJS8_S9_EEENSB_IJS8_SA_EEENS0_18inequality_wrapperIZN2at6native12_GLOBAL__N_124unique_dim_cuda_templateIhEESt5tupleIJNSF_6TensorESK_SK_EERKSK_lbbbEUlllE0_EEPmJS9_EEE10hipError_tPvRmT3_T4_T5_T6_T7_T9_mT8_P12ihipStream_tbDpT10_ENKUlT_T0_E_clISt17integral_constantIbLb0EES19_IbLb1EEEEDaS15_S16_EUlS15_E_NS1_11comp_targetILNS1_3genE3ELNS1_11target_archE908ELNS1_3gpuE7ELNS1_3repE0EEENS1_30default_config_static_selectorELNS0_4arch9wavefront6targetE0EEEvT1_
    .private_segment_fixed_size: 0
    .sgpr_count:     0
    .sgpr_spill_count: 0
    .symbol:         _ZN7rocprim17ROCPRIM_400000_NS6detail17trampoline_kernelINS0_14default_configENS1_25partition_config_selectorILNS1_17partition_subalgoE9EllbEEZZNS1_14partition_implILS5_9ELb0ES3_jPlS8_PNS0_10empty_typeENS0_5tupleIJS8_S9_EEENSB_IJS8_SA_EEENS0_18inequality_wrapperIZN2at6native12_GLOBAL__N_124unique_dim_cuda_templateIhEESt5tupleIJNSF_6TensorESK_SK_EERKSK_lbbbEUlllE0_EEPmJS9_EEE10hipError_tPvRmT3_T4_T5_T6_T7_T9_mT8_P12ihipStream_tbDpT10_ENKUlT_T0_E_clISt17integral_constantIbLb0EES19_IbLb1EEEEDaS15_S16_EUlS15_E_NS1_11comp_targetILNS1_3genE3ELNS1_11target_archE908ELNS1_3gpuE7ELNS1_3repE0EEENS1_30default_config_static_selectorELNS0_4arch9wavefront6targetE0EEEvT1_.kd
    .uniform_work_group_size: 1
    .uses_dynamic_stack: false
    .vgpr_count:     0
    .vgpr_spill_count: 0
    .wavefront_size: 32
  - .args:
      - .offset:         0
        .size:           136
        .value_kind:     by_value
    .group_segment_fixed_size: 0
    .kernarg_segment_align: 8
    .kernarg_segment_size: 136
    .language:       OpenCL C
    .language_version:
      - 2
      - 0
    .max_flat_workgroup_size: 192
    .name:           _ZN7rocprim17ROCPRIM_400000_NS6detail17trampoline_kernelINS0_14default_configENS1_25partition_config_selectorILNS1_17partition_subalgoE9EllbEEZZNS1_14partition_implILS5_9ELb0ES3_jPlS8_PNS0_10empty_typeENS0_5tupleIJS8_S9_EEENSB_IJS8_SA_EEENS0_18inequality_wrapperIZN2at6native12_GLOBAL__N_124unique_dim_cuda_templateIhEESt5tupleIJNSF_6TensorESK_SK_EERKSK_lbbbEUlllE0_EEPmJS9_EEE10hipError_tPvRmT3_T4_T5_T6_T7_T9_mT8_P12ihipStream_tbDpT10_ENKUlT_T0_E_clISt17integral_constantIbLb0EES19_IbLb1EEEEDaS15_S16_EUlS15_E_NS1_11comp_targetILNS1_3genE2ELNS1_11target_archE906ELNS1_3gpuE6ELNS1_3repE0EEENS1_30default_config_static_selectorELNS0_4arch9wavefront6targetE0EEEvT1_
    .private_segment_fixed_size: 0
    .sgpr_count:     0
    .sgpr_spill_count: 0
    .symbol:         _ZN7rocprim17ROCPRIM_400000_NS6detail17trampoline_kernelINS0_14default_configENS1_25partition_config_selectorILNS1_17partition_subalgoE9EllbEEZZNS1_14partition_implILS5_9ELb0ES3_jPlS8_PNS0_10empty_typeENS0_5tupleIJS8_S9_EEENSB_IJS8_SA_EEENS0_18inequality_wrapperIZN2at6native12_GLOBAL__N_124unique_dim_cuda_templateIhEESt5tupleIJNSF_6TensorESK_SK_EERKSK_lbbbEUlllE0_EEPmJS9_EEE10hipError_tPvRmT3_T4_T5_T6_T7_T9_mT8_P12ihipStream_tbDpT10_ENKUlT_T0_E_clISt17integral_constantIbLb0EES19_IbLb1EEEEDaS15_S16_EUlS15_E_NS1_11comp_targetILNS1_3genE2ELNS1_11target_archE906ELNS1_3gpuE6ELNS1_3repE0EEENS1_30default_config_static_selectorELNS0_4arch9wavefront6targetE0EEEvT1_.kd
    .uniform_work_group_size: 1
    .uses_dynamic_stack: false
    .vgpr_count:     0
    .vgpr_spill_count: 0
    .wavefront_size: 32
  - .args:
      - .offset:         0
        .size:           136
        .value_kind:     by_value
    .group_segment_fixed_size: 0
    .kernarg_segment_align: 8
    .kernarg_segment_size: 136
    .language:       OpenCL C
    .language_version:
      - 2
      - 0
    .max_flat_workgroup_size: 384
    .name:           _ZN7rocprim17ROCPRIM_400000_NS6detail17trampoline_kernelINS0_14default_configENS1_25partition_config_selectorILNS1_17partition_subalgoE9EllbEEZZNS1_14partition_implILS5_9ELb0ES3_jPlS8_PNS0_10empty_typeENS0_5tupleIJS8_S9_EEENSB_IJS8_SA_EEENS0_18inequality_wrapperIZN2at6native12_GLOBAL__N_124unique_dim_cuda_templateIhEESt5tupleIJNSF_6TensorESK_SK_EERKSK_lbbbEUlllE0_EEPmJS9_EEE10hipError_tPvRmT3_T4_T5_T6_T7_T9_mT8_P12ihipStream_tbDpT10_ENKUlT_T0_E_clISt17integral_constantIbLb0EES19_IbLb1EEEEDaS15_S16_EUlS15_E_NS1_11comp_targetILNS1_3genE10ELNS1_11target_archE1200ELNS1_3gpuE4ELNS1_3repE0EEENS1_30default_config_static_selectorELNS0_4arch9wavefront6targetE0EEEvT1_
    .private_segment_fixed_size: 0
    .sgpr_count:     0
    .sgpr_spill_count: 0
    .symbol:         _ZN7rocprim17ROCPRIM_400000_NS6detail17trampoline_kernelINS0_14default_configENS1_25partition_config_selectorILNS1_17partition_subalgoE9EllbEEZZNS1_14partition_implILS5_9ELb0ES3_jPlS8_PNS0_10empty_typeENS0_5tupleIJS8_S9_EEENSB_IJS8_SA_EEENS0_18inequality_wrapperIZN2at6native12_GLOBAL__N_124unique_dim_cuda_templateIhEESt5tupleIJNSF_6TensorESK_SK_EERKSK_lbbbEUlllE0_EEPmJS9_EEE10hipError_tPvRmT3_T4_T5_T6_T7_T9_mT8_P12ihipStream_tbDpT10_ENKUlT_T0_E_clISt17integral_constantIbLb0EES19_IbLb1EEEEDaS15_S16_EUlS15_E_NS1_11comp_targetILNS1_3genE10ELNS1_11target_archE1200ELNS1_3gpuE4ELNS1_3repE0EEENS1_30default_config_static_selectorELNS0_4arch9wavefront6targetE0EEEvT1_.kd
    .uniform_work_group_size: 1
    .uses_dynamic_stack: false
    .vgpr_count:     0
    .vgpr_spill_count: 0
    .wavefront_size: 32
  - .args:
      - .offset:         0
        .size:           136
        .value_kind:     by_value
    .group_segment_fixed_size: 0
    .kernarg_segment_align: 8
    .kernarg_segment_size: 136
    .language:       OpenCL C
    .language_version:
      - 2
      - 0
    .max_flat_workgroup_size: 512
    .name:           _ZN7rocprim17ROCPRIM_400000_NS6detail17trampoline_kernelINS0_14default_configENS1_25partition_config_selectorILNS1_17partition_subalgoE9EllbEEZZNS1_14partition_implILS5_9ELb0ES3_jPlS8_PNS0_10empty_typeENS0_5tupleIJS8_S9_EEENSB_IJS8_SA_EEENS0_18inequality_wrapperIZN2at6native12_GLOBAL__N_124unique_dim_cuda_templateIhEESt5tupleIJNSF_6TensorESK_SK_EERKSK_lbbbEUlllE0_EEPmJS9_EEE10hipError_tPvRmT3_T4_T5_T6_T7_T9_mT8_P12ihipStream_tbDpT10_ENKUlT_T0_E_clISt17integral_constantIbLb0EES19_IbLb1EEEEDaS15_S16_EUlS15_E_NS1_11comp_targetILNS1_3genE9ELNS1_11target_archE1100ELNS1_3gpuE3ELNS1_3repE0EEENS1_30default_config_static_selectorELNS0_4arch9wavefront6targetE0EEEvT1_
    .private_segment_fixed_size: 0
    .sgpr_count:     0
    .sgpr_spill_count: 0
    .symbol:         _ZN7rocprim17ROCPRIM_400000_NS6detail17trampoline_kernelINS0_14default_configENS1_25partition_config_selectorILNS1_17partition_subalgoE9EllbEEZZNS1_14partition_implILS5_9ELb0ES3_jPlS8_PNS0_10empty_typeENS0_5tupleIJS8_S9_EEENSB_IJS8_SA_EEENS0_18inequality_wrapperIZN2at6native12_GLOBAL__N_124unique_dim_cuda_templateIhEESt5tupleIJNSF_6TensorESK_SK_EERKSK_lbbbEUlllE0_EEPmJS9_EEE10hipError_tPvRmT3_T4_T5_T6_T7_T9_mT8_P12ihipStream_tbDpT10_ENKUlT_T0_E_clISt17integral_constantIbLb0EES19_IbLb1EEEEDaS15_S16_EUlS15_E_NS1_11comp_targetILNS1_3genE9ELNS1_11target_archE1100ELNS1_3gpuE3ELNS1_3repE0EEENS1_30default_config_static_selectorELNS0_4arch9wavefront6targetE0EEEvT1_.kd
    .uniform_work_group_size: 1
    .uses_dynamic_stack: false
    .vgpr_count:     0
    .vgpr_spill_count: 0
    .wavefront_size: 32
  - .args:
      - .offset:         0
        .size:           136
        .value_kind:     by_value
    .group_segment_fixed_size: 0
    .kernarg_segment_align: 8
    .kernarg_segment_size: 136
    .language:       OpenCL C
    .language_version:
      - 2
      - 0
    .max_flat_workgroup_size: 512
    .name:           _ZN7rocprim17ROCPRIM_400000_NS6detail17trampoline_kernelINS0_14default_configENS1_25partition_config_selectorILNS1_17partition_subalgoE9EllbEEZZNS1_14partition_implILS5_9ELb0ES3_jPlS8_PNS0_10empty_typeENS0_5tupleIJS8_S9_EEENSB_IJS8_SA_EEENS0_18inequality_wrapperIZN2at6native12_GLOBAL__N_124unique_dim_cuda_templateIhEESt5tupleIJNSF_6TensorESK_SK_EERKSK_lbbbEUlllE0_EEPmJS9_EEE10hipError_tPvRmT3_T4_T5_T6_T7_T9_mT8_P12ihipStream_tbDpT10_ENKUlT_T0_E_clISt17integral_constantIbLb0EES19_IbLb1EEEEDaS15_S16_EUlS15_E_NS1_11comp_targetILNS1_3genE8ELNS1_11target_archE1030ELNS1_3gpuE2ELNS1_3repE0EEENS1_30default_config_static_selectorELNS0_4arch9wavefront6targetE0EEEvT1_
    .private_segment_fixed_size: 0
    .sgpr_count:     0
    .sgpr_spill_count: 0
    .symbol:         _ZN7rocprim17ROCPRIM_400000_NS6detail17trampoline_kernelINS0_14default_configENS1_25partition_config_selectorILNS1_17partition_subalgoE9EllbEEZZNS1_14partition_implILS5_9ELb0ES3_jPlS8_PNS0_10empty_typeENS0_5tupleIJS8_S9_EEENSB_IJS8_SA_EEENS0_18inequality_wrapperIZN2at6native12_GLOBAL__N_124unique_dim_cuda_templateIhEESt5tupleIJNSF_6TensorESK_SK_EERKSK_lbbbEUlllE0_EEPmJS9_EEE10hipError_tPvRmT3_T4_T5_T6_T7_T9_mT8_P12ihipStream_tbDpT10_ENKUlT_T0_E_clISt17integral_constantIbLb0EES19_IbLb1EEEEDaS15_S16_EUlS15_E_NS1_11comp_targetILNS1_3genE8ELNS1_11target_archE1030ELNS1_3gpuE2ELNS1_3repE0EEENS1_30default_config_static_selectorELNS0_4arch9wavefront6targetE0EEEvT1_.kd
    .uniform_work_group_size: 1
    .uses_dynamic_stack: false
    .vgpr_count:     0
    .vgpr_spill_count: 0
    .wavefront_size: 32
  - .args:
      - .offset:         0
        .size:           56
        .value_kind:     by_value
    .group_segment_fixed_size: 2048
    .kernarg_segment_align: 8
    .kernarg_segment_size: 56
    .language:       OpenCL C
    .language_version:
      - 2
      - 0
    .max_flat_workgroup_size: 128
    .name:           _ZN7rocprim17ROCPRIM_400000_NS6detail17trampoline_kernelINS0_14default_configENS1_35adjacent_difference_config_selectorILb0ElEEZNS1_24adjacent_difference_implIS3_Lb0ELb0EPlS7_N6thrust23THRUST_200600_302600_NS5minusIlEEEE10hipError_tPvRmT2_T3_mT4_P12ihipStream_tbEUlT_E_NS1_11comp_targetILNS1_3genE0ELNS1_11target_archE4294967295ELNS1_3gpuE0ELNS1_3repE0EEENS1_30default_config_static_selectorELNS0_4arch9wavefront6targetE0EEEvT1_
    .private_segment_fixed_size: 0
    .sgpr_count:     22
    .sgpr_spill_count: 0
    .symbol:         _ZN7rocprim17ROCPRIM_400000_NS6detail17trampoline_kernelINS0_14default_configENS1_35adjacent_difference_config_selectorILb0ElEEZNS1_24adjacent_difference_implIS3_Lb0ELb0EPlS7_N6thrust23THRUST_200600_302600_NS5minusIlEEEE10hipError_tPvRmT2_T3_mT4_P12ihipStream_tbEUlT_E_NS1_11comp_targetILNS1_3genE0ELNS1_11target_archE4294967295ELNS1_3gpuE0ELNS1_3repE0EEENS1_30default_config_static_selectorELNS0_4arch9wavefront6targetE0EEEvT1_.kd
    .uniform_work_group_size: 1
    .uses_dynamic_stack: false
    .vgpr_count:     6
    .vgpr_spill_count: 0
    .wavefront_size: 32
  - .args:
      - .offset:         0
        .size:           56
        .value_kind:     by_value
    .group_segment_fixed_size: 0
    .kernarg_segment_align: 8
    .kernarg_segment_size: 56
    .language:       OpenCL C
    .language_version:
      - 2
      - 0
    .max_flat_workgroup_size: 128
    .name:           _ZN7rocprim17ROCPRIM_400000_NS6detail17trampoline_kernelINS0_14default_configENS1_35adjacent_difference_config_selectorILb0ElEEZNS1_24adjacent_difference_implIS3_Lb0ELb0EPlS7_N6thrust23THRUST_200600_302600_NS5minusIlEEEE10hipError_tPvRmT2_T3_mT4_P12ihipStream_tbEUlT_E_NS1_11comp_targetILNS1_3genE10ELNS1_11target_archE1201ELNS1_3gpuE5ELNS1_3repE0EEENS1_30default_config_static_selectorELNS0_4arch9wavefront6targetE0EEEvT1_
    .private_segment_fixed_size: 0
    .sgpr_count:     0
    .sgpr_spill_count: 0
    .symbol:         _ZN7rocprim17ROCPRIM_400000_NS6detail17trampoline_kernelINS0_14default_configENS1_35adjacent_difference_config_selectorILb0ElEEZNS1_24adjacent_difference_implIS3_Lb0ELb0EPlS7_N6thrust23THRUST_200600_302600_NS5minusIlEEEE10hipError_tPvRmT2_T3_mT4_P12ihipStream_tbEUlT_E_NS1_11comp_targetILNS1_3genE10ELNS1_11target_archE1201ELNS1_3gpuE5ELNS1_3repE0EEENS1_30default_config_static_selectorELNS0_4arch9wavefront6targetE0EEEvT1_.kd
    .uniform_work_group_size: 1
    .uses_dynamic_stack: false
    .vgpr_count:     0
    .vgpr_spill_count: 0
    .wavefront_size: 32
  - .args:
      - .offset:         0
        .size:           56
        .value_kind:     by_value
    .group_segment_fixed_size: 0
    .kernarg_segment_align: 8
    .kernarg_segment_size: 56
    .language:       OpenCL C
    .language_version:
      - 2
      - 0
    .max_flat_workgroup_size: 64
    .name:           _ZN7rocprim17ROCPRIM_400000_NS6detail17trampoline_kernelINS0_14default_configENS1_35adjacent_difference_config_selectorILb0ElEEZNS1_24adjacent_difference_implIS3_Lb0ELb0EPlS7_N6thrust23THRUST_200600_302600_NS5minusIlEEEE10hipError_tPvRmT2_T3_mT4_P12ihipStream_tbEUlT_E_NS1_11comp_targetILNS1_3genE5ELNS1_11target_archE942ELNS1_3gpuE9ELNS1_3repE0EEENS1_30default_config_static_selectorELNS0_4arch9wavefront6targetE0EEEvT1_
    .private_segment_fixed_size: 0
    .sgpr_count:     0
    .sgpr_spill_count: 0
    .symbol:         _ZN7rocprim17ROCPRIM_400000_NS6detail17trampoline_kernelINS0_14default_configENS1_35adjacent_difference_config_selectorILb0ElEEZNS1_24adjacent_difference_implIS3_Lb0ELb0EPlS7_N6thrust23THRUST_200600_302600_NS5minusIlEEEE10hipError_tPvRmT2_T3_mT4_P12ihipStream_tbEUlT_E_NS1_11comp_targetILNS1_3genE5ELNS1_11target_archE942ELNS1_3gpuE9ELNS1_3repE0EEENS1_30default_config_static_selectorELNS0_4arch9wavefront6targetE0EEEvT1_.kd
    .uniform_work_group_size: 1
    .uses_dynamic_stack: false
    .vgpr_count:     0
    .vgpr_spill_count: 0
    .wavefront_size: 32
  - .args:
      - .offset:         0
        .size:           56
        .value_kind:     by_value
    .group_segment_fixed_size: 0
    .kernarg_segment_align: 8
    .kernarg_segment_size: 56
    .language:       OpenCL C
    .language_version:
      - 2
      - 0
    .max_flat_workgroup_size: 256
    .name:           _ZN7rocprim17ROCPRIM_400000_NS6detail17trampoline_kernelINS0_14default_configENS1_35adjacent_difference_config_selectorILb0ElEEZNS1_24adjacent_difference_implIS3_Lb0ELb0EPlS7_N6thrust23THRUST_200600_302600_NS5minusIlEEEE10hipError_tPvRmT2_T3_mT4_P12ihipStream_tbEUlT_E_NS1_11comp_targetILNS1_3genE4ELNS1_11target_archE910ELNS1_3gpuE8ELNS1_3repE0EEENS1_30default_config_static_selectorELNS0_4arch9wavefront6targetE0EEEvT1_
    .private_segment_fixed_size: 0
    .sgpr_count:     0
    .sgpr_spill_count: 0
    .symbol:         _ZN7rocprim17ROCPRIM_400000_NS6detail17trampoline_kernelINS0_14default_configENS1_35adjacent_difference_config_selectorILb0ElEEZNS1_24adjacent_difference_implIS3_Lb0ELb0EPlS7_N6thrust23THRUST_200600_302600_NS5minusIlEEEE10hipError_tPvRmT2_T3_mT4_P12ihipStream_tbEUlT_E_NS1_11comp_targetILNS1_3genE4ELNS1_11target_archE910ELNS1_3gpuE8ELNS1_3repE0EEENS1_30default_config_static_selectorELNS0_4arch9wavefront6targetE0EEEvT1_.kd
    .uniform_work_group_size: 1
    .uses_dynamic_stack: false
    .vgpr_count:     0
    .vgpr_spill_count: 0
    .wavefront_size: 32
  - .args:
      - .offset:         0
        .size:           56
        .value_kind:     by_value
    .group_segment_fixed_size: 0
    .kernarg_segment_align: 8
    .kernarg_segment_size: 56
    .language:       OpenCL C
    .language_version:
      - 2
      - 0
    .max_flat_workgroup_size: 128
    .name:           _ZN7rocprim17ROCPRIM_400000_NS6detail17trampoline_kernelINS0_14default_configENS1_35adjacent_difference_config_selectorILb0ElEEZNS1_24adjacent_difference_implIS3_Lb0ELb0EPlS7_N6thrust23THRUST_200600_302600_NS5minusIlEEEE10hipError_tPvRmT2_T3_mT4_P12ihipStream_tbEUlT_E_NS1_11comp_targetILNS1_3genE3ELNS1_11target_archE908ELNS1_3gpuE7ELNS1_3repE0EEENS1_30default_config_static_selectorELNS0_4arch9wavefront6targetE0EEEvT1_
    .private_segment_fixed_size: 0
    .sgpr_count:     0
    .sgpr_spill_count: 0
    .symbol:         _ZN7rocprim17ROCPRIM_400000_NS6detail17trampoline_kernelINS0_14default_configENS1_35adjacent_difference_config_selectorILb0ElEEZNS1_24adjacent_difference_implIS3_Lb0ELb0EPlS7_N6thrust23THRUST_200600_302600_NS5minusIlEEEE10hipError_tPvRmT2_T3_mT4_P12ihipStream_tbEUlT_E_NS1_11comp_targetILNS1_3genE3ELNS1_11target_archE908ELNS1_3gpuE7ELNS1_3repE0EEENS1_30default_config_static_selectorELNS0_4arch9wavefront6targetE0EEEvT1_.kd
    .uniform_work_group_size: 1
    .uses_dynamic_stack: false
    .vgpr_count:     0
    .vgpr_spill_count: 0
    .wavefront_size: 32
  - .args:
      - .offset:         0
        .size:           56
        .value_kind:     by_value
    .group_segment_fixed_size: 0
    .kernarg_segment_align: 8
    .kernarg_segment_size: 56
    .language:       OpenCL C
    .language_version:
      - 2
      - 0
    .max_flat_workgroup_size: 128
    .name:           _ZN7rocprim17ROCPRIM_400000_NS6detail17trampoline_kernelINS0_14default_configENS1_35adjacent_difference_config_selectorILb0ElEEZNS1_24adjacent_difference_implIS3_Lb0ELb0EPlS7_N6thrust23THRUST_200600_302600_NS5minusIlEEEE10hipError_tPvRmT2_T3_mT4_P12ihipStream_tbEUlT_E_NS1_11comp_targetILNS1_3genE2ELNS1_11target_archE906ELNS1_3gpuE6ELNS1_3repE0EEENS1_30default_config_static_selectorELNS0_4arch9wavefront6targetE0EEEvT1_
    .private_segment_fixed_size: 0
    .sgpr_count:     0
    .sgpr_spill_count: 0
    .symbol:         _ZN7rocprim17ROCPRIM_400000_NS6detail17trampoline_kernelINS0_14default_configENS1_35adjacent_difference_config_selectorILb0ElEEZNS1_24adjacent_difference_implIS3_Lb0ELb0EPlS7_N6thrust23THRUST_200600_302600_NS5minusIlEEEE10hipError_tPvRmT2_T3_mT4_P12ihipStream_tbEUlT_E_NS1_11comp_targetILNS1_3genE2ELNS1_11target_archE906ELNS1_3gpuE6ELNS1_3repE0EEENS1_30default_config_static_selectorELNS0_4arch9wavefront6targetE0EEEvT1_.kd
    .uniform_work_group_size: 1
    .uses_dynamic_stack: false
    .vgpr_count:     0
    .vgpr_spill_count: 0
    .wavefront_size: 32
  - .args:
      - .offset:         0
        .size:           56
        .value_kind:     by_value
    .group_segment_fixed_size: 0
    .kernarg_segment_align: 8
    .kernarg_segment_size: 56
    .language:       OpenCL C
    .language_version:
      - 2
      - 0
    .max_flat_workgroup_size: 512
    .name:           _ZN7rocprim17ROCPRIM_400000_NS6detail17trampoline_kernelINS0_14default_configENS1_35adjacent_difference_config_selectorILb0ElEEZNS1_24adjacent_difference_implIS3_Lb0ELb0EPlS7_N6thrust23THRUST_200600_302600_NS5minusIlEEEE10hipError_tPvRmT2_T3_mT4_P12ihipStream_tbEUlT_E_NS1_11comp_targetILNS1_3genE9ELNS1_11target_archE1100ELNS1_3gpuE3ELNS1_3repE0EEENS1_30default_config_static_selectorELNS0_4arch9wavefront6targetE0EEEvT1_
    .private_segment_fixed_size: 0
    .sgpr_count:     0
    .sgpr_spill_count: 0
    .symbol:         _ZN7rocprim17ROCPRIM_400000_NS6detail17trampoline_kernelINS0_14default_configENS1_35adjacent_difference_config_selectorILb0ElEEZNS1_24adjacent_difference_implIS3_Lb0ELb0EPlS7_N6thrust23THRUST_200600_302600_NS5minusIlEEEE10hipError_tPvRmT2_T3_mT4_P12ihipStream_tbEUlT_E_NS1_11comp_targetILNS1_3genE9ELNS1_11target_archE1100ELNS1_3gpuE3ELNS1_3repE0EEENS1_30default_config_static_selectorELNS0_4arch9wavefront6targetE0EEEvT1_.kd
    .uniform_work_group_size: 1
    .uses_dynamic_stack: false
    .vgpr_count:     0
    .vgpr_spill_count: 0
    .wavefront_size: 32
  - .args:
      - .offset:         0
        .size:           56
        .value_kind:     by_value
    .group_segment_fixed_size: 0
    .kernarg_segment_align: 8
    .kernarg_segment_size: 56
    .language:       OpenCL C
    .language_version:
      - 2
      - 0
    .max_flat_workgroup_size: 1024
    .name:           _ZN7rocprim17ROCPRIM_400000_NS6detail17trampoline_kernelINS0_14default_configENS1_35adjacent_difference_config_selectorILb0ElEEZNS1_24adjacent_difference_implIS3_Lb0ELb0EPlS7_N6thrust23THRUST_200600_302600_NS5minusIlEEEE10hipError_tPvRmT2_T3_mT4_P12ihipStream_tbEUlT_E_NS1_11comp_targetILNS1_3genE8ELNS1_11target_archE1030ELNS1_3gpuE2ELNS1_3repE0EEENS1_30default_config_static_selectorELNS0_4arch9wavefront6targetE0EEEvT1_
    .private_segment_fixed_size: 0
    .sgpr_count:     0
    .sgpr_spill_count: 0
    .symbol:         _ZN7rocprim17ROCPRIM_400000_NS6detail17trampoline_kernelINS0_14default_configENS1_35adjacent_difference_config_selectorILb0ElEEZNS1_24adjacent_difference_implIS3_Lb0ELb0EPlS7_N6thrust23THRUST_200600_302600_NS5minusIlEEEE10hipError_tPvRmT2_T3_mT4_P12ihipStream_tbEUlT_E_NS1_11comp_targetILNS1_3genE8ELNS1_11target_archE1030ELNS1_3gpuE2ELNS1_3repE0EEENS1_30default_config_static_selectorELNS0_4arch9wavefront6targetE0EEEvT1_.kd
    .uniform_work_group_size: 1
    .uses_dynamic_stack: false
    .vgpr_count:     0
    .vgpr_spill_count: 0
    .wavefront_size: 32
  - .args:
      - .offset:         0
        .size:           56
        .value_kind:     by_value
      - .offset:         56
        .size:           4
        .value_kind:     hidden_block_count_x
      - .offset:         60
        .size:           4
        .value_kind:     hidden_block_count_y
      - .offset:         64
        .size:           4
        .value_kind:     hidden_block_count_z
      - .offset:         68
        .size:           2
        .value_kind:     hidden_group_size_x
      - .offset:         70
        .size:           2
        .value_kind:     hidden_group_size_y
      - .offset:         72
        .size:           2
        .value_kind:     hidden_group_size_z
      - .offset:         74
        .size:           2
        .value_kind:     hidden_remainder_x
      - .offset:         76
        .size:           2
        .value_kind:     hidden_remainder_y
      - .offset:         78
        .size:           2
        .value_kind:     hidden_remainder_z
      - .offset:         96
        .size:           8
        .value_kind:     hidden_global_offset_x
      - .offset:         104
        .size:           8
        .value_kind:     hidden_global_offset_y
      - .offset:         112
        .size:           8
        .value_kind:     hidden_global_offset_z
      - .offset:         120
        .size:           2
        .value_kind:     hidden_grid_dims
    .group_segment_fixed_size: 0
    .kernarg_segment_align: 8
    .kernarg_segment_size: 312
    .language:       OpenCL C
    .language_version:
      - 2
      - 0
    .max_flat_workgroup_size: 128
    .name:           _ZN7rocprim17ROCPRIM_400000_NS6detail17trampoline_kernelINS0_14default_configENS1_25transform_config_selectorIlLb0EEEZNS1_14transform_implILb0ES3_S5_NS0_18transform_iteratorINS0_17counting_iteratorImlEEZNS1_24adjacent_difference_implIS3_Lb1ELb0EPlSB_N6thrust23THRUST_200600_302600_NS5minusIlEEEE10hipError_tPvRmT2_T3_mT4_P12ihipStream_tbEUlmE_lEESB_NS0_8identityIvEEEESG_SJ_SK_mSL_SN_bEUlT_E_NS1_11comp_targetILNS1_3genE0ELNS1_11target_archE4294967295ELNS1_3gpuE0ELNS1_3repE0EEENS1_30default_config_static_selectorELNS0_4arch9wavefront6targetE0EEEvT1_
    .private_segment_fixed_size: 0
    .sgpr_count:     16
    .sgpr_spill_count: 0
    .symbol:         _ZN7rocprim17ROCPRIM_400000_NS6detail17trampoline_kernelINS0_14default_configENS1_25transform_config_selectorIlLb0EEEZNS1_14transform_implILb0ES3_S5_NS0_18transform_iteratorINS0_17counting_iteratorImlEEZNS1_24adjacent_difference_implIS3_Lb1ELb0EPlSB_N6thrust23THRUST_200600_302600_NS5minusIlEEEE10hipError_tPvRmT2_T3_mT4_P12ihipStream_tbEUlmE_lEESB_NS0_8identityIvEEEESG_SJ_SK_mSL_SN_bEUlT_E_NS1_11comp_targetILNS1_3genE0ELNS1_11target_archE4294967295ELNS1_3gpuE0ELNS1_3repE0EEENS1_30default_config_static_selectorELNS0_4arch9wavefront6targetE0EEEvT1_.kd
    .uniform_work_group_size: 1
    .uses_dynamic_stack: false
    .vgpr_count:     4
    .vgpr_spill_count: 0
    .wavefront_size: 32
  - .args:
      - .offset:         0
        .size:           56
        .value_kind:     by_value
    .group_segment_fixed_size: 0
    .kernarg_segment_align: 8
    .kernarg_segment_size: 56
    .language:       OpenCL C
    .language_version:
      - 2
      - 0
    .max_flat_workgroup_size: 512
    .name:           _ZN7rocprim17ROCPRIM_400000_NS6detail17trampoline_kernelINS0_14default_configENS1_25transform_config_selectorIlLb0EEEZNS1_14transform_implILb0ES3_S5_NS0_18transform_iteratorINS0_17counting_iteratorImlEEZNS1_24adjacent_difference_implIS3_Lb1ELb0EPlSB_N6thrust23THRUST_200600_302600_NS5minusIlEEEE10hipError_tPvRmT2_T3_mT4_P12ihipStream_tbEUlmE_lEESB_NS0_8identityIvEEEESG_SJ_SK_mSL_SN_bEUlT_E_NS1_11comp_targetILNS1_3genE5ELNS1_11target_archE942ELNS1_3gpuE9ELNS1_3repE0EEENS1_30default_config_static_selectorELNS0_4arch9wavefront6targetE0EEEvT1_
    .private_segment_fixed_size: 0
    .sgpr_count:     0
    .sgpr_spill_count: 0
    .symbol:         _ZN7rocprim17ROCPRIM_400000_NS6detail17trampoline_kernelINS0_14default_configENS1_25transform_config_selectorIlLb0EEEZNS1_14transform_implILb0ES3_S5_NS0_18transform_iteratorINS0_17counting_iteratorImlEEZNS1_24adjacent_difference_implIS3_Lb1ELb0EPlSB_N6thrust23THRUST_200600_302600_NS5minusIlEEEE10hipError_tPvRmT2_T3_mT4_P12ihipStream_tbEUlmE_lEESB_NS0_8identityIvEEEESG_SJ_SK_mSL_SN_bEUlT_E_NS1_11comp_targetILNS1_3genE5ELNS1_11target_archE942ELNS1_3gpuE9ELNS1_3repE0EEENS1_30default_config_static_selectorELNS0_4arch9wavefront6targetE0EEEvT1_.kd
    .uniform_work_group_size: 1
    .uses_dynamic_stack: false
    .vgpr_count:     0
    .vgpr_spill_count: 0
    .wavefront_size: 32
  - .args:
      - .offset:         0
        .size:           56
        .value_kind:     by_value
    .group_segment_fixed_size: 0
    .kernarg_segment_align: 8
    .kernarg_segment_size: 56
    .language:       OpenCL C
    .language_version:
      - 2
      - 0
    .max_flat_workgroup_size: 256
    .name:           _ZN7rocprim17ROCPRIM_400000_NS6detail17trampoline_kernelINS0_14default_configENS1_25transform_config_selectorIlLb0EEEZNS1_14transform_implILb0ES3_S5_NS0_18transform_iteratorINS0_17counting_iteratorImlEEZNS1_24adjacent_difference_implIS3_Lb1ELb0EPlSB_N6thrust23THRUST_200600_302600_NS5minusIlEEEE10hipError_tPvRmT2_T3_mT4_P12ihipStream_tbEUlmE_lEESB_NS0_8identityIvEEEESG_SJ_SK_mSL_SN_bEUlT_E_NS1_11comp_targetILNS1_3genE4ELNS1_11target_archE910ELNS1_3gpuE8ELNS1_3repE0EEENS1_30default_config_static_selectorELNS0_4arch9wavefront6targetE0EEEvT1_
    .private_segment_fixed_size: 0
    .sgpr_count:     0
    .sgpr_spill_count: 0
    .symbol:         _ZN7rocprim17ROCPRIM_400000_NS6detail17trampoline_kernelINS0_14default_configENS1_25transform_config_selectorIlLb0EEEZNS1_14transform_implILb0ES3_S5_NS0_18transform_iteratorINS0_17counting_iteratorImlEEZNS1_24adjacent_difference_implIS3_Lb1ELb0EPlSB_N6thrust23THRUST_200600_302600_NS5minusIlEEEE10hipError_tPvRmT2_T3_mT4_P12ihipStream_tbEUlmE_lEESB_NS0_8identityIvEEEESG_SJ_SK_mSL_SN_bEUlT_E_NS1_11comp_targetILNS1_3genE4ELNS1_11target_archE910ELNS1_3gpuE8ELNS1_3repE0EEENS1_30default_config_static_selectorELNS0_4arch9wavefront6targetE0EEEvT1_.kd
    .uniform_work_group_size: 1
    .uses_dynamic_stack: false
    .vgpr_count:     0
    .vgpr_spill_count: 0
    .wavefront_size: 32
  - .args:
      - .offset:         0
        .size:           56
        .value_kind:     by_value
    .group_segment_fixed_size: 0
    .kernarg_segment_align: 8
    .kernarg_segment_size: 56
    .language:       OpenCL C
    .language_version:
      - 2
      - 0
    .max_flat_workgroup_size: 128
    .name:           _ZN7rocprim17ROCPRIM_400000_NS6detail17trampoline_kernelINS0_14default_configENS1_25transform_config_selectorIlLb0EEEZNS1_14transform_implILb0ES3_S5_NS0_18transform_iteratorINS0_17counting_iteratorImlEEZNS1_24adjacent_difference_implIS3_Lb1ELb0EPlSB_N6thrust23THRUST_200600_302600_NS5minusIlEEEE10hipError_tPvRmT2_T3_mT4_P12ihipStream_tbEUlmE_lEESB_NS0_8identityIvEEEESG_SJ_SK_mSL_SN_bEUlT_E_NS1_11comp_targetILNS1_3genE3ELNS1_11target_archE908ELNS1_3gpuE7ELNS1_3repE0EEENS1_30default_config_static_selectorELNS0_4arch9wavefront6targetE0EEEvT1_
    .private_segment_fixed_size: 0
    .sgpr_count:     0
    .sgpr_spill_count: 0
    .symbol:         _ZN7rocprim17ROCPRIM_400000_NS6detail17trampoline_kernelINS0_14default_configENS1_25transform_config_selectorIlLb0EEEZNS1_14transform_implILb0ES3_S5_NS0_18transform_iteratorINS0_17counting_iteratorImlEEZNS1_24adjacent_difference_implIS3_Lb1ELb0EPlSB_N6thrust23THRUST_200600_302600_NS5minusIlEEEE10hipError_tPvRmT2_T3_mT4_P12ihipStream_tbEUlmE_lEESB_NS0_8identityIvEEEESG_SJ_SK_mSL_SN_bEUlT_E_NS1_11comp_targetILNS1_3genE3ELNS1_11target_archE908ELNS1_3gpuE7ELNS1_3repE0EEENS1_30default_config_static_selectorELNS0_4arch9wavefront6targetE0EEEvT1_.kd
    .uniform_work_group_size: 1
    .uses_dynamic_stack: false
    .vgpr_count:     0
    .vgpr_spill_count: 0
    .wavefront_size: 32
  - .args:
      - .offset:         0
        .size:           56
        .value_kind:     by_value
    .group_segment_fixed_size: 0
    .kernarg_segment_align: 8
    .kernarg_segment_size: 56
    .language:       OpenCL C
    .language_version:
      - 2
      - 0
    .max_flat_workgroup_size: 512
    .name:           _ZN7rocprim17ROCPRIM_400000_NS6detail17trampoline_kernelINS0_14default_configENS1_25transform_config_selectorIlLb0EEEZNS1_14transform_implILb0ES3_S5_NS0_18transform_iteratorINS0_17counting_iteratorImlEEZNS1_24adjacent_difference_implIS3_Lb1ELb0EPlSB_N6thrust23THRUST_200600_302600_NS5minusIlEEEE10hipError_tPvRmT2_T3_mT4_P12ihipStream_tbEUlmE_lEESB_NS0_8identityIvEEEESG_SJ_SK_mSL_SN_bEUlT_E_NS1_11comp_targetILNS1_3genE2ELNS1_11target_archE906ELNS1_3gpuE6ELNS1_3repE0EEENS1_30default_config_static_selectorELNS0_4arch9wavefront6targetE0EEEvT1_
    .private_segment_fixed_size: 0
    .sgpr_count:     0
    .sgpr_spill_count: 0
    .symbol:         _ZN7rocprim17ROCPRIM_400000_NS6detail17trampoline_kernelINS0_14default_configENS1_25transform_config_selectorIlLb0EEEZNS1_14transform_implILb0ES3_S5_NS0_18transform_iteratorINS0_17counting_iteratorImlEEZNS1_24adjacent_difference_implIS3_Lb1ELb0EPlSB_N6thrust23THRUST_200600_302600_NS5minusIlEEEE10hipError_tPvRmT2_T3_mT4_P12ihipStream_tbEUlmE_lEESB_NS0_8identityIvEEEESG_SJ_SK_mSL_SN_bEUlT_E_NS1_11comp_targetILNS1_3genE2ELNS1_11target_archE906ELNS1_3gpuE6ELNS1_3repE0EEENS1_30default_config_static_selectorELNS0_4arch9wavefront6targetE0EEEvT1_.kd
    .uniform_work_group_size: 1
    .uses_dynamic_stack: false
    .vgpr_count:     0
    .vgpr_spill_count: 0
    .wavefront_size: 32
  - .args:
      - .offset:         0
        .size:           56
        .value_kind:     by_value
    .group_segment_fixed_size: 0
    .kernarg_segment_align: 8
    .kernarg_segment_size: 56
    .language:       OpenCL C
    .language_version:
      - 2
      - 0
    .max_flat_workgroup_size: 1024
    .name:           _ZN7rocprim17ROCPRIM_400000_NS6detail17trampoline_kernelINS0_14default_configENS1_25transform_config_selectorIlLb0EEEZNS1_14transform_implILb0ES3_S5_NS0_18transform_iteratorINS0_17counting_iteratorImlEEZNS1_24adjacent_difference_implIS3_Lb1ELb0EPlSB_N6thrust23THRUST_200600_302600_NS5minusIlEEEE10hipError_tPvRmT2_T3_mT4_P12ihipStream_tbEUlmE_lEESB_NS0_8identityIvEEEESG_SJ_SK_mSL_SN_bEUlT_E_NS1_11comp_targetILNS1_3genE10ELNS1_11target_archE1201ELNS1_3gpuE5ELNS1_3repE0EEENS1_30default_config_static_selectorELNS0_4arch9wavefront6targetE0EEEvT1_
    .private_segment_fixed_size: 0
    .sgpr_count:     0
    .sgpr_spill_count: 0
    .symbol:         _ZN7rocprim17ROCPRIM_400000_NS6detail17trampoline_kernelINS0_14default_configENS1_25transform_config_selectorIlLb0EEEZNS1_14transform_implILb0ES3_S5_NS0_18transform_iteratorINS0_17counting_iteratorImlEEZNS1_24adjacent_difference_implIS3_Lb1ELb0EPlSB_N6thrust23THRUST_200600_302600_NS5minusIlEEEE10hipError_tPvRmT2_T3_mT4_P12ihipStream_tbEUlmE_lEESB_NS0_8identityIvEEEESG_SJ_SK_mSL_SN_bEUlT_E_NS1_11comp_targetILNS1_3genE10ELNS1_11target_archE1201ELNS1_3gpuE5ELNS1_3repE0EEENS1_30default_config_static_selectorELNS0_4arch9wavefront6targetE0EEEvT1_.kd
    .uniform_work_group_size: 1
    .uses_dynamic_stack: false
    .vgpr_count:     0
    .vgpr_spill_count: 0
    .wavefront_size: 32
  - .args:
      - .offset:         0
        .size:           56
        .value_kind:     by_value
    .group_segment_fixed_size: 0
    .kernarg_segment_align: 8
    .kernarg_segment_size: 56
    .language:       OpenCL C
    .language_version:
      - 2
      - 0
    .max_flat_workgroup_size: 512
    .name:           _ZN7rocprim17ROCPRIM_400000_NS6detail17trampoline_kernelINS0_14default_configENS1_25transform_config_selectorIlLb0EEEZNS1_14transform_implILb0ES3_S5_NS0_18transform_iteratorINS0_17counting_iteratorImlEEZNS1_24adjacent_difference_implIS3_Lb1ELb0EPlSB_N6thrust23THRUST_200600_302600_NS5minusIlEEEE10hipError_tPvRmT2_T3_mT4_P12ihipStream_tbEUlmE_lEESB_NS0_8identityIvEEEESG_SJ_SK_mSL_SN_bEUlT_E_NS1_11comp_targetILNS1_3genE10ELNS1_11target_archE1200ELNS1_3gpuE4ELNS1_3repE0EEENS1_30default_config_static_selectorELNS0_4arch9wavefront6targetE0EEEvT1_
    .private_segment_fixed_size: 0
    .sgpr_count:     0
    .sgpr_spill_count: 0
    .symbol:         _ZN7rocprim17ROCPRIM_400000_NS6detail17trampoline_kernelINS0_14default_configENS1_25transform_config_selectorIlLb0EEEZNS1_14transform_implILb0ES3_S5_NS0_18transform_iteratorINS0_17counting_iteratorImlEEZNS1_24adjacent_difference_implIS3_Lb1ELb0EPlSB_N6thrust23THRUST_200600_302600_NS5minusIlEEEE10hipError_tPvRmT2_T3_mT4_P12ihipStream_tbEUlmE_lEESB_NS0_8identityIvEEEESG_SJ_SK_mSL_SN_bEUlT_E_NS1_11comp_targetILNS1_3genE10ELNS1_11target_archE1200ELNS1_3gpuE4ELNS1_3repE0EEENS1_30default_config_static_selectorELNS0_4arch9wavefront6targetE0EEEvT1_.kd
    .uniform_work_group_size: 1
    .uses_dynamic_stack: false
    .vgpr_count:     0
    .vgpr_spill_count: 0
    .wavefront_size: 32
  - .args:
      - .offset:         0
        .size:           56
        .value_kind:     by_value
    .group_segment_fixed_size: 0
    .kernarg_segment_align: 8
    .kernarg_segment_size: 56
    .language:       OpenCL C
    .language_version:
      - 2
      - 0
    .max_flat_workgroup_size: 512
    .name:           _ZN7rocprim17ROCPRIM_400000_NS6detail17trampoline_kernelINS0_14default_configENS1_25transform_config_selectorIlLb0EEEZNS1_14transform_implILb0ES3_S5_NS0_18transform_iteratorINS0_17counting_iteratorImlEEZNS1_24adjacent_difference_implIS3_Lb1ELb0EPlSB_N6thrust23THRUST_200600_302600_NS5minusIlEEEE10hipError_tPvRmT2_T3_mT4_P12ihipStream_tbEUlmE_lEESB_NS0_8identityIvEEEESG_SJ_SK_mSL_SN_bEUlT_E_NS1_11comp_targetILNS1_3genE9ELNS1_11target_archE1100ELNS1_3gpuE3ELNS1_3repE0EEENS1_30default_config_static_selectorELNS0_4arch9wavefront6targetE0EEEvT1_
    .private_segment_fixed_size: 0
    .sgpr_count:     0
    .sgpr_spill_count: 0
    .symbol:         _ZN7rocprim17ROCPRIM_400000_NS6detail17trampoline_kernelINS0_14default_configENS1_25transform_config_selectorIlLb0EEEZNS1_14transform_implILb0ES3_S5_NS0_18transform_iteratorINS0_17counting_iteratorImlEEZNS1_24adjacent_difference_implIS3_Lb1ELb0EPlSB_N6thrust23THRUST_200600_302600_NS5minusIlEEEE10hipError_tPvRmT2_T3_mT4_P12ihipStream_tbEUlmE_lEESB_NS0_8identityIvEEEESG_SJ_SK_mSL_SN_bEUlT_E_NS1_11comp_targetILNS1_3genE9ELNS1_11target_archE1100ELNS1_3gpuE3ELNS1_3repE0EEENS1_30default_config_static_selectorELNS0_4arch9wavefront6targetE0EEEvT1_.kd
    .uniform_work_group_size: 1
    .uses_dynamic_stack: false
    .vgpr_count:     0
    .vgpr_spill_count: 0
    .wavefront_size: 32
  - .args:
      - .offset:         0
        .size:           56
        .value_kind:     by_value
    .group_segment_fixed_size: 0
    .kernarg_segment_align: 8
    .kernarg_segment_size: 56
    .language:       OpenCL C
    .language_version:
      - 2
      - 0
    .max_flat_workgroup_size: 512
    .name:           _ZN7rocprim17ROCPRIM_400000_NS6detail17trampoline_kernelINS0_14default_configENS1_25transform_config_selectorIlLb0EEEZNS1_14transform_implILb0ES3_S5_NS0_18transform_iteratorINS0_17counting_iteratorImlEEZNS1_24adjacent_difference_implIS3_Lb1ELb0EPlSB_N6thrust23THRUST_200600_302600_NS5minusIlEEEE10hipError_tPvRmT2_T3_mT4_P12ihipStream_tbEUlmE_lEESB_NS0_8identityIvEEEESG_SJ_SK_mSL_SN_bEUlT_E_NS1_11comp_targetILNS1_3genE8ELNS1_11target_archE1030ELNS1_3gpuE2ELNS1_3repE0EEENS1_30default_config_static_selectorELNS0_4arch9wavefront6targetE0EEEvT1_
    .private_segment_fixed_size: 0
    .sgpr_count:     0
    .sgpr_spill_count: 0
    .symbol:         _ZN7rocprim17ROCPRIM_400000_NS6detail17trampoline_kernelINS0_14default_configENS1_25transform_config_selectorIlLb0EEEZNS1_14transform_implILb0ES3_S5_NS0_18transform_iteratorINS0_17counting_iteratorImlEEZNS1_24adjacent_difference_implIS3_Lb1ELb0EPlSB_N6thrust23THRUST_200600_302600_NS5minusIlEEEE10hipError_tPvRmT2_T3_mT4_P12ihipStream_tbEUlmE_lEESB_NS0_8identityIvEEEESG_SJ_SK_mSL_SN_bEUlT_E_NS1_11comp_targetILNS1_3genE8ELNS1_11target_archE1030ELNS1_3gpuE2ELNS1_3repE0EEENS1_30default_config_static_selectorELNS0_4arch9wavefront6targetE0EEEvT1_.kd
    .uniform_work_group_size: 1
    .uses_dynamic_stack: false
    .vgpr_count:     0
    .vgpr_spill_count: 0
    .wavefront_size: 32
  - .args:
      - .offset:         0
        .size:           56
        .value_kind:     by_value
    .group_segment_fixed_size: 8448
    .kernarg_segment_align: 8
    .kernarg_segment_size: 56
    .language:       OpenCL C
    .language_version:
      - 2
      - 0
    .max_flat_workgroup_size: 512
    .name:           _ZN7rocprim17ROCPRIM_400000_NS6detail17trampoline_kernelINS0_14default_configENS1_35adjacent_difference_config_selectorILb1ElEEZNS1_24adjacent_difference_implIS3_Lb1ELb0EPlS7_N6thrust23THRUST_200600_302600_NS5minusIlEEEE10hipError_tPvRmT2_T3_mT4_P12ihipStream_tbEUlT_E_NS1_11comp_targetILNS1_3genE0ELNS1_11target_archE4294967295ELNS1_3gpuE0ELNS1_3repE0EEENS1_30default_config_static_selectorELNS0_4arch9wavefront6targetE0EEEvT1_
    .private_segment_fixed_size: 0
    .sgpr_count:     27
    .sgpr_spill_count: 0
    .symbol:         _ZN7rocprim17ROCPRIM_400000_NS6detail17trampoline_kernelINS0_14default_configENS1_35adjacent_difference_config_selectorILb1ElEEZNS1_24adjacent_difference_implIS3_Lb1ELb0EPlS7_N6thrust23THRUST_200600_302600_NS5minusIlEEEE10hipError_tPvRmT2_T3_mT4_P12ihipStream_tbEUlT_E_NS1_11comp_targetILNS1_3genE0ELNS1_11target_archE4294967295ELNS1_3gpuE0ELNS1_3repE0EEENS1_30default_config_static_selectorELNS0_4arch9wavefront6targetE0EEEvT1_.kd
    .uniform_work_group_size: 1
    .uses_dynamic_stack: false
    .vgpr_count:     16
    .vgpr_spill_count: 0
    .wavefront_size: 32
  - .args:
      - .offset:         0
        .size:           56
        .value_kind:     by_value
    .group_segment_fixed_size: 0
    .kernarg_segment_align: 8
    .kernarg_segment_size: 56
    .language:       OpenCL C
    .language_version:
      - 2
      - 0
    .max_flat_workgroup_size: 32
    .name:           _ZN7rocprim17ROCPRIM_400000_NS6detail17trampoline_kernelINS0_14default_configENS1_35adjacent_difference_config_selectorILb1ElEEZNS1_24adjacent_difference_implIS3_Lb1ELb0EPlS7_N6thrust23THRUST_200600_302600_NS5minusIlEEEE10hipError_tPvRmT2_T3_mT4_P12ihipStream_tbEUlT_E_NS1_11comp_targetILNS1_3genE10ELNS1_11target_archE1201ELNS1_3gpuE5ELNS1_3repE0EEENS1_30default_config_static_selectorELNS0_4arch9wavefront6targetE0EEEvT1_
    .private_segment_fixed_size: 0
    .sgpr_count:     0
    .sgpr_spill_count: 0
    .symbol:         _ZN7rocprim17ROCPRIM_400000_NS6detail17trampoline_kernelINS0_14default_configENS1_35adjacent_difference_config_selectorILb1ElEEZNS1_24adjacent_difference_implIS3_Lb1ELb0EPlS7_N6thrust23THRUST_200600_302600_NS5minusIlEEEE10hipError_tPvRmT2_T3_mT4_P12ihipStream_tbEUlT_E_NS1_11comp_targetILNS1_3genE10ELNS1_11target_archE1201ELNS1_3gpuE5ELNS1_3repE0EEENS1_30default_config_static_selectorELNS0_4arch9wavefront6targetE0EEEvT1_.kd
    .uniform_work_group_size: 1
    .uses_dynamic_stack: false
    .vgpr_count:     0
    .vgpr_spill_count: 0
    .wavefront_size: 32
  - .args:
      - .offset:         0
        .size:           56
        .value_kind:     by_value
    .group_segment_fixed_size: 0
    .kernarg_segment_align: 8
    .kernarg_segment_size: 56
    .language:       OpenCL C
    .language_version:
      - 2
      - 0
    .max_flat_workgroup_size: 256
    .name:           _ZN7rocprim17ROCPRIM_400000_NS6detail17trampoline_kernelINS0_14default_configENS1_35adjacent_difference_config_selectorILb1ElEEZNS1_24adjacent_difference_implIS3_Lb1ELb0EPlS7_N6thrust23THRUST_200600_302600_NS5minusIlEEEE10hipError_tPvRmT2_T3_mT4_P12ihipStream_tbEUlT_E_NS1_11comp_targetILNS1_3genE5ELNS1_11target_archE942ELNS1_3gpuE9ELNS1_3repE0EEENS1_30default_config_static_selectorELNS0_4arch9wavefront6targetE0EEEvT1_
    .private_segment_fixed_size: 0
    .sgpr_count:     0
    .sgpr_spill_count: 0
    .symbol:         _ZN7rocprim17ROCPRIM_400000_NS6detail17trampoline_kernelINS0_14default_configENS1_35adjacent_difference_config_selectorILb1ElEEZNS1_24adjacent_difference_implIS3_Lb1ELb0EPlS7_N6thrust23THRUST_200600_302600_NS5minusIlEEEE10hipError_tPvRmT2_T3_mT4_P12ihipStream_tbEUlT_E_NS1_11comp_targetILNS1_3genE5ELNS1_11target_archE942ELNS1_3gpuE9ELNS1_3repE0EEENS1_30default_config_static_selectorELNS0_4arch9wavefront6targetE0EEEvT1_.kd
    .uniform_work_group_size: 1
    .uses_dynamic_stack: false
    .vgpr_count:     0
    .vgpr_spill_count: 0
    .wavefront_size: 32
  - .args:
      - .offset:         0
        .size:           56
        .value_kind:     by_value
    .group_segment_fixed_size: 0
    .kernarg_segment_align: 8
    .kernarg_segment_size: 56
    .language:       OpenCL C
    .language_version:
      - 2
      - 0
    .max_flat_workgroup_size: 512
    .name:           _ZN7rocprim17ROCPRIM_400000_NS6detail17trampoline_kernelINS0_14default_configENS1_35adjacent_difference_config_selectorILb1ElEEZNS1_24adjacent_difference_implIS3_Lb1ELb0EPlS7_N6thrust23THRUST_200600_302600_NS5minusIlEEEE10hipError_tPvRmT2_T3_mT4_P12ihipStream_tbEUlT_E_NS1_11comp_targetILNS1_3genE4ELNS1_11target_archE910ELNS1_3gpuE8ELNS1_3repE0EEENS1_30default_config_static_selectorELNS0_4arch9wavefront6targetE0EEEvT1_
    .private_segment_fixed_size: 0
    .sgpr_count:     0
    .sgpr_spill_count: 0
    .symbol:         _ZN7rocprim17ROCPRIM_400000_NS6detail17trampoline_kernelINS0_14default_configENS1_35adjacent_difference_config_selectorILb1ElEEZNS1_24adjacent_difference_implIS3_Lb1ELb0EPlS7_N6thrust23THRUST_200600_302600_NS5minusIlEEEE10hipError_tPvRmT2_T3_mT4_P12ihipStream_tbEUlT_E_NS1_11comp_targetILNS1_3genE4ELNS1_11target_archE910ELNS1_3gpuE8ELNS1_3repE0EEENS1_30default_config_static_selectorELNS0_4arch9wavefront6targetE0EEEvT1_.kd
    .uniform_work_group_size: 1
    .uses_dynamic_stack: false
    .vgpr_count:     0
    .vgpr_spill_count: 0
    .wavefront_size: 32
  - .args:
      - .offset:         0
        .size:           56
        .value_kind:     by_value
    .group_segment_fixed_size: 0
    .kernarg_segment_align: 8
    .kernarg_segment_size: 56
    .language:       OpenCL C
    .language_version:
      - 2
      - 0
    .max_flat_workgroup_size: 512
    .name:           _ZN7rocprim17ROCPRIM_400000_NS6detail17trampoline_kernelINS0_14default_configENS1_35adjacent_difference_config_selectorILb1ElEEZNS1_24adjacent_difference_implIS3_Lb1ELb0EPlS7_N6thrust23THRUST_200600_302600_NS5minusIlEEEE10hipError_tPvRmT2_T3_mT4_P12ihipStream_tbEUlT_E_NS1_11comp_targetILNS1_3genE3ELNS1_11target_archE908ELNS1_3gpuE7ELNS1_3repE0EEENS1_30default_config_static_selectorELNS0_4arch9wavefront6targetE0EEEvT1_
    .private_segment_fixed_size: 0
    .sgpr_count:     0
    .sgpr_spill_count: 0
    .symbol:         _ZN7rocprim17ROCPRIM_400000_NS6detail17trampoline_kernelINS0_14default_configENS1_35adjacent_difference_config_selectorILb1ElEEZNS1_24adjacent_difference_implIS3_Lb1ELb0EPlS7_N6thrust23THRUST_200600_302600_NS5minusIlEEEE10hipError_tPvRmT2_T3_mT4_P12ihipStream_tbEUlT_E_NS1_11comp_targetILNS1_3genE3ELNS1_11target_archE908ELNS1_3gpuE7ELNS1_3repE0EEENS1_30default_config_static_selectorELNS0_4arch9wavefront6targetE0EEEvT1_.kd
    .uniform_work_group_size: 1
    .uses_dynamic_stack: false
    .vgpr_count:     0
    .vgpr_spill_count: 0
    .wavefront_size: 32
  - .args:
      - .offset:         0
        .size:           56
        .value_kind:     by_value
    .group_segment_fixed_size: 0
    .kernarg_segment_align: 8
    .kernarg_segment_size: 56
    .language:       OpenCL C
    .language_version:
      - 2
      - 0
    .max_flat_workgroup_size: 128
    .name:           _ZN7rocprim17ROCPRIM_400000_NS6detail17trampoline_kernelINS0_14default_configENS1_35adjacent_difference_config_selectorILb1ElEEZNS1_24adjacent_difference_implIS3_Lb1ELb0EPlS7_N6thrust23THRUST_200600_302600_NS5minusIlEEEE10hipError_tPvRmT2_T3_mT4_P12ihipStream_tbEUlT_E_NS1_11comp_targetILNS1_3genE2ELNS1_11target_archE906ELNS1_3gpuE6ELNS1_3repE0EEENS1_30default_config_static_selectorELNS0_4arch9wavefront6targetE0EEEvT1_
    .private_segment_fixed_size: 0
    .sgpr_count:     0
    .sgpr_spill_count: 0
    .symbol:         _ZN7rocprim17ROCPRIM_400000_NS6detail17trampoline_kernelINS0_14default_configENS1_35adjacent_difference_config_selectorILb1ElEEZNS1_24adjacent_difference_implIS3_Lb1ELb0EPlS7_N6thrust23THRUST_200600_302600_NS5minusIlEEEE10hipError_tPvRmT2_T3_mT4_P12ihipStream_tbEUlT_E_NS1_11comp_targetILNS1_3genE2ELNS1_11target_archE906ELNS1_3gpuE6ELNS1_3repE0EEENS1_30default_config_static_selectorELNS0_4arch9wavefront6targetE0EEEvT1_.kd
    .uniform_work_group_size: 1
    .uses_dynamic_stack: false
    .vgpr_count:     0
    .vgpr_spill_count: 0
    .wavefront_size: 32
  - .args:
      - .offset:         0
        .size:           56
        .value_kind:     by_value
    .group_segment_fixed_size: 0
    .kernarg_segment_align: 8
    .kernarg_segment_size: 56
    .language:       OpenCL C
    .language_version:
      - 2
      - 0
    .max_flat_workgroup_size: 128
    .name:           _ZN7rocprim17ROCPRIM_400000_NS6detail17trampoline_kernelINS0_14default_configENS1_35adjacent_difference_config_selectorILb1ElEEZNS1_24adjacent_difference_implIS3_Lb1ELb0EPlS7_N6thrust23THRUST_200600_302600_NS5minusIlEEEE10hipError_tPvRmT2_T3_mT4_P12ihipStream_tbEUlT_E_NS1_11comp_targetILNS1_3genE9ELNS1_11target_archE1100ELNS1_3gpuE3ELNS1_3repE0EEENS1_30default_config_static_selectorELNS0_4arch9wavefront6targetE0EEEvT1_
    .private_segment_fixed_size: 0
    .sgpr_count:     0
    .sgpr_spill_count: 0
    .symbol:         _ZN7rocprim17ROCPRIM_400000_NS6detail17trampoline_kernelINS0_14default_configENS1_35adjacent_difference_config_selectorILb1ElEEZNS1_24adjacent_difference_implIS3_Lb1ELb0EPlS7_N6thrust23THRUST_200600_302600_NS5minusIlEEEE10hipError_tPvRmT2_T3_mT4_P12ihipStream_tbEUlT_E_NS1_11comp_targetILNS1_3genE9ELNS1_11target_archE1100ELNS1_3gpuE3ELNS1_3repE0EEENS1_30default_config_static_selectorELNS0_4arch9wavefront6targetE0EEEvT1_.kd
    .uniform_work_group_size: 1
    .uses_dynamic_stack: false
    .vgpr_count:     0
    .vgpr_spill_count: 0
    .wavefront_size: 32
  - .args:
      - .offset:         0
        .size:           56
        .value_kind:     by_value
    .group_segment_fixed_size: 0
    .kernarg_segment_align: 8
    .kernarg_segment_size: 56
    .language:       OpenCL C
    .language_version:
      - 2
      - 0
    .max_flat_workgroup_size: 32
    .name:           _ZN7rocprim17ROCPRIM_400000_NS6detail17trampoline_kernelINS0_14default_configENS1_35adjacent_difference_config_selectorILb1ElEEZNS1_24adjacent_difference_implIS3_Lb1ELb0EPlS7_N6thrust23THRUST_200600_302600_NS5minusIlEEEE10hipError_tPvRmT2_T3_mT4_P12ihipStream_tbEUlT_E_NS1_11comp_targetILNS1_3genE8ELNS1_11target_archE1030ELNS1_3gpuE2ELNS1_3repE0EEENS1_30default_config_static_selectorELNS0_4arch9wavefront6targetE0EEEvT1_
    .private_segment_fixed_size: 0
    .sgpr_count:     0
    .sgpr_spill_count: 0
    .symbol:         _ZN7rocprim17ROCPRIM_400000_NS6detail17trampoline_kernelINS0_14default_configENS1_35adjacent_difference_config_selectorILb1ElEEZNS1_24adjacent_difference_implIS3_Lb1ELb0EPlS7_N6thrust23THRUST_200600_302600_NS5minusIlEEEE10hipError_tPvRmT2_T3_mT4_P12ihipStream_tbEUlT_E_NS1_11comp_targetILNS1_3genE8ELNS1_11target_archE1030ELNS1_3gpuE2ELNS1_3repE0EEENS1_30default_config_static_selectorELNS0_4arch9wavefront6targetE0EEEvT1_.kd
    .uniform_work_group_size: 1
    .uses_dynamic_stack: false
    .vgpr_count:     0
    .vgpr_spill_count: 0
    .wavefront_size: 32
  - .args:
      - .offset:         0
        .size:           72
        .value_kind:     by_value
      - .offset:         72
        .size:           4
        .value_kind:     hidden_block_count_x
      - .offset:         76
        .size:           4
        .value_kind:     hidden_block_count_y
      - .offset:         80
        .size:           4
        .value_kind:     hidden_block_count_z
      - .offset:         84
        .size:           2
        .value_kind:     hidden_group_size_x
      - .offset:         86
        .size:           2
        .value_kind:     hidden_group_size_y
      - .offset:         88
        .size:           2
        .value_kind:     hidden_group_size_z
      - .offset:         90
        .size:           2
        .value_kind:     hidden_remainder_x
      - .offset:         92
        .size:           2
        .value_kind:     hidden_remainder_y
      - .offset:         94
        .size:           2
        .value_kind:     hidden_remainder_z
      - .offset:         112
        .size:           8
        .value_kind:     hidden_global_offset_x
      - .offset:         120
        .size:           8
        .value_kind:     hidden_global_offset_y
      - .offset:         128
        .size:           8
        .value_kind:     hidden_global_offset_z
      - .offset:         136
        .size:           2
        .value_kind:     hidden_grid_dims
    .group_segment_fixed_size: 16896
    .kernarg_segment_align: 8
    .kernarg_segment_size: 328
    .language:       OpenCL C
    .language_version:
      - 2
      - 0
    .max_flat_workgroup_size: 256
    .name:           _ZN7rocprim17ROCPRIM_400000_NS6detail17trampoline_kernelINS0_14default_configENS1_37merge_sort_block_sort_config_selectorIlNS0_10empty_typeEEEZNS1_21merge_sort_block_sortIS3_PlS8_PS5_S9_ZN2at6native12_GLOBAL__N_124unique_dim_cuda_templateIaEESt5tupleIJNSA_6TensorESF_SF_EERKSF_lbbbEUlllE_EE10hipError_tT0_T1_T2_T3_mRjT4_P12ihipStream_tbNS1_7vsmem_tEEUlT_E_NS1_11comp_targetILNS1_3genE0ELNS1_11target_archE4294967295ELNS1_3gpuE0ELNS1_3repE0EEENS1_30default_config_static_selectorELNS0_4arch9wavefront6targetE0EEEvSM_
    .private_segment_fixed_size: 0
    .sgpr_count:     39
    .sgpr_spill_count: 0
    .symbol:         _ZN7rocprim17ROCPRIM_400000_NS6detail17trampoline_kernelINS0_14default_configENS1_37merge_sort_block_sort_config_selectorIlNS0_10empty_typeEEEZNS1_21merge_sort_block_sortIS3_PlS8_PS5_S9_ZN2at6native12_GLOBAL__N_124unique_dim_cuda_templateIaEESt5tupleIJNSA_6TensorESF_SF_EERKSF_lbbbEUlllE_EE10hipError_tT0_T1_T2_T3_mRjT4_P12ihipStream_tbNS1_7vsmem_tEEUlT_E_NS1_11comp_targetILNS1_3genE0ELNS1_11target_archE4294967295ELNS1_3gpuE0ELNS1_3repE0EEENS1_30default_config_static_selectorELNS0_4arch9wavefront6targetE0EEEvSM_.kd
    .uniform_work_group_size: 1
    .uses_dynamic_stack: false
    .vgpr_count:     58
    .vgpr_spill_count: 0
    .wavefront_size: 32
  - .args:
      - .offset:         0
        .size:           72
        .value_kind:     by_value
    .group_segment_fixed_size: 0
    .kernarg_segment_align: 8
    .kernarg_segment_size: 72
    .language:       OpenCL C
    .language_version:
      - 2
      - 0
    .max_flat_workgroup_size: 256
    .name:           _ZN7rocprim17ROCPRIM_400000_NS6detail17trampoline_kernelINS0_14default_configENS1_37merge_sort_block_sort_config_selectorIlNS0_10empty_typeEEEZNS1_21merge_sort_block_sortIS3_PlS8_PS5_S9_ZN2at6native12_GLOBAL__N_124unique_dim_cuda_templateIaEESt5tupleIJNSA_6TensorESF_SF_EERKSF_lbbbEUlllE_EE10hipError_tT0_T1_T2_T3_mRjT4_P12ihipStream_tbNS1_7vsmem_tEEUlT_E_NS1_11comp_targetILNS1_3genE5ELNS1_11target_archE942ELNS1_3gpuE9ELNS1_3repE0EEENS1_30default_config_static_selectorELNS0_4arch9wavefront6targetE0EEEvSM_
    .private_segment_fixed_size: 0
    .sgpr_count:     0
    .sgpr_spill_count: 0
    .symbol:         _ZN7rocprim17ROCPRIM_400000_NS6detail17trampoline_kernelINS0_14default_configENS1_37merge_sort_block_sort_config_selectorIlNS0_10empty_typeEEEZNS1_21merge_sort_block_sortIS3_PlS8_PS5_S9_ZN2at6native12_GLOBAL__N_124unique_dim_cuda_templateIaEESt5tupleIJNSA_6TensorESF_SF_EERKSF_lbbbEUlllE_EE10hipError_tT0_T1_T2_T3_mRjT4_P12ihipStream_tbNS1_7vsmem_tEEUlT_E_NS1_11comp_targetILNS1_3genE5ELNS1_11target_archE942ELNS1_3gpuE9ELNS1_3repE0EEENS1_30default_config_static_selectorELNS0_4arch9wavefront6targetE0EEEvSM_.kd
    .uniform_work_group_size: 1
    .uses_dynamic_stack: false
    .vgpr_count:     0
    .vgpr_spill_count: 0
    .wavefront_size: 32
  - .args:
      - .offset:         0
        .size:           72
        .value_kind:     by_value
    .group_segment_fixed_size: 0
    .kernarg_segment_align: 8
    .kernarg_segment_size: 72
    .language:       OpenCL C
    .language_version:
      - 2
      - 0
    .max_flat_workgroup_size: 256
    .name:           _ZN7rocprim17ROCPRIM_400000_NS6detail17trampoline_kernelINS0_14default_configENS1_37merge_sort_block_sort_config_selectorIlNS0_10empty_typeEEEZNS1_21merge_sort_block_sortIS3_PlS8_PS5_S9_ZN2at6native12_GLOBAL__N_124unique_dim_cuda_templateIaEESt5tupleIJNSA_6TensorESF_SF_EERKSF_lbbbEUlllE_EE10hipError_tT0_T1_T2_T3_mRjT4_P12ihipStream_tbNS1_7vsmem_tEEUlT_E_NS1_11comp_targetILNS1_3genE4ELNS1_11target_archE910ELNS1_3gpuE8ELNS1_3repE0EEENS1_30default_config_static_selectorELNS0_4arch9wavefront6targetE0EEEvSM_
    .private_segment_fixed_size: 0
    .sgpr_count:     0
    .sgpr_spill_count: 0
    .symbol:         _ZN7rocprim17ROCPRIM_400000_NS6detail17trampoline_kernelINS0_14default_configENS1_37merge_sort_block_sort_config_selectorIlNS0_10empty_typeEEEZNS1_21merge_sort_block_sortIS3_PlS8_PS5_S9_ZN2at6native12_GLOBAL__N_124unique_dim_cuda_templateIaEESt5tupleIJNSA_6TensorESF_SF_EERKSF_lbbbEUlllE_EE10hipError_tT0_T1_T2_T3_mRjT4_P12ihipStream_tbNS1_7vsmem_tEEUlT_E_NS1_11comp_targetILNS1_3genE4ELNS1_11target_archE910ELNS1_3gpuE8ELNS1_3repE0EEENS1_30default_config_static_selectorELNS0_4arch9wavefront6targetE0EEEvSM_.kd
    .uniform_work_group_size: 1
    .uses_dynamic_stack: false
    .vgpr_count:     0
    .vgpr_spill_count: 0
    .wavefront_size: 32
  - .args:
      - .offset:         0
        .size:           72
        .value_kind:     by_value
    .group_segment_fixed_size: 0
    .kernarg_segment_align: 8
    .kernarg_segment_size: 72
    .language:       OpenCL C
    .language_version:
      - 2
      - 0
    .max_flat_workgroup_size: 256
    .name:           _ZN7rocprim17ROCPRIM_400000_NS6detail17trampoline_kernelINS0_14default_configENS1_37merge_sort_block_sort_config_selectorIlNS0_10empty_typeEEEZNS1_21merge_sort_block_sortIS3_PlS8_PS5_S9_ZN2at6native12_GLOBAL__N_124unique_dim_cuda_templateIaEESt5tupleIJNSA_6TensorESF_SF_EERKSF_lbbbEUlllE_EE10hipError_tT0_T1_T2_T3_mRjT4_P12ihipStream_tbNS1_7vsmem_tEEUlT_E_NS1_11comp_targetILNS1_3genE3ELNS1_11target_archE908ELNS1_3gpuE7ELNS1_3repE0EEENS1_30default_config_static_selectorELNS0_4arch9wavefront6targetE0EEEvSM_
    .private_segment_fixed_size: 0
    .sgpr_count:     0
    .sgpr_spill_count: 0
    .symbol:         _ZN7rocprim17ROCPRIM_400000_NS6detail17trampoline_kernelINS0_14default_configENS1_37merge_sort_block_sort_config_selectorIlNS0_10empty_typeEEEZNS1_21merge_sort_block_sortIS3_PlS8_PS5_S9_ZN2at6native12_GLOBAL__N_124unique_dim_cuda_templateIaEESt5tupleIJNSA_6TensorESF_SF_EERKSF_lbbbEUlllE_EE10hipError_tT0_T1_T2_T3_mRjT4_P12ihipStream_tbNS1_7vsmem_tEEUlT_E_NS1_11comp_targetILNS1_3genE3ELNS1_11target_archE908ELNS1_3gpuE7ELNS1_3repE0EEENS1_30default_config_static_selectorELNS0_4arch9wavefront6targetE0EEEvSM_.kd
    .uniform_work_group_size: 1
    .uses_dynamic_stack: false
    .vgpr_count:     0
    .vgpr_spill_count: 0
    .wavefront_size: 32
  - .args:
      - .offset:         0
        .size:           72
        .value_kind:     by_value
    .group_segment_fixed_size: 0
    .kernarg_segment_align: 8
    .kernarg_segment_size: 72
    .language:       OpenCL C
    .language_version:
      - 2
      - 0
    .max_flat_workgroup_size: 256
    .name:           _ZN7rocprim17ROCPRIM_400000_NS6detail17trampoline_kernelINS0_14default_configENS1_37merge_sort_block_sort_config_selectorIlNS0_10empty_typeEEEZNS1_21merge_sort_block_sortIS3_PlS8_PS5_S9_ZN2at6native12_GLOBAL__N_124unique_dim_cuda_templateIaEESt5tupleIJNSA_6TensorESF_SF_EERKSF_lbbbEUlllE_EE10hipError_tT0_T1_T2_T3_mRjT4_P12ihipStream_tbNS1_7vsmem_tEEUlT_E_NS1_11comp_targetILNS1_3genE2ELNS1_11target_archE906ELNS1_3gpuE6ELNS1_3repE0EEENS1_30default_config_static_selectorELNS0_4arch9wavefront6targetE0EEEvSM_
    .private_segment_fixed_size: 0
    .sgpr_count:     0
    .sgpr_spill_count: 0
    .symbol:         _ZN7rocprim17ROCPRIM_400000_NS6detail17trampoline_kernelINS0_14default_configENS1_37merge_sort_block_sort_config_selectorIlNS0_10empty_typeEEEZNS1_21merge_sort_block_sortIS3_PlS8_PS5_S9_ZN2at6native12_GLOBAL__N_124unique_dim_cuda_templateIaEESt5tupleIJNSA_6TensorESF_SF_EERKSF_lbbbEUlllE_EE10hipError_tT0_T1_T2_T3_mRjT4_P12ihipStream_tbNS1_7vsmem_tEEUlT_E_NS1_11comp_targetILNS1_3genE2ELNS1_11target_archE906ELNS1_3gpuE6ELNS1_3repE0EEENS1_30default_config_static_selectorELNS0_4arch9wavefront6targetE0EEEvSM_.kd
    .uniform_work_group_size: 1
    .uses_dynamic_stack: false
    .vgpr_count:     0
    .vgpr_spill_count: 0
    .wavefront_size: 32
  - .args:
      - .offset:         0
        .size:           72
        .value_kind:     by_value
    .group_segment_fixed_size: 0
    .kernarg_segment_align: 8
    .kernarg_segment_size: 72
    .language:       OpenCL C
    .language_version:
      - 2
      - 0
    .max_flat_workgroup_size: 256
    .name:           _ZN7rocprim17ROCPRIM_400000_NS6detail17trampoline_kernelINS0_14default_configENS1_37merge_sort_block_sort_config_selectorIlNS0_10empty_typeEEEZNS1_21merge_sort_block_sortIS3_PlS8_PS5_S9_ZN2at6native12_GLOBAL__N_124unique_dim_cuda_templateIaEESt5tupleIJNSA_6TensorESF_SF_EERKSF_lbbbEUlllE_EE10hipError_tT0_T1_T2_T3_mRjT4_P12ihipStream_tbNS1_7vsmem_tEEUlT_E_NS1_11comp_targetILNS1_3genE10ELNS1_11target_archE1201ELNS1_3gpuE5ELNS1_3repE0EEENS1_30default_config_static_selectorELNS0_4arch9wavefront6targetE0EEEvSM_
    .private_segment_fixed_size: 0
    .sgpr_count:     0
    .sgpr_spill_count: 0
    .symbol:         _ZN7rocprim17ROCPRIM_400000_NS6detail17trampoline_kernelINS0_14default_configENS1_37merge_sort_block_sort_config_selectorIlNS0_10empty_typeEEEZNS1_21merge_sort_block_sortIS3_PlS8_PS5_S9_ZN2at6native12_GLOBAL__N_124unique_dim_cuda_templateIaEESt5tupleIJNSA_6TensorESF_SF_EERKSF_lbbbEUlllE_EE10hipError_tT0_T1_T2_T3_mRjT4_P12ihipStream_tbNS1_7vsmem_tEEUlT_E_NS1_11comp_targetILNS1_3genE10ELNS1_11target_archE1201ELNS1_3gpuE5ELNS1_3repE0EEENS1_30default_config_static_selectorELNS0_4arch9wavefront6targetE0EEEvSM_.kd
    .uniform_work_group_size: 1
    .uses_dynamic_stack: false
    .vgpr_count:     0
    .vgpr_spill_count: 0
    .wavefront_size: 32
  - .args:
      - .offset:         0
        .size:           72
        .value_kind:     by_value
    .group_segment_fixed_size: 0
    .kernarg_segment_align: 8
    .kernarg_segment_size: 72
    .language:       OpenCL C
    .language_version:
      - 2
      - 0
    .max_flat_workgroup_size: 512
    .name:           _ZN7rocprim17ROCPRIM_400000_NS6detail17trampoline_kernelINS0_14default_configENS1_37merge_sort_block_sort_config_selectorIlNS0_10empty_typeEEEZNS1_21merge_sort_block_sortIS3_PlS8_PS5_S9_ZN2at6native12_GLOBAL__N_124unique_dim_cuda_templateIaEESt5tupleIJNSA_6TensorESF_SF_EERKSF_lbbbEUlllE_EE10hipError_tT0_T1_T2_T3_mRjT4_P12ihipStream_tbNS1_7vsmem_tEEUlT_E_NS1_11comp_targetILNS1_3genE10ELNS1_11target_archE1200ELNS1_3gpuE4ELNS1_3repE0EEENS1_30default_config_static_selectorELNS0_4arch9wavefront6targetE0EEEvSM_
    .private_segment_fixed_size: 0
    .sgpr_count:     0
    .sgpr_spill_count: 0
    .symbol:         _ZN7rocprim17ROCPRIM_400000_NS6detail17trampoline_kernelINS0_14default_configENS1_37merge_sort_block_sort_config_selectorIlNS0_10empty_typeEEEZNS1_21merge_sort_block_sortIS3_PlS8_PS5_S9_ZN2at6native12_GLOBAL__N_124unique_dim_cuda_templateIaEESt5tupleIJNSA_6TensorESF_SF_EERKSF_lbbbEUlllE_EE10hipError_tT0_T1_T2_T3_mRjT4_P12ihipStream_tbNS1_7vsmem_tEEUlT_E_NS1_11comp_targetILNS1_3genE10ELNS1_11target_archE1200ELNS1_3gpuE4ELNS1_3repE0EEENS1_30default_config_static_selectorELNS0_4arch9wavefront6targetE0EEEvSM_.kd
    .uniform_work_group_size: 1
    .uses_dynamic_stack: false
    .vgpr_count:     0
    .vgpr_spill_count: 0
    .wavefront_size: 32
  - .args:
      - .offset:         0
        .size:           72
        .value_kind:     by_value
    .group_segment_fixed_size: 0
    .kernarg_segment_align: 8
    .kernarg_segment_size: 72
    .language:       OpenCL C
    .language_version:
      - 2
      - 0
    .max_flat_workgroup_size: 256
    .name:           _ZN7rocprim17ROCPRIM_400000_NS6detail17trampoline_kernelINS0_14default_configENS1_37merge_sort_block_sort_config_selectorIlNS0_10empty_typeEEEZNS1_21merge_sort_block_sortIS3_PlS8_PS5_S9_ZN2at6native12_GLOBAL__N_124unique_dim_cuda_templateIaEESt5tupleIJNSA_6TensorESF_SF_EERKSF_lbbbEUlllE_EE10hipError_tT0_T1_T2_T3_mRjT4_P12ihipStream_tbNS1_7vsmem_tEEUlT_E_NS1_11comp_targetILNS1_3genE9ELNS1_11target_archE1100ELNS1_3gpuE3ELNS1_3repE0EEENS1_30default_config_static_selectorELNS0_4arch9wavefront6targetE0EEEvSM_
    .private_segment_fixed_size: 0
    .sgpr_count:     0
    .sgpr_spill_count: 0
    .symbol:         _ZN7rocprim17ROCPRIM_400000_NS6detail17trampoline_kernelINS0_14default_configENS1_37merge_sort_block_sort_config_selectorIlNS0_10empty_typeEEEZNS1_21merge_sort_block_sortIS3_PlS8_PS5_S9_ZN2at6native12_GLOBAL__N_124unique_dim_cuda_templateIaEESt5tupleIJNSA_6TensorESF_SF_EERKSF_lbbbEUlllE_EE10hipError_tT0_T1_T2_T3_mRjT4_P12ihipStream_tbNS1_7vsmem_tEEUlT_E_NS1_11comp_targetILNS1_3genE9ELNS1_11target_archE1100ELNS1_3gpuE3ELNS1_3repE0EEENS1_30default_config_static_selectorELNS0_4arch9wavefront6targetE0EEEvSM_.kd
    .uniform_work_group_size: 1
    .uses_dynamic_stack: false
    .vgpr_count:     0
    .vgpr_spill_count: 0
    .wavefront_size: 32
  - .args:
      - .offset:         0
        .size:           72
        .value_kind:     by_value
    .group_segment_fixed_size: 0
    .kernarg_segment_align: 8
    .kernarg_segment_size: 72
    .language:       OpenCL C
    .language_version:
      - 2
      - 0
    .max_flat_workgroup_size: 256
    .name:           _ZN7rocprim17ROCPRIM_400000_NS6detail17trampoline_kernelINS0_14default_configENS1_37merge_sort_block_sort_config_selectorIlNS0_10empty_typeEEEZNS1_21merge_sort_block_sortIS3_PlS8_PS5_S9_ZN2at6native12_GLOBAL__N_124unique_dim_cuda_templateIaEESt5tupleIJNSA_6TensorESF_SF_EERKSF_lbbbEUlllE_EE10hipError_tT0_T1_T2_T3_mRjT4_P12ihipStream_tbNS1_7vsmem_tEEUlT_E_NS1_11comp_targetILNS1_3genE8ELNS1_11target_archE1030ELNS1_3gpuE2ELNS1_3repE0EEENS1_30default_config_static_selectorELNS0_4arch9wavefront6targetE0EEEvSM_
    .private_segment_fixed_size: 0
    .sgpr_count:     0
    .sgpr_spill_count: 0
    .symbol:         _ZN7rocprim17ROCPRIM_400000_NS6detail17trampoline_kernelINS0_14default_configENS1_37merge_sort_block_sort_config_selectorIlNS0_10empty_typeEEEZNS1_21merge_sort_block_sortIS3_PlS8_PS5_S9_ZN2at6native12_GLOBAL__N_124unique_dim_cuda_templateIaEESt5tupleIJNSA_6TensorESF_SF_EERKSF_lbbbEUlllE_EE10hipError_tT0_T1_T2_T3_mRjT4_P12ihipStream_tbNS1_7vsmem_tEEUlT_E_NS1_11comp_targetILNS1_3genE8ELNS1_11target_archE1030ELNS1_3gpuE2ELNS1_3repE0EEENS1_30default_config_static_selectorELNS0_4arch9wavefront6targetE0EEEvSM_.kd
    .uniform_work_group_size: 1
    .uses_dynamic_stack: false
    .vgpr_count:     0
    .vgpr_spill_count: 0
    .wavefront_size: 32
  - .args:
      - .offset:         0
        .size:           56
        .value_kind:     by_value
    .group_segment_fixed_size: 0
    .kernarg_segment_align: 8
    .kernarg_segment_size: 56
    .language:       OpenCL C
    .language_version:
      - 2
      - 0
    .max_flat_workgroup_size: 128
    .name:           _ZN7rocprim17ROCPRIM_400000_NS6detail17trampoline_kernelINS0_14default_configENS1_38merge_sort_block_merge_config_selectorIlNS0_10empty_typeEEEZZNS1_27merge_sort_block_merge_implIS3_PlPS5_mZN2at6native12_GLOBAL__N_124unique_dim_cuda_templateIaEESt5tupleIJNSA_6TensorESF_SF_EERKSF_lbbbEUlllE_EE10hipError_tT0_T1_T2_jT3_P12ihipStream_tbPNSt15iterator_traitsISL_E10value_typeEPNSR_ISM_E10value_typeEPSN_NS1_7vsmem_tEENKUlT_SL_SM_SN_E_clIS8_S8_S9_S9_EESK_S10_SL_SM_SN_EUlS10_E_NS1_11comp_targetILNS1_3genE0ELNS1_11target_archE4294967295ELNS1_3gpuE0ELNS1_3repE0EEENS1_48merge_mergepath_partition_config_static_selectorELNS0_4arch9wavefront6targetE0EEEvSM_
    .private_segment_fixed_size: 0
    .sgpr_count:     20
    .sgpr_spill_count: 0
    .symbol:         _ZN7rocprim17ROCPRIM_400000_NS6detail17trampoline_kernelINS0_14default_configENS1_38merge_sort_block_merge_config_selectorIlNS0_10empty_typeEEEZZNS1_27merge_sort_block_merge_implIS3_PlPS5_mZN2at6native12_GLOBAL__N_124unique_dim_cuda_templateIaEESt5tupleIJNSA_6TensorESF_SF_EERKSF_lbbbEUlllE_EE10hipError_tT0_T1_T2_jT3_P12ihipStream_tbPNSt15iterator_traitsISL_E10value_typeEPNSR_ISM_E10value_typeEPSN_NS1_7vsmem_tEENKUlT_SL_SM_SN_E_clIS8_S8_S9_S9_EESK_S10_SL_SM_SN_EUlS10_E_NS1_11comp_targetILNS1_3genE0ELNS1_11target_archE4294967295ELNS1_3gpuE0ELNS1_3repE0EEENS1_48merge_mergepath_partition_config_static_selectorELNS0_4arch9wavefront6targetE0EEEvSM_.kd
    .uniform_work_group_size: 1
    .uses_dynamic_stack: false
    .vgpr_count:     22
    .vgpr_spill_count: 0
    .wavefront_size: 32
  - .args:
      - .offset:         0
        .size:           56
        .value_kind:     by_value
    .group_segment_fixed_size: 0
    .kernarg_segment_align: 8
    .kernarg_segment_size: 56
    .language:       OpenCL C
    .language_version:
      - 2
      - 0
    .max_flat_workgroup_size: 128
    .name:           _ZN7rocprim17ROCPRIM_400000_NS6detail17trampoline_kernelINS0_14default_configENS1_38merge_sort_block_merge_config_selectorIlNS0_10empty_typeEEEZZNS1_27merge_sort_block_merge_implIS3_PlPS5_mZN2at6native12_GLOBAL__N_124unique_dim_cuda_templateIaEESt5tupleIJNSA_6TensorESF_SF_EERKSF_lbbbEUlllE_EE10hipError_tT0_T1_T2_jT3_P12ihipStream_tbPNSt15iterator_traitsISL_E10value_typeEPNSR_ISM_E10value_typeEPSN_NS1_7vsmem_tEENKUlT_SL_SM_SN_E_clIS8_S8_S9_S9_EESK_S10_SL_SM_SN_EUlS10_E_NS1_11comp_targetILNS1_3genE10ELNS1_11target_archE1201ELNS1_3gpuE5ELNS1_3repE0EEENS1_48merge_mergepath_partition_config_static_selectorELNS0_4arch9wavefront6targetE0EEEvSM_
    .private_segment_fixed_size: 0
    .sgpr_count:     0
    .sgpr_spill_count: 0
    .symbol:         _ZN7rocprim17ROCPRIM_400000_NS6detail17trampoline_kernelINS0_14default_configENS1_38merge_sort_block_merge_config_selectorIlNS0_10empty_typeEEEZZNS1_27merge_sort_block_merge_implIS3_PlPS5_mZN2at6native12_GLOBAL__N_124unique_dim_cuda_templateIaEESt5tupleIJNSA_6TensorESF_SF_EERKSF_lbbbEUlllE_EE10hipError_tT0_T1_T2_jT3_P12ihipStream_tbPNSt15iterator_traitsISL_E10value_typeEPNSR_ISM_E10value_typeEPSN_NS1_7vsmem_tEENKUlT_SL_SM_SN_E_clIS8_S8_S9_S9_EESK_S10_SL_SM_SN_EUlS10_E_NS1_11comp_targetILNS1_3genE10ELNS1_11target_archE1201ELNS1_3gpuE5ELNS1_3repE0EEENS1_48merge_mergepath_partition_config_static_selectorELNS0_4arch9wavefront6targetE0EEEvSM_.kd
    .uniform_work_group_size: 1
    .uses_dynamic_stack: false
    .vgpr_count:     0
    .vgpr_spill_count: 0
    .wavefront_size: 32
  - .args:
      - .offset:         0
        .size:           56
        .value_kind:     by_value
    .group_segment_fixed_size: 0
    .kernarg_segment_align: 8
    .kernarg_segment_size: 56
    .language:       OpenCL C
    .language_version:
      - 2
      - 0
    .max_flat_workgroup_size: 128
    .name:           _ZN7rocprim17ROCPRIM_400000_NS6detail17trampoline_kernelINS0_14default_configENS1_38merge_sort_block_merge_config_selectorIlNS0_10empty_typeEEEZZNS1_27merge_sort_block_merge_implIS3_PlPS5_mZN2at6native12_GLOBAL__N_124unique_dim_cuda_templateIaEESt5tupleIJNSA_6TensorESF_SF_EERKSF_lbbbEUlllE_EE10hipError_tT0_T1_T2_jT3_P12ihipStream_tbPNSt15iterator_traitsISL_E10value_typeEPNSR_ISM_E10value_typeEPSN_NS1_7vsmem_tEENKUlT_SL_SM_SN_E_clIS8_S8_S9_S9_EESK_S10_SL_SM_SN_EUlS10_E_NS1_11comp_targetILNS1_3genE5ELNS1_11target_archE942ELNS1_3gpuE9ELNS1_3repE0EEENS1_48merge_mergepath_partition_config_static_selectorELNS0_4arch9wavefront6targetE0EEEvSM_
    .private_segment_fixed_size: 0
    .sgpr_count:     0
    .sgpr_spill_count: 0
    .symbol:         _ZN7rocprim17ROCPRIM_400000_NS6detail17trampoline_kernelINS0_14default_configENS1_38merge_sort_block_merge_config_selectorIlNS0_10empty_typeEEEZZNS1_27merge_sort_block_merge_implIS3_PlPS5_mZN2at6native12_GLOBAL__N_124unique_dim_cuda_templateIaEESt5tupleIJNSA_6TensorESF_SF_EERKSF_lbbbEUlllE_EE10hipError_tT0_T1_T2_jT3_P12ihipStream_tbPNSt15iterator_traitsISL_E10value_typeEPNSR_ISM_E10value_typeEPSN_NS1_7vsmem_tEENKUlT_SL_SM_SN_E_clIS8_S8_S9_S9_EESK_S10_SL_SM_SN_EUlS10_E_NS1_11comp_targetILNS1_3genE5ELNS1_11target_archE942ELNS1_3gpuE9ELNS1_3repE0EEENS1_48merge_mergepath_partition_config_static_selectorELNS0_4arch9wavefront6targetE0EEEvSM_.kd
    .uniform_work_group_size: 1
    .uses_dynamic_stack: false
    .vgpr_count:     0
    .vgpr_spill_count: 0
    .wavefront_size: 32
  - .args:
      - .offset:         0
        .size:           56
        .value_kind:     by_value
    .group_segment_fixed_size: 0
    .kernarg_segment_align: 8
    .kernarg_segment_size: 56
    .language:       OpenCL C
    .language_version:
      - 2
      - 0
    .max_flat_workgroup_size: 128
    .name:           _ZN7rocprim17ROCPRIM_400000_NS6detail17trampoline_kernelINS0_14default_configENS1_38merge_sort_block_merge_config_selectorIlNS0_10empty_typeEEEZZNS1_27merge_sort_block_merge_implIS3_PlPS5_mZN2at6native12_GLOBAL__N_124unique_dim_cuda_templateIaEESt5tupleIJNSA_6TensorESF_SF_EERKSF_lbbbEUlllE_EE10hipError_tT0_T1_T2_jT3_P12ihipStream_tbPNSt15iterator_traitsISL_E10value_typeEPNSR_ISM_E10value_typeEPSN_NS1_7vsmem_tEENKUlT_SL_SM_SN_E_clIS8_S8_S9_S9_EESK_S10_SL_SM_SN_EUlS10_E_NS1_11comp_targetILNS1_3genE4ELNS1_11target_archE910ELNS1_3gpuE8ELNS1_3repE0EEENS1_48merge_mergepath_partition_config_static_selectorELNS0_4arch9wavefront6targetE0EEEvSM_
    .private_segment_fixed_size: 0
    .sgpr_count:     0
    .sgpr_spill_count: 0
    .symbol:         _ZN7rocprim17ROCPRIM_400000_NS6detail17trampoline_kernelINS0_14default_configENS1_38merge_sort_block_merge_config_selectorIlNS0_10empty_typeEEEZZNS1_27merge_sort_block_merge_implIS3_PlPS5_mZN2at6native12_GLOBAL__N_124unique_dim_cuda_templateIaEESt5tupleIJNSA_6TensorESF_SF_EERKSF_lbbbEUlllE_EE10hipError_tT0_T1_T2_jT3_P12ihipStream_tbPNSt15iterator_traitsISL_E10value_typeEPNSR_ISM_E10value_typeEPSN_NS1_7vsmem_tEENKUlT_SL_SM_SN_E_clIS8_S8_S9_S9_EESK_S10_SL_SM_SN_EUlS10_E_NS1_11comp_targetILNS1_3genE4ELNS1_11target_archE910ELNS1_3gpuE8ELNS1_3repE0EEENS1_48merge_mergepath_partition_config_static_selectorELNS0_4arch9wavefront6targetE0EEEvSM_.kd
    .uniform_work_group_size: 1
    .uses_dynamic_stack: false
    .vgpr_count:     0
    .vgpr_spill_count: 0
    .wavefront_size: 32
  - .args:
      - .offset:         0
        .size:           56
        .value_kind:     by_value
    .group_segment_fixed_size: 0
    .kernarg_segment_align: 8
    .kernarg_segment_size: 56
    .language:       OpenCL C
    .language_version:
      - 2
      - 0
    .max_flat_workgroup_size: 128
    .name:           _ZN7rocprim17ROCPRIM_400000_NS6detail17trampoline_kernelINS0_14default_configENS1_38merge_sort_block_merge_config_selectorIlNS0_10empty_typeEEEZZNS1_27merge_sort_block_merge_implIS3_PlPS5_mZN2at6native12_GLOBAL__N_124unique_dim_cuda_templateIaEESt5tupleIJNSA_6TensorESF_SF_EERKSF_lbbbEUlllE_EE10hipError_tT0_T1_T2_jT3_P12ihipStream_tbPNSt15iterator_traitsISL_E10value_typeEPNSR_ISM_E10value_typeEPSN_NS1_7vsmem_tEENKUlT_SL_SM_SN_E_clIS8_S8_S9_S9_EESK_S10_SL_SM_SN_EUlS10_E_NS1_11comp_targetILNS1_3genE3ELNS1_11target_archE908ELNS1_3gpuE7ELNS1_3repE0EEENS1_48merge_mergepath_partition_config_static_selectorELNS0_4arch9wavefront6targetE0EEEvSM_
    .private_segment_fixed_size: 0
    .sgpr_count:     0
    .sgpr_spill_count: 0
    .symbol:         _ZN7rocprim17ROCPRIM_400000_NS6detail17trampoline_kernelINS0_14default_configENS1_38merge_sort_block_merge_config_selectorIlNS0_10empty_typeEEEZZNS1_27merge_sort_block_merge_implIS3_PlPS5_mZN2at6native12_GLOBAL__N_124unique_dim_cuda_templateIaEESt5tupleIJNSA_6TensorESF_SF_EERKSF_lbbbEUlllE_EE10hipError_tT0_T1_T2_jT3_P12ihipStream_tbPNSt15iterator_traitsISL_E10value_typeEPNSR_ISM_E10value_typeEPSN_NS1_7vsmem_tEENKUlT_SL_SM_SN_E_clIS8_S8_S9_S9_EESK_S10_SL_SM_SN_EUlS10_E_NS1_11comp_targetILNS1_3genE3ELNS1_11target_archE908ELNS1_3gpuE7ELNS1_3repE0EEENS1_48merge_mergepath_partition_config_static_selectorELNS0_4arch9wavefront6targetE0EEEvSM_.kd
    .uniform_work_group_size: 1
    .uses_dynamic_stack: false
    .vgpr_count:     0
    .vgpr_spill_count: 0
    .wavefront_size: 32
  - .args:
      - .offset:         0
        .size:           56
        .value_kind:     by_value
    .group_segment_fixed_size: 0
    .kernarg_segment_align: 8
    .kernarg_segment_size: 56
    .language:       OpenCL C
    .language_version:
      - 2
      - 0
    .max_flat_workgroup_size: 128
    .name:           _ZN7rocprim17ROCPRIM_400000_NS6detail17trampoline_kernelINS0_14default_configENS1_38merge_sort_block_merge_config_selectorIlNS0_10empty_typeEEEZZNS1_27merge_sort_block_merge_implIS3_PlPS5_mZN2at6native12_GLOBAL__N_124unique_dim_cuda_templateIaEESt5tupleIJNSA_6TensorESF_SF_EERKSF_lbbbEUlllE_EE10hipError_tT0_T1_T2_jT3_P12ihipStream_tbPNSt15iterator_traitsISL_E10value_typeEPNSR_ISM_E10value_typeEPSN_NS1_7vsmem_tEENKUlT_SL_SM_SN_E_clIS8_S8_S9_S9_EESK_S10_SL_SM_SN_EUlS10_E_NS1_11comp_targetILNS1_3genE2ELNS1_11target_archE906ELNS1_3gpuE6ELNS1_3repE0EEENS1_48merge_mergepath_partition_config_static_selectorELNS0_4arch9wavefront6targetE0EEEvSM_
    .private_segment_fixed_size: 0
    .sgpr_count:     0
    .sgpr_spill_count: 0
    .symbol:         _ZN7rocprim17ROCPRIM_400000_NS6detail17trampoline_kernelINS0_14default_configENS1_38merge_sort_block_merge_config_selectorIlNS0_10empty_typeEEEZZNS1_27merge_sort_block_merge_implIS3_PlPS5_mZN2at6native12_GLOBAL__N_124unique_dim_cuda_templateIaEESt5tupleIJNSA_6TensorESF_SF_EERKSF_lbbbEUlllE_EE10hipError_tT0_T1_T2_jT3_P12ihipStream_tbPNSt15iterator_traitsISL_E10value_typeEPNSR_ISM_E10value_typeEPSN_NS1_7vsmem_tEENKUlT_SL_SM_SN_E_clIS8_S8_S9_S9_EESK_S10_SL_SM_SN_EUlS10_E_NS1_11comp_targetILNS1_3genE2ELNS1_11target_archE906ELNS1_3gpuE6ELNS1_3repE0EEENS1_48merge_mergepath_partition_config_static_selectorELNS0_4arch9wavefront6targetE0EEEvSM_.kd
    .uniform_work_group_size: 1
    .uses_dynamic_stack: false
    .vgpr_count:     0
    .vgpr_spill_count: 0
    .wavefront_size: 32
  - .args:
      - .offset:         0
        .size:           56
        .value_kind:     by_value
    .group_segment_fixed_size: 0
    .kernarg_segment_align: 8
    .kernarg_segment_size: 56
    .language:       OpenCL C
    .language_version:
      - 2
      - 0
    .max_flat_workgroup_size: 128
    .name:           _ZN7rocprim17ROCPRIM_400000_NS6detail17trampoline_kernelINS0_14default_configENS1_38merge_sort_block_merge_config_selectorIlNS0_10empty_typeEEEZZNS1_27merge_sort_block_merge_implIS3_PlPS5_mZN2at6native12_GLOBAL__N_124unique_dim_cuda_templateIaEESt5tupleIJNSA_6TensorESF_SF_EERKSF_lbbbEUlllE_EE10hipError_tT0_T1_T2_jT3_P12ihipStream_tbPNSt15iterator_traitsISL_E10value_typeEPNSR_ISM_E10value_typeEPSN_NS1_7vsmem_tEENKUlT_SL_SM_SN_E_clIS8_S8_S9_S9_EESK_S10_SL_SM_SN_EUlS10_E_NS1_11comp_targetILNS1_3genE9ELNS1_11target_archE1100ELNS1_3gpuE3ELNS1_3repE0EEENS1_48merge_mergepath_partition_config_static_selectorELNS0_4arch9wavefront6targetE0EEEvSM_
    .private_segment_fixed_size: 0
    .sgpr_count:     0
    .sgpr_spill_count: 0
    .symbol:         _ZN7rocprim17ROCPRIM_400000_NS6detail17trampoline_kernelINS0_14default_configENS1_38merge_sort_block_merge_config_selectorIlNS0_10empty_typeEEEZZNS1_27merge_sort_block_merge_implIS3_PlPS5_mZN2at6native12_GLOBAL__N_124unique_dim_cuda_templateIaEESt5tupleIJNSA_6TensorESF_SF_EERKSF_lbbbEUlllE_EE10hipError_tT0_T1_T2_jT3_P12ihipStream_tbPNSt15iterator_traitsISL_E10value_typeEPNSR_ISM_E10value_typeEPSN_NS1_7vsmem_tEENKUlT_SL_SM_SN_E_clIS8_S8_S9_S9_EESK_S10_SL_SM_SN_EUlS10_E_NS1_11comp_targetILNS1_3genE9ELNS1_11target_archE1100ELNS1_3gpuE3ELNS1_3repE0EEENS1_48merge_mergepath_partition_config_static_selectorELNS0_4arch9wavefront6targetE0EEEvSM_.kd
    .uniform_work_group_size: 1
    .uses_dynamic_stack: false
    .vgpr_count:     0
    .vgpr_spill_count: 0
    .wavefront_size: 32
  - .args:
      - .offset:         0
        .size:           56
        .value_kind:     by_value
    .group_segment_fixed_size: 0
    .kernarg_segment_align: 8
    .kernarg_segment_size: 56
    .language:       OpenCL C
    .language_version:
      - 2
      - 0
    .max_flat_workgroup_size: 128
    .name:           _ZN7rocprim17ROCPRIM_400000_NS6detail17trampoline_kernelINS0_14default_configENS1_38merge_sort_block_merge_config_selectorIlNS0_10empty_typeEEEZZNS1_27merge_sort_block_merge_implIS3_PlPS5_mZN2at6native12_GLOBAL__N_124unique_dim_cuda_templateIaEESt5tupleIJNSA_6TensorESF_SF_EERKSF_lbbbEUlllE_EE10hipError_tT0_T1_T2_jT3_P12ihipStream_tbPNSt15iterator_traitsISL_E10value_typeEPNSR_ISM_E10value_typeEPSN_NS1_7vsmem_tEENKUlT_SL_SM_SN_E_clIS8_S8_S9_S9_EESK_S10_SL_SM_SN_EUlS10_E_NS1_11comp_targetILNS1_3genE8ELNS1_11target_archE1030ELNS1_3gpuE2ELNS1_3repE0EEENS1_48merge_mergepath_partition_config_static_selectorELNS0_4arch9wavefront6targetE0EEEvSM_
    .private_segment_fixed_size: 0
    .sgpr_count:     0
    .sgpr_spill_count: 0
    .symbol:         _ZN7rocprim17ROCPRIM_400000_NS6detail17trampoline_kernelINS0_14default_configENS1_38merge_sort_block_merge_config_selectorIlNS0_10empty_typeEEEZZNS1_27merge_sort_block_merge_implIS3_PlPS5_mZN2at6native12_GLOBAL__N_124unique_dim_cuda_templateIaEESt5tupleIJNSA_6TensorESF_SF_EERKSF_lbbbEUlllE_EE10hipError_tT0_T1_T2_jT3_P12ihipStream_tbPNSt15iterator_traitsISL_E10value_typeEPNSR_ISM_E10value_typeEPSN_NS1_7vsmem_tEENKUlT_SL_SM_SN_E_clIS8_S8_S9_S9_EESK_S10_SL_SM_SN_EUlS10_E_NS1_11comp_targetILNS1_3genE8ELNS1_11target_archE1030ELNS1_3gpuE2ELNS1_3repE0EEENS1_48merge_mergepath_partition_config_static_selectorELNS0_4arch9wavefront6targetE0EEEvSM_.kd
    .uniform_work_group_size: 1
    .uses_dynamic_stack: false
    .vgpr_count:     0
    .vgpr_spill_count: 0
    .wavefront_size: 32
  - .args:
      - .offset:         0
        .size:           88
        .value_kind:     by_value
      - .offset:         88
        .size:           4
        .value_kind:     hidden_block_count_x
      - .offset:         92
        .size:           4
        .value_kind:     hidden_block_count_y
      - .offset:         96
        .size:           4
        .value_kind:     hidden_block_count_z
      - .offset:         100
        .size:           2
        .value_kind:     hidden_group_size_x
      - .offset:         102
        .size:           2
        .value_kind:     hidden_group_size_y
      - .offset:         104
        .size:           2
        .value_kind:     hidden_group_size_z
      - .offset:         106
        .size:           2
        .value_kind:     hidden_remainder_x
      - .offset:         108
        .size:           2
        .value_kind:     hidden_remainder_y
      - .offset:         110
        .size:           2
        .value_kind:     hidden_remainder_z
      - .offset:         128
        .size:           8
        .value_kind:     hidden_global_offset_x
      - .offset:         136
        .size:           8
        .value_kind:     hidden_global_offset_y
      - .offset:         144
        .size:           8
        .value_kind:     hidden_global_offset_z
      - .offset:         152
        .size:           2
        .value_kind:     hidden_grid_dims
    .group_segment_fixed_size: 8448
    .kernarg_segment_align: 8
    .kernarg_segment_size: 344
    .language:       OpenCL C
    .language_version:
      - 2
      - 0
    .max_flat_workgroup_size: 128
    .name:           _ZN7rocprim17ROCPRIM_400000_NS6detail17trampoline_kernelINS0_14default_configENS1_38merge_sort_block_merge_config_selectorIlNS0_10empty_typeEEEZZNS1_27merge_sort_block_merge_implIS3_PlPS5_mZN2at6native12_GLOBAL__N_124unique_dim_cuda_templateIaEESt5tupleIJNSA_6TensorESF_SF_EERKSF_lbbbEUlllE_EE10hipError_tT0_T1_T2_jT3_P12ihipStream_tbPNSt15iterator_traitsISL_E10value_typeEPNSR_ISM_E10value_typeEPSN_NS1_7vsmem_tEENKUlT_SL_SM_SN_E_clIS8_S8_S9_S9_EESK_S10_SL_SM_SN_EUlS10_E0_NS1_11comp_targetILNS1_3genE0ELNS1_11target_archE4294967295ELNS1_3gpuE0ELNS1_3repE0EEENS1_38merge_mergepath_config_static_selectorELNS0_4arch9wavefront6targetE0EEEvSM_
    .private_segment_fixed_size: 0
    .sgpr_count:     33
    .sgpr_spill_count: 0
    .symbol:         _ZN7rocprim17ROCPRIM_400000_NS6detail17trampoline_kernelINS0_14default_configENS1_38merge_sort_block_merge_config_selectorIlNS0_10empty_typeEEEZZNS1_27merge_sort_block_merge_implIS3_PlPS5_mZN2at6native12_GLOBAL__N_124unique_dim_cuda_templateIaEESt5tupleIJNSA_6TensorESF_SF_EERKSF_lbbbEUlllE_EE10hipError_tT0_T1_T2_jT3_P12ihipStream_tbPNSt15iterator_traitsISL_E10value_typeEPNSR_ISM_E10value_typeEPSN_NS1_7vsmem_tEENKUlT_SL_SM_SN_E_clIS8_S8_S9_S9_EESK_S10_SL_SM_SN_EUlS10_E0_NS1_11comp_targetILNS1_3genE0ELNS1_11target_archE4294967295ELNS1_3gpuE0ELNS1_3repE0EEENS1_38merge_mergepath_config_static_selectorELNS0_4arch9wavefront6targetE0EEEvSM_.kd
    .uniform_work_group_size: 1
    .uses_dynamic_stack: false
    .vgpr_count:     42
    .vgpr_spill_count: 0
    .wavefront_size: 32
  - .args:
      - .offset:         0
        .size:           88
        .value_kind:     by_value
    .group_segment_fixed_size: 0
    .kernarg_segment_align: 8
    .kernarg_segment_size: 88
    .language:       OpenCL C
    .language_version:
      - 2
      - 0
    .max_flat_workgroup_size: 512
    .name:           _ZN7rocprim17ROCPRIM_400000_NS6detail17trampoline_kernelINS0_14default_configENS1_38merge_sort_block_merge_config_selectorIlNS0_10empty_typeEEEZZNS1_27merge_sort_block_merge_implIS3_PlPS5_mZN2at6native12_GLOBAL__N_124unique_dim_cuda_templateIaEESt5tupleIJNSA_6TensorESF_SF_EERKSF_lbbbEUlllE_EE10hipError_tT0_T1_T2_jT3_P12ihipStream_tbPNSt15iterator_traitsISL_E10value_typeEPNSR_ISM_E10value_typeEPSN_NS1_7vsmem_tEENKUlT_SL_SM_SN_E_clIS8_S8_S9_S9_EESK_S10_SL_SM_SN_EUlS10_E0_NS1_11comp_targetILNS1_3genE10ELNS1_11target_archE1201ELNS1_3gpuE5ELNS1_3repE0EEENS1_38merge_mergepath_config_static_selectorELNS0_4arch9wavefront6targetE0EEEvSM_
    .private_segment_fixed_size: 0
    .sgpr_count:     0
    .sgpr_spill_count: 0
    .symbol:         _ZN7rocprim17ROCPRIM_400000_NS6detail17trampoline_kernelINS0_14default_configENS1_38merge_sort_block_merge_config_selectorIlNS0_10empty_typeEEEZZNS1_27merge_sort_block_merge_implIS3_PlPS5_mZN2at6native12_GLOBAL__N_124unique_dim_cuda_templateIaEESt5tupleIJNSA_6TensorESF_SF_EERKSF_lbbbEUlllE_EE10hipError_tT0_T1_T2_jT3_P12ihipStream_tbPNSt15iterator_traitsISL_E10value_typeEPNSR_ISM_E10value_typeEPSN_NS1_7vsmem_tEENKUlT_SL_SM_SN_E_clIS8_S8_S9_S9_EESK_S10_SL_SM_SN_EUlS10_E0_NS1_11comp_targetILNS1_3genE10ELNS1_11target_archE1201ELNS1_3gpuE5ELNS1_3repE0EEENS1_38merge_mergepath_config_static_selectorELNS0_4arch9wavefront6targetE0EEEvSM_.kd
    .uniform_work_group_size: 1
    .uses_dynamic_stack: false
    .vgpr_count:     0
    .vgpr_spill_count: 0
    .wavefront_size: 32
  - .args:
      - .offset:         0
        .size:           88
        .value_kind:     by_value
    .group_segment_fixed_size: 0
    .kernarg_segment_align: 8
    .kernarg_segment_size: 88
    .language:       OpenCL C
    .language_version:
      - 2
      - 0
    .max_flat_workgroup_size: 128
    .name:           _ZN7rocprim17ROCPRIM_400000_NS6detail17trampoline_kernelINS0_14default_configENS1_38merge_sort_block_merge_config_selectorIlNS0_10empty_typeEEEZZNS1_27merge_sort_block_merge_implIS3_PlPS5_mZN2at6native12_GLOBAL__N_124unique_dim_cuda_templateIaEESt5tupleIJNSA_6TensorESF_SF_EERKSF_lbbbEUlllE_EE10hipError_tT0_T1_T2_jT3_P12ihipStream_tbPNSt15iterator_traitsISL_E10value_typeEPNSR_ISM_E10value_typeEPSN_NS1_7vsmem_tEENKUlT_SL_SM_SN_E_clIS8_S8_S9_S9_EESK_S10_SL_SM_SN_EUlS10_E0_NS1_11comp_targetILNS1_3genE5ELNS1_11target_archE942ELNS1_3gpuE9ELNS1_3repE0EEENS1_38merge_mergepath_config_static_selectorELNS0_4arch9wavefront6targetE0EEEvSM_
    .private_segment_fixed_size: 0
    .sgpr_count:     0
    .sgpr_spill_count: 0
    .symbol:         _ZN7rocprim17ROCPRIM_400000_NS6detail17trampoline_kernelINS0_14default_configENS1_38merge_sort_block_merge_config_selectorIlNS0_10empty_typeEEEZZNS1_27merge_sort_block_merge_implIS3_PlPS5_mZN2at6native12_GLOBAL__N_124unique_dim_cuda_templateIaEESt5tupleIJNSA_6TensorESF_SF_EERKSF_lbbbEUlllE_EE10hipError_tT0_T1_T2_jT3_P12ihipStream_tbPNSt15iterator_traitsISL_E10value_typeEPNSR_ISM_E10value_typeEPSN_NS1_7vsmem_tEENKUlT_SL_SM_SN_E_clIS8_S8_S9_S9_EESK_S10_SL_SM_SN_EUlS10_E0_NS1_11comp_targetILNS1_3genE5ELNS1_11target_archE942ELNS1_3gpuE9ELNS1_3repE0EEENS1_38merge_mergepath_config_static_selectorELNS0_4arch9wavefront6targetE0EEEvSM_.kd
    .uniform_work_group_size: 1
    .uses_dynamic_stack: false
    .vgpr_count:     0
    .vgpr_spill_count: 0
    .wavefront_size: 32
  - .args:
      - .offset:         0
        .size:           88
        .value_kind:     by_value
    .group_segment_fixed_size: 0
    .kernarg_segment_align: 8
    .kernarg_segment_size: 88
    .language:       OpenCL C
    .language_version:
      - 2
      - 0
    .max_flat_workgroup_size: 256
    .name:           _ZN7rocprim17ROCPRIM_400000_NS6detail17trampoline_kernelINS0_14default_configENS1_38merge_sort_block_merge_config_selectorIlNS0_10empty_typeEEEZZNS1_27merge_sort_block_merge_implIS3_PlPS5_mZN2at6native12_GLOBAL__N_124unique_dim_cuda_templateIaEESt5tupleIJNSA_6TensorESF_SF_EERKSF_lbbbEUlllE_EE10hipError_tT0_T1_T2_jT3_P12ihipStream_tbPNSt15iterator_traitsISL_E10value_typeEPNSR_ISM_E10value_typeEPSN_NS1_7vsmem_tEENKUlT_SL_SM_SN_E_clIS8_S8_S9_S9_EESK_S10_SL_SM_SN_EUlS10_E0_NS1_11comp_targetILNS1_3genE4ELNS1_11target_archE910ELNS1_3gpuE8ELNS1_3repE0EEENS1_38merge_mergepath_config_static_selectorELNS0_4arch9wavefront6targetE0EEEvSM_
    .private_segment_fixed_size: 0
    .sgpr_count:     0
    .sgpr_spill_count: 0
    .symbol:         _ZN7rocprim17ROCPRIM_400000_NS6detail17trampoline_kernelINS0_14default_configENS1_38merge_sort_block_merge_config_selectorIlNS0_10empty_typeEEEZZNS1_27merge_sort_block_merge_implIS3_PlPS5_mZN2at6native12_GLOBAL__N_124unique_dim_cuda_templateIaEESt5tupleIJNSA_6TensorESF_SF_EERKSF_lbbbEUlllE_EE10hipError_tT0_T1_T2_jT3_P12ihipStream_tbPNSt15iterator_traitsISL_E10value_typeEPNSR_ISM_E10value_typeEPSN_NS1_7vsmem_tEENKUlT_SL_SM_SN_E_clIS8_S8_S9_S9_EESK_S10_SL_SM_SN_EUlS10_E0_NS1_11comp_targetILNS1_3genE4ELNS1_11target_archE910ELNS1_3gpuE8ELNS1_3repE0EEENS1_38merge_mergepath_config_static_selectorELNS0_4arch9wavefront6targetE0EEEvSM_.kd
    .uniform_work_group_size: 1
    .uses_dynamic_stack: false
    .vgpr_count:     0
    .vgpr_spill_count: 0
    .wavefront_size: 32
  - .args:
      - .offset:         0
        .size:           88
        .value_kind:     by_value
    .group_segment_fixed_size: 0
    .kernarg_segment_align: 8
    .kernarg_segment_size: 88
    .language:       OpenCL C
    .language_version:
      - 2
      - 0
    .max_flat_workgroup_size: 128
    .name:           _ZN7rocprim17ROCPRIM_400000_NS6detail17trampoline_kernelINS0_14default_configENS1_38merge_sort_block_merge_config_selectorIlNS0_10empty_typeEEEZZNS1_27merge_sort_block_merge_implIS3_PlPS5_mZN2at6native12_GLOBAL__N_124unique_dim_cuda_templateIaEESt5tupleIJNSA_6TensorESF_SF_EERKSF_lbbbEUlllE_EE10hipError_tT0_T1_T2_jT3_P12ihipStream_tbPNSt15iterator_traitsISL_E10value_typeEPNSR_ISM_E10value_typeEPSN_NS1_7vsmem_tEENKUlT_SL_SM_SN_E_clIS8_S8_S9_S9_EESK_S10_SL_SM_SN_EUlS10_E0_NS1_11comp_targetILNS1_3genE3ELNS1_11target_archE908ELNS1_3gpuE7ELNS1_3repE0EEENS1_38merge_mergepath_config_static_selectorELNS0_4arch9wavefront6targetE0EEEvSM_
    .private_segment_fixed_size: 0
    .sgpr_count:     0
    .sgpr_spill_count: 0
    .symbol:         _ZN7rocprim17ROCPRIM_400000_NS6detail17trampoline_kernelINS0_14default_configENS1_38merge_sort_block_merge_config_selectorIlNS0_10empty_typeEEEZZNS1_27merge_sort_block_merge_implIS3_PlPS5_mZN2at6native12_GLOBAL__N_124unique_dim_cuda_templateIaEESt5tupleIJNSA_6TensorESF_SF_EERKSF_lbbbEUlllE_EE10hipError_tT0_T1_T2_jT3_P12ihipStream_tbPNSt15iterator_traitsISL_E10value_typeEPNSR_ISM_E10value_typeEPSN_NS1_7vsmem_tEENKUlT_SL_SM_SN_E_clIS8_S8_S9_S9_EESK_S10_SL_SM_SN_EUlS10_E0_NS1_11comp_targetILNS1_3genE3ELNS1_11target_archE908ELNS1_3gpuE7ELNS1_3repE0EEENS1_38merge_mergepath_config_static_selectorELNS0_4arch9wavefront6targetE0EEEvSM_.kd
    .uniform_work_group_size: 1
    .uses_dynamic_stack: false
    .vgpr_count:     0
    .vgpr_spill_count: 0
    .wavefront_size: 32
  - .args:
      - .offset:         0
        .size:           88
        .value_kind:     by_value
    .group_segment_fixed_size: 0
    .kernarg_segment_align: 8
    .kernarg_segment_size: 88
    .language:       OpenCL C
    .language_version:
      - 2
      - 0
    .max_flat_workgroup_size: 256
    .name:           _ZN7rocprim17ROCPRIM_400000_NS6detail17trampoline_kernelINS0_14default_configENS1_38merge_sort_block_merge_config_selectorIlNS0_10empty_typeEEEZZNS1_27merge_sort_block_merge_implIS3_PlPS5_mZN2at6native12_GLOBAL__N_124unique_dim_cuda_templateIaEESt5tupleIJNSA_6TensorESF_SF_EERKSF_lbbbEUlllE_EE10hipError_tT0_T1_T2_jT3_P12ihipStream_tbPNSt15iterator_traitsISL_E10value_typeEPNSR_ISM_E10value_typeEPSN_NS1_7vsmem_tEENKUlT_SL_SM_SN_E_clIS8_S8_S9_S9_EESK_S10_SL_SM_SN_EUlS10_E0_NS1_11comp_targetILNS1_3genE2ELNS1_11target_archE906ELNS1_3gpuE6ELNS1_3repE0EEENS1_38merge_mergepath_config_static_selectorELNS0_4arch9wavefront6targetE0EEEvSM_
    .private_segment_fixed_size: 0
    .sgpr_count:     0
    .sgpr_spill_count: 0
    .symbol:         _ZN7rocprim17ROCPRIM_400000_NS6detail17trampoline_kernelINS0_14default_configENS1_38merge_sort_block_merge_config_selectorIlNS0_10empty_typeEEEZZNS1_27merge_sort_block_merge_implIS3_PlPS5_mZN2at6native12_GLOBAL__N_124unique_dim_cuda_templateIaEESt5tupleIJNSA_6TensorESF_SF_EERKSF_lbbbEUlllE_EE10hipError_tT0_T1_T2_jT3_P12ihipStream_tbPNSt15iterator_traitsISL_E10value_typeEPNSR_ISM_E10value_typeEPSN_NS1_7vsmem_tEENKUlT_SL_SM_SN_E_clIS8_S8_S9_S9_EESK_S10_SL_SM_SN_EUlS10_E0_NS1_11comp_targetILNS1_3genE2ELNS1_11target_archE906ELNS1_3gpuE6ELNS1_3repE0EEENS1_38merge_mergepath_config_static_selectorELNS0_4arch9wavefront6targetE0EEEvSM_.kd
    .uniform_work_group_size: 1
    .uses_dynamic_stack: false
    .vgpr_count:     0
    .vgpr_spill_count: 0
    .wavefront_size: 32
  - .args:
      - .offset:         0
        .size:           88
        .value_kind:     by_value
    .group_segment_fixed_size: 0
    .kernarg_segment_align: 8
    .kernarg_segment_size: 88
    .language:       OpenCL C
    .language_version:
      - 2
      - 0
    .max_flat_workgroup_size: 512
    .name:           _ZN7rocprim17ROCPRIM_400000_NS6detail17trampoline_kernelINS0_14default_configENS1_38merge_sort_block_merge_config_selectorIlNS0_10empty_typeEEEZZNS1_27merge_sort_block_merge_implIS3_PlPS5_mZN2at6native12_GLOBAL__N_124unique_dim_cuda_templateIaEESt5tupleIJNSA_6TensorESF_SF_EERKSF_lbbbEUlllE_EE10hipError_tT0_T1_T2_jT3_P12ihipStream_tbPNSt15iterator_traitsISL_E10value_typeEPNSR_ISM_E10value_typeEPSN_NS1_7vsmem_tEENKUlT_SL_SM_SN_E_clIS8_S8_S9_S9_EESK_S10_SL_SM_SN_EUlS10_E0_NS1_11comp_targetILNS1_3genE9ELNS1_11target_archE1100ELNS1_3gpuE3ELNS1_3repE0EEENS1_38merge_mergepath_config_static_selectorELNS0_4arch9wavefront6targetE0EEEvSM_
    .private_segment_fixed_size: 0
    .sgpr_count:     0
    .sgpr_spill_count: 0
    .symbol:         _ZN7rocprim17ROCPRIM_400000_NS6detail17trampoline_kernelINS0_14default_configENS1_38merge_sort_block_merge_config_selectorIlNS0_10empty_typeEEEZZNS1_27merge_sort_block_merge_implIS3_PlPS5_mZN2at6native12_GLOBAL__N_124unique_dim_cuda_templateIaEESt5tupleIJNSA_6TensorESF_SF_EERKSF_lbbbEUlllE_EE10hipError_tT0_T1_T2_jT3_P12ihipStream_tbPNSt15iterator_traitsISL_E10value_typeEPNSR_ISM_E10value_typeEPSN_NS1_7vsmem_tEENKUlT_SL_SM_SN_E_clIS8_S8_S9_S9_EESK_S10_SL_SM_SN_EUlS10_E0_NS1_11comp_targetILNS1_3genE9ELNS1_11target_archE1100ELNS1_3gpuE3ELNS1_3repE0EEENS1_38merge_mergepath_config_static_selectorELNS0_4arch9wavefront6targetE0EEEvSM_.kd
    .uniform_work_group_size: 1
    .uses_dynamic_stack: false
    .vgpr_count:     0
    .vgpr_spill_count: 0
    .wavefront_size: 32
  - .args:
      - .offset:         0
        .size:           88
        .value_kind:     by_value
    .group_segment_fixed_size: 0
    .kernarg_segment_align: 8
    .kernarg_segment_size: 88
    .language:       OpenCL C
    .language_version:
      - 2
      - 0
    .max_flat_workgroup_size: 1024
    .name:           _ZN7rocprim17ROCPRIM_400000_NS6detail17trampoline_kernelINS0_14default_configENS1_38merge_sort_block_merge_config_selectorIlNS0_10empty_typeEEEZZNS1_27merge_sort_block_merge_implIS3_PlPS5_mZN2at6native12_GLOBAL__N_124unique_dim_cuda_templateIaEESt5tupleIJNSA_6TensorESF_SF_EERKSF_lbbbEUlllE_EE10hipError_tT0_T1_T2_jT3_P12ihipStream_tbPNSt15iterator_traitsISL_E10value_typeEPNSR_ISM_E10value_typeEPSN_NS1_7vsmem_tEENKUlT_SL_SM_SN_E_clIS8_S8_S9_S9_EESK_S10_SL_SM_SN_EUlS10_E0_NS1_11comp_targetILNS1_3genE8ELNS1_11target_archE1030ELNS1_3gpuE2ELNS1_3repE0EEENS1_38merge_mergepath_config_static_selectorELNS0_4arch9wavefront6targetE0EEEvSM_
    .private_segment_fixed_size: 0
    .sgpr_count:     0
    .sgpr_spill_count: 0
    .symbol:         _ZN7rocprim17ROCPRIM_400000_NS6detail17trampoline_kernelINS0_14default_configENS1_38merge_sort_block_merge_config_selectorIlNS0_10empty_typeEEEZZNS1_27merge_sort_block_merge_implIS3_PlPS5_mZN2at6native12_GLOBAL__N_124unique_dim_cuda_templateIaEESt5tupleIJNSA_6TensorESF_SF_EERKSF_lbbbEUlllE_EE10hipError_tT0_T1_T2_jT3_P12ihipStream_tbPNSt15iterator_traitsISL_E10value_typeEPNSR_ISM_E10value_typeEPSN_NS1_7vsmem_tEENKUlT_SL_SM_SN_E_clIS8_S8_S9_S9_EESK_S10_SL_SM_SN_EUlS10_E0_NS1_11comp_targetILNS1_3genE8ELNS1_11target_archE1030ELNS1_3gpuE2ELNS1_3repE0EEENS1_38merge_mergepath_config_static_selectorELNS0_4arch9wavefront6targetE0EEEvSM_.kd
    .uniform_work_group_size: 1
    .uses_dynamic_stack: false
    .vgpr_count:     0
    .vgpr_spill_count: 0
    .wavefront_size: 32
  - .args:
      - .offset:         0
        .size:           64
        .value_kind:     by_value
    .group_segment_fixed_size: 0
    .kernarg_segment_align: 8
    .kernarg_segment_size: 64
    .language:       OpenCL C
    .language_version:
      - 2
      - 0
    .max_flat_workgroup_size: 256
    .name:           _ZN7rocprim17ROCPRIM_400000_NS6detail17trampoline_kernelINS0_14default_configENS1_38merge_sort_block_merge_config_selectorIlNS0_10empty_typeEEEZZNS1_27merge_sort_block_merge_implIS3_PlPS5_mZN2at6native12_GLOBAL__N_124unique_dim_cuda_templateIaEESt5tupleIJNSA_6TensorESF_SF_EERKSF_lbbbEUlllE_EE10hipError_tT0_T1_T2_jT3_P12ihipStream_tbPNSt15iterator_traitsISL_E10value_typeEPNSR_ISM_E10value_typeEPSN_NS1_7vsmem_tEENKUlT_SL_SM_SN_E_clIS8_S8_S9_S9_EESK_S10_SL_SM_SN_EUlS10_E1_NS1_11comp_targetILNS1_3genE0ELNS1_11target_archE4294967295ELNS1_3gpuE0ELNS1_3repE0EEENS1_36merge_oddeven_config_static_selectorELNS0_4arch9wavefront6targetE0EEEvSM_
    .private_segment_fixed_size: 0
    .sgpr_count:     27
    .sgpr_spill_count: 0
    .symbol:         _ZN7rocprim17ROCPRIM_400000_NS6detail17trampoline_kernelINS0_14default_configENS1_38merge_sort_block_merge_config_selectorIlNS0_10empty_typeEEEZZNS1_27merge_sort_block_merge_implIS3_PlPS5_mZN2at6native12_GLOBAL__N_124unique_dim_cuda_templateIaEESt5tupleIJNSA_6TensorESF_SF_EERKSF_lbbbEUlllE_EE10hipError_tT0_T1_T2_jT3_P12ihipStream_tbPNSt15iterator_traitsISL_E10value_typeEPNSR_ISM_E10value_typeEPSN_NS1_7vsmem_tEENKUlT_SL_SM_SN_E_clIS8_S8_S9_S9_EESK_S10_SL_SM_SN_EUlS10_E1_NS1_11comp_targetILNS1_3genE0ELNS1_11target_archE4294967295ELNS1_3gpuE0ELNS1_3repE0EEENS1_36merge_oddeven_config_static_selectorELNS0_4arch9wavefront6targetE0EEEvSM_.kd
    .uniform_work_group_size: 1
    .uses_dynamic_stack: false
    .vgpr_count:     20
    .vgpr_spill_count: 0
    .wavefront_size: 32
  - .args:
      - .offset:         0
        .size:           64
        .value_kind:     by_value
    .group_segment_fixed_size: 0
    .kernarg_segment_align: 8
    .kernarg_segment_size: 64
    .language:       OpenCL C
    .language_version:
      - 2
      - 0
    .max_flat_workgroup_size: 256
    .name:           _ZN7rocprim17ROCPRIM_400000_NS6detail17trampoline_kernelINS0_14default_configENS1_38merge_sort_block_merge_config_selectorIlNS0_10empty_typeEEEZZNS1_27merge_sort_block_merge_implIS3_PlPS5_mZN2at6native12_GLOBAL__N_124unique_dim_cuda_templateIaEESt5tupleIJNSA_6TensorESF_SF_EERKSF_lbbbEUlllE_EE10hipError_tT0_T1_T2_jT3_P12ihipStream_tbPNSt15iterator_traitsISL_E10value_typeEPNSR_ISM_E10value_typeEPSN_NS1_7vsmem_tEENKUlT_SL_SM_SN_E_clIS8_S8_S9_S9_EESK_S10_SL_SM_SN_EUlS10_E1_NS1_11comp_targetILNS1_3genE10ELNS1_11target_archE1201ELNS1_3gpuE5ELNS1_3repE0EEENS1_36merge_oddeven_config_static_selectorELNS0_4arch9wavefront6targetE0EEEvSM_
    .private_segment_fixed_size: 0
    .sgpr_count:     0
    .sgpr_spill_count: 0
    .symbol:         _ZN7rocprim17ROCPRIM_400000_NS6detail17trampoline_kernelINS0_14default_configENS1_38merge_sort_block_merge_config_selectorIlNS0_10empty_typeEEEZZNS1_27merge_sort_block_merge_implIS3_PlPS5_mZN2at6native12_GLOBAL__N_124unique_dim_cuda_templateIaEESt5tupleIJNSA_6TensorESF_SF_EERKSF_lbbbEUlllE_EE10hipError_tT0_T1_T2_jT3_P12ihipStream_tbPNSt15iterator_traitsISL_E10value_typeEPNSR_ISM_E10value_typeEPSN_NS1_7vsmem_tEENKUlT_SL_SM_SN_E_clIS8_S8_S9_S9_EESK_S10_SL_SM_SN_EUlS10_E1_NS1_11comp_targetILNS1_3genE10ELNS1_11target_archE1201ELNS1_3gpuE5ELNS1_3repE0EEENS1_36merge_oddeven_config_static_selectorELNS0_4arch9wavefront6targetE0EEEvSM_.kd
    .uniform_work_group_size: 1
    .uses_dynamic_stack: false
    .vgpr_count:     0
    .vgpr_spill_count: 0
    .wavefront_size: 32
  - .args:
      - .offset:         0
        .size:           64
        .value_kind:     by_value
    .group_segment_fixed_size: 0
    .kernarg_segment_align: 8
    .kernarg_segment_size: 64
    .language:       OpenCL C
    .language_version:
      - 2
      - 0
    .max_flat_workgroup_size: 256
    .name:           _ZN7rocprim17ROCPRIM_400000_NS6detail17trampoline_kernelINS0_14default_configENS1_38merge_sort_block_merge_config_selectorIlNS0_10empty_typeEEEZZNS1_27merge_sort_block_merge_implIS3_PlPS5_mZN2at6native12_GLOBAL__N_124unique_dim_cuda_templateIaEESt5tupleIJNSA_6TensorESF_SF_EERKSF_lbbbEUlllE_EE10hipError_tT0_T1_T2_jT3_P12ihipStream_tbPNSt15iterator_traitsISL_E10value_typeEPNSR_ISM_E10value_typeEPSN_NS1_7vsmem_tEENKUlT_SL_SM_SN_E_clIS8_S8_S9_S9_EESK_S10_SL_SM_SN_EUlS10_E1_NS1_11comp_targetILNS1_3genE5ELNS1_11target_archE942ELNS1_3gpuE9ELNS1_3repE0EEENS1_36merge_oddeven_config_static_selectorELNS0_4arch9wavefront6targetE0EEEvSM_
    .private_segment_fixed_size: 0
    .sgpr_count:     0
    .sgpr_spill_count: 0
    .symbol:         _ZN7rocprim17ROCPRIM_400000_NS6detail17trampoline_kernelINS0_14default_configENS1_38merge_sort_block_merge_config_selectorIlNS0_10empty_typeEEEZZNS1_27merge_sort_block_merge_implIS3_PlPS5_mZN2at6native12_GLOBAL__N_124unique_dim_cuda_templateIaEESt5tupleIJNSA_6TensorESF_SF_EERKSF_lbbbEUlllE_EE10hipError_tT0_T1_T2_jT3_P12ihipStream_tbPNSt15iterator_traitsISL_E10value_typeEPNSR_ISM_E10value_typeEPSN_NS1_7vsmem_tEENKUlT_SL_SM_SN_E_clIS8_S8_S9_S9_EESK_S10_SL_SM_SN_EUlS10_E1_NS1_11comp_targetILNS1_3genE5ELNS1_11target_archE942ELNS1_3gpuE9ELNS1_3repE0EEENS1_36merge_oddeven_config_static_selectorELNS0_4arch9wavefront6targetE0EEEvSM_.kd
    .uniform_work_group_size: 1
    .uses_dynamic_stack: false
    .vgpr_count:     0
    .vgpr_spill_count: 0
    .wavefront_size: 32
  - .args:
      - .offset:         0
        .size:           64
        .value_kind:     by_value
    .group_segment_fixed_size: 0
    .kernarg_segment_align: 8
    .kernarg_segment_size: 64
    .language:       OpenCL C
    .language_version:
      - 2
      - 0
    .max_flat_workgroup_size: 256
    .name:           _ZN7rocprim17ROCPRIM_400000_NS6detail17trampoline_kernelINS0_14default_configENS1_38merge_sort_block_merge_config_selectorIlNS0_10empty_typeEEEZZNS1_27merge_sort_block_merge_implIS3_PlPS5_mZN2at6native12_GLOBAL__N_124unique_dim_cuda_templateIaEESt5tupleIJNSA_6TensorESF_SF_EERKSF_lbbbEUlllE_EE10hipError_tT0_T1_T2_jT3_P12ihipStream_tbPNSt15iterator_traitsISL_E10value_typeEPNSR_ISM_E10value_typeEPSN_NS1_7vsmem_tEENKUlT_SL_SM_SN_E_clIS8_S8_S9_S9_EESK_S10_SL_SM_SN_EUlS10_E1_NS1_11comp_targetILNS1_3genE4ELNS1_11target_archE910ELNS1_3gpuE8ELNS1_3repE0EEENS1_36merge_oddeven_config_static_selectorELNS0_4arch9wavefront6targetE0EEEvSM_
    .private_segment_fixed_size: 0
    .sgpr_count:     0
    .sgpr_spill_count: 0
    .symbol:         _ZN7rocprim17ROCPRIM_400000_NS6detail17trampoline_kernelINS0_14default_configENS1_38merge_sort_block_merge_config_selectorIlNS0_10empty_typeEEEZZNS1_27merge_sort_block_merge_implIS3_PlPS5_mZN2at6native12_GLOBAL__N_124unique_dim_cuda_templateIaEESt5tupleIJNSA_6TensorESF_SF_EERKSF_lbbbEUlllE_EE10hipError_tT0_T1_T2_jT3_P12ihipStream_tbPNSt15iterator_traitsISL_E10value_typeEPNSR_ISM_E10value_typeEPSN_NS1_7vsmem_tEENKUlT_SL_SM_SN_E_clIS8_S8_S9_S9_EESK_S10_SL_SM_SN_EUlS10_E1_NS1_11comp_targetILNS1_3genE4ELNS1_11target_archE910ELNS1_3gpuE8ELNS1_3repE0EEENS1_36merge_oddeven_config_static_selectorELNS0_4arch9wavefront6targetE0EEEvSM_.kd
    .uniform_work_group_size: 1
    .uses_dynamic_stack: false
    .vgpr_count:     0
    .vgpr_spill_count: 0
    .wavefront_size: 32
  - .args:
      - .offset:         0
        .size:           64
        .value_kind:     by_value
    .group_segment_fixed_size: 0
    .kernarg_segment_align: 8
    .kernarg_segment_size: 64
    .language:       OpenCL C
    .language_version:
      - 2
      - 0
    .max_flat_workgroup_size: 256
    .name:           _ZN7rocprim17ROCPRIM_400000_NS6detail17trampoline_kernelINS0_14default_configENS1_38merge_sort_block_merge_config_selectorIlNS0_10empty_typeEEEZZNS1_27merge_sort_block_merge_implIS3_PlPS5_mZN2at6native12_GLOBAL__N_124unique_dim_cuda_templateIaEESt5tupleIJNSA_6TensorESF_SF_EERKSF_lbbbEUlllE_EE10hipError_tT0_T1_T2_jT3_P12ihipStream_tbPNSt15iterator_traitsISL_E10value_typeEPNSR_ISM_E10value_typeEPSN_NS1_7vsmem_tEENKUlT_SL_SM_SN_E_clIS8_S8_S9_S9_EESK_S10_SL_SM_SN_EUlS10_E1_NS1_11comp_targetILNS1_3genE3ELNS1_11target_archE908ELNS1_3gpuE7ELNS1_3repE0EEENS1_36merge_oddeven_config_static_selectorELNS0_4arch9wavefront6targetE0EEEvSM_
    .private_segment_fixed_size: 0
    .sgpr_count:     0
    .sgpr_spill_count: 0
    .symbol:         _ZN7rocprim17ROCPRIM_400000_NS6detail17trampoline_kernelINS0_14default_configENS1_38merge_sort_block_merge_config_selectorIlNS0_10empty_typeEEEZZNS1_27merge_sort_block_merge_implIS3_PlPS5_mZN2at6native12_GLOBAL__N_124unique_dim_cuda_templateIaEESt5tupleIJNSA_6TensorESF_SF_EERKSF_lbbbEUlllE_EE10hipError_tT0_T1_T2_jT3_P12ihipStream_tbPNSt15iterator_traitsISL_E10value_typeEPNSR_ISM_E10value_typeEPSN_NS1_7vsmem_tEENKUlT_SL_SM_SN_E_clIS8_S8_S9_S9_EESK_S10_SL_SM_SN_EUlS10_E1_NS1_11comp_targetILNS1_3genE3ELNS1_11target_archE908ELNS1_3gpuE7ELNS1_3repE0EEENS1_36merge_oddeven_config_static_selectorELNS0_4arch9wavefront6targetE0EEEvSM_.kd
    .uniform_work_group_size: 1
    .uses_dynamic_stack: false
    .vgpr_count:     0
    .vgpr_spill_count: 0
    .wavefront_size: 32
  - .args:
      - .offset:         0
        .size:           64
        .value_kind:     by_value
    .group_segment_fixed_size: 0
    .kernarg_segment_align: 8
    .kernarg_segment_size: 64
    .language:       OpenCL C
    .language_version:
      - 2
      - 0
    .max_flat_workgroup_size: 256
    .name:           _ZN7rocprim17ROCPRIM_400000_NS6detail17trampoline_kernelINS0_14default_configENS1_38merge_sort_block_merge_config_selectorIlNS0_10empty_typeEEEZZNS1_27merge_sort_block_merge_implIS3_PlPS5_mZN2at6native12_GLOBAL__N_124unique_dim_cuda_templateIaEESt5tupleIJNSA_6TensorESF_SF_EERKSF_lbbbEUlllE_EE10hipError_tT0_T1_T2_jT3_P12ihipStream_tbPNSt15iterator_traitsISL_E10value_typeEPNSR_ISM_E10value_typeEPSN_NS1_7vsmem_tEENKUlT_SL_SM_SN_E_clIS8_S8_S9_S9_EESK_S10_SL_SM_SN_EUlS10_E1_NS1_11comp_targetILNS1_3genE2ELNS1_11target_archE906ELNS1_3gpuE6ELNS1_3repE0EEENS1_36merge_oddeven_config_static_selectorELNS0_4arch9wavefront6targetE0EEEvSM_
    .private_segment_fixed_size: 0
    .sgpr_count:     0
    .sgpr_spill_count: 0
    .symbol:         _ZN7rocprim17ROCPRIM_400000_NS6detail17trampoline_kernelINS0_14default_configENS1_38merge_sort_block_merge_config_selectorIlNS0_10empty_typeEEEZZNS1_27merge_sort_block_merge_implIS3_PlPS5_mZN2at6native12_GLOBAL__N_124unique_dim_cuda_templateIaEESt5tupleIJNSA_6TensorESF_SF_EERKSF_lbbbEUlllE_EE10hipError_tT0_T1_T2_jT3_P12ihipStream_tbPNSt15iterator_traitsISL_E10value_typeEPNSR_ISM_E10value_typeEPSN_NS1_7vsmem_tEENKUlT_SL_SM_SN_E_clIS8_S8_S9_S9_EESK_S10_SL_SM_SN_EUlS10_E1_NS1_11comp_targetILNS1_3genE2ELNS1_11target_archE906ELNS1_3gpuE6ELNS1_3repE0EEENS1_36merge_oddeven_config_static_selectorELNS0_4arch9wavefront6targetE0EEEvSM_.kd
    .uniform_work_group_size: 1
    .uses_dynamic_stack: false
    .vgpr_count:     0
    .vgpr_spill_count: 0
    .wavefront_size: 32
  - .args:
      - .offset:         0
        .size:           64
        .value_kind:     by_value
    .group_segment_fixed_size: 0
    .kernarg_segment_align: 8
    .kernarg_segment_size: 64
    .language:       OpenCL C
    .language_version:
      - 2
      - 0
    .max_flat_workgroup_size: 256
    .name:           _ZN7rocprim17ROCPRIM_400000_NS6detail17trampoline_kernelINS0_14default_configENS1_38merge_sort_block_merge_config_selectorIlNS0_10empty_typeEEEZZNS1_27merge_sort_block_merge_implIS3_PlPS5_mZN2at6native12_GLOBAL__N_124unique_dim_cuda_templateIaEESt5tupleIJNSA_6TensorESF_SF_EERKSF_lbbbEUlllE_EE10hipError_tT0_T1_T2_jT3_P12ihipStream_tbPNSt15iterator_traitsISL_E10value_typeEPNSR_ISM_E10value_typeEPSN_NS1_7vsmem_tEENKUlT_SL_SM_SN_E_clIS8_S8_S9_S9_EESK_S10_SL_SM_SN_EUlS10_E1_NS1_11comp_targetILNS1_3genE9ELNS1_11target_archE1100ELNS1_3gpuE3ELNS1_3repE0EEENS1_36merge_oddeven_config_static_selectorELNS0_4arch9wavefront6targetE0EEEvSM_
    .private_segment_fixed_size: 0
    .sgpr_count:     0
    .sgpr_spill_count: 0
    .symbol:         _ZN7rocprim17ROCPRIM_400000_NS6detail17trampoline_kernelINS0_14default_configENS1_38merge_sort_block_merge_config_selectorIlNS0_10empty_typeEEEZZNS1_27merge_sort_block_merge_implIS3_PlPS5_mZN2at6native12_GLOBAL__N_124unique_dim_cuda_templateIaEESt5tupleIJNSA_6TensorESF_SF_EERKSF_lbbbEUlllE_EE10hipError_tT0_T1_T2_jT3_P12ihipStream_tbPNSt15iterator_traitsISL_E10value_typeEPNSR_ISM_E10value_typeEPSN_NS1_7vsmem_tEENKUlT_SL_SM_SN_E_clIS8_S8_S9_S9_EESK_S10_SL_SM_SN_EUlS10_E1_NS1_11comp_targetILNS1_3genE9ELNS1_11target_archE1100ELNS1_3gpuE3ELNS1_3repE0EEENS1_36merge_oddeven_config_static_selectorELNS0_4arch9wavefront6targetE0EEEvSM_.kd
    .uniform_work_group_size: 1
    .uses_dynamic_stack: false
    .vgpr_count:     0
    .vgpr_spill_count: 0
    .wavefront_size: 32
  - .args:
      - .offset:         0
        .size:           64
        .value_kind:     by_value
    .group_segment_fixed_size: 0
    .kernarg_segment_align: 8
    .kernarg_segment_size: 64
    .language:       OpenCL C
    .language_version:
      - 2
      - 0
    .max_flat_workgroup_size: 256
    .name:           _ZN7rocprim17ROCPRIM_400000_NS6detail17trampoline_kernelINS0_14default_configENS1_38merge_sort_block_merge_config_selectorIlNS0_10empty_typeEEEZZNS1_27merge_sort_block_merge_implIS3_PlPS5_mZN2at6native12_GLOBAL__N_124unique_dim_cuda_templateIaEESt5tupleIJNSA_6TensorESF_SF_EERKSF_lbbbEUlllE_EE10hipError_tT0_T1_T2_jT3_P12ihipStream_tbPNSt15iterator_traitsISL_E10value_typeEPNSR_ISM_E10value_typeEPSN_NS1_7vsmem_tEENKUlT_SL_SM_SN_E_clIS8_S8_S9_S9_EESK_S10_SL_SM_SN_EUlS10_E1_NS1_11comp_targetILNS1_3genE8ELNS1_11target_archE1030ELNS1_3gpuE2ELNS1_3repE0EEENS1_36merge_oddeven_config_static_selectorELNS0_4arch9wavefront6targetE0EEEvSM_
    .private_segment_fixed_size: 0
    .sgpr_count:     0
    .sgpr_spill_count: 0
    .symbol:         _ZN7rocprim17ROCPRIM_400000_NS6detail17trampoline_kernelINS0_14default_configENS1_38merge_sort_block_merge_config_selectorIlNS0_10empty_typeEEEZZNS1_27merge_sort_block_merge_implIS3_PlPS5_mZN2at6native12_GLOBAL__N_124unique_dim_cuda_templateIaEESt5tupleIJNSA_6TensorESF_SF_EERKSF_lbbbEUlllE_EE10hipError_tT0_T1_T2_jT3_P12ihipStream_tbPNSt15iterator_traitsISL_E10value_typeEPNSR_ISM_E10value_typeEPSN_NS1_7vsmem_tEENKUlT_SL_SM_SN_E_clIS8_S8_S9_S9_EESK_S10_SL_SM_SN_EUlS10_E1_NS1_11comp_targetILNS1_3genE8ELNS1_11target_archE1030ELNS1_3gpuE2ELNS1_3repE0EEENS1_36merge_oddeven_config_static_selectorELNS0_4arch9wavefront6targetE0EEEvSM_.kd
    .uniform_work_group_size: 1
    .uses_dynamic_stack: false
    .vgpr_count:     0
    .vgpr_spill_count: 0
    .wavefront_size: 32
  - .args:
      - .offset:         0
        .size:           64
        .value_kind:     by_value
    .group_segment_fixed_size: 2048
    .kernarg_segment_align: 8
    .kernarg_segment_size: 64
    .language:       OpenCL C
    .language_version:
      - 2
      - 0
    .max_flat_workgroup_size: 128
    .name:           _ZN7rocprim17ROCPRIM_400000_NS6detail17trampoline_kernelINS0_14default_configENS1_35adjacent_difference_config_selectorILb0ElEEZNS1_24adjacent_difference_implIS3_Lb0ELb0EPlS7_ZN2at6native12_GLOBAL__N_124unique_dim_cuda_templateIaEESt5tupleIJNS8_6TensorESD_SD_EERKSD_lbbbEUlllE1_EE10hipError_tPvRmT2_T3_mT4_P12ihipStream_tbEUlT_E_NS1_11comp_targetILNS1_3genE0ELNS1_11target_archE4294967295ELNS1_3gpuE0ELNS1_3repE0EEENS1_30default_config_static_selectorELNS0_4arch9wavefront6targetE0EEEvT1_
    .private_segment_fixed_size: 0
    .sgpr_count:     26
    .sgpr_spill_count: 0
    .symbol:         _ZN7rocprim17ROCPRIM_400000_NS6detail17trampoline_kernelINS0_14default_configENS1_35adjacent_difference_config_selectorILb0ElEEZNS1_24adjacent_difference_implIS3_Lb0ELb0EPlS7_ZN2at6native12_GLOBAL__N_124unique_dim_cuda_templateIaEESt5tupleIJNS8_6TensorESD_SD_EERKSD_lbbbEUlllE1_EE10hipError_tPvRmT2_T3_mT4_P12ihipStream_tbEUlT_E_NS1_11comp_targetILNS1_3genE0ELNS1_11target_archE4294967295ELNS1_3gpuE0ELNS1_3repE0EEENS1_30default_config_static_selectorELNS0_4arch9wavefront6targetE0EEEvT1_.kd
    .uniform_work_group_size: 1
    .uses_dynamic_stack: false
    .vgpr_count:     12
    .vgpr_spill_count: 0
    .wavefront_size: 32
  - .args:
      - .offset:         0
        .size:           64
        .value_kind:     by_value
    .group_segment_fixed_size: 0
    .kernarg_segment_align: 8
    .kernarg_segment_size: 64
    .language:       OpenCL C
    .language_version:
      - 2
      - 0
    .max_flat_workgroup_size: 128
    .name:           _ZN7rocprim17ROCPRIM_400000_NS6detail17trampoline_kernelINS0_14default_configENS1_35adjacent_difference_config_selectorILb0ElEEZNS1_24adjacent_difference_implIS3_Lb0ELb0EPlS7_ZN2at6native12_GLOBAL__N_124unique_dim_cuda_templateIaEESt5tupleIJNS8_6TensorESD_SD_EERKSD_lbbbEUlllE1_EE10hipError_tPvRmT2_T3_mT4_P12ihipStream_tbEUlT_E_NS1_11comp_targetILNS1_3genE10ELNS1_11target_archE1201ELNS1_3gpuE5ELNS1_3repE0EEENS1_30default_config_static_selectorELNS0_4arch9wavefront6targetE0EEEvT1_
    .private_segment_fixed_size: 0
    .sgpr_count:     0
    .sgpr_spill_count: 0
    .symbol:         _ZN7rocprim17ROCPRIM_400000_NS6detail17trampoline_kernelINS0_14default_configENS1_35adjacent_difference_config_selectorILb0ElEEZNS1_24adjacent_difference_implIS3_Lb0ELb0EPlS7_ZN2at6native12_GLOBAL__N_124unique_dim_cuda_templateIaEESt5tupleIJNS8_6TensorESD_SD_EERKSD_lbbbEUlllE1_EE10hipError_tPvRmT2_T3_mT4_P12ihipStream_tbEUlT_E_NS1_11comp_targetILNS1_3genE10ELNS1_11target_archE1201ELNS1_3gpuE5ELNS1_3repE0EEENS1_30default_config_static_selectorELNS0_4arch9wavefront6targetE0EEEvT1_.kd
    .uniform_work_group_size: 1
    .uses_dynamic_stack: false
    .vgpr_count:     0
    .vgpr_spill_count: 0
    .wavefront_size: 32
  - .args:
      - .offset:         0
        .size:           64
        .value_kind:     by_value
    .group_segment_fixed_size: 0
    .kernarg_segment_align: 8
    .kernarg_segment_size: 64
    .language:       OpenCL C
    .language_version:
      - 2
      - 0
    .max_flat_workgroup_size: 64
    .name:           _ZN7rocprim17ROCPRIM_400000_NS6detail17trampoline_kernelINS0_14default_configENS1_35adjacent_difference_config_selectorILb0ElEEZNS1_24adjacent_difference_implIS3_Lb0ELb0EPlS7_ZN2at6native12_GLOBAL__N_124unique_dim_cuda_templateIaEESt5tupleIJNS8_6TensorESD_SD_EERKSD_lbbbEUlllE1_EE10hipError_tPvRmT2_T3_mT4_P12ihipStream_tbEUlT_E_NS1_11comp_targetILNS1_3genE5ELNS1_11target_archE942ELNS1_3gpuE9ELNS1_3repE0EEENS1_30default_config_static_selectorELNS0_4arch9wavefront6targetE0EEEvT1_
    .private_segment_fixed_size: 0
    .sgpr_count:     0
    .sgpr_spill_count: 0
    .symbol:         _ZN7rocprim17ROCPRIM_400000_NS6detail17trampoline_kernelINS0_14default_configENS1_35adjacent_difference_config_selectorILb0ElEEZNS1_24adjacent_difference_implIS3_Lb0ELb0EPlS7_ZN2at6native12_GLOBAL__N_124unique_dim_cuda_templateIaEESt5tupleIJNS8_6TensorESD_SD_EERKSD_lbbbEUlllE1_EE10hipError_tPvRmT2_T3_mT4_P12ihipStream_tbEUlT_E_NS1_11comp_targetILNS1_3genE5ELNS1_11target_archE942ELNS1_3gpuE9ELNS1_3repE0EEENS1_30default_config_static_selectorELNS0_4arch9wavefront6targetE0EEEvT1_.kd
    .uniform_work_group_size: 1
    .uses_dynamic_stack: false
    .vgpr_count:     0
    .vgpr_spill_count: 0
    .wavefront_size: 32
  - .args:
      - .offset:         0
        .size:           64
        .value_kind:     by_value
    .group_segment_fixed_size: 0
    .kernarg_segment_align: 8
    .kernarg_segment_size: 64
    .language:       OpenCL C
    .language_version:
      - 2
      - 0
    .max_flat_workgroup_size: 256
    .name:           _ZN7rocprim17ROCPRIM_400000_NS6detail17trampoline_kernelINS0_14default_configENS1_35adjacent_difference_config_selectorILb0ElEEZNS1_24adjacent_difference_implIS3_Lb0ELb0EPlS7_ZN2at6native12_GLOBAL__N_124unique_dim_cuda_templateIaEESt5tupleIJNS8_6TensorESD_SD_EERKSD_lbbbEUlllE1_EE10hipError_tPvRmT2_T3_mT4_P12ihipStream_tbEUlT_E_NS1_11comp_targetILNS1_3genE4ELNS1_11target_archE910ELNS1_3gpuE8ELNS1_3repE0EEENS1_30default_config_static_selectorELNS0_4arch9wavefront6targetE0EEEvT1_
    .private_segment_fixed_size: 0
    .sgpr_count:     0
    .sgpr_spill_count: 0
    .symbol:         _ZN7rocprim17ROCPRIM_400000_NS6detail17trampoline_kernelINS0_14default_configENS1_35adjacent_difference_config_selectorILb0ElEEZNS1_24adjacent_difference_implIS3_Lb0ELb0EPlS7_ZN2at6native12_GLOBAL__N_124unique_dim_cuda_templateIaEESt5tupleIJNS8_6TensorESD_SD_EERKSD_lbbbEUlllE1_EE10hipError_tPvRmT2_T3_mT4_P12ihipStream_tbEUlT_E_NS1_11comp_targetILNS1_3genE4ELNS1_11target_archE910ELNS1_3gpuE8ELNS1_3repE0EEENS1_30default_config_static_selectorELNS0_4arch9wavefront6targetE0EEEvT1_.kd
    .uniform_work_group_size: 1
    .uses_dynamic_stack: false
    .vgpr_count:     0
    .vgpr_spill_count: 0
    .wavefront_size: 32
  - .args:
      - .offset:         0
        .size:           64
        .value_kind:     by_value
    .group_segment_fixed_size: 0
    .kernarg_segment_align: 8
    .kernarg_segment_size: 64
    .language:       OpenCL C
    .language_version:
      - 2
      - 0
    .max_flat_workgroup_size: 128
    .name:           _ZN7rocprim17ROCPRIM_400000_NS6detail17trampoline_kernelINS0_14default_configENS1_35adjacent_difference_config_selectorILb0ElEEZNS1_24adjacent_difference_implIS3_Lb0ELb0EPlS7_ZN2at6native12_GLOBAL__N_124unique_dim_cuda_templateIaEESt5tupleIJNS8_6TensorESD_SD_EERKSD_lbbbEUlllE1_EE10hipError_tPvRmT2_T3_mT4_P12ihipStream_tbEUlT_E_NS1_11comp_targetILNS1_3genE3ELNS1_11target_archE908ELNS1_3gpuE7ELNS1_3repE0EEENS1_30default_config_static_selectorELNS0_4arch9wavefront6targetE0EEEvT1_
    .private_segment_fixed_size: 0
    .sgpr_count:     0
    .sgpr_spill_count: 0
    .symbol:         _ZN7rocprim17ROCPRIM_400000_NS6detail17trampoline_kernelINS0_14default_configENS1_35adjacent_difference_config_selectorILb0ElEEZNS1_24adjacent_difference_implIS3_Lb0ELb0EPlS7_ZN2at6native12_GLOBAL__N_124unique_dim_cuda_templateIaEESt5tupleIJNS8_6TensorESD_SD_EERKSD_lbbbEUlllE1_EE10hipError_tPvRmT2_T3_mT4_P12ihipStream_tbEUlT_E_NS1_11comp_targetILNS1_3genE3ELNS1_11target_archE908ELNS1_3gpuE7ELNS1_3repE0EEENS1_30default_config_static_selectorELNS0_4arch9wavefront6targetE0EEEvT1_.kd
    .uniform_work_group_size: 1
    .uses_dynamic_stack: false
    .vgpr_count:     0
    .vgpr_spill_count: 0
    .wavefront_size: 32
  - .args:
      - .offset:         0
        .size:           64
        .value_kind:     by_value
    .group_segment_fixed_size: 0
    .kernarg_segment_align: 8
    .kernarg_segment_size: 64
    .language:       OpenCL C
    .language_version:
      - 2
      - 0
    .max_flat_workgroup_size: 128
    .name:           _ZN7rocprim17ROCPRIM_400000_NS6detail17trampoline_kernelINS0_14default_configENS1_35adjacent_difference_config_selectorILb0ElEEZNS1_24adjacent_difference_implIS3_Lb0ELb0EPlS7_ZN2at6native12_GLOBAL__N_124unique_dim_cuda_templateIaEESt5tupleIJNS8_6TensorESD_SD_EERKSD_lbbbEUlllE1_EE10hipError_tPvRmT2_T3_mT4_P12ihipStream_tbEUlT_E_NS1_11comp_targetILNS1_3genE2ELNS1_11target_archE906ELNS1_3gpuE6ELNS1_3repE0EEENS1_30default_config_static_selectorELNS0_4arch9wavefront6targetE0EEEvT1_
    .private_segment_fixed_size: 0
    .sgpr_count:     0
    .sgpr_spill_count: 0
    .symbol:         _ZN7rocprim17ROCPRIM_400000_NS6detail17trampoline_kernelINS0_14default_configENS1_35adjacent_difference_config_selectorILb0ElEEZNS1_24adjacent_difference_implIS3_Lb0ELb0EPlS7_ZN2at6native12_GLOBAL__N_124unique_dim_cuda_templateIaEESt5tupleIJNS8_6TensorESD_SD_EERKSD_lbbbEUlllE1_EE10hipError_tPvRmT2_T3_mT4_P12ihipStream_tbEUlT_E_NS1_11comp_targetILNS1_3genE2ELNS1_11target_archE906ELNS1_3gpuE6ELNS1_3repE0EEENS1_30default_config_static_selectorELNS0_4arch9wavefront6targetE0EEEvT1_.kd
    .uniform_work_group_size: 1
    .uses_dynamic_stack: false
    .vgpr_count:     0
    .vgpr_spill_count: 0
    .wavefront_size: 32
  - .args:
      - .offset:         0
        .size:           64
        .value_kind:     by_value
    .group_segment_fixed_size: 0
    .kernarg_segment_align: 8
    .kernarg_segment_size: 64
    .language:       OpenCL C
    .language_version:
      - 2
      - 0
    .max_flat_workgroup_size: 512
    .name:           _ZN7rocprim17ROCPRIM_400000_NS6detail17trampoline_kernelINS0_14default_configENS1_35adjacent_difference_config_selectorILb0ElEEZNS1_24adjacent_difference_implIS3_Lb0ELb0EPlS7_ZN2at6native12_GLOBAL__N_124unique_dim_cuda_templateIaEESt5tupleIJNS8_6TensorESD_SD_EERKSD_lbbbEUlllE1_EE10hipError_tPvRmT2_T3_mT4_P12ihipStream_tbEUlT_E_NS1_11comp_targetILNS1_3genE9ELNS1_11target_archE1100ELNS1_3gpuE3ELNS1_3repE0EEENS1_30default_config_static_selectorELNS0_4arch9wavefront6targetE0EEEvT1_
    .private_segment_fixed_size: 0
    .sgpr_count:     0
    .sgpr_spill_count: 0
    .symbol:         _ZN7rocprim17ROCPRIM_400000_NS6detail17trampoline_kernelINS0_14default_configENS1_35adjacent_difference_config_selectorILb0ElEEZNS1_24adjacent_difference_implIS3_Lb0ELb0EPlS7_ZN2at6native12_GLOBAL__N_124unique_dim_cuda_templateIaEESt5tupleIJNS8_6TensorESD_SD_EERKSD_lbbbEUlllE1_EE10hipError_tPvRmT2_T3_mT4_P12ihipStream_tbEUlT_E_NS1_11comp_targetILNS1_3genE9ELNS1_11target_archE1100ELNS1_3gpuE3ELNS1_3repE0EEENS1_30default_config_static_selectorELNS0_4arch9wavefront6targetE0EEEvT1_.kd
    .uniform_work_group_size: 1
    .uses_dynamic_stack: false
    .vgpr_count:     0
    .vgpr_spill_count: 0
    .wavefront_size: 32
  - .args:
      - .offset:         0
        .size:           64
        .value_kind:     by_value
    .group_segment_fixed_size: 0
    .kernarg_segment_align: 8
    .kernarg_segment_size: 64
    .language:       OpenCL C
    .language_version:
      - 2
      - 0
    .max_flat_workgroup_size: 1024
    .name:           _ZN7rocprim17ROCPRIM_400000_NS6detail17trampoline_kernelINS0_14default_configENS1_35adjacent_difference_config_selectorILb0ElEEZNS1_24adjacent_difference_implIS3_Lb0ELb0EPlS7_ZN2at6native12_GLOBAL__N_124unique_dim_cuda_templateIaEESt5tupleIJNS8_6TensorESD_SD_EERKSD_lbbbEUlllE1_EE10hipError_tPvRmT2_T3_mT4_P12ihipStream_tbEUlT_E_NS1_11comp_targetILNS1_3genE8ELNS1_11target_archE1030ELNS1_3gpuE2ELNS1_3repE0EEENS1_30default_config_static_selectorELNS0_4arch9wavefront6targetE0EEEvT1_
    .private_segment_fixed_size: 0
    .sgpr_count:     0
    .sgpr_spill_count: 0
    .symbol:         _ZN7rocprim17ROCPRIM_400000_NS6detail17trampoline_kernelINS0_14default_configENS1_35adjacent_difference_config_selectorILb0ElEEZNS1_24adjacent_difference_implIS3_Lb0ELb0EPlS7_ZN2at6native12_GLOBAL__N_124unique_dim_cuda_templateIaEESt5tupleIJNS8_6TensorESD_SD_EERKSD_lbbbEUlllE1_EE10hipError_tPvRmT2_T3_mT4_P12ihipStream_tbEUlT_E_NS1_11comp_targetILNS1_3genE8ELNS1_11target_archE1030ELNS1_3gpuE2ELNS1_3repE0EEENS1_30default_config_static_selectorELNS0_4arch9wavefront6targetE0EEEvT1_.kd
    .uniform_work_group_size: 1
    .uses_dynamic_stack: false
    .vgpr_count:     0
    .vgpr_spill_count: 0
    .wavefront_size: 32
  - .args:
      - .offset:         0
        .size:           56
        .value_kind:     by_value
      - .offset:         56
        .size:           4
        .value_kind:     hidden_block_count_x
      - .offset:         60
        .size:           4
        .value_kind:     hidden_block_count_y
      - .offset:         64
        .size:           4
        .value_kind:     hidden_block_count_z
      - .offset:         68
        .size:           2
        .value_kind:     hidden_group_size_x
      - .offset:         70
        .size:           2
        .value_kind:     hidden_group_size_y
      - .offset:         72
        .size:           2
        .value_kind:     hidden_group_size_z
      - .offset:         74
        .size:           2
        .value_kind:     hidden_remainder_x
      - .offset:         76
        .size:           2
        .value_kind:     hidden_remainder_y
      - .offset:         78
        .size:           2
        .value_kind:     hidden_remainder_z
      - .offset:         96
        .size:           8
        .value_kind:     hidden_global_offset_x
      - .offset:         104
        .size:           8
        .value_kind:     hidden_global_offset_y
      - .offset:         112
        .size:           8
        .value_kind:     hidden_global_offset_z
      - .offset:         120
        .size:           2
        .value_kind:     hidden_grid_dims
    .group_segment_fixed_size: 0
    .kernarg_segment_align: 8
    .kernarg_segment_size: 312
    .language:       OpenCL C
    .language_version:
      - 2
      - 0
    .max_flat_workgroup_size: 128
    .name:           _ZN7rocprim17ROCPRIM_400000_NS6detail17trampoline_kernelINS0_14default_configENS1_25transform_config_selectorIlLb0EEEZNS1_14transform_implILb0ES3_S5_NS0_18transform_iteratorINS0_17counting_iteratorImlEEZNS1_24adjacent_difference_implIS3_Lb1ELb0EPlSB_ZN2at6native12_GLOBAL__N_124unique_dim_cuda_templateIaEESt5tupleIJNSC_6TensorESH_SH_EERKSH_lbbbEUlllE1_EE10hipError_tPvRmT2_T3_mT4_P12ihipStream_tbEUlmE_lEESB_NS0_8identityIvEEEESM_SP_SQ_mSR_ST_bEUlT_E_NS1_11comp_targetILNS1_3genE0ELNS1_11target_archE4294967295ELNS1_3gpuE0ELNS1_3repE0EEENS1_30default_config_static_selectorELNS0_4arch9wavefront6targetE0EEEvT1_
    .private_segment_fixed_size: 0
    .sgpr_count:     16
    .sgpr_spill_count: 0
    .symbol:         _ZN7rocprim17ROCPRIM_400000_NS6detail17trampoline_kernelINS0_14default_configENS1_25transform_config_selectorIlLb0EEEZNS1_14transform_implILb0ES3_S5_NS0_18transform_iteratorINS0_17counting_iteratorImlEEZNS1_24adjacent_difference_implIS3_Lb1ELb0EPlSB_ZN2at6native12_GLOBAL__N_124unique_dim_cuda_templateIaEESt5tupleIJNSC_6TensorESH_SH_EERKSH_lbbbEUlllE1_EE10hipError_tPvRmT2_T3_mT4_P12ihipStream_tbEUlmE_lEESB_NS0_8identityIvEEEESM_SP_SQ_mSR_ST_bEUlT_E_NS1_11comp_targetILNS1_3genE0ELNS1_11target_archE4294967295ELNS1_3gpuE0ELNS1_3repE0EEENS1_30default_config_static_selectorELNS0_4arch9wavefront6targetE0EEEvT1_.kd
    .uniform_work_group_size: 1
    .uses_dynamic_stack: false
    .vgpr_count:     4
    .vgpr_spill_count: 0
    .wavefront_size: 32
  - .args:
      - .offset:         0
        .size:           56
        .value_kind:     by_value
    .group_segment_fixed_size: 0
    .kernarg_segment_align: 8
    .kernarg_segment_size: 56
    .language:       OpenCL C
    .language_version:
      - 2
      - 0
    .max_flat_workgroup_size: 512
    .name:           _ZN7rocprim17ROCPRIM_400000_NS6detail17trampoline_kernelINS0_14default_configENS1_25transform_config_selectorIlLb0EEEZNS1_14transform_implILb0ES3_S5_NS0_18transform_iteratorINS0_17counting_iteratorImlEEZNS1_24adjacent_difference_implIS3_Lb1ELb0EPlSB_ZN2at6native12_GLOBAL__N_124unique_dim_cuda_templateIaEESt5tupleIJNSC_6TensorESH_SH_EERKSH_lbbbEUlllE1_EE10hipError_tPvRmT2_T3_mT4_P12ihipStream_tbEUlmE_lEESB_NS0_8identityIvEEEESM_SP_SQ_mSR_ST_bEUlT_E_NS1_11comp_targetILNS1_3genE5ELNS1_11target_archE942ELNS1_3gpuE9ELNS1_3repE0EEENS1_30default_config_static_selectorELNS0_4arch9wavefront6targetE0EEEvT1_
    .private_segment_fixed_size: 0
    .sgpr_count:     0
    .sgpr_spill_count: 0
    .symbol:         _ZN7rocprim17ROCPRIM_400000_NS6detail17trampoline_kernelINS0_14default_configENS1_25transform_config_selectorIlLb0EEEZNS1_14transform_implILb0ES3_S5_NS0_18transform_iteratorINS0_17counting_iteratorImlEEZNS1_24adjacent_difference_implIS3_Lb1ELb0EPlSB_ZN2at6native12_GLOBAL__N_124unique_dim_cuda_templateIaEESt5tupleIJNSC_6TensorESH_SH_EERKSH_lbbbEUlllE1_EE10hipError_tPvRmT2_T3_mT4_P12ihipStream_tbEUlmE_lEESB_NS0_8identityIvEEEESM_SP_SQ_mSR_ST_bEUlT_E_NS1_11comp_targetILNS1_3genE5ELNS1_11target_archE942ELNS1_3gpuE9ELNS1_3repE0EEENS1_30default_config_static_selectorELNS0_4arch9wavefront6targetE0EEEvT1_.kd
    .uniform_work_group_size: 1
    .uses_dynamic_stack: false
    .vgpr_count:     0
    .vgpr_spill_count: 0
    .wavefront_size: 32
  - .args:
      - .offset:         0
        .size:           56
        .value_kind:     by_value
    .group_segment_fixed_size: 0
    .kernarg_segment_align: 8
    .kernarg_segment_size: 56
    .language:       OpenCL C
    .language_version:
      - 2
      - 0
    .max_flat_workgroup_size: 256
    .name:           _ZN7rocprim17ROCPRIM_400000_NS6detail17trampoline_kernelINS0_14default_configENS1_25transform_config_selectorIlLb0EEEZNS1_14transform_implILb0ES3_S5_NS0_18transform_iteratorINS0_17counting_iteratorImlEEZNS1_24adjacent_difference_implIS3_Lb1ELb0EPlSB_ZN2at6native12_GLOBAL__N_124unique_dim_cuda_templateIaEESt5tupleIJNSC_6TensorESH_SH_EERKSH_lbbbEUlllE1_EE10hipError_tPvRmT2_T3_mT4_P12ihipStream_tbEUlmE_lEESB_NS0_8identityIvEEEESM_SP_SQ_mSR_ST_bEUlT_E_NS1_11comp_targetILNS1_3genE4ELNS1_11target_archE910ELNS1_3gpuE8ELNS1_3repE0EEENS1_30default_config_static_selectorELNS0_4arch9wavefront6targetE0EEEvT1_
    .private_segment_fixed_size: 0
    .sgpr_count:     0
    .sgpr_spill_count: 0
    .symbol:         _ZN7rocprim17ROCPRIM_400000_NS6detail17trampoline_kernelINS0_14default_configENS1_25transform_config_selectorIlLb0EEEZNS1_14transform_implILb0ES3_S5_NS0_18transform_iteratorINS0_17counting_iteratorImlEEZNS1_24adjacent_difference_implIS3_Lb1ELb0EPlSB_ZN2at6native12_GLOBAL__N_124unique_dim_cuda_templateIaEESt5tupleIJNSC_6TensorESH_SH_EERKSH_lbbbEUlllE1_EE10hipError_tPvRmT2_T3_mT4_P12ihipStream_tbEUlmE_lEESB_NS0_8identityIvEEEESM_SP_SQ_mSR_ST_bEUlT_E_NS1_11comp_targetILNS1_3genE4ELNS1_11target_archE910ELNS1_3gpuE8ELNS1_3repE0EEENS1_30default_config_static_selectorELNS0_4arch9wavefront6targetE0EEEvT1_.kd
    .uniform_work_group_size: 1
    .uses_dynamic_stack: false
    .vgpr_count:     0
    .vgpr_spill_count: 0
    .wavefront_size: 32
  - .args:
      - .offset:         0
        .size:           56
        .value_kind:     by_value
    .group_segment_fixed_size: 0
    .kernarg_segment_align: 8
    .kernarg_segment_size: 56
    .language:       OpenCL C
    .language_version:
      - 2
      - 0
    .max_flat_workgroup_size: 128
    .name:           _ZN7rocprim17ROCPRIM_400000_NS6detail17trampoline_kernelINS0_14default_configENS1_25transform_config_selectorIlLb0EEEZNS1_14transform_implILb0ES3_S5_NS0_18transform_iteratorINS0_17counting_iteratorImlEEZNS1_24adjacent_difference_implIS3_Lb1ELb0EPlSB_ZN2at6native12_GLOBAL__N_124unique_dim_cuda_templateIaEESt5tupleIJNSC_6TensorESH_SH_EERKSH_lbbbEUlllE1_EE10hipError_tPvRmT2_T3_mT4_P12ihipStream_tbEUlmE_lEESB_NS0_8identityIvEEEESM_SP_SQ_mSR_ST_bEUlT_E_NS1_11comp_targetILNS1_3genE3ELNS1_11target_archE908ELNS1_3gpuE7ELNS1_3repE0EEENS1_30default_config_static_selectorELNS0_4arch9wavefront6targetE0EEEvT1_
    .private_segment_fixed_size: 0
    .sgpr_count:     0
    .sgpr_spill_count: 0
    .symbol:         _ZN7rocprim17ROCPRIM_400000_NS6detail17trampoline_kernelINS0_14default_configENS1_25transform_config_selectorIlLb0EEEZNS1_14transform_implILb0ES3_S5_NS0_18transform_iteratorINS0_17counting_iteratorImlEEZNS1_24adjacent_difference_implIS3_Lb1ELb0EPlSB_ZN2at6native12_GLOBAL__N_124unique_dim_cuda_templateIaEESt5tupleIJNSC_6TensorESH_SH_EERKSH_lbbbEUlllE1_EE10hipError_tPvRmT2_T3_mT4_P12ihipStream_tbEUlmE_lEESB_NS0_8identityIvEEEESM_SP_SQ_mSR_ST_bEUlT_E_NS1_11comp_targetILNS1_3genE3ELNS1_11target_archE908ELNS1_3gpuE7ELNS1_3repE0EEENS1_30default_config_static_selectorELNS0_4arch9wavefront6targetE0EEEvT1_.kd
    .uniform_work_group_size: 1
    .uses_dynamic_stack: false
    .vgpr_count:     0
    .vgpr_spill_count: 0
    .wavefront_size: 32
  - .args:
      - .offset:         0
        .size:           56
        .value_kind:     by_value
    .group_segment_fixed_size: 0
    .kernarg_segment_align: 8
    .kernarg_segment_size: 56
    .language:       OpenCL C
    .language_version:
      - 2
      - 0
    .max_flat_workgroup_size: 512
    .name:           _ZN7rocprim17ROCPRIM_400000_NS6detail17trampoline_kernelINS0_14default_configENS1_25transform_config_selectorIlLb0EEEZNS1_14transform_implILb0ES3_S5_NS0_18transform_iteratorINS0_17counting_iteratorImlEEZNS1_24adjacent_difference_implIS3_Lb1ELb0EPlSB_ZN2at6native12_GLOBAL__N_124unique_dim_cuda_templateIaEESt5tupleIJNSC_6TensorESH_SH_EERKSH_lbbbEUlllE1_EE10hipError_tPvRmT2_T3_mT4_P12ihipStream_tbEUlmE_lEESB_NS0_8identityIvEEEESM_SP_SQ_mSR_ST_bEUlT_E_NS1_11comp_targetILNS1_3genE2ELNS1_11target_archE906ELNS1_3gpuE6ELNS1_3repE0EEENS1_30default_config_static_selectorELNS0_4arch9wavefront6targetE0EEEvT1_
    .private_segment_fixed_size: 0
    .sgpr_count:     0
    .sgpr_spill_count: 0
    .symbol:         _ZN7rocprim17ROCPRIM_400000_NS6detail17trampoline_kernelINS0_14default_configENS1_25transform_config_selectorIlLb0EEEZNS1_14transform_implILb0ES3_S5_NS0_18transform_iteratorINS0_17counting_iteratorImlEEZNS1_24adjacent_difference_implIS3_Lb1ELb0EPlSB_ZN2at6native12_GLOBAL__N_124unique_dim_cuda_templateIaEESt5tupleIJNSC_6TensorESH_SH_EERKSH_lbbbEUlllE1_EE10hipError_tPvRmT2_T3_mT4_P12ihipStream_tbEUlmE_lEESB_NS0_8identityIvEEEESM_SP_SQ_mSR_ST_bEUlT_E_NS1_11comp_targetILNS1_3genE2ELNS1_11target_archE906ELNS1_3gpuE6ELNS1_3repE0EEENS1_30default_config_static_selectorELNS0_4arch9wavefront6targetE0EEEvT1_.kd
    .uniform_work_group_size: 1
    .uses_dynamic_stack: false
    .vgpr_count:     0
    .vgpr_spill_count: 0
    .wavefront_size: 32
  - .args:
      - .offset:         0
        .size:           56
        .value_kind:     by_value
    .group_segment_fixed_size: 0
    .kernarg_segment_align: 8
    .kernarg_segment_size: 56
    .language:       OpenCL C
    .language_version:
      - 2
      - 0
    .max_flat_workgroup_size: 1024
    .name:           _ZN7rocprim17ROCPRIM_400000_NS6detail17trampoline_kernelINS0_14default_configENS1_25transform_config_selectorIlLb0EEEZNS1_14transform_implILb0ES3_S5_NS0_18transform_iteratorINS0_17counting_iteratorImlEEZNS1_24adjacent_difference_implIS3_Lb1ELb0EPlSB_ZN2at6native12_GLOBAL__N_124unique_dim_cuda_templateIaEESt5tupleIJNSC_6TensorESH_SH_EERKSH_lbbbEUlllE1_EE10hipError_tPvRmT2_T3_mT4_P12ihipStream_tbEUlmE_lEESB_NS0_8identityIvEEEESM_SP_SQ_mSR_ST_bEUlT_E_NS1_11comp_targetILNS1_3genE10ELNS1_11target_archE1201ELNS1_3gpuE5ELNS1_3repE0EEENS1_30default_config_static_selectorELNS0_4arch9wavefront6targetE0EEEvT1_
    .private_segment_fixed_size: 0
    .sgpr_count:     0
    .sgpr_spill_count: 0
    .symbol:         _ZN7rocprim17ROCPRIM_400000_NS6detail17trampoline_kernelINS0_14default_configENS1_25transform_config_selectorIlLb0EEEZNS1_14transform_implILb0ES3_S5_NS0_18transform_iteratorINS0_17counting_iteratorImlEEZNS1_24adjacent_difference_implIS3_Lb1ELb0EPlSB_ZN2at6native12_GLOBAL__N_124unique_dim_cuda_templateIaEESt5tupleIJNSC_6TensorESH_SH_EERKSH_lbbbEUlllE1_EE10hipError_tPvRmT2_T3_mT4_P12ihipStream_tbEUlmE_lEESB_NS0_8identityIvEEEESM_SP_SQ_mSR_ST_bEUlT_E_NS1_11comp_targetILNS1_3genE10ELNS1_11target_archE1201ELNS1_3gpuE5ELNS1_3repE0EEENS1_30default_config_static_selectorELNS0_4arch9wavefront6targetE0EEEvT1_.kd
    .uniform_work_group_size: 1
    .uses_dynamic_stack: false
    .vgpr_count:     0
    .vgpr_spill_count: 0
    .wavefront_size: 32
  - .args:
      - .offset:         0
        .size:           56
        .value_kind:     by_value
    .group_segment_fixed_size: 0
    .kernarg_segment_align: 8
    .kernarg_segment_size: 56
    .language:       OpenCL C
    .language_version:
      - 2
      - 0
    .max_flat_workgroup_size: 512
    .name:           _ZN7rocprim17ROCPRIM_400000_NS6detail17trampoline_kernelINS0_14default_configENS1_25transform_config_selectorIlLb0EEEZNS1_14transform_implILb0ES3_S5_NS0_18transform_iteratorINS0_17counting_iteratorImlEEZNS1_24adjacent_difference_implIS3_Lb1ELb0EPlSB_ZN2at6native12_GLOBAL__N_124unique_dim_cuda_templateIaEESt5tupleIJNSC_6TensorESH_SH_EERKSH_lbbbEUlllE1_EE10hipError_tPvRmT2_T3_mT4_P12ihipStream_tbEUlmE_lEESB_NS0_8identityIvEEEESM_SP_SQ_mSR_ST_bEUlT_E_NS1_11comp_targetILNS1_3genE10ELNS1_11target_archE1200ELNS1_3gpuE4ELNS1_3repE0EEENS1_30default_config_static_selectorELNS0_4arch9wavefront6targetE0EEEvT1_
    .private_segment_fixed_size: 0
    .sgpr_count:     0
    .sgpr_spill_count: 0
    .symbol:         _ZN7rocprim17ROCPRIM_400000_NS6detail17trampoline_kernelINS0_14default_configENS1_25transform_config_selectorIlLb0EEEZNS1_14transform_implILb0ES3_S5_NS0_18transform_iteratorINS0_17counting_iteratorImlEEZNS1_24adjacent_difference_implIS3_Lb1ELb0EPlSB_ZN2at6native12_GLOBAL__N_124unique_dim_cuda_templateIaEESt5tupleIJNSC_6TensorESH_SH_EERKSH_lbbbEUlllE1_EE10hipError_tPvRmT2_T3_mT4_P12ihipStream_tbEUlmE_lEESB_NS0_8identityIvEEEESM_SP_SQ_mSR_ST_bEUlT_E_NS1_11comp_targetILNS1_3genE10ELNS1_11target_archE1200ELNS1_3gpuE4ELNS1_3repE0EEENS1_30default_config_static_selectorELNS0_4arch9wavefront6targetE0EEEvT1_.kd
    .uniform_work_group_size: 1
    .uses_dynamic_stack: false
    .vgpr_count:     0
    .vgpr_spill_count: 0
    .wavefront_size: 32
  - .args:
      - .offset:         0
        .size:           56
        .value_kind:     by_value
    .group_segment_fixed_size: 0
    .kernarg_segment_align: 8
    .kernarg_segment_size: 56
    .language:       OpenCL C
    .language_version:
      - 2
      - 0
    .max_flat_workgroup_size: 512
    .name:           _ZN7rocprim17ROCPRIM_400000_NS6detail17trampoline_kernelINS0_14default_configENS1_25transform_config_selectorIlLb0EEEZNS1_14transform_implILb0ES3_S5_NS0_18transform_iteratorINS0_17counting_iteratorImlEEZNS1_24adjacent_difference_implIS3_Lb1ELb0EPlSB_ZN2at6native12_GLOBAL__N_124unique_dim_cuda_templateIaEESt5tupleIJNSC_6TensorESH_SH_EERKSH_lbbbEUlllE1_EE10hipError_tPvRmT2_T3_mT4_P12ihipStream_tbEUlmE_lEESB_NS0_8identityIvEEEESM_SP_SQ_mSR_ST_bEUlT_E_NS1_11comp_targetILNS1_3genE9ELNS1_11target_archE1100ELNS1_3gpuE3ELNS1_3repE0EEENS1_30default_config_static_selectorELNS0_4arch9wavefront6targetE0EEEvT1_
    .private_segment_fixed_size: 0
    .sgpr_count:     0
    .sgpr_spill_count: 0
    .symbol:         _ZN7rocprim17ROCPRIM_400000_NS6detail17trampoline_kernelINS0_14default_configENS1_25transform_config_selectorIlLb0EEEZNS1_14transform_implILb0ES3_S5_NS0_18transform_iteratorINS0_17counting_iteratorImlEEZNS1_24adjacent_difference_implIS3_Lb1ELb0EPlSB_ZN2at6native12_GLOBAL__N_124unique_dim_cuda_templateIaEESt5tupleIJNSC_6TensorESH_SH_EERKSH_lbbbEUlllE1_EE10hipError_tPvRmT2_T3_mT4_P12ihipStream_tbEUlmE_lEESB_NS0_8identityIvEEEESM_SP_SQ_mSR_ST_bEUlT_E_NS1_11comp_targetILNS1_3genE9ELNS1_11target_archE1100ELNS1_3gpuE3ELNS1_3repE0EEENS1_30default_config_static_selectorELNS0_4arch9wavefront6targetE0EEEvT1_.kd
    .uniform_work_group_size: 1
    .uses_dynamic_stack: false
    .vgpr_count:     0
    .vgpr_spill_count: 0
    .wavefront_size: 32
  - .args:
      - .offset:         0
        .size:           56
        .value_kind:     by_value
    .group_segment_fixed_size: 0
    .kernarg_segment_align: 8
    .kernarg_segment_size: 56
    .language:       OpenCL C
    .language_version:
      - 2
      - 0
    .max_flat_workgroup_size: 512
    .name:           _ZN7rocprim17ROCPRIM_400000_NS6detail17trampoline_kernelINS0_14default_configENS1_25transform_config_selectorIlLb0EEEZNS1_14transform_implILb0ES3_S5_NS0_18transform_iteratorINS0_17counting_iteratorImlEEZNS1_24adjacent_difference_implIS3_Lb1ELb0EPlSB_ZN2at6native12_GLOBAL__N_124unique_dim_cuda_templateIaEESt5tupleIJNSC_6TensorESH_SH_EERKSH_lbbbEUlllE1_EE10hipError_tPvRmT2_T3_mT4_P12ihipStream_tbEUlmE_lEESB_NS0_8identityIvEEEESM_SP_SQ_mSR_ST_bEUlT_E_NS1_11comp_targetILNS1_3genE8ELNS1_11target_archE1030ELNS1_3gpuE2ELNS1_3repE0EEENS1_30default_config_static_selectorELNS0_4arch9wavefront6targetE0EEEvT1_
    .private_segment_fixed_size: 0
    .sgpr_count:     0
    .sgpr_spill_count: 0
    .symbol:         _ZN7rocprim17ROCPRIM_400000_NS6detail17trampoline_kernelINS0_14default_configENS1_25transform_config_selectorIlLb0EEEZNS1_14transform_implILb0ES3_S5_NS0_18transform_iteratorINS0_17counting_iteratorImlEEZNS1_24adjacent_difference_implIS3_Lb1ELb0EPlSB_ZN2at6native12_GLOBAL__N_124unique_dim_cuda_templateIaEESt5tupleIJNSC_6TensorESH_SH_EERKSH_lbbbEUlllE1_EE10hipError_tPvRmT2_T3_mT4_P12ihipStream_tbEUlmE_lEESB_NS0_8identityIvEEEESM_SP_SQ_mSR_ST_bEUlT_E_NS1_11comp_targetILNS1_3genE8ELNS1_11target_archE1030ELNS1_3gpuE2ELNS1_3repE0EEENS1_30default_config_static_selectorELNS0_4arch9wavefront6targetE0EEEvT1_.kd
    .uniform_work_group_size: 1
    .uses_dynamic_stack: false
    .vgpr_count:     0
    .vgpr_spill_count: 0
    .wavefront_size: 32
  - .args:
      - .offset:         0
        .size:           64
        .value_kind:     by_value
    .group_segment_fixed_size: 8448
    .kernarg_segment_align: 8
    .kernarg_segment_size: 64
    .language:       OpenCL C
    .language_version:
      - 2
      - 0
    .max_flat_workgroup_size: 512
    .name:           _ZN7rocprim17ROCPRIM_400000_NS6detail17trampoline_kernelINS0_14default_configENS1_35adjacent_difference_config_selectorILb1ElEEZNS1_24adjacent_difference_implIS3_Lb1ELb0EPlS7_ZN2at6native12_GLOBAL__N_124unique_dim_cuda_templateIaEESt5tupleIJNS8_6TensorESD_SD_EERKSD_lbbbEUlllE1_EE10hipError_tPvRmT2_T3_mT4_P12ihipStream_tbEUlT_E_NS1_11comp_targetILNS1_3genE0ELNS1_11target_archE4294967295ELNS1_3gpuE0ELNS1_3repE0EEENS1_30default_config_static_selectorELNS0_4arch9wavefront6targetE0EEEvT1_
    .private_segment_fixed_size: 0
    .sgpr_count:     31
    .sgpr_spill_count: 0
    .symbol:         _ZN7rocprim17ROCPRIM_400000_NS6detail17trampoline_kernelINS0_14default_configENS1_35adjacent_difference_config_selectorILb1ElEEZNS1_24adjacent_difference_implIS3_Lb1ELb0EPlS7_ZN2at6native12_GLOBAL__N_124unique_dim_cuda_templateIaEESt5tupleIJNS8_6TensorESD_SD_EERKSD_lbbbEUlllE1_EE10hipError_tPvRmT2_T3_mT4_P12ihipStream_tbEUlT_E_NS1_11comp_targetILNS1_3genE0ELNS1_11target_archE4294967295ELNS1_3gpuE0ELNS1_3repE0EEENS1_30default_config_static_selectorELNS0_4arch9wavefront6targetE0EEEvT1_.kd
    .uniform_work_group_size: 1
    .uses_dynamic_stack: false
    .vgpr_count:     16
    .vgpr_spill_count: 0
    .wavefront_size: 32
  - .args:
      - .offset:         0
        .size:           64
        .value_kind:     by_value
    .group_segment_fixed_size: 0
    .kernarg_segment_align: 8
    .kernarg_segment_size: 64
    .language:       OpenCL C
    .language_version:
      - 2
      - 0
    .max_flat_workgroup_size: 32
    .name:           _ZN7rocprim17ROCPRIM_400000_NS6detail17trampoline_kernelINS0_14default_configENS1_35adjacent_difference_config_selectorILb1ElEEZNS1_24adjacent_difference_implIS3_Lb1ELb0EPlS7_ZN2at6native12_GLOBAL__N_124unique_dim_cuda_templateIaEESt5tupleIJNS8_6TensorESD_SD_EERKSD_lbbbEUlllE1_EE10hipError_tPvRmT2_T3_mT4_P12ihipStream_tbEUlT_E_NS1_11comp_targetILNS1_3genE10ELNS1_11target_archE1201ELNS1_3gpuE5ELNS1_3repE0EEENS1_30default_config_static_selectorELNS0_4arch9wavefront6targetE0EEEvT1_
    .private_segment_fixed_size: 0
    .sgpr_count:     0
    .sgpr_spill_count: 0
    .symbol:         _ZN7rocprim17ROCPRIM_400000_NS6detail17trampoline_kernelINS0_14default_configENS1_35adjacent_difference_config_selectorILb1ElEEZNS1_24adjacent_difference_implIS3_Lb1ELb0EPlS7_ZN2at6native12_GLOBAL__N_124unique_dim_cuda_templateIaEESt5tupleIJNS8_6TensorESD_SD_EERKSD_lbbbEUlllE1_EE10hipError_tPvRmT2_T3_mT4_P12ihipStream_tbEUlT_E_NS1_11comp_targetILNS1_3genE10ELNS1_11target_archE1201ELNS1_3gpuE5ELNS1_3repE0EEENS1_30default_config_static_selectorELNS0_4arch9wavefront6targetE0EEEvT1_.kd
    .uniform_work_group_size: 1
    .uses_dynamic_stack: false
    .vgpr_count:     0
    .vgpr_spill_count: 0
    .wavefront_size: 32
  - .args:
      - .offset:         0
        .size:           64
        .value_kind:     by_value
    .group_segment_fixed_size: 0
    .kernarg_segment_align: 8
    .kernarg_segment_size: 64
    .language:       OpenCL C
    .language_version:
      - 2
      - 0
    .max_flat_workgroup_size: 256
    .name:           _ZN7rocprim17ROCPRIM_400000_NS6detail17trampoline_kernelINS0_14default_configENS1_35adjacent_difference_config_selectorILb1ElEEZNS1_24adjacent_difference_implIS3_Lb1ELb0EPlS7_ZN2at6native12_GLOBAL__N_124unique_dim_cuda_templateIaEESt5tupleIJNS8_6TensorESD_SD_EERKSD_lbbbEUlllE1_EE10hipError_tPvRmT2_T3_mT4_P12ihipStream_tbEUlT_E_NS1_11comp_targetILNS1_3genE5ELNS1_11target_archE942ELNS1_3gpuE9ELNS1_3repE0EEENS1_30default_config_static_selectorELNS0_4arch9wavefront6targetE0EEEvT1_
    .private_segment_fixed_size: 0
    .sgpr_count:     0
    .sgpr_spill_count: 0
    .symbol:         _ZN7rocprim17ROCPRIM_400000_NS6detail17trampoline_kernelINS0_14default_configENS1_35adjacent_difference_config_selectorILb1ElEEZNS1_24adjacent_difference_implIS3_Lb1ELb0EPlS7_ZN2at6native12_GLOBAL__N_124unique_dim_cuda_templateIaEESt5tupleIJNS8_6TensorESD_SD_EERKSD_lbbbEUlllE1_EE10hipError_tPvRmT2_T3_mT4_P12ihipStream_tbEUlT_E_NS1_11comp_targetILNS1_3genE5ELNS1_11target_archE942ELNS1_3gpuE9ELNS1_3repE0EEENS1_30default_config_static_selectorELNS0_4arch9wavefront6targetE0EEEvT1_.kd
    .uniform_work_group_size: 1
    .uses_dynamic_stack: false
    .vgpr_count:     0
    .vgpr_spill_count: 0
    .wavefront_size: 32
  - .args:
      - .offset:         0
        .size:           64
        .value_kind:     by_value
    .group_segment_fixed_size: 0
    .kernarg_segment_align: 8
    .kernarg_segment_size: 64
    .language:       OpenCL C
    .language_version:
      - 2
      - 0
    .max_flat_workgroup_size: 512
    .name:           _ZN7rocprim17ROCPRIM_400000_NS6detail17trampoline_kernelINS0_14default_configENS1_35adjacent_difference_config_selectorILb1ElEEZNS1_24adjacent_difference_implIS3_Lb1ELb0EPlS7_ZN2at6native12_GLOBAL__N_124unique_dim_cuda_templateIaEESt5tupleIJNS8_6TensorESD_SD_EERKSD_lbbbEUlllE1_EE10hipError_tPvRmT2_T3_mT4_P12ihipStream_tbEUlT_E_NS1_11comp_targetILNS1_3genE4ELNS1_11target_archE910ELNS1_3gpuE8ELNS1_3repE0EEENS1_30default_config_static_selectorELNS0_4arch9wavefront6targetE0EEEvT1_
    .private_segment_fixed_size: 0
    .sgpr_count:     0
    .sgpr_spill_count: 0
    .symbol:         _ZN7rocprim17ROCPRIM_400000_NS6detail17trampoline_kernelINS0_14default_configENS1_35adjacent_difference_config_selectorILb1ElEEZNS1_24adjacent_difference_implIS3_Lb1ELb0EPlS7_ZN2at6native12_GLOBAL__N_124unique_dim_cuda_templateIaEESt5tupleIJNS8_6TensorESD_SD_EERKSD_lbbbEUlllE1_EE10hipError_tPvRmT2_T3_mT4_P12ihipStream_tbEUlT_E_NS1_11comp_targetILNS1_3genE4ELNS1_11target_archE910ELNS1_3gpuE8ELNS1_3repE0EEENS1_30default_config_static_selectorELNS0_4arch9wavefront6targetE0EEEvT1_.kd
    .uniform_work_group_size: 1
    .uses_dynamic_stack: false
    .vgpr_count:     0
    .vgpr_spill_count: 0
    .wavefront_size: 32
  - .args:
      - .offset:         0
        .size:           64
        .value_kind:     by_value
    .group_segment_fixed_size: 0
    .kernarg_segment_align: 8
    .kernarg_segment_size: 64
    .language:       OpenCL C
    .language_version:
      - 2
      - 0
    .max_flat_workgroup_size: 512
    .name:           _ZN7rocprim17ROCPRIM_400000_NS6detail17trampoline_kernelINS0_14default_configENS1_35adjacent_difference_config_selectorILb1ElEEZNS1_24adjacent_difference_implIS3_Lb1ELb0EPlS7_ZN2at6native12_GLOBAL__N_124unique_dim_cuda_templateIaEESt5tupleIJNS8_6TensorESD_SD_EERKSD_lbbbEUlllE1_EE10hipError_tPvRmT2_T3_mT4_P12ihipStream_tbEUlT_E_NS1_11comp_targetILNS1_3genE3ELNS1_11target_archE908ELNS1_3gpuE7ELNS1_3repE0EEENS1_30default_config_static_selectorELNS0_4arch9wavefront6targetE0EEEvT1_
    .private_segment_fixed_size: 0
    .sgpr_count:     0
    .sgpr_spill_count: 0
    .symbol:         _ZN7rocprim17ROCPRIM_400000_NS6detail17trampoline_kernelINS0_14default_configENS1_35adjacent_difference_config_selectorILb1ElEEZNS1_24adjacent_difference_implIS3_Lb1ELb0EPlS7_ZN2at6native12_GLOBAL__N_124unique_dim_cuda_templateIaEESt5tupleIJNS8_6TensorESD_SD_EERKSD_lbbbEUlllE1_EE10hipError_tPvRmT2_T3_mT4_P12ihipStream_tbEUlT_E_NS1_11comp_targetILNS1_3genE3ELNS1_11target_archE908ELNS1_3gpuE7ELNS1_3repE0EEENS1_30default_config_static_selectorELNS0_4arch9wavefront6targetE0EEEvT1_.kd
    .uniform_work_group_size: 1
    .uses_dynamic_stack: false
    .vgpr_count:     0
    .vgpr_spill_count: 0
    .wavefront_size: 32
  - .args:
      - .offset:         0
        .size:           64
        .value_kind:     by_value
    .group_segment_fixed_size: 0
    .kernarg_segment_align: 8
    .kernarg_segment_size: 64
    .language:       OpenCL C
    .language_version:
      - 2
      - 0
    .max_flat_workgroup_size: 128
    .name:           _ZN7rocprim17ROCPRIM_400000_NS6detail17trampoline_kernelINS0_14default_configENS1_35adjacent_difference_config_selectorILb1ElEEZNS1_24adjacent_difference_implIS3_Lb1ELb0EPlS7_ZN2at6native12_GLOBAL__N_124unique_dim_cuda_templateIaEESt5tupleIJNS8_6TensorESD_SD_EERKSD_lbbbEUlllE1_EE10hipError_tPvRmT2_T3_mT4_P12ihipStream_tbEUlT_E_NS1_11comp_targetILNS1_3genE2ELNS1_11target_archE906ELNS1_3gpuE6ELNS1_3repE0EEENS1_30default_config_static_selectorELNS0_4arch9wavefront6targetE0EEEvT1_
    .private_segment_fixed_size: 0
    .sgpr_count:     0
    .sgpr_spill_count: 0
    .symbol:         _ZN7rocprim17ROCPRIM_400000_NS6detail17trampoline_kernelINS0_14default_configENS1_35adjacent_difference_config_selectorILb1ElEEZNS1_24adjacent_difference_implIS3_Lb1ELb0EPlS7_ZN2at6native12_GLOBAL__N_124unique_dim_cuda_templateIaEESt5tupleIJNS8_6TensorESD_SD_EERKSD_lbbbEUlllE1_EE10hipError_tPvRmT2_T3_mT4_P12ihipStream_tbEUlT_E_NS1_11comp_targetILNS1_3genE2ELNS1_11target_archE906ELNS1_3gpuE6ELNS1_3repE0EEENS1_30default_config_static_selectorELNS0_4arch9wavefront6targetE0EEEvT1_.kd
    .uniform_work_group_size: 1
    .uses_dynamic_stack: false
    .vgpr_count:     0
    .vgpr_spill_count: 0
    .wavefront_size: 32
  - .args:
      - .offset:         0
        .size:           64
        .value_kind:     by_value
    .group_segment_fixed_size: 0
    .kernarg_segment_align: 8
    .kernarg_segment_size: 64
    .language:       OpenCL C
    .language_version:
      - 2
      - 0
    .max_flat_workgroup_size: 128
    .name:           _ZN7rocprim17ROCPRIM_400000_NS6detail17trampoline_kernelINS0_14default_configENS1_35adjacent_difference_config_selectorILb1ElEEZNS1_24adjacent_difference_implIS3_Lb1ELb0EPlS7_ZN2at6native12_GLOBAL__N_124unique_dim_cuda_templateIaEESt5tupleIJNS8_6TensorESD_SD_EERKSD_lbbbEUlllE1_EE10hipError_tPvRmT2_T3_mT4_P12ihipStream_tbEUlT_E_NS1_11comp_targetILNS1_3genE9ELNS1_11target_archE1100ELNS1_3gpuE3ELNS1_3repE0EEENS1_30default_config_static_selectorELNS0_4arch9wavefront6targetE0EEEvT1_
    .private_segment_fixed_size: 0
    .sgpr_count:     0
    .sgpr_spill_count: 0
    .symbol:         _ZN7rocprim17ROCPRIM_400000_NS6detail17trampoline_kernelINS0_14default_configENS1_35adjacent_difference_config_selectorILb1ElEEZNS1_24adjacent_difference_implIS3_Lb1ELb0EPlS7_ZN2at6native12_GLOBAL__N_124unique_dim_cuda_templateIaEESt5tupleIJNS8_6TensorESD_SD_EERKSD_lbbbEUlllE1_EE10hipError_tPvRmT2_T3_mT4_P12ihipStream_tbEUlT_E_NS1_11comp_targetILNS1_3genE9ELNS1_11target_archE1100ELNS1_3gpuE3ELNS1_3repE0EEENS1_30default_config_static_selectorELNS0_4arch9wavefront6targetE0EEEvT1_.kd
    .uniform_work_group_size: 1
    .uses_dynamic_stack: false
    .vgpr_count:     0
    .vgpr_spill_count: 0
    .wavefront_size: 32
  - .args:
      - .offset:         0
        .size:           64
        .value_kind:     by_value
    .group_segment_fixed_size: 0
    .kernarg_segment_align: 8
    .kernarg_segment_size: 64
    .language:       OpenCL C
    .language_version:
      - 2
      - 0
    .max_flat_workgroup_size: 32
    .name:           _ZN7rocprim17ROCPRIM_400000_NS6detail17trampoline_kernelINS0_14default_configENS1_35adjacent_difference_config_selectorILb1ElEEZNS1_24adjacent_difference_implIS3_Lb1ELb0EPlS7_ZN2at6native12_GLOBAL__N_124unique_dim_cuda_templateIaEESt5tupleIJNS8_6TensorESD_SD_EERKSD_lbbbEUlllE1_EE10hipError_tPvRmT2_T3_mT4_P12ihipStream_tbEUlT_E_NS1_11comp_targetILNS1_3genE8ELNS1_11target_archE1030ELNS1_3gpuE2ELNS1_3repE0EEENS1_30default_config_static_selectorELNS0_4arch9wavefront6targetE0EEEvT1_
    .private_segment_fixed_size: 0
    .sgpr_count:     0
    .sgpr_spill_count: 0
    .symbol:         _ZN7rocprim17ROCPRIM_400000_NS6detail17trampoline_kernelINS0_14default_configENS1_35adjacent_difference_config_selectorILb1ElEEZNS1_24adjacent_difference_implIS3_Lb1ELb0EPlS7_ZN2at6native12_GLOBAL__N_124unique_dim_cuda_templateIaEESt5tupleIJNS8_6TensorESD_SD_EERKSD_lbbbEUlllE1_EE10hipError_tPvRmT2_T3_mT4_P12ihipStream_tbEUlT_E_NS1_11comp_targetILNS1_3genE8ELNS1_11target_archE1030ELNS1_3gpuE2ELNS1_3repE0EEENS1_30default_config_static_selectorELNS0_4arch9wavefront6targetE0EEEvT1_.kd
    .uniform_work_group_size: 1
    .uses_dynamic_stack: false
    .vgpr_count:     0
    .vgpr_spill_count: 0
    .wavefront_size: 32
  - .args:
      - .offset:         0
        .size:           120
        .value_kind:     by_value
    .group_segment_fixed_size: 28680
    .kernarg_segment_align: 8
    .kernarg_segment_size: 120
    .language:       OpenCL C
    .language_version:
      - 2
      - 0
    .max_flat_workgroup_size: 512
    .name:           _ZN7rocprim17ROCPRIM_400000_NS6detail17trampoline_kernelINS0_14default_configENS1_25partition_config_selectorILNS1_17partition_subalgoE8ElNS0_10empty_typeEbEEZZNS1_14partition_implILS5_8ELb0ES3_jPlPS6_PKS6_NS0_5tupleIJS9_S6_EEENSD_IJSA_SA_EEENS0_18inequality_wrapperIZN2at6native12_GLOBAL__N_124unique_dim_cuda_templateIaEESt5tupleIJNSH_6TensorESM_SM_EERKSM_lbbbEUlllE0_EEPmJS6_EEE10hipError_tPvRmT3_T4_T5_T6_T7_T9_mT8_P12ihipStream_tbDpT10_ENKUlT_T0_E_clISt17integral_constantIbLb0EES1C_EEDaS17_S18_EUlS17_E_NS1_11comp_targetILNS1_3genE0ELNS1_11target_archE4294967295ELNS1_3gpuE0ELNS1_3repE0EEENS1_30default_config_static_selectorELNS0_4arch9wavefront6targetE0EEEvT1_
    .private_segment_fixed_size: 0
    .sgpr_count:     38
    .sgpr_spill_count: 0
    .symbol:         _ZN7rocprim17ROCPRIM_400000_NS6detail17trampoline_kernelINS0_14default_configENS1_25partition_config_selectorILNS1_17partition_subalgoE8ElNS0_10empty_typeEbEEZZNS1_14partition_implILS5_8ELb0ES3_jPlPS6_PKS6_NS0_5tupleIJS9_S6_EEENSD_IJSA_SA_EEENS0_18inequality_wrapperIZN2at6native12_GLOBAL__N_124unique_dim_cuda_templateIaEESt5tupleIJNSH_6TensorESM_SM_EERKSM_lbbbEUlllE0_EEPmJS6_EEE10hipError_tPvRmT3_T4_T5_T6_T7_T9_mT8_P12ihipStream_tbDpT10_ENKUlT_T0_E_clISt17integral_constantIbLb0EES1C_EEDaS17_S18_EUlS17_E_NS1_11comp_targetILNS1_3genE0ELNS1_11target_archE4294967295ELNS1_3gpuE0ELNS1_3repE0EEENS1_30default_config_static_selectorELNS0_4arch9wavefront6targetE0EEEvT1_.kd
    .uniform_work_group_size: 1
    .uses_dynamic_stack: false
    .vgpr_count:     54
    .vgpr_spill_count: 0
    .wavefront_size: 32
  - .args:
      - .offset:         0
        .size:           120
        .value_kind:     by_value
    .group_segment_fixed_size: 0
    .kernarg_segment_align: 8
    .kernarg_segment_size: 120
    .language:       OpenCL C
    .language_version:
      - 2
      - 0
    .max_flat_workgroup_size: 512
    .name:           _ZN7rocprim17ROCPRIM_400000_NS6detail17trampoline_kernelINS0_14default_configENS1_25partition_config_selectorILNS1_17partition_subalgoE8ElNS0_10empty_typeEbEEZZNS1_14partition_implILS5_8ELb0ES3_jPlPS6_PKS6_NS0_5tupleIJS9_S6_EEENSD_IJSA_SA_EEENS0_18inequality_wrapperIZN2at6native12_GLOBAL__N_124unique_dim_cuda_templateIaEESt5tupleIJNSH_6TensorESM_SM_EERKSM_lbbbEUlllE0_EEPmJS6_EEE10hipError_tPvRmT3_T4_T5_T6_T7_T9_mT8_P12ihipStream_tbDpT10_ENKUlT_T0_E_clISt17integral_constantIbLb0EES1C_EEDaS17_S18_EUlS17_E_NS1_11comp_targetILNS1_3genE5ELNS1_11target_archE942ELNS1_3gpuE9ELNS1_3repE0EEENS1_30default_config_static_selectorELNS0_4arch9wavefront6targetE0EEEvT1_
    .private_segment_fixed_size: 0
    .sgpr_count:     0
    .sgpr_spill_count: 0
    .symbol:         _ZN7rocprim17ROCPRIM_400000_NS6detail17trampoline_kernelINS0_14default_configENS1_25partition_config_selectorILNS1_17partition_subalgoE8ElNS0_10empty_typeEbEEZZNS1_14partition_implILS5_8ELb0ES3_jPlPS6_PKS6_NS0_5tupleIJS9_S6_EEENSD_IJSA_SA_EEENS0_18inequality_wrapperIZN2at6native12_GLOBAL__N_124unique_dim_cuda_templateIaEESt5tupleIJNSH_6TensorESM_SM_EERKSM_lbbbEUlllE0_EEPmJS6_EEE10hipError_tPvRmT3_T4_T5_T6_T7_T9_mT8_P12ihipStream_tbDpT10_ENKUlT_T0_E_clISt17integral_constantIbLb0EES1C_EEDaS17_S18_EUlS17_E_NS1_11comp_targetILNS1_3genE5ELNS1_11target_archE942ELNS1_3gpuE9ELNS1_3repE0EEENS1_30default_config_static_selectorELNS0_4arch9wavefront6targetE0EEEvT1_.kd
    .uniform_work_group_size: 1
    .uses_dynamic_stack: false
    .vgpr_count:     0
    .vgpr_spill_count: 0
    .wavefront_size: 32
  - .args:
      - .offset:         0
        .size:           120
        .value_kind:     by_value
    .group_segment_fixed_size: 0
    .kernarg_segment_align: 8
    .kernarg_segment_size: 120
    .language:       OpenCL C
    .language_version:
      - 2
      - 0
    .max_flat_workgroup_size: 256
    .name:           _ZN7rocprim17ROCPRIM_400000_NS6detail17trampoline_kernelINS0_14default_configENS1_25partition_config_selectorILNS1_17partition_subalgoE8ElNS0_10empty_typeEbEEZZNS1_14partition_implILS5_8ELb0ES3_jPlPS6_PKS6_NS0_5tupleIJS9_S6_EEENSD_IJSA_SA_EEENS0_18inequality_wrapperIZN2at6native12_GLOBAL__N_124unique_dim_cuda_templateIaEESt5tupleIJNSH_6TensorESM_SM_EERKSM_lbbbEUlllE0_EEPmJS6_EEE10hipError_tPvRmT3_T4_T5_T6_T7_T9_mT8_P12ihipStream_tbDpT10_ENKUlT_T0_E_clISt17integral_constantIbLb0EES1C_EEDaS17_S18_EUlS17_E_NS1_11comp_targetILNS1_3genE4ELNS1_11target_archE910ELNS1_3gpuE8ELNS1_3repE0EEENS1_30default_config_static_selectorELNS0_4arch9wavefront6targetE0EEEvT1_
    .private_segment_fixed_size: 0
    .sgpr_count:     0
    .sgpr_spill_count: 0
    .symbol:         _ZN7rocprim17ROCPRIM_400000_NS6detail17trampoline_kernelINS0_14default_configENS1_25partition_config_selectorILNS1_17partition_subalgoE8ElNS0_10empty_typeEbEEZZNS1_14partition_implILS5_8ELb0ES3_jPlPS6_PKS6_NS0_5tupleIJS9_S6_EEENSD_IJSA_SA_EEENS0_18inequality_wrapperIZN2at6native12_GLOBAL__N_124unique_dim_cuda_templateIaEESt5tupleIJNSH_6TensorESM_SM_EERKSM_lbbbEUlllE0_EEPmJS6_EEE10hipError_tPvRmT3_T4_T5_T6_T7_T9_mT8_P12ihipStream_tbDpT10_ENKUlT_T0_E_clISt17integral_constantIbLb0EES1C_EEDaS17_S18_EUlS17_E_NS1_11comp_targetILNS1_3genE4ELNS1_11target_archE910ELNS1_3gpuE8ELNS1_3repE0EEENS1_30default_config_static_selectorELNS0_4arch9wavefront6targetE0EEEvT1_.kd
    .uniform_work_group_size: 1
    .uses_dynamic_stack: false
    .vgpr_count:     0
    .vgpr_spill_count: 0
    .wavefront_size: 32
  - .args:
      - .offset:         0
        .size:           120
        .value_kind:     by_value
    .group_segment_fixed_size: 0
    .kernarg_segment_align: 8
    .kernarg_segment_size: 120
    .language:       OpenCL C
    .language_version:
      - 2
      - 0
    .max_flat_workgroup_size: 512
    .name:           _ZN7rocprim17ROCPRIM_400000_NS6detail17trampoline_kernelINS0_14default_configENS1_25partition_config_selectorILNS1_17partition_subalgoE8ElNS0_10empty_typeEbEEZZNS1_14partition_implILS5_8ELb0ES3_jPlPS6_PKS6_NS0_5tupleIJS9_S6_EEENSD_IJSA_SA_EEENS0_18inequality_wrapperIZN2at6native12_GLOBAL__N_124unique_dim_cuda_templateIaEESt5tupleIJNSH_6TensorESM_SM_EERKSM_lbbbEUlllE0_EEPmJS6_EEE10hipError_tPvRmT3_T4_T5_T6_T7_T9_mT8_P12ihipStream_tbDpT10_ENKUlT_T0_E_clISt17integral_constantIbLb0EES1C_EEDaS17_S18_EUlS17_E_NS1_11comp_targetILNS1_3genE3ELNS1_11target_archE908ELNS1_3gpuE7ELNS1_3repE0EEENS1_30default_config_static_selectorELNS0_4arch9wavefront6targetE0EEEvT1_
    .private_segment_fixed_size: 0
    .sgpr_count:     0
    .sgpr_spill_count: 0
    .symbol:         _ZN7rocprim17ROCPRIM_400000_NS6detail17trampoline_kernelINS0_14default_configENS1_25partition_config_selectorILNS1_17partition_subalgoE8ElNS0_10empty_typeEbEEZZNS1_14partition_implILS5_8ELb0ES3_jPlPS6_PKS6_NS0_5tupleIJS9_S6_EEENSD_IJSA_SA_EEENS0_18inequality_wrapperIZN2at6native12_GLOBAL__N_124unique_dim_cuda_templateIaEESt5tupleIJNSH_6TensorESM_SM_EERKSM_lbbbEUlllE0_EEPmJS6_EEE10hipError_tPvRmT3_T4_T5_T6_T7_T9_mT8_P12ihipStream_tbDpT10_ENKUlT_T0_E_clISt17integral_constantIbLb0EES1C_EEDaS17_S18_EUlS17_E_NS1_11comp_targetILNS1_3genE3ELNS1_11target_archE908ELNS1_3gpuE7ELNS1_3repE0EEENS1_30default_config_static_selectorELNS0_4arch9wavefront6targetE0EEEvT1_.kd
    .uniform_work_group_size: 1
    .uses_dynamic_stack: false
    .vgpr_count:     0
    .vgpr_spill_count: 0
    .wavefront_size: 32
  - .args:
      - .offset:         0
        .size:           120
        .value_kind:     by_value
    .group_segment_fixed_size: 0
    .kernarg_segment_align: 8
    .kernarg_segment_size: 120
    .language:       OpenCL C
    .language_version:
      - 2
      - 0
    .max_flat_workgroup_size: 256
    .name:           _ZN7rocprim17ROCPRIM_400000_NS6detail17trampoline_kernelINS0_14default_configENS1_25partition_config_selectorILNS1_17partition_subalgoE8ElNS0_10empty_typeEbEEZZNS1_14partition_implILS5_8ELb0ES3_jPlPS6_PKS6_NS0_5tupleIJS9_S6_EEENSD_IJSA_SA_EEENS0_18inequality_wrapperIZN2at6native12_GLOBAL__N_124unique_dim_cuda_templateIaEESt5tupleIJNSH_6TensorESM_SM_EERKSM_lbbbEUlllE0_EEPmJS6_EEE10hipError_tPvRmT3_T4_T5_T6_T7_T9_mT8_P12ihipStream_tbDpT10_ENKUlT_T0_E_clISt17integral_constantIbLb0EES1C_EEDaS17_S18_EUlS17_E_NS1_11comp_targetILNS1_3genE2ELNS1_11target_archE906ELNS1_3gpuE6ELNS1_3repE0EEENS1_30default_config_static_selectorELNS0_4arch9wavefront6targetE0EEEvT1_
    .private_segment_fixed_size: 0
    .sgpr_count:     0
    .sgpr_spill_count: 0
    .symbol:         _ZN7rocprim17ROCPRIM_400000_NS6detail17trampoline_kernelINS0_14default_configENS1_25partition_config_selectorILNS1_17partition_subalgoE8ElNS0_10empty_typeEbEEZZNS1_14partition_implILS5_8ELb0ES3_jPlPS6_PKS6_NS0_5tupleIJS9_S6_EEENSD_IJSA_SA_EEENS0_18inequality_wrapperIZN2at6native12_GLOBAL__N_124unique_dim_cuda_templateIaEESt5tupleIJNSH_6TensorESM_SM_EERKSM_lbbbEUlllE0_EEPmJS6_EEE10hipError_tPvRmT3_T4_T5_T6_T7_T9_mT8_P12ihipStream_tbDpT10_ENKUlT_T0_E_clISt17integral_constantIbLb0EES1C_EEDaS17_S18_EUlS17_E_NS1_11comp_targetILNS1_3genE2ELNS1_11target_archE906ELNS1_3gpuE6ELNS1_3repE0EEENS1_30default_config_static_selectorELNS0_4arch9wavefront6targetE0EEEvT1_.kd
    .uniform_work_group_size: 1
    .uses_dynamic_stack: false
    .vgpr_count:     0
    .vgpr_spill_count: 0
    .wavefront_size: 32
  - .args:
      - .offset:         0
        .size:           120
        .value_kind:     by_value
    .group_segment_fixed_size: 0
    .kernarg_segment_align: 8
    .kernarg_segment_size: 120
    .language:       OpenCL C
    .language_version:
      - 2
      - 0
    .max_flat_workgroup_size: 384
    .name:           _ZN7rocprim17ROCPRIM_400000_NS6detail17trampoline_kernelINS0_14default_configENS1_25partition_config_selectorILNS1_17partition_subalgoE8ElNS0_10empty_typeEbEEZZNS1_14partition_implILS5_8ELb0ES3_jPlPS6_PKS6_NS0_5tupleIJS9_S6_EEENSD_IJSA_SA_EEENS0_18inequality_wrapperIZN2at6native12_GLOBAL__N_124unique_dim_cuda_templateIaEESt5tupleIJNSH_6TensorESM_SM_EERKSM_lbbbEUlllE0_EEPmJS6_EEE10hipError_tPvRmT3_T4_T5_T6_T7_T9_mT8_P12ihipStream_tbDpT10_ENKUlT_T0_E_clISt17integral_constantIbLb0EES1C_EEDaS17_S18_EUlS17_E_NS1_11comp_targetILNS1_3genE10ELNS1_11target_archE1200ELNS1_3gpuE4ELNS1_3repE0EEENS1_30default_config_static_selectorELNS0_4arch9wavefront6targetE0EEEvT1_
    .private_segment_fixed_size: 0
    .sgpr_count:     0
    .sgpr_spill_count: 0
    .symbol:         _ZN7rocprim17ROCPRIM_400000_NS6detail17trampoline_kernelINS0_14default_configENS1_25partition_config_selectorILNS1_17partition_subalgoE8ElNS0_10empty_typeEbEEZZNS1_14partition_implILS5_8ELb0ES3_jPlPS6_PKS6_NS0_5tupleIJS9_S6_EEENSD_IJSA_SA_EEENS0_18inequality_wrapperIZN2at6native12_GLOBAL__N_124unique_dim_cuda_templateIaEESt5tupleIJNSH_6TensorESM_SM_EERKSM_lbbbEUlllE0_EEPmJS6_EEE10hipError_tPvRmT3_T4_T5_T6_T7_T9_mT8_P12ihipStream_tbDpT10_ENKUlT_T0_E_clISt17integral_constantIbLb0EES1C_EEDaS17_S18_EUlS17_E_NS1_11comp_targetILNS1_3genE10ELNS1_11target_archE1200ELNS1_3gpuE4ELNS1_3repE0EEENS1_30default_config_static_selectorELNS0_4arch9wavefront6targetE0EEEvT1_.kd
    .uniform_work_group_size: 1
    .uses_dynamic_stack: false
    .vgpr_count:     0
    .vgpr_spill_count: 0
    .wavefront_size: 32
  - .args:
      - .offset:         0
        .size:           120
        .value_kind:     by_value
    .group_segment_fixed_size: 0
    .kernarg_segment_align: 8
    .kernarg_segment_size: 120
    .language:       OpenCL C
    .language_version:
      - 2
      - 0
    .max_flat_workgroup_size: 512
    .name:           _ZN7rocprim17ROCPRIM_400000_NS6detail17trampoline_kernelINS0_14default_configENS1_25partition_config_selectorILNS1_17partition_subalgoE8ElNS0_10empty_typeEbEEZZNS1_14partition_implILS5_8ELb0ES3_jPlPS6_PKS6_NS0_5tupleIJS9_S6_EEENSD_IJSA_SA_EEENS0_18inequality_wrapperIZN2at6native12_GLOBAL__N_124unique_dim_cuda_templateIaEESt5tupleIJNSH_6TensorESM_SM_EERKSM_lbbbEUlllE0_EEPmJS6_EEE10hipError_tPvRmT3_T4_T5_T6_T7_T9_mT8_P12ihipStream_tbDpT10_ENKUlT_T0_E_clISt17integral_constantIbLb0EES1C_EEDaS17_S18_EUlS17_E_NS1_11comp_targetILNS1_3genE9ELNS1_11target_archE1100ELNS1_3gpuE3ELNS1_3repE0EEENS1_30default_config_static_selectorELNS0_4arch9wavefront6targetE0EEEvT1_
    .private_segment_fixed_size: 0
    .sgpr_count:     0
    .sgpr_spill_count: 0
    .symbol:         _ZN7rocprim17ROCPRIM_400000_NS6detail17trampoline_kernelINS0_14default_configENS1_25partition_config_selectorILNS1_17partition_subalgoE8ElNS0_10empty_typeEbEEZZNS1_14partition_implILS5_8ELb0ES3_jPlPS6_PKS6_NS0_5tupleIJS9_S6_EEENSD_IJSA_SA_EEENS0_18inequality_wrapperIZN2at6native12_GLOBAL__N_124unique_dim_cuda_templateIaEESt5tupleIJNSH_6TensorESM_SM_EERKSM_lbbbEUlllE0_EEPmJS6_EEE10hipError_tPvRmT3_T4_T5_T6_T7_T9_mT8_P12ihipStream_tbDpT10_ENKUlT_T0_E_clISt17integral_constantIbLb0EES1C_EEDaS17_S18_EUlS17_E_NS1_11comp_targetILNS1_3genE9ELNS1_11target_archE1100ELNS1_3gpuE3ELNS1_3repE0EEENS1_30default_config_static_selectorELNS0_4arch9wavefront6targetE0EEEvT1_.kd
    .uniform_work_group_size: 1
    .uses_dynamic_stack: false
    .vgpr_count:     0
    .vgpr_spill_count: 0
    .wavefront_size: 32
  - .args:
      - .offset:         0
        .size:           120
        .value_kind:     by_value
    .group_segment_fixed_size: 0
    .kernarg_segment_align: 8
    .kernarg_segment_size: 120
    .language:       OpenCL C
    .language_version:
      - 2
      - 0
    .max_flat_workgroup_size: 512
    .name:           _ZN7rocprim17ROCPRIM_400000_NS6detail17trampoline_kernelINS0_14default_configENS1_25partition_config_selectorILNS1_17partition_subalgoE8ElNS0_10empty_typeEbEEZZNS1_14partition_implILS5_8ELb0ES3_jPlPS6_PKS6_NS0_5tupleIJS9_S6_EEENSD_IJSA_SA_EEENS0_18inequality_wrapperIZN2at6native12_GLOBAL__N_124unique_dim_cuda_templateIaEESt5tupleIJNSH_6TensorESM_SM_EERKSM_lbbbEUlllE0_EEPmJS6_EEE10hipError_tPvRmT3_T4_T5_T6_T7_T9_mT8_P12ihipStream_tbDpT10_ENKUlT_T0_E_clISt17integral_constantIbLb0EES1C_EEDaS17_S18_EUlS17_E_NS1_11comp_targetILNS1_3genE8ELNS1_11target_archE1030ELNS1_3gpuE2ELNS1_3repE0EEENS1_30default_config_static_selectorELNS0_4arch9wavefront6targetE0EEEvT1_
    .private_segment_fixed_size: 0
    .sgpr_count:     0
    .sgpr_spill_count: 0
    .symbol:         _ZN7rocprim17ROCPRIM_400000_NS6detail17trampoline_kernelINS0_14default_configENS1_25partition_config_selectorILNS1_17partition_subalgoE8ElNS0_10empty_typeEbEEZZNS1_14partition_implILS5_8ELb0ES3_jPlPS6_PKS6_NS0_5tupleIJS9_S6_EEENSD_IJSA_SA_EEENS0_18inequality_wrapperIZN2at6native12_GLOBAL__N_124unique_dim_cuda_templateIaEESt5tupleIJNSH_6TensorESM_SM_EERKSM_lbbbEUlllE0_EEPmJS6_EEE10hipError_tPvRmT3_T4_T5_T6_T7_T9_mT8_P12ihipStream_tbDpT10_ENKUlT_T0_E_clISt17integral_constantIbLb0EES1C_EEDaS17_S18_EUlS17_E_NS1_11comp_targetILNS1_3genE8ELNS1_11target_archE1030ELNS1_3gpuE2ELNS1_3repE0EEENS1_30default_config_static_selectorELNS0_4arch9wavefront6targetE0EEEvT1_.kd
    .uniform_work_group_size: 1
    .uses_dynamic_stack: false
    .vgpr_count:     0
    .vgpr_spill_count: 0
    .wavefront_size: 32
  - .args:
      - .offset:         0
        .size:           136
        .value_kind:     by_value
    .group_segment_fixed_size: 0
    .kernarg_segment_align: 8
    .kernarg_segment_size: 136
    .language:       OpenCL C
    .language_version:
      - 2
      - 0
    .max_flat_workgroup_size: 512
    .name:           _ZN7rocprim17ROCPRIM_400000_NS6detail17trampoline_kernelINS0_14default_configENS1_25partition_config_selectorILNS1_17partition_subalgoE8ElNS0_10empty_typeEbEEZZNS1_14partition_implILS5_8ELb0ES3_jPlPS6_PKS6_NS0_5tupleIJS9_S6_EEENSD_IJSA_SA_EEENS0_18inequality_wrapperIZN2at6native12_GLOBAL__N_124unique_dim_cuda_templateIaEESt5tupleIJNSH_6TensorESM_SM_EERKSM_lbbbEUlllE0_EEPmJS6_EEE10hipError_tPvRmT3_T4_T5_T6_T7_T9_mT8_P12ihipStream_tbDpT10_ENKUlT_T0_E_clISt17integral_constantIbLb1EES1C_EEDaS17_S18_EUlS17_E_NS1_11comp_targetILNS1_3genE0ELNS1_11target_archE4294967295ELNS1_3gpuE0ELNS1_3repE0EEENS1_30default_config_static_selectorELNS0_4arch9wavefront6targetE0EEEvT1_
    .private_segment_fixed_size: 0
    .sgpr_count:     0
    .sgpr_spill_count: 0
    .symbol:         _ZN7rocprim17ROCPRIM_400000_NS6detail17trampoline_kernelINS0_14default_configENS1_25partition_config_selectorILNS1_17partition_subalgoE8ElNS0_10empty_typeEbEEZZNS1_14partition_implILS5_8ELb0ES3_jPlPS6_PKS6_NS0_5tupleIJS9_S6_EEENSD_IJSA_SA_EEENS0_18inequality_wrapperIZN2at6native12_GLOBAL__N_124unique_dim_cuda_templateIaEESt5tupleIJNSH_6TensorESM_SM_EERKSM_lbbbEUlllE0_EEPmJS6_EEE10hipError_tPvRmT3_T4_T5_T6_T7_T9_mT8_P12ihipStream_tbDpT10_ENKUlT_T0_E_clISt17integral_constantIbLb1EES1C_EEDaS17_S18_EUlS17_E_NS1_11comp_targetILNS1_3genE0ELNS1_11target_archE4294967295ELNS1_3gpuE0ELNS1_3repE0EEENS1_30default_config_static_selectorELNS0_4arch9wavefront6targetE0EEEvT1_.kd
    .uniform_work_group_size: 1
    .uses_dynamic_stack: false
    .vgpr_count:     0
    .vgpr_spill_count: 0
    .wavefront_size: 32
  - .args:
      - .offset:         0
        .size:           136
        .value_kind:     by_value
    .group_segment_fixed_size: 0
    .kernarg_segment_align: 8
    .kernarg_segment_size: 136
    .language:       OpenCL C
    .language_version:
      - 2
      - 0
    .max_flat_workgroup_size: 512
    .name:           _ZN7rocprim17ROCPRIM_400000_NS6detail17trampoline_kernelINS0_14default_configENS1_25partition_config_selectorILNS1_17partition_subalgoE8ElNS0_10empty_typeEbEEZZNS1_14partition_implILS5_8ELb0ES3_jPlPS6_PKS6_NS0_5tupleIJS9_S6_EEENSD_IJSA_SA_EEENS0_18inequality_wrapperIZN2at6native12_GLOBAL__N_124unique_dim_cuda_templateIaEESt5tupleIJNSH_6TensorESM_SM_EERKSM_lbbbEUlllE0_EEPmJS6_EEE10hipError_tPvRmT3_T4_T5_T6_T7_T9_mT8_P12ihipStream_tbDpT10_ENKUlT_T0_E_clISt17integral_constantIbLb1EES1C_EEDaS17_S18_EUlS17_E_NS1_11comp_targetILNS1_3genE5ELNS1_11target_archE942ELNS1_3gpuE9ELNS1_3repE0EEENS1_30default_config_static_selectorELNS0_4arch9wavefront6targetE0EEEvT1_
    .private_segment_fixed_size: 0
    .sgpr_count:     0
    .sgpr_spill_count: 0
    .symbol:         _ZN7rocprim17ROCPRIM_400000_NS6detail17trampoline_kernelINS0_14default_configENS1_25partition_config_selectorILNS1_17partition_subalgoE8ElNS0_10empty_typeEbEEZZNS1_14partition_implILS5_8ELb0ES3_jPlPS6_PKS6_NS0_5tupleIJS9_S6_EEENSD_IJSA_SA_EEENS0_18inequality_wrapperIZN2at6native12_GLOBAL__N_124unique_dim_cuda_templateIaEESt5tupleIJNSH_6TensorESM_SM_EERKSM_lbbbEUlllE0_EEPmJS6_EEE10hipError_tPvRmT3_T4_T5_T6_T7_T9_mT8_P12ihipStream_tbDpT10_ENKUlT_T0_E_clISt17integral_constantIbLb1EES1C_EEDaS17_S18_EUlS17_E_NS1_11comp_targetILNS1_3genE5ELNS1_11target_archE942ELNS1_3gpuE9ELNS1_3repE0EEENS1_30default_config_static_selectorELNS0_4arch9wavefront6targetE0EEEvT1_.kd
    .uniform_work_group_size: 1
    .uses_dynamic_stack: false
    .vgpr_count:     0
    .vgpr_spill_count: 0
    .wavefront_size: 32
  - .args:
      - .offset:         0
        .size:           136
        .value_kind:     by_value
    .group_segment_fixed_size: 0
    .kernarg_segment_align: 8
    .kernarg_segment_size: 136
    .language:       OpenCL C
    .language_version:
      - 2
      - 0
    .max_flat_workgroup_size: 256
    .name:           _ZN7rocprim17ROCPRIM_400000_NS6detail17trampoline_kernelINS0_14default_configENS1_25partition_config_selectorILNS1_17partition_subalgoE8ElNS0_10empty_typeEbEEZZNS1_14partition_implILS5_8ELb0ES3_jPlPS6_PKS6_NS0_5tupleIJS9_S6_EEENSD_IJSA_SA_EEENS0_18inequality_wrapperIZN2at6native12_GLOBAL__N_124unique_dim_cuda_templateIaEESt5tupleIJNSH_6TensorESM_SM_EERKSM_lbbbEUlllE0_EEPmJS6_EEE10hipError_tPvRmT3_T4_T5_T6_T7_T9_mT8_P12ihipStream_tbDpT10_ENKUlT_T0_E_clISt17integral_constantIbLb1EES1C_EEDaS17_S18_EUlS17_E_NS1_11comp_targetILNS1_3genE4ELNS1_11target_archE910ELNS1_3gpuE8ELNS1_3repE0EEENS1_30default_config_static_selectorELNS0_4arch9wavefront6targetE0EEEvT1_
    .private_segment_fixed_size: 0
    .sgpr_count:     0
    .sgpr_spill_count: 0
    .symbol:         _ZN7rocprim17ROCPRIM_400000_NS6detail17trampoline_kernelINS0_14default_configENS1_25partition_config_selectorILNS1_17partition_subalgoE8ElNS0_10empty_typeEbEEZZNS1_14partition_implILS5_8ELb0ES3_jPlPS6_PKS6_NS0_5tupleIJS9_S6_EEENSD_IJSA_SA_EEENS0_18inequality_wrapperIZN2at6native12_GLOBAL__N_124unique_dim_cuda_templateIaEESt5tupleIJNSH_6TensorESM_SM_EERKSM_lbbbEUlllE0_EEPmJS6_EEE10hipError_tPvRmT3_T4_T5_T6_T7_T9_mT8_P12ihipStream_tbDpT10_ENKUlT_T0_E_clISt17integral_constantIbLb1EES1C_EEDaS17_S18_EUlS17_E_NS1_11comp_targetILNS1_3genE4ELNS1_11target_archE910ELNS1_3gpuE8ELNS1_3repE0EEENS1_30default_config_static_selectorELNS0_4arch9wavefront6targetE0EEEvT1_.kd
    .uniform_work_group_size: 1
    .uses_dynamic_stack: false
    .vgpr_count:     0
    .vgpr_spill_count: 0
    .wavefront_size: 32
  - .args:
      - .offset:         0
        .size:           136
        .value_kind:     by_value
    .group_segment_fixed_size: 0
    .kernarg_segment_align: 8
    .kernarg_segment_size: 136
    .language:       OpenCL C
    .language_version:
      - 2
      - 0
    .max_flat_workgroup_size: 512
    .name:           _ZN7rocprim17ROCPRIM_400000_NS6detail17trampoline_kernelINS0_14default_configENS1_25partition_config_selectorILNS1_17partition_subalgoE8ElNS0_10empty_typeEbEEZZNS1_14partition_implILS5_8ELb0ES3_jPlPS6_PKS6_NS0_5tupleIJS9_S6_EEENSD_IJSA_SA_EEENS0_18inequality_wrapperIZN2at6native12_GLOBAL__N_124unique_dim_cuda_templateIaEESt5tupleIJNSH_6TensorESM_SM_EERKSM_lbbbEUlllE0_EEPmJS6_EEE10hipError_tPvRmT3_T4_T5_T6_T7_T9_mT8_P12ihipStream_tbDpT10_ENKUlT_T0_E_clISt17integral_constantIbLb1EES1C_EEDaS17_S18_EUlS17_E_NS1_11comp_targetILNS1_3genE3ELNS1_11target_archE908ELNS1_3gpuE7ELNS1_3repE0EEENS1_30default_config_static_selectorELNS0_4arch9wavefront6targetE0EEEvT1_
    .private_segment_fixed_size: 0
    .sgpr_count:     0
    .sgpr_spill_count: 0
    .symbol:         _ZN7rocprim17ROCPRIM_400000_NS6detail17trampoline_kernelINS0_14default_configENS1_25partition_config_selectorILNS1_17partition_subalgoE8ElNS0_10empty_typeEbEEZZNS1_14partition_implILS5_8ELb0ES3_jPlPS6_PKS6_NS0_5tupleIJS9_S6_EEENSD_IJSA_SA_EEENS0_18inequality_wrapperIZN2at6native12_GLOBAL__N_124unique_dim_cuda_templateIaEESt5tupleIJNSH_6TensorESM_SM_EERKSM_lbbbEUlllE0_EEPmJS6_EEE10hipError_tPvRmT3_T4_T5_T6_T7_T9_mT8_P12ihipStream_tbDpT10_ENKUlT_T0_E_clISt17integral_constantIbLb1EES1C_EEDaS17_S18_EUlS17_E_NS1_11comp_targetILNS1_3genE3ELNS1_11target_archE908ELNS1_3gpuE7ELNS1_3repE0EEENS1_30default_config_static_selectorELNS0_4arch9wavefront6targetE0EEEvT1_.kd
    .uniform_work_group_size: 1
    .uses_dynamic_stack: false
    .vgpr_count:     0
    .vgpr_spill_count: 0
    .wavefront_size: 32
  - .args:
      - .offset:         0
        .size:           136
        .value_kind:     by_value
    .group_segment_fixed_size: 0
    .kernarg_segment_align: 8
    .kernarg_segment_size: 136
    .language:       OpenCL C
    .language_version:
      - 2
      - 0
    .max_flat_workgroup_size: 256
    .name:           _ZN7rocprim17ROCPRIM_400000_NS6detail17trampoline_kernelINS0_14default_configENS1_25partition_config_selectorILNS1_17partition_subalgoE8ElNS0_10empty_typeEbEEZZNS1_14partition_implILS5_8ELb0ES3_jPlPS6_PKS6_NS0_5tupleIJS9_S6_EEENSD_IJSA_SA_EEENS0_18inequality_wrapperIZN2at6native12_GLOBAL__N_124unique_dim_cuda_templateIaEESt5tupleIJNSH_6TensorESM_SM_EERKSM_lbbbEUlllE0_EEPmJS6_EEE10hipError_tPvRmT3_T4_T5_T6_T7_T9_mT8_P12ihipStream_tbDpT10_ENKUlT_T0_E_clISt17integral_constantIbLb1EES1C_EEDaS17_S18_EUlS17_E_NS1_11comp_targetILNS1_3genE2ELNS1_11target_archE906ELNS1_3gpuE6ELNS1_3repE0EEENS1_30default_config_static_selectorELNS0_4arch9wavefront6targetE0EEEvT1_
    .private_segment_fixed_size: 0
    .sgpr_count:     0
    .sgpr_spill_count: 0
    .symbol:         _ZN7rocprim17ROCPRIM_400000_NS6detail17trampoline_kernelINS0_14default_configENS1_25partition_config_selectorILNS1_17partition_subalgoE8ElNS0_10empty_typeEbEEZZNS1_14partition_implILS5_8ELb0ES3_jPlPS6_PKS6_NS0_5tupleIJS9_S6_EEENSD_IJSA_SA_EEENS0_18inequality_wrapperIZN2at6native12_GLOBAL__N_124unique_dim_cuda_templateIaEESt5tupleIJNSH_6TensorESM_SM_EERKSM_lbbbEUlllE0_EEPmJS6_EEE10hipError_tPvRmT3_T4_T5_T6_T7_T9_mT8_P12ihipStream_tbDpT10_ENKUlT_T0_E_clISt17integral_constantIbLb1EES1C_EEDaS17_S18_EUlS17_E_NS1_11comp_targetILNS1_3genE2ELNS1_11target_archE906ELNS1_3gpuE6ELNS1_3repE0EEENS1_30default_config_static_selectorELNS0_4arch9wavefront6targetE0EEEvT1_.kd
    .uniform_work_group_size: 1
    .uses_dynamic_stack: false
    .vgpr_count:     0
    .vgpr_spill_count: 0
    .wavefront_size: 32
  - .args:
      - .offset:         0
        .size:           136
        .value_kind:     by_value
    .group_segment_fixed_size: 0
    .kernarg_segment_align: 8
    .kernarg_segment_size: 136
    .language:       OpenCL C
    .language_version:
      - 2
      - 0
    .max_flat_workgroup_size: 384
    .name:           _ZN7rocprim17ROCPRIM_400000_NS6detail17trampoline_kernelINS0_14default_configENS1_25partition_config_selectorILNS1_17partition_subalgoE8ElNS0_10empty_typeEbEEZZNS1_14partition_implILS5_8ELb0ES3_jPlPS6_PKS6_NS0_5tupleIJS9_S6_EEENSD_IJSA_SA_EEENS0_18inequality_wrapperIZN2at6native12_GLOBAL__N_124unique_dim_cuda_templateIaEESt5tupleIJNSH_6TensorESM_SM_EERKSM_lbbbEUlllE0_EEPmJS6_EEE10hipError_tPvRmT3_T4_T5_T6_T7_T9_mT8_P12ihipStream_tbDpT10_ENKUlT_T0_E_clISt17integral_constantIbLb1EES1C_EEDaS17_S18_EUlS17_E_NS1_11comp_targetILNS1_3genE10ELNS1_11target_archE1200ELNS1_3gpuE4ELNS1_3repE0EEENS1_30default_config_static_selectorELNS0_4arch9wavefront6targetE0EEEvT1_
    .private_segment_fixed_size: 0
    .sgpr_count:     0
    .sgpr_spill_count: 0
    .symbol:         _ZN7rocprim17ROCPRIM_400000_NS6detail17trampoline_kernelINS0_14default_configENS1_25partition_config_selectorILNS1_17partition_subalgoE8ElNS0_10empty_typeEbEEZZNS1_14partition_implILS5_8ELb0ES3_jPlPS6_PKS6_NS0_5tupleIJS9_S6_EEENSD_IJSA_SA_EEENS0_18inequality_wrapperIZN2at6native12_GLOBAL__N_124unique_dim_cuda_templateIaEESt5tupleIJNSH_6TensorESM_SM_EERKSM_lbbbEUlllE0_EEPmJS6_EEE10hipError_tPvRmT3_T4_T5_T6_T7_T9_mT8_P12ihipStream_tbDpT10_ENKUlT_T0_E_clISt17integral_constantIbLb1EES1C_EEDaS17_S18_EUlS17_E_NS1_11comp_targetILNS1_3genE10ELNS1_11target_archE1200ELNS1_3gpuE4ELNS1_3repE0EEENS1_30default_config_static_selectorELNS0_4arch9wavefront6targetE0EEEvT1_.kd
    .uniform_work_group_size: 1
    .uses_dynamic_stack: false
    .vgpr_count:     0
    .vgpr_spill_count: 0
    .wavefront_size: 32
  - .args:
      - .offset:         0
        .size:           136
        .value_kind:     by_value
    .group_segment_fixed_size: 0
    .kernarg_segment_align: 8
    .kernarg_segment_size: 136
    .language:       OpenCL C
    .language_version:
      - 2
      - 0
    .max_flat_workgroup_size: 512
    .name:           _ZN7rocprim17ROCPRIM_400000_NS6detail17trampoline_kernelINS0_14default_configENS1_25partition_config_selectorILNS1_17partition_subalgoE8ElNS0_10empty_typeEbEEZZNS1_14partition_implILS5_8ELb0ES3_jPlPS6_PKS6_NS0_5tupleIJS9_S6_EEENSD_IJSA_SA_EEENS0_18inequality_wrapperIZN2at6native12_GLOBAL__N_124unique_dim_cuda_templateIaEESt5tupleIJNSH_6TensorESM_SM_EERKSM_lbbbEUlllE0_EEPmJS6_EEE10hipError_tPvRmT3_T4_T5_T6_T7_T9_mT8_P12ihipStream_tbDpT10_ENKUlT_T0_E_clISt17integral_constantIbLb1EES1C_EEDaS17_S18_EUlS17_E_NS1_11comp_targetILNS1_3genE9ELNS1_11target_archE1100ELNS1_3gpuE3ELNS1_3repE0EEENS1_30default_config_static_selectorELNS0_4arch9wavefront6targetE0EEEvT1_
    .private_segment_fixed_size: 0
    .sgpr_count:     0
    .sgpr_spill_count: 0
    .symbol:         _ZN7rocprim17ROCPRIM_400000_NS6detail17trampoline_kernelINS0_14default_configENS1_25partition_config_selectorILNS1_17partition_subalgoE8ElNS0_10empty_typeEbEEZZNS1_14partition_implILS5_8ELb0ES3_jPlPS6_PKS6_NS0_5tupleIJS9_S6_EEENSD_IJSA_SA_EEENS0_18inequality_wrapperIZN2at6native12_GLOBAL__N_124unique_dim_cuda_templateIaEESt5tupleIJNSH_6TensorESM_SM_EERKSM_lbbbEUlllE0_EEPmJS6_EEE10hipError_tPvRmT3_T4_T5_T6_T7_T9_mT8_P12ihipStream_tbDpT10_ENKUlT_T0_E_clISt17integral_constantIbLb1EES1C_EEDaS17_S18_EUlS17_E_NS1_11comp_targetILNS1_3genE9ELNS1_11target_archE1100ELNS1_3gpuE3ELNS1_3repE0EEENS1_30default_config_static_selectorELNS0_4arch9wavefront6targetE0EEEvT1_.kd
    .uniform_work_group_size: 1
    .uses_dynamic_stack: false
    .vgpr_count:     0
    .vgpr_spill_count: 0
    .wavefront_size: 32
  - .args:
      - .offset:         0
        .size:           136
        .value_kind:     by_value
    .group_segment_fixed_size: 0
    .kernarg_segment_align: 8
    .kernarg_segment_size: 136
    .language:       OpenCL C
    .language_version:
      - 2
      - 0
    .max_flat_workgroup_size: 512
    .name:           _ZN7rocprim17ROCPRIM_400000_NS6detail17trampoline_kernelINS0_14default_configENS1_25partition_config_selectorILNS1_17partition_subalgoE8ElNS0_10empty_typeEbEEZZNS1_14partition_implILS5_8ELb0ES3_jPlPS6_PKS6_NS0_5tupleIJS9_S6_EEENSD_IJSA_SA_EEENS0_18inequality_wrapperIZN2at6native12_GLOBAL__N_124unique_dim_cuda_templateIaEESt5tupleIJNSH_6TensorESM_SM_EERKSM_lbbbEUlllE0_EEPmJS6_EEE10hipError_tPvRmT3_T4_T5_T6_T7_T9_mT8_P12ihipStream_tbDpT10_ENKUlT_T0_E_clISt17integral_constantIbLb1EES1C_EEDaS17_S18_EUlS17_E_NS1_11comp_targetILNS1_3genE8ELNS1_11target_archE1030ELNS1_3gpuE2ELNS1_3repE0EEENS1_30default_config_static_selectorELNS0_4arch9wavefront6targetE0EEEvT1_
    .private_segment_fixed_size: 0
    .sgpr_count:     0
    .sgpr_spill_count: 0
    .symbol:         _ZN7rocprim17ROCPRIM_400000_NS6detail17trampoline_kernelINS0_14default_configENS1_25partition_config_selectorILNS1_17partition_subalgoE8ElNS0_10empty_typeEbEEZZNS1_14partition_implILS5_8ELb0ES3_jPlPS6_PKS6_NS0_5tupleIJS9_S6_EEENSD_IJSA_SA_EEENS0_18inequality_wrapperIZN2at6native12_GLOBAL__N_124unique_dim_cuda_templateIaEESt5tupleIJNSH_6TensorESM_SM_EERKSM_lbbbEUlllE0_EEPmJS6_EEE10hipError_tPvRmT3_T4_T5_T6_T7_T9_mT8_P12ihipStream_tbDpT10_ENKUlT_T0_E_clISt17integral_constantIbLb1EES1C_EEDaS17_S18_EUlS17_E_NS1_11comp_targetILNS1_3genE8ELNS1_11target_archE1030ELNS1_3gpuE2ELNS1_3repE0EEENS1_30default_config_static_selectorELNS0_4arch9wavefront6targetE0EEEvT1_.kd
    .uniform_work_group_size: 1
    .uses_dynamic_stack: false
    .vgpr_count:     0
    .vgpr_spill_count: 0
    .wavefront_size: 32
  - .args:
      - .offset:         0
        .size:           120
        .value_kind:     by_value
    .group_segment_fixed_size: 0
    .kernarg_segment_align: 8
    .kernarg_segment_size: 120
    .language:       OpenCL C
    .language_version:
      - 2
      - 0
    .max_flat_workgroup_size: 512
    .name:           _ZN7rocprim17ROCPRIM_400000_NS6detail17trampoline_kernelINS0_14default_configENS1_25partition_config_selectorILNS1_17partition_subalgoE8ElNS0_10empty_typeEbEEZZNS1_14partition_implILS5_8ELb0ES3_jPlPS6_PKS6_NS0_5tupleIJS9_S6_EEENSD_IJSA_SA_EEENS0_18inequality_wrapperIZN2at6native12_GLOBAL__N_124unique_dim_cuda_templateIaEESt5tupleIJNSH_6TensorESM_SM_EERKSM_lbbbEUlllE0_EEPmJS6_EEE10hipError_tPvRmT3_T4_T5_T6_T7_T9_mT8_P12ihipStream_tbDpT10_ENKUlT_T0_E_clISt17integral_constantIbLb1EES1B_IbLb0EEEEDaS17_S18_EUlS17_E_NS1_11comp_targetILNS1_3genE0ELNS1_11target_archE4294967295ELNS1_3gpuE0ELNS1_3repE0EEENS1_30default_config_static_selectorELNS0_4arch9wavefront6targetE0EEEvT1_
    .private_segment_fixed_size: 0
    .sgpr_count:     0
    .sgpr_spill_count: 0
    .symbol:         _ZN7rocprim17ROCPRIM_400000_NS6detail17trampoline_kernelINS0_14default_configENS1_25partition_config_selectorILNS1_17partition_subalgoE8ElNS0_10empty_typeEbEEZZNS1_14partition_implILS5_8ELb0ES3_jPlPS6_PKS6_NS0_5tupleIJS9_S6_EEENSD_IJSA_SA_EEENS0_18inequality_wrapperIZN2at6native12_GLOBAL__N_124unique_dim_cuda_templateIaEESt5tupleIJNSH_6TensorESM_SM_EERKSM_lbbbEUlllE0_EEPmJS6_EEE10hipError_tPvRmT3_T4_T5_T6_T7_T9_mT8_P12ihipStream_tbDpT10_ENKUlT_T0_E_clISt17integral_constantIbLb1EES1B_IbLb0EEEEDaS17_S18_EUlS17_E_NS1_11comp_targetILNS1_3genE0ELNS1_11target_archE4294967295ELNS1_3gpuE0ELNS1_3repE0EEENS1_30default_config_static_selectorELNS0_4arch9wavefront6targetE0EEEvT1_.kd
    .uniform_work_group_size: 1
    .uses_dynamic_stack: false
    .vgpr_count:     0
    .vgpr_spill_count: 0
    .wavefront_size: 32
  - .args:
      - .offset:         0
        .size:           120
        .value_kind:     by_value
    .group_segment_fixed_size: 0
    .kernarg_segment_align: 8
    .kernarg_segment_size: 120
    .language:       OpenCL C
    .language_version:
      - 2
      - 0
    .max_flat_workgroup_size: 512
    .name:           _ZN7rocprim17ROCPRIM_400000_NS6detail17trampoline_kernelINS0_14default_configENS1_25partition_config_selectorILNS1_17partition_subalgoE8ElNS0_10empty_typeEbEEZZNS1_14partition_implILS5_8ELb0ES3_jPlPS6_PKS6_NS0_5tupleIJS9_S6_EEENSD_IJSA_SA_EEENS0_18inequality_wrapperIZN2at6native12_GLOBAL__N_124unique_dim_cuda_templateIaEESt5tupleIJNSH_6TensorESM_SM_EERKSM_lbbbEUlllE0_EEPmJS6_EEE10hipError_tPvRmT3_T4_T5_T6_T7_T9_mT8_P12ihipStream_tbDpT10_ENKUlT_T0_E_clISt17integral_constantIbLb1EES1B_IbLb0EEEEDaS17_S18_EUlS17_E_NS1_11comp_targetILNS1_3genE5ELNS1_11target_archE942ELNS1_3gpuE9ELNS1_3repE0EEENS1_30default_config_static_selectorELNS0_4arch9wavefront6targetE0EEEvT1_
    .private_segment_fixed_size: 0
    .sgpr_count:     0
    .sgpr_spill_count: 0
    .symbol:         _ZN7rocprim17ROCPRIM_400000_NS6detail17trampoline_kernelINS0_14default_configENS1_25partition_config_selectorILNS1_17partition_subalgoE8ElNS0_10empty_typeEbEEZZNS1_14partition_implILS5_8ELb0ES3_jPlPS6_PKS6_NS0_5tupleIJS9_S6_EEENSD_IJSA_SA_EEENS0_18inequality_wrapperIZN2at6native12_GLOBAL__N_124unique_dim_cuda_templateIaEESt5tupleIJNSH_6TensorESM_SM_EERKSM_lbbbEUlllE0_EEPmJS6_EEE10hipError_tPvRmT3_T4_T5_T6_T7_T9_mT8_P12ihipStream_tbDpT10_ENKUlT_T0_E_clISt17integral_constantIbLb1EES1B_IbLb0EEEEDaS17_S18_EUlS17_E_NS1_11comp_targetILNS1_3genE5ELNS1_11target_archE942ELNS1_3gpuE9ELNS1_3repE0EEENS1_30default_config_static_selectorELNS0_4arch9wavefront6targetE0EEEvT1_.kd
    .uniform_work_group_size: 1
    .uses_dynamic_stack: false
    .vgpr_count:     0
    .vgpr_spill_count: 0
    .wavefront_size: 32
  - .args:
      - .offset:         0
        .size:           120
        .value_kind:     by_value
    .group_segment_fixed_size: 0
    .kernarg_segment_align: 8
    .kernarg_segment_size: 120
    .language:       OpenCL C
    .language_version:
      - 2
      - 0
    .max_flat_workgroup_size: 256
    .name:           _ZN7rocprim17ROCPRIM_400000_NS6detail17trampoline_kernelINS0_14default_configENS1_25partition_config_selectorILNS1_17partition_subalgoE8ElNS0_10empty_typeEbEEZZNS1_14partition_implILS5_8ELb0ES3_jPlPS6_PKS6_NS0_5tupleIJS9_S6_EEENSD_IJSA_SA_EEENS0_18inequality_wrapperIZN2at6native12_GLOBAL__N_124unique_dim_cuda_templateIaEESt5tupleIJNSH_6TensorESM_SM_EERKSM_lbbbEUlllE0_EEPmJS6_EEE10hipError_tPvRmT3_T4_T5_T6_T7_T9_mT8_P12ihipStream_tbDpT10_ENKUlT_T0_E_clISt17integral_constantIbLb1EES1B_IbLb0EEEEDaS17_S18_EUlS17_E_NS1_11comp_targetILNS1_3genE4ELNS1_11target_archE910ELNS1_3gpuE8ELNS1_3repE0EEENS1_30default_config_static_selectorELNS0_4arch9wavefront6targetE0EEEvT1_
    .private_segment_fixed_size: 0
    .sgpr_count:     0
    .sgpr_spill_count: 0
    .symbol:         _ZN7rocprim17ROCPRIM_400000_NS6detail17trampoline_kernelINS0_14default_configENS1_25partition_config_selectorILNS1_17partition_subalgoE8ElNS0_10empty_typeEbEEZZNS1_14partition_implILS5_8ELb0ES3_jPlPS6_PKS6_NS0_5tupleIJS9_S6_EEENSD_IJSA_SA_EEENS0_18inequality_wrapperIZN2at6native12_GLOBAL__N_124unique_dim_cuda_templateIaEESt5tupleIJNSH_6TensorESM_SM_EERKSM_lbbbEUlllE0_EEPmJS6_EEE10hipError_tPvRmT3_T4_T5_T6_T7_T9_mT8_P12ihipStream_tbDpT10_ENKUlT_T0_E_clISt17integral_constantIbLb1EES1B_IbLb0EEEEDaS17_S18_EUlS17_E_NS1_11comp_targetILNS1_3genE4ELNS1_11target_archE910ELNS1_3gpuE8ELNS1_3repE0EEENS1_30default_config_static_selectorELNS0_4arch9wavefront6targetE0EEEvT1_.kd
    .uniform_work_group_size: 1
    .uses_dynamic_stack: false
    .vgpr_count:     0
    .vgpr_spill_count: 0
    .wavefront_size: 32
  - .args:
      - .offset:         0
        .size:           120
        .value_kind:     by_value
    .group_segment_fixed_size: 0
    .kernarg_segment_align: 8
    .kernarg_segment_size: 120
    .language:       OpenCL C
    .language_version:
      - 2
      - 0
    .max_flat_workgroup_size: 512
    .name:           _ZN7rocprim17ROCPRIM_400000_NS6detail17trampoline_kernelINS0_14default_configENS1_25partition_config_selectorILNS1_17partition_subalgoE8ElNS0_10empty_typeEbEEZZNS1_14partition_implILS5_8ELb0ES3_jPlPS6_PKS6_NS0_5tupleIJS9_S6_EEENSD_IJSA_SA_EEENS0_18inequality_wrapperIZN2at6native12_GLOBAL__N_124unique_dim_cuda_templateIaEESt5tupleIJNSH_6TensorESM_SM_EERKSM_lbbbEUlllE0_EEPmJS6_EEE10hipError_tPvRmT3_T4_T5_T6_T7_T9_mT8_P12ihipStream_tbDpT10_ENKUlT_T0_E_clISt17integral_constantIbLb1EES1B_IbLb0EEEEDaS17_S18_EUlS17_E_NS1_11comp_targetILNS1_3genE3ELNS1_11target_archE908ELNS1_3gpuE7ELNS1_3repE0EEENS1_30default_config_static_selectorELNS0_4arch9wavefront6targetE0EEEvT1_
    .private_segment_fixed_size: 0
    .sgpr_count:     0
    .sgpr_spill_count: 0
    .symbol:         _ZN7rocprim17ROCPRIM_400000_NS6detail17trampoline_kernelINS0_14default_configENS1_25partition_config_selectorILNS1_17partition_subalgoE8ElNS0_10empty_typeEbEEZZNS1_14partition_implILS5_8ELb0ES3_jPlPS6_PKS6_NS0_5tupleIJS9_S6_EEENSD_IJSA_SA_EEENS0_18inequality_wrapperIZN2at6native12_GLOBAL__N_124unique_dim_cuda_templateIaEESt5tupleIJNSH_6TensorESM_SM_EERKSM_lbbbEUlllE0_EEPmJS6_EEE10hipError_tPvRmT3_T4_T5_T6_T7_T9_mT8_P12ihipStream_tbDpT10_ENKUlT_T0_E_clISt17integral_constantIbLb1EES1B_IbLb0EEEEDaS17_S18_EUlS17_E_NS1_11comp_targetILNS1_3genE3ELNS1_11target_archE908ELNS1_3gpuE7ELNS1_3repE0EEENS1_30default_config_static_selectorELNS0_4arch9wavefront6targetE0EEEvT1_.kd
    .uniform_work_group_size: 1
    .uses_dynamic_stack: false
    .vgpr_count:     0
    .vgpr_spill_count: 0
    .wavefront_size: 32
  - .args:
      - .offset:         0
        .size:           120
        .value_kind:     by_value
    .group_segment_fixed_size: 0
    .kernarg_segment_align: 8
    .kernarg_segment_size: 120
    .language:       OpenCL C
    .language_version:
      - 2
      - 0
    .max_flat_workgroup_size: 256
    .name:           _ZN7rocprim17ROCPRIM_400000_NS6detail17trampoline_kernelINS0_14default_configENS1_25partition_config_selectorILNS1_17partition_subalgoE8ElNS0_10empty_typeEbEEZZNS1_14partition_implILS5_8ELb0ES3_jPlPS6_PKS6_NS0_5tupleIJS9_S6_EEENSD_IJSA_SA_EEENS0_18inequality_wrapperIZN2at6native12_GLOBAL__N_124unique_dim_cuda_templateIaEESt5tupleIJNSH_6TensorESM_SM_EERKSM_lbbbEUlllE0_EEPmJS6_EEE10hipError_tPvRmT3_T4_T5_T6_T7_T9_mT8_P12ihipStream_tbDpT10_ENKUlT_T0_E_clISt17integral_constantIbLb1EES1B_IbLb0EEEEDaS17_S18_EUlS17_E_NS1_11comp_targetILNS1_3genE2ELNS1_11target_archE906ELNS1_3gpuE6ELNS1_3repE0EEENS1_30default_config_static_selectorELNS0_4arch9wavefront6targetE0EEEvT1_
    .private_segment_fixed_size: 0
    .sgpr_count:     0
    .sgpr_spill_count: 0
    .symbol:         _ZN7rocprim17ROCPRIM_400000_NS6detail17trampoline_kernelINS0_14default_configENS1_25partition_config_selectorILNS1_17partition_subalgoE8ElNS0_10empty_typeEbEEZZNS1_14partition_implILS5_8ELb0ES3_jPlPS6_PKS6_NS0_5tupleIJS9_S6_EEENSD_IJSA_SA_EEENS0_18inequality_wrapperIZN2at6native12_GLOBAL__N_124unique_dim_cuda_templateIaEESt5tupleIJNSH_6TensorESM_SM_EERKSM_lbbbEUlllE0_EEPmJS6_EEE10hipError_tPvRmT3_T4_T5_T6_T7_T9_mT8_P12ihipStream_tbDpT10_ENKUlT_T0_E_clISt17integral_constantIbLb1EES1B_IbLb0EEEEDaS17_S18_EUlS17_E_NS1_11comp_targetILNS1_3genE2ELNS1_11target_archE906ELNS1_3gpuE6ELNS1_3repE0EEENS1_30default_config_static_selectorELNS0_4arch9wavefront6targetE0EEEvT1_.kd
    .uniform_work_group_size: 1
    .uses_dynamic_stack: false
    .vgpr_count:     0
    .vgpr_spill_count: 0
    .wavefront_size: 32
  - .args:
      - .offset:         0
        .size:           120
        .value_kind:     by_value
    .group_segment_fixed_size: 0
    .kernarg_segment_align: 8
    .kernarg_segment_size: 120
    .language:       OpenCL C
    .language_version:
      - 2
      - 0
    .max_flat_workgroup_size: 384
    .name:           _ZN7rocprim17ROCPRIM_400000_NS6detail17trampoline_kernelINS0_14default_configENS1_25partition_config_selectorILNS1_17partition_subalgoE8ElNS0_10empty_typeEbEEZZNS1_14partition_implILS5_8ELb0ES3_jPlPS6_PKS6_NS0_5tupleIJS9_S6_EEENSD_IJSA_SA_EEENS0_18inequality_wrapperIZN2at6native12_GLOBAL__N_124unique_dim_cuda_templateIaEESt5tupleIJNSH_6TensorESM_SM_EERKSM_lbbbEUlllE0_EEPmJS6_EEE10hipError_tPvRmT3_T4_T5_T6_T7_T9_mT8_P12ihipStream_tbDpT10_ENKUlT_T0_E_clISt17integral_constantIbLb1EES1B_IbLb0EEEEDaS17_S18_EUlS17_E_NS1_11comp_targetILNS1_3genE10ELNS1_11target_archE1200ELNS1_3gpuE4ELNS1_3repE0EEENS1_30default_config_static_selectorELNS0_4arch9wavefront6targetE0EEEvT1_
    .private_segment_fixed_size: 0
    .sgpr_count:     0
    .sgpr_spill_count: 0
    .symbol:         _ZN7rocprim17ROCPRIM_400000_NS6detail17trampoline_kernelINS0_14default_configENS1_25partition_config_selectorILNS1_17partition_subalgoE8ElNS0_10empty_typeEbEEZZNS1_14partition_implILS5_8ELb0ES3_jPlPS6_PKS6_NS0_5tupleIJS9_S6_EEENSD_IJSA_SA_EEENS0_18inequality_wrapperIZN2at6native12_GLOBAL__N_124unique_dim_cuda_templateIaEESt5tupleIJNSH_6TensorESM_SM_EERKSM_lbbbEUlllE0_EEPmJS6_EEE10hipError_tPvRmT3_T4_T5_T6_T7_T9_mT8_P12ihipStream_tbDpT10_ENKUlT_T0_E_clISt17integral_constantIbLb1EES1B_IbLb0EEEEDaS17_S18_EUlS17_E_NS1_11comp_targetILNS1_3genE10ELNS1_11target_archE1200ELNS1_3gpuE4ELNS1_3repE0EEENS1_30default_config_static_selectorELNS0_4arch9wavefront6targetE0EEEvT1_.kd
    .uniform_work_group_size: 1
    .uses_dynamic_stack: false
    .vgpr_count:     0
    .vgpr_spill_count: 0
    .wavefront_size: 32
  - .args:
      - .offset:         0
        .size:           120
        .value_kind:     by_value
    .group_segment_fixed_size: 0
    .kernarg_segment_align: 8
    .kernarg_segment_size: 120
    .language:       OpenCL C
    .language_version:
      - 2
      - 0
    .max_flat_workgroup_size: 512
    .name:           _ZN7rocprim17ROCPRIM_400000_NS6detail17trampoline_kernelINS0_14default_configENS1_25partition_config_selectorILNS1_17partition_subalgoE8ElNS0_10empty_typeEbEEZZNS1_14partition_implILS5_8ELb0ES3_jPlPS6_PKS6_NS0_5tupleIJS9_S6_EEENSD_IJSA_SA_EEENS0_18inequality_wrapperIZN2at6native12_GLOBAL__N_124unique_dim_cuda_templateIaEESt5tupleIJNSH_6TensorESM_SM_EERKSM_lbbbEUlllE0_EEPmJS6_EEE10hipError_tPvRmT3_T4_T5_T6_T7_T9_mT8_P12ihipStream_tbDpT10_ENKUlT_T0_E_clISt17integral_constantIbLb1EES1B_IbLb0EEEEDaS17_S18_EUlS17_E_NS1_11comp_targetILNS1_3genE9ELNS1_11target_archE1100ELNS1_3gpuE3ELNS1_3repE0EEENS1_30default_config_static_selectorELNS0_4arch9wavefront6targetE0EEEvT1_
    .private_segment_fixed_size: 0
    .sgpr_count:     0
    .sgpr_spill_count: 0
    .symbol:         _ZN7rocprim17ROCPRIM_400000_NS6detail17trampoline_kernelINS0_14default_configENS1_25partition_config_selectorILNS1_17partition_subalgoE8ElNS0_10empty_typeEbEEZZNS1_14partition_implILS5_8ELb0ES3_jPlPS6_PKS6_NS0_5tupleIJS9_S6_EEENSD_IJSA_SA_EEENS0_18inequality_wrapperIZN2at6native12_GLOBAL__N_124unique_dim_cuda_templateIaEESt5tupleIJNSH_6TensorESM_SM_EERKSM_lbbbEUlllE0_EEPmJS6_EEE10hipError_tPvRmT3_T4_T5_T6_T7_T9_mT8_P12ihipStream_tbDpT10_ENKUlT_T0_E_clISt17integral_constantIbLb1EES1B_IbLb0EEEEDaS17_S18_EUlS17_E_NS1_11comp_targetILNS1_3genE9ELNS1_11target_archE1100ELNS1_3gpuE3ELNS1_3repE0EEENS1_30default_config_static_selectorELNS0_4arch9wavefront6targetE0EEEvT1_.kd
    .uniform_work_group_size: 1
    .uses_dynamic_stack: false
    .vgpr_count:     0
    .vgpr_spill_count: 0
    .wavefront_size: 32
  - .args:
      - .offset:         0
        .size:           120
        .value_kind:     by_value
    .group_segment_fixed_size: 0
    .kernarg_segment_align: 8
    .kernarg_segment_size: 120
    .language:       OpenCL C
    .language_version:
      - 2
      - 0
    .max_flat_workgroup_size: 512
    .name:           _ZN7rocprim17ROCPRIM_400000_NS6detail17trampoline_kernelINS0_14default_configENS1_25partition_config_selectorILNS1_17partition_subalgoE8ElNS0_10empty_typeEbEEZZNS1_14partition_implILS5_8ELb0ES3_jPlPS6_PKS6_NS0_5tupleIJS9_S6_EEENSD_IJSA_SA_EEENS0_18inequality_wrapperIZN2at6native12_GLOBAL__N_124unique_dim_cuda_templateIaEESt5tupleIJNSH_6TensorESM_SM_EERKSM_lbbbEUlllE0_EEPmJS6_EEE10hipError_tPvRmT3_T4_T5_T6_T7_T9_mT8_P12ihipStream_tbDpT10_ENKUlT_T0_E_clISt17integral_constantIbLb1EES1B_IbLb0EEEEDaS17_S18_EUlS17_E_NS1_11comp_targetILNS1_3genE8ELNS1_11target_archE1030ELNS1_3gpuE2ELNS1_3repE0EEENS1_30default_config_static_selectorELNS0_4arch9wavefront6targetE0EEEvT1_
    .private_segment_fixed_size: 0
    .sgpr_count:     0
    .sgpr_spill_count: 0
    .symbol:         _ZN7rocprim17ROCPRIM_400000_NS6detail17trampoline_kernelINS0_14default_configENS1_25partition_config_selectorILNS1_17partition_subalgoE8ElNS0_10empty_typeEbEEZZNS1_14partition_implILS5_8ELb0ES3_jPlPS6_PKS6_NS0_5tupleIJS9_S6_EEENSD_IJSA_SA_EEENS0_18inequality_wrapperIZN2at6native12_GLOBAL__N_124unique_dim_cuda_templateIaEESt5tupleIJNSH_6TensorESM_SM_EERKSM_lbbbEUlllE0_EEPmJS6_EEE10hipError_tPvRmT3_T4_T5_T6_T7_T9_mT8_P12ihipStream_tbDpT10_ENKUlT_T0_E_clISt17integral_constantIbLb1EES1B_IbLb0EEEEDaS17_S18_EUlS17_E_NS1_11comp_targetILNS1_3genE8ELNS1_11target_archE1030ELNS1_3gpuE2ELNS1_3repE0EEENS1_30default_config_static_selectorELNS0_4arch9wavefront6targetE0EEEvT1_.kd
    .uniform_work_group_size: 1
    .uses_dynamic_stack: false
    .vgpr_count:     0
    .vgpr_spill_count: 0
    .wavefront_size: 32
  - .args:
      - .offset:         0
        .size:           136
        .value_kind:     by_value
    .group_segment_fixed_size: 28680
    .kernarg_segment_align: 8
    .kernarg_segment_size: 136
    .language:       OpenCL C
    .language_version:
      - 2
      - 0
    .max_flat_workgroup_size: 512
    .name:           _ZN7rocprim17ROCPRIM_400000_NS6detail17trampoline_kernelINS0_14default_configENS1_25partition_config_selectorILNS1_17partition_subalgoE8ElNS0_10empty_typeEbEEZZNS1_14partition_implILS5_8ELb0ES3_jPlPS6_PKS6_NS0_5tupleIJS9_S6_EEENSD_IJSA_SA_EEENS0_18inequality_wrapperIZN2at6native12_GLOBAL__N_124unique_dim_cuda_templateIaEESt5tupleIJNSH_6TensorESM_SM_EERKSM_lbbbEUlllE0_EEPmJS6_EEE10hipError_tPvRmT3_T4_T5_T6_T7_T9_mT8_P12ihipStream_tbDpT10_ENKUlT_T0_E_clISt17integral_constantIbLb0EES1B_IbLb1EEEEDaS17_S18_EUlS17_E_NS1_11comp_targetILNS1_3genE0ELNS1_11target_archE4294967295ELNS1_3gpuE0ELNS1_3repE0EEENS1_30default_config_static_selectorELNS0_4arch9wavefront6targetE0EEEvT1_
    .private_segment_fixed_size: 0
    .sgpr_count:     38
    .sgpr_spill_count: 0
    .symbol:         _ZN7rocprim17ROCPRIM_400000_NS6detail17trampoline_kernelINS0_14default_configENS1_25partition_config_selectorILNS1_17partition_subalgoE8ElNS0_10empty_typeEbEEZZNS1_14partition_implILS5_8ELb0ES3_jPlPS6_PKS6_NS0_5tupleIJS9_S6_EEENSD_IJSA_SA_EEENS0_18inequality_wrapperIZN2at6native12_GLOBAL__N_124unique_dim_cuda_templateIaEESt5tupleIJNSH_6TensorESM_SM_EERKSM_lbbbEUlllE0_EEPmJS6_EEE10hipError_tPvRmT3_T4_T5_T6_T7_T9_mT8_P12ihipStream_tbDpT10_ENKUlT_T0_E_clISt17integral_constantIbLb0EES1B_IbLb1EEEEDaS17_S18_EUlS17_E_NS1_11comp_targetILNS1_3genE0ELNS1_11target_archE4294967295ELNS1_3gpuE0ELNS1_3repE0EEENS1_30default_config_static_selectorELNS0_4arch9wavefront6targetE0EEEvT1_.kd
    .uniform_work_group_size: 1
    .uses_dynamic_stack: false
    .vgpr_count:     53
    .vgpr_spill_count: 0
    .wavefront_size: 32
  - .args:
      - .offset:         0
        .size:           136
        .value_kind:     by_value
    .group_segment_fixed_size: 0
    .kernarg_segment_align: 8
    .kernarg_segment_size: 136
    .language:       OpenCL C
    .language_version:
      - 2
      - 0
    .max_flat_workgroup_size: 512
    .name:           _ZN7rocprim17ROCPRIM_400000_NS6detail17trampoline_kernelINS0_14default_configENS1_25partition_config_selectorILNS1_17partition_subalgoE8ElNS0_10empty_typeEbEEZZNS1_14partition_implILS5_8ELb0ES3_jPlPS6_PKS6_NS0_5tupleIJS9_S6_EEENSD_IJSA_SA_EEENS0_18inequality_wrapperIZN2at6native12_GLOBAL__N_124unique_dim_cuda_templateIaEESt5tupleIJNSH_6TensorESM_SM_EERKSM_lbbbEUlllE0_EEPmJS6_EEE10hipError_tPvRmT3_T4_T5_T6_T7_T9_mT8_P12ihipStream_tbDpT10_ENKUlT_T0_E_clISt17integral_constantIbLb0EES1B_IbLb1EEEEDaS17_S18_EUlS17_E_NS1_11comp_targetILNS1_3genE5ELNS1_11target_archE942ELNS1_3gpuE9ELNS1_3repE0EEENS1_30default_config_static_selectorELNS0_4arch9wavefront6targetE0EEEvT1_
    .private_segment_fixed_size: 0
    .sgpr_count:     0
    .sgpr_spill_count: 0
    .symbol:         _ZN7rocprim17ROCPRIM_400000_NS6detail17trampoline_kernelINS0_14default_configENS1_25partition_config_selectorILNS1_17partition_subalgoE8ElNS0_10empty_typeEbEEZZNS1_14partition_implILS5_8ELb0ES3_jPlPS6_PKS6_NS0_5tupleIJS9_S6_EEENSD_IJSA_SA_EEENS0_18inequality_wrapperIZN2at6native12_GLOBAL__N_124unique_dim_cuda_templateIaEESt5tupleIJNSH_6TensorESM_SM_EERKSM_lbbbEUlllE0_EEPmJS6_EEE10hipError_tPvRmT3_T4_T5_T6_T7_T9_mT8_P12ihipStream_tbDpT10_ENKUlT_T0_E_clISt17integral_constantIbLb0EES1B_IbLb1EEEEDaS17_S18_EUlS17_E_NS1_11comp_targetILNS1_3genE5ELNS1_11target_archE942ELNS1_3gpuE9ELNS1_3repE0EEENS1_30default_config_static_selectorELNS0_4arch9wavefront6targetE0EEEvT1_.kd
    .uniform_work_group_size: 1
    .uses_dynamic_stack: false
    .vgpr_count:     0
    .vgpr_spill_count: 0
    .wavefront_size: 32
  - .args:
      - .offset:         0
        .size:           136
        .value_kind:     by_value
    .group_segment_fixed_size: 0
    .kernarg_segment_align: 8
    .kernarg_segment_size: 136
    .language:       OpenCL C
    .language_version:
      - 2
      - 0
    .max_flat_workgroup_size: 256
    .name:           _ZN7rocprim17ROCPRIM_400000_NS6detail17trampoline_kernelINS0_14default_configENS1_25partition_config_selectorILNS1_17partition_subalgoE8ElNS0_10empty_typeEbEEZZNS1_14partition_implILS5_8ELb0ES3_jPlPS6_PKS6_NS0_5tupleIJS9_S6_EEENSD_IJSA_SA_EEENS0_18inequality_wrapperIZN2at6native12_GLOBAL__N_124unique_dim_cuda_templateIaEESt5tupleIJNSH_6TensorESM_SM_EERKSM_lbbbEUlllE0_EEPmJS6_EEE10hipError_tPvRmT3_T4_T5_T6_T7_T9_mT8_P12ihipStream_tbDpT10_ENKUlT_T0_E_clISt17integral_constantIbLb0EES1B_IbLb1EEEEDaS17_S18_EUlS17_E_NS1_11comp_targetILNS1_3genE4ELNS1_11target_archE910ELNS1_3gpuE8ELNS1_3repE0EEENS1_30default_config_static_selectorELNS0_4arch9wavefront6targetE0EEEvT1_
    .private_segment_fixed_size: 0
    .sgpr_count:     0
    .sgpr_spill_count: 0
    .symbol:         _ZN7rocprim17ROCPRIM_400000_NS6detail17trampoline_kernelINS0_14default_configENS1_25partition_config_selectorILNS1_17partition_subalgoE8ElNS0_10empty_typeEbEEZZNS1_14partition_implILS5_8ELb0ES3_jPlPS6_PKS6_NS0_5tupleIJS9_S6_EEENSD_IJSA_SA_EEENS0_18inequality_wrapperIZN2at6native12_GLOBAL__N_124unique_dim_cuda_templateIaEESt5tupleIJNSH_6TensorESM_SM_EERKSM_lbbbEUlllE0_EEPmJS6_EEE10hipError_tPvRmT3_T4_T5_T6_T7_T9_mT8_P12ihipStream_tbDpT10_ENKUlT_T0_E_clISt17integral_constantIbLb0EES1B_IbLb1EEEEDaS17_S18_EUlS17_E_NS1_11comp_targetILNS1_3genE4ELNS1_11target_archE910ELNS1_3gpuE8ELNS1_3repE0EEENS1_30default_config_static_selectorELNS0_4arch9wavefront6targetE0EEEvT1_.kd
    .uniform_work_group_size: 1
    .uses_dynamic_stack: false
    .vgpr_count:     0
    .vgpr_spill_count: 0
    .wavefront_size: 32
  - .args:
      - .offset:         0
        .size:           136
        .value_kind:     by_value
    .group_segment_fixed_size: 0
    .kernarg_segment_align: 8
    .kernarg_segment_size: 136
    .language:       OpenCL C
    .language_version:
      - 2
      - 0
    .max_flat_workgroup_size: 512
    .name:           _ZN7rocprim17ROCPRIM_400000_NS6detail17trampoline_kernelINS0_14default_configENS1_25partition_config_selectorILNS1_17partition_subalgoE8ElNS0_10empty_typeEbEEZZNS1_14partition_implILS5_8ELb0ES3_jPlPS6_PKS6_NS0_5tupleIJS9_S6_EEENSD_IJSA_SA_EEENS0_18inequality_wrapperIZN2at6native12_GLOBAL__N_124unique_dim_cuda_templateIaEESt5tupleIJNSH_6TensorESM_SM_EERKSM_lbbbEUlllE0_EEPmJS6_EEE10hipError_tPvRmT3_T4_T5_T6_T7_T9_mT8_P12ihipStream_tbDpT10_ENKUlT_T0_E_clISt17integral_constantIbLb0EES1B_IbLb1EEEEDaS17_S18_EUlS17_E_NS1_11comp_targetILNS1_3genE3ELNS1_11target_archE908ELNS1_3gpuE7ELNS1_3repE0EEENS1_30default_config_static_selectorELNS0_4arch9wavefront6targetE0EEEvT1_
    .private_segment_fixed_size: 0
    .sgpr_count:     0
    .sgpr_spill_count: 0
    .symbol:         _ZN7rocprim17ROCPRIM_400000_NS6detail17trampoline_kernelINS0_14default_configENS1_25partition_config_selectorILNS1_17partition_subalgoE8ElNS0_10empty_typeEbEEZZNS1_14partition_implILS5_8ELb0ES3_jPlPS6_PKS6_NS0_5tupleIJS9_S6_EEENSD_IJSA_SA_EEENS0_18inequality_wrapperIZN2at6native12_GLOBAL__N_124unique_dim_cuda_templateIaEESt5tupleIJNSH_6TensorESM_SM_EERKSM_lbbbEUlllE0_EEPmJS6_EEE10hipError_tPvRmT3_T4_T5_T6_T7_T9_mT8_P12ihipStream_tbDpT10_ENKUlT_T0_E_clISt17integral_constantIbLb0EES1B_IbLb1EEEEDaS17_S18_EUlS17_E_NS1_11comp_targetILNS1_3genE3ELNS1_11target_archE908ELNS1_3gpuE7ELNS1_3repE0EEENS1_30default_config_static_selectorELNS0_4arch9wavefront6targetE0EEEvT1_.kd
    .uniform_work_group_size: 1
    .uses_dynamic_stack: false
    .vgpr_count:     0
    .vgpr_spill_count: 0
    .wavefront_size: 32
  - .args:
      - .offset:         0
        .size:           136
        .value_kind:     by_value
    .group_segment_fixed_size: 0
    .kernarg_segment_align: 8
    .kernarg_segment_size: 136
    .language:       OpenCL C
    .language_version:
      - 2
      - 0
    .max_flat_workgroup_size: 256
    .name:           _ZN7rocprim17ROCPRIM_400000_NS6detail17trampoline_kernelINS0_14default_configENS1_25partition_config_selectorILNS1_17partition_subalgoE8ElNS0_10empty_typeEbEEZZNS1_14partition_implILS5_8ELb0ES3_jPlPS6_PKS6_NS0_5tupleIJS9_S6_EEENSD_IJSA_SA_EEENS0_18inequality_wrapperIZN2at6native12_GLOBAL__N_124unique_dim_cuda_templateIaEESt5tupleIJNSH_6TensorESM_SM_EERKSM_lbbbEUlllE0_EEPmJS6_EEE10hipError_tPvRmT3_T4_T5_T6_T7_T9_mT8_P12ihipStream_tbDpT10_ENKUlT_T0_E_clISt17integral_constantIbLb0EES1B_IbLb1EEEEDaS17_S18_EUlS17_E_NS1_11comp_targetILNS1_3genE2ELNS1_11target_archE906ELNS1_3gpuE6ELNS1_3repE0EEENS1_30default_config_static_selectorELNS0_4arch9wavefront6targetE0EEEvT1_
    .private_segment_fixed_size: 0
    .sgpr_count:     0
    .sgpr_spill_count: 0
    .symbol:         _ZN7rocprim17ROCPRIM_400000_NS6detail17trampoline_kernelINS0_14default_configENS1_25partition_config_selectorILNS1_17partition_subalgoE8ElNS0_10empty_typeEbEEZZNS1_14partition_implILS5_8ELb0ES3_jPlPS6_PKS6_NS0_5tupleIJS9_S6_EEENSD_IJSA_SA_EEENS0_18inequality_wrapperIZN2at6native12_GLOBAL__N_124unique_dim_cuda_templateIaEESt5tupleIJNSH_6TensorESM_SM_EERKSM_lbbbEUlllE0_EEPmJS6_EEE10hipError_tPvRmT3_T4_T5_T6_T7_T9_mT8_P12ihipStream_tbDpT10_ENKUlT_T0_E_clISt17integral_constantIbLb0EES1B_IbLb1EEEEDaS17_S18_EUlS17_E_NS1_11comp_targetILNS1_3genE2ELNS1_11target_archE906ELNS1_3gpuE6ELNS1_3repE0EEENS1_30default_config_static_selectorELNS0_4arch9wavefront6targetE0EEEvT1_.kd
    .uniform_work_group_size: 1
    .uses_dynamic_stack: false
    .vgpr_count:     0
    .vgpr_spill_count: 0
    .wavefront_size: 32
  - .args:
      - .offset:         0
        .size:           136
        .value_kind:     by_value
    .group_segment_fixed_size: 0
    .kernarg_segment_align: 8
    .kernarg_segment_size: 136
    .language:       OpenCL C
    .language_version:
      - 2
      - 0
    .max_flat_workgroup_size: 384
    .name:           _ZN7rocprim17ROCPRIM_400000_NS6detail17trampoline_kernelINS0_14default_configENS1_25partition_config_selectorILNS1_17partition_subalgoE8ElNS0_10empty_typeEbEEZZNS1_14partition_implILS5_8ELb0ES3_jPlPS6_PKS6_NS0_5tupleIJS9_S6_EEENSD_IJSA_SA_EEENS0_18inequality_wrapperIZN2at6native12_GLOBAL__N_124unique_dim_cuda_templateIaEESt5tupleIJNSH_6TensorESM_SM_EERKSM_lbbbEUlllE0_EEPmJS6_EEE10hipError_tPvRmT3_T4_T5_T6_T7_T9_mT8_P12ihipStream_tbDpT10_ENKUlT_T0_E_clISt17integral_constantIbLb0EES1B_IbLb1EEEEDaS17_S18_EUlS17_E_NS1_11comp_targetILNS1_3genE10ELNS1_11target_archE1200ELNS1_3gpuE4ELNS1_3repE0EEENS1_30default_config_static_selectorELNS0_4arch9wavefront6targetE0EEEvT1_
    .private_segment_fixed_size: 0
    .sgpr_count:     0
    .sgpr_spill_count: 0
    .symbol:         _ZN7rocprim17ROCPRIM_400000_NS6detail17trampoline_kernelINS0_14default_configENS1_25partition_config_selectorILNS1_17partition_subalgoE8ElNS0_10empty_typeEbEEZZNS1_14partition_implILS5_8ELb0ES3_jPlPS6_PKS6_NS0_5tupleIJS9_S6_EEENSD_IJSA_SA_EEENS0_18inequality_wrapperIZN2at6native12_GLOBAL__N_124unique_dim_cuda_templateIaEESt5tupleIJNSH_6TensorESM_SM_EERKSM_lbbbEUlllE0_EEPmJS6_EEE10hipError_tPvRmT3_T4_T5_T6_T7_T9_mT8_P12ihipStream_tbDpT10_ENKUlT_T0_E_clISt17integral_constantIbLb0EES1B_IbLb1EEEEDaS17_S18_EUlS17_E_NS1_11comp_targetILNS1_3genE10ELNS1_11target_archE1200ELNS1_3gpuE4ELNS1_3repE0EEENS1_30default_config_static_selectorELNS0_4arch9wavefront6targetE0EEEvT1_.kd
    .uniform_work_group_size: 1
    .uses_dynamic_stack: false
    .vgpr_count:     0
    .vgpr_spill_count: 0
    .wavefront_size: 32
  - .args:
      - .offset:         0
        .size:           136
        .value_kind:     by_value
    .group_segment_fixed_size: 0
    .kernarg_segment_align: 8
    .kernarg_segment_size: 136
    .language:       OpenCL C
    .language_version:
      - 2
      - 0
    .max_flat_workgroup_size: 512
    .name:           _ZN7rocprim17ROCPRIM_400000_NS6detail17trampoline_kernelINS0_14default_configENS1_25partition_config_selectorILNS1_17partition_subalgoE8ElNS0_10empty_typeEbEEZZNS1_14partition_implILS5_8ELb0ES3_jPlPS6_PKS6_NS0_5tupleIJS9_S6_EEENSD_IJSA_SA_EEENS0_18inequality_wrapperIZN2at6native12_GLOBAL__N_124unique_dim_cuda_templateIaEESt5tupleIJNSH_6TensorESM_SM_EERKSM_lbbbEUlllE0_EEPmJS6_EEE10hipError_tPvRmT3_T4_T5_T6_T7_T9_mT8_P12ihipStream_tbDpT10_ENKUlT_T0_E_clISt17integral_constantIbLb0EES1B_IbLb1EEEEDaS17_S18_EUlS17_E_NS1_11comp_targetILNS1_3genE9ELNS1_11target_archE1100ELNS1_3gpuE3ELNS1_3repE0EEENS1_30default_config_static_selectorELNS0_4arch9wavefront6targetE0EEEvT1_
    .private_segment_fixed_size: 0
    .sgpr_count:     0
    .sgpr_spill_count: 0
    .symbol:         _ZN7rocprim17ROCPRIM_400000_NS6detail17trampoline_kernelINS0_14default_configENS1_25partition_config_selectorILNS1_17partition_subalgoE8ElNS0_10empty_typeEbEEZZNS1_14partition_implILS5_8ELb0ES3_jPlPS6_PKS6_NS0_5tupleIJS9_S6_EEENSD_IJSA_SA_EEENS0_18inequality_wrapperIZN2at6native12_GLOBAL__N_124unique_dim_cuda_templateIaEESt5tupleIJNSH_6TensorESM_SM_EERKSM_lbbbEUlllE0_EEPmJS6_EEE10hipError_tPvRmT3_T4_T5_T6_T7_T9_mT8_P12ihipStream_tbDpT10_ENKUlT_T0_E_clISt17integral_constantIbLb0EES1B_IbLb1EEEEDaS17_S18_EUlS17_E_NS1_11comp_targetILNS1_3genE9ELNS1_11target_archE1100ELNS1_3gpuE3ELNS1_3repE0EEENS1_30default_config_static_selectorELNS0_4arch9wavefront6targetE0EEEvT1_.kd
    .uniform_work_group_size: 1
    .uses_dynamic_stack: false
    .vgpr_count:     0
    .vgpr_spill_count: 0
    .wavefront_size: 32
  - .args:
      - .offset:         0
        .size:           136
        .value_kind:     by_value
    .group_segment_fixed_size: 0
    .kernarg_segment_align: 8
    .kernarg_segment_size: 136
    .language:       OpenCL C
    .language_version:
      - 2
      - 0
    .max_flat_workgroup_size: 512
    .name:           _ZN7rocprim17ROCPRIM_400000_NS6detail17trampoline_kernelINS0_14default_configENS1_25partition_config_selectorILNS1_17partition_subalgoE8ElNS0_10empty_typeEbEEZZNS1_14partition_implILS5_8ELb0ES3_jPlPS6_PKS6_NS0_5tupleIJS9_S6_EEENSD_IJSA_SA_EEENS0_18inequality_wrapperIZN2at6native12_GLOBAL__N_124unique_dim_cuda_templateIaEESt5tupleIJNSH_6TensorESM_SM_EERKSM_lbbbEUlllE0_EEPmJS6_EEE10hipError_tPvRmT3_T4_T5_T6_T7_T9_mT8_P12ihipStream_tbDpT10_ENKUlT_T0_E_clISt17integral_constantIbLb0EES1B_IbLb1EEEEDaS17_S18_EUlS17_E_NS1_11comp_targetILNS1_3genE8ELNS1_11target_archE1030ELNS1_3gpuE2ELNS1_3repE0EEENS1_30default_config_static_selectorELNS0_4arch9wavefront6targetE0EEEvT1_
    .private_segment_fixed_size: 0
    .sgpr_count:     0
    .sgpr_spill_count: 0
    .symbol:         _ZN7rocprim17ROCPRIM_400000_NS6detail17trampoline_kernelINS0_14default_configENS1_25partition_config_selectorILNS1_17partition_subalgoE8ElNS0_10empty_typeEbEEZZNS1_14partition_implILS5_8ELb0ES3_jPlPS6_PKS6_NS0_5tupleIJS9_S6_EEENSD_IJSA_SA_EEENS0_18inequality_wrapperIZN2at6native12_GLOBAL__N_124unique_dim_cuda_templateIaEESt5tupleIJNSH_6TensorESM_SM_EERKSM_lbbbEUlllE0_EEPmJS6_EEE10hipError_tPvRmT3_T4_T5_T6_T7_T9_mT8_P12ihipStream_tbDpT10_ENKUlT_T0_E_clISt17integral_constantIbLb0EES1B_IbLb1EEEEDaS17_S18_EUlS17_E_NS1_11comp_targetILNS1_3genE8ELNS1_11target_archE1030ELNS1_3gpuE2ELNS1_3repE0EEENS1_30default_config_static_selectorELNS0_4arch9wavefront6targetE0EEEvT1_.kd
    .uniform_work_group_size: 1
    .uses_dynamic_stack: false
    .vgpr_count:     0
    .vgpr_spill_count: 0
    .wavefront_size: 32
  - .args:
      - .offset:         0
        .size:           120
        .value_kind:     by_value
    .group_segment_fixed_size: 5128
    .kernarg_segment_align: 8
    .kernarg_segment_size: 120
    .language:       OpenCL C
    .language_version:
      - 2
      - 0
    .max_flat_workgroup_size: 128
    .name:           _ZN7rocprim17ROCPRIM_400000_NS6detail17trampoline_kernelINS0_14default_configENS1_25partition_config_selectorILNS1_17partition_subalgoE9EllbEEZZNS1_14partition_implILS5_9ELb0ES3_jPlS8_PNS0_10empty_typeENS0_5tupleIJS8_S9_EEENSB_IJS8_SA_EEENS0_18inequality_wrapperIZN2at6native12_GLOBAL__N_124unique_dim_cuda_templateIaEESt5tupleIJNSF_6TensorESK_SK_EERKSK_lbbbEUlllE0_EEPmJS9_EEE10hipError_tPvRmT3_T4_T5_T6_T7_T9_mT8_P12ihipStream_tbDpT10_ENKUlT_T0_E_clISt17integral_constantIbLb0EES1A_EEDaS15_S16_EUlS15_E_NS1_11comp_targetILNS1_3genE0ELNS1_11target_archE4294967295ELNS1_3gpuE0ELNS1_3repE0EEENS1_30default_config_static_selectorELNS0_4arch9wavefront6targetE0EEEvT1_
    .private_segment_fixed_size: 0
    .sgpr_count:     34
    .sgpr_spill_count: 0
    .symbol:         _ZN7rocprim17ROCPRIM_400000_NS6detail17trampoline_kernelINS0_14default_configENS1_25partition_config_selectorILNS1_17partition_subalgoE9EllbEEZZNS1_14partition_implILS5_9ELb0ES3_jPlS8_PNS0_10empty_typeENS0_5tupleIJS8_S9_EEENSB_IJS8_SA_EEENS0_18inequality_wrapperIZN2at6native12_GLOBAL__N_124unique_dim_cuda_templateIaEESt5tupleIJNSF_6TensorESK_SK_EERKSK_lbbbEUlllE0_EEPmJS9_EEE10hipError_tPvRmT3_T4_T5_T6_T7_T9_mT8_P12ihipStream_tbDpT10_ENKUlT_T0_E_clISt17integral_constantIbLb0EES1A_EEDaS15_S16_EUlS15_E_NS1_11comp_targetILNS1_3genE0ELNS1_11target_archE4294967295ELNS1_3gpuE0ELNS1_3repE0EEENS1_30default_config_static_selectorELNS0_4arch9wavefront6targetE0EEEvT1_.kd
    .uniform_work_group_size: 1
    .uses_dynamic_stack: false
    .vgpr_count:     56
    .vgpr_spill_count: 0
    .wavefront_size: 32
  - .args:
      - .offset:         0
        .size:           120
        .value_kind:     by_value
    .group_segment_fixed_size: 0
    .kernarg_segment_align: 8
    .kernarg_segment_size: 120
    .language:       OpenCL C
    .language_version:
      - 2
      - 0
    .max_flat_workgroup_size: 512
    .name:           _ZN7rocprim17ROCPRIM_400000_NS6detail17trampoline_kernelINS0_14default_configENS1_25partition_config_selectorILNS1_17partition_subalgoE9EllbEEZZNS1_14partition_implILS5_9ELb0ES3_jPlS8_PNS0_10empty_typeENS0_5tupleIJS8_S9_EEENSB_IJS8_SA_EEENS0_18inequality_wrapperIZN2at6native12_GLOBAL__N_124unique_dim_cuda_templateIaEESt5tupleIJNSF_6TensorESK_SK_EERKSK_lbbbEUlllE0_EEPmJS9_EEE10hipError_tPvRmT3_T4_T5_T6_T7_T9_mT8_P12ihipStream_tbDpT10_ENKUlT_T0_E_clISt17integral_constantIbLb0EES1A_EEDaS15_S16_EUlS15_E_NS1_11comp_targetILNS1_3genE5ELNS1_11target_archE942ELNS1_3gpuE9ELNS1_3repE0EEENS1_30default_config_static_selectorELNS0_4arch9wavefront6targetE0EEEvT1_
    .private_segment_fixed_size: 0
    .sgpr_count:     0
    .sgpr_spill_count: 0
    .symbol:         _ZN7rocprim17ROCPRIM_400000_NS6detail17trampoline_kernelINS0_14default_configENS1_25partition_config_selectorILNS1_17partition_subalgoE9EllbEEZZNS1_14partition_implILS5_9ELb0ES3_jPlS8_PNS0_10empty_typeENS0_5tupleIJS8_S9_EEENSB_IJS8_SA_EEENS0_18inequality_wrapperIZN2at6native12_GLOBAL__N_124unique_dim_cuda_templateIaEESt5tupleIJNSF_6TensorESK_SK_EERKSK_lbbbEUlllE0_EEPmJS9_EEE10hipError_tPvRmT3_T4_T5_T6_T7_T9_mT8_P12ihipStream_tbDpT10_ENKUlT_T0_E_clISt17integral_constantIbLb0EES1A_EEDaS15_S16_EUlS15_E_NS1_11comp_targetILNS1_3genE5ELNS1_11target_archE942ELNS1_3gpuE9ELNS1_3repE0EEENS1_30default_config_static_selectorELNS0_4arch9wavefront6targetE0EEEvT1_.kd
    .uniform_work_group_size: 1
    .uses_dynamic_stack: false
    .vgpr_count:     0
    .vgpr_spill_count: 0
    .wavefront_size: 32
  - .args:
      - .offset:         0
        .size:           120
        .value_kind:     by_value
    .group_segment_fixed_size: 0
    .kernarg_segment_align: 8
    .kernarg_segment_size: 120
    .language:       OpenCL C
    .language_version:
      - 2
      - 0
    .max_flat_workgroup_size: 128
    .name:           _ZN7rocprim17ROCPRIM_400000_NS6detail17trampoline_kernelINS0_14default_configENS1_25partition_config_selectorILNS1_17partition_subalgoE9EllbEEZZNS1_14partition_implILS5_9ELb0ES3_jPlS8_PNS0_10empty_typeENS0_5tupleIJS8_S9_EEENSB_IJS8_SA_EEENS0_18inequality_wrapperIZN2at6native12_GLOBAL__N_124unique_dim_cuda_templateIaEESt5tupleIJNSF_6TensorESK_SK_EERKSK_lbbbEUlllE0_EEPmJS9_EEE10hipError_tPvRmT3_T4_T5_T6_T7_T9_mT8_P12ihipStream_tbDpT10_ENKUlT_T0_E_clISt17integral_constantIbLb0EES1A_EEDaS15_S16_EUlS15_E_NS1_11comp_targetILNS1_3genE4ELNS1_11target_archE910ELNS1_3gpuE8ELNS1_3repE0EEENS1_30default_config_static_selectorELNS0_4arch9wavefront6targetE0EEEvT1_
    .private_segment_fixed_size: 0
    .sgpr_count:     0
    .sgpr_spill_count: 0
    .symbol:         _ZN7rocprim17ROCPRIM_400000_NS6detail17trampoline_kernelINS0_14default_configENS1_25partition_config_selectorILNS1_17partition_subalgoE9EllbEEZZNS1_14partition_implILS5_9ELb0ES3_jPlS8_PNS0_10empty_typeENS0_5tupleIJS8_S9_EEENSB_IJS8_SA_EEENS0_18inequality_wrapperIZN2at6native12_GLOBAL__N_124unique_dim_cuda_templateIaEESt5tupleIJNSF_6TensorESK_SK_EERKSK_lbbbEUlllE0_EEPmJS9_EEE10hipError_tPvRmT3_T4_T5_T6_T7_T9_mT8_P12ihipStream_tbDpT10_ENKUlT_T0_E_clISt17integral_constantIbLb0EES1A_EEDaS15_S16_EUlS15_E_NS1_11comp_targetILNS1_3genE4ELNS1_11target_archE910ELNS1_3gpuE8ELNS1_3repE0EEENS1_30default_config_static_selectorELNS0_4arch9wavefront6targetE0EEEvT1_.kd
    .uniform_work_group_size: 1
    .uses_dynamic_stack: false
    .vgpr_count:     0
    .vgpr_spill_count: 0
    .wavefront_size: 32
  - .args:
      - .offset:         0
        .size:           120
        .value_kind:     by_value
    .group_segment_fixed_size: 0
    .kernarg_segment_align: 8
    .kernarg_segment_size: 120
    .language:       OpenCL C
    .language_version:
      - 2
      - 0
    .max_flat_workgroup_size: 128
    .name:           _ZN7rocprim17ROCPRIM_400000_NS6detail17trampoline_kernelINS0_14default_configENS1_25partition_config_selectorILNS1_17partition_subalgoE9EllbEEZZNS1_14partition_implILS5_9ELb0ES3_jPlS8_PNS0_10empty_typeENS0_5tupleIJS8_S9_EEENSB_IJS8_SA_EEENS0_18inequality_wrapperIZN2at6native12_GLOBAL__N_124unique_dim_cuda_templateIaEESt5tupleIJNSF_6TensorESK_SK_EERKSK_lbbbEUlllE0_EEPmJS9_EEE10hipError_tPvRmT3_T4_T5_T6_T7_T9_mT8_P12ihipStream_tbDpT10_ENKUlT_T0_E_clISt17integral_constantIbLb0EES1A_EEDaS15_S16_EUlS15_E_NS1_11comp_targetILNS1_3genE3ELNS1_11target_archE908ELNS1_3gpuE7ELNS1_3repE0EEENS1_30default_config_static_selectorELNS0_4arch9wavefront6targetE0EEEvT1_
    .private_segment_fixed_size: 0
    .sgpr_count:     0
    .sgpr_spill_count: 0
    .symbol:         _ZN7rocprim17ROCPRIM_400000_NS6detail17trampoline_kernelINS0_14default_configENS1_25partition_config_selectorILNS1_17partition_subalgoE9EllbEEZZNS1_14partition_implILS5_9ELb0ES3_jPlS8_PNS0_10empty_typeENS0_5tupleIJS8_S9_EEENSB_IJS8_SA_EEENS0_18inequality_wrapperIZN2at6native12_GLOBAL__N_124unique_dim_cuda_templateIaEESt5tupleIJNSF_6TensorESK_SK_EERKSK_lbbbEUlllE0_EEPmJS9_EEE10hipError_tPvRmT3_T4_T5_T6_T7_T9_mT8_P12ihipStream_tbDpT10_ENKUlT_T0_E_clISt17integral_constantIbLb0EES1A_EEDaS15_S16_EUlS15_E_NS1_11comp_targetILNS1_3genE3ELNS1_11target_archE908ELNS1_3gpuE7ELNS1_3repE0EEENS1_30default_config_static_selectorELNS0_4arch9wavefront6targetE0EEEvT1_.kd
    .uniform_work_group_size: 1
    .uses_dynamic_stack: false
    .vgpr_count:     0
    .vgpr_spill_count: 0
    .wavefront_size: 32
  - .args:
      - .offset:         0
        .size:           120
        .value_kind:     by_value
    .group_segment_fixed_size: 0
    .kernarg_segment_align: 8
    .kernarg_segment_size: 120
    .language:       OpenCL C
    .language_version:
      - 2
      - 0
    .max_flat_workgroup_size: 192
    .name:           _ZN7rocprim17ROCPRIM_400000_NS6detail17trampoline_kernelINS0_14default_configENS1_25partition_config_selectorILNS1_17partition_subalgoE9EllbEEZZNS1_14partition_implILS5_9ELb0ES3_jPlS8_PNS0_10empty_typeENS0_5tupleIJS8_S9_EEENSB_IJS8_SA_EEENS0_18inequality_wrapperIZN2at6native12_GLOBAL__N_124unique_dim_cuda_templateIaEESt5tupleIJNSF_6TensorESK_SK_EERKSK_lbbbEUlllE0_EEPmJS9_EEE10hipError_tPvRmT3_T4_T5_T6_T7_T9_mT8_P12ihipStream_tbDpT10_ENKUlT_T0_E_clISt17integral_constantIbLb0EES1A_EEDaS15_S16_EUlS15_E_NS1_11comp_targetILNS1_3genE2ELNS1_11target_archE906ELNS1_3gpuE6ELNS1_3repE0EEENS1_30default_config_static_selectorELNS0_4arch9wavefront6targetE0EEEvT1_
    .private_segment_fixed_size: 0
    .sgpr_count:     0
    .sgpr_spill_count: 0
    .symbol:         _ZN7rocprim17ROCPRIM_400000_NS6detail17trampoline_kernelINS0_14default_configENS1_25partition_config_selectorILNS1_17partition_subalgoE9EllbEEZZNS1_14partition_implILS5_9ELb0ES3_jPlS8_PNS0_10empty_typeENS0_5tupleIJS8_S9_EEENSB_IJS8_SA_EEENS0_18inequality_wrapperIZN2at6native12_GLOBAL__N_124unique_dim_cuda_templateIaEESt5tupleIJNSF_6TensorESK_SK_EERKSK_lbbbEUlllE0_EEPmJS9_EEE10hipError_tPvRmT3_T4_T5_T6_T7_T9_mT8_P12ihipStream_tbDpT10_ENKUlT_T0_E_clISt17integral_constantIbLb0EES1A_EEDaS15_S16_EUlS15_E_NS1_11comp_targetILNS1_3genE2ELNS1_11target_archE906ELNS1_3gpuE6ELNS1_3repE0EEENS1_30default_config_static_selectorELNS0_4arch9wavefront6targetE0EEEvT1_.kd
    .uniform_work_group_size: 1
    .uses_dynamic_stack: false
    .vgpr_count:     0
    .vgpr_spill_count: 0
    .wavefront_size: 32
  - .args:
      - .offset:         0
        .size:           120
        .value_kind:     by_value
    .group_segment_fixed_size: 0
    .kernarg_segment_align: 8
    .kernarg_segment_size: 120
    .language:       OpenCL C
    .language_version:
      - 2
      - 0
    .max_flat_workgroup_size: 384
    .name:           _ZN7rocprim17ROCPRIM_400000_NS6detail17trampoline_kernelINS0_14default_configENS1_25partition_config_selectorILNS1_17partition_subalgoE9EllbEEZZNS1_14partition_implILS5_9ELb0ES3_jPlS8_PNS0_10empty_typeENS0_5tupleIJS8_S9_EEENSB_IJS8_SA_EEENS0_18inequality_wrapperIZN2at6native12_GLOBAL__N_124unique_dim_cuda_templateIaEESt5tupleIJNSF_6TensorESK_SK_EERKSK_lbbbEUlllE0_EEPmJS9_EEE10hipError_tPvRmT3_T4_T5_T6_T7_T9_mT8_P12ihipStream_tbDpT10_ENKUlT_T0_E_clISt17integral_constantIbLb0EES1A_EEDaS15_S16_EUlS15_E_NS1_11comp_targetILNS1_3genE10ELNS1_11target_archE1200ELNS1_3gpuE4ELNS1_3repE0EEENS1_30default_config_static_selectorELNS0_4arch9wavefront6targetE0EEEvT1_
    .private_segment_fixed_size: 0
    .sgpr_count:     0
    .sgpr_spill_count: 0
    .symbol:         _ZN7rocprim17ROCPRIM_400000_NS6detail17trampoline_kernelINS0_14default_configENS1_25partition_config_selectorILNS1_17partition_subalgoE9EllbEEZZNS1_14partition_implILS5_9ELb0ES3_jPlS8_PNS0_10empty_typeENS0_5tupleIJS8_S9_EEENSB_IJS8_SA_EEENS0_18inequality_wrapperIZN2at6native12_GLOBAL__N_124unique_dim_cuda_templateIaEESt5tupleIJNSF_6TensorESK_SK_EERKSK_lbbbEUlllE0_EEPmJS9_EEE10hipError_tPvRmT3_T4_T5_T6_T7_T9_mT8_P12ihipStream_tbDpT10_ENKUlT_T0_E_clISt17integral_constantIbLb0EES1A_EEDaS15_S16_EUlS15_E_NS1_11comp_targetILNS1_3genE10ELNS1_11target_archE1200ELNS1_3gpuE4ELNS1_3repE0EEENS1_30default_config_static_selectorELNS0_4arch9wavefront6targetE0EEEvT1_.kd
    .uniform_work_group_size: 1
    .uses_dynamic_stack: false
    .vgpr_count:     0
    .vgpr_spill_count: 0
    .wavefront_size: 32
  - .args:
      - .offset:         0
        .size:           120
        .value_kind:     by_value
    .group_segment_fixed_size: 0
    .kernarg_segment_align: 8
    .kernarg_segment_size: 120
    .language:       OpenCL C
    .language_version:
      - 2
      - 0
    .max_flat_workgroup_size: 512
    .name:           _ZN7rocprim17ROCPRIM_400000_NS6detail17trampoline_kernelINS0_14default_configENS1_25partition_config_selectorILNS1_17partition_subalgoE9EllbEEZZNS1_14partition_implILS5_9ELb0ES3_jPlS8_PNS0_10empty_typeENS0_5tupleIJS8_S9_EEENSB_IJS8_SA_EEENS0_18inequality_wrapperIZN2at6native12_GLOBAL__N_124unique_dim_cuda_templateIaEESt5tupleIJNSF_6TensorESK_SK_EERKSK_lbbbEUlllE0_EEPmJS9_EEE10hipError_tPvRmT3_T4_T5_T6_T7_T9_mT8_P12ihipStream_tbDpT10_ENKUlT_T0_E_clISt17integral_constantIbLb0EES1A_EEDaS15_S16_EUlS15_E_NS1_11comp_targetILNS1_3genE9ELNS1_11target_archE1100ELNS1_3gpuE3ELNS1_3repE0EEENS1_30default_config_static_selectorELNS0_4arch9wavefront6targetE0EEEvT1_
    .private_segment_fixed_size: 0
    .sgpr_count:     0
    .sgpr_spill_count: 0
    .symbol:         _ZN7rocprim17ROCPRIM_400000_NS6detail17trampoline_kernelINS0_14default_configENS1_25partition_config_selectorILNS1_17partition_subalgoE9EllbEEZZNS1_14partition_implILS5_9ELb0ES3_jPlS8_PNS0_10empty_typeENS0_5tupleIJS8_S9_EEENSB_IJS8_SA_EEENS0_18inequality_wrapperIZN2at6native12_GLOBAL__N_124unique_dim_cuda_templateIaEESt5tupleIJNSF_6TensorESK_SK_EERKSK_lbbbEUlllE0_EEPmJS9_EEE10hipError_tPvRmT3_T4_T5_T6_T7_T9_mT8_P12ihipStream_tbDpT10_ENKUlT_T0_E_clISt17integral_constantIbLb0EES1A_EEDaS15_S16_EUlS15_E_NS1_11comp_targetILNS1_3genE9ELNS1_11target_archE1100ELNS1_3gpuE3ELNS1_3repE0EEENS1_30default_config_static_selectorELNS0_4arch9wavefront6targetE0EEEvT1_.kd
    .uniform_work_group_size: 1
    .uses_dynamic_stack: false
    .vgpr_count:     0
    .vgpr_spill_count: 0
    .wavefront_size: 32
  - .args:
      - .offset:         0
        .size:           120
        .value_kind:     by_value
    .group_segment_fixed_size: 0
    .kernarg_segment_align: 8
    .kernarg_segment_size: 120
    .language:       OpenCL C
    .language_version:
      - 2
      - 0
    .max_flat_workgroup_size: 512
    .name:           _ZN7rocprim17ROCPRIM_400000_NS6detail17trampoline_kernelINS0_14default_configENS1_25partition_config_selectorILNS1_17partition_subalgoE9EllbEEZZNS1_14partition_implILS5_9ELb0ES3_jPlS8_PNS0_10empty_typeENS0_5tupleIJS8_S9_EEENSB_IJS8_SA_EEENS0_18inequality_wrapperIZN2at6native12_GLOBAL__N_124unique_dim_cuda_templateIaEESt5tupleIJNSF_6TensorESK_SK_EERKSK_lbbbEUlllE0_EEPmJS9_EEE10hipError_tPvRmT3_T4_T5_T6_T7_T9_mT8_P12ihipStream_tbDpT10_ENKUlT_T0_E_clISt17integral_constantIbLb0EES1A_EEDaS15_S16_EUlS15_E_NS1_11comp_targetILNS1_3genE8ELNS1_11target_archE1030ELNS1_3gpuE2ELNS1_3repE0EEENS1_30default_config_static_selectorELNS0_4arch9wavefront6targetE0EEEvT1_
    .private_segment_fixed_size: 0
    .sgpr_count:     0
    .sgpr_spill_count: 0
    .symbol:         _ZN7rocprim17ROCPRIM_400000_NS6detail17trampoline_kernelINS0_14default_configENS1_25partition_config_selectorILNS1_17partition_subalgoE9EllbEEZZNS1_14partition_implILS5_9ELb0ES3_jPlS8_PNS0_10empty_typeENS0_5tupleIJS8_S9_EEENSB_IJS8_SA_EEENS0_18inequality_wrapperIZN2at6native12_GLOBAL__N_124unique_dim_cuda_templateIaEESt5tupleIJNSF_6TensorESK_SK_EERKSK_lbbbEUlllE0_EEPmJS9_EEE10hipError_tPvRmT3_T4_T5_T6_T7_T9_mT8_P12ihipStream_tbDpT10_ENKUlT_T0_E_clISt17integral_constantIbLb0EES1A_EEDaS15_S16_EUlS15_E_NS1_11comp_targetILNS1_3genE8ELNS1_11target_archE1030ELNS1_3gpuE2ELNS1_3repE0EEENS1_30default_config_static_selectorELNS0_4arch9wavefront6targetE0EEEvT1_.kd
    .uniform_work_group_size: 1
    .uses_dynamic_stack: false
    .vgpr_count:     0
    .vgpr_spill_count: 0
    .wavefront_size: 32
  - .args:
      - .offset:         0
        .size:           136
        .value_kind:     by_value
    .group_segment_fixed_size: 0
    .kernarg_segment_align: 8
    .kernarg_segment_size: 136
    .language:       OpenCL C
    .language_version:
      - 2
      - 0
    .max_flat_workgroup_size: 128
    .name:           _ZN7rocprim17ROCPRIM_400000_NS6detail17trampoline_kernelINS0_14default_configENS1_25partition_config_selectorILNS1_17partition_subalgoE9EllbEEZZNS1_14partition_implILS5_9ELb0ES3_jPlS8_PNS0_10empty_typeENS0_5tupleIJS8_S9_EEENSB_IJS8_SA_EEENS0_18inequality_wrapperIZN2at6native12_GLOBAL__N_124unique_dim_cuda_templateIaEESt5tupleIJNSF_6TensorESK_SK_EERKSK_lbbbEUlllE0_EEPmJS9_EEE10hipError_tPvRmT3_T4_T5_T6_T7_T9_mT8_P12ihipStream_tbDpT10_ENKUlT_T0_E_clISt17integral_constantIbLb1EES1A_EEDaS15_S16_EUlS15_E_NS1_11comp_targetILNS1_3genE0ELNS1_11target_archE4294967295ELNS1_3gpuE0ELNS1_3repE0EEENS1_30default_config_static_selectorELNS0_4arch9wavefront6targetE0EEEvT1_
    .private_segment_fixed_size: 0
    .sgpr_count:     0
    .sgpr_spill_count: 0
    .symbol:         _ZN7rocprim17ROCPRIM_400000_NS6detail17trampoline_kernelINS0_14default_configENS1_25partition_config_selectorILNS1_17partition_subalgoE9EllbEEZZNS1_14partition_implILS5_9ELb0ES3_jPlS8_PNS0_10empty_typeENS0_5tupleIJS8_S9_EEENSB_IJS8_SA_EEENS0_18inequality_wrapperIZN2at6native12_GLOBAL__N_124unique_dim_cuda_templateIaEESt5tupleIJNSF_6TensorESK_SK_EERKSK_lbbbEUlllE0_EEPmJS9_EEE10hipError_tPvRmT3_T4_T5_T6_T7_T9_mT8_P12ihipStream_tbDpT10_ENKUlT_T0_E_clISt17integral_constantIbLb1EES1A_EEDaS15_S16_EUlS15_E_NS1_11comp_targetILNS1_3genE0ELNS1_11target_archE4294967295ELNS1_3gpuE0ELNS1_3repE0EEENS1_30default_config_static_selectorELNS0_4arch9wavefront6targetE0EEEvT1_.kd
    .uniform_work_group_size: 1
    .uses_dynamic_stack: false
    .vgpr_count:     0
    .vgpr_spill_count: 0
    .wavefront_size: 32
  - .args:
      - .offset:         0
        .size:           136
        .value_kind:     by_value
    .group_segment_fixed_size: 0
    .kernarg_segment_align: 8
    .kernarg_segment_size: 136
    .language:       OpenCL C
    .language_version:
      - 2
      - 0
    .max_flat_workgroup_size: 512
    .name:           _ZN7rocprim17ROCPRIM_400000_NS6detail17trampoline_kernelINS0_14default_configENS1_25partition_config_selectorILNS1_17partition_subalgoE9EllbEEZZNS1_14partition_implILS5_9ELb0ES3_jPlS8_PNS0_10empty_typeENS0_5tupleIJS8_S9_EEENSB_IJS8_SA_EEENS0_18inequality_wrapperIZN2at6native12_GLOBAL__N_124unique_dim_cuda_templateIaEESt5tupleIJNSF_6TensorESK_SK_EERKSK_lbbbEUlllE0_EEPmJS9_EEE10hipError_tPvRmT3_T4_T5_T6_T7_T9_mT8_P12ihipStream_tbDpT10_ENKUlT_T0_E_clISt17integral_constantIbLb1EES1A_EEDaS15_S16_EUlS15_E_NS1_11comp_targetILNS1_3genE5ELNS1_11target_archE942ELNS1_3gpuE9ELNS1_3repE0EEENS1_30default_config_static_selectorELNS0_4arch9wavefront6targetE0EEEvT1_
    .private_segment_fixed_size: 0
    .sgpr_count:     0
    .sgpr_spill_count: 0
    .symbol:         _ZN7rocprim17ROCPRIM_400000_NS6detail17trampoline_kernelINS0_14default_configENS1_25partition_config_selectorILNS1_17partition_subalgoE9EllbEEZZNS1_14partition_implILS5_9ELb0ES3_jPlS8_PNS0_10empty_typeENS0_5tupleIJS8_S9_EEENSB_IJS8_SA_EEENS0_18inequality_wrapperIZN2at6native12_GLOBAL__N_124unique_dim_cuda_templateIaEESt5tupleIJNSF_6TensorESK_SK_EERKSK_lbbbEUlllE0_EEPmJS9_EEE10hipError_tPvRmT3_T4_T5_T6_T7_T9_mT8_P12ihipStream_tbDpT10_ENKUlT_T0_E_clISt17integral_constantIbLb1EES1A_EEDaS15_S16_EUlS15_E_NS1_11comp_targetILNS1_3genE5ELNS1_11target_archE942ELNS1_3gpuE9ELNS1_3repE0EEENS1_30default_config_static_selectorELNS0_4arch9wavefront6targetE0EEEvT1_.kd
    .uniform_work_group_size: 1
    .uses_dynamic_stack: false
    .vgpr_count:     0
    .vgpr_spill_count: 0
    .wavefront_size: 32
  - .args:
      - .offset:         0
        .size:           136
        .value_kind:     by_value
    .group_segment_fixed_size: 0
    .kernarg_segment_align: 8
    .kernarg_segment_size: 136
    .language:       OpenCL C
    .language_version:
      - 2
      - 0
    .max_flat_workgroup_size: 128
    .name:           _ZN7rocprim17ROCPRIM_400000_NS6detail17trampoline_kernelINS0_14default_configENS1_25partition_config_selectorILNS1_17partition_subalgoE9EllbEEZZNS1_14partition_implILS5_9ELb0ES3_jPlS8_PNS0_10empty_typeENS0_5tupleIJS8_S9_EEENSB_IJS8_SA_EEENS0_18inequality_wrapperIZN2at6native12_GLOBAL__N_124unique_dim_cuda_templateIaEESt5tupleIJNSF_6TensorESK_SK_EERKSK_lbbbEUlllE0_EEPmJS9_EEE10hipError_tPvRmT3_T4_T5_T6_T7_T9_mT8_P12ihipStream_tbDpT10_ENKUlT_T0_E_clISt17integral_constantIbLb1EES1A_EEDaS15_S16_EUlS15_E_NS1_11comp_targetILNS1_3genE4ELNS1_11target_archE910ELNS1_3gpuE8ELNS1_3repE0EEENS1_30default_config_static_selectorELNS0_4arch9wavefront6targetE0EEEvT1_
    .private_segment_fixed_size: 0
    .sgpr_count:     0
    .sgpr_spill_count: 0
    .symbol:         _ZN7rocprim17ROCPRIM_400000_NS6detail17trampoline_kernelINS0_14default_configENS1_25partition_config_selectorILNS1_17partition_subalgoE9EllbEEZZNS1_14partition_implILS5_9ELb0ES3_jPlS8_PNS0_10empty_typeENS0_5tupleIJS8_S9_EEENSB_IJS8_SA_EEENS0_18inequality_wrapperIZN2at6native12_GLOBAL__N_124unique_dim_cuda_templateIaEESt5tupleIJNSF_6TensorESK_SK_EERKSK_lbbbEUlllE0_EEPmJS9_EEE10hipError_tPvRmT3_T4_T5_T6_T7_T9_mT8_P12ihipStream_tbDpT10_ENKUlT_T0_E_clISt17integral_constantIbLb1EES1A_EEDaS15_S16_EUlS15_E_NS1_11comp_targetILNS1_3genE4ELNS1_11target_archE910ELNS1_3gpuE8ELNS1_3repE0EEENS1_30default_config_static_selectorELNS0_4arch9wavefront6targetE0EEEvT1_.kd
    .uniform_work_group_size: 1
    .uses_dynamic_stack: false
    .vgpr_count:     0
    .vgpr_spill_count: 0
    .wavefront_size: 32
  - .args:
      - .offset:         0
        .size:           136
        .value_kind:     by_value
    .group_segment_fixed_size: 0
    .kernarg_segment_align: 8
    .kernarg_segment_size: 136
    .language:       OpenCL C
    .language_version:
      - 2
      - 0
    .max_flat_workgroup_size: 128
    .name:           _ZN7rocprim17ROCPRIM_400000_NS6detail17trampoline_kernelINS0_14default_configENS1_25partition_config_selectorILNS1_17partition_subalgoE9EllbEEZZNS1_14partition_implILS5_9ELb0ES3_jPlS8_PNS0_10empty_typeENS0_5tupleIJS8_S9_EEENSB_IJS8_SA_EEENS0_18inequality_wrapperIZN2at6native12_GLOBAL__N_124unique_dim_cuda_templateIaEESt5tupleIJNSF_6TensorESK_SK_EERKSK_lbbbEUlllE0_EEPmJS9_EEE10hipError_tPvRmT3_T4_T5_T6_T7_T9_mT8_P12ihipStream_tbDpT10_ENKUlT_T0_E_clISt17integral_constantIbLb1EES1A_EEDaS15_S16_EUlS15_E_NS1_11comp_targetILNS1_3genE3ELNS1_11target_archE908ELNS1_3gpuE7ELNS1_3repE0EEENS1_30default_config_static_selectorELNS0_4arch9wavefront6targetE0EEEvT1_
    .private_segment_fixed_size: 0
    .sgpr_count:     0
    .sgpr_spill_count: 0
    .symbol:         _ZN7rocprim17ROCPRIM_400000_NS6detail17trampoline_kernelINS0_14default_configENS1_25partition_config_selectorILNS1_17partition_subalgoE9EllbEEZZNS1_14partition_implILS5_9ELb0ES3_jPlS8_PNS0_10empty_typeENS0_5tupleIJS8_S9_EEENSB_IJS8_SA_EEENS0_18inequality_wrapperIZN2at6native12_GLOBAL__N_124unique_dim_cuda_templateIaEESt5tupleIJNSF_6TensorESK_SK_EERKSK_lbbbEUlllE0_EEPmJS9_EEE10hipError_tPvRmT3_T4_T5_T6_T7_T9_mT8_P12ihipStream_tbDpT10_ENKUlT_T0_E_clISt17integral_constantIbLb1EES1A_EEDaS15_S16_EUlS15_E_NS1_11comp_targetILNS1_3genE3ELNS1_11target_archE908ELNS1_3gpuE7ELNS1_3repE0EEENS1_30default_config_static_selectorELNS0_4arch9wavefront6targetE0EEEvT1_.kd
    .uniform_work_group_size: 1
    .uses_dynamic_stack: false
    .vgpr_count:     0
    .vgpr_spill_count: 0
    .wavefront_size: 32
  - .args:
      - .offset:         0
        .size:           136
        .value_kind:     by_value
    .group_segment_fixed_size: 0
    .kernarg_segment_align: 8
    .kernarg_segment_size: 136
    .language:       OpenCL C
    .language_version:
      - 2
      - 0
    .max_flat_workgroup_size: 192
    .name:           _ZN7rocprim17ROCPRIM_400000_NS6detail17trampoline_kernelINS0_14default_configENS1_25partition_config_selectorILNS1_17partition_subalgoE9EllbEEZZNS1_14partition_implILS5_9ELb0ES3_jPlS8_PNS0_10empty_typeENS0_5tupleIJS8_S9_EEENSB_IJS8_SA_EEENS0_18inequality_wrapperIZN2at6native12_GLOBAL__N_124unique_dim_cuda_templateIaEESt5tupleIJNSF_6TensorESK_SK_EERKSK_lbbbEUlllE0_EEPmJS9_EEE10hipError_tPvRmT3_T4_T5_T6_T7_T9_mT8_P12ihipStream_tbDpT10_ENKUlT_T0_E_clISt17integral_constantIbLb1EES1A_EEDaS15_S16_EUlS15_E_NS1_11comp_targetILNS1_3genE2ELNS1_11target_archE906ELNS1_3gpuE6ELNS1_3repE0EEENS1_30default_config_static_selectorELNS0_4arch9wavefront6targetE0EEEvT1_
    .private_segment_fixed_size: 0
    .sgpr_count:     0
    .sgpr_spill_count: 0
    .symbol:         _ZN7rocprim17ROCPRIM_400000_NS6detail17trampoline_kernelINS0_14default_configENS1_25partition_config_selectorILNS1_17partition_subalgoE9EllbEEZZNS1_14partition_implILS5_9ELb0ES3_jPlS8_PNS0_10empty_typeENS0_5tupleIJS8_S9_EEENSB_IJS8_SA_EEENS0_18inequality_wrapperIZN2at6native12_GLOBAL__N_124unique_dim_cuda_templateIaEESt5tupleIJNSF_6TensorESK_SK_EERKSK_lbbbEUlllE0_EEPmJS9_EEE10hipError_tPvRmT3_T4_T5_T6_T7_T9_mT8_P12ihipStream_tbDpT10_ENKUlT_T0_E_clISt17integral_constantIbLb1EES1A_EEDaS15_S16_EUlS15_E_NS1_11comp_targetILNS1_3genE2ELNS1_11target_archE906ELNS1_3gpuE6ELNS1_3repE0EEENS1_30default_config_static_selectorELNS0_4arch9wavefront6targetE0EEEvT1_.kd
    .uniform_work_group_size: 1
    .uses_dynamic_stack: false
    .vgpr_count:     0
    .vgpr_spill_count: 0
    .wavefront_size: 32
  - .args:
      - .offset:         0
        .size:           136
        .value_kind:     by_value
    .group_segment_fixed_size: 0
    .kernarg_segment_align: 8
    .kernarg_segment_size: 136
    .language:       OpenCL C
    .language_version:
      - 2
      - 0
    .max_flat_workgroup_size: 384
    .name:           _ZN7rocprim17ROCPRIM_400000_NS6detail17trampoline_kernelINS0_14default_configENS1_25partition_config_selectorILNS1_17partition_subalgoE9EllbEEZZNS1_14partition_implILS5_9ELb0ES3_jPlS8_PNS0_10empty_typeENS0_5tupleIJS8_S9_EEENSB_IJS8_SA_EEENS0_18inequality_wrapperIZN2at6native12_GLOBAL__N_124unique_dim_cuda_templateIaEESt5tupleIJNSF_6TensorESK_SK_EERKSK_lbbbEUlllE0_EEPmJS9_EEE10hipError_tPvRmT3_T4_T5_T6_T7_T9_mT8_P12ihipStream_tbDpT10_ENKUlT_T0_E_clISt17integral_constantIbLb1EES1A_EEDaS15_S16_EUlS15_E_NS1_11comp_targetILNS1_3genE10ELNS1_11target_archE1200ELNS1_3gpuE4ELNS1_3repE0EEENS1_30default_config_static_selectorELNS0_4arch9wavefront6targetE0EEEvT1_
    .private_segment_fixed_size: 0
    .sgpr_count:     0
    .sgpr_spill_count: 0
    .symbol:         _ZN7rocprim17ROCPRIM_400000_NS6detail17trampoline_kernelINS0_14default_configENS1_25partition_config_selectorILNS1_17partition_subalgoE9EllbEEZZNS1_14partition_implILS5_9ELb0ES3_jPlS8_PNS0_10empty_typeENS0_5tupleIJS8_S9_EEENSB_IJS8_SA_EEENS0_18inequality_wrapperIZN2at6native12_GLOBAL__N_124unique_dim_cuda_templateIaEESt5tupleIJNSF_6TensorESK_SK_EERKSK_lbbbEUlllE0_EEPmJS9_EEE10hipError_tPvRmT3_T4_T5_T6_T7_T9_mT8_P12ihipStream_tbDpT10_ENKUlT_T0_E_clISt17integral_constantIbLb1EES1A_EEDaS15_S16_EUlS15_E_NS1_11comp_targetILNS1_3genE10ELNS1_11target_archE1200ELNS1_3gpuE4ELNS1_3repE0EEENS1_30default_config_static_selectorELNS0_4arch9wavefront6targetE0EEEvT1_.kd
    .uniform_work_group_size: 1
    .uses_dynamic_stack: false
    .vgpr_count:     0
    .vgpr_spill_count: 0
    .wavefront_size: 32
  - .args:
      - .offset:         0
        .size:           136
        .value_kind:     by_value
    .group_segment_fixed_size: 0
    .kernarg_segment_align: 8
    .kernarg_segment_size: 136
    .language:       OpenCL C
    .language_version:
      - 2
      - 0
    .max_flat_workgroup_size: 512
    .name:           _ZN7rocprim17ROCPRIM_400000_NS6detail17trampoline_kernelINS0_14default_configENS1_25partition_config_selectorILNS1_17partition_subalgoE9EllbEEZZNS1_14partition_implILS5_9ELb0ES3_jPlS8_PNS0_10empty_typeENS0_5tupleIJS8_S9_EEENSB_IJS8_SA_EEENS0_18inequality_wrapperIZN2at6native12_GLOBAL__N_124unique_dim_cuda_templateIaEESt5tupleIJNSF_6TensorESK_SK_EERKSK_lbbbEUlllE0_EEPmJS9_EEE10hipError_tPvRmT3_T4_T5_T6_T7_T9_mT8_P12ihipStream_tbDpT10_ENKUlT_T0_E_clISt17integral_constantIbLb1EES1A_EEDaS15_S16_EUlS15_E_NS1_11comp_targetILNS1_3genE9ELNS1_11target_archE1100ELNS1_3gpuE3ELNS1_3repE0EEENS1_30default_config_static_selectorELNS0_4arch9wavefront6targetE0EEEvT1_
    .private_segment_fixed_size: 0
    .sgpr_count:     0
    .sgpr_spill_count: 0
    .symbol:         _ZN7rocprim17ROCPRIM_400000_NS6detail17trampoline_kernelINS0_14default_configENS1_25partition_config_selectorILNS1_17partition_subalgoE9EllbEEZZNS1_14partition_implILS5_9ELb0ES3_jPlS8_PNS0_10empty_typeENS0_5tupleIJS8_S9_EEENSB_IJS8_SA_EEENS0_18inequality_wrapperIZN2at6native12_GLOBAL__N_124unique_dim_cuda_templateIaEESt5tupleIJNSF_6TensorESK_SK_EERKSK_lbbbEUlllE0_EEPmJS9_EEE10hipError_tPvRmT3_T4_T5_T6_T7_T9_mT8_P12ihipStream_tbDpT10_ENKUlT_T0_E_clISt17integral_constantIbLb1EES1A_EEDaS15_S16_EUlS15_E_NS1_11comp_targetILNS1_3genE9ELNS1_11target_archE1100ELNS1_3gpuE3ELNS1_3repE0EEENS1_30default_config_static_selectorELNS0_4arch9wavefront6targetE0EEEvT1_.kd
    .uniform_work_group_size: 1
    .uses_dynamic_stack: false
    .vgpr_count:     0
    .vgpr_spill_count: 0
    .wavefront_size: 32
  - .args:
      - .offset:         0
        .size:           136
        .value_kind:     by_value
    .group_segment_fixed_size: 0
    .kernarg_segment_align: 8
    .kernarg_segment_size: 136
    .language:       OpenCL C
    .language_version:
      - 2
      - 0
    .max_flat_workgroup_size: 512
    .name:           _ZN7rocprim17ROCPRIM_400000_NS6detail17trampoline_kernelINS0_14default_configENS1_25partition_config_selectorILNS1_17partition_subalgoE9EllbEEZZNS1_14partition_implILS5_9ELb0ES3_jPlS8_PNS0_10empty_typeENS0_5tupleIJS8_S9_EEENSB_IJS8_SA_EEENS0_18inequality_wrapperIZN2at6native12_GLOBAL__N_124unique_dim_cuda_templateIaEESt5tupleIJNSF_6TensorESK_SK_EERKSK_lbbbEUlllE0_EEPmJS9_EEE10hipError_tPvRmT3_T4_T5_T6_T7_T9_mT8_P12ihipStream_tbDpT10_ENKUlT_T0_E_clISt17integral_constantIbLb1EES1A_EEDaS15_S16_EUlS15_E_NS1_11comp_targetILNS1_3genE8ELNS1_11target_archE1030ELNS1_3gpuE2ELNS1_3repE0EEENS1_30default_config_static_selectorELNS0_4arch9wavefront6targetE0EEEvT1_
    .private_segment_fixed_size: 0
    .sgpr_count:     0
    .sgpr_spill_count: 0
    .symbol:         _ZN7rocprim17ROCPRIM_400000_NS6detail17trampoline_kernelINS0_14default_configENS1_25partition_config_selectorILNS1_17partition_subalgoE9EllbEEZZNS1_14partition_implILS5_9ELb0ES3_jPlS8_PNS0_10empty_typeENS0_5tupleIJS8_S9_EEENSB_IJS8_SA_EEENS0_18inequality_wrapperIZN2at6native12_GLOBAL__N_124unique_dim_cuda_templateIaEESt5tupleIJNSF_6TensorESK_SK_EERKSK_lbbbEUlllE0_EEPmJS9_EEE10hipError_tPvRmT3_T4_T5_T6_T7_T9_mT8_P12ihipStream_tbDpT10_ENKUlT_T0_E_clISt17integral_constantIbLb1EES1A_EEDaS15_S16_EUlS15_E_NS1_11comp_targetILNS1_3genE8ELNS1_11target_archE1030ELNS1_3gpuE2ELNS1_3repE0EEENS1_30default_config_static_selectorELNS0_4arch9wavefront6targetE0EEEvT1_.kd
    .uniform_work_group_size: 1
    .uses_dynamic_stack: false
    .vgpr_count:     0
    .vgpr_spill_count: 0
    .wavefront_size: 32
  - .args:
      - .offset:         0
        .size:           120
        .value_kind:     by_value
    .group_segment_fixed_size: 0
    .kernarg_segment_align: 8
    .kernarg_segment_size: 120
    .language:       OpenCL C
    .language_version:
      - 2
      - 0
    .max_flat_workgroup_size: 128
    .name:           _ZN7rocprim17ROCPRIM_400000_NS6detail17trampoline_kernelINS0_14default_configENS1_25partition_config_selectorILNS1_17partition_subalgoE9EllbEEZZNS1_14partition_implILS5_9ELb0ES3_jPlS8_PNS0_10empty_typeENS0_5tupleIJS8_S9_EEENSB_IJS8_SA_EEENS0_18inequality_wrapperIZN2at6native12_GLOBAL__N_124unique_dim_cuda_templateIaEESt5tupleIJNSF_6TensorESK_SK_EERKSK_lbbbEUlllE0_EEPmJS9_EEE10hipError_tPvRmT3_T4_T5_T6_T7_T9_mT8_P12ihipStream_tbDpT10_ENKUlT_T0_E_clISt17integral_constantIbLb1EES19_IbLb0EEEEDaS15_S16_EUlS15_E_NS1_11comp_targetILNS1_3genE0ELNS1_11target_archE4294967295ELNS1_3gpuE0ELNS1_3repE0EEENS1_30default_config_static_selectorELNS0_4arch9wavefront6targetE0EEEvT1_
    .private_segment_fixed_size: 0
    .sgpr_count:     0
    .sgpr_spill_count: 0
    .symbol:         _ZN7rocprim17ROCPRIM_400000_NS6detail17trampoline_kernelINS0_14default_configENS1_25partition_config_selectorILNS1_17partition_subalgoE9EllbEEZZNS1_14partition_implILS5_9ELb0ES3_jPlS8_PNS0_10empty_typeENS0_5tupleIJS8_S9_EEENSB_IJS8_SA_EEENS0_18inequality_wrapperIZN2at6native12_GLOBAL__N_124unique_dim_cuda_templateIaEESt5tupleIJNSF_6TensorESK_SK_EERKSK_lbbbEUlllE0_EEPmJS9_EEE10hipError_tPvRmT3_T4_T5_T6_T7_T9_mT8_P12ihipStream_tbDpT10_ENKUlT_T0_E_clISt17integral_constantIbLb1EES19_IbLb0EEEEDaS15_S16_EUlS15_E_NS1_11comp_targetILNS1_3genE0ELNS1_11target_archE4294967295ELNS1_3gpuE0ELNS1_3repE0EEENS1_30default_config_static_selectorELNS0_4arch9wavefront6targetE0EEEvT1_.kd
    .uniform_work_group_size: 1
    .uses_dynamic_stack: false
    .vgpr_count:     0
    .vgpr_spill_count: 0
    .wavefront_size: 32
  - .args:
      - .offset:         0
        .size:           120
        .value_kind:     by_value
    .group_segment_fixed_size: 0
    .kernarg_segment_align: 8
    .kernarg_segment_size: 120
    .language:       OpenCL C
    .language_version:
      - 2
      - 0
    .max_flat_workgroup_size: 512
    .name:           _ZN7rocprim17ROCPRIM_400000_NS6detail17trampoline_kernelINS0_14default_configENS1_25partition_config_selectorILNS1_17partition_subalgoE9EllbEEZZNS1_14partition_implILS5_9ELb0ES3_jPlS8_PNS0_10empty_typeENS0_5tupleIJS8_S9_EEENSB_IJS8_SA_EEENS0_18inequality_wrapperIZN2at6native12_GLOBAL__N_124unique_dim_cuda_templateIaEESt5tupleIJNSF_6TensorESK_SK_EERKSK_lbbbEUlllE0_EEPmJS9_EEE10hipError_tPvRmT3_T4_T5_T6_T7_T9_mT8_P12ihipStream_tbDpT10_ENKUlT_T0_E_clISt17integral_constantIbLb1EES19_IbLb0EEEEDaS15_S16_EUlS15_E_NS1_11comp_targetILNS1_3genE5ELNS1_11target_archE942ELNS1_3gpuE9ELNS1_3repE0EEENS1_30default_config_static_selectorELNS0_4arch9wavefront6targetE0EEEvT1_
    .private_segment_fixed_size: 0
    .sgpr_count:     0
    .sgpr_spill_count: 0
    .symbol:         _ZN7rocprim17ROCPRIM_400000_NS6detail17trampoline_kernelINS0_14default_configENS1_25partition_config_selectorILNS1_17partition_subalgoE9EllbEEZZNS1_14partition_implILS5_9ELb0ES3_jPlS8_PNS0_10empty_typeENS0_5tupleIJS8_S9_EEENSB_IJS8_SA_EEENS0_18inequality_wrapperIZN2at6native12_GLOBAL__N_124unique_dim_cuda_templateIaEESt5tupleIJNSF_6TensorESK_SK_EERKSK_lbbbEUlllE0_EEPmJS9_EEE10hipError_tPvRmT3_T4_T5_T6_T7_T9_mT8_P12ihipStream_tbDpT10_ENKUlT_T0_E_clISt17integral_constantIbLb1EES19_IbLb0EEEEDaS15_S16_EUlS15_E_NS1_11comp_targetILNS1_3genE5ELNS1_11target_archE942ELNS1_3gpuE9ELNS1_3repE0EEENS1_30default_config_static_selectorELNS0_4arch9wavefront6targetE0EEEvT1_.kd
    .uniform_work_group_size: 1
    .uses_dynamic_stack: false
    .vgpr_count:     0
    .vgpr_spill_count: 0
    .wavefront_size: 32
  - .args:
      - .offset:         0
        .size:           120
        .value_kind:     by_value
    .group_segment_fixed_size: 0
    .kernarg_segment_align: 8
    .kernarg_segment_size: 120
    .language:       OpenCL C
    .language_version:
      - 2
      - 0
    .max_flat_workgroup_size: 128
    .name:           _ZN7rocprim17ROCPRIM_400000_NS6detail17trampoline_kernelINS0_14default_configENS1_25partition_config_selectorILNS1_17partition_subalgoE9EllbEEZZNS1_14partition_implILS5_9ELb0ES3_jPlS8_PNS0_10empty_typeENS0_5tupleIJS8_S9_EEENSB_IJS8_SA_EEENS0_18inequality_wrapperIZN2at6native12_GLOBAL__N_124unique_dim_cuda_templateIaEESt5tupleIJNSF_6TensorESK_SK_EERKSK_lbbbEUlllE0_EEPmJS9_EEE10hipError_tPvRmT3_T4_T5_T6_T7_T9_mT8_P12ihipStream_tbDpT10_ENKUlT_T0_E_clISt17integral_constantIbLb1EES19_IbLb0EEEEDaS15_S16_EUlS15_E_NS1_11comp_targetILNS1_3genE4ELNS1_11target_archE910ELNS1_3gpuE8ELNS1_3repE0EEENS1_30default_config_static_selectorELNS0_4arch9wavefront6targetE0EEEvT1_
    .private_segment_fixed_size: 0
    .sgpr_count:     0
    .sgpr_spill_count: 0
    .symbol:         _ZN7rocprim17ROCPRIM_400000_NS6detail17trampoline_kernelINS0_14default_configENS1_25partition_config_selectorILNS1_17partition_subalgoE9EllbEEZZNS1_14partition_implILS5_9ELb0ES3_jPlS8_PNS0_10empty_typeENS0_5tupleIJS8_S9_EEENSB_IJS8_SA_EEENS0_18inequality_wrapperIZN2at6native12_GLOBAL__N_124unique_dim_cuda_templateIaEESt5tupleIJNSF_6TensorESK_SK_EERKSK_lbbbEUlllE0_EEPmJS9_EEE10hipError_tPvRmT3_T4_T5_T6_T7_T9_mT8_P12ihipStream_tbDpT10_ENKUlT_T0_E_clISt17integral_constantIbLb1EES19_IbLb0EEEEDaS15_S16_EUlS15_E_NS1_11comp_targetILNS1_3genE4ELNS1_11target_archE910ELNS1_3gpuE8ELNS1_3repE0EEENS1_30default_config_static_selectorELNS0_4arch9wavefront6targetE0EEEvT1_.kd
    .uniform_work_group_size: 1
    .uses_dynamic_stack: false
    .vgpr_count:     0
    .vgpr_spill_count: 0
    .wavefront_size: 32
  - .args:
      - .offset:         0
        .size:           120
        .value_kind:     by_value
    .group_segment_fixed_size: 0
    .kernarg_segment_align: 8
    .kernarg_segment_size: 120
    .language:       OpenCL C
    .language_version:
      - 2
      - 0
    .max_flat_workgroup_size: 128
    .name:           _ZN7rocprim17ROCPRIM_400000_NS6detail17trampoline_kernelINS0_14default_configENS1_25partition_config_selectorILNS1_17partition_subalgoE9EllbEEZZNS1_14partition_implILS5_9ELb0ES3_jPlS8_PNS0_10empty_typeENS0_5tupleIJS8_S9_EEENSB_IJS8_SA_EEENS0_18inequality_wrapperIZN2at6native12_GLOBAL__N_124unique_dim_cuda_templateIaEESt5tupleIJNSF_6TensorESK_SK_EERKSK_lbbbEUlllE0_EEPmJS9_EEE10hipError_tPvRmT3_T4_T5_T6_T7_T9_mT8_P12ihipStream_tbDpT10_ENKUlT_T0_E_clISt17integral_constantIbLb1EES19_IbLb0EEEEDaS15_S16_EUlS15_E_NS1_11comp_targetILNS1_3genE3ELNS1_11target_archE908ELNS1_3gpuE7ELNS1_3repE0EEENS1_30default_config_static_selectorELNS0_4arch9wavefront6targetE0EEEvT1_
    .private_segment_fixed_size: 0
    .sgpr_count:     0
    .sgpr_spill_count: 0
    .symbol:         _ZN7rocprim17ROCPRIM_400000_NS6detail17trampoline_kernelINS0_14default_configENS1_25partition_config_selectorILNS1_17partition_subalgoE9EllbEEZZNS1_14partition_implILS5_9ELb0ES3_jPlS8_PNS0_10empty_typeENS0_5tupleIJS8_S9_EEENSB_IJS8_SA_EEENS0_18inequality_wrapperIZN2at6native12_GLOBAL__N_124unique_dim_cuda_templateIaEESt5tupleIJNSF_6TensorESK_SK_EERKSK_lbbbEUlllE0_EEPmJS9_EEE10hipError_tPvRmT3_T4_T5_T6_T7_T9_mT8_P12ihipStream_tbDpT10_ENKUlT_T0_E_clISt17integral_constantIbLb1EES19_IbLb0EEEEDaS15_S16_EUlS15_E_NS1_11comp_targetILNS1_3genE3ELNS1_11target_archE908ELNS1_3gpuE7ELNS1_3repE0EEENS1_30default_config_static_selectorELNS0_4arch9wavefront6targetE0EEEvT1_.kd
    .uniform_work_group_size: 1
    .uses_dynamic_stack: false
    .vgpr_count:     0
    .vgpr_spill_count: 0
    .wavefront_size: 32
  - .args:
      - .offset:         0
        .size:           120
        .value_kind:     by_value
    .group_segment_fixed_size: 0
    .kernarg_segment_align: 8
    .kernarg_segment_size: 120
    .language:       OpenCL C
    .language_version:
      - 2
      - 0
    .max_flat_workgroup_size: 192
    .name:           _ZN7rocprim17ROCPRIM_400000_NS6detail17trampoline_kernelINS0_14default_configENS1_25partition_config_selectorILNS1_17partition_subalgoE9EllbEEZZNS1_14partition_implILS5_9ELb0ES3_jPlS8_PNS0_10empty_typeENS0_5tupleIJS8_S9_EEENSB_IJS8_SA_EEENS0_18inequality_wrapperIZN2at6native12_GLOBAL__N_124unique_dim_cuda_templateIaEESt5tupleIJNSF_6TensorESK_SK_EERKSK_lbbbEUlllE0_EEPmJS9_EEE10hipError_tPvRmT3_T4_T5_T6_T7_T9_mT8_P12ihipStream_tbDpT10_ENKUlT_T0_E_clISt17integral_constantIbLb1EES19_IbLb0EEEEDaS15_S16_EUlS15_E_NS1_11comp_targetILNS1_3genE2ELNS1_11target_archE906ELNS1_3gpuE6ELNS1_3repE0EEENS1_30default_config_static_selectorELNS0_4arch9wavefront6targetE0EEEvT1_
    .private_segment_fixed_size: 0
    .sgpr_count:     0
    .sgpr_spill_count: 0
    .symbol:         _ZN7rocprim17ROCPRIM_400000_NS6detail17trampoline_kernelINS0_14default_configENS1_25partition_config_selectorILNS1_17partition_subalgoE9EllbEEZZNS1_14partition_implILS5_9ELb0ES3_jPlS8_PNS0_10empty_typeENS0_5tupleIJS8_S9_EEENSB_IJS8_SA_EEENS0_18inequality_wrapperIZN2at6native12_GLOBAL__N_124unique_dim_cuda_templateIaEESt5tupleIJNSF_6TensorESK_SK_EERKSK_lbbbEUlllE0_EEPmJS9_EEE10hipError_tPvRmT3_T4_T5_T6_T7_T9_mT8_P12ihipStream_tbDpT10_ENKUlT_T0_E_clISt17integral_constantIbLb1EES19_IbLb0EEEEDaS15_S16_EUlS15_E_NS1_11comp_targetILNS1_3genE2ELNS1_11target_archE906ELNS1_3gpuE6ELNS1_3repE0EEENS1_30default_config_static_selectorELNS0_4arch9wavefront6targetE0EEEvT1_.kd
    .uniform_work_group_size: 1
    .uses_dynamic_stack: false
    .vgpr_count:     0
    .vgpr_spill_count: 0
    .wavefront_size: 32
  - .args:
      - .offset:         0
        .size:           120
        .value_kind:     by_value
    .group_segment_fixed_size: 0
    .kernarg_segment_align: 8
    .kernarg_segment_size: 120
    .language:       OpenCL C
    .language_version:
      - 2
      - 0
    .max_flat_workgroup_size: 384
    .name:           _ZN7rocprim17ROCPRIM_400000_NS6detail17trampoline_kernelINS0_14default_configENS1_25partition_config_selectorILNS1_17partition_subalgoE9EllbEEZZNS1_14partition_implILS5_9ELb0ES3_jPlS8_PNS0_10empty_typeENS0_5tupleIJS8_S9_EEENSB_IJS8_SA_EEENS0_18inequality_wrapperIZN2at6native12_GLOBAL__N_124unique_dim_cuda_templateIaEESt5tupleIJNSF_6TensorESK_SK_EERKSK_lbbbEUlllE0_EEPmJS9_EEE10hipError_tPvRmT3_T4_T5_T6_T7_T9_mT8_P12ihipStream_tbDpT10_ENKUlT_T0_E_clISt17integral_constantIbLb1EES19_IbLb0EEEEDaS15_S16_EUlS15_E_NS1_11comp_targetILNS1_3genE10ELNS1_11target_archE1200ELNS1_3gpuE4ELNS1_3repE0EEENS1_30default_config_static_selectorELNS0_4arch9wavefront6targetE0EEEvT1_
    .private_segment_fixed_size: 0
    .sgpr_count:     0
    .sgpr_spill_count: 0
    .symbol:         _ZN7rocprim17ROCPRIM_400000_NS6detail17trampoline_kernelINS0_14default_configENS1_25partition_config_selectorILNS1_17partition_subalgoE9EllbEEZZNS1_14partition_implILS5_9ELb0ES3_jPlS8_PNS0_10empty_typeENS0_5tupleIJS8_S9_EEENSB_IJS8_SA_EEENS0_18inequality_wrapperIZN2at6native12_GLOBAL__N_124unique_dim_cuda_templateIaEESt5tupleIJNSF_6TensorESK_SK_EERKSK_lbbbEUlllE0_EEPmJS9_EEE10hipError_tPvRmT3_T4_T5_T6_T7_T9_mT8_P12ihipStream_tbDpT10_ENKUlT_T0_E_clISt17integral_constantIbLb1EES19_IbLb0EEEEDaS15_S16_EUlS15_E_NS1_11comp_targetILNS1_3genE10ELNS1_11target_archE1200ELNS1_3gpuE4ELNS1_3repE0EEENS1_30default_config_static_selectorELNS0_4arch9wavefront6targetE0EEEvT1_.kd
    .uniform_work_group_size: 1
    .uses_dynamic_stack: false
    .vgpr_count:     0
    .vgpr_spill_count: 0
    .wavefront_size: 32
  - .args:
      - .offset:         0
        .size:           120
        .value_kind:     by_value
    .group_segment_fixed_size: 0
    .kernarg_segment_align: 8
    .kernarg_segment_size: 120
    .language:       OpenCL C
    .language_version:
      - 2
      - 0
    .max_flat_workgroup_size: 512
    .name:           _ZN7rocprim17ROCPRIM_400000_NS6detail17trampoline_kernelINS0_14default_configENS1_25partition_config_selectorILNS1_17partition_subalgoE9EllbEEZZNS1_14partition_implILS5_9ELb0ES3_jPlS8_PNS0_10empty_typeENS0_5tupleIJS8_S9_EEENSB_IJS8_SA_EEENS0_18inequality_wrapperIZN2at6native12_GLOBAL__N_124unique_dim_cuda_templateIaEESt5tupleIJNSF_6TensorESK_SK_EERKSK_lbbbEUlllE0_EEPmJS9_EEE10hipError_tPvRmT3_T4_T5_T6_T7_T9_mT8_P12ihipStream_tbDpT10_ENKUlT_T0_E_clISt17integral_constantIbLb1EES19_IbLb0EEEEDaS15_S16_EUlS15_E_NS1_11comp_targetILNS1_3genE9ELNS1_11target_archE1100ELNS1_3gpuE3ELNS1_3repE0EEENS1_30default_config_static_selectorELNS0_4arch9wavefront6targetE0EEEvT1_
    .private_segment_fixed_size: 0
    .sgpr_count:     0
    .sgpr_spill_count: 0
    .symbol:         _ZN7rocprim17ROCPRIM_400000_NS6detail17trampoline_kernelINS0_14default_configENS1_25partition_config_selectorILNS1_17partition_subalgoE9EllbEEZZNS1_14partition_implILS5_9ELb0ES3_jPlS8_PNS0_10empty_typeENS0_5tupleIJS8_S9_EEENSB_IJS8_SA_EEENS0_18inequality_wrapperIZN2at6native12_GLOBAL__N_124unique_dim_cuda_templateIaEESt5tupleIJNSF_6TensorESK_SK_EERKSK_lbbbEUlllE0_EEPmJS9_EEE10hipError_tPvRmT3_T4_T5_T6_T7_T9_mT8_P12ihipStream_tbDpT10_ENKUlT_T0_E_clISt17integral_constantIbLb1EES19_IbLb0EEEEDaS15_S16_EUlS15_E_NS1_11comp_targetILNS1_3genE9ELNS1_11target_archE1100ELNS1_3gpuE3ELNS1_3repE0EEENS1_30default_config_static_selectorELNS0_4arch9wavefront6targetE0EEEvT1_.kd
    .uniform_work_group_size: 1
    .uses_dynamic_stack: false
    .vgpr_count:     0
    .vgpr_spill_count: 0
    .wavefront_size: 32
  - .args:
      - .offset:         0
        .size:           120
        .value_kind:     by_value
    .group_segment_fixed_size: 0
    .kernarg_segment_align: 8
    .kernarg_segment_size: 120
    .language:       OpenCL C
    .language_version:
      - 2
      - 0
    .max_flat_workgroup_size: 512
    .name:           _ZN7rocprim17ROCPRIM_400000_NS6detail17trampoline_kernelINS0_14default_configENS1_25partition_config_selectorILNS1_17partition_subalgoE9EllbEEZZNS1_14partition_implILS5_9ELb0ES3_jPlS8_PNS0_10empty_typeENS0_5tupleIJS8_S9_EEENSB_IJS8_SA_EEENS0_18inequality_wrapperIZN2at6native12_GLOBAL__N_124unique_dim_cuda_templateIaEESt5tupleIJNSF_6TensorESK_SK_EERKSK_lbbbEUlllE0_EEPmJS9_EEE10hipError_tPvRmT3_T4_T5_T6_T7_T9_mT8_P12ihipStream_tbDpT10_ENKUlT_T0_E_clISt17integral_constantIbLb1EES19_IbLb0EEEEDaS15_S16_EUlS15_E_NS1_11comp_targetILNS1_3genE8ELNS1_11target_archE1030ELNS1_3gpuE2ELNS1_3repE0EEENS1_30default_config_static_selectorELNS0_4arch9wavefront6targetE0EEEvT1_
    .private_segment_fixed_size: 0
    .sgpr_count:     0
    .sgpr_spill_count: 0
    .symbol:         _ZN7rocprim17ROCPRIM_400000_NS6detail17trampoline_kernelINS0_14default_configENS1_25partition_config_selectorILNS1_17partition_subalgoE9EllbEEZZNS1_14partition_implILS5_9ELb0ES3_jPlS8_PNS0_10empty_typeENS0_5tupleIJS8_S9_EEENSB_IJS8_SA_EEENS0_18inequality_wrapperIZN2at6native12_GLOBAL__N_124unique_dim_cuda_templateIaEESt5tupleIJNSF_6TensorESK_SK_EERKSK_lbbbEUlllE0_EEPmJS9_EEE10hipError_tPvRmT3_T4_T5_T6_T7_T9_mT8_P12ihipStream_tbDpT10_ENKUlT_T0_E_clISt17integral_constantIbLb1EES19_IbLb0EEEEDaS15_S16_EUlS15_E_NS1_11comp_targetILNS1_3genE8ELNS1_11target_archE1030ELNS1_3gpuE2ELNS1_3repE0EEENS1_30default_config_static_selectorELNS0_4arch9wavefront6targetE0EEEvT1_.kd
    .uniform_work_group_size: 1
    .uses_dynamic_stack: false
    .vgpr_count:     0
    .vgpr_spill_count: 0
    .wavefront_size: 32
  - .args:
      - .offset:         0
        .size:           136
        .value_kind:     by_value
    .group_segment_fixed_size: 5128
    .kernarg_segment_align: 8
    .kernarg_segment_size: 136
    .language:       OpenCL C
    .language_version:
      - 2
      - 0
    .max_flat_workgroup_size: 128
    .name:           _ZN7rocprim17ROCPRIM_400000_NS6detail17trampoline_kernelINS0_14default_configENS1_25partition_config_selectorILNS1_17partition_subalgoE9EllbEEZZNS1_14partition_implILS5_9ELb0ES3_jPlS8_PNS0_10empty_typeENS0_5tupleIJS8_S9_EEENSB_IJS8_SA_EEENS0_18inequality_wrapperIZN2at6native12_GLOBAL__N_124unique_dim_cuda_templateIaEESt5tupleIJNSF_6TensorESK_SK_EERKSK_lbbbEUlllE0_EEPmJS9_EEE10hipError_tPvRmT3_T4_T5_T6_T7_T9_mT8_P12ihipStream_tbDpT10_ENKUlT_T0_E_clISt17integral_constantIbLb0EES19_IbLb1EEEEDaS15_S16_EUlS15_E_NS1_11comp_targetILNS1_3genE0ELNS1_11target_archE4294967295ELNS1_3gpuE0ELNS1_3repE0EEENS1_30default_config_static_selectorELNS0_4arch9wavefront6targetE0EEEvT1_
    .private_segment_fixed_size: 0
    .sgpr_count:     38
    .sgpr_spill_count: 0
    .symbol:         _ZN7rocprim17ROCPRIM_400000_NS6detail17trampoline_kernelINS0_14default_configENS1_25partition_config_selectorILNS1_17partition_subalgoE9EllbEEZZNS1_14partition_implILS5_9ELb0ES3_jPlS8_PNS0_10empty_typeENS0_5tupleIJS8_S9_EEENSB_IJS8_SA_EEENS0_18inequality_wrapperIZN2at6native12_GLOBAL__N_124unique_dim_cuda_templateIaEESt5tupleIJNSF_6TensorESK_SK_EERKSK_lbbbEUlllE0_EEPmJS9_EEE10hipError_tPvRmT3_T4_T5_T6_T7_T9_mT8_P12ihipStream_tbDpT10_ENKUlT_T0_E_clISt17integral_constantIbLb0EES19_IbLb1EEEEDaS15_S16_EUlS15_E_NS1_11comp_targetILNS1_3genE0ELNS1_11target_archE4294967295ELNS1_3gpuE0ELNS1_3repE0EEENS1_30default_config_static_selectorELNS0_4arch9wavefront6targetE0EEEvT1_.kd
    .uniform_work_group_size: 1
    .uses_dynamic_stack: false
    .vgpr_count:     55
    .vgpr_spill_count: 0
    .wavefront_size: 32
  - .args:
      - .offset:         0
        .size:           136
        .value_kind:     by_value
    .group_segment_fixed_size: 0
    .kernarg_segment_align: 8
    .kernarg_segment_size: 136
    .language:       OpenCL C
    .language_version:
      - 2
      - 0
    .max_flat_workgroup_size: 512
    .name:           _ZN7rocprim17ROCPRIM_400000_NS6detail17trampoline_kernelINS0_14default_configENS1_25partition_config_selectorILNS1_17partition_subalgoE9EllbEEZZNS1_14partition_implILS5_9ELb0ES3_jPlS8_PNS0_10empty_typeENS0_5tupleIJS8_S9_EEENSB_IJS8_SA_EEENS0_18inequality_wrapperIZN2at6native12_GLOBAL__N_124unique_dim_cuda_templateIaEESt5tupleIJNSF_6TensorESK_SK_EERKSK_lbbbEUlllE0_EEPmJS9_EEE10hipError_tPvRmT3_T4_T5_T6_T7_T9_mT8_P12ihipStream_tbDpT10_ENKUlT_T0_E_clISt17integral_constantIbLb0EES19_IbLb1EEEEDaS15_S16_EUlS15_E_NS1_11comp_targetILNS1_3genE5ELNS1_11target_archE942ELNS1_3gpuE9ELNS1_3repE0EEENS1_30default_config_static_selectorELNS0_4arch9wavefront6targetE0EEEvT1_
    .private_segment_fixed_size: 0
    .sgpr_count:     0
    .sgpr_spill_count: 0
    .symbol:         _ZN7rocprim17ROCPRIM_400000_NS6detail17trampoline_kernelINS0_14default_configENS1_25partition_config_selectorILNS1_17partition_subalgoE9EllbEEZZNS1_14partition_implILS5_9ELb0ES3_jPlS8_PNS0_10empty_typeENS0_5tupleIJS8_S9_EEENSB_IJS8_SA_EEENS0_18inequality_wrapperIZN2at6native12_GLOBAL__N_124unique_dim_cuda_templateIaEESt5tupleIJNSF_6TensorESK_SK_EERKSK_lbbbEUlllE0_EEPmJS9_EEE10hipError_tPvRmT3_T4_T5_T6_T7_T9_mT8_P12ihipStream_tbDpT10_ENKUlT_T0_E_clISt17integral_constantIbLb0EES19_IbLb1EEEEDaS15_S16_EUlS15_E_NS1_11comp_targetILNS1_3genE5ELNS1_11target_archE942ELNS1_3gpuE9ELNS1_3repE0EEENS1_30default_config_static_selectorELNS0_4arch9wavefront6targetE0EEEvT1_.kd
    .uniform_work_group_size: 1
    .uses_dynamic_stack: false
    .vgpr_count:     0
    .vgpr_spill_count: 0
    .wavefront_size: 32
  - .args:
      - .offset:         0
        .size:           136
        .value_kind:     by_value
    .group_segment_fixed_size: 0
    .kernarg_segment_align: 8
    .kernarg_segment_size: 136
    .language:       OpenCL C
    .language_version:
      - 2
      - 0
    .max_flat_workgroup_size: 128
    .name:           _ZN7rocprim17ROCPRIM_400000_NS6detail17trampoline_kernelINS0_14default_configENS1_25partition_config_selectorILNS1_17partition_subalgoE9EllbEEZZNS1_14partition_implILS5_9ELb0ES3_jPlS8_PNS0_10empty_typeENS0_5tupleIJS8_S9_EEENSB_IJS8_SA_EEENS0_18inequality_wrapperIZN2at6native12_GLOBAL__N_124unique_dim_cuda_templateIaEESt5tupleIJNSF_6TensorESK_SK_EERKSK_lbbbEUlllE0_EEPmJS9_EEE10hipError_tPvRmT3_T4_T5_T6_T7_T9_mT8_P12ihipStream_tbDpT10_ENKUlT_T0_E_clISt17integral_constantIbLb0EES19_IbLb1EEEEDaS15_S16_EUlS15_E_NS1_11comp_targetILNS1_3genE4ELNS1_11target_archE910ELNS1_3gpuE8ELNS1_3repE0EEENS1_30default_config_static_selectorELNS0_4arch9wavefront6targetE0EEEvT1_
    .private_segment_fixed_size: 0
    .sgpr_count:     0
    .sgpr_spill_count: 0
    .symbol:         _ZN7rocprim17ROCPRIM_400000_NS6detail17trampoline_kernelINS0_14default_configENS1_25partition_config_selectorILNS1_17partition_subalgoE9EllbEEZZNS1_14partition_implILS5_9ELb0ES3_jPlS8_PNS0_10empty_typeENS0_5tupleIJS8_S9_EEENSB_IJS8_SA_EEENS0_18inequality_wrapperIZN2at6native12_GLOBAL__N_124unique_dim_cuda_templateIaEESt5tupleIJNSF_6TensorESK_SK_EERKSK_lbbbEUlllE0_EEPmJS9_EEE10hipError_tPvRmT3_T4_T5_T6_T7_T9_mT8_P12ihipStream_tbDpT10_ENKUlT_T0_E_clISt17integral_constantIbLb0EES19_IbLb1EEEEDaS15_S16_EUlS15_E_NS1_11comp_targetILNS1_3genE4ELNS1_11target_archE910ELNS1_3gpuE8ELNS1_3repE0EEENS1_30default_config_static_selectorELNS0_4arch9wavefront6targetE0EEEvT1_.kd
    .uniform_work_group_size: 1
    .uses_dynamic_stack: false
    .vgpr_count:     0
    .vgpr_spill_count: 0
    .wavefront_size: 32
  - .args:
      - .offset:         0
        .size:           136
        .value_kind:     by_value
    .group_segment_fixed_size: 0
    .kernarg_segment_align: 8
    .kernarg_segment_size: 136
    .language:       OpenCL C
    .language_version:
      - 2
      - 0
    .max_flat_workgroup_size: 128
    .name:           _ZN7rocprim17ROCPRIM_400000_NS6detail17trampoline_kernelINS0_14default_configENS1_25partition_config_selectorILNS1_17partition_subalgoE9EllbEEZZNS1_14partition_implILS5_9ELb0ES3_jPlS8_PNS0_10empty_typeENS0_5tupleIJS8_S9_EEENSB_IJS8_SA_EEENS0_18inequality_wrapperIZN2at6native12_GLOBAL__N_124unique_dim_cuda_templateIaEESt5tupleIJNSF_6TensorESK_SK_EERKSK_lbbbEUlllE0_EEPmJS9_EEE10hipError_tPvRmT3_T4_T5_T6_T7_T9_mT8_P12ihipStream_tbDpT10_ENKUlT_T0_E_clISt17integral_constantIbLb0EES19_IbLb1EEEEDaS15_S16_EUlS15_E_NS1_11comp_targetILNS1_3genE3ELNS1_11target_archE908ELNS1_3gpuE7ELNS1_3repE0EEENS1_30default_config_static_selectorELNS0_4arch9wavefront6targetE0EEEvT1_
    .private_segment_fixed_size: 0
    .sgpr_count:     0
    .sgpr_spill_count: 0
    .symbol:         _ZN7rocprim17ROCPRIM_400000_NS6detail17trampoline_kernelINS0_14default_configENS1_25partition_config_selectorILNS1_17partition_subalgoE9EllbEEZZNS1_14partition_implILS5_9ELb0ES3_jPlS8_PNS0_10empty_typeENS0_5tupleIJS8_S9_EEENSB_IJS8_SA_EEENS0_18inequality_wrapperIZN2at6native12_GLOBAL__N_124unique_dim_cuda_templateIaEESt5tupleIJNSF_6TensorESK_SK_EERKSK_lbbbEUlllE0_EEPmJS9_EEE10hipError_tPvRmT3_T4_T5_T6_T7_T9_mT8_P12ihipStream_tbDpT10_ENKUlT_T0_E_clISt17integral_constantIbLb0EES19_IbLb1EEEEDaS15_S16_EUlS15_E_NS1_11comp_targetILNS1_3genE3ELNS1_11target_archE908ELNS1_3gpuE7ELNS1_3repE0EEENS1_30default_config_static_selectorELNS0_4arch9wavefront6targetE0EEEvT1_.kd
    .uniform_work_group_size: 1
    .uses_dynamic_stack: false
    .vgpr_count:     0
    .vgpr_spill_count: 0
    .wavefront_size: 32
  - .args:
      - .offset:         0
        .size:           136
        .value_kind:     by_value
    .group_segment_fixed_size: 0
    .kernarg_segment_align: 8
    .kernarg_segment_size: 136
    .language:       OpenCL C
    .language_version:
      - 2
      - 0
    .max_flat_workgroup_size: 192
    .name:           _ZN7rocprim17ROCPRIM_400000_NS6detail17trampoline_kernelINS0_14default_configENS1_25partition_config_selectorILNS1_17partition_subalgoE9EllbEEZZNS1_14partition_implILS5_9ELb0ES3_jPlS8_PNS0_10empty_typeENS0_5tupleIJS8_S9_EEENSB_IJS8_SA_EEENS0_18inequality_wrapperIZN2at6native12_GLOBAL__N_124unique_dim_cuda_templateIaEESt5tupleIJNSF_6TensorESK_SK_EERKSK_lbbbEUlllE0_EEPmJS9_EEE10hipError_tPvRmT3_T4_T5_T6_T7_T9_mT8_P12ihipStream_tbDpT10_ENKUlT_T0_E_clISt17integral_constantIbLb0EES19_IbLb1EEEEDaS15_S16_EUlS15_E_NS1_11comp_targetILNS1_3genE2ELNS1_11target_archE906ELNS1_3gpuE6ELNS1_3repE0EEENS1_30default_config_static_selectorELNS0_4arch9wavefront6targetE0EEEvT1_
    .private_segment_fixed_size: 0
    .sgpr_count:     0
    .sgpr_spill_count: 0
    .symbol:         _ZN7rocprim17ROCPRIM_400000_NS6detail17trampoline_kernelINS0_14default_configENS1_25partition_config_selectorILNS1_17partition_subalgoE9EllbEEZZNS1_14partition_implILS5_9ELb0ES3_jPlS8_PNS0_10empty_typeENS0_5tupleIJS8_S9_EEENSB_IJS8_SA_EEENS0_18inequality_wrapperIZN2at6native12_GLOBAL__N_124unique_dim_cuda_templateIaEESt5tupleIJNSF_6TensorESK_SK_EERKSK_lbbbEUlllE0_EEPmJS9_EEE10hipError_tPvRmT3_T4_T5_T6_T7_T9_mT8_P12ihipStream_tbDpT10_ENKUlT_T0_E_clISt17integral_constantIbLb0EES19_IbLb1EEEEDaS15_S16_EUlS15_E_NS1_11comp_targetILNS1_3genE2ELNS1_11target_archE906ELNS1_3gpuE6ELNS1_3repE0EEENS1_30default_config_static_selectorELNS0_4arch9wavefront6targetE0EEEvT1_.kd
    .uniform_work_group_size: 1
    .uses_dynamic_stack: false
    .vgpr_count:     0
    .vgpr_spill_count: 0
    .wavefront_size: 32
  - .args:
      - .offset:         0
        .size:           136
        .value_kind:     by_value
    .group_segment_fixed_size: 0
    .kernarg_segment_align: 8
    .kernarg_segment_size: 136
    .language:       OpenCL C
    .language_version:
      - 2
      - 0
    .max_flat_workgroup_size: 384
    .name:           _ZN7rocprim17ROCPRIM_400000_NS6detail17trampoline_kernelINS0_14default_configENS1_25partition_config_selectorILNS1_17partition_subalgoE9EllbEEZZNS1_14partition_implILS5_9ELb0ES3_jPlS8_PNS0_10empty_typeENS0_5tupleIJS8_S9_EEENSB_IJS8_SA_EEENS0_18inequality_wrapperIZN2at6native12_GLOBAL__N_124unique_dim_cuda_templateIaEESt5tupleIJNSF_6TensorESK_SK_EERKSK_lbbbEUlllE0_EEPmJS9_EEE10hipError_tPvRmT3_T4_T5_T6_T7_T9_mT8_P12ihipStream_tbDpT10_ENKUlT_T0_E_clISt17integral_constantIbLb0EES19_IbLb1EEEEDaS15_S16_EUlS15_E_NS1_11comp_targetILNS1_3genE10ELNS1_11target_archE1200ELNS1_3gpuE4ELNS1_3repE0EEENS1_30default_config_static_selectorELNS0_4arch9wavefront6targetE0EEEvT1_
    .private_segment_fixed_size: 0
    .sgpr_count:     0
    .sgpr_spill_count: 0
    .symbol:         _ZN7rocprim17ROCPRIM_400000_NS6detail17trampoline_kernelINS0_14default_configENS1_25partition_config_selectorILNS1_17partition_subalgoE9EllbEEZZNS1_14partition_implILS5_9ELb0ES3_jPlS8_PNS0_10empty_typeENS0_5tupleIJS8_S9_EEENSB_IJS8_SA_EEENS0_18inequality_wrapperIZN2at6native12_GLOBAL__N_124unique_dim_cuda_templateIaEESt5tupleIJNSF_6TensorESK_SK_EERKSK_lbbbEUlllE0_EEPmJS9_EEE10hipError_tPvRmT3_T4_T5_T6_T7_T9_mT8_P12ihipStream_tbDpT10_ENKUlT_T0_E_clISt17integral_constantIbLb0EES19_IbLb1EEEEDaS15_S16_EUlS15_E_NS1_11comp_targetILNS1_3genE10ELNS1_11target_archE1200ELNS1_3gpuE4ELNS1_3repE0EEENS1_30default_config_static_selectorELNS0_4arch9wavefront6targetE0EEEvT1_.kd
    .uniform_work_group_size: 1
    .uses_dynamic_stack: false
    .vgpr_count:     0
    .vgpr_spill_count: 0
    .wavefront_size: 32
  - .args:
      - .offset:         0
        .size:           136
        .value_kind:     by_value
    .group_segment_fixed_size: 0
    .kernarg_segment_align: 8
    .kernarg_segment_size: 136
    .language:       OpenCL C
    .language_version:
      - 2
      - 0
    .max_flat_workgroup_size: 512
    .name:           _ZN7rocprim17ROCPRIM_400000_NS6detail17trampoline_kernelINS0_14default_configENS1_25partition_config_selectorILNS1_17partition_subalgoE9EllbEEZZNS1_14partition_implILS5_9ELb0ES3_jPlS8_PNS0_10empty_typeENS0_5tupleIJS8_S9_EEENSB_IJS8_SA_EEENS0_18inequality_wrapperIZN2at6native12_GLOBAL__N_124unique_dim_cuda_templateIaEESt5tupleIJNSF_6TensorESK_SK_EERKSK_lbbbEUlllE0_EEPmJS9_EEE10hipError_tPvRmT3_T4_T5_T6_T7_T9_mT8_P12ihipStream_tbDpT10_ENKUlT_T0_E_clISt17integral_constantIbLb0EES19_IbLb1EEEEDaS15_S16_EUlS15_E_NS1_11comp_targetILNS1_3genE9ELNS1_11target_archE1100ELNS1_3gpuE3ELNS1_3repE0EEENS1_30default_config_static_selectorELNS0_4arch9wavefront6targetE0EEEvT1_
    .private_segment_fixed_size: 0
    .sgpr_count:     0
    .sgpr_spill_count: 0
    .symbol:         _ZN7rocprim17ROCPRIM_400000_NS6detail17trampoline_kernelINS0_14default_configENS1_25partition_config_selectorILNS1_17partition_subalgoE9EllbEEZZNS1_14partition_implILS5_9ELb0ES3_jPlS8_PNS0_10empty_typeENS0_5tupleIJS8_S9_EEENSB_IJS8_SA_EEENS0_18inequality_wrapperIZN2at6native12_GLOBAL__N_124unique_dim_cuda_templateIaEESt5tupleIJNSF_6TensorESK_SK_EERKSK_lbbbEUlllE0_EEPmJS9_EEE10hipError_tPvRmT3_T4_T5_T6_T7_T9_mT8_P12ihipStream_tbDpT10_ENKUlT_T0_E_clISt17integral_constantIbLb0EES19_IbLb1EEEEDaS15_S16_EUlS15_E_NS1_11comp_targetILNS1_3genE9ELNS1_11target_archE1100ELNS1_3gpuE3ELNS1_3repE0EEENS1_30default_config_static_selectorELNS0_4arch9wavefront6targetE0EEEvT1_.kd
    .uniform_work_group_size: 1
    .uses_dynamic_stack: false
    .vgpr_count:     0
    .vgpr_spill_count: 0
    .wavefront_size: 32
  - .args:
      - .offset:         0
        .size:           136
        .value_kind:     by_value
    .group_segment_fixed_size: 0
    .kernarg_segment_align: 8
    .kernarg_segment_size: 136
    .language:       OpenCL C
    .language_version:
      - 2
      - 0
    .max_flat_workgroup_size: 512
    .name:           _ZN7rocprim17ROCPRIM_400000_NS6detail17trampoline_kernelINS0_14default_configENS1_25partition_config_selectorILNS1_17partition_subalgoE9EllbEEZZNS1_14partition_implILS5_9ELb0ES3_jPlS8_PNS0_10empty_typeENS0_5tupleIJS8_S9_EEENSB_IJS8_SA_EEENS0_18inequality_wrapperIZN2at6native12_GLOBAL__N_124unique_dim_cuda_templateIaEESt5tupleIJNSF_6TensorESK_SK_EERKSK_lbbbEUlllE0_EEPmJS9_EEE10hipError_tPvRmT3_T4_T5_T6_T7_T9_mT8_P12ihipStream_tbDpT10_ENKUlT_T0_E_clISt17integral_constantIbLb0EES19_IbLb1EEEEDaS15_S16_EUlS15_E_NS1_11comp_targetILNS1_3genE8ELNS1_11target_archE1030ELNS1_3gpuE2ELNS1_3repE0EEENS1_30default_config_static_selectorELNS0_4arch9wavefront6targetE0EEEvT1_
    .private_segment_fixed_size: 0
    .sgpr_count:     0
    .sgpr_spill_count: 0
    .symbol:         _ZN7rocprim17ROCPRIM_400000_NS6detail17trampoline_kernelINS0_14default_configENS1_25partition_config_selectorILNS1_17partition_subalgoE9EllbEEZZNS1_14partition_implILS5_9ELb0ES3_jPlS8_PNS0_10empty_typeENS0_5tupleIJS8_S9_EEENSB_IJS8_SA_EEENS0_18inequality_wrapperIZN2at6native12_GLOBAL__N_124unique_dim_cuda_templateIaEESt5tupleIJNSF_6TensorESK_SK_EERKSK_lbbbEUlllE0_EEPmJS9_EEE10hipError_tPvRmT3_T4_T5_T6_T7_T9_mT8_P12ihipStream_tbDpT10_ENKUlT_T0_E_clISt17integral_constantIbLb0EES19_IbLb1EEEEDaS15_S16_EUlS15_E_NS1_11comp_targetILNS1_3genE8ELNS1_11target_archE1030ELNS1_3gpuE2ELNS1_3repE0EEENS1_30default_config_static_selectorELNS0_4arch9wavefront6targetE0EEEvT1_.kd
    .uniform_work_group_size: 1
    .uses_dynamic_stack: false
    .vgpr_count:     0
    .vgpr_spill_count: 0
    .wavefront_size: 32
  - .args:
      - .offset:         0
        .size:           72
        .value_kind:     by_value
      - .offset:         72
        .size:           4
        .value_kind:     hidden_block_count_x
      - .offset:         76
        .size:           4
        .value_kind:     hidden_block_count_y
      - .offset:         80
        .size:           4
        .value_kind:     hidden_block_count_z
      - .offset:         84
        .size:           2
        .value_kind:     hidden_group_size_x
      - .offset:         86
        .size:           2
        .value_kind:     hidden_group_size_y
      - .offset:         88
        .size:           2
        .value_kind:     hidden_group_size_z
      - .offset:         90
        .size:           2
        .value_kind:     hidden_remainder_x
      - .offset:         92
        .size:           2
        .value_kind:     hidden_remainder_y
      - .offset:         94
        .size:           2
        .value_kind:     hidden_remainder_z
      - .offset:         112
        .size:           8
        .value_kind:     hidden_global_offset_x
      - .offset:         120
        .size:           8
        .value_kind:     hidden_global_offset_y
      - .offset:         128
        .size:           8
        .value_kind:     hidden_global_offset_z
      - .offset:         136
        .size:           2
        .value_kind:     hidden_grid_dims
    .group_segment_fixed_size: 16896
    .kernarg_segment_align: 8
    .kernarg_segment_size: 328
    .language:       OpenCL C
    .language_version:
      - 2
      - 0
    .max_flat_workgroup_size: 256
    .name:           _ZN7rocprim17ROCPRIM_400000_NS6detail17trampoline_kernelINS0_14default_configENS1_37merge_sort_block_sort_config_selectorIlNS0_10empty_typeEEEZNS1_21merge_sort_block_sortIS3_PlS8_PS5_S9_ZN2at6native12_GLOBAL__N_124unique_dim_cuda_templateIiEESt5tupleIJNSA_6TensorESF_SF_EERKSF_lbbbEUlllE_EE10hipError_tT0_T1_T2_T3_mRjT4_P12ihipStream_tbNS1_7vsmem_tEEUlT_E_NS1_11comp_targetILNS1_3genE0ELNS1_11target_archE4294967295ELNS1_3gpuE0ELNS1_3repE0EEENS1_30default_config_static_selectorELNS0_4arch9wavefront6targetE0EEEvSM_
    .private_segment_fixed_size: 0
    .sgpr_count:     41
    .sgpr_spill_count: 0
    .symbol:         _ZN7rocprim17ROCPRIM_400000_NS6detail17trampoline_kernelINS0_14default_configENS1_37merge_sort_block_sort_config_selectorIlNS0_10empty_typeEEEZNS1_21merge_sort_block_sortIS3_PlS8_PS5_S9_ZN2at6native12_GLOBAL__N_124unique_dim_cuda_templateIiEESt5tupleIJNSA_6TensorESF_SF_EERKSF_lbbbEUlllE_EE10hipError_tT0_T1_T2_T3_mRjT4_P12ihipStream_tbNS1_7vsmem_tEEUlT_E_NS1_11comp_targetILNS1_3genE0ELNS1_11target_archE4294967295ELNS1_3gpuE0ELNS1_3repE0EEENS1_30default_config_static_selectorELNS0_4arch9wavefront6targetE0EEEvSM_.kd
    .uniform_work_group_size: 1
    .uses_dynamic_stack: false
    .vgpr_count:     56
    .vgpr_spill_count: 0
    .wavefront_size: 32
  - .args:
      - .offset:         0
        .size:           72
        .value_kind:     by_value
    .group_segment_fixed_size: 0
    .kernarg_segment_align: 8
    .kernarg_segment_size: 72
    .language:       OpenCL C
    .language_version:
      - 2
      - 0
    .max_flat_workgroup_size: 256
    .name:           _ZN7rocprim17ROCPRIM_400000_NS6detail17trampoline_kernelINS0_14default_configENS1_37merge_sort_block_sort_config_selectorIlNS0_10empty_typeEEEZNS1_21merge_sort_block_sortIS3_PlS8_PS5_S9_ZN2at6native12_GLOBAL__N_124unique_dim_cuda_templateIiEESt5tupleIJNSA_6TensorESF_SF_EERKSF_lbbbEUlllE_EE10hipError_tT0_T1_T2_T3_mRjT4_P12ihipStream_tbNS1_7vsmem_tEEUlT_E_NS1_11comp_targetILNS1_3genE5ELNS1_11target_archE942ELNS1_3gpuE9ELNS1_3repE0EEENS1_30default_config_static_selectorELNS0_4arch9wavefront6targetE0EEEvSM_
    .private_segment_fixed_size: 0
    .sgpr_count:     0
    .sgpr_spill_count: 0
    .symbol:         _ZN7rocprim17ROCPRIM_400000_NS6detail17trampoline_kernelINS0_14default_configENS1_37merge_sort_block_sort_config_selectorIlNS0_10empty_typeEEEZNS1_21merge_sort_block_sortIS3_PlS8_PS5_S9_ZN2at6native12_GLOBAL__N_124unique_dim_cuda_templateIiEESt5tupleIJNSA_6TensorESF_SF_EERKSF_lbbbEUlllE_EE10hipError_tT0_T1_T2_T3_mRjT4_P12ihipStream_tbNS1_7vsmem_tEEUlT_E_NS1_11comp_targetILNS1_3genE5ELNS1_11target_archE942ELNS1_3gpuE9ELNS1_3repE0EEENS1_30default_config_static_selectorELNS0_4arch9wavefront6targetE0EEEvSM_.kd
    .uniform_work_group_size: 1
    .uses_dynamic_stack: false
    .vgpr_count:     0
    .vgpr_spill_count: 0
    .wavefront_size: 32
  - .args:
      - .offset:         0
        .size:           72
        .value_kind:     by_value
    .group_segment_fixed_size: 0
    .kernarg_segment_align: 8
    .kernarg_segment_size: 72
    .language:       OpenCL C
    .language_version:
      - 2
      - 0
    .max_flat_workgroup_size: 256
    .name:           _ZN7rocprim17ROCPRIM_400000_NS6detail17trampoline_kernelINS0_14default_configENS1_37merge_sort_block_sort_config_selectorIlNS0_10empty_typeEEEZNS1_21merge_sort_block_sortIS3_PlS8_PS5_S9_ZN2at6native12_GLOBAL__N_124unique_dim_cuda_templateIiEESt5tupleIJNSA_6TensorESF_SF_EERKSF_lbbbEUlllE_EE10hipError_tT0_T1_T2_T3_mRjT4_P12ihipStream_tbNS1_7vsmem_tEEUlT_E_NS1_11comp_targetILNS1_3genE4ELNS1_11target_archE910ELNS1_3gpuE8ELNS1_3repE0EEENS1_30default_config_static_selectorELNS0_4arch9wavefront6targetE0EEEvSM_
    .private_segment_fixed_size: 0
    .sgpr_count:     0
    .sgpr_spill_count: 0
    .symbol:         _ZN7rocprim17ROCPRIM_400000_NS6detail17trampoline_kernelINS0_14default_configENS1_37merge_sort_block_sort_config_selectorIlNS0_10empty_typeEEEZNS1_21merge_sort_block_sortIS3_PlS8_PS5_S9_ZN2at6native12_GLOBAL__N_124unique_dim_cuda_templateIiEESt5tupleIJNSA_6TensorESF_SF_EERKSF_lbbbEUlllE_EE10hipError_tT0_T1_T2_T3_mRjT4_P12ihipStream_tbNS1_7vsmem_tEEUlT_E_NS1_11comp_targetILNS1_3genE4ELNS1_11target_archE910ELNS1_3gpuE8ELNS1_3repE0EEENS1_30default_config_static_selectorELNS0_4arch9wavefront6targetE0EEEvSM_.kd
    .uniform_work_group_size: 1
    .uses_dynamic_stack: false
    .vgpr_count:     0
    .vgpr_spill_count: 0
    .wavefront_size: 32
  - .args:
      - .offset:         0
        .size:           72
        .value_kind:     by_value
    .group_segment_fixed_size: 0
    .kernarg_segment_align: 8
    .kernarg_segment_size: 72
    .language:       OpenCL C
    .language_version:
      - 2
      - 0
    .max_flat_workgroup_size: 256
    .name:           _ZN7rocprim17ROCPRIM_400000_NS6detail17trampoline_kernelINS0_14default_configENS1_37merge_sort_block_sort_config_selectorIlNS0_10empty_typeEEEZNS1_21merge_sort_block_sortIS3_PlS8_PS5_S9_ZN2at6native12_GLOBAL__N_124unique_dim_cuda_templateIiEESt5tupleIJNSA_6TensorESF_SF_EERKSF_lbbbEUlllE_EE10hipError_tT0_T1_T2_T3_mRjT4_P12ihipStream_tbNS1_7vsmem_tEEUlT_E_NS1_11comp_targetILNS1_3genE3ELNS1_11target_archE908ELNS1_3gpuE7ELNS1_3repE0EEENS1_30default_config_static_selectorELNS0_4arch9wavefront6targetE0EEEvSM_
    .private_segment_fixed_size: 0
    .sgpr_count:     0
    .sgpr_spill_count: 0
    .symbol:         _ZN7rocprim17ROCPRIM_400000_NS6detail17trampoline_kernelINS0_14default_configENS1_37merge_sort_block_sort_config_selectorIlNS0_10empty_typeEEEZNS1_21merge_sort_block_sortIS3_PlS8_PS5_S9_ZN2at6native12_GLOBAL__N_124unique_dim_cuda_templateIiEESt5tupleIJNSA_6TensorESF_SF_EERKSF_lbbbEUlllE_EE10hipError_tT0_T1_T2_T3_mRjT4_P12ihipStream_tbNS1_7vsmem_tEEUlT_E_NS1_11comp_targetILNS1_3genE3ELNS1_11target_archE908ELNS1_3gpuE7ELNS1_3repE0EEENS1_30default_config_static_selectorELNS0_4arch9wavefront6targetE0EEEvSM_.kd
    .uniform_work_group_size: 1
    .uses_dynamic_stack: false
    .vgpr_count:     0
    .vgpr_spill_count: 0
    .wavefront_size: 32
  - .args:
      - .offset:         0
        .size:           72
        .value_kind:     by_value
    .group_segment_fixed_size: 0
    .kernarg_segment_align: 8
    .kernarg_segment_size: 72
    .language:       OpenCL C
    .language_version:
      - 2
      - 0
    .max_flat_workgroup_size: 256
    .name:           _ZN7rocprim17ROCPRIM_400000_NS6detail17trampoline_kernelINS0_14default_configENS1_37merge_sort_block_sort_config_selectorIlNS0_10empty_typeEEEZNS1_21merge_sort_block_sortIS3_PlS8_PS5_S9_ZN2at6native12_GLOBAL__N_124unique_dim_cuda_templateIiEESt5tupleIJNSA_6TensorESF_SF_EERKSF_lbbbEUlllE_EE10hipError_tT0_T1_T2_T3_mRjT4_P12ihipStream_tbNS1_7vsmem_tEEUlT_E_NS1_11comp_targetILNS1_3genE2ELNS1_11target_archE906ELNS1_3gpuE6ELNS1_3repE0EEENS1_30default_config_static_selectorELNS0_4arch9wavefront6targetE0EEEvSM_
    .private_segment_fixed_size: 0
    .sgpr_count:     0
    .sgpr_spill_count: 0
    .symbol:         _ZN7rocprim17ROCPRIM_400000_NS6detail17trampoline_kernelINS0_14default_configENS1_37merge_sort_block_sort_config_selectorIlNS0_10empty_typeEEEZNS1_21merge_sort_block_sortIS3_PlS8_PS5_S9_ZN2at6native12_GLOBAL__N_124unique_dim_cuda_templateIiEESt5tupleIJNSA_6TensorESF_SF_EERKSF_lbbbEUlllE_EE10hipError_tT0_T1_T2_T3_mRjT4_P12ihipStream_tbNS1_7vsmem_tEEUlT_E_NS1_11comp_targetILNS1_3genE2ELNS1_11target_archE906ELNS1_3gpuE6ELNS1_3repE0EEENS1_30default_config_static_selectorELNS0_4arch9wavefront6targetE0EEEvSM_.kd
    .uniform_work_group_size: 1
    .uses_dynamic_stack: false
    .vgpr_count:     0
    .vgpr_spill_count: 0
    .wavefront_size: 32
  - .args:
      - .offset:         0
        .size:           72
        .value_kind:     by_value
    .group_segment_fixed_size: 0
    .kernarg_segment_align: 8
    .kernarg_segment_size: 72
    .language:       OpenCL C
    .language_version:
      - 2
      - 0
    .max_flat_workgroup_size: 256
    .name:           _ZN7rocprim17ROCPRIM_400000_NS6detail17trampoline_kernelINS0_14default_configENS1_37merge_sort_block_sort_config_selectorIlNS0_10empty_typeEEEZNS1_21merge_sort_block_sortIS3_PlS8_PS5_S9_ZN2at6native12_GLOBAL__N_124unique_dim_cuda_templateIiEESt5tupleIJNSA_6TensorESF_SF_EERKSF_lbbbEUlllE_EE10hipError_tT0_T1_T2_T3_mRjT4_P12ihipStream_tbNS1_7vsmem_tEEUlT_E_NS1_11comp_targetILNS1_3genE10ELNS1_11target_archE1201ELNS1_3gpuE5ELNS1_3repE0EEENS1_30default_config_static_selectorELNS0_4arch9wavefront6targetE0EEEvSM_
    .private_segment_fixed_size: 0
    .sgpr_count:     0
    .sgpr_spill_count: 0
    .symbol:         _ZN7rocprim17ROCPRIM_400000_NS6detail17trampoline_kernelINS0_14default_configENS1_37merge_sort_block_sort_config_selectorIlNS0_10empty_typeEEEZNS1_21merge_sort_block_sortIS3_PlS8_PS5_S9_ZN2at6native12_GLOBAL__N_124unique_dim_cuda_templateIiEESt5tupleIJNSA_6TensorESF_SF_EERKSF_lbbbEUlllE_EE10hipError_tT0_T1_T2_T3_mRjT4_P12ihipStream_tbNS1_7vsmem_tEEUlT_E_NS1_11comp_targetILNS1_3genE10ELNS1_11target_archE1201ELNS1_3gpuE5ELNS1_3repE0EEENS1_30default_config_static_selectorELNS0_4arch9wavefront6targetE0EEEvSM_.kd
    .uniform_work_group_size: 1
    .uses_dynamic_stack: false
    .vgpr_count:     0
    .vgpr_spill_count: 0
    .wavefront_size: 32
  - .args:
      - .offset:         0
        .size:           72
        .value_kind:     by_value
    .group_segment_fixed_size: 0
    .kernarg_segment_align: 8
    .kernarg_segment_size: 72
    .language:       OpenCL C
    .language_version:
      - 2
      - 0
    .max_flat_workgroup_size: 512
    .name:           _ZN7rocprim17ROCPRIM_400000_NS6detail17trampoline_kernelINS0_14default_configENS1_37merge_sort_block_sort_config_selectorIlNS0_10empty_typeEEEZNS1_21merge_sort_block_sortIS3_PlS8_PS5_S9_ZN2at6native12_GLOBAL__N_124unique_dim_cuda_templateIiEESt5tupleIJNSA_6TensorESF_SF_EERKSF_lbbbEUlllE_EE10hipError_tT0_T1_T2_T3_mRjT4_P12ihipStream_tbNS1_7vsmem_tEEUlT_E_NS1_11comp_targetILNS1_3genE10ELNS1_11target_archE1200ELNS1_3gpuE4ELNS1_3repE0EEENS1_30default_config_static_selectorELNS0_4arch9wavefront6targetE0EEEvSM_
    .private_segment_fixed_size: 0
    .sgpr_count:     0
    .sgpr_spill_count: 0
    .symbol:         _ZN7rocprim17ROCPRIM_400000_NS6detail17trampoline_kernelINS0_14default_configENS1_37merge_sort_block_sort_config_selectorIlNS0_10empty_typeEEEZNS1_21merge_sort_block_sortIS3_PlS8_PS5_S9_ZN2at6native12_GLOBAL__N_124unique_dim_cuda_templateIiEESt5tupleIJNSA_6TensorESF_SF_EERKSF_lbbbEUlllE_EE10hipError_tT0_T1_T2_T3_mRjT4_P12ihipStream_tbNS1_7vsmem_tEEUlT_E_NS1_11comp_targetILNS1_3genE10ELNS1_11target_archE1200ELNS1_3gpuE4ELNS1_3repE0EEENS1_30default_config_static_selectorELNS0_4arch9wavefront6targetE0EEEvSM_.kd
    .uniform_work_group_size: 1
    .uses_dynamic_stack: false
    .vgpr_count:     0
    .vgpr_spill_count: 0
    .wavefront_size: 32
  - .args:
      - .offset:         0
        .size:           72
        .value_kind:     by_value
    .group_segment_fixed_size: 0
    .kernarg_segment_align: 8
    .kernarg_segment_size: 72
    .language:       OpenCL C
    .language_version:
      - 2
      - 0
    .max_flat_workgroup_size: 256
    .name:           _ZN7rocprim17ROCPRIM_400000_NS6detail17trampoline_kernelINS0_14default_configENS1_37merge_sort_block_sort_config_selectorIlNS0_10empty_typeEEEZNS1_21merge_sort_block_sortIS3_PlS8_PS5_S9_ZN2at6native12_GLOBAL__N_124unique_dim_cuda_templateIiEESt5tupleIJNSA_6TensorESF_SF_EERKSF_lbbbEUlllE_EE10hipError_tT0_T1_T2_T3_mRjT4_P12ihipStream_tbNS1_7vsmem_tEEUlT_E_NS1_11comp_targetILNS1_3genE9ELNS1_11target_archE1100ELNS1_3gpuE3ELNS1_3repE0EEENS1_30default_config_static_selectorELNS0_4arch9wavefront6targetE0EEEvSM_
    .private_segment_fixed_size: 0
    .sgpr_count:     0
    .sgpr_spill_count: 0
    .symbol:         _ZN7rocprim17ROCPRIM_400000_NS6detail17trampoline_kernelINS0_14default_configENS1_37merge_sort_block_sort_config_selectorIlNS0_10empty_typeEEEZNS1_21merge_sort_block_sortIS3_PlS8_PS5_S9_ZN2at6native12_GLOBAL__N_124unique_dim_cuda_templateIiEESt5tupleIJNSA_6TensorESF_SF_EERKSF_lbbbEUlllE_EE10hipError_tT0_T1_T2_T3_mRjT4_P12ihipStream_tbNS1_7vsmem_tEEUlT_E_NS1_11comp_targetILNS1_3genE9ELNS1_11target_archE1100ELNS1_3gpuE3ELNS1_3repE0EEENS1_30default_config_static_selectorELNS0_4arch9wavefront6targetE0EEEvSM_.kd
    .uniform_work_group_size: 1
    .uses_dynamic_stack: false
    .vgpr_count:     0
    .vgpr_spill_count: 0
    .wavefront_size: 32
  - .args:
      - .offset:         0
        .size:           72
        .value_kind:     by_value
    .group_segment_fixed_size: 0
    .kernarg_segment_align: 8
    .kernarg_segment_size: 72
    .language:       OpenCL C
    .language_version:
      - 2
      - 0
    .max_flat_workgroup_size: 256
    .name:           _ZN7rocprim17ROCPRIM_400000_NS6detail17trampoline_kernelINS0_14default_configENS1_37merge_sort_block_sort_config_selectorIlNS0_10empty_typeEEEZNS1_21merge_sort_block_sortIS3_PlS8_PS5_S9_ZN2at6native12_GLOBAL__N_124unique_dim_cuda_templateIiEESt5tupleIJNSA_6TensorESF_SF_EERKSF_lbbbEUlllE_EE10hipError_tT0_T1_T2_T3_mRjT4_P12ihipStream_tbNS1_7vsmem_tEEUlT_E_NS1_11comp_targetILNS1_3genE8ELNS1_11target_archE1030ELNS1_3gpuE2ELNS1_3repE0EEENS1_30default_config_static_selectorELNS0_4arch9wavefront6targetE0EEEvSM_
    .private_segment_fixed_size: 0
    .sgpr_count:     0
    .sgpr_spill_count: 0
    .symbol:         _ZN7rocprim17ROCPRIM_400000_NS6detail17trampoline_kernelINS0_14default_configENS1_37merge_sort_block_sort_config_selectorIlNS0_10empty_typeEEEZNS1_21merge_sort_block_sortIS3_PlS8_PS5_S9_ZN2at6native12_GLOBAL__N_124unique_dim_cuda_templateIiEESt5tupleIJNSA_6TensorESF_SF_EERKSF_lbbbEUlllE_EE10hipError_tT0_T1_T2_T3_mRjT4_P12ihipStream_tbNS1_7vsmem_tEEUlT_E_NS1_11comp_targetILNS1_3genE8ELNS1_11target_archE1030ELNS1_3gpuE2ELNS1_3repE0EEENS1_30default_config_static_selectorELNS0_4arch9wavefront6targetE0EEEvSM_.kd
    .uniform_work_group_size: 1
    .uses_dynamic_stack: false
    .vgpr_count:     0
    .vgpr_spill_count: 0
    .wavefront_size: 32
  - .args:
      - .offset:         0
        .size:           56
        .value_kind:     by_value
    .group_segment_fixed_size: 0
    .kernarg_segment_align: 8
    .kernarg_segment_size: 56
    .language:       OpenCL C
    .language_version:
      - 2
      - 0
    .max_flat_workgroup_size: 128
    .name:           _ZN7rocprim17ROCPRIM_400000_NS6detail17trampoline_kernelINS0_14default_configENS1_38merge_sort_block_merge_config_selectorIlNS0_10empty_typeEEEZZNS1_27merge_sort_block_merge_implIS3_PlPS5_mZN2at6native12_GLOBAL__N_124unique_dim_cuda_templateIiEESt5tupleIJNSA_6TensorESF_SF_EERKSF_lbbbEUlllE_EE10hipError_tT0_T1_T2_jT3_P12ihipStream_tbPNSt15iterator_traitsISL_E10value_typeEPNSR_ISM_E10value_typeEPSN_NS1_7vsmem_tEENKUlT_SL_SM_SN_E_clIS8_S8_S9_S9_EESK_S10_SL_SM_SN_EUlS10_E_NS1_11comp_targetILNS1_3genE0ELNS1_11target_archE4294967295ELNS1_3gpuE0ELNS1_3repE0EEENS1_48merge_mergepath_partition_config_static_selectorELNS0_4arch9wavefront6targetE0EEEvSM_
    .private_segment_fixed_size: 0
    .sgpr_count:     22
    .sgpr_spill_count: 0
    .symbol:         _ZN7rocprim17ROCPRIM_400000_NS6detail17trampoline_kernelINS0_14default_configENS1_38merge_sort_block_merge_config_selectorIlNS0_10empty_typeEEEZZNS1_27merge_sort_block_merge_implIS3_PlPS5_mZN2at6native12_GLOBAL__N_124unique_dim_cuda_templateIiEESt5tupleIJNSA_6TensorESF_SF_EERKSF_lbbbEUlllE_EE10hipError_tT0_T1_T2_jT3_P12ihipStream_tbPNSt15iterator_traitsISL_E10value_typeEPNSR_ISM_E10value_typeEPSN_NS1_7vsmem_tEENKUlT_SL_SM_SN_E_clIS8_S8_S9_S9_EESK_S10_SL_SM_SN_EUlS10_E_NS1_11comp_targetILNS1_3genE0ELNS1_11target_archE4294967295ELNS1_3gpuE0ELNS1_3repE0EEENS1_48merge_mergepath_partition_config_static_selectorELNS0_4arch9wavefront6targetE0EEEvSM_.kd
    .uniform_work_group_size: 1
    .uses_dynamic_stack: false
    .vgpr_count:     22
    .vgpr_spill_count: 0
    .wavefront_size: 32
  - .args:
      - .offset:         0
        .size:           56
        .value_kind:     by_value
    .group_segment_fixed_size: 0
    .kernarg_segment_align: 8
    .kernarg_segment_size: 56
    .language:       OpenCL C
    .language_version:
      - 2
      - 0
    .max_flat_workgroup_size: 128
    .name:           _ZN7rocprim17ROCPRIM_400000_NS6detail17trampoline_kernelINS0_14default_configENS1_38merge_sort_block_merge_config_selectorIlNS0_10empty_typeEEEZZNS1_27merge_sort_block_merge_implIS3_PlPS5_mZN2at6native12_GLOBAL__N_124unique_dim_cuda_templateIiEESt5tupleIJNSA_6TensorESF_SF_EERKSF_lbbbEUlllE_EE10hipError_tT0_T1_T2_jT3_P12ihipStream_tbPNSt15iterator_traitsISL_E10value_typeEPNSR_ISM_E10value_typeEPSN_NS1_7vsmem_tEENKUlT_SL_SM_SN_E_clIS8_S8_S9_S9_EESK_S10_SL_SM_SN_EUlS10_E_NS1_11comp_targetILNS1_3genE10ELNS1_11target_archE1201ELNS1_3gpuE5ELNS1_3repE0EEENS1_48merge_mergepath_partition_config_static_selectorELNS0_4arch9wavefront6targetE0EEEvSM_
    .private_segment_fixed_size: 0
    .sgpr_count:     0
    .sgpr_spill_count: 0
    .symbol:         _ZN7rocprim17ROCPRIM_400000_NS6detail17trampoline_kernelINS0_14default_configENS1_38merge_sort_block_merge_config_selectorIlNS0_10empty_typeEEEZZNS1_27merge_sort_block_merge_implIS3_PlPS5_mZN2at6native12_GLOBAL__N_124unique_dim_cuda_templateIiEESt5tupleIJNSA_6TensorESF_SF_EERKSF_lbbbEUlllE_EE10hipError_tT0_T1_T2_jT3_P12ihipStream_tbPNSt15iterator_traitsISL_E10value_typeEPNSR_ISM_E10value_typeEPSN_NS1_7vsmem_tEENKUlT_SL_SM_SN_E_clIS8_S8_S9_S9_EESK_S10_SL_SM_SN_EUlS10_E_NS1_11comp_targetILNS1_3genE10ELNS1_11target_archE1201ELNS1_3gpuE5ELNS1_3repE0EEENS1_48merge_mergepath_partition_config_static_selectorELNS0_4arch9wavefront6targetE0EEEvSM_.kd
    .uniform_work_group_size: 1
    .uses_dynamic_stack: false
    .vgpr_count:     0
    .vgpr_spill_count: 0
    .wavefront_size: 32
  - .args:
      - .offset:         0
        .size:           56
        .value_kind:     by_value
    .group_segment_fixed_size: 0
    .kernarg_segment_align: 8
    .kernarg_segment_size: 56
    .language:       OpenCL C
    .language_version:
      - 2
      - 0
    .max_flat_workgroup_size: 128
    .name:           _ZN7rocprim17ROCPRIM_400000_NS6detail17trampoline_kernelINS0_14default_configENS1_38merge_sort_block_merge_config_selectorIlNS0_10empty_typeEEEZZNS1_27merge_sort_block_merge_implIS3_PlPS5_mZN2at6native12_GLOBAL__N_124unique_dim_cuda_templateIiEESt5tupleIJNSA_6TensorESF_SF_EERKSF_lbbbEUlllE_EE10hipError_tT0_T1_T2_jT3_P12ihipStream_tbPNSt15iterator_traitsISL_E10value_typeEPNSR_ISM_E10value_typeEPSN_NS1_7vsmem_tEENKUlT_SL_SM_SN_E_clIS8_S8_S9_S9_EESK_S10_SL_SM_SN_EUlS10_E_NS1_11comp_targetILNS1_3genE5ELNS1_11target_archE942ELNS1_3gpuE9ELNS1_3repE0EEENS1_48merge_mergepath_partition_config_static_selectorELNS0_4arch9wavefront6targetE0EEEvSM_
    .private_segment_fixed_size: 0
    .sgpr_count:     0
    .sgpr_spill_count: 0
    .symbol:         _ZN7rocprim17ROCPRIM_400000_NS6detail17trampoline_kernelINS0_14default_configENS1_38merge_sort_block_merge_config_selectorIlNS0_10empty_typeEEEZZNS1_27merge_sort_block_merge_implIS3_PlPS5_mZN2at6native12_GLOBAL__N_124unique_dim_cuda_templateIiEESt5tupleIJNSA_6TensorESF_SF_EERKSF_lbbbEUlllE_EE10hipError_tT0_T1_T2_jT3_P12ihipStream_tbPNSt15iterator_traitsISL_E10value_typeEPNSR_ISM_E10value_typeEPSN_NS1_7vsmem_tEENKUlT_SL_SM_SN_E_clIS8_S8_S9_S9_EESK_S10_SL_SM_SN_EUlS10_E_NS1_11comp_targetILNS1_3genE5ELNS1_11target_archE942ELNS1_3gpuE9ELNS1_3repE0EEENS1_48merge_mergepath_partition_config_static_selectorELNS0_4arch9wavefront6targetE0EEEvSM_.kd
    .uniform_work_group_size: 1
    .uses_dynamic_stack: false
    .vgpr_count:     0
    .vgpr_spill_count: 0
    .wavefront_size: 32
  - .args:
      - .offset:         0
        .size:           56
        .value_kind:     by_value
    .group_segment_fixed_size: 0
    .kernarg_segment_align: 8
    .kernarg_segment_size: 56
    .language:       OpenCL C
    .language_version:
      - 2
      - 0
    .max_flat_workgroup_size: 128
    .name:           _ZN7rocprim17ROCPRIM_400000_NS6detail17trampoline_kernelINS0_14default_configENS1_38merge_sort_block_merge_config_selectorIlNS0_10empty_typeEEEZZNS1_27merge_sort_block_merge_implIS3_PlPS5_mZN2at6native12_GLOBAL__N_124unique_dim_cuda_templateIiEESt5tupleIJNSA_6TensorESF_SF_EERKSF_lbbbEUlllE_EE10hipError_tT0_T1_T2_jT3_P12ihipStream_tbPNSt15iterator_traitsISL_E10value_typeEPNSR_ISM_E10value_typeEPSN_NS1_7vsmem_tEENKUlT_SL_SM_SN_E_clIS8_S8_S9_S9_EESK_S10_SL_SM_SN_EUlS10_E_NS1_11comp_targetILNS1_3genE4ELNS1_11target_archE910ELNS1_3gpuE8ELNS1_3repE0EEENS1_48merge_mergepath_partition_config_static_selectorELNS0_4arch9wavefront6targetE0EEEvSM_
    .private_segment_fixed_size: 0
    .sgpr_count:     0
    .sgpr_spill_count: 0
    .symbol:         _ZN7rocprim17ROCPRIM_400000_NS6detail17trampoline_kernelINS0_14default_configENS1_38merge_sort_block_merge_config_selectorIlNS0_10empty_typeEEEZZNS1_27merge_sort_block_merge_implIS3_PlPS5_mZN2at6native12_GLOBAL__N_124unique_dim_cuda_templateIiEESt5tupleIJNSA_6TensorESF_SF_EERKSF_lbbbEUlllE_EE10hipError_tT0_T1_T2_jT3_P12ihipStream_tbPNSt15iterator_traitsISL_E10value_typeEPNSR_ISM_E10value_typeEPSN_NS1_7vsmem_tEENKUlT_SL_SM_SN_E_clIS8_S8_S9_S9_EESK_S10_SL_SM_SN_EUlS10_E_NS1_11comp_targetILNS1_3genE4ELNS1_11target_archE910ELNS1_3gpuE8ELNS1_3repE0EEENS1_48merge_mergepath_partition_config_static_selectorELNS0_4arch9wavefront6targetE0EEEvSM_.kd
    .uniform_work_group_size: 1
    .uses_dynamic_stack: false
    .vgpr_count:     0
    .vgpr_spill_count: 0
    .wavefront_size: 32
  - .args:
      - .offset:         0
        .size:           56
        .value_kind:     by_value
    .group_segment_fixed_size: 0
    .kernarg_segment_align: 8
    .kernarg_segment_size: 56
    .language:       OpenCL C
    .language_version:
      - 2
      - 0
    .max_flat_workgroup_size: 128
    .name:           _ZN7rocprim17ROCPRIM_400000_NS6detail17trampoline_kernelINS0_14default_configENS1_38merge_sort_block_merge_config_selectorIlNS0_10empty_typeEEEZZNS1_27merge_sort_block_merge_implIS3_PlPS5_mZN2at6native12_GLOBAL__N_124unique_dim_cuda_templateIiEESt5tupleIJNSA_6TensorESF_SF_EERKSF_lbbbEUlllE_EE10hipError_tT0_T1_T2_jT3_P12ihipStream_tbPNSt15iterator_traitsISL_E10value_typeEPNSR_ISM_E10value_typeEPSN_NS1_7vsmem_tEENKUlT_SL_SM_SN_E_clIS8_S8_S9_S9_EESK_S10_SL_SM_SN_EUlS10_E_NS1_11comp_targetILNS1_3genE3ELNS1_11target_archE908ELNS1_3gpuE7ELNS1_3repE0EEENS1_48merge_mergepath_partition_config_static_selectorELNS0_4arch9wavefront6targetE0EEEvSM_
    .private_segment_fixed_size: 0
    .sgpr_count:     0
    .sgpr_spill_count: 0
    .symbol:         _ZN7rocprim17ROCPRIM_400000_NS6detail17trampoline_kernelINS0_14default_configENS1_38merge_sort_block_merge_config_selectorIlNS0_10empty_typeEEEZZNS1_27merge_sort_block_merge_implIS3_PlPS5_mZN2at6native12_GLOBAL__N_124unique_dim_cuda_templateIiEESt5tupleIJNSA_6TensorESF_SF_EERKSF_lbbbEUlllE_EE10hipError_tT0_T1_T2_jT3_P12ihipStream_tbPNSt15iterator_traitsISL_E10value_typeEPNSR_ISM_E10value_typeEPSN_NS1_7vsmem_tEENKUlT_SL_SM_SN_E_clIS8_S8_S9_S9_EESK_S10_SL_SM_SN_EUlS10_E_NS1_11comp_targetILNS1_3genE3ELNS1_11target_archE908ELNS1_3gpuE7ELNS1_3repE0EEENS1_48merge_mergepath_partition_config_static_selectorELNS0_4arch9wavefront6targetE0EEEvSM_.kd
    .uniform_work_group_size: 1
    .uses_dynamic_stack: false
    .vgpr_count:     0
    .vgpr_spill_count: 0
    .wavefront_size: 32
  - .args:
      - .offset:         0
        .size:           56
        .value_kind:     by_value
    .group_segment_fixed_size: 0
    .kernarg_segment_align: 8
    .kernarg_segment_size: 56
    .language:       OpenCL C
    .language_version:
      - 2
      - 0
    .max_flat_workgroup_size: 128
    .name:           _ZN7rocprim17ROCPRIM_400000_NS6detail17trampoline_kernelINS0_14default_configENS1_38merge_sort_block_merge_config_selectorIlNS0_10empty_typeEEEZZNS1_27merge_sort_block_merge_implIS3_PlPS5_mZN2at6native12_GLOBAL__N_124unique_dim_cuda_templateIiEESt5tupleIJNSA_6TensorESF_SF_EERKSF_lbbbEUlllE_EE10hipError_tT0_T1_T2_jT3_P12ihipStream_tbPNSt15iterator_traitsISL_E10value_typeEPNSR_ISM_E10value_typeEPSN_NS1_7vsmem_tEENKUlT_SL_SM_SN_E_clIS8_S8_S9_S9_EESK_S10_SL_SM_SN_EUlS10_E_NS1_11comp_targetILNS1_3genE2ELNS1_11target_archE906ELNS1_3gpuE6ELNS1_3repE0EEENS1_48merge_mergepath_partition_config_static_selectorELNS0_4arch9wavefront6targetE0EEEvSM_
    .private_segment_fixed_size: 0
    .sgpr_count:     0
    .sgpr_spill_count: 0
    .symbol:         _ZN7rocprim17ROCPRIM_400000_NS6detail17trampoline_kernelINS0_14default_configENS1_38merge_sort_block_merge_config_selectorIlNS0_10empty_typeEEEZZNS1_27merge_sort_block_merge_implIS3_PlPS5_mZN2at6native12_GLOBAL__N_124unique_dim_cuda_templateIiEESt5tupleIJNSA_6TensorESF_SF_EERKSF_lbbbEUlllE_EE10hipError_tT0_T1_T2_jT3_P12ihipStream_tbPNSt15iterator_traitsISL_E10value_typeEPNSR_ISM_E10value_typeEPSN_NS1_7vsmem_tEENKUlT_SL_SM_SN_E_clIS8_S8_S9_S9_EESK_S10_SL_SM_SN_EUlS10_E_NS1_11comp_targetILNS1_3genE2ELNS1_11target_archE906ELNS1_3gpuE6ELNS1_3repE0EEENS1_48merge_mergepath_partition_config_static_selectorELNS0_4arch9wavefront6targetE0EEEvSM_.kd
    .uniform_work_group_size: 1
    .uses_dynamic_stack: false
    .vgpr_count:     0
    .vgpr_spill_count: 0
    .wavefront_size: 32
  - .args:
      - .offset:         0
        .size:           56
        .value_kind:     by_value
    .group_segment_fixed_size: 0
    .kernarg_segment_align: 8
    .kernarg_segment_size: 56
    .language:       OpenCL C
    .language_version:
      - 2
      - 0
    .max_flat_workgroup_size: 128
    .name:           _ZN7rocprim17ROCPRIM_400000_NS6detail17trampoline_kernelINS0_14default_configENS1_38merge_sort_block_merge_config_selectorIlNS0_10empty_typeEEEZZNS1_27merge_sort_block_merge_implIS3_PlPS5_mZN2at6native12_GLOBAL__N_124unique_dim_cuda_templateIiEESt5tupleIJNSA_6TensorESF_SF_EERKSF_lbbbEUlllE_EE10hipError_tT0_T1_T2_jT3_P12ihipStream_tbPNSt15iterator_traitsISL_E10value_typeEPNSR_ISM_E10value_typeEPSN_NS1_7vsmem_tEENKUlT_SL_SM_SN_E_clIS8_S8_S9_S9_EESK_S10_SL_SM_SN_EUlS10_E_NS1_11comp_targetILNS1_3genE9ELNS1_11target_archE1100ELNS1_3gpuE3ELNS1_3repE0EEENS1_48merge_mergepath_partition_config_static_selectorELNS0_4arch9wavefront6targetE0EEEvSM_
    .private_segment_fixed_size: 0
    .sgpr_count:     0
    .sgpr_spill_count: 0
    .symbol:         _ZN7rocprim17ROCPRIM_400000_NS6detail17trampoline_kernelINS0_14default_configENS1_38merge_sort_block_merge_config_selectorIlNS0_10empty_typeEEEZZNS1_27merge_sort_block_merge_implIS3_PlPS5_mZN2at6native12_GLOBAL__N_124unique_dim_cuda_templateIiEESt5tupleIJNSA_6TensorESF_SF_EERKSF_lbbbEUlllE_EE10hipError_tT0_T1_T2_jT3_P12ihipStream_tbPNSt15iterator_traitsISL_E10value_typeEPNSR_ISM_E10value_typeEPSN_NS1_7vsmem_tEENKUlT_SL_SM_SN_E_clIS8_S8_S9_S9_EESK_S10_SL_SM_SN_EUlS10_E_NS1_11comp_targetILNS1_3genE9ELNS1_11target_archE1100ELNS1_3gpuE3ELNS1_3repE0EEENS1_48merge_mergepath_partition_config_static_selectorELNS0_4arch9wavefront6targetE0EEEvSM_.kd
    .uniform_work_group_size: 1
    .uses_dynamic_stack: false
    .vgpr_count:     0
    .vgpr_spill_count: 0
    .wavefront_size: 32
  - .args:
      - .offset:         0
        .size:           56
        .value_kind:     by_value
    .group_segment_fixed_size: 0
    .kernarg_segment_align: 8
    .kernarg_segment_size: 56
    .language:       OpenCL C
    .language_version:
      - 2
      - 0
    .max_flat_workgroup_size: 128
    .name:           _ZN7rocprim17ROCPRIM_400000_NS6detail17trampoline_kernelINS0_14default_configENS1_38merge_sort_block_merge_config_selectorIlNS0_10empty_typeEEEZZNS1_27merge_sort_block_merge_implIS3_PlPS5_mZN2at6native12_GLOBAL__N_124unique_dim_cuda_templateIiEESt5tupleIJNSA_6TensorESF_SF_EERKSF_lbbbEUlllE_EE10hipError_tT0_T1_T2_jT3_P12ihipStream_tbPNSt15iterator_traitsISL_E10value_typeEPNSR_ISM_E10value_typeEPSN_NS1_7vsmem_tEENKUlT_SL_SM_SN_E_clIS8_S8_S9_S9_EESK_S10_SL_SM_SN_EUlS10_E_NS1_11comp_targetILNS1_3genE8ELNS1_11target_archE1030ELNS1_3gpuE2ELNS1_3repE0EEENS1_48merge_mergepath_partition_config_static_selectorELNS0_4arch9wavefront6targetE0EEEvSM_
    .private_segment_fixed_size: 0
    .sgpr_count:     0
    .sgpr_spill_count: 0
    .symbol:         _ZN7rocprim17ROCPRIM_400000_NS6detail17trampoline_kernelINS0_14default_configENS1_38merge_sort_block_merge_config_selectorIlNS0_10empty_typeEEEZZNS1_27merge_sort_block_merge_implIS3_PlPS5_mZN2at6native12_GLOBAL__N_124unique_dim_cuda_templateIiEESt5tupleIJNSA_6TensorESF_SF_EERKSF_lbbbEUlllE_EE10hipError_tT0_T1_T2_jT3_P12ihipStream_tbPNSt15iterator_traitsISL_E10value_typeEPNSR_ISM_E10value_typeEPSN_NS1_7vsmem_tEENKUlT_SL_SM_SN_E_clIS8_S8_S9_S9_EESK_S10_SL_SM_SN_EUlS10_E_NS1_11comp_targetILNS1_3genE8ELNS1_11target_archE1030ELNS1_3gpuE2ELNS1_3repE0EEENS1_48merge_mergepath_partition_config_static_selectorELNS0_4arch9wavefront6targetE0EEEvSM_.kd
    .uniform_work_group_size: 1
    .uses_dynamic_stack: false
    .vgpr_count:     0
    .vgpr_spill_count: 0
    .wavefront_size: 32
  - .args:
      - .offset:         0
        .size:           88
        .value_kind:     by_value
      - .offset:         88
        .size:           4
        .value_kind:     hidden_block_count_x
      - .offset:         92
        .size:           4
        .value_kind:     hidden_block_count_y
      - .offset:         96
        .size:           4
        .value_kind:     hidden_block_count_z
      - .offset:         100
        .size:           2
        .value_kind:     hidden_group_size_x
      - .offset:         102
        .size:           2
        .value_kind:     hidden_group_size_y
      - .offset:         104
        .size:           2
        .value_kind:     hidden_group_size_z
      - .offset:         106
        .size:           2
        .value_kind:     hidden_remainder_x
      - .offset:         108
        .size:           2
        .value_kind:     hidden_remainder_y
      - .offset:         110
        .size:           2
        .value_kind:     hidden_remainder_z
      - .offset:         128
        .size:           8
        .value_kind:     hidden_global_offset_x
      - .offset:         136
        .size:           8
        .value_kind:     hidden_global_offset_y
      - .offset:         144
        .size:           8
        .value_kind:     hidden_global_offset_z
      - .offset:         152
        .size:           2
        .value_kind:     hidden_grid_dims
    .group_segment_fixed_size: 8448
    .kernarg_segment_align: 8
    .kernarg_segment_size: 344
    .language:       OpenCL C
    .language_version:
      - 2
      - 0
    .max_flat_workgroup_size: 128
    .name:           _ZN7rocprim17ROCPRIM_400000_NS6detail17trampoline_kernelINS0_14default_configENS1_38merge_sort_block_merge_config_selectorIlNS0_10empty_typeEEEZZNS1_27merge_sort_block_merge_implIS3_PlPS5_mZN2at6native12_GLOBAL__N_124unique_dim_cuda_templateIiEESt5tupleIJNSA_6TensorESF_SF_EERKSF_lbbbEUlllE_EE10hipError_tT0_T1_T2_jT3_P12ihipStream_tbPNSt15iterator_traitsISL_E10value_typeEPNSR_ISM_E10value_typeEPSN_NS1_7vsmem_tEENKUlT_SL_SM_SN_E_clIS8_S8_S9_S9_EESK_S10_SL_SM_SN_EUlS10_E0_NS1_11comp_targetILNS1_3genE0ELNS1_11target_archE4294967295ELNS1_3gpuE0ELNS1_3repE0EEENS1_38merge_mergepath_config_static_selectorELNS0_4arch9wavefront6targetE0EEEvSM_
    .private_segment_fixed_size: 0
    .sgpr_count:     33
    .sgpr_spill_count: 0
    .symbol:         _ZN7rocprim17ROCPRIM_400000_NS6detail17trampoline_kernelINS0_14default_configENS1_38merge_sort_block_merge_config_selectorIlNS0_10empty_typeEEEZZNS1_27merge_sort_block_merge_implIS3_PlPS5_mZN2at6native12_GLOBAL__N_124unique_dim_cuda_templateIiEESt5tupleIJNSA_6TensorESF_SF_EERKSF_lbbbEUlllE_EE10hipError_tT0_T1_T2_jT3_P12ihipStream_tbPNSt15iterator_traitsISL_E10value_typeEPNSR_ISM_E10value_typeEPSN_NS1_7vsmem_tEENKUlT_SL_SM_SN_E_clIS8_S8_S9_S9_EESK_S10_SL_SM_SN_EUlS10_E0_NS1_11comp_targetILNS1_3genE0ELNS1_11target_archE4294967295ELNS1_3gpuE0ELNS1_3repE0EEENS1_38merge_mergepath_config_static_selectorELNS0_4arch9wavefront6targetE0EEEvSM_.kd
    .uniform_work_group_size: 1
    .uses_dynamic_stack: false
    .vgpr_count:     40
    .vgpr_spill_count: 0
    .wavefront_size: 32
  - .args:
      - .offset:         0
        .size:           88
        .value_kind:     by_value
    .group_segment_fixed_size: 0
    .kernarg_segment_align: 8
    .kernarg_segment_size: 88
    .language:       OpenCL C
    .language_version:
      - 2
      - 0
    .max_flat_workgroup_size: 512
    .name:           _ZN7rocprim17ROCPRIM_400000_NS6detail17trampoline_kernelINS0_14default_configENS1_38merge_sort_block_merge_config_selectorIlNS0_10empty_typeEEEZZNS1_27merge_sort_block_merge_implIS3_PlPS5_mZN2at6native12_GLOBAL__N_124unique_dim_cuda_templateIiEESt5tupleIJNSA_6TensorESF_SF_EERKSF_lbbbEUlllE_EE10hipError_tT0_T1_T2_jT3_P12ihipStream_tbPNSt15iterator_traitsISL_E10value_typeEPNSR_ISM_E10value_typeEPSN_NS1_7vsmem_tEENKUlT_SL_SM_SN_E_clIS8_S8_S9_S9_EESK_S10_SL_SM_SN_EUlS10_E0_NS1_11comp_targetILNS1_3genE10ELNS1_11target_archE1201ELNS1_3gpuE5ELNS1_3repE0EEENS1_38merge_mergepath_config_static_selectorELNS0_4arch9wavefront6targetE0EEEvSM_
    .private_segment_fixed_size: 0
    .sgpr_count:     0
    .sgpr_spill_count: 0
    .symbol:         _ZN7rocprim17ROCPRIM_400000_NS6detail17trampoline_kernelINS0_14default_configENS1_38merge_sort_block_merge_config_selectorIlNS0_10empty_typeEEEZZNS1_27merge_sort_block_merge_implIS3_PlPS5_mZN2at6native12_GLOBAL__N_124unique_dim_cuda_templateIiEESt5tupleIJNSA_6TensorESF_SF_EERKSF_lbbbEUlllE_EE10hipError_tT0_T1_T2_jT3_P12ihipStream_tbPNSt15iterator_traitsISL_E10value_typeEPNSR_ISM_E10value_typeEPSN_NS1_7vsmem_tEENKUlT_SL_SM_SN_E_clIS8_S8_S9_S9_EESK_S10_SL_SM_SN_EUlS10_E0_NS1_11comp_targetILNS1_3genE10ELNS1_11target_archE1201ELNS1_3gpuE5ELNS1_3repE0EEENS1_38merge_mergepath_config_static_selectorELNS0_4arch9wavefront6targetE0EEEvSM_.kd
    .uniform_work_group_size: 1
    .uses_dynamic_stack: false
    .vgpr_count:     0
    .vgpr_spill_count: 0
    .wavefront_size: 32
  - .args:
      - .offset:         0
        .size:           88
        .value_kind:     by_value
    .group_segment_fixed_size: 0
    .kernarg_segment_align: 8
    .kernarg_segment_size: 88
    .language:       OpenCL C
    .language_version:
      - 2
      - 0
    .max_flat_workgroup_size: 128
    .name:           _ZN7rocprim17ROCPRIM_400000_NS6detail17trampoline_kernelINS0_14default_configENS1_38merge_sort_block_merge_config_selectorIlNS0_10empty_typeEEEZZNS1_27merge_sort_block_merge_implIS3_PlPS5_mZN2at6native12_GLOBAL__N_124unique_dim_cuda_templateIiEESt5tupleIJNSA_6TensorESF_SF_EERKSF_lbbbEUlllE_EE10hipError_tT0_T1_T2_jT3_P12ihipStream_tbPNSt15iterator_traitsISL_E10value_typeEPNSR_ISM_E10value_typeEPSN_NS1_7vsmem_tEENKUlT_SL_SM_SN_E_clIS8_S8_S9_S9_EESK_S10_SL_SM_SN_EUlS10_E0_NS1_11comp_targetILNS1_3genE5ELNS1_11target_archE942ELNS1_3gpuE9ELNS1_3repE0EEENS1_38merge_mergepath_config_static_selectorELNS0_4arch9wavefront6targetE0EEEvSM_
    .private_segment_fixed_size: 0
    .sgpr_count:     0
    .sgpr_spill_count: 0
    .symbol:         _ZN7rocprim17ROCPRIM_400000_NS6detail17trampoline_kernelINS0_14default_configENS1_38merge_sort_block_merge_config_selectorIlNS0_10empty_typeEEEZZNS1_27merge_sort_block_merge_implIS3_PlPS5_mZN2at6native12_GLOBAL__N_124unique_dim_cuda_templateIiEESt5tupleIJNSA_6TensorESF_SF_EERKSF_lbbbEUlllE_EE10hipError_tT0_T1_T2_jT3_P12ihipStream_tbPNSt15iterator_traitsISL_E10value_typeEPNSR_ISM_E10value_typeEPSN_NS1_7vsmem_tEENKUlT_SL_SM_SN_E_clIS8_S8_S9_S9_EESK_S10_SL_SM_SN_EUlS10_E0_NS1_11comp_targetILNS1_3genE5ELNS1_11target_archE942ELNS1_3gpuE9ELNS1_3repE0EEENS1_38merge_mergepath_config_static_selectorELNS0_4arch9wavefront6targetE0EEEvSM_.kd
    .uniform_work_group_size: 1
    .uses_dynamic_stack: false
    .vgpr_count:     0
    .vgpr_spill_count: 0
    .wavefront_size: 32
  - .args:
      - .offset:         0
        .size:           88
        .value_kind:     by_value
    .group_segment_fixed_size: 0
    .kernarg_segment_align: 8
    .kernarg_segment_size: 88
    .language:       OpenCL C
    .language_version:
      - 2
      - 0
    .max_flat_workgroup_size: 256
    .name:           _ZN7rocprim17ROCPRIM_400000_NS6detail17trampoline_kernelINS0_14default_configENS1_38merge_sort_block_merge_config_selectorIlNS0_10empty_typeEEEZZNS1_27merge_sort_block_merge_implIS3_PlPS5_mZN2at6native12_GLOBAL__N_124unique_dim_cuda_templateIiEESt5tupleIJNSA_6TensorESF_SF_EERKSF_lbbbEUlllE_EE10hipError_tT0_T1_T2_jT3_P12ihipStream_tbPNSt15iterator_traitsISL_E10value_typeEPNSR_ISM_E10value_typeEPSN_NS1_7vsmem_tEENKUlT_SL_SM_SN_E_clIS8_S8_S9_S9_EESK_S10_SL_SM_SN_EUlS10_E0_NS1_11comp_targetILNS1_3genE4ELNS1_11target_archE910ELNS1_3gpuE8ELNS1_3repE0EEENS1_38merge_mergepath_config_static_selectorELNS0_4arch9wavefront6targetE0EEEvSM_
    .private_segment_fixed_size: 0
    .sgpr_count:     0
    .sgpr_spill_count: 0
    .symbol:         _ZN7rocprim17ROCPRIM_400000_NS6detail17trampoline_kernelINS0_14default_configENS1_38merge_sort_block_merge_config_selectorIlNS0_10empty_typeEEEZZNS1_27merge_sort_block_merge_implIS3_PlPS5_mZN2at6native12_GLOBAL__N_124unique_dim_cuda_templateIiEESt5tupleIJNSA_6TensorESF_SF_EERKSF_lbbbEUlllE_EE10hipError_tT0_T1_T2_jT3_P12ihipStream_tbPNSt15iterator_traitsISL_E10value_typeEPNSR_ISM_E10value_typeEPSN_NS1_7vsmem_tEENKUlT_SL_SM_SN_E_clIS8_S8_S9_S9_EESK_S10_SL_SM_SN_EUlS10_E0_NS1_11comp_targetILNS1_3genE4ELNS1_11target_archE910ELNS1_3gpuE8ELNS1_3repE0EEENS1_38merge_mergepath_config_static_selectorELNS0_4arch9wavefront6targetE0EEEvSM_.kd
    .uniform_work_group_size: 1
    .uses_dynamic_stack: false
    .vgpr_count:     0
    .vgpr_spill_count: 0
    .wavefront_size: 32
  - .args:
      - .offset:         0
        .size:           88
        .value_kind:     by_value
    .group_segment_fixed_size: 0
    .kernarg_segment_align: 8
    .kernarg_segment_size: 88
    .language:       OpenCL C
    .language_version:
      - 2
      - 0
    .max_flat_workgroup_size: 128
    .name:           _ZN7rocprim17ROCPRIM_400000_NS6detail17trampoline_kernelINS0_14default_configENS1_38merge_sort_block_merge_config_selectorIlNS0_10empty_typeEEEZZNS1_27merge_sort_block_merge_implIS3_PlPS5_mZN2at6native12_GLOBAL__N_124unique_dim_cuda_templateIiEESt5tupleIJNSA_6TensorESF_SF_EERKSF_lbbbEUlllE_EE10hipError_tT0_T1_T2_jT3_P12ihipStream_tbPNSt15iterator_traitsISL_E10value_typeEPNSR_ISM_E10value_typeEPSN_NS1_7vsmem_tEENKUlT_SL_SM_SN_E_clIS8_S8_S9_S9_EESK_S10_SL_SM_SN_EUlS10_E0_NS1_11comp_targetILNS1_3genE3ELNS1_11target_archE908ELNS1_3gpuE7ELNS1_3repE0EEENS1_38merge_mergepath_config_static_selectorELNS0_4arch9wavefront6targetE0EEEvSM_
    .private_segment_fixed_size: 0
    .sgpr_count:     0
    .sgpr_spill_count: 0
    .symbol:         _ZN7rocprim17ROCPRIM_400000_NS6detail17trampoline_kernelINS0_14default_configENS1_38merge_sort_block_merge_config_selectorIlNS0_10empty_typeEEEZZNS1_27merge_sort_block_merge_implIS3_PlPS5_mZN2at6native12_GLOBAL__N_124unique_dim_cuda_templateIiEESt5tupleIJNSA_6TensorESF_SF_EERKSF_lbbbEUlllE_EE10hipError_tT0_T1_T2_jT3_P12ihipStream_tbPNSt15iterator_traitsISL_E10value_typeEPNSR_ISM_E10value_typeEPSN_NS1_7vsmem_tEENKUlT_SL_SM_SN_E_clIS8_S8_S9_S9_EESK_S10_SL_SM_SN_EUlS10_E0_NS1_11comp_targetILNS1_3genE3ELNS1_11target_archE908ELNS1_3gpuE7ELNS1_3repE0EEENS1_38merge_mergepath_config_static_selectorELNS0_4arch9wavefront6targetE0EEEvSM_.kd
    .uniform_work_group_size: 1
    .uses_dynamic_stack: false
    .vgpr_count:     0
    .vgpr_spill_count: 0
    .wavefront_size: 32
  - .args:
      - .offset:         0
        .size:           88
        .value_kind:     by_value
    .group_segment_fixed_size: 0
    .kernarg_segment_align: 8
    .kernarg_segment_size: 88
    .language:       OpenCL C
    .language_version:
      - 2
      - 0
    .max_flat_workgroup_size: 256
    .name:           _ZN7rocprim17ROCPRIM_400000_NS6detail17trampoline_kernelINS0_14default_configENS1_38merge_sort_block_merge_config_selectorIlNS0_10empty_typeEEEZZNS1_27merge_sort_block_merge_implIS3_PlPS5_mZN2at6native12_GLOBAL__N_124unique_dim_cuda_templateIiEESt5tupleIJNSA_6TensorESF_SF_EERKSF_lbbbEUlllE_EE10hipError_tT0_T1_T2_jT3_P12ihipStream_tbPNSt15iterator_traitsISL_E10value_typeEPNSR_ISM_E10value_typeEPSN_NS1_7vsmem_tEENKUlT_SL_SM_SN_E_clIS8_S8_S9_S9_EESK_S10_SL_SM_SN_EUlS10_E0_NS1_11comp_targetILNS1_3genE2ELNS1_11target_archE906ELNS1_3gpuE6ELNS1_3repE0EEENS1_38merge_mergepath_config_static_selectorELNS0_4arch9wavefront6targetE0EEEvSM_
    .private_segment_fixed_size: 0
    .sgpr_count:     0
    .sgpr_spill_count: 0
    .symbol:         _ZN7rocprim17ROCPRIM_400000_NS6detail17trampoline_kernelINS0_14default_configENS1_38merge_sort_block_merge_config_selectorIlNS0_10empty_typeEEEZZNS1_27merge_sort_block_merge_implIS3_PlPS5_mZN2at6native12_GLOBAL__N_124unique_dim_cuda_templateIiEESt5tupleIJNSA_6TensorESF_SF_EERKSF_lbbbEUlllE_EE10hipError_tT0_T1_T2_jT3_P12ihipStream_tbPNSt15iterator_traitsISL_E10value_typeEPNSR_ISM_E10value_typeEPSN_NS1_7vsmem_tEENKUlT_SL_SM_SN_E_clIS8_S8_S9_S9_EESK_S10_SL_SM_SN_EUlS10_E0_NS1_11comp_targetILNS1_3genE2ELNS1_11target_archE906ELNS1_3gpuE6ELNS1_3repE0EEENS1_38merge_mergepath_config_static_selectorELNS0_4arch9wavefront6targetE0EEEvSM_.kd
    .uniform_work_group_size: 1
    .uses_dynamic_stack: false
    .vgpr_count:     0
    .vgpr_spill_count: 0
    .wavefront_size: 32
  - .args:
      - .offset:         0
        .size:           88
        .value_kind:     by_value
    .group_segment_fixed_size: 0
    .kernarg_segment_align: 8
    .kernarg_segment_size: 88
    .language:       OpenCL C
    .language_version:
      - 2
      - 0
    .max_flat_workgroup_size: 512
    .name:           _ZN7rocprim17ROCPRIM_400000_NS6detail17trampoline_kernelINS0_14default_configENS1_38merge_sort_block_merge_config_selectorIlNS0_10empty_typeEEEZZNS1_27merge_sort_block_merge_implIS3_PlPS5_mZN2at6native12_GLOBAL__N_124unique_dim_cuda_templateIiEESt5tupleIJNSA_6TensorESF_SF_EERKSF_lbbbEUlllE_EE10hipError_tT0_T1_T2_jT3_P12ihipStream_tbPNSt15iterator_traitsISL_E10value_typeEPNSR_ISM_E10value_typeEPSN_NS1_7vsmem_tEENKUlT_SL_SM_SN_E_clIS8_S8_S9_S9_EESK_S10_SL_SM_SN_EUlS10_E0_NS1_11comp_targetILNS1_3genE9ELNS1_11target_archE1100ELNS1_3gpuE3ELNS1_3repE0EEENS1_38merge_mergepath_config_static_selectorELNS0_4arch9wavefront6targetE0EEEvSM_
    .private_segment_fixed_size: 0
    .sgpr_count:     0
    .sgpr_spill_count: 0
    .symbol:         _ZN7rocprim17ROCPRIM_400000_NS6detail17trampoline_kernelINS0_14default_configENS1_38merge_sort_block_merge_config_selectorIlNS0_10empty_typeEEEZZNS1_27merge_sort_block_merge_implIS3_PlPS5_mZN2at6native12_GLOBAL__N_124unique_dim_cuda_templateIiEESt5tupleIJNSA_6TensorESF_SF_EERKSF_lbbbEUlllE_EE10hipError_tT0_T1_T2_jT3_P12ihipStream_tbPNSt15iterator_traitsISL_E10value_typeEPNSR_ISM_E10value_typeEPSN_NS1_7vsmem_tEENKUlT_SL_SM_SN_E_clIS8_S8_S9_S9_EESK_S10_SL_SM_SN_EUlS10_E0_NS1_11comp_targetILNS1_3genE9ELNS1_11target_archE1100ELNS1_3gpuE3ELNS1_3repE0EEENS1_38merge_mergepath_config_static_selectorELNS0_4arch9wavefront6targetE0EEEvSM_.kd
    .uniform_work_group_size: 1
    .uses_dynamic_stack: false
    .vgpr_count:     0
    .vgpr_spill_count: 0
    .wavefront_size: 32
  - .args:
      - .offset:         0
        .size:           88
        .value_kind:     by_value
    .group_segment_fixed_size: 0
    .kernarg_segment_align: 8
    .kernarg_segment_size: 88
    .language:       OpenCL C
    .language_version:
      - 2
      - 0
    .max_flat_workgroup_size: 1024
    .name:           _ZN7rocprim17ROCPRIM_400000_NS6detail17trampoline_kernelINS0_14default_configENS1_38merge_sort_block_merge_config_selectorIlNS0_10empty_typeEEEZZNS1_27merge_sort_block_merge_implIS3_PlPS5_mZN2at6native12_GLOBAL__N_124unique_dim_cuda_templateIiEESt5tupleIJNSA_6TensorESF_SF_EERKSF_lbbbEUlllE_EE10hipError_tT0_T1_T2_jT3_P12ihipStream_tbPNSt15iterator_traitsISL_E10value_typeEPNSR_ISM_E10value_typeEPSN_NS1_7vsmem_tEENKUlT_SL_SM_SN_E_clIS8_S8_S9_S9_EESK_S10_SL_SM_SN_EUlS10_E0_NS1_11comp_targetILNS1_3genE8ELNS1_11target_archE1030ELNS1_3gpuE2ELNS1_3repE0EEENS1_38merge_mergepath_config_static_selectorELNS0_4arch9wavefront6targetE0EEEvSM_
    .private_segment_fixed_size: 0
    .sgpr_count:     0
    .sgpr_spill_count: 0
    .symbol:         _ZN7rocprim17ROCPRIM_400000_NS6detail17trampoline_kernelINS0_14default_configENS1_38merge_sort_block_merge_config_selectorIlNS0_10empty_typeEEEZZNS1_27merge_sort_block_merge_implIS3_PlPS5_mZN2at6native12_GLOBAL__N_124unique_dim_cuda_templateIiEESt5tupleIJNSA_6TensorESF_SF_EERKSF_lbbbEUlllE_EE10hipError_tT0_T1_T2_jT3_P12ihipStream_tbPNSt15iterator_traitsISL_E10value_typeEPNSR_ISM_E10value_typeEPSN_NS1_7vsmem_tEENKUlT_SL_SM_SN_E_clIS8_S8_S9_S9_EESK_S10_SL_SM_SN_EUlS10_E0_NS1_11comp_targetILNS1_3genE8ELNS1_11target_archE1030ELNS1_3gpuE2ELNS1_3repE0EEENS1_38merge_mergepath_config_static_selectorELNS0_4arch9wavefront6targetE0EEEvSM_.kd
    .uniform_work_group_size: 1
    .uses_dynamic_stack: false
    .vgpr_count:     0
    .vgpr_spill_count: 0
    .wavefront_size: 32
  - .args:
      - .offset:         0
        .size:           64
        .value_kind:     by_value
    .group_segment_fixed_size: 0
    .kernarg_segment_align: 8
    .kernarg_segment_size: 64
    .language:       OpenCL C
    .language_version:
      - 2
      - 0
    .max_flat_workgroup_size: 256
    .name:           _ZN7rocprim17ROCPRIM_400000_NS6detail17trampoline_kernelINS0_14default_configENS1_38merge_sort_block_merge_config_selectorIlNS0_10empty_typeEEEZZNS1_27merge_sort_block_merge_implIS3_PlPS5_mZN2at6native12_GLOBAL__N_124unique_dim_cuda_templateIiEESt5tupleIJNSA_6TensorESF_SF_EERKSF_lbbbEUlllE_EE10hipError_tT0_T1_T2_jT3_P12ihipStream_tbPNSt15iterator_traitsISL_E10value_typeEPNSR_ISM_E10value_typeEPSN_NS1_7vsmem_tEENKUlT_SL_SM_SN_E_clIS8_S8_S9_S9_EESK_S10_SL_SM_SN_EUlS10_E1_NS1_11comp_targetILNS1_3genE0ELNS1_11target_archE4294967295ELNS1_3gpuE0ELNS1_3repE0EEENS1_36merge_oddeven_config_static_selectorELNS0_4arch9wavefront6targetE0EEEvSM_
    .private_segment_fixed_size: 0
    .sgpr_count:     29
    .sgpr_spill_count: 0
    .symbol:         _ZN7rocprim17ROCPRIM_400000_NS6detail17trampoline_kernelINS0_14default_configENS1_38merge_sort_block_merge_config_selectorIlNS0_10empty_typeEEEZZNS1_27merge_sort_block_merge_implIS3_PlPS5_mZN2at6native12_GLOBAL__N_124unique_dim_cuda_templateIiEESt5tupleIJNSA_6TensorESF_SF_EERKSF_lbbbEUlllE_EE10hipError_tT0_T1_T2_jT3_P12ihipStream_tbPNSt15iterator_traitsISL_E10value_typeEPNSR_ISM_E10value_typeEPSN_NS1_7vsmem_tEENKUlT_SL_SM_SN_E_clIS8_S8_S9_S9_EESK_S10_SL_SM_SN_EUlS10_E1_NS1_11comp_targetILNS1_3genE0ELNS1_11target_archE4294967295ELNS1_3gpuE0ELNS1_3repE0EEENS1_36merge_oddeven_config_static_selectorELNS0_4arch9wavefront6targetE0EEEvSM_.kd
    .uniform_work_group_size: 1
    .uses_dynamic_stack: false
    .vgpr_count:     17
    .vgpr_spill_count: 0
    .wavefront_size: 32
  - .args:
      - .offset:         0
        .size:           64
        .value_kind:     by_value
    .group_segment_fixed_size: 0
    .kernarg_segment_align: 8
    .kernarg_segment_size: 64
    .language:       OpenCL C
    .language_version:
      - 2
      - 0
    .max_flat_workgroup_size: 256
    .name:           _ZN7rocprim17ROCPRIM_400000_NS6detail17trampoline_kernelINS0_14default_configENS1_38merge_sort_block_merge_config_selectorIlNS0_10empty_typeEEEZZNS1_27merge_sort_block_merge_implIS3_PlPS5_mZN2at6native12_GLOBAL__N_124unique_dim_cuda_templateIiEESt5tupleIJNSA_6TensorESF_SF_EERKSF_lbbbEUlllE_EE10hipError_tT0_T1_T2_jT3_P12ihipStream_tbPNSt15iterator_traitsISL_E10value_typeEPNSR_ISM_E10value_typeEPSN_NS1_7vsmem_tEENKUlT_SL_SM_SN_E_clIS8_S8_S9_S9_EESK_S10_SL_SM_SN_EUlS10_E1_NS1_11comp_targetILNS1_3genE10ELNS1_11target_archE1201ELNS1_3gpuE5ELNS1_3repE0EEENS1_36merge_oddeven_config_static_selectorELNS0_4arch9wavefront6targetE0EEEvSM_
    .private_segment_fixed_size: 0
    .sgpr_count:     0
    .sgpr_spill_count: 0
    .symbol:         _ZN7rocprim17ROCPRIM_400000_NS6detail17trampoline_kernelINS0_14default_configENS1_38merge_sort_block_merge_config_selectorIlNS0_10empty_typeEEEZZNS1_27merge_sort_block_merge_implIS3_PlPS5_mZN2at6native12_GLOBAL__N_124unique_dim_cuda_templateIiEESt5tupleIJNSA_6TensorESF_SF_EERKSF_lbbbEUlllE_EE10hipError_tT0_T1_T2_jT3_P12ihipStream_tbPNSt15iterator_traitsISL_E10value_typeEPNSR_ISM_E10value_typeEPSN_NS1_7vsmem_tEENKUlT_SL_SM_SN_E_clIS8_S8_S9_S9_EESK_S10_SL_SM_SN_EUlS10_E1_NS1_11comp_targetILNS1_3genE10ELNS1_11target_archE1201ELNS1_3gpuE5ELNS1_3repE0EEENS1_36merge_oddeven_config_static_selectorELNS0_4arch9wavefront6targetE0EEEvSM_.kd
    .uniform_work_group_size: 1
    .uses_dynamic_stack: false
    .vgpr_count:     0
    .vgpr_spill_count: 0
    .wavefront_size: 32
  - .args:
      - .offset:         0
        .size:           64
        .value_kind:     by_value
    .group_segment_fixed_size: 0
    .kernarg_segment_align: 8
    .kernarg_segment_size: 64
    .language:       OpenCL C
    .language_version:
      - 2
      - 0
    .max_flat_workgroup_size: 256
    .name:           _ZN7rocprim17ROCPRIM_400000_NS6detail17trampoline_kernelINS0_14default_configENS1_38merge_sort_block_merge_config_selectorIlNS0_10empty_typeEEEZZNS1_27merge_sort_block_merge_implIS3_PlPS5_mZN2at6native12_GLOBAL__N_124unique_dim_cuda_templateIiEESt5tupleIJNSA_6TensorESF_SF_EERKSF_lbbbEUlllE_EE10hipError_tT0_T1_T2_jT3_P12ihipStream_tbPNSt15iterator_traitsISL_E10value_typeEPNSR_ISM_E10value_typeEPSN_NS1_7vsmem_tEENKUlT_SL_SM_SN_E_clIS8_S8_S9_S9_EESK_S10_SL_SM_SN_EUlS10_E1_NS1_11comp_targetILNS1_3genE5ELNS1_11target_archE942ELNS1_3gpuE9ELNS1_3repE0EEENS1_36merge_oddeven_config_static_selectorELNS0_4arch9wavefront6targetE0EEEvSM_
    .private_segment_fixed_size: 0
    .sgpr_count:     0
    .sgpr_spill_count: 0
    .symbol:         _ZN7rocprim17ROCPRIM_400000_NS6detail17trampoline_kernelINS0_14default_configENS1_38merge_sort_block_merge_config_selectorIlNS0_10empty_typeEEEZZNS1_27merge_sort_block_merge_implIS3_PlPS5_mZN2at6native12_GLOBAL__N_124unique_dim_cuda_templateIiEESt5tupleIJNSA_6TensorESF_SF_EERKSF_lbbbEUlllE_EE10hipError_tT0_T1_T2_jT3_P12ihipStream_tbPNSt15iterator_traitsISL_E10value_typeEPNSR_ISM_E10value_typeEPSN_NS1_7vsmem_tEENKUlT_SL_SM_SN_E_clIS8_S8_S9_S9_EESK_S10_SL_SM_SN_EUlS10_E1_NS1_11comp_targetILNS1_3genE5ELNS1_11target_archE942ELNS1_3gpuE9ELNS1_3repE0EEENS1_36merge_oddeven_config_static_selectorELNS0_4arch9wavefront6targetE0EEEvSM_.kd
    .uniform_work_group_size: 1
    .uses_dynamic_stack: false
    .vgpr_count:     0
    .vgpr_spill_count: 0
    .wavefront_size: 32
  - .args:
      - .offset:         0
        .size:           64
        .value_kind:     by_value
    .group_segment_fixed_size: 0
    .kernarg_segment_align: 8
    .kernarg_segment_size: 64
    .language:       OpenCL C
    .language_version:
      - 2
      - 0
    .max_flat_workgroup_size: 256
    .name:           _ZN7rocprim17ROCPRIM_400000_NS6detail17trampoline_kernelINS0_14default_configENS1_38merge_sort_block_merge_config_selectorIlNS0_10empty_typeEEEZZNS1_27merge_sort_block_merge_implIS3_PlPS5_mZN2at6native12_GLOBAL__N_124unique_dim_cuda_templateIiEESt5tupleIJNSA_6TensorESF_SF_EERKSF_lbbbEUlllE_EE10hipError_tT0_T1_T2_jT3_P12ihipStream_tbPNSt15iterator_traitsISL_E10value_typeEPNSR_ISM_E10value_typeEPSN_NS1_7vsmem_tEENKUlT_SL_SM_SN_E_clIS8_S8_S9_S9_EESK_S10_SL_SM_SN_EUlS10_E1_NS1_11comp_targetILNS1_3genE4ELNS1_11target_archE910ELNS1_3gpuE8ELNS1_3repE0EEENS1_36merge_oddeven_config_static_selectorELNS0_4arch9wavefront6targetE0EEEvSM_
    .private_segment_fixed_size: 0
    .sgpr_count:     0
    .sgpr_spill_count: 0
    .symbol:         _ZN7rocprim17ROCPRIM_400000_NS6detail17trampoline_kernelINS0_14default_configENS1_38merge_sort_block_merge_config_selectorIlNS0_10empty_typeEEEZZNS1_27merge_sort_block_merge_implIS3_PlPS5_mZN2at6native12_GLOBAL__N_124unique_dim_cuda_templateIiEESt5tupleIJNSA_6TensorESF_SF_EERKSF_lbbbEUlllE_EE10hipError_tT0_T1_T2_jT3_P12ihipStream_tbPNSt15iterator_traitsISL_E10value_typeEPNSR_ISM_E10value_typeEPSN_NS1_7vsmem_tEENKUlT_SL_SM_SN_E_clIS8_S8_S9_S9_EESK_S10_SL_SM_SN_EUlS10_E1_NS1_11comp_targetILNS1_3genE4ELNS1_11target_archE910ELNS1_3gpuE8ELNS1_3repE0EEENS1_36merge_oddeven_config_static_selectorELNS0_4arch9wavefront6targetE0EEEvSM_.kd
    .uniform_work_group_size: 1
    .uses_dynamic_stack: false
    .vgpr_count:     0
    .vgpr_spill_count: 0
    .wavefront_size: 32
  - .args:
      - .offset:         0
        .size:           64
        .value_kind:     by_value
    .group_segment_fixed_size: 0
    .kernarg_segment_align: 8
    .kernarg_segment_size: 64
    .language:       OpenCL C
    .language_version:
      - 2
      - 0
    .max_flat_workgroup_size: 256
    .name:           _ZN7rocprim17ROCPRIM_400000_NS6detail17trampoline_kernelINS0_14default_configENS1_38merge_sort_block_merge_config_selectorIlNS0_10empty_typeEEEZZNS1_27merge_sort_block_merge_implIS3_PlPS5_mZN2at6native12_GLOBAL__N_124unique_dim_cuda_templateIiEESt5tupleIJNSA_6TensorESF_SF_EERKSF_lbbbEUlllE_EE10hipError_tT0_T1_T2_jT3_P12ihipStream_tbPNSt15iterator_traitsISL_E10value_typeEPNSR_ISM_E10value_typeEPSN_NS1_7vsmem_tEENKUlT_SL_SM_SN_E_clIS8_S8_S9_S9_EESK_S10_SL_SM_SN_EUlS10_E1_NS1_11comp_targetILNS1_3genE3ELNS1_11target_archE908ELNS1_3gpuE7ELNS1_3repE0EEENS1_36merge_oddeven_config_static_selectorELNS0_4arch9wavefront6targetE0EEEvSM_
    .private_segment_fixed_size: 0
    .sgpr_count:     0
    .sgpr_spill_count: 0
    .symbol:         _ZN7rocprim17ROCPRIM_400000_NS6detail17trampoline_kernelINS0_14default_configENS1_38merge_sort_block_merge_config_selectorIlNS0_10empty_typeEEEZZNS1_27merge_sort_block_merge_implIS3_PlPS5_mZN2at6native12_GLOBAL__N_124unique_dim_cuda_templateIiEESt5tupleIJNSA_6TensorESF_SF_EERKSF_lbbbEUlllE_EE10hipError_tT0_T1_T2_jT3_P12ihipStream_tbPNSt15iterator_traitsISL_E10value_typeEPNSR_ISM_E10value_typeEPSN_NS1_7vsmem_tEENKUlT_SL_SM_SN_E_clIS8_S8_S9_S9_EESK_S10_SL_SM_SN_EUlS10_E1_NS1_11comp_targetILNS1_3genE3ELNS1_11target_archE908ELNS1_3gpuE7ELNS1_3repE0EEENS1_36merge_oddeven_config_static_selectorELNS0_4arch9wavefront6targetE0EEEvSM_.kd
    .uniform_work_group_size: 1
    .uses_dynamic_stack: false
    .vgpr_count:     0
    .vgpr_spill_count: 0
    .wavefront_size: 32
  - .args:
      - .offset:         0
        .size:           64
        .value_kind:     by_value
    .group_segment_fixed_size: 0
    .kernarg_segment_align: 8
    .kernarg_segment_size: 64
    .language:       OpenCL C
    .language_version:
      - 2
      - 0
    .max_flat_workgroup_size: 256
    .name:           _ZN7rocprim17ROCPRIM_400000_NS6detail17trampoline_kernelINS0_14default_configENS1_38merge_sort_block_merge_config_selectorIlNS0_10empty_typeEEEZZNS1_27merge_sort_block_merge_implIS3_PlPS5_mZN2at6native12_GLOBAL__N_124unique_dim_cuda_templateIiEESt5tupleIJNSA_6TensorESF_SF_EERKSF_lbbbEUlllE_EE10hipError_tT0_T1_T2_jT3_P12ihipStream_tbPNSt15iterator_traitsISL_E10value_typeEPNSR_ISM_E10value_typeEPSN_NS1_7vsmem_tEENKUlT_SL_SM_SN_E_clIS8_S8_S9_S9_EESK_S10_SL_SM_SN_EUlS10_E1_NS1_11comp_targetILNS1_3genE2ELNS1_11target_archE906ELNS1_3gpuE6ELNS1_3repE0EEENS1_36merge_oddeven_config_static_selectorELNS0_4arch9wavefront6targetE0EEEvSM_
    .private_segment_fixed_size: 0
    .sgpr_count:     0
    .sgpr_spill_count: 0
    .symbol:         _ZN7rocprim17ROCPRIM_400000_NS6detail17trampoline_kernelINS0_14default_configENS1_38merge_sort_block_merge_config_selectorIlNS0_10empty_typeEEEZZNS1_27merge_sort_block_merge_implIS3_PlPS5_mZN2at6native12_GLOBAL__N_124unique_dim_cuda_templateIiEESt5tupleIJNSA_6TensorESF_SF_EERKSF_lbbbEUlllE_EE10hipError_tT0_T1_T2_jT3_P12ihipStream_tbPNSt15iterator_traitsISL_E10value_typeEPNSR_ISM_E10value_typeEPSN_NS1_7vsmem_tEENKUlT_SL_SM_SN_E_clIS8_S8_S9_S9_EESK_S10_SL_SM_SN_EUlS10_E1_NS1_11comp_targetILNS1_3genE2ELNS1_11target_archE906ELNS1_3gpuE6ELNS1_3repE0EEENS1_36merge_oddeven_config_static_selectorELNS0_4arch9wavefront6targetE0EEEvSM_.kd
    .uniform_work_group_size: 1
    .uses_dynamic_stack: false
    .vgpr_count:     0
    .vgpr_spill_count: 0
    .wavefront_size: 32
  - .args:
      - .offset:         0
        .size:           64
        .value_kind:     by_value
    .group_segment_fixed_size: 0
    .kernarg_segment_align: 8
    .kernarg_segment_size: 64
    .language:       OpenCL C
    .language_version:
      - 2
      - 0
    .max_flat_workgroup_size: 256
    .name:           _ZN7rocprim17ROCPRIM_400000_NS6detail17trampoline_kernelINS0_14default_configENS1_38merge_sort_block_merge_config_selectorIlNS0_10empty_typeEEEZZNS1_27merge_sort_block_merge_implIS3_PlPS5_mZN2at6native12_GLOBAL__N_124unique_dim_cuda_templateIiEESt5tupleIJNSA_6TensorESF_SF_EERKSF_lbbbEUlllE_EE10hipError_tT0_T1_T2_jT3_P12ihipStream_tbPNSt15iterator_traitsISL_E10value_typeEPNSR_ISM_E10value_typeEPSN_NS1_7vsmem_tEENKUlT_SL_SM_SN_E_clIS8_S8_S9_S9_EESK_S10_SL_SM_SN_EUlS10_E1_NS1_11comp_targetILNS1_3genE9ELNS1_11target_archE1100ELNS1_3gpuE3ELNS1_3repE0EEENS1_36merge_oddeven_config_static_selectorELNS0_4arch9wavefront6targetE0EEEvSM_
    .private_segment_fixed_size: 0
    .sgpr_count:     0
    .sgpr_spill_count: 0
    .symbol:         _ZN7rocprim17ROCPRIM_400000_NS6detail17trampoline_kernelINS0_14default_configENS1_38merge_sort_block_merge_config_selectorIlNS0_10empty_typeEEEZZNS1_27merge_sort_block_merge_implIS3_PlPS5_mZN2at6native12_GLOBAL__N_124unique_dim_cuda_templateIiEESt5tupleIJNSA_6TensorESF_SF_EERKSF_lbbbEUlllE_EE10hipError_tT0_T1_T2_jT3_P12ihipStream_tbPNSt15iterator_traitsISL_E10value_typeEPNSR_ISM_E10value_typeEPSN_NS1_7vsmem_tEENKUlT_SL_SM_SN_E_clIS8_S8_S9_S9_EESK_S10_SL_SM_SN_EUlS10_E1_NS1_11comp_targetILNS1_3genE9ELNS1_11target_archE1100ELNS1_3gpuE3ELNS1_3repE0EEENS1_36merge_oddeven_config_static_selectorELNS0_4arch9wavefront6targetE0EEEvSM_.kd
    .uniform_work_group_size: 1
    .uses_dynamic_stack: false
    .vgpr_count:     0
    .vgpr_spill_count: 0
    .wavefront_size: 32
  - .args:
      - .offset:         0
        .size:           64
        .value_kind:     by_value
    .group_segment_fixed_size: 0
    .kernarg_segment_align: 8
    .kernarg_segment_size: 64
    .language:       OpenCL C
    .language_version:
      - 2
      - 0
    .max_flat_workgroup_size: 256
    .name:           _ZN7rocprim17ROCPRIM_400000_NS6detail17trampoline_kernelINS0_14default_configENS1_38merge_sort_block_merge_config_selectorIlNS0_10empty_typeEEEZZNS1_27merge_sort_block_merge_implIS3_PlPS5_mZN2at6native12_GLOBAL__N_124unique_dim_cuda_templateIiEESt5tupleIJNSA_6TensorESF_SF_EERKSF_lbbbEUlllE_EE10hipError_tT0_T1_T2_jT3_P12ihipStream_tbPNSt15iterator_traitsISL_E10value_typeEPNSR_ISM_E10value_typeEPSN_NS1_7vsmem_tEENKUlT_SL_SM_SN_E_clIS8_S8_S9_S9_EESK_S10_SL_SM_SN_EUlS10_E1_NS1_11comp_targetILNS1_3genE8ELNS1_11target_archE1030ELNS1_3gpuE2ELNS1_3repE0EEENS1_36merge_oddeven_config_static_selectorELNS0_4arch9wavefront6targetE0EEEvSM_
    .private_segment_fixed_size: 0
    .sgpr_count:     0
    .sgpr_spill_count: 0
    .symbol:         _ZN7rocprim17ROCPRIM_400000_NS6detail17trampoline_kernelINS0_14default_configENS1_38merge_sort_block_merge_config_selectorIlNS0_10empty_typeEEEZZNS1_27merge_sort_block_merge_implIS3_PlPS5_mZN2at6native12_GLOBAL__N_124unique_dim_cuda_templateIiEESt5tupleIJNSA_6TensorESF_SF_EERKSF_lbbbEUlllE_EE10hipError_tT0_T1_T2_jT3_P12ihipStream_tbPNSt15iterator_traitsISL_E10value_typeEPNSR_ISM_E10value_typeEPSN_NS1_7vsmem_tEENKUlT_SL_SM_SN_E_clIS8_S8_S9_S9_EESK_S10_SL_SM_SN_EUlS10_E1_NS1_11comp_targetILNS1_3genE8ELNS1_11target_archE1030ELNS1_3gpuE2ELNS1_3repE0EEENS1_36merge_oddeven_config_static_selectorELNS0_4arch9wavefront6targetE0EEEvSM_.kd
    .uniform_work_group_size: 1
    .uses_dynamic_stack: false
    .vgpr_count:     0
    .vgpr_spill_count: 0
    .wavefront_size: 32
  - .args:
      - .offset:         0
        .size:           64
        .value_kind:     by_value
    .group_segment_fixed_size: 2048
    .kernarg_segment_align: 8
    .kernarg_segment_size: 64
    .language:       OpenCL C
    .language_version:
      - 2
      - 0
    .max_flat_workgroup_size: 128
    .name:           _ZN7rocprim17ROCPRIM_400000_NS6detail17trampoline_kernelINS0_14default_configENS1_35adjacent_difference_config_selectorILb0ElEEZNS1_24adjacent_difference_implIS3_Lb0ELb0EPlS7_ZN2at6native12_GLOBAL__N_124unique_dim_cuda_templateIiEESt5tupleIJNS8_6TensorESD_SD_EERKSD_lbbbEUlllE1_EE10hipError_tPvRmT2_T3_mT4_P12ihipStream_tbEUlT_E_NS1_11comp_targetILNS1_3genE0ELNS1_11target_archE4294967295ELNS1_3gpuE0ELNS1_3repE0EEENS1_30default_config_static_selectorELNS0_4arch9wavefront6targetE0EEEvT1_
    .private_segment_fixed_size: 0
    .sgpr_count:     26
    .sgpr_spill_count: 0
    .symbol:         _ZN7rocprim17ROCPRIM_400000_NS6detail17trampoline_kernelINS0_14default_configENS1_35adjacent_difference_config_selectorILb0ElEEZNS1_24adjacent_difference_implIS3_Lb0ELb0EPlS7_ZN2at6native12_GLOBAL__N_124unique_dim_cuda_templateIiEESt5tupleIJNS8_6TensorESD_SD_EERKSD_lbbbEUlllE1_EE10hipError_tPvRmT2_T3_mT4_P12ihipStream_tbEUlT_E_NS1_11comp_targetILNS1_3genE0ELNS1_11target_archE4294967295ELNS1_3gpuE0ELNS1_3repE0EEENS1_30default_config_static_selectorELNS0_4arch9wavefront6targetE0EEEvT1_.kd
    .uniform_work_group_size: 1
    .uses_dynamic_stack: false
    .vgpr_count:     11
    .vgpr_spill_count: 0
    .wavefront_size: 32
  - .args:
      - .offset:         0
        .size:           64
        .value_kind:     by_value
    .group_segment_fixed_size: 0
    .kernarg_segment_align: 8
    .kernarg_segment_size: 64
    .language:       OpenCL C
    .language_version:
      - 2
      - 0
    .max_flat_workgroup_size: 128
    .name:           _ZN7rocprim17ROCPRIM_400000_NS6detail17trampoline_kernelINS0_14default_configENS1_35adjacent_difference_config_selectorILb0ElEEZNS1_24adjacent_difference_implIS3_Lb0ELb0EPlS7_ZN2at6native12_GLOBAL__N_124unique_dim_cuda_templateIiEESt5tupleIJNS8_6TensorESD_SD_EERKSD_lbbbEUlllE1_EE10hipError_tPvRmT2_T3_mT4_P12ihipStream_tbEUlT_E_NS1_11comp_targetILNS1_3genE10ELNS1_11target_archE1201ELNS1_3gpuE5ELNS1_3repE0EEENS1_30default_config_static_selectorELNS0_4arch9wavefront6targetE0EEEvT1_
    .private_segment_fixed_size: 0
    .sgpr_count:     0
    .sgpr_spill_count: 0
    .symbol:         _ZN7rocprim17ROCPRIM_400000_NS6detail17trampoline_kernelINS0_14default_configENS1_35adjacent_difference_config_selectorILb0ElEEZNS1_24adjacent_difference_implIS3_Lb0ELb0EPlS7_ZN2at6native12_GLOBAL__N_124unique_dim_cuda_templateIiEESt5tupleIJNS8_6TensorESD_SD_EERKSD_lbbbEUlllE1_EE10hipError_tPvRmT2_T3_mT4_P12ihipStream_tbEUlT_E_NS1_11comp_targetILNS1_3genE10ELNS1_11target_archE1201ELNS1_3gpuE5ELNS1_3repE0EEENS1_30default_config_static_selectorELNS0_4arch9wavefront6targetE0EEEvT1_.kd
    .uniform_work_group_size: 1
    .uses_dynamic_stack: false
    .vgpr_count:     0
    .vgpr_spill_count: 0
    .wavefront_size: 32
  - .args:
      - .offset:         0
        .size:           64
        .value_kind:     by_value
    .group_segment_fixed_size: 0
    .kernarg_segment_align: 8
    .kernarg_segment_size: 64
    .language:       OpenCL C
    .language_version:
      - 2
      - 0
    .max_flat_workgroup_size: 64
    .name:           _ZN7rocprim17ROCPRIM_400000_NS6detail17trampoline_kernelINS0_14default_configENS1_35adjacent_difference_config_selectorILb0ElEEZNS1_24adjacent_difference_implIS3_Lb0ELb0EPlS7_ZN2at6native12_GLOBAL__N_124unique_dim_cuda_templateIiEESt5tupleIJNS8_6TensorESD_SD_EERKSD_lbbbEUlllE1_EE10hipError_tPvRmT2_T3_mT4_P12ihipStream_tbEUlT_E_NS1_11comp_targetILNS1_3genE5ELNS1_11target_archE942ELNS1_3gpuE9ELNS1_3repE0EEENS1_30default_config_static_selectorELNS0_4arch9wavefront6targetE0EEEvT1_
    .private_segment_fixed_size: 0
    .sgpr_count:     0
    .sgpr_spill_count: 0
    .symbol:         _ZN7rocprim17ROCPRIM_400000_NS6detail17trampoline_kernelINS0_14default_configENS1_35adjacent_difference_config_selectorILb0ElEEZNS1_24adjacent_difference_implIS3_Lb0ELb0EPlS7_ZN2at6native12_GLOBAL__N_124unique_dim_cuda_templateIiEESt5tupleIJNS8_6TensorESD_SD_EERKSD_lbbbEUlllE1_EE10hipError_tPvRmT2_T3_mT4_P12ihipStream_tbEUlT_E_NS1_11comp_targetILNS1_3genE5ELNS1_11target_archE942ELNS1_3gpuE9ELNS1_3repE0EEENS1_30default_config_static_selectorELNS0_4arch9wavefront6targetE0EEEvT1_.kd
    .uniform_work_group_size: 1
    .uses_dynamic_stack: false
    .vgpr_count:     0
    .vgpr_spill_count: 0
    .wavefront_size: 32
  - .args:
      - .offset:         0
        .size:           64
        .value_kind:     by_value
    .group_segment_fixed_size: 0
    .kernarg_segment_align: 8
    .kernarg_segment_size: 64
    .language:       OpenCL C
    .language_version:
      - 2
      - 0
    .max_flat_workgroup_size: 256
    .name:           _ZN7rocprim17ROCPRIM_400000_NS6detail17trampoline_kernelINS0_14default_configENS1_35adjacent_difference_config_selectorILb0ElEEZNS1_24adjacent_difference_implIS3_Lb0ELb0EPlS7_ZN2at6native12_GLOBAL__N_124unique_dim_cuda_templateIiEESt5tupleIJNS8_6TensorESD_SD_EERKSD_lbbbEUlllE1_EE10hipError_tPvRmT2_T3_mT4_P12ihipStream_tbEUlT_E_NS1_11comp_targetILNS1_3genE4ELNS1_11target_archE910ELNS1_3gpuE8ELNS1_3repE0EEENS1_30default_config_static_selectorELNS0_4arch9wavefront6targetE0EEEvT1_
    .private_segment_fixed_size: 0
    .sgpr_count:     0
    .sgpr_spill_count: 0
    .symbol:         _ZN7rocprim17ROCPRIM_400000_NS6detail17trampoline_kernelINS0_14default_configENS1_35adjacent_difference_config_selectorILb0ElEEZNS1_24adjacent_difference_implIS3_Lb0ELb0EPlS7_ZN2at6native12_GLOBAL__N_124unique_dim_cuda_templateIiEESt5tupleIJNS8_6TensorESD_SD_EERKSD_lbbbEUlllE1_EE10hipError_tPvRmT2_T3_mT4_P12ihipStream_tbEUlT_E_NS1_11comp_targetILNS1_3genE4ELNS1_11target_archE910ELNS1_3gpuE8ELNS1_3repE0EEENS1_30default_config_static_selectorELNS0_4arch9wavefront6targetE0EEEvT1_.kd
    .uniform_work_group_size: 1
    .uses_dynamic_stack: false
    .vgpr_count:     0
    .vgpr_spill_count: 0
    .wavefront_size: 32
  - .args:
      - .offset:         0
        .size:           64
        .value_kind:     by_value
    .group_segment_fixed_size: 0
    .kernarg_segment_align: 8
    .kernarg_segment_size: 64
    .language:       OpenCL C
    .language_version:
      - 2
      - 0
    .max_flat_workgroup_size: 128
    .name:           _ZN7rocprim17ROCPRIM_400000_NS6detail17trampoline_kernelINS0_14default_configENS1_35adjacent_difference_config_selectorILb0ElEEZNS1_24adjacent_difference_implIS3_Lb0ELb0EPlS7_ZN2at6native12_GLOBAL__N_124unique_dim_cuda_templateIiEESt5tupleIJNS8_6TensorESD_SD_EERKSD_lbbbEUlllE1_EE10hipError_tPvRmT2_T3_mT4_P12ihipStream_tbEUlT_E_NS1_11comp_targetILNS1_3genE3ELNS1_11target_archE908ELNS1_3gpuE7ELNS1_3repE0EEENS1_30default_config_static_selectorELNS0_4arch9wavefront6targetE0EEEvT1_
    .private_segment_fixed_size: 0
    .sgpr_count:     0
    .sgpr_spill_count: 0
    .symbol:         _ZN7rocprim17ROCPRIM_400000_NS6detail17trampoline_kernelINS0_14default_configENS1_35adjacent_difference_config_selectorILb0ElEEZNS1_24adjacent_difference_implIS3_Lb0ELb0EPlS7_ZN2at6native12_GLOBAL__N_124unique_dim_cuda_templateIiEESt5tupleIJNS8_6TensorESD_SD_EERKSD_lbbbEUlllE1_EE10hipError_tPvRmT2_T3_mT4_P12ihipStream_tbEUlT_E_NS1_11comp_targetILNS1_3genE3ELNS1_11target_archE908ELNS1_3gpuE7ELNS1_3repE0EEENS1_30default_config_static_selectorELNS0_4arch9wavefront6targetE0EEEvT1_.kd
    .uniform_work_group_size: 1
    .uses_dynamic_stack: false
    .vgpr_count:     0
    .vgpr_spill_count: 0
    .wavefront_size: 32
  - .args:
      - .offset:         0
        .size:           64
        .value_kind:     by_value
    .group_segment_fixed_size: 0
    .kernarg_segment_align: 8
    .kernarg_segment_size: 64
    .language:       OpenCL C
    .language_version:
      - 2
      - 0
    .max_flat_workgroup_size: 128
    .name:           _ZN7rocprim17ROCPRIM_400000_NS6detail17trampoline_kernelINS0_14default_configENS1_35adjacent_difference_config_selectorILb0ElEEZNS1_24adjacent_difference_implIS3_Lb0ELb0EPlS7_ZN2at6native12_GLOBAL__N_124unique_dim_cuda_templateIiEESt5tupleIJNS8_6TensorESD_SD_EERKSD_lbbbEUlllE1_EE10hipError_tPvRmT2_T3_mT4_P12ihipStream_tbEUlT_E_NS1_11comp_targetILNS1_3genE2ELNS1_11target_archE906ELNS1_3gpuE6ELNS1_3repE0EEENS1_30default_config_static_selectorELNS0_4arch9wavefront6targetE0EEEvT1_
    .private_segment_fixed_size: 0
    .sgpr_count:     0
    .sgpr_spill_count: 0
    .symbol:         _ZN7rocprim17ROCPRIM_400000_NS6detail17trampoline_kernelINS0_14default_configENS1_35adjacent_difference_config_selectorILb0ElEEZNS1_24adjacent_difference_implIS3_Lb0ELb0EPlS7_ZN2at6native12_GLOBAL__N_124unique_dim_cuda_templateIiEESt5tupleIJNS8_6TensorESD_SD_EERKSD_lbbbEUlllE1_EE10hipError_tPvRmT2_T3_mT4_P12ihipStream_tbEUlT_E_NS1_11comp_targetILNS1_3genE2ELNS1_11target_archE906ELNS1_3gpuE6ELNS1_3repE0EEENS1_30default_config_static_selectorELNS0_4arch9wavefront6targetE0EEEvT1_.kd
    .uniform_work_group_size: 1
    .uses_dynamic_stack: false
    .vgpr_count:     0
    .vgpr_spill_count: 0
    .wavefront_size: 32
  - .args:
      - .offset:         0
        .size:           64
        .value_kind:     by_value
    .group_segment_fixed_size: 0
    .kernarg_segment_align: 8
    .kernarg_segment_size: 64
    .language:       OpenCL C
    .language_version:
      - 2
      - 0
    .max_flat_workgroup_size: 512
    .name:           _ZN7rocprim17ROCPRIM_400000_NS6detail17trampoline_kernelINS0_14default_configENS1_35adjacent_difference_config_selectorILb0ElEEZNS1_24adjacent_difference_implIS3_Lb0ELb0EPlS7_ZN2at6native12_GLOBAL__N_124unique_dim_cuda_templateIiEESt5tupleIJNS8_6TensorESD_SD_EERKSD_lbbbEUlllE1_EE10hipError_tPvRmT2_T3_mT4_P12ihipStream_tbEUlT_E_NS1_11comp_targetILNS1_3genE9ELNS1_11target_archE1100ELNS1_3gpuE3ELNS1_3repE0EEENS1_30default_config_static_selectorELNS0_4arch9wavefront6targetE0EEEvT1_
    .private_segment_fixed_size: 0
    .sgpr_count:     0
    .sgpr_spill_count: 0
    .symbol:         _ZN7rocprim17ROCPRIM_400000_NS6detail17trampoline_kernelINS0_14default_configENS1_35adjacent_difference_config_selectorILb0ElEEZNS1_24adjacent_difference_implIS3_Lb0ELb0EPlS7_ZN2at6native12_GLOBAL__N_124unique_dim_cuda_templateIiEESt5tupleIJNS8_6TensorESD_SD_EERKSD_lbbbEUlllE1_EE10hipError_tPvRmT2_T3_mT4_P12ihipStream_tbEUlT_E_NS1_11comp_targetILNS1_3genE9ELNS1_11target_archE1100ELNS1_3gpuE3ELNS1_3repE0EEENS1_30default_config_static_selectorELNS0_4arch9wavefront6targetE0EEEvT1_.kd
    .uniform_work_group_size: 1
    .uses_dynamic_stack: false
    .vgpr_count:     0
    .vgpr_spill_count: 0
    .wavefront_size: 32
  - .args:
      - .offset:         0
        .size:           64
        .value_kind:     by_value
    .group_segment_fixed_size: 0
    .kernarg_segment_align: 8
    .kernarg_segment_size: 64
    .language:       OpenCL C
    .language_version:
      - 2
      - 0
    .max_flat_workgroup_size: 1024
    .name:           _ZN7rocprim17ROCPRIM_400000_NS6detail17trampoline_kernelINS0_14default_configENS1_35adjacent_difference_config_selectorILb0ElEEZNS1_24adjacent_difference_implIS3_Lb0ELb0EPlS7_ZN2at6native12_GLOBAL__N_124unique_dim_cuda_templateIiEESt5tupleIJNS8_6TensorESD_SD_EERKSD_lbbbEUlllE1_EE10hipError_tPvRmT2_T3_mT4_P12ihipStream_tbEUlT_E_NS1_11comp_targetILNS1_3genE8ELNS1_11target_archE1030ELNS1_3gpuE2ELNS1_3repE0EEENS1_30default_config_static_selectorELNS0_4arch9wavefront6targetE0EEEvT1_
    .private_segment_fixed_size: 0
    .sgpr_count:     0
    .sgpr_spill_count: 0
    .symbol:         _ZN7rocprim17ROCPRIM_400000_NS6detail17trampoline_kernelINS0_14default_configENS1_35adjacent_difference_config_selectorILb0ElEEZNS1_24adjacent_difference_implIS3_Lb0ELb0EPlS7_ZN2at6native12_GLOBAL__N_124unique_dim_cuda_templateIiEESt5tupleIJNS8_6TensorESD_SD_EERKSD_lbbbEUlllE1_EE10hipError_tPvRmT2_T3_mT4_P12ihipStream_tbEUlT_E_NS1_11comp_targetILNS1_3genE8ELNS1_11target_archE1030ELNS1_3gpuE2ELNS1_3repE0EEENS1_30default_config_static_selectorELNS0_4arch9wavefront6targetE0EEEvT1_.kd
    .uniform_work_group_size: 1
    .uses_dynamic_stack: false
    .vgpr_count:     0
    .vgpr_spill_count: 0
    .wavefront_size: 32
  - .args:
      - .offset:         0
        .size:           56
        .value_kind:     by_value
      - .offset:         56
        .size:           4
        .value_kind:     hidden_block_count_x
      - .offset:         60
        .size:           4
        .value_kind:     hidden_block_count_y
      - .offset:         64
        .size:           4
        .value_kind:     hidden_block_count_z
      - .offset:         68
        .size:           2
        .value_kind:     hidden_group_size_x
      - .offset:         70
        .size:           2
        .value_kind:     hidden_group_size_y
      - .offset:         72
        .size:           2
        .value_kind:     hidden_group_size_z
      - .offset:         74
        .size:           2
        .value_kind:     hidden_remainder_x
      - .offset:         76
        .size:           2
        .value_kind:     hidden_remainder_y
      - .offset:         78
        .size:           2
        .value_kind:     hidden_remainder_z
      - .offset:         96
        .size:           8
        .value_kind:     hidden_global_offset_x
      - .offset:         104
        .size:           8
        .value_kind:     hidden_global_offset_y
      - .offset:         112
        .size:           8
        .value_kind:     hidden_global_offset_z
      - .offset:         120
        .size:           2
        .value_kind:     hidden_grid_dims
    .group_segment_fixed_size: 0
    .kernarg_segment_align: 8
    .kernarg_segment_size: 312
    .language:       OpenCL C
    .language_version:
      - 2
      - 0
    .max_flat_workgroup_size: 128
    .name:           _ZN7rocprim17ROCPRIM_400000_NS6detail17trampoline_kernelINS0_14default_configENS1_25transform_config_selectorIlLb0EEEZNS1_14transform_implILb0ES3_S5_NS0_18transform_iteratorINS0_17counting_iteratorImlEEZNS1_24adjacent_difference_implIS3_Lb1ELb0EPlSB_ZN2at6native12_GLOBAL__N_124unique_dim_cuda_templateIiEESt5tupleIJNSC_6TensorESH_SH_EERKSH_lbbbEUlllE1_EE10hipError_tPvRmT2_T3_mT4_P12ihipStream_tbEUlmE_lEESB_NS0_8identityIvEEEESM_SP_SQ_mSR_ST_bEUlT_E_NS1_11comp_targetILNS1_3genE0ELNS1_11target_archE4294967295ELNS1_3gpuE0ELNS1_3repE0EEENS1_30default_config_static_selectorELNS0_4arch9wavefront6targetE0EEEvT1_
    .private_segment_fixed_size: 0
    .sgpr_count:     16
    .sgpr_spill_count: 0
    .symbol:         _ZN7rocprim17ROCPRIM_400000_NS6detail17trampoline_kernelINS0_14default_configENS1_25transform_config_selectorIlLb0EEEZNS1_14transform_implILb0ES3_S5_NS0_18transform_iteratorINS0_17counting_iteratorImlEEZNS1_24adjacent_difference_implIS3_Lb1ELb0EPlSB_ZN2at6native12_GLOBAL__N_124unique_dim_cuda_templateIiEESt5tupleIJNSC_6TensorESH_SH_EERKSH_lbbbEUlllE1_EE10hipError_tPvRmT2_T3_mT4_P12ihipStream_tbEUlmE_lEESB_NS0_8identityIvEEEESM_SP_SQ_mSR_ST_bEUlT_E_NS1_11comp_targetILNS1_3genE0ELNS1_11target_archE4294967295ELNS1_3gpuE0ELNS1_3repE0EEENS1_30default_config_static_selectorELNS0_4arch9wavefront6targetE0EEEvT1_.kd
    .uniform_work_group_size: 1
    .uses_dynamic_stack: false
    .vgpr_count:     4
    .vgpr_spill_count: 0
    .wavefront_size: 32
  - .args:
      - .offset:         0
        .size:           56
        .value_kind:     by_value
    .group_segment_fixed_size: 0
    .kernarg_segment_align: 8
    .kernarg_segment_size: 56
    .language:       OpenCL C
    .language_version:
      - 2
      - 0
    .max_flat_workgroup_size: 512
    .name:           _ZN7rocprim17ROCPRIM_400000_NS6detail17trampoline_kernelINS0_14default_configENS1_25transform_config_selectorIlLb0EEEZNS1_14transform_implILb0ES3_S5_NS0_18transform_iteratorINS0_17counting_iteratorImlEEZNS1_24adjacent_difference_implIS3_Lb1ELb0EPlSB_ZN2at6native12_GLOBAL__N_124unique_dim_cuda_templateIiEESt5tupleIJNSC_6TensorESH_SH_EERKSH_lbbbEUlllE1_EE10hipError_tPvRmT2_T3_mT4_P12ihipStream_tbEUlmE_lEESB_NS0_8identityIvEEEESM_SP_SQ_mSR_ST_bEUlT_E_NS1_11comp_targetILNS1_3genE5ELNS1_11target_archE942ELNS1_3gpuE9ELNS1_3repE0EEENS1_30default_config_static_selectorELNS0_4arch9wavefront6targetE0EEEvT1_
    .private_segment_fixed_size: 0
    .sgpr_count:     0
    .sgpr_spill_count: 0
    .symbol:         _ZN7rocprim17ROCPRIM_400000_NS6detail17trampoline_kernelINS0_14default_configENS1_25transform_config_selectorIlLb0EEEZNS1_14transform_implILb0ES3_S5_NS0_18transform_iteratorINS0_17counting_iteratorImlEEZNS1_24adjacent_difference_implIS3_Lb1ELb0EPlSB_ZN2at6native12_GLOBAL__N_124unique_dim_cuda_templateIiEESt5tupleIJNSC_6TensorESH_SH_EERKSH_lbbbEUlllE1_EE10hipError_tPvRmT2_T3_mT4_P12ihipStream_tbEUlmE_lEESB_NS0_8identityIvEEEESM_SP_SQ_mSR_ST_bEUlT_E_NS1_11comp_targetILNS1_3genE5ELNS1_11target_archE942ELNS1_3gpuE9ELNS1_3repE0EEENS1_30default_config_static_selectorELNS0_4arch9wavefront6targetE0EEEvT1_.kd
    .uniform_work_group_size: 1
    .uses_dynamic_stack: false
    .vgpr_count:     0
    .vgpr_spill_count: 0
    .wavefront_size: 32
  - .args:
      - .offset:         0
        .size:           56
        .value_kind:     by_value
    .group_segment_fixed_size: 0
    .kernarg_segment_align: 8
    .kernarg_segment_size: 56
    .language:       OpenCL C
    .language_version:
      - 2
      - 0
    .max_flat_workgroup_size: 256
    .name:           _ZN7rocprim17ROCPRIM_400000_NS6detail17trampoline_kernelINS0_14default_configENS1_25transform_config_selectorIlLb0EEEZNS1_14transform_implILb0ES3_S5_NS0_18transform_iteratorINS0_17counting_iteratorImlEEZNS1_24adjacent_difference_implIS3_Lb1ELb0EPlSB_ZN2at6native12_GLOBAL__N_124unique_dim_cuda_templateIiEESt5tupleIJNSC_6TensorESH_SH_EERKSH_lbbbEUlllE1_EE10hipError_tPvRmT2_T3_mT4_P12ihipStream_tbEUlmE_lEESB_NS0_8identityIvEEEESM_SP_SQ_mSR_ST_bEUlT_E_NS1_11comp_targetILNS1_3genE4ELNS1_11target_archE910ELNS1_3gpuE8ELNS1_3repE0EEENS1_30default_config_static_selectorELNS0_4arch9wavefront6targetE0EEEvT1_
    .private_segment_fixed_size: 0
    .sgpr_count:     0
    .sgpr_spill_count: 0
    .symbol:         _ZN7rocprim17ROCPRIM_400000_NS6detail17trampoline_kernelINS0_14default_configENS1_25transform_config_selectorIlLb0EEEZNS1_14transform_implILb0ES3_S5_NS0_18transform_iteratorINS0_17counting_iteratorImlEEZNS1_24adjacent_difference_implIS3_Lb1ELb0EPlSB_ZN2at6native12_GLOBAL__N_124unique_dim_cuda_templateIiEESt5tupleIJNSC_6TensorESH_SH_EERKSH_lbbbEUlllE1_EE10hipError_tPvRmT2_T3_mT4_P12ihipStream_tbEUlmE_lEESB_NS0_8identityIvEEEESM_SP_SQ_mSR_ST_bEUlT_E_NS1_11comp_targetILNS1_3genE4ELNS1_11target_archE910ELNS1_3gpuE8ELNS1_3repE0EEENS1_30default_config_static_selectorELNS0_4arch9wavefront6targetE0EEEvT1_.kd
    .uniform_work_group_size: 1
    .uses_dynamic_stack: false
    .vgpr_count:     0
    .vgpr_spill_count: 0
    .wavefront_size: 32
  - .args:
      - .offset:         0
        .size:           56
        .value_kind:     by_value
    .group_segment_fixed_size: 0
    .kernarg_segment_align: 8
    .kernarg_segment_size: 56
    .language:       OpenCL C
    .language_version:
      - 2
      - 0
    .max_flat_workgroup_size: 128
    .name:           _ZN7rocprim17ROCPRIM_400000_NS6detail17trampoline_kernelINS0_14default_configENS1_25transform_config_selectorIlLb0EEEZNS1_14transform_implILb0ES3_S5_NS0_18transform_iteratorINS0_17counting_iteratorImlEEZNS1_24adjacent_difference_implIS3_Lb1ELb0EPlSB_ZN2at6native12_GLOBAL__N_124unique_dim_cuda_templateIiEESt5tupleIJNSC_6TensorESH_SH_EERKSH_lbbbEUlllE1_EE10hipError_tPvRmT2_T3_mT4_P12ihipStream_tbEUlmE_lEESB_NS0_8identityIvEEEESM_SP_SQ_mSR_ST_bEUlT_E_NS1_11comp_targetILNS1_3genE3ELNS1_11target_archE908ELNS1_3gpuE7ELNS1_3repE0EEENS1_30default_config_static_selectorELNS0_4arch9wavefront6targetE0EEEvT1_
    .private_segment_fixed_size: 0
    .sgpr_count:     0
    .sgpr_spill_count: 0
    .symbol:         _ZN7rocprim17ROCPRIM_400000_NS6detail17trampoline_kernelINS0_14default_configENS1_25transform_config_selectorIlLb0EEEZNS1_14transform_implILb0ES3_S5_NS0_18transform_iteratorINS0_17counting_iteratorImlEEZNS1_24adjacent_difference_implIS3_Lb1ELb0EPlSB_ZN2at6native12_GLOBAL__N_124unique_dim_cuda_templateIiEESt5tupleIJNSC_6TensorESH_SH_EERKSH_lbbbEUlllE1_EE10hipError_tPvRmT2_T3_mT4_P12ihipStream_tbEUlmE_lEESB_NS0_8identityIvEEEESM_SP_SQ_mSR_ST_bEUlT_E_NS1_11comp_targetILNS1_3genE3ELNS1_11target_archE908ELNS1_3gpuE7ELNS1_3repE0EEENS1_30default_config_static_selectorELNS0_4arch9wavefront6targetE0EEEvT1_.kd
    .uniform_work_group_size: 1
    .uses_dynamic_stack: false
    .vgpr_count:     0
    .vgpr_spill_count: 0
    .wavefront_size: 32
  - .args:
      - .offset:         0
        .size:           56
        .value_kind:     by_value
    .group_segment_fixed_size: 0
    .kernarg_segment_align: 8
    .kernarg_segment_size: 56
    .language:       OpenCL C
    .language_version:
      - 2
      - 0
    .max_flat_workgroup_size: 512
    .name:           _ZN7rocprim17ROCPRIM_400000_NS6detail17trampoline_kernelINS0_14default_configENS1_25transform_config_selectorIlLb0EEEZNS1_14transform_implILb0ES3_S5_NS0_18transform_iteratorINS0_17counting_iteratorImlEEZNS1_24adjacent_difference_implIS3_Lb1ELb0EPlSB_ZN2at6native12_GLOBAL__N_124unique_dim_cuda_templateIiEESt5tupleIJNSC_6TensorESH_SH_EERKSH_lbbbEUlllE1_EE10hipError_tPvRmT2_T3_mT4_P12ihipStream_tbEUlmE_lEESB_NS0_8identityIvEEEESM_SP_SQ_mSR_ST_bEUlT_E_NS1_11comp_targetILNS1_3genE2ELNS1_11target_archE906ELNS1_3gpuE6ELNS1_3repE0EEENS1_30default_config_static_selectorELNS0_4arch9wavefront6targetE0EEEvT1_
    .private_segment_fixed_size: 0
    .sgpr_count:     0
    .sgpr_spill_count: 0
    .symbol:         _ZN7rocprim17ROCPRIM_400000_NS6detail17trampoline_kernelINS0_14default_configENS1_25transform_config_selectorIlLb0EEEZNS1_14transform_implILb0ES3_S5_NS0_18transform_iteratorINS0_17counting_iteratorImlEEZNS1_24adjacent_difference_implIS3_Lb1ELb0EPlSB_ZN2at6native12_GLOBAL__N_124unique_dim_cuda_templateIiEESt5tupleIJNSC_6TensorESH_SH_EERKSH_lbbbEUlllE1_EE10hipError_tPvRmT2_T3_mT4_P12ihipStream_tbEUlmE_lEESB_NS0_8identityIvEEEESM_SP_SQ_mSR_ST_bEUlT_E_NS1_11comp_targetILNS1_3genE2ELNS1_11target_archE906ELNS1_3gpuE6ELNS1_3repE0EEENS1_30default_config_static_selectorELNS0_4arch9wavefront6targetE0EEEvT1_.kd
    .uniform_work_group_size: 1
    .uses_dynamic_stack: false
    .vgpr_count:     0
    .vgpr_spill_count: 0
    .wavefront_size: 32
  - .args:
      - .offset:         0
        .size:           56
        .value_kind:     by_value
    .group_segment_fixed_size: 0
    .kernarg_segment_align: 8
    .kernarg_segment_size: 56
    .language:       OpenCL C
    .language_version:
      - 2
      - 0
    .max_flat_workgroup_size: 1024
    .name:           _ZN7rocprim17ROCPRIM_400000_NS6detail17trampoline_kernelINS0_14default_configENS1_25transform_config_selectorIlLb0EEEZNS1_14transform_implILb0ES3_S5_NS0_18transform_iteratorINS0_17counting_iteratorImlEEZNS1_24adjacent_difference_implIS3_Lb1ELb0EPlSB_ZN2at6native12_GLOBAL__N_124unique_dim_cuda_templateIiEESt5tupleIJNSC_6TensorESH_SH_EERKSH_lbbbEUlllE1_EE10hipError_tPvRmT2_T3_mT4_P12ihipStream_tbEUlmE_lEESB_NS0_8identityIvEEEESM_SP_SQ_mSR_ST_bEUlT_E_NS1_11comp_targetILNS1_3genE10ELNS1_11target_archE1201ELNS1_3gpuE5ELNS1_3repE0EEENS1_30default_config_static_selectorELNS0_4arch9wavefront6targetE0EEEvT1_
    .private_segment_fixed_size: 0
    .sgpr_count:     0
    .sgpr_spill_count: 0
    .symbol:         _ZN7rocprim17ROCPRIM_400000_NS6detail17trampoline_kernelINS0_14default_configENS1_25transform_config_selectorIlLb0EEEZNS1_14transform_implILb0ES3_S5_NS0_18transform_iteratorINS0_17counting_iteratorImlEEZNS1_24adjacent_difference_implIS3_Lb1ELb0EPlSB_ZN2at6native12_GLOBAL__N_124unique_dim_cuda_templateIiEESt5tupleIJNSC_6TensorESH_SH_EERKSH_lbbbEUlllE1_EE10hipError_tPvRmT2_T3_mT4_P12ihipStream_tbEUlmE_lEESB_NS0_8identityIvEEEESM_SP_SQ_mSR_ST_bEUlT_E_NS1_11comp_targetILNS1_3genE10ELNS1_11target_archE1201ELNS1_3gpuE5ELNS1_3repE0EEENS1_30default_config_static_selectorELNS0_4arch9wavefront6targetE0EEEvT1_.kd
    .uniform_work_group_size: 1
    .uses_dynamic_stack: false
    .vgpr_count:     0
    .vgpr_spill_count: 0
    .wavefront_size: 32
  - .args:
      - .offset:         0
        .size:           56
        .value_kind:     by_value
    .group_segment_fixed_size: 0
    .kernarg_segment_align: 8
    .kernarg_segment_size: 56
    .language:       OpenCL C
    .language_version:
      - 2
      - 0
    .max_flat_workgroup_size: 512
    .name:           _ZN7rocprim17ROCPRIM_400000_NS6detail17trampoline_kernelINS0_14default_configENS1_25transform_config_selectorIlLb0EEEZNS1_14transform_implILb0ES3_S5_NS0_18transform_iteratorINS0_17counting_iteratorImlEEZNS1_24adjacent_difference_implIS3_Lb1ELb0EPlSB_ZN2at6native12_GLOBAL__N_124unique_dim_cuda_templateIiEESt5tupleIJNSC_6TensorESH_SH_EERKSH_lbbbEUlllE1_EE10hipError_tPvRmT2_T3_mT4_P12ihipStream_tbEUlmE_lEESB_NS0_8identityIvEEEESM_SP_SQ_mSR_ST_bEUlT_E_NS1_11comp_targetILNS1_3genE10ELNS1_11target_archE1200ELNS1_3gpuE4ELNS1_3repE0EEENS1_30default_config_static_selectorELNS0_4arch9wavefront6targetE0EEEvT1_
    .private_segment_fixed_size: 0
    .sgpr_count:     0
    .sgpr_spill_count: 0
    .symbol:         _ZN7rocprim17ROCPRIM_400000_NS6detail17trampoline_kernelINS0_14default_configENS1_25transform_config_selectorIlLb0EEEZNS1_14transform_implILb0ES3_S5_NS0_18transform_iteratorINS0_17counting_iteratorImlEEZNS1_24adjacent_difference_implIS3_Lb1ELb0EPlSB_ZN2at6native12_GLOBAL__N_124unique_dim_cuda_templateIiEESt5tupleIJNSC_6TensorESH_SH_EERKSH_lbbbEUlllE1_EE10hipError_tPvRmT2_T3_mT4_P12ihipStream_tbEUlmE_lEESB_NS0_8identityIvEEEESM_SP_SQ_mSR_ST_bEUlT_E_NS1_11comp_targetILNS1_3genE10ELNS1_11target_archE1200ELNS1_3gpuE4ELNS1_3repE0EEENS1_30default_config_static_selectorELNS0_4arch9wavefront6targetE0EEEvT1_.kd
    .uniform_work_group_size: 1
    .uses_dynamic_stack: false
    .vgpr_count:     0
    .vgpr_spill_count: 0
    .wavefront_size: 32
  - .args:
      - .offset:         0
        .size:           56
        .value_kind:     by_value
    .group_segment_fixed_size: 0
    .kernarg_segment_align: 8
    .kernarg_segment_size: 56
    .language:       OpenCL C
    .language_version:
      - 2
      - 0
    .max_flat_workgroup_size: 512
    .name:           _ZN7rocprim17ROCPRIM_400000_NS6detail17trampoline_kernelINS0_14default_configENS1_25transform_config_selectorIlLb0EEEZNS1_14transform_implILb0ES3_S5_NS0_18transform_iteratorINS0_17counting_iteratorImlEEZNS1_24adjacent_difference_implIS3_Lb1ELb0EPlSB_ZN2at6native12_GLOBAL__N_124unique_dim_cuda_templateIiEESt5tupleIJNSC_6TensorESH_SH_EERKSH_lbbbEUlllE1_EE10hipError_tPvRmT2_T3_mT4_P12ihipStream_tbEUlmE_lEESB_NS0_8identityIvEEEESM_SP_SQ_mSR_ST_bEUlT_E_NS1_11comp_targetILNS1_3genE9ELNS1_11target_archE1100ELNS1_3gpuE3ELNS1_3repE0EEENS1_30default_config_static_selectorELNS0_4arch9wavefront6targetE0EEEvT1_
    .private_segment_fixed_size: 0
    .sgpr_count:     0
    .sgpr_spill_count: 0
    .symbol:         _ZN7rocprim17ROCPRIM_400000_NS6detail17trampoline_kernelINS0_14default_configENS1_25transform_config_selectorIlLb0EEEZNS1_14transform_implILb0ES3_S5_NS0_18transform_iteratorINS0_17counting_iteratorImlEEZNS1_24adjacent_difference_implIS3_Lb1ELb0EPlSB_ZN2at6native12_GLOBAL__N_124unique_dim_cuda_templateIiEESt5tupleIJNSC_6TensorESH_SH_EERKSH_lbbbEUlllE1_EE10hipError_tPvRmT2_T3_mT4_P12ihipStream_tbEUlmE_lEESB_NS0_8identityIvEEEESM_SP_SQ_mSR_ST_bEUlT_E_NS1_11comp_targetILNS1_3genE9ELNS1_11target_archE1100ELNS1_3gpuE3ELNS1_3repE0EEENS1_30default_config_static_selectorELNS0_4arch9wavefront6targetE0EEEvT1_.kd
    .uniform_work_group_size: 1
    .uses_dynamic_stack: false
    .vgpr_count:     0
    .vgpr_spill_count: 0
    .wavefront_size: 32
  - .args:
      - .offset:         0
        .size:           56
        .value_kind:     by_value
    .group_segment_fixed_size: 0
    .kernarg_segment_align: 8
    .kernarg_segment_size: 56
    .language:       OpenCL C
    .language_version:
      - 2
      - 0
    .max_flat_workgroup_size: 512
    .name:           _ZN7rocprim17ROCPRIM_400000_NS6detail17trampoline_kernelINS0_14default_configENS1_25transform_config_selectorIlLb0EEEZNS1_14transform_implILb0ES3_S5_NS0_18transform_iteratorINS0_17counting_iteratorImlEEZNS1_24adjacent_difference_implIS3_Lb1ELb0EPlSB_ZN2at6native12_GLOBAL__N_124unique_dim_cuda_templateIiEESt5tupleIJNSC_6TensorESH_SH_EERKSH_lbbbEUlllE1_EE10hipError_tPvRmT2_T3_mT4_P12ihipStream_tbEUlmE_lEESB_NS0_8identityIvEEEESM_SP_SQ_mSR_ST_bEUlT_E_NS1_11comp_targetILNS1_3genE8ELNS1_11target_archE1030ELNS1_3gpuE2ELNS1_3repE0EEENS1_30default_config_static_selectorELNS0_4arch9wavefront6targetE0EEEvT1_
    .private_segment_fixed_size: 0
    .sgpr_count:     0
    .sgpr_spill_count: 0
    .symbol:         _ZN7rocprim17ROCPRIM_400000_NS6detail17trampoline_kernelINS0_14default_configENS1_25transform_config_selectorIlLb0EEEZNS1_14transform_implILb0ES3_S5_NS0_18transform_iteratorINS0_17counting_iteratorImlEEZNS1_24adjacent_difference_implIS3_Lb1ELb0EPlSB_ZN2at6native12_GLOBAL__N_124unique_dim_cuda_templateIiEESt5tupleIJNSC_6TensorESH_SH_EERKSH_lbbbEUlllE1_EE10hipError_tPvRmT2_T3_mT4_P12ihipStream_tbEUlmE_lEESB_NS0_8identityIvEEEESM_SP_SQ_mSR_ST_bEUlT_E_NS1_11comp_targetILNS1_3genE8ELNS1_11target_archE1030ELNS1_3gpuE2ELNS1_3repE0EEENS1_30default_config_static_selectorELNS0_4arch9wavefront6targetE0EEEvT1_.kd
    .uniform_work_group_size: 1
    .uses_dynamic_stack: false
    .vgpr_count:     0
    .vgpr_spill_count: 0
    .wavefront_size: 32
  - .args:
      - .offset:         0
        .size:           64
        .value_kind:     by_value
    .group_segment_fixed_size: 8448
    .kernarg_segment_align: 8
    .kernarg_segment_size: 64
    .language:       OpenCL C
    .language_version:
      - 2
      - 0
    .max_flat_workgroup_size: 512
    .name:           _ZN7rocprim17ROCPRIM_400000_NS6detail17trampoline_kernelINS0_14default_configENS1_35adjacent_difference_config_selectorILb1ElEEZNS1_24adjacent_difference_implIS3_Lb1ELb0EPlS7_ZN2at6native12_GLOBAL__N_124unique_dim_cuda_templateIiEESt5tupleIJNS8_6TensorESD_SD_EERKSD_lbbbEUlllE1_EE10hipError_tPvRmT2_T3_mT4_P12ihipStream_tbEUlT_E_NS1_11comp_targetILNS1_3genE0ELNS1_11target_archE4294967295ELNS1_3gpuE0ELNS1_3repE0EEENS1_30default_config_static_selectorELNS0_4arch9wavefront6targetE0EEEvT1_
    .private_segment_fixed_size: 0
    .sgpr_count:     31
    .sgpr_spill_count: 0
    .symbol:         _ZN7rocprim17ROCPRIM_400000_NS6detail17trampoline_kernelINS0_14default_configENS1_35adjacent_difference_config_selectorILb1ElEEZNS1_24adjacent_difference_implIS3_Lb1ELb0EPlS7_ZN2at6native12_GLOBAL__N_124unique_dim_cuda_templateIiEESt5tupleIJNS8_6TensorESD_SD_EERKSD_lbbbEUlllE1_EE10hipError_tPvRmT2_T3_mT4_P12ihipStream_tbEUlT_E_NS1_11comp_targetILNS1_3genE0ELNS1_11target_archE4294967295ELNS1_3gpuE0ELNS1_3repE0EEENS1_30default_config_static_selectorELNS0_4arch9wavefront6targetE0EEEvT1_.kd
    .uniform_work_group_size: 1
    .uses_dynamic_stack: false
    .vgpr_count:     16
    .vgpr_spill_count: 0
    .wavefront_size: 32
  - .args:
      - .offset:         0
        .size:           64
        .value_kind:     by_value
    .group_segment_fixed_size: 0
    .kernarg_segment_align: 8
    .kernarg_segment_size: 64
    .language:       OpenCL C
    .language_version:
      - 2
      - 0
    .max_flat_workgroup_size: 32
    .name:           _ZN7rocprim17ROCPRIM_400000_NS6detail17trampoline_kernelINS0_14default_configENS1_35adjacent_difference_config_selectorILb1ElEEZNS1_24adjacent_difference_implIS3_Lb1ELb0EPlS7_ZN2at6native12_GLOBAL__N_124unique_dim_cuda_templateIiEESt5tupleIJNS8_6TensorESD_SD_EERKSD_lbbbEUlllE1_EE10hipError_tPvRmT2_T3_mT4_P12ihipStream_tbEUlT_E_NS1_11comp_targetILNS1_3genE10ELNS1_11target_archE1201ELNS1_3gpuE5ELNS1_3repE0EEENS1_30default_config_static_selectorELNS0_4arch9wavefront6targetE0EEEvT1_
    .private_segment_fixed_size: 0
    .sgpr_count:     0
    .sgpr_spill_count: 0
    .symbol:         _ZN7rocprim17ROCPRIM_400000_NS6detail17trampoline_kernelINS0_14default_configENS1_35adjacent_difference_config_selectorILb1ElEEZNS1_24adjacent_difference_implIS3_Lb1ELb0EPlS7_ZN2at6native12_GLOBAL__N_124unique_dim_cuda_templateIiEESt5tupleIJNS8_6TensorESD_SD_EERKSD_lbbbEUlllE1_EE10hipError_tPvRmT2_T3_mT4_P12ihipStream_tbEUlT_E_NS1_11comp_targetILNS1_3genE10ELNS1_11target_archE1201ELNS1_3gpuE5ELNS1_3repE0EEENS1_30default_config_static_selectorELNS0_4arch9wavefront6targetE0EEEvT1_.kd
    .uniform_work_group_size: 1
    .uses_dynamic_stack: false
    .vgpr_count:     0
    .vgpr_spill_count: 0
    .wavefront_size: 32
  - .args:
      - .offset:         0
        .size:           64
        .value_kind:     by_value
    .group_segment_fixed_size: 0
    .kernarg_segment_align: 8
    .kernarg_segment_size: 64
    .language:       OpenCL C
    .language_version:
      - 2
      - 0
    .max_flat_workgroup_size: 256
    .name:           _ZN7rocprim17ROCPRIM_400000_NS6detail17trampoline_kernelINS0_14default_configENS1_35adjacent_difference_config_selectorILb1ElEEZNS1_24adjacent_difference_implIS3_Lb1ELb0EPlS7_ZN2at6native12_GLOBAL__N_124unique_dim_cuda_templateIiEESt5tupleIJNS8_6TensorESD_SD_EERKSD_lbbbEUlllE1_EE10hipError_tPvRmT2_T3_mT4_P12ihipStream_tbEUlT_E_NS1_11comp_targetILNS1_3genE5ELNS1_11target_archE942ELNS1_3gpuE9ELNS1_3repE0EEENS1_30default_config_static_selectorELNS0_4arch9wavefront6targetE0EEEvT1_
    .private_segment_fixed_size: 0
    .sgpr_count:     0
    .sgpr_spill_count: 0
    .symbol:         _ZN7rocprim17ROCPRIM_400000_NS6detail17trampoline_kernelINS0_14default_configENS1_35adjacent_difference_config_selectorILb1ElEEZNS1_24adjacent_difference_implIS3_Lb1ELb0EPlS7_ZN2at6native12_GLOBAL__N_124unique_dim_cuda_templateIiEESt5tupleIJNS8_6TensorESD_SD_EERKSD_lbbbEUlllE1_EE10hipError_tPvRmT2_T3_mT4_P12ihipStream_tbEUlT_E_NS1_11comp_targetILNS1_3genE5ELNS1_11target_archE942ELNS1_3gpuE9ELNS1_3repE0EEENS1_30default_config_static_selectorELNS0_4arch9wavefront6targetE0EEEvT1_.kd
    .uniform_work_group_size: 1
    .uses_dynamic_stack: false
    .vgpr_count:     0
    .vgpr_spill_count: 0
    .wavefront_size: 32
  - .args:
      - .offset:         0
        .size:           64
        .value_kind:     by_value
    .group_segment_fixed_size: 0
    .kernarg_segment_align: 8
    .kernarg_segment_size: 64
    .language:       OpenCL C
    .language_version:
      - 2
      - 0
    .max_flat_workgroup_size: 512
    .name:           _ZN7rocprim17ROCPRIM_400000_NS6detail17trampoline_kernelINS0_14default_configENS1_35adjacent_difference_config_selectorILb1ElEEZNS1_24adjacent_difference_implIS3_Lb1ELb0EPlS7_ZN2at6native12_GLOBAL__N_124unique_dim_cuda_templateIiEESt5tupleIJNS8_6TensorESD_SD_EERKSD_lbbbEUlllE1_EE10hipError_tPvRmT2_T3_mT4_P12ihipStream_tbEUlT_E_NS1_11comp_targetILNS1_3genE4ELNS1_11target_archE910ELNS1_3gpuE8ELNS1_3repE0EEENS1_30default_config_static_selectorELNS0_4arch9wavefront6targetE0EEEvT1_
    .private_segment_fixed_size: 0
    .sgpr_count:     0
    .sgpr_spill_count: 0
    .symbol:         _ZN7rocprim17ROCPRIM_400000_NS6detail17trampoline_kernelINS0_14default_configENS1_35adjacent_difference_config_selectorILb1ElEEZNS1_24adjacent_difference_implIS3_Lb1ELb0EPlS7_ZN2at6native12_GLOBAL__N_124unique_dim_cuda_templateIiEESt5tupleIJNS8_6TensorESD_SD_EERKSD_lbbbEUlllE1_EE10hipError_tPvRmT2_T3_mT4_P12ihipStream_tbEUlT_E_NS1_11comp_targetILNS1_3genE4ELNS1_11target_archE910ELNS1_3gpuE8ELNS1_3repE0EEENS1_30default_config_static_selectorELNS0_4arch9wavefront6targetE0EEEvT1_.kd
    .uniform_work_group_size: 1
    .uses_dynamic_stack: false
    .vgpr_count:     0
    .vgpr_spill_count: 0
    .wavefront_size: 32
  - .args:
      - .offset:         0
        .size:           64
        .value_kind:     by_value
    .group_segment_fixed_size: 0
    .kernarg_segment_align: 8
    .kernarg_segment_size: 64
    .language:       OpenCL C
    .language_version:
      - 2
      - 0
    .max_flat_workgroup_size: 512
    .name:           _ZN7rocprim17ROCPRIM_400000_NS6detail17trampoline_kernelINS0_14default_configENS1_35adjacent_difference_config_selectorILb1ElEEZNS1_24adjacent_difference_implIS3_Lb1ELb0EPlS7_ZN2at6native12_GLOBAL__N_124unique_dim_cuda_templateIiEESt5tupleIJNS8_6TensorESD_SD_EERKSD_lbbbEUlllE1_EE10hipError_tPvRmT2_T3_mT4_P12ihipStream_tbEUlT_E_NS1_11comp_targetILNS1_3genE3ELNS1_11target_archE908ELNS1_3gpuE7ELNS1_3repE0EEENS1_30default_config_static_selectorELNS0_4arch9wavefront6targetE0EEEvT1_
    .private_segment_fixed_size: 0
    .sgpr_count:     0
    .sgpr_spill_count: 0
    .symbol:         _ZN7rocprim17ROCPRIM_400000_NS6detail17trampoline_kernelINS0_14default_configENS1_35adjacent_difference_config_selectorILb1ElEEZNS1_24adjacent_difference_implIS3_Lb1ELb0EPlS7_ZN2at6native12_GLOBAL__N_124unique_dim_cuda_templateIiEESt5tupleIJNS8_6TensorESD_SD_EERKSD_lbbbEUlllE1_EE10hipError_tPvRmT2_T3_mT4_P12ihipStream_tbEUlT_E_NS1_11comp_targetILNS1_3genE3ELNS1_11target_archE908ELNS1_3gpuE7ELNS1_3repE0EEENS1_30default_config_static_selectorELNS0_4arch9wavefront6targetE0EEEvT1_.kd
    .uniform_work_group_size: 1
    .uses_dynamic_stack: false
    .vgpr_count:     0
    .vgpr_spill_count: 0
    .wavefront_size: 32
  - .args:
      - .offset:         0
        .size:           64
        .value_kind:     by_value
    .group_segment_fixed_size: 0
    .kernarg_segment_align: 8
    .kernarg_segment_size: 64
    .language:       OpenCL C
    .language_version:
      - 2
      - 0
    .max_flat_workgroup_size: 128
    .name:           _ZN7rocprim17ROCPRIM_400000_NS6detail17trampoline_kernelINS0_14default_configENS1_35adjacent_difference_config_selectorILb1ElEEZNS1_24adjacent_difference_implIS3_Lb1ELb0EPlS7_ZN2at6native12_GLOBAL__N_124unique_dim_cuda_templateIiEESt5tupleIJNS8_6TensorESD_SD_EERKSD_lbbbEUlllE1_EE10hipError_tPvRmT2_T3_mT4_P12ihipStream_tbEUlT_E_NS1_11comp_targetILNS1_3genE2ELNS1_11target_archE906ELNS1_3gpuE6ELNS1_3repE0EEENS1_30default_config_static_selectorELNS0_4arch9wavefront6targetE0EEEvT1_
    .private_segment_fixed_size: 0
    .sgpr_count:     0
    .sgpr_spill_count: 0
    .symbol:         _ZN7rocprim17ROCPRIM_400000_NS6detail17trampoline_kernelINS0_14default_configENS1_35adjacent_difference_config_selectorILb1ElEEZNS1_24adjacent_difference_implIS3_Lb1ELb0EPlS7_ZN2at6native12_GLOBAL__N_124unique_dim_cuda_templateIiEESt5tupleIJNS8_6TensorESD_SD_EERKSD_lbbbEUlllE1_EE10hipError_tPvRmT2_T3_mT4_P12ihipStream_tbEUlT_E_NS1_11comp_targetILNS1_3genE2ELNS1_11target_archE906ELNS1_3gpuE6ELNS1_3repE0EEENS1_30default_config_static_selectorELNS0_4arch9wavefront6targetE0EEEvT1_.kd
    .uniform_work_group_size: 1
    .uses_dynamic_stack: false
    .vgpr_count:     0
    .vgpr_spill_count: 0
    .wavefront_size: 32
  - .args:
      - .offset:         0
        .size:           64
        .value_kind:     by_value
    .group_segment_fixed_size: 0
    .kernarg_segment_align: 8
    .kernarg_segment_size: 64
    .language:       OpenCL C
    .language_version:
      - 2
      - 0
    .max_flat_workgroup_size: 128
    .name:           _ZN7rocprim17ROCPRIM_400000_NS6detail17trampoline_kernelINS0_14default_configENS1_35adjacent_difference_config_selectorILb1ElEEZNS1_24adjacent_difference_implIS3_Lb1ELb0EPlS7_ZN2at6native12_GLOBAL__N_124unique_dim_cuda_templateIiEESt5tupleIJNS8_6TensorESD_SD_EERKSD_lbbbEUlllE1_EE10hipError_tPvRmT2_T3_mT4_P12ihipStream_tbEUlT_E_NS1_11comp_targetILNS1_3genE9ELNS1_11target_archE1100ELNS1_3gpuE3ELNS1_3repE0EEENS1_30default_config_static_selectorELNS0_4arch9wavefront6targetE0EEEvT1_
    .private_segment_fixed_size: 0
    .sgpr_count:     0
    .sgpr_spill_count: 0
    .symbol:         _ZN7rocprim17ROCPRIM_400000_NS6detail17trampoline_kernelINS0_14default_configENS1_35adjacent_difference_config_selectorILb1ElEEZNS1_24adjacent_difference_implIS3_Lb1ELb0EPlS7_ZN2at6native12_GLOBAL__N_124unique_dim_cuda_templateIiEESt5tupleIJNS8_6TensorESD_SD_EERKSD_lbbbEUlllE1_EE10hipError_tPvRmT2_T3_mT4_P12ihipStream_tbEUlT_E_NS1_11comp_targetILNS1_3genE9ELNS1_11target_archE1100ELNS1_3gpuE3ELNS1_3repE0EEENS1_30default_config_static_selectorELNS0_4arch9wavefront6targetE0EEEvT1_.kd
    .uniform_work_group_size: 1
    .uses_dynamic_stack: false
    .vgpr_count:     0
    .vgpr_spill_count: 0
    .wavefront_size: 32
  - .args:
      - .offset:         0
        .size:           64
        .value_kind:     by_value
    .group_segment_fixed_size: 0
    .kernarg_segment_align: 8
    .kernarg_segment_size: 64
    .language:       OpenCL C
    .language_version:
      - 2
      - 0
    .max_flat_workgroup_size: 32
    .name:           _ZN7rocprim17ROCPRIM_400000_NS6detail17trampoline_kernelINS0_14default_configENS1_35adjacent_difference_config_selectorILb1ElEEZNS1_24adjacent_difference_implIS3_Lb1ELb0EPlS7_ZN2at6native12_GLOBAL__N_124unique_dim_cuda_templateIiEESt5tupleIJNS8_6TensorESD_SD_EERKSD_lbbbEUlllE1_EE10hipError_tPvRmT2_T3_mT4_P12ihipStream_tbEUlT_E_NS1_11comp_targetILNS1_3genE8ELNS1_11target_archE1030ELNS1_3gpuE2ELNS1_3repE0EEENS1_30default_config_static_selectorELNS0_4arch9wavefront6targetE0EEEvT1_
    .private_segment_fixed_size: 0
    .sgpr_count:     0
    .sgpr_spill_count: 0
    .symbol:         _ZN7rocprim17ROCPRIM_400000_NS6detail17trampoline_kernelINS0_14default_configENS1_35adjacent_difference_config_selectorILb1ElEEZNS1_24adjacent_difference_implIS3_Lb1ELb0EPlS7_ZN2at6native12_GLOBAL__N_124unique_dim_cuda_templateIiEESt5tupleIJNS8_6TensorESD_SD_EERKSD_lbbbEUlllE1_EE10hipError_tPvRmT2_T3_mT4_P12ihipStream_tbEUlT_E_NS1_11comp_targetILNS1_3genE8ELNS1_11target_archE1030ELNS1_3gpuE2ELNS1_3repE0EEENS1_30default_config_static_selectorELNS0_4arch9wavefront6targetE0EEEvT1_.kd
    .uniform_work_group_size: 1
    .uses_dynamic_stack: false
    .vgpr_count:     0
    .vgpr_spill_count: 0
    .wavefront_size: 32
  - .args:
      - .offset:         0
        .size:           120
        .value_kind:     by_value
    .group_segment_fixed_size: 28680
    .kernarg_segment_align: 8
    .kernarg_segment_size: 120
    .language:       OpenCL C
    .language_version:
      - 2
      - 0
    .max_flat_workgroup_size: 512
    .name:           _ZN7rocprim17ROCPRIM_400000_NS6detail17trampoline_kernelINS0_14default_configENS1_25partition_config_selectorILNS1_17partition_subalgoE8ElNS0_10empty_typeEbEEZZNS1_14partition_implILS5_8ELb0ES3_jPlPS6_PKS6_NS0_5tupleIJS9_S6_EEENSD_IJSA_SA_EEENS0_18inequality_wrapperIZN2at6native12_GLOBAL__N_124unique_dim_cuda_templateIiEESt5tupleIJNSH_6TensorESM_SM_EERKSM_lbbbEUlllE0_EEPmJS6_EEE10hipError_tPvRmT3_T4_T5_T6_T7_T9_mT8_P12ihipStream_tbDpT10_ENKUlT_T0_E_clISt17integral_constantIbLb0EES1C_EEDaS17_S18_EUlS17_E_NS1_11comp_targetILNS1_3genE0ELNS1_11target_archE4294967295ELNS1_3gpuE0ELNS1_3repE0EEENS1_30default_config_static_selectorELNS0_4arch9wavefront6targetE0EEEvT1_
    .private_segment_fixed_size: 0
    .sgpr_count:     38
    .sgpr_spill_count: 0
    .symbol:         _ZN7rocprim17ROCPRIM_400000_NS6detail17trampoline_kernelINS0_14default_configENS1_25partition_config_selectorILNS1_17partition_subalgoE8ElNS0_10empty_typeEbEEZZNS1_14partition_implILS5_8ELb0ES3_jPlPS6_PKS6_NS0_5tupleIJS9_S6_EEENSD_IJSA_SA_EEENS0_18inequality_wrapperIZN2at6native12_GLOBAL__N_124unique_dim_cuda_templateIiEESt5tupleIJNSH_6TensorESM_SM_EERKSM_lbbbEUlllE0_EEPmJS6_EEE10hipError_tPvRmT3_T4_T5_T6_T7_T9_mT8_P12ihipStream_tbDpT10_ENKUlT_T0_E_clISt17integral_constantIbLb0EES1C_EEDaS17_S18_EUlS17_E_NS1_11comp_targetILNS1_3genE0ELNS1_11target_archE4294967295ELNS1_3gpuE0ELNS1_3repE0EEENS1_30default_config_static_selectorELNS0_4arch9wavefront6targetE0EEEvT1_.kd
    .uniform_work_group_size: 1
    .uses_dynamic_stack: false
    .vgpr_count:     54
    .vgpr_spill_count: 0
    .wavefront_size: 32
  - .args:
      - .offset:         0
        .size:           120
        .value_kind:     by_value
    .group_segment_fixed_size: 0
    .kernarg_segment_align: 8
    .kernarg_segment_size: 120
    .language:       OpenCL C
    .language_version:
      - 2
      - 0
    .max_flat_workgroup_size: 512
    .name:           _ZN7rocprim17ROCPRIM_400000_NS6detail17trampoline_kernelINS0_14default_configENS1_25partition_config_selectorILNS1_17partition_subalgoE8ElNS0_10empty_typeEbEEZZNS1_14partition_implILS5_8ELb0ES3_jPlPS6_PKS6_NS0_5tupleIJS9_S6_EEENSD_IJSA_SA_EEENS0_18inequality_wrapperIZN2at6native12_GLOBAL__N_124unique_dim_cuda_templateIiEESt5tupleIJNSH_6TensorESM_SM_EERKSM_lbbbEUlllE0_EEPmJS6_EEE10hipError_tPvRmT3_T4_T5_T6_T7_T9_mT8_P12ihipStream_tbDpT10_ENKUlT_T0_E_clISt17integral_constantIbLb0EES1C_EEDaS17_S18_EUlS17_E_NS1_11comp_targetILNS1_3genE5ELNS1_11target_archE942ELNS1_3gpuE9ELNS1_3repE0EEENS1_30default_config_static_selectorELNS0_4arch9wavefront6targetE0EEEvT1_
    .private_segment_fixed_size: 0
    .sgpr_count:     0
    .sgpr_spill_count: 0
    .symbol:         _ZN7rocprim17ROCPRIM_400000_NS6detail17trampoline_kernelINS0_14default_configENS1_25partition_config_selectorILNS1_17partition_subalgoE8ElNS0_10empty_typeEbEEZZNS1_14partition_implILS5_8ELb0ES3_jPlPS6_PKS6_NS0_5tupleIJS9_S6_EEENSD_IJSA_SA_EEENS0_18inequality_wrapperIZN2at6native12_GLOBAL__N_124unique_dim_cuda_templateIiEESt5tupleIJNSH_6TensorESM_SM_EERKSM_lbbbEUlllE0_EEPmJS6_EEE10hipError_tPvRmT3_T4_T5_T6_T7_T9_mT8_P12ihipStream_tbDpT10_ENKUlT_T0_E_clISt17integral_constantIbLb0EES1C_EEDaS17_S18_EUlS17_E_NS1_11comp_targetILNS1_3genE5ELNS1_11target_archE942ELNS1_3gpuE9ELNS1_3repE0EEENS1_30default_config_static_selectorELNS0_4arch9wavefront6targetE0EEEvT1_.kd
    .uniform_work_group_size: 1
    .uses_dynamic_stack: false
    .vgpr_count:     0
    .vgpr_spill_count: 0
    .wavefront_size: 32
  - .args:
      - .offset:         0
        .size:           120
        .value_kind:     by_value
    .group_segment_fixed_size: 0
    .kernarg_segment_align: 8
    .kernarg_segment_size: 120
    .language:       OpenCL C
    .language_version:
      - 2
      - 0
    .max_flat_workgroup_size: 256
    .name:           _ZN7rocprim17ROCPRIM_400000_NS6detail17trampoline_kernelINS0_14default_configENS1_25partition_config_selectorILNS1_17partition_subalgoE8ElNS0_10empty_typeEbEEZZNS1_14partition_implILS5_8ELb0ES3_jPlPS6_PKS6_NS0_5tupleIJS9_S6_EEENSD_IJSA_SA_EEENS0_18inequality_wrapperIZN2at6native12_GLOBAL__N_124unique_dim_cuda_templateIiEESt5tupleIJNSH_6TensorESM_SM_EERKSM_lbbbEUlllE0_EEPmJS6_EEE10hipError_tPvRmT3_T4_T5_T6_T7_T9_mT8_P12ihipStream_tbDpT10_ENKUlT_T0_E_clISt17integral_constantIbLb0EES1C_EEDaS17_S18_EUlS17_E_NS1_11comp_targetILNS1_3genE4ELNS1_11target_archE910ELNS1_3gpuE8ELNS1_3repE0EEENS1_30default_config_static_selectorELNS0_4arch9wavefront6targetE0EEEvT1_
    .private_segment_fixed_size: 0
    .sgpr_count:     0
    .sgpr_spill_count: 0
    .symbol:         _ZN7rocprim17ROCPRIM_400000_NS6detail17trampoline_kernelINS0_14default_configENS1_25partition_config_selectorILNS1_17partition_subalgoE8ElNS0_10empty_typeEbEEZZNS1_14partition_implILS5_8ELb0ES3_jPlPS6_PKS6_NS0_5tupleIJS9_S6_EEENSD_IJSA_SA_EEENS0_18inequality_wrapperIZN2at6native12_GLOBAL__N_124unique_dim_cuda_templateIiEESt5tupleIJNSH_6TensorESM_SM_EERKSM_lbbbEUlllE0_EEPmJS6_EEE10hipError_tPvRmT3_T4_T5_T6_T7_T9_mT8_P12ihipStream_tbDpT10_ENKUlT_T0_E_clISt17integral_constantIbLb0EES1C_EEDaS17_S18_EUlS17_E_NS1_11comp_targetILNS1_3genE4ELNS1_11target_archE910ELNS1_3gpuE8ELNS1_3repE0EEENS1_30default_config_static_selectorELNS0_4arch9wavefront6targetE0EEEvT1_.kd
    .uniform_work_group_size: 1
    .uses_dynamic_stack: false
    .vgpr_count:     0
    .vgpr_spill_count: 0
    .wavefront_size: 32
  - .args:
      - .offset:         0
        .size:           120
        .value_kind:     by_value
    .group_segment_fixed_size: 0
    .kernarg_segment_align: 8
    .kernarg_segment_size: 120
    .language:       OpenCL C
    .language_version:
      - 2
      - 0
    .max_flat_workgroup_size: 512
    .name:           _ZN7rocprim17ROCPRIM_400000_NS6detail17trampoline_kernelINS0_14default_configENS1_25partition_config_selectorILNS1_17partition_subalgoE8ElNS0_10empty_typeEbEEZZNS1_14partition_implILS5_8ELb0ES3_jPlPS6_PKS6_NS0_5tupleIJS9_S6_EEENSD_IJSA_SA_EEENS0_18inequality_wrapperIZN2at6native12_GLOBAL__N_124unique_dim_cuda_templateIiEESt5tupleIJNSH_6TensorESM_SM_EERKSM_lbbbEUlllE0_EEPmJS6_EEE10hipError_tPvRmT3_T4_T5_T6_T7_T9_mT8_P12ihipStream_tbDpT10_ENKUlT_T0_E_clISt17integral_constantIbLb0EES1C_EEDaS17_S18_EUlS17_E_NS1_11comp_targetILNS1_3genE3ELNS1_11target_archE908ELNS1_3gpuE7ELNS1_3repE0EEENS1_30default_config_static_selectorELNS0_4arch9wavefront6targetE0EEEvT1_
    .private_segment_fixed_size: 0
    .sgpr_count:     0
    .sgpr_spill_count: 0
    .symbol:         _ZN7rocprim17ROCPRIM_400000_NS6detail17trampoline_kernelINS0_14default_configENS1_25partition_config_selectorILNS1_17partition_subalgoE8ElNS0_10empty_typeEbEEZZNS1_14partition_implILS5_8ELb0ES3_jPlPS6_PKS6_NS0_5tupleIJS9_S6_EEENSD_IJSA_SA_EEENS0_18inequality_wrapperIZN2at6native12_GLOBAL__N_124unique_dim_cuda_templateIiEESt5tupleIJNSH_6TensorESM_SM_EERKSM_lbbbEUlllE0_EEPmJS6_EEE10hipError_tPvRmT3_T4_T5_T6_T7_T9_mT8_P12ihipStream_tbDpT10_ENKUlT_T0_E_clISt17integral_constantIbLb0EES1C_EEDaS17_S18_EUlS17_E_NS1_11comp_targetILNS1_3genE3ELNS1_11target_archE908ELNS1_3gpuE7ELNS1_3repE0EEENS1_30default_config_static_selectorELNS0_4arch9wavefront6targetE0EEEvT1_.kd
    .uniform_work_group_size: 1
    .uses_dynamic_stack: false
    .vgpr_count:     0
    .vgpr_spill_count: 0
    .wavefront_size: 32
  - .args:
      - .offset:         0
        .size:           120
        .value_kind:     by_value
    .group_segment_fixed_size: 0
    .kernarg_segment_align: 8
    .kernarg_segment_size: 120
    .language:       OpenCL C
    .language_version:
      - 2
      - 0
    .max_flat_workgroup_size: 256
    .name:           _ZN7rocprim17ROCPRIM_400000_NS6detail17trampoline_kernelINS0_14default_configENS1_25partition_config_selectorILNS1_17partition_subalgoE8ElNS0_10empty_typeEbEEZZNS1_14partition_implILS5_8ELb0ES3_jPlPS6_PKS6_NS0_5tupleIJS9_S6_EEENSD_IJSA_SA_EEENS0_18inequality_wrapperIZN2at6native12_GLOBAL__N_124unique_dim_cuda_templateIiEESt5tupleIJNSH_6TensorESM_SM_EERKSM_lbbbEUlllE0_EEPmJS6_EEE10hipError_tPvRmT3_T4_T5_T6_T7_T9_mT8_P12ihipStream_tbDpT10_ENKUlT_T0_E_clISt17integral_constantIbLb0EES1C_EEDaS17_S18_EUlS17_E_NS1_11comp_targetILNS1_3genE2ELNS1_11target_archE906ELNS1_3gpuE6ELNS1_3repE0EEENS1_30default_config_static_selectorELNS0_4arch9wavefront6targetE0EEEvT1_
    .private_segment_fixed_size: 0
    .sgpr_count:     0
    .sgpr_spill_count: 0
    .symbol:         _ZN7rocprim17ROCPRIM_400000_NS6detail17trampoline_kernelINS0_14default_configENS1_25partition_config_selectorILNS1_17partition_subalgoE8ElNS0_10empty_typeEbEEZZNS1_14partition_implILS5_8ELb0ES3_jPlPS6_PKS6_NS0_5tupleIJS9_S6_EEENSD_IJSA_SA_EEENS0_18inequality_wrapperIZN2at6native12_GLOBAL__N_124unique_dim_cuda_templateIiEESt5tupleIJNSH_6TensorESM_SM_EERKSM_lbbbEUlllE0_EEPmJS6_EEE10hipError_tPvRmT3_T4_T5_T6_T7_T9_mT8_P12ihipStream_tbDpT10_ENKUlT_T0_E_clISt17integral_constantIbLb0EES1C_EEDaS17_S18_EUlS17_E_NS1_11comp_targetILNS1_3genE2ELNS1_11target_archE906ELNS1_3gpuE6ELNS1_3repE0EEENS1_30default_config_static_selectorELNS0_4arch9wavefront6targetE0EEEvT1_.kd
    .uniform_work_group_size: 1
    .uses_dynamic_stack: false
    .vgpr_count:     0
    .vgpr_spill_count: 0
    .wavefront_size: 32
  - .args:
      - .offset:         0
        .size:           120
        .value_kind:     by_value
    .group_segment_fixed_size: 0
    .kernarg_segment_align: 8
    .kernarg_segment_size: 120
    .language:       OpenCL C
    .language_version:
      - 2
      - 0
    .max_flat_workgroup_size: 384
    .name:           _ZN7rocprim17ROCPRIM_400000_NS6detail17trampoline_kernelINS0_14default_configENS1_25partition_config_selectorILNS1_17partition_subalgoE8ElNS0_10empty_typeEbEEZZNS1_14partition_implILS5_8ELb0ES3_jPlPS6_PKS6_NS0_5tupleIJS9_S6_EEENSD_IJSA_SA_EEENS0_18inequality_wrapperIZN2at6native12_GLOBAL__N_124unique_dim_cuda_templateIiEESt5tupleIJNSH_6TensorESM_SM_EERKSM_lbbbEUlllE0_EEPmJS6_EEE10hipError_tPvRmT3_T4_T5_T6_T7_T9_mT8_P12ihipStream_tbDpT10_ENKUlT_T0_E_clISt17integral_constantIbLb0EES1C_EEDaS17_S18_EUlS17_E_NS1_11comp_targetILNS1_3genE10ELNS1_11target_archE1200ELNS1_3gpuE4ELNS1_3repE0EEENS1_30default_config_static_selectorELNS0_4arch9wavefront6targetE0EEEvT1_
    .private_segment_fixed_size: 0
    .sgpr_count:     0
    .sgpr_spill_count: 0
    .symbol:         _ZN7rocprim17ROCPRIM_400000_NS6detail17trampoline_kernelINS0_14default_configENS1_25partition_config_selectorILNS1_17partition_subalgoE8ElNS0_10empty_typeEbEEZZNS1_14partition_implILS5_8ELb0ES3_jPlPS6_PKS6_NS0_5tupleIJS9_S6_EEENSD_IJSA_SA_EEENS0_18inequality_wrapperIZN2at6native12_GLOBAL__N_124unique_dim_cuda_templateIiEESt5tupleIJNSH_6TensorESM_SM_EERKSM_lbbbEUlllE0_EEPmJS6_EEE10hipError_tPvRmT3_T4_T5_T6_T7_T9_mT8_P12ihipStream_tbDpT10_ENKUlT_T0_E_clISt17integral_constantIbLb0EES1C_EEDaS17_S18_EUlS17_E_NS1_11comp_targetILNS1_3genE10ELNS1_11target_archE1200ELNS1_3gpuE4ELNS1_3repE0EEENS1_30default_config_static_selectorELNS0_4arch9wavefront6targetE0EEEvT1_.kd
    .uniform_work_group_size: 1
    .uses_dynamic_stack: false
    .vgpr_count:     0
    .vgpr_spill_count: 0
    .wavefront_size: 32
  - .args:
      - .offset:         0
        .size:           120
        .value_kind:     by_value
    .group_segment_fixed_size: 0
    .kernarg_segment_align: 8
    .kernarg_segment_size: 120
    .language:       OpenCL C
    .language_version:
      - 2
      - 0
    .max_flat_workgroup_size: 512
    .name:           _ZN7rocprim17ROCPRIM_400000_NS6detail17trampoline_kernelINS0_14default_configENS1_25partition_config_selectorILNS1_17partition_subalgoE8ElNS0_10empty_typeEbEEZZNS1_14partition_implILS5_8ELb0ES3_jPlPS6_PKS6_NS0_5tupleIJS9_S6_EEENSD_IJSA_SA_EEENS0_18inequality_wrapperIZN2at6native12_GLOBAL__N_124unique_dim_cuda_templateIiEESt5tupleIJNSH_6TensorESM_SM_EERKSM_lbbbEUlllE0_EEPmJS6_EEE10hipError_tPvRmT3_T4_T5_T6_T7_T9_mT8_P12ihipStream_tbDpT10_ENKUlT_T0_E_clISt17integral_constantIbLb0EES1C_EEDaS17_S18_EUlS17_E_NS1_11comp_targetILNS1_3genE9ELNS1_11target_archE1100ELNS1_3gpuE3ELNS1_3repE0EEENS1_30default_config_static_selectorELNS0_4arch9wavefront6targetE0EEEvT1_
    .private_segment_fixed_size: 0
    .sgpr_count:     0
    .sgpr_spill_count: 0
    .symbol:         _ZN7rocprim17ROCPRIM_400000_NS6detail17trampoline_kernelINS0_14default_configENS1_25partition_config_selectorILNS1_17partition_subalgoE8ElNS0_10empty_typeEbEEZZNS1_14partition_implILS5_8ELb0ES3_jPlPS6_PKS6_NS0_5tupleIJS9_S6_EEENSD_IJSA_SA_EEENS0_18inequality_wrapperIZN2at6native12_GLOBAL__N_124unique_dim_cuda_templateIiEESt5tupleIJNSH_6TensorESM_SM_EERKSM_lbbbEUlllE0_EEPmJS6_EEE10hipError_tPvRmT3_T4_T5_T6_T7_T9_mT8_P12ihipStream_tbDpT10_ENKUlT_T0_E_clISt17integral_constantIbLb0EES1C_EEDaS17_S18_EUlS17_E_NS1_11comp_targetILNS1_3genE9ELNS1_11target_archE1100ELNS1_3gpuE3ELNS1_3repE0EEENS1_30default_config_static_selectorELNS0_4arch9wavefront6targetE0EEEvT1_.kd
    .uniform_work_group_size: 1
    .uses_dynamic_stack: false
    .vgpr_count:     0
    .vgpr_spill_count: 0
    .wavefront_size: 32
  - .args:
      - .offset:         0
        .size:           120
        .value_kind:     by_value
    .group_segment_fixed_size: 0
    .kernarg_segment_align: 8
    .kernarg_segment_size: 120
    .language:       OpenCL C
    .language_version:
      - 2
      - 0
    .max_flat_workgroup_size: 512
    .name:           _ZN7rocprim17ROCPRIM_400000_NS6detail17trampoline_kernelINS0_14default_configENS1_25partition_config_selectorILNS1_17partition_subalgoE8ElNS0_10empty_typeEbEEZZNS1_14partition_implILS5_8ELb0ES3_jPlPS6_PKS6_NS0_5tupleIJS9_S6_EEENSD_IJSA_SA_EEENS0_18inequality_wrapperIZN2at6native12_GLOBAL__N_124unique_dim_cuda_templateIiEESt5tupleIJNSH_6TensorESM_SM_EERKSM_lbbbEUlllE0_EEPmJS6_EEE10hipError_tPvRmT3_T4_T5_T6_T7_T9_mT8_P12ihipStream_tbDpT10_ENKUlT_T0_E_clISt17integral_constantIbLb0EES1C_EEDaS17_S18_EUlS17_E_NS1_11comp_targetILNS1_3genE8ELNS1_11target_archE1030ELNS1_3gpuE2ELNS1_3repE0EEENS1_30default_config_static_selectorELNS0_4arch9wavefront6targetE0EEEvT1_
    .private_segment_fixed_size: 0
    .sgpr_count:     0
    .sgpr_spill_count: 0
    .symbol:         _ZN7rocprim17ROCPRIM_400000_NS6detail17trampoline_kernelINS0_14default_configENS1_25partition_config_selectorILNS1_17partition_subalgoE8ElNS0_10empty_typeEbEEZZNS1_14partition_implILS5_8ELb0ES3_jPlPS6_PKS6_NS0_5tupleIJS9_S6_EEENSD_IJSA_SA_EEENS0_18inequality_wrapperIZN2at6native12_GLOBAL__N_124unique_dim_cuda_templateIiEESt5tupleIJNSH_6TensorESM_SM_EERKSM_lbbbEUlllE0_EEPmJS6_EEE10hipError_tPvRmT3_T4_T5_T6_T7_T9_mT8_P12ihipStream_tbDpT10_ENKUlT_T0_E_clISt17integral_constantIbLb0EES1C_EEDaS17_S18_EUlS17_E_NS1_11comp_targetILNS1_3genE8ELNS1_11target_archE1030ELNS1_3gpuE2ELNS1_3repE0EEENS1_30default_config_static_selectorELNS0_4arch9wavefront6targetE0EEEvT1_.kd
    .uniform_work_group_size: 1
    .uses_dynamic_stack: false
    .vgpr_count:     0
    .vgpr_spill_count: 0
    .wavefront_size: 32
  - .args:
      - .offset:         0
        .size:           136
        .value_kind:     by_value
    .group_segment_fixed_size: 0
    .kernarg_segment_align: 8
    .kernarg_segment_size: 136
    .language:       OpenCL C
    .language_version:
      - 2
      - 0
    .max_flat_workgroup_size: 512
    .name:           _ZN7rocprim17ROCPRIM_400000_NS6detail17trampoline_kernelINS0_14default_configENS1_25partition_config_selectorILNS1_17partition_subalgoE8ElNS0_10empty_typeEbEEZZNS1_14partition_implILS5_8ELb0ES3_jPlPS6_PKS6_NS0_5tupleIJS9_S6_EEENSD_IJSA_SA_EEENS0_18inequality_wrapperIZN2at6native12_GLOBAL__N_124unique_dim_cuda_templateIiEESt5tupleIJNSH_6TensorESM_SM_EERKSM_lbbbEUlllE0_EEPmJS6_EEE10hipError_tPvRmT3_T4_T5_T6_T7_T9_mT8_P12ihipStream_tbDpT10_ENKUlT_T0_E_clISt17integral_constantIbLb1EES1C_EEDaS17_S18_EUlS17_E_NS1_11comp_targetILNS1_3genE0ELNS1_11target_archE4294967295ELNS1_3gpuE0ELNS1_3repE0EEENS1_30default_config_static_selectorELNS0_4arch9wavefront6targetE0EEEvT1_
    .private_segment_fixed_size: 0
    .sgpr_count:     0
    .sgpr_spill_count: 0
    .symbol:         _ZN7rocprim17ROCPRIM_400000_NS6detail17trampoline_kernelINS0_14default_configENS1_25partition_config_selectorILNS1_17partition_subalgoE8ElNS0_10empty_typeEbEEZZNS1_14partition_implILS5_8ELb0ES3_jPlPS6_PKS6_NS0_5tupleIJS9_S6_EEENSD_IJSA_SA_EEENS0_18inequality_wrapperIZN2at6native12_GLOBAL__N_124unique_dim_cuda_templateIiEESt5tupleIJNSH_6TensorESM_SM_EERKSM_lbbbEUlllE0_EEPmJS6_EEE10hipError_tPvRmT3_T4_T5_T6_T7_T9_mT8_P12ihipStream_tbDpT10_ENKUlT_T0_E_clISt17integral_constantIbLb1EES1C_EEDaS17_S18_EUlS17_E_NS1_11comp_targetILNS1_3genE0ELNS1_11target_archE4294967295ELNS1_3gpuE0ELNS1_3repE0EEENS1_30default_config_static_selectorELNS0_4arch9wavefront6targetE0EEEvT1_.kd
    .uniform_work_group_size: 1
    .uses_dynamic_stack: false
    .vgpr_count:     0
    .vgpr_spill_count: 0
    .wavefront_size: 32
  - .args:
      - .offset:         0
        .size:           136
        .value_kind:     by_value
    .group_segment_fixed_size: 0
    .kernarg_segment_align: 8
    .kernarg_segment_size: 136
    .language:       OpenCL C
    .language_version:
      - 2
      - 0
    .max_flat_workgroup_size: 512
    .name:           _ZN7rocprim17ROCPRIM_400000_NS6detail17trampoline_kernelINS0_14default_configENS1_25partition_config_selectorILNS1_17partition_subalgoE8ElNS0_10empty_typeEbEEZZNS1_14partition_implILS5_8ELb0ES3_jPlPS6_PKS6_NS0_5tupleIJS9_S6_EEENSD_IJSA_SA_EEENS0_18inequality_wrapperIZN2at6native12_GLOBAL__N_124unique_dim_cuda_templateIiEESt5tupleIJNSH_6TensorESM_SM_EERKSM_lbbbEUlllE0_EEPmJS6_EEE10hipError_tPvRmT3_T4_T5_T6_T7_T9_mT8_P12ihipStream_tbDpT10_ENKUlT_T0_E_clISt17integral_constantIbLb1EES1C_EEDaS17_S18_EUlS17_E_NS1_11comp_targetILNS1_3genE5ELNS1_11target_archE942ELNS1_3gpuE9ELNS1_3repE0EEENS1_30default_config_static_selectorELNS0_4arch9wavefront6targetE0EEEvT1_
    .private_segment_fixed_size: 0
    .sgpr_count:     0
    .sgpr_spill_count: 0
    .symbol:         _ZN7rocprim17ROCPRIM_400000_NS6detail17trampoline_kernelINS0_14default_configENS1_25partition_config_selectorILNS1_17partition_subalgoE8ElNS0_10empty_typeEbEEZZNS1_14partition_implILS5_8ELb0ES3_jPlPS6_PKS6_NS0_5tupleIJS9_S6_EEENSD_IJSA_SA_EEENS0_18inequality_wrapperIZN2at6native12_GLOBAL__N_124unique_dim_cuda_templateIiEESt5tupleIJNSH_6TensorESM_SM_EERKSM_lbbbEUlllE0_EEPmJS6_EEE10hipError_tPvRmT3_T4_T5_T6_T7_T9_mT8_P12ihipStream_tbDpT10_ENKUlT_T0_E_clISt17integral_constantIbLb1EES1C_EEDaS17_S18_EUlS17_E_NS1_11comp_targetILNS1_3genE5ELNS1_11target_archE942ELNS1_3gpuE9ELNS1_3repE0EEENS1_30default_config_static_selectorELNS0_4arch9wavefront6targetE0EEEvT1_.kd
    .uniform_work_group_size: 1
    .uses_dynamic_stack: false
    .vgpr_count:     0
    .vgpr_spill_count: 0
    .wavefront_size: 32
  - .args:
      - .offset:         0
        .size:           136
        .value_kind:     by_value
    .group_segment_fixed_size: 0
    .kernarg_segment_align: 8
    .kernarg_segment_size: 136
    .language:       OpenCL C
    .language_version:
      - 2
      - 0
    .max_flat_workgroup_size: 256
    .name:           _ZN7rocprim17ROCPRIM_400000_NS6detail17trampoline_kernelINS0_14default_configENS1_25partition_config_selectorILNS1_17partition_subalgoE8ElNS0_10empty_typeEbEEZZNS1_14partition_implILS5_8ELb0ES3_jPlPS6_PKS6_NS0_5tupleIJS9_S6_EEENSD_IJSA_SA_EEENS0_18inequality_wrapperIZN2at6native12_GLOBAL__N_124unique_dim_cuda_templateIiEESt5tupleIJNSH_6TensorESM_SM_EERKSM_lbbbEUlllE0_EEPmJS6_EEE10hipError_tPvRmT3_T4_T5_T6_T7_T9_mT8_P12ihipStream_tbDpT10_ENKUlT_T0_E_clISt17integral_constantIbLb1EES1C_EEDaS17_S18_EUlS17_E_NS1_11comp_targetILNS1_3genE4ELNS1_11target_archE910ELNS1_3gpuE8ELNS1_3repE0EEENS1_30default_config_static_selectorELNS0_4arch9wavefront6targetE0EEEvT1_
    .private_segment_fixed_size: 0
    .sgpr_count:     0
    .sgpr_spill_count: 0
    .symbol:         _ZN7rocprim17ROCPRIM_400000_NS6detail17trampoline_kernelINS0_14default_configENS1_25partition_config_selectorILNS1_17partition_subalgoE8ElNS0_10empty_typeEbEEZZNS1_14partition_implILS5_8ELb0ES3_jPlPS6_PKS6_NS0_5tupleIJS9_S6_EEENSD_IJSA_SA_EEENS0_18inequality_wrapperIZN2at6native12_GLOBAL__N_124unique_dim_cuda_templateIiEESt5tupleIJNSH_6TensorESM_SM_EERKSM_lbbbEUlllE0_EEPmJS6_EEE10hipError_tPvRmT3_T4_T5_T6_T7_T9_mT8_P12ihipStream_tbDpT10_ENKUlT_T0_E_clISt17integral_constantIbLb1EES1C_EEDaS17_S18_EUlS17_E_NS1_11comp_targetILNS1_3genE4ELNS1_11target_archE910ELNS1_3gpuE8ELNS1_3repE0EEENS1_30default_config_static_selectorELNS0_4arch9wavefront6targetE0EEEvT1_.kd
    .uniform_work_group_size: 1
    .uses_dynamic_stack: false
    .vgpr_count:     0
    .vgpr_spill_count: 0
    .wavefront_size: 32
  - .args:
      - .offset:         0
        .size:           136
        .value_kind:     by_value
    .group_segment_fixed_size: 0
    .kernarg_segment_align: 8
    .kernarg_segment_size: 136
    .language:       OpenCL C
    .language_version:
      - 2
      - 0
    .max_flat_workgroup_size: 512
    .name:           _ZN7rocprim17ROCPRIM_400000_NS6detail17trampoline_kernelINS0_14default_configENS1_25partition_config_selectorILNS1_17partition_subalgoE8ElNS0_10empty_typeEbEEZZNS1_14partition_implILS5_8ELb0ES3_jPlPS6_PKS6_NS0_5tupleIJS9_S6_EEENSD_IJSA_SA_EEENS0_18inequality_wrapperIZN2at6native12_GLOBAL__N_124unique_dim_cuda_templateIiEESt5tupleIJNSH_6TensorESM_SM_EERKSM_lbbbEUlllE0_EEPmJS6_EEE10hipError_tPvRmT3_T4_T5_T6_T7_T9_mT8_P12ihipStream_tbDpT10_ENKUlT_T0_E_clISt17integral_constantIbLb1EES1C_EEDaS17_S18_EUlS17_E_NS1_11comp_targetILNS1_3genE3ELNS1_11target_archE908ELNS1_3gpuE7ELNS1_3repE0EEENS1_30default_config_static_selectorELNS0_4arch9wavefront6targetE0EEEvT1_
    .private_segment_fixed_size: 0
    .sgpr_count:     0
    .sgpr_spill_count: 0
    .symbol:         _ZN7rocprim17ROCPRIM_400000_NS6detail17trampoline_kernelINS0_14default_configENS1_25partition_config_selectorILNS1_17partition_subalgoE8ElNS0_10empty_typeEbEEZZNS1_14partition_implILS5_8ELb0ES3_jPlPS6_PKS6_NS0_5tupleIJS9_S6_EEENSD_IJSA_SA_EEENS0_18inequality_wrapperIZN2at6native12_GLOBAL__N_124unique_dim_cuda_templateIiEESt5tupleIJNSH_6TensorESM_SM_EERKSM_lbbbEUlllE0_EEPmJS6_EEE10hipError_tPvRmT3_T4_T5_T6_T7_T9_mT8_P12ihipStream_tbDpT10_ENKUlT_T0_E_clISt17integral_constantIbLb1EES1C_EEDaS17_S18_EUlS17_E_NS1_11comp_targetILNS1_3genE3ELNS1_11target_archE908ELNS1_3gpuE7ELNS1_3repE0EEENS1_30default_config_static_selectorELNS0_4arch9wavefront6targetE0EEEvT1_.kd
    .uniform_work_group_size: 1
    .uses_dynamic_stack: false
    .vgpr_count:     0
    .vgpr_spill_count: 0
    .wavefront_size: 32
  - .args:
      - .offset:         0
        .size:           136
        .value_kind:     by_value
    .group_segment_fixed_size: 0
    .kernarg_segment_align: 8
    .kernarg_segment_size: 136
    .language:       OpenCL C
    .language_version:
      - 2
      - 0
    .max_flat_workgroup_size: 256
    .name:           _ZN7rocprim17ROCPRIM_400000_NS6detail17trampoline_kernelINS0_14default_configENS1_25partition_config_selectorILNS1_17partition_subalgoE8ElNS0_10empty_typeEbEEZZNS1_14partition_implILS5_8ELb0ES3_jPlPS6_PKS6_NS0_5tupleIJS9_S6_EEENSD_IJSA_SA_EEENS0_18inequality_wrapperIZN2at6native12_GLOBAL__N_124unique_dim_cuda_templateIiEESt5tupleIJNSH_6TensorESM_SM_EERKSM_lbbbEUlllE0_EEPmJS6_EEE10hipError_tPvRmT3_T4_T5_T6_T7_T9_mT8_P12ihipStream_tbDpT10_ENKUlT_T0_E_clISt17integral_constantIbLb1EES1C_EEDaS17_S18_EUlS17_E_NS1_11comp_targetILNS1_3genE2ELNS1_11target_archE906ELNS1_3gpuE6ELNS1_3repE0EEENS1_30default_config_static_selectorELNS0_4arch9wavefront6targetE0EEEvT1_
    .private_segment_fixed_size: 0
    .sgpr_count:     0
    .sgpr_spill_count: 0
    .symbol:         _ZN7rocprim17ROCPRIM_400000_NS6detail17trampoline_kernelINS0_14default_configENS1_25partition_config_selectorILNS1_17partition_subalgoE8ElNS0_10empty_typeEbEEZZNS1_14partition_implILS5_8ELb0ES3_jPlPS6_PKS6_NS0_5tupleIJS9_S6_EEENSD_IJSA_SA_EEENS0_18inequality_wrapperIZN2at6native12_GLOBAL__N_124unique_dim_cuda_templateIiEESt5tupleIJNSH_6TensorESM_SM_EERKSM_lbbbEUlllE0_EEPmJS6_EEE10hipError_tPvRmT3_T4_T5_T6_T7_T9_mT8_P12ihipStream_tbDpT10_ENKUlT_T0_E_clISt17integral_constantIbLb1EES1C_EEDaS17_S18_EUlS17_E_NS1_11comp_targetILNS1_3genE2ELNS1_11target_archE906ELNS1_3gpuE6ELNS1_3repE0EEENS1_30default_config_static_selectorELNS0_4arch9wavefront6targetE0EEEvT1_.kd
    .uniform_work_group_size: 1
    .uses_dynamic_stack: false
    .vgpr_count:     0
    .vgpr_spill_count: 0
    .wavefront_size: 32
  - .args:
      - .offset:         0
        .size:           136
        .value_kind:     by_value
    .group_segment_fixed_size: 0
    .kernarg_segment_align: 8
    .kernarg_segment_size: 136
    .language:       OpenCL C
    .language_version:
      - 2
      - 0
    .max_flat_workgroup_size: 384
    .name:           _ZN7rocprim17ROCPRIM_400000_NS6detail17trampoline_kernelINS0_14default_configENS1_25partition_config_selectorILNS1_17partition_subalgoE8ElNS0_10empty_typeEbEEZZNS1_14partition_implILS5_8ELb0ES3_jPlPS6_PKS6_NS0_5tupleIJS9_S6_EEENSD_IJSA_SA_EEENS0_18inequality_wrapperIZN2at6native12_GLOBAL__N_124unique_dim_cuda_templateIiEESt5tupleIJNSH_6TensorESM_SM_EERKSM_lbbbEUlllE0_EEPmJS6_EEE10hipError_tPvRmT3_T4_T5_T6_T7_T9_mT8_P12ihipStream_tbDpT10_ENKUlT_T0_E_clISt17integral_constantIbLb1EES1C_EEDaS17_S18_EUlS17_E_NS1_11comp_targetILNS1_3genE10ELNS1_11target_archE1200ELNS1_3gpuE4ELNS1_3repE0EEENS1_30default_config_static_selectorELNS0_4arch9wavefront6targetE0EEEvT1_
    .private_segment_fixed_size: 0
    .sgpr_count:     0
    .sgpr_spill_count: 0
    .symbol:         _ZN7rocprim17ROCPRIM_400000_NS6detail17trampoline_kernelINS0_14default_configENS1_25partition_config_selectorILNS1_17partition_subalgoE8ElNS0_10empty_typeEbEEZZNS1_14partition_implILS5_8ELb0ES3_jPlPS6_PKS6_NS0_5tupleIJS9_S6_EEENSD_IJSA_SA_EEENS0_18inequality_wrapperIZN2at6native12_GLOBAL__N_124unique_dim_cuda_templateIiEESt5tupleIJNSH_6TensorESM_SM_EERKSM_lbbbEUlllE0_EEPmJS6_EEE10hipError_tPvRmT3_T4_T5_T6_T7_T9_mT8_P12ihipStream_tbDpT10_ENKUlT_T0_E_clISt17integral_constantIbLb1EES1C_EEDaS17_S18_EUlS17_E_NS1_11comp_targetILNS1_3genE10ELNS1_11target_archE1200ELNS1_3gpuE4ELNS1_3repE0EEENS1_30default_config_static_selectorELNS0_4arch9wavefront6targetE0EEEvT1_.kd
    .uniform_work_group_size: 1
    .uses_dynamic_stack: false
    .vgpr_count:     0
    .vgpr_spill_count: 0
    .wavefront_size: 32
  - .args:
      - .offset:         0
        .size:           136
        .value_kind:     by_value
    .group_segment_fixed_size: 0
    .kernarg_segment_align: 8
    .kernarg_segment_size: 136
    .language:       OpenCL C
    .language_version:
      - 2
      - 0
    .max_flat_workgroup_size: 512
    .name:           _ZN7rocprim17ROCPRIM_400000_NS6detail17trampoline_kernelINS0_14default_configENS1_25partition_config_selectorILNS1_17partition_subalgoE8ElNS0_10empty_typeEbEEZZNS1_14partition_implILS5_8ELb0ES3_jPlPS6_PKS6_NS0_5tupleIJS9_S6_EEENSD_IJSA_SA_EEENS0_18inequality_wrapperIZN2at6native12_GLOBAL__N_124unique_dim_cuda_templateIiEESt5tupleIJNSH_6TensorESM_SM_EERKSM_lbbbEUlllE0_EEPmJS6_EEE10hipError_tPvRmT3_T4_T5_T6_T7_T9_mT8_P12ihipStream_tbDpT10_ENKUlT_T0_E_clISt17integral_constantIbLb1EES1C_EEDaS17_S18_EUlS17_E_NS1_11comp_targetILNS1_3genE9ELNS1_11target_archE1100ELNS1_3gpuE3ELNS1_3repE0EEENS1_30default_config_static_selectorELNS0_4arch9wavefront6targetE0EEEvT1_
    .private_segment_fixed_size: 0
    .sgpr_count:     0
    .sgpr_spill_count: 0
    .symbol:         _ZN7rocprim17ROCPRIM_400000_NS6detail17trampoline_kernelINS0_14default_configENS1_25partition_config_selectorILNS1_17partition_subalgoE8ElNS0_10empty_typeEbEEZZNS1_14partition_implILS5_8ELb0ES3_jPlPS6_PKS6_NS0_5tupleIJS9_S6_EEENSD_IJSA_SA_EEENS0_18inequality_wrapperIZN2at6native12_GLOBAL__N_124unique_dim_cuda_templateIiEESt5tupleIJNSH_6TensorESM_SM_EERKSM_lbbbEUlllE0_EEPmJS6_EEE10hipError_tPvRmT3_T4_T5_T6_T7_T9_mT8_P12ihipStream_tbDpT10_ENKUlT_T0_E_clISt17integral_constantIbLb1EES1C_EEDaS17_S18_EUlS17_E_NS1_11comp_targetILNS1_3genE9ELNS1_11target_archE1100ELNS1_3gpuE3ELNS1_3repE0EEENS1_30default_config_static_selectorELNS0_4arch9wavefront6targetE0EEEvT1_.kd
    .uniform_work_group_size: 1
    .uses_dynamic_stack: false
    .vgpr_count:     0
    .vgpr_spill_count: 0
    .wavefront_size: 32
  - .args:
      - .offset:         0
        .size:           136
        .value_kind:     by_value
    .group_segment_fixed_size: 0
    .kernarg_segment_align: 8
    .kernarg_segment_size: 136
    .language:       OpenCL C
    .language_version:
      - 2
      - 0
    .max_flat_workgroup_size: 512
    .name:           _ZN7rocprim17ROCPRIM_400000_NS6detail17trampoline_kernelINS0_14default_configENS1_25partition_config_selectorILNS1_17partition_subalgoE8ElNS0_10empty_typeEbEEZZNS1_14partition_implILS5_8ELb0ES3_jPlPS6_PKS6_NS0_5tupleIJS9_S6_EEENSD_IJSA_SA_EEENS0_18inequality_wrapperIZN2at6native12_GLOBAL__N_124unique_dim_cuda_templateIiEESt5tupleIJNSH_6TensorESM_SM_EERKSM_lbbbEUlllE0_EEPmJS6_EEE10hipError_tPvRmT3_T4_T5_T6_T7_T9_mT8_P12ihipStream_tbDpT10_ENKUlT_T0_E_clISt17integral_constantIbLb1EES1C_EEDaS17_S18_EUlS17_E_NS1_11comp_targetILNS1_3genE8ELNS1_11target_archE1030ELNS1_3gpuE2ELNS1_3repE0EEENS1_30default_config_static_selectorELNS0_4arch9wavefront6targetE0EEEvT1_
    .private_segment_fixed_size: 0
    .sgpr_count:     0
    .sgpr_spill_count: 0
    .symbol:         _ZN7rocprim17ROCPRIM_400000_NS6detail17trampoline_kernelINS0_14default_configENS1_25partition_config_selectorILNS1_17partition_subalgoE8ElNS0_10empty_typeEbEEZZNS1_14partition_implILS5_8ELb0ES3_jPlPS6_PKS6_NS0_5tupleIJS9_S6_EEENSD_IJSA_SA_EEENS0_18inequality_wrapperIZN2at6native12_GLOBAL__N_124unique_dim_cuda_templateIiEESt5tupleIJNSH_6TensorESM_SM_EERKSM_lbbbEUlllE0_EEPmJS6_EEE10hipError_tPvRmT3_T4_T5_T6_T7_T9_mT8_P12ihipStream_tbDpT10_ENKUlT_T0_E_clISt17integral_constantIbLb1EES1C_EEDaS17_S18_EUlS17_E_NS1_11comp_targetILNS1_3genE8ELNS1_11target_archE1030ELNS1_3gpuE2ELNS1_3repE0EEENS1_30default_config_static_selectorELNS0_4arch9wavefront6targetE0EEEvT1_.kd
    .uniform_work_group_size: 1
    .uses_dynamic_stack: false
    .vgpr_count:     0
    .vgpr_spill_count: 0
    .wavefront_size: 32
  - .args:
      - .offset:         0
        .size:           120
        .value_kind:     by_value
    .group_segment_fixed_size: 0
    .kernarg_segment_align: 8
    .kernarg_segment_size: 120
    .language:       OpenCL C
    .language_version:
      - 2
      - 0
    .max_flat_workgroup_size: 512
    .name:           _ZN7rocprim17ROCPRIM_400000_NS6detail17trampoline_kernelINS0_14default_configENS1_25partition_config_selectorILNS1_17partition_subalgoE8ElNS0_10empty_typeEbEEZZNS1_14partition_implILS5_8ELb0ES3_jPlPS6_PKS6_NS0_5tupleIJS9_S6_EEENSD_IJSA_SA_EEENS0_18inequality_wrapperIZN2at6native12_GLOBAL__N_124unique_dim_cuda_templateIiEESt5tupleIJNSH_6TensorESM_SM_EERKSM_lbbbEUlllE0_EEPmJS6_EEE10hipError_tPvRmT3_T4_T5_T6_T7_T9_mT8_P12ihipStream_tbDpT10_ENKUlT_T0_E_clISt17integral_constantIbLb1EES1B_IbLb0EEEEDaS17_S18_EUlS17_E_NS1_11comp_targetILNS1_3genE0ELNS1_11target_archE4294967295ELNS1_3gpuE0ELNS1_3repE0EEENS1_30default_config_static_selectorELNS0_4arch9wavefront6targetE0EEEvT1_
    .private_segment_fixed_size: 0
    .sgpr_count:     0
    .sgpr_spill_count: 0
    .symbol:         _ZN7rocprim17ROCPRIM_400000_NS6detail17trampoline_kernelINS0_14default_configENS1_25partition_config_selectorILNS1_17partition_subalgoE8ElNS0_10empty_typeEbEEZZNS1_14partition_implILS5_8ELb0ES3_jPlPS6_PKS6_NS0_5tupleIJS9_S6_EEENSD_IJSA_SA_EEENS0_18inequality_wrapperIZN2at6native12_GLOBAL__N_124unique_dim_cuda_templateIiEESt5tupleIJNSH_6TensorESM_SM_EERKSM_lbbbEUlllE0_EEPmJS6_EEE10hipError_tPvRmT3_T4_T5_T6_T7_T9_mT8_P12ihipStream_tbDpT10_ENKUlT_T0_E_clISt17integral_constantIbLb1EES1B_IbLb0EEEEDaS17_S18_EUlS17_E_NS1_11comp_targetILNS1_3genE0ELNS1_11target_archE4294967295ELNS1_3gpuE0ELNS1_3repE0EEENS1_30default_config_static_selectorELNS0_4arch9wavefront6targetE0EEEvT1_.kd
    .uniform_work_group_size: 1
    .uses_dynamic_stack: false
    .vgpr_count:     0
    .vgpr_spill_count: 0
    .wavefront_size: 32
  - .args:
      - .offset:         0
        .size:           120
        .value_kind:     by_value
    .group_segment_fixed_size: 0
    .kernarg_segment_align: 8
    .kernarg_segment_size: 120
    .language:       OpenCL C
    .language_version:
      - 2
      - 0
    .max_flat_workgroup_size: 512
    .name:           _ZN7rocprim17ROCPRIM_400000_NS6detail17trampoline_kernelINS0_14default_configENS1_25partition_config_selectorILNS1_17partition_subalgoE8ElNS0_10empty_typeEbEEZZNS1_14partition_implILS5_8ELb0ES3_jPlPS6_PKS6_NS0_5tupleIJS9_S6_EEENSD_IJSA_SA_EEENS0_18inequality_wrapperIZN2at6native12_GLOBAL__N_124unique_dim_cuda_templateIiEESt5tupleIJNSH_6TensorESM_SM_EERKSM_lbbbEUlllE0_EEPmJS6_EEE10hipError_tPvRmT3_T4_T5_T6_T7_T9_mT8_P12ihipStream_tbDpT10_ENKUlT_T0_E_clISt17integral_constantIbLb1EES1B_IbLb0EEEEDaS17_S18_EUlS17_E_NS1_11comp_targetILNS1_3genE5ELNS1_11target_archE942ELNS1_3gpuE9ELNS1_3repE0EEENS1_30default_config_static_selectorELNS0_4arch9wavefront6targetE0EEEvT1_
    .private_segment_fixed_size: 0
    .sgpr_count:     0
    .sgpr_spill_count: 0
    .symbol:         _ZN7rocprim17ROCPRIM_400000_NS6detail17trampoline_kernelINS0_14default_configENS1_25partition_config_selectorILNS1_17partition_subalgoE8ElNS0_10empty_typeEbEEZZNS1_14partition_implILS5_8ELb0ES3_jPlPS6_PKS6_NS0_5tupleIJS9_S6_EEENSD_IJSA_SA_EEENS0_18inequality_wrapperIZN2at6native12_GLOBAL__N_124unique_dim_cuda_templateIiEESt5tupleIJNSH_6TensorESM_SM_EERKSM_lbbbEUlllE0_EEPmJS6_EEE10hipError_tPvRmT3_T4_T5_T6_T7_T9_mT8_P12ihipStream_tbDpT10_ENKUlT_T0_E_clISt17integral_constantIbLb1EES1B_IbLb0EEEEDaS17_S18_EUlS17_E_NS1_11comp_targetILNS1_3genE5ELNS1_11target_archE942ELNS1_3gpuE9ELNS1_3repE0EEENS1_30default_config_static_selectorELNS0_4arch9wavefront6targetE0EEEvT1_.kd
    .uniform_work_group_size: 1
    .uses_dynamic_stack: false
    .vgpr_count:     0
    .vgpr_spill_count: 0
    .wavefront_size: 32
  - .args:
      - .offset:         0
        .size:           120
        .value_kind:     by_value
    .group_segment_fixed_size: 0
    .kernarg_segment_align: 8
    .kernarg_segment_size: 120
    .language:       OpenCL C
    .language_version:
      - 2
      - 0
    .max_flat_workgroup_size: 256
    .name:           _ZN7rocprim17ROCPRIM_400000_NS6detail17trampoline_kernelINS0_14default_configENS1_25partition_config_selectorILNS1_17partition_subalgoE8ElNS0_10empty_typeEbEEZZNS1_14partition_implILS5_8ELb0ES3_jPlPS6_PKS6_NS0_5tupleIJS9_S6_EEENSD_IJSA_SA_EEENS0_18inequality_wrapperIZN2at6native12_GLOBAL__N_124unique_dim_cuda_templateIiEESt5tupleIJNSH_6TensorESM_SM_EERKSM_lbbbEUlllE0_EEPmJS6_EEE10hipError_tPvRmT3_T4_T5_T6_T7_T9_mT8_P12ihipStream_tbDpT10_ENKUlT_T0_E_clISt17integral_constantIbLb1EES1B_IbLb0EEEEDaS17_S18_EUlS17_E_NS1_11comp_targetILNS1_3genE4ELNS1_11target_archE910ELNS1_3gpuE8ELNS1_3repE0EEENS1_30default_config_static_selectorELNS0_4arch9wavefront6targetE0EEEvT1_
    .private_segment_fixed_size: 0
    .sgpr_count:     0
    .sgpr_spill_count: 0
    .symbol:         _ZN7rocprim17ROCPRIM_400000_NS6detail17trampoline_kernelINS0_14default_configENS1_25partition_config_selectorILNS1_17partition_subalgoE8ElNS0_10empty_typeEbEEZZNS1_14partition_implILS5_8ELb0ES3_jPlPS6_PKS6_NS0_5tupleIJS9_S6_EEENSD_IJSA_SA_EEENS0_18inequality_wrapperIZN2at6native12_GLOBAL__N_124unique_dim_cuda_templateIiEESt5tupleIJNSH_6TensorESM_SM_EERKSM_lbbbEUlllE0_EEPmJS6_EEE10hipError_tPvRmT3_T4_T5_T6_T7_T9_mT8_P12ihipStream_tbDpT10_ENKUlT_T0_E_clISt17integral_constantIbLb1EES1B_IbLb0EEEEDaS17_S18_EUlS17_E_NS1_11comp_targetILNS1_3genE4ELNS1_11target_archE910ELNS1_3gpuE8ELNS1_3repE0EEENS1_30default_config_static_selectorELNS0_4arch9wavefront6targetE0EEEvT1_.kd
    .uniform_work_group_size: 1
    .uses_dynamic_stack: false
    .vgpr_count:     0
    .vgpr_spill_count: 0
    .wavefront_size: 32
  - .args:
      - .offset:         0
        .size:           120
        .value_kind:     by_value
    .group_segment_fixed_size: 0
    .kernarg_segment_align: 8
    .kernarg_segment_size: 120
    .language:       OpenCL C
    .language_version:
      - 2
      - 0
    .max_flat_workgroup_size: 512
    .name:           _ZN7rocprim17ROCPRIM_400000_NS6detail17trampoline_kernelINS0_14default_configENS1_25partition_config_selectorILNS1_17partition_subalgoE8ElNS0_10empty_typeEbEEZZNS1_14partition_implILS5_8ELb0ES3_jPlPS6_PKS6_NS0_5tupleIJS9_S6_EEENSD_IJSA_SA_EEENS0_18inequality_wrapperIZN2at6native12_GLOBAL__N_124unique_dim_cuda_templateIiEESt5tupleIJNSH_6TensorESM_SM_EERKSM_lbbbEUlllE0_EEPmJS6_EEE10hipError_tPvRmT3_T4_T5_T6_T7_T9_mT8_P12ihipStream_tbDpT10_ENKUlT_T0_E_clISt17integral_constantIbLb1EES1B_IbLb0EEEEDaS17_S18_EUlS17_E_NS1_11comp_targetILNS1_3genE3ELNS1_11target_archE908ELNS1_3gpuE7ELNS1_3repE0EEENS1_30default_config_static_selectorELNS0_4arch9wavefront6targetE0EEEvT1_
    .private_segment_fixed_size: 0
    .sgpr_count:     0
    .sgpr_spill_count: 0
    .symbol:         _ZN7rocprim17ROCPRIM_400000_NS6detail17trampoline_kernelINS0_14default_configENS1_25partition_config_selectorILNS1_17partition_subalgoE8ElNS0_10empty_typeEbEEZZNS1_14partition_implILS5_8ELb0ES3_jPlPS6_PKS6_NS0_5tupleIJS9_S6_EEENSD_IJSA_SA_EEENS0_18inequality_wrapperIZN2at6native12_GLOBAL__N_124unique_dim_cuda_templateIiEESt5tupleIJNSH_6TensorESM_SM_EERKSM_lbbbEUlllE0_EEPmJS6_EEE10hipError_tPvRmT3_T4_T5_T6_T7_T9_mT8_P12ihipStream_tbDpT10_ENKUlT_T0_E_clISt17integral_constantIbLb1EES1B_IbLb0EEEEDaS17_S18_EUlS17_E_NS1_11comp_targetILNS1_3genE3ELNS1_11target_archE908ELNS1_3gpuE7ELNS1_3repE0EEENS1_30default_config_static_selectorELNS0_4arch9wavefront6targetE0EEEvT1_.kd
    .uniform_work_group_size: 1
    .uses_dynamic_stack: false
    .vgpr_count:     0
    .vgpr_spill_count: 0
    .wavefront_size: 32
  - .args:
      - .offset:         0
        .size:           120
        .value_kind:     by_value
    .group_segment_fixed_size: 0
    .kernarg_segment_align: 8
    .kernarg_segment_size: 120
    .language:       OpenCL C
    .language_version:
      - 2
      - 0
    .max_flat_workgroup_size: 256
    .name:           _ZN7rocprim17ROCPRIM_400000_NS6detail17trampoline_kernelINS0_14default_configENS1_25partition_config_selectorILNS1_17partition_subalgoE8ElNS0_10empty_typeEbEEZZNS1_14partition_implILS5_8ELb0ES3_jPlPS6_PKS6_NS0_5tupleIJS9_S6_EEENSD_IJSA_SA_EEENS0_18inequality_wrapperIZN2at6native12_GLOBAL__N_124unique_dim_cuda_templateIiEESt5tupleIJNSH_6TensorESM_SM_EERKSM_lbbbEUlllE0_EEPmJS6_EEE10hipError_tPvRmT3_T4_T5_T6_T7_T9_mT8_P12ihipStream_tbDpT10_ENKUlT_T0_E_clISt17integral_constantIbLb1EES1B_IbLb0EEEEDaS17_S18_EUlS17_E_NS1_11comp_targetILNS1_3genE2ELNS1_11target_archE906ELNS1_3gpuE6ELNS1_3repE0EEENS1_30default_config_static_selectorELNS0_4arch9wavefront6targetE0EEEvT1_
    .private_segment_fixed_size: 0
    .sgpr_count:     0
    .sgpr_spill_count: 0
    .symbol:         _ZN7rocprim17ROCPRIM_400000_NS6detail17trampoline_kernelINS0_14default_configENS1_25partition_config_selectorILNS1_17partition_subalgoE8ElNS0_10empty_typeEbEEZZNS1_14partition_implILS5_8ELb0ES3_jPlPS6_PKS6_NS0_5tupleIJS9_S6_EEENSD_IJSA_SA_EEENS0_18inequality_wrapperIZN2at6native12_GLOBAL__N_124unique_dim_cuda_templateIiEESt5tupleIJNSH_6TensorESM_SM_EERKSM_lbbbEUlllE0_EEPmJS6_EEE10hipError_tPvRmT3_T4_T5_T6_T7_T9_mT8_P12ihipStream_tbDpT10_ENKUlT_T0_E_clISt17integral_constantIbLb1EES1B_IbLb0EEEEDaS17_S18_EUlS17_E_NS1_11comp_targetILNS1_3genE2ELNS1_11target_archE906ELNS1_3gpuE6ELNS1_3repE0EEENS1_30default_config_static_selectorELNS0_4arch9wavefront6targetE0EEEvT1_.kd
    .uniform_work_group_size: 1
    .uses_dynamic_stack: false
    .vgpr_count:     0
    .vgpr_spill_count: 0
    .wavefront_size: 32
  - .args:
      - .offset:         0
        .size:           120
        .value_kind:     by_value
    .group_segment_fixed_size: 0
    .kernarg_segment_align: 8
    .kernarg_segment_size: 120
    .language:       OpenCL C
    .language_version:
      - 2
      - 0
    .max_flat_workgroup_size: 384
    .name:           _ZN7rocprim17ROCPRIM_400000_NS6detail17trampoline_kernelINS0_14default_configENS1_25partition_config_selectorILNS1_17partition_subalgoE8ElNS0_10empty_typeEbEEZZNS1_14partition_implILS5_8ELb0ES3_jPlPS6_PKS6_NS0_5tupleIJS9_S6_EEENSD_IJSA_SA_EEENS0_18inequality_wrapperIZN2at6native12_GLOBAL__N_124unique_dim_cuda_templateIiEESt5tupleIJNSH_6TensorESM_SM_EERKSM_lbbbEUlllE0_EEPmJS6_EEE10hipError_tPvRmT3_T4_T5_T6_T7_T9_mT8_P12ihipStream_tbDpT10_ENKUlT_T0_E_clISt17integral_constantIbLb1EES1B_IbLb0EEEEDaS17_S18_EUlS17_E_NS1_11comp_targetILNS1_3genE10ELNS1_11target_archE1200ELNS1_3gpuE4ELNS1_3repE0EEENS1_30default_config_static_selectorELNS0_4arch9wavefront6targetE0EEEvT1_
    .private_segment_fixed_size: 0
    .sgpr_count:     0
    .sgpr_spill_count: 0
    .symbol:         _ZN7rocprim17ROCPRIM_400000_NS6detail17trampoline_kernelINS0_14default_configENS1_25partition_config_selectorILNS1_17partition_subalgoE8ElNS0_10empty_typeEbEEZZNS1_14partition_implILS5_8ELb0ES3_jPlPS6_PKS6_NS0_5tupleIJS9_S6_EEENSD_IJSA_SA_EEENS0_18inequality_wrapperIZN2at6native12_GLOBAL__N_124unique_dim_cuda_templateIiEESt5tupleIJNSH_6TensorESM_SM_EERKSM_lbbbEUlllE0_EEPmJS6_EEE10hipError_tPvRmT3_T4_T5_T6_T7_T9_mT8_P12ihipStream_tbDpT10_ENKUlT_T0_E_clISt17integral_constantIbLb1EES1B_IbLb0EEEEDaS17_S18_EUlS17_E_NS1_11comp_targetILNS1_3genE10ELNS1_11target_archE1200ELNS1_3gpuE4ELNS1_3repE0EEENS1_30default_config_static_selectorELNS0_4arch9wavefront6targetE0EEEvT1_.kd
    .uniform_work_group_size: 1
    .uses_dynamic_stack: false
    .vgpr_count:     0
    .vgpr_spill_count: 0
    .wavefront_size: 32
  - .args:
      - .offset:         0
        .size:           120
        .value_kind:     by_value
    .group_segment_fixed_size: 0
    .kernarg_segment_align: 8
    .kernarg_segment_size: 120
    .language:       OpenCL C
    .language_version:
      - 2
      - 0
    .max_flat_workgroup_size: 512
    .name:           _ZN7rocprim17ROCPRIM_400000_NS6detail17trampoline_kernelINS0_14default_configENS1_25partition_config_selectorILNS1_17partition_subalgoE8ElNS0_10empty_typeEbEEZZNS1_14partition_implILS5_8ELb0ES3_jPlPS6_PKS6_NS0_5tupleIJS9_S6_EEENSD_IJSA_SA_EEENS0_18inequality_wrapperIZN2at6native12_GLOBAL__N_124unique_dim_cuda_templateIiEESt5tupleIJNSH_6TensorESM_SM_EERKSM_lbbbEUlllE0_EEPmJS6_EEE10hipError_tPvRmT3_T4_T5_T6_T7_T9_mT8_P12ihipStream_tbDpT10_ENKUlT_T0_E_clISt17integral_constantIbLb1EES1B_IbLb0EEEEDaS17_S18_EUlS17_E_NS1_11comp_targetILNS1_3genE9ELNS1_11target_archE1100ELNS1_3gpuE3ELNS1_3repE0EEENS1_30default_config_static_selectorELNS0_4arch9wavefront6targetE0EEEvT1_
    .private_segment_fixed_size: 0
    .sgpr_count:     0
    .sgpr_spill_count: 0
    .symbol:         _ZN7rocprim17ROCPRIM_400000_NS6detail17trampoline_kernelINS0_14default_configENS1_25partition_config_selectorILNS1_17partition_subalgoE8ElNS0_10empty_typeEbEEZZNS1_14partition_implILS5_8ELb0ES3_jPlPS6_PKS6_NS0_5tupleIJS9_S6_EEENSD_IJSA_SA_EEENS0_18inequality_wrapperIZN2at6native12_GLOBAL__N_124unique_dim_cuda_templateIiEESt5tupleIJNSH_6TensorESM_SM_EERKSM_lbbbEUlllE0_EEPmJS6_EEE10hipError_tPvRmT3_T4_T5_T6_T7_T9_mT8_P12ihipStream_tbDpT10_ENKUlT_T0_E_clISt17integral_constantIbLb1EES1B_IbLb0EEEEDaS17_S18_EUlS17_E_NS1_11comp_targetILNS1_3genE9ELNS1_11target_archE1100ELNS1_3gpuE3ELNS1_3repE0EEENS1_30default_config_static_selectorELNS0_4arch9wavefront6targetE0EEEvT1_.kd
    .uniform_work_group_size: 1
    .uses_dynamic_stack: false
    .vgpr_count:     0
    .vgpr_spill_count: 0
    .wavefront_size: 32
  - .args:
      - .offset:         0
        .size:           120
        .value_kind:     by_value
    .group_segment_fixed_size: 0
    .kernarg_segment_align: 8
    .kernarg_segment_size: 120
    .language:       OpenCL C
    .language_version:
      - 2
      - 0
    .max_flat_workgroup_size: 512
    .name:           _ZN7rocprim17ROCPRIM_400000_NS6detail17trampoline_kernelINS0_14default_configENS1_25partition_config_selectorILNS1_17partition_subalgoE8ElNS0_10empty_typeEbEEZZNS1_14partition_implILS5_8ELb0ES3_jPlPS6_PKS6_NS0_5tupleIJS9_S6_EEENSD_IJSA_SA_EEENS0_18inequality_wrapperIZN2at6native12_GLOBAL__N_124unique_dim_cuda_templateIiEESt5tupleIJNSH_6TensorESM_SM_EERKSM_lbbbEUlllE0_EEPmJS6_EEE10hipError_tPvRmT3_T4_T5_T6_T7_T9_mT8_P12ihipStream_tbDpT10_ENKUlT_T0_E_clISt17integral_constantIbLb1EES1B_IbLb0EEEEDaS17_S18_EUlS17_E_NS1_11comp_targetILNS1_3genE8ELNS1_11target_archE1030ELNS1_3gpuE2ELNS1_3repE0EEENS1_30default_config_static_selectorELNS0_4arch9wavefront6targetE0EEEvT1_
    .private_segment_fixed_size: 0
    .sgpr_count:     0
    .sgpr_spill_count: 0
    .symbol:         _ZN7rocprim17ROCPRIM_400000_NS6detail17trampoline_kernelINS0_14default_configENS1_25partition_config_selectorILNS1_17partition_subalgoE8ElNS0_10empty_typeEbEEZZNS1_14partition_implILS5_8ELb0ES3_jPlPS6_PKS6_NS0_5tupleIJS9_S6_EEENSD_IJSA_SA_EEENS0_18inequality_wrapperIZN2at6native12_GLOBAL__N_124unique_dim_cuda_templateIiEESt5tupleIJNSH_6TensorESM_SM_EERKSM_lbbbEUlllE0_EEPmJS6_EEE10hipError_tPvRmT3_T4_T5_T6_T7_T9_mT8_P12ihipStream_tbDpT10_ENKUlT_T0_E_clISt17integral_constantIbLb1EES1B_IbLb0EEEEDaS17_S18_EUlS17_E_NS1_11comp_targetILNS1_3genE8ELNS1_11target_archE1030ELNS1_3gpuE2ELNS1_3repE0EEENS1_30default_config_static_selectorELNS0_4arch9wavefront6targetE0EEEvT1_.kd
    .uniform_work_group_size: 1
    .uses_dynamic_stack: false
    .vgpr_count:     0
    .vgpr_spill_count: 0
    .wavefront_size: 32
  - .args:
      - .offset:         0
        .size:           136
        .value_kind:     by_value
    .group_segment_fixed_size: 28680
    .kernarg_segment_align: 8
    .kernarg_segment_size: 136
    .language:       OpenCL C
    .language_version:
      - 2
      - 0
    .max_flat_workgroup_size: 512
    .name:           _ZN7rocprim17ROCPRIM_400000_NS6detail17trampoline_kernelINS0_14default_configENS1_25partition_config_selectorILNS1_17partition_subalgoE8ElNS0_10empty_typeEbEEZZNS1_14partition_implILS5_8ELb0ES3_jPlPS6_PKS6_NS0_5tupleIJS9_S6_EEENSD_IJSA_SA_EEENS0_18inequality_wrapperIZN2at6native12_GLOBAL__N_124unique_dim_cuda_templateIiEESt5tupleIJNSH_6TensorESM_SM_EERKSM_lbbbEUlllE0_EEPmJS6_EEE10hipError_tPvRmT3_T4_T5_T6_T7_T9_mT8_P12ihipStream_tbDpT10_ENKUlT_T0_E_clISt17integral_constantIbLb0EES1B_IbLb1EEEEDaS17_S18_EUlS17_E_NS1_11comp_targetILNS1_3genE0ELNS1_11target_archE4294967295ELNS1_3gpuE0ELNS1_3repE0EEENS1_30default_config_static_selectorELNS0_4arch9wavefront6targetE0EEEvT1_
    .private_segment_fixed_size: 0
    .sgpr_count:     38
    .sgpr_spill_count: 0
    .symbol:         _ZN7rocprim17ROCPRIM_400000_NS6detail17trampoline_kernelINS0_14default_configENS1_25partition_config_selectorILNS1_17partition_subalgoE8ElNS0_10empty_typeEbEEZZNS1_14partition_implILS5_8ELb0ES3_jPlPS6_PKS6_NS0_5tupleIJS9_S6_EEENSD_IJSA_SA_EEENS0_18inequality_wrapperIZN2at6native12_GLOBAL__N_124unique_dim_cuda_templateIiEESt5tupleIJNSH_6TensorESM_SM_EERKSM_lbbbEUlllE0_EEPmJS6_EEE10hipError_tPvRmT3_T4_T5_T6_T7_T9_mT8_P12ihipStream_tbDpT10_ENKUlT_T0_E_clISt17integral_constantIbLb0EES1B_IbLb1EEEEDaS17_S18_EUlS17_E_NS1_11comp_targetILNS1_3genE0ELNS1_11target_archE4294967295ELNS1_3gpuE0ELNS1_3repE0EEENS1_30default_config_static_selectorELNS0_4arch9wavefront6targetE0EEEvT1_.kd
    .uniform_work_group_size: 1
    .uses_dynamic_stack: false
    .vgpr_count:     53
    .vgpr_spill_count: 0
    .wavefront_size: 32
  - .args:
      - .offset:         0
        .size:           136
        .value_kind:     by_value
    .group_segment_fixed_size: 0
    .kernarg_segment_align: 8
    .kernarg_segment_size: 136
    .language:       OpenCL C
    .language_version:
      - 2
      - 0
    .max_flat_workgroup_size: 512
    .name:           _ZN7rocprim17ROCPRIM_400000_NS6detail17trampoline_kernelINS0_14default_configENS1_25partition_config_selectorILNS1_17partition_subalgoE8ElNS0_10empty_typeEbEEZZNS1_14partition_implILS5_8ELb0ES3_jPlPS6_PKS6_NS0_5tupleIJS9_S6_EEENSD_IJSA_SA_EEENS0_18inequality_wrapperIZN2at6native12_GLOBAL__N_124unique_dim_cuda_templateIiEESt5tupleIJNSH_6TensorESM_SM_EERKSM_lbbbEUlllE0_EEPmJS6_EEE10hipError_tPvRmT3_T4_T5_T6_T7_T9_mT8_P12ihipStream_tbDpT10_ENKUlT_T0_E_clISt17integral_constantIbLb0EES1B_IbLb1EEEEDaS17_S18_EUlS17_E_NS1_11comp_targetILNS1_3genE5ELNS1_11target_archE942ELNS1_3gpuE9ELNS1_3repE0EEENS1_30default_config_static_selectorELNS0_4arch9wavefront6targetE0EEEvT1_
    .private_segment_fixed_size: 0
    .sgpr_count:     0
    .sgpr_spill_count: 0
    .symbol:         _ZN7rocprim17ROCPRIM_400000_NS6detail17trampoline_kernelINS0_14default_configENS1_25partition_config_selectorILNS1_17partition_subalgoE8ElNS0_10empty_typeEbEEZZNS1_14partition_implILS5_8ELb0ES3_jPlPS6_PKS6_NS0_5tupleIJS9_S6_EEENSD_IJSA_SA_EEENS0_18inequality_wrapperIZN2at6native12_GLOBAL__N_124unique_dim_cuda_templateIiEESt5tupleIJNSH_6TensorESM_SM_EERKSM_lbbbEUlllE0_EEPmJS6_EEE10hipError_tPvRmT3_T4_T5_T6_T7_T9_mT8_P12ihipStream_tbDpT10_ENKUlT_T0_E_clISt17integral_constantIbLb0EES1B_IbLb1EEEEDaS17_S18_EUlS17_E_NS1_11comp_targetILNS1_3genE5ELNS1_11target_archE942ELNS1_3gpuE9ELNS1_3repE0EEENS1_30default_config_static_selectorELNS0_4arch9wavefront6targetE0EEEvT1_.kd
    .uniform_work_group_size: 1
    .uses_dynamic_stack: false
    .vgpr_count:     0
    .vgpr_spill_count: 0
    .wavefront_size: 32
  - .args:
      - .offset:         0
        .size:           136
        .value_kind:     by_value
    .group_segment_fixed_size: 0
    .kernarg_segment_align: 8
    .kernarg_segment_size: 136
    .language:       OpenCL C
    .language_version:
      - 2
      - 0
    .max_flat_workgroup_size: 256
    .name:           _ZN7rocprim17ROCPRIM_400000_NS6detail17trampoline_kernelINS0_14default_configENS1_25partition_config_selectorILNS1_17partition_subalgoE8ElNS0_10empty_typeEbEEZZNS1_14partition_implILS5_8ELb0ES3_jPlPS6_PKS6_NS0_5tupleIJS9_S6_EEENSD_IJSA_SA_EEENS0_18inequality_wrapperIZN2at6native12_GLOBAL__N_124unique_dim_cuda_templateIiEESt5tupleIJNSH_6TensorESM_SM_EERKSM_lbbbEUlllE0_EEPmJS6_EEE10hipError_tPvRmT3_T4_T5_T6_T7_T9_mT8_P12ihipStream_tbDpT10_ENKUlT_T0_E_clISt17integral_constantIbLb0EES1B_IbLb1EEEEDaS17_S18_EUlS17_E_NS1_11comp_targetILNS1_3genE4ELNS1_11target_archE910ELNS1_3gpuE8ELNS1_3repE0EEENS1_30default_config_static_selectorELNS0_4arch9wavefront6targetE0EEEvT1_
    .private_segment_fixed_size: 0
    .sgpr_count:     0
    .sgpr_spill_count: 0
    .symbol:         _ZN7rocprim17ROCPRIM_400000_NS6detail17trampoline_kernelINS0_14default_configENS1_25partition_config_selectorILNS1_17partition_subalgoE8ElNS0_10empty_typeEbEEZZNS1_14partition_implILS5_8ELb0ES3_jPlPS6_PKS6_NS0_5tupleIJS9_S6_EEENSD_IJSA_SA_EEENS0_18inequality_wrapperIZN2at6native12_GLOBAL__N_124unique_dim_cuda_templateIiEESt5tupleIJNSH_6TensorESM_SM_EERKSM_lbbbEUlllE0_EEPmJS6_EEE10hipError_tPvRmT3_T4_T5_T6_T7_T9_mT8_P12ihipStream_tbDpT10_ENKUlT_T0_E_clISt17integral_constantIbLb0EES1B_IbLb1EEEEDaS17_S18_EUlS17_E_NS1_11comp_targetILNS1_3genE4ELNS1_11target_archE910ELNS1_3gpuE8ELNS1_3repE0EEENS1_30default_config_static_selectorELNS0_4arch9wavefront6targetE0EEEvT1_.kd
    .uniform_work_group_size: 1
    .uses_dynamic_stack: false
    .vgpr_count:     0
    .vgpr_spill_count: 0
    .wavefront_size: 32
  - .args:
      - .offset:         0
        .size:           136
        .value_kind:     by_value
    .group_segment_fixed_size: 0
    .kernarg_segment_align: 8
    .kernarg_segment_size: 136
    .language:       OpenCL C
    .language_version:
      - 2
      - 0
    .max_flat_workgroup_size: 512
    .name:           _ZN7rocprim17ROCPRIM_400000_NS6detail17trampoline_kernelINS0_14default_configENS1_25partition_config_selectorILNS1_17partition_subalgoE8ElNS0_10empty_typeEbEEZZNS1_14partition_implILS5_8ELb0ES3_jPlPS6_PKS6_NS0_5tupleIJS9_S6_EEENSD_IJSA_SA_EEENS0_18inequality_wrapperIZN2at6native12_GLOBAL__N_124unique_dim_cuda_templateIiEESt5tupleIJNSH_6TensorESM_SM_EERKSM_lbbbEUlllE0_EEPmJS6_EEE10hipError_tPvRmT3_T4_T5_T6_T7_T9_mT8_P12ihipStream_tbDpT10_ENKUlT_T0_E_clISt17integral_constantIbLb0EES1B_IbLb1EEEEDaS17_S18_EUlS17_E_NS1_11comp_targetILNS1_3genE3ELNS1_11target_archE908ELNS1_3gpuE7ELNS1_3repE0EEENS1_30default_config_static_selectorELNS0_4arch9wavefront6targetE0EEEvT1_
    .private_segment_fixed_size: 0
    .sgpr_count:     0
    .sgpr_spill_count: 0
    .symbol:         _ZN7rocprim17ROCPRIM_400000_NS6detail17trampoline_kernelINS0_14default_configENS1_25partition_config_selectorILNS1_17partition_subalgoE8ElNS0_10empty_typeEbEEZZNS1_14partition_implILS5_8ELb0ES3_jPlPS6_PKS6_NS0_5tupleIJS9_S6_EEENSD_IJSA_SA_EEENS0_18inequality_wrapperIZN2at6native12_GLOBAL__N_124unique_dim_cuda_templateIiEESt5tupleIJNSH_6TensorESM_SM_EERKSM_lbbbEUlllE0_EEPmJS6_EEE10hipError_tPvRmT3_T4_T5_T6_T7_T9_mT8_P12ihipStream_tbDpT10_ENKUlT_T0_E_clISt17integral_constantIbLb0EES1B_IbLb1EEEEDaS17_S18_EUlS17_E_NS1_11comp_targetILNS1_3genE3ELNS1_11target_archE908ELNS1_3gpuE7ELNS1_3repE0EEENS1_30default_config_static_selectorELNS0_4arch9wavefront6targetE0EEEvT1_.kd
    .uniform_work_group_size: 1
    .uses_dynamic_stack: false
    .vgpr_count:     0
    .vgpr_spill_count: 0
    .wavefront_size: 32
  - .args:
      - .offset:         0
        .size:           136
        .value_kind:     by_value
    .group_segment_fixed_size: 0
    .kernarg_segment_align: 8
    .kernarg_segment_size: 136
    .language:       OpenCL C
    .language_version:
      - 2
      - 0
    .max_flat_workgroup_size: 256
    .name:           _ZN7rocprim17ROCPRIM_400000_NS6detail17trampoline_kernelINS0_14default_configENS1_25partition_config_selectorILNS1_17partition_subalgoE8ElNS0_10empty_typeEbEEZZNS1_14partition_implILS5_8ELb0ES3_jPlPS6_PKS6_NS0_5tupleIJS9_S6_EEENSD_IJSA_SA_EEENS0_18inequality_wrapperIZN2at6native12_GLOBAL__N_124unique_dim_cuda_templateIiEESt5tupleIJNSH_6TensorESM_SM_EERKSM_lbbbEUlllE0_EEPmJS6_EEE10hipError_tPvRmT3_T4_T5_T6_T7_T9_mT8_P12ihipStream_tbDpT10_ENKUlT_T0_E_clISt17integral_constantIbLb0EES1B_IbLb1EEEEDaS17_S18_EUlS17_E_NS1_11comp_targetILNS1_3genE2ELNS1_11target_archE906ELNS1_3gpuE6ELNS1_3repE0EEENS1_30default_config_static_selectorELNS0_4arch9wavefront6targetE0EEEvT1_
    .private_segment_fixed_size: 0
    .sgpr_count:     0
    .sgpr_spill_count: 0
    .symbol:         _ZN7rocprim17ROCPRIM_400000_NS6detail17trampoline_kernelINS0_14default_configENS1_25partition_config_selectorILNS1_17partition_subalgoE8ElNS0_10empty_typeEbEEZZNS1_14partition_implILS5_8ELb0ES3_jPlPS6_PKS6_NS0_5tupleIJS9_S6_EEENSD_IJSA_SA_EEENS0_18inequality_wrapperIZN2at6native12_GLOBAL__N_124unique_dim_cuda_templateIiEESt5tupleIJNSH_6TensorESM_SM_EERKSM_lbbbEUlllE0_EEPmJS6_EEE10hipError_tPvRmT3_T4_T5_T6_T7_T9_mT8_P12ihipStream_tbDpT10_ENKUlT_T0_E_clISt17integral_constantIbLb0EES1B_IbLb1EEEEDaS17_S18_EUlS17_E_NS1_11comp_targetILNS1_3genE2ELNS1_11target_archE906ELNS1_3gpuE6ELNS1_3repE0EEENS1_30default_config_static_selectorELNS0_4arch9wavefront6targetE0EEEvT1_.kd
    .uniform_work_group_size: 1
    .uses_dynamic_stack: false
    .vgpr_count:     0
    .vgpr_spill_count: 0
    .wavefront_size: 32
  - .args:
      - .offset:         0
        .size:           136
        .value_kind:     by_value
    .group_segment_fixed_size: 0
    .kernarg_segment_align: 8
    .kernarg_segment_size: 136
    .language:       OpenCL C
    .language_version:
      - 2
      - 0
    .max_flat_workgroup_size: 384
    .name:           _ZN7rocprim17ROCPRIM_400000_NS6detail17trampoline_kernelINS0_14default_configENS1_25partition_config_selectorILNS1_17partition_subalgoE8ElNS0_10empty_typeEbEEZZNS1_14partition_implILS5_8ELb0ES3_jPlPS6_PKS6_NS0_5tupleIJS9_S6_EEENSD_IJSA_SA_EEENS0_18inequality_wrapperIZN2at6native12_GLOBAL__N_124unique_dim_cuda_templateIiEESt5tupleIJNSH_6TensorESM_SM_EERKSM_lbbbEUlllE0_EEPmJS6_EEE10hipError_tPvRmT3_T4_T5_T6_T7_T9_mT8_P12ihipStream_tbDpT10_ENKUlT_T0_E_clISt17integral_constantIbLb0EES1B_IbLb1EEEEDaS17_S18_EUlS17_E_NS1_11comp_targetILNS1_3genE10ELNS1_11target_archE1200ELNS1_3gpuE4ELNS1_3repE0EEENS1_30default_config_static_selectorELNS0_4arch9wavefront6targetE0EEEvT1_
    .private_segment_fixed_size: 0
    .sgpr_count:     0
    .sgpr_spill_count: 0
    .symbol:         _ZN7rocprim17ROCPRIM_400000_NS6detail17trampoline_kernelINS0_14default_configENS1_25partition_config_selectorILNS1_17partition_subalgoE8ElNS0_10empty_typeEbEEZZNS1_14partition_implILS5_8ELb0ES3_jPlPS6_PKS6_NS0_5tupleIJS9_S6_EEENSD_IJSA_SA_EEENS0_18inequality_wrapperIZN2at6native12_GLOBAL__N_124unique_dim_cuda_templateIiEESt5tupleIJNSH_6TensorESM_SM_EERKSM_lbbbEUlllE0_EEPmJS6_EEE10hipError_tPvRmT3_T4_T5_T6_T7_T9_mT8_P12ihipStream_tbDpT10_ENKUlT_T0_E_clISt17integral_constantIbLb0EES1B_IbLb1EEEEDaS17_S18_EUlS17_E_NS1_11comp_targetILNS1_3genE10ELNS1_11target_archE1200ELNS1_3gpuE4ELNS1_3repE0EEENS1_30default_config_static_selectorELNS0_4arch9wavefront6targetE0EEEvT1_.kd
    .uniform_work_group_size: 1
    .uses_dynamic_stack: false
    .vgpr_count:     0
    .vgpr_spill_count: 0
    .wavefront_size: 32
  - .args:
      - .offset:         0
        .size:           136
        .value_kind:     by_value
    .group_segment_fixed_size: 0
    .kernarg_segment_align: 8
    .kernarg_segment_size: 136
    .language:       OpenCL C
    .language_version:
      - 2
      - 0
    .max_flat_workgroup_size: 512
    .name:           _ZN7rocprim17ROCPRIM_400000_NS6detail17trampoline_kernelINS0_14default_configENS1_25partition_config_selectorILNS1_17partition_subalgoE8ElNS0_10empty_typeEbEEZZNS1_14partition_implILS5_8ELb0ES3_jPlPS6_PKS6_NS0_5tupleIJS9_S6_EEENSD_IJSA_SA_EEENS0_18inequality_wrapperIZN2at6native12_GLOBAL__N_124unique_dim_cuda_templateIiEESt5tupleIJNSH_6TensorESM_SM_EERKSM_lbbbEUlllE0_EEPmJS6_EEE10hipError_tPvRmT3_T4_T5_T6_T7_T9_mT8_P12ihipStream_tbDpT10_ENKUlT_T0_E_clISt17integral_constantIbLb0EES1B_IbLb1EEEEDaS17_S18_EUlS17_E_NS1_11comp_targetILNS1_3genE9ELNS1_11target_archE1100ELNS1_3gpuE3ELNS1_3repE0EEENS1_30default_config_static_selectorELNS0_4arch9wavefront6targetE0EEEvT1_
    .private_segment_fixed_size: 0
    .sgpr_count:     0
    .sgpr_spill_count: 0
    .symbol:         _ZN7rocprim17ROCPRIM_400000_NS6detail17trampoline_kernelINS0_14default_configENS1_25partition_config_selectorILNS1_17partition_subalgoE8ElNS0_10empty_typeEbEEZZNS1_14partition_implILS5_8ELb0ES3_jPlPS6_PKS6_NS0_5tupleIJS9_S6_EEENSD_IJSA_SA_EEENS0_18inequality_wrapperIZN2at6native12_GLOBAL__N_124unique_dim_cuda_templateIiEESt5tupleIJNSH_6TensorESM_SM_EERKSM_lbbbEUlllE0_EEPmJS6_EEE10hipError_tPvRmT3_T4_T5_T6_T7_T9_mT8_P12ihipStream_tbDpT10_ENKUlT_T0_E_clISt17integral_constantIbLb0EES1B_IbLb1EEEEDaS17_S18_EUlS17_E_NS1_11comp_targetILNS1_3genE9ELNS1_11target_archE1100ELNS1_3gpuE3ELNS1_3repE0EEENS1_30default_config_static_selectorELNS0_4arch9wavefront6targetE0EEEvT1_.kd
    .uniform_work_group_size: 1
    .uses_dynamic_stack: false
    .vgpr_count:     0
    .vgpr_spill_count: 0
    .wavefront_size: 32
  - .args:
      - .offset:         0
        .size:           136
        .value_kind:     by_value
    .group_segment_fixed_size: 0
    .kernarg_segment_align: 8
    .kernarg_segment_size: 136
    .language:       OpenCL C
    .language_version:
      - 2
      - 0
    .max_flat_workgroup_size: 512
    .name:           _ZN7rocprim17ROCPRIM_400000_NS6detail17trampoline_kernelINS0_14default_configENS1_25partition_config_selectorILNS1_17partition_subalgoE8ElNS0_10empty_typeEbEEZZNS1_14partition_implILS5_8ELb0ES3_jPlPS6_PKS6_NS0_5tupleIJS9_S6_EEENSD_IJSA_SA_EEENS0_18inequality_wrapperIZN2at6native12_GLOBAL__N_124unique_dim_cuda_templateIiEESt5tupleIJNSH_6TensorESM_SM_EERKSM_lbbbEUlllE0_EEPmJS6_EEE10hipError_tPvRmT3_T4_T5_T6_T7_T9_mT8_P12ihipStream_tbDpT10_ENKUlT_T0_E_clISt17integral_constantIbLb0EES1B_IbLb1EEEEDaS17_S18_EUlS17_E_NS1_11comp_targetILNS1_3genE8ELNS1_11target_archE1030ELNS1_3gpuE2ELNS1_3repE0EEENS1_30default_config_static_selectorELNS0_4arch9wavefront6targetE0EEEvT1_
    .private_segment_fixed_size: 0
    .sgpr_count:     0
    .sgpr_spill_count: 0
    .symbol:         _ZN7rocprim17ROCPRIM_400000_NS6detail17trampoline_kernelINS0_14default_configENS1_25partition_config_selectorILNS1_17partition_subalgoE8ElNS0_10empty_typeEbEEZZNS1_14partition_implILS5_8ELb0ES3_jPlPS6_PKS6_NS0_5tupleIJS9_S6_EEENSD_IJSA_SA_EEENS0_18inequality_wrapperIZN2at6native12_GLOBAL__N_124unique_dim_cuda_templateIiEESt5tupleIJNSH_6TensorESM_SM_EERKSM_lbbbEUlllE0_EEPmJS6_EEE10hipError_tPvRmT3_T4_T5_T6_T7_T9_mT8_P12ihipStream_tbDpT10_ENKUlT_T0_E_clISt17integral_constantIbLb0EES1B_IbLb1EEEEDaS17_S18_EUlS17_E_NS1_11comp_targetILNS1_3genE8ELNS1_11target_archE1030ELNS1_3gpuE2ELNS1_3repE0EEENS1_30default_config_static_selectorELNS0_4arch9wavefront6targetE0EEEvT1_.kd
    .uniform_work_group_size: 1
    .uses_dynamic_stack: false
    .vgpr_count:     0
    .vgpr_spill_count: 0
    .wavefront_size: 32
  - .args:
      - .offset:         0
        .size:           120
        .value_kind:     by_value
    .group_segment_fixed_size: 5128
    .kernarg_segment_align: 8
    .kernarg_segment_size: 120
    .language:       OpenCL C
    .language_version:
      - 2
      - 0
    .max_flat_workgroup_size: 128
    .name:           _ZN7rocprim17ROCPRIM_400000_NS6detail17trampoline_kernelINS0_14default_configENS1_25partition_config_selectorILNS1_17partition_subalgoE9EllbEEZZNS1_14partition_implILS5_9ELb0ES3_jPlS8_PNS0_10empty_typeENS0_5tupleIJS8_S9_EEENSB_IJS8_SA_EEENS0_18inequality_wrapperIZN2at6native12_GLOBAL__N_124unique_dim_cuda_templateIiEESt5tupleIJNSF_6TensorESK_SK_EERKSK_lbbbEUlllE0_EEPmJS9_EEE10hipError_tPvRmT3_T4_T5_T6_T7_T9_mT8_P12ihipStream_tbDpT10_ENKUlT_T0_E_clISt17integral_constantIbLb0EES1A_EEDaS15_S16_EUlS15_E_NS1_11comp_targetILNS1_3genE0ELNS1_11target_archE4294967295ELNS1_3gpuE0ELNS1_3repE0EEENS1_30default_config_static_selectorELNS0_4arch9wavefront6targetE0EEEvT1_
    .private_segment_fixed_size: 0
    .sgpr_count:     34
    .sgpr_spill_count: 0
    .symbol:         _ZN7rocprim17ROCPRIM_400000_NS6detail17trampoline_kernelINS0_14default_configENS1_25partition_config_selectorILNS1_17partition_subalgoE9EllbEEZZNS1_14partition_implILS5_9ELb0ES3_jPlS8_PNS0_10empty_typeENS0_5tupleIJS8_S9_EEENSB_IJS8_SA_EEENS0_18inequality_wrapperIZN2at6native12_GLOBAL__N_124unique_dim_cuda_templateIiEESt5tupleIJNSF_6TensorESK_SK_EERKSK_lbbbEUlllE0_EEPmJS9_EEE10hipError_tPvRmT3_T4_T5_T6_T7_T9_mT8_P12ihipStream_tbDpT10_ENKUlT_T0_E_clISt17integral_constantIbLb0EES1A_EEDaS15_S16_EUlS15_E_NS1_11comp_targetILNS1_3genE0ELNS1_11target_archE4294967295ELNS1_3gpuE0ELNS1_3repE0EEENS1_30default_config_static_selectorELNS0_4arch9wavefront6targetE0EEEvT1_.kd
    .uniform_work_group_size: 1
    .uses_dynamic_stack: false
    .vgpr_count:     56
    .vgpr_spill_count: 0
    .wavefront_size: 32
  - .args:
      - .offset:         0
        .size:           120
        .value_kind:     by_value
    .group_segment_fixed_size: 0
    .kernarg_segment_align: 8
    .kernarg_segment_size: 120
    .language:       OpenCL C
    .language_version:
      - 2
      - 0
    .max_flat_workgroup_size: 512
    .name:           _ZN7rocprim17ROCPRIM_400000_NS6detail17trampoline_kernelINS0_14default_configENS1_25partition_config_selectorILNS1_17partition_subalgoE9EllbEEZZNS1_14partition_implILS5_9ELb0ES3_jPlS8_PNS0_10empty_typeENS0_5tupleIJS8_S9_EEENSB_IJS8_SA_EEENS0_18inequality_wrapperIZN2at6native12_GLOBAL__N_124unique_dim_cuda_templateIiEESt5tupleIJNSF_6TensorESK_SK_EERKSK_lbbbEUlllE0_EEPmJS9_EEE10hipError_tPvRmT3_T4_T5_T6_T7_T9_mT8_P12ihipStream_tbDpT10_ENKUlT_T0_E_clISt17integral_constantIbLb0EES1A_EEDaS15_S16_EUlS15_E_NS1_11comp_targetILNS1_3genE5ELNS1_11target_archE942ELNS1_3gpuE9ELNS1_3repE0EEENS1_30default_config_static_selectorELNS0_4arch9wavefront6targetE0EEEvT1_
    .private_segment_fixed_size: 0
    .sgpr_count:     0
    .sgpr_spill_count: 0
    .symbol:         _ZN7rocprim17ROCPRIM_400000_NS6detail17trampoline_kernelINS0_14default_configENS1_25partition_config_selectorILNS1_17partition_subalgoE9EllbEEZZNS1_14partition_implILS5_9ELb0ES3_jPlS8_PNS0_10empty_typeENS0_5tupleIJS8_S9_EEENSB_IJS8_SA_EEENS0_18inequality_wrapperIZN2at6native12_GLOBAL__N_124unique_dim_cuda_templateIiEESt5tupleIJNSF_6TensorESK_SK_EERKSK_lbbbEUlllE0_EEPmJS9_EEE10hipError_tPvRmT3_T4_T5_T6_T7_T9_mT8_P12ihipStream_tbDpT10_ENKUlT_T0_E_clISt17integral_constantIbLb0EES1A_EEDaS15_S16_EUlS15_E_NS1_11comp_targetILNS1_3genE5ELNS1_11target_archE942ELNS1_3gpuE9ELNS1_3repE0EEENS1_30default_config_static_selectorELNS0_4arch9wavefront6targetE0EEEvT1_.kd
    .uniform_work_group_size: 1
    .uses_dynamic_stack: false
    .vgpr_count:     0
    .vgpr_spill_count: 0
    .wavefront_size: 32
  - .args:
      - .offset:         0
        .size:           120
        .value_kind:     by_value
    .group_segment_fixed_size: 0
    .kernarg_segment_align: 8
    .kernarg_segment_size: 120
    .language:       OpenCL C
    .language_version:
      - 2
      - 0
    .max_flat_workgroup_size: 128
    .name:           _ZN7rocprim17ROCPRIM_400000_NS6detail17trampoline_kernelINS0_14default_configENS1_25partition_config_selectorILNS1_17partition_subalgoE9EllbEEZZNS1_14partition_implILS5_9ELb0ES3_jPlS8_PNS0_10empty_typeENS0_5tupleIJS8_S9_EEENSB_IJS8_SA_EEENS0_18inequality_wrapperIZN2at6native12_GLOBAL__N_124unique_dim_cuda_templateIiEESt5tupleIJNSF_6TensorESK_SK_EERKSK_lbbbEUlllE0_EEPmJS9_EEE10hipError_tPvRmT3_T4_T5_T6_T7_T9_mT8_P12ihipStream_tbDpT10_ENKUlT_T0_E_clISt17integral_constantIbLb0EES1A_EEDaS15_S16_EUlS15_E_NS1_11comp_targetILNS1_3genE4ELNS1_11target_archE910ELNS1_3gpuE8ELNS1_3repE0EEENS1_30default_config_static_selectorELNS0_4arch9wavefront6targetE0EEEvT1_
    .private_segment_fixed_size: 0
    .sgpr_count:     0
    .sgpr_spill_count: 0
    .symbol:         _ZN7rocprim17ROCPRIM_400000_NS6detail17trampoline_kernelINS0_14default_configENS1_25partition_config_selectorILNS1_17partition_subalgoE9EllbEEZZNS1_14partition_implILS5_9ELb0ES3_jPlS8_PNS0_10empty_typeENS0_5tupleIJS8_S9_EEENSB_IJS8_SA_EEENS0_18inequality_wrapperIZN2at6native12_GLOBAL__N_124unique_dim_cuda_templateIiEESt5tupleIJNSF_6TensorESK_SK_EERKSK_lbbbEUlllE0_EEPmJS9_EEE10hipError_tPvRmT3_T4_T5_T6_T7_T9_mT8_P12ihipStream_tbDpT10_ENKUlT_T0_E_clISt17integral_constantIbLb0EES1A_EEDaS15_S16_EUlS15_E_NS1_11comp_targetILNS1_3genE4ELNS1_11target_archE910ELNS1_3gpuE8ELNS1_3repE0EEENS1_30default_config_static_selectorELNS0_4arch9wavefront6targetE0EEEvT1_.kd
    .uniform_work_group_size: 1
    .uses_dynamic_stack: false
    .vgpr_count:     0
    .vgpr_spill_count: 0
    .wavefront_size: 32
  - .args:
      - .offset:         0
        .size:           120
        .value_kind:     by_value
    .group_segment_fixed_size: 0
    .kernarg_segment_align: 8
    .kernarg_segment_size: 120
    .language:       OpenCL C
    .language_version:
      - 2
      - 0
    .max_flat_workgroup_size: 128
    .name:           _ZN7rocprim17ROCPRIM_400000_NS6detail17trampoline_kernelINS0_14default_configENS1_25partition_config_selectorILNS1_17partition_subalgoE9EllbEEZZNS1_14partition_implILS5_9ELb0ES3_jPlS8_PNS0_10empty_typeENS0_5tupleIJS8_S9_EEENSB_IJS8_SA_EEENS0_18inequality_wrapperIZN2at6native12_GLOBAL__N_124unique_dim_cuda_templateIiEESt5tupleIJNSF_6TensorESK_SK_EERKSK_lbbbEUlllE0_EEPmJS9_EEE10hipError_tPvRmT3_T4_T5_T6_T7_T9_mT8_P12ihipStream_tbDpT10_ENKUlT_T0_E_clISt17integral_constantIbLb0EES1A_EEDaS15_S16_EUlS15_E_NS1_11comp_targetILNS1_3genE3ELNS1_11target_archE908ELNS1_3gpuE7ELNS1_3repE0EEENS1_30default_config_static_selectorELNS0_4arch9wavefront6targetE0EEEvT1_
    .private_segment_fixed_size: 0
    .sgpr_count:     0
    .sgpr_spill_count: 0
    .symbol:         _ZN7rocprim17ROCPRIM_400000_NS6detail17trampoline_kernelINS0_14default_configENS1_25partition_config_selectorILNS1_17partition_subalgoE9EllbEEZZNS1_14partition_implILS5_9ELb0ES3_jPlS8_PNS0_10empty_typeENS0_5tupleIJS8_S9_EEENSB_IJS8_SA_EEENS0_18inequality_wrapperIZN2at6native12_GLOBAL__N_124unique_dim_cuda_templateIiEESt5tupleIJNSF_6TensorESK_SK_EERKSK_lbbbEUlllE0_EEPmJS9_EEE10hipError_tPvRmT3_T4_T5_T6_T7_T9_mT8_P12ihipStream_tbDpT10_ENKUlT_T0_E_clISt17integral_constantIbLb0EES1A_EEDaS15_S16_EUlS15_E_NS1_11comp_targetILNS1_3genE3ELNS1_11target_archE908ELNS1_3gpuE7ELNS1_3repE0EEENS1_30default_config_static_selectorELNS0_4arch9wavefront6targetE0EEEvT1_.kd
    .uniform_work_group_size: 1
    .uses_dynamic_stack: false
    .vgpr_count:     0
    .vgpr_spill_count: 0
    .wavefront_size: 32
  - .args:
      - .offset:         0
        .size:           120
        .value_kind:     by_value
    .group_segment_fixed_size: 0
    .kernarg_segment_align: 8
    .kernarg_segment_size: 120
    .language:       OpenCL C
    .language_version:
      - 2
      - 0
    .max_flat_workgroup_size: 192
    .name:           _ZN7rocprim17ROCPRIM_400000_NS6detail17trampoline_kernelINS0_14default_configENS1_25partition_config_selectorILNS1_17partition_subalgoE9EllbEEZZNS1_14partition_implILS5_9ELb0ES3_jPlS8_PNS0_10empty_typeENS0_5tupleIJS8_S9_EEENSB_IJS8_SA_EEENS0_18inequality_wrapperIZN2at6native12_GLOBAL__N_124unique_dim_cuda_templateIiEESt5tupleIJNSF_6TensorESK_SK_EERKSK_lbbbEUlllE0_EEPmJS9_EEE10hipError_tPvRmT3_T4_T5_T6_T7_T9_mT8_P12ihipStream_tbDpT10_ENKUlT_T0_E_clISt17integral_constantIbLb0EES1A_EEDaS15_S16_EUlS15_E_NS1_11comp_targetILNS1_3genE2ELNS1_11target_archE906ELNS1_3gpuE6ELNS1_3repE0EEENS1_30default_config_static_selectorELNS0_4arch9wavefront6targetE0EEEvT1_
    .private_segment_fixed_size: 0
    .sgpr_count:     0
    .sgpr_spill_count: 0
    .symbol:         _ZN7rocprim17ROCPRIM_400000_NS6detail17trampoline_kernelINS0_14default_configENS1_25partition_config_selectorILNS1_17partition_subalgoE9EllbEEZZNS1_14partition_implILS5_9ELb0ES3_jPlS8_PNS0_10empty_typeENS0_5tupleIJS8_S9_EEENSB_IJS8_SA_EEENS0_18inequality_wrapperIZN2at6native12_GLOBAL__N_124unique_dim_cuda_templateIiEESt5tupleIJNSF_6TensorESK_SK_EERKSK_lbbbEUlllE0_EEPmJS9_EEE10hipError_tPvRmT3_T4_T5_T6_T7_T9_mT8_P12ihipStream_tbDpT10_ENKUlT_T0_E_clISt17integral_constantIbLb0EES1A_EEDaS15_S16_EUlS15_E_NS1_11comp_targetILNS1_3genE2ELNS1_11target_archE906ELNS1_3gpuE6ELNS1_3repE0EEENS1_30default_config_static_selectorELNS0_4arch9wavefront6targetE0EEEvT1_.kd
    .uniform_work_group_size: 1
    .uses_dynamic_stack: false
    .vgpr_count:     0
    .vgpr_spill_count: 0
    .wavefront_size: 32
  - .args:
      - .offset:         0
        .size:           120
        .value_kind:     by_value
    .group_segment_fixed_size: 0
    .kernarg_segment_align: 8
    .kernarg_segment_size: 120
    .language:       OpenCL C
    .language_version:
      - 2
      - 0
    .max_flat_workgroup_size: 384
    .name:           _ZN7rocprim17ROCPRIM_400000_NS6detail17trampoline_kernelINS0_14default_configENS1_25partition_config_selectorILNS1_17partition_subalgoE9EllbEEZZNS1_14partition_implILS5_9ELb0ES3_jPlS8_PNS0_10empty_typeENS0_5tupleIJS8_S9_EEENSB_IJS8_SA_EEENS0_18inequality_wrapperIZN2at6native12_GLOBAL__N_124unique_dim_cuda_templateIiEESt5tupleIJNSF_6TensorESK_SK_EERKSK_lbbbEUlllE0_EEPmJS9_EEE10hipError_tPvRmT3_T4_T5_T6_T7_T9_mT8_P12ihipStream_tbDpT10_ENKUlT_T0_E_clISt17integral_constantIbLb0EES1A_EEDaS15_S16_EUlS15_E_NS1_11comp_targetILNS1_3genE10ELNS1_11target_archE1200ELNS1_3gpuE4ELNS1_3repE0EEENS1_30default_config_static_selectorELNS0_4arch9wavefront6targetE0EEEvT1_
    .private_segment_fixed_size: 0
    .sgpr_count:     0
    .sgpr_spill_count: 0
    .symbol:         _ZN7rocprim17ROCPRIM_400000_NS6detail17trampoline_kernelINS0_14default_configENS1_25partition_config_selectorILNS1_17partition_subalgoE9EllbEEZZNS1_14partition_implILS5_9ELb0ES3_jPlS8_PNS0_10empty_typeENS0_5tupleIJS8_S9_EEENSB_IJS8_SA_EEENS0_18inequality_wrapperIZN2at6native12_GLOBAL__N_124unique_dim_cuda_templateIiEESt5tupleIJNSF_6TensorESK_SK_EERKSK_lbbbEUlllE0_EEPmJS9_EEE10hipError_tPvRmT3_T4_T5_T6_T7_T9_mT8_P12ihipStream_tbDpT10_ENKUlT_T0_E_clISt17integral_constantIbLb0EES1A_EEDaS15_S16_EUlS15_E_NS1_11comp_targetILNS1_3genE10ELNS1_11target_archE1200ELNS1_3gpuE4ELNS1_3repE0EEENS1_30default_config_static_selectorELNS0_4arch9wavefront6targetE0EEEvT1_.kd
    .uniform_work_group_size: 1
    .uses_dynamic_stack: false
    .vgpr_count:     0
    .vgpr_spill_count: 0
    .wavefront_size: 32
  - .args:
      - .offset:         0
        .size:           120
        .value_kind:     by_value
    .group_segment_fixed_size: 0
    .kernarg_segment_align: 8
    .kernarg_segment_size: 120
    .language:       OpenCL C
    .language_version:
      - 2
      - 0
    .max_flat_workgroup_size: 512
    .name:           _ZN7rocprim17ROCPRIM_400000_NS6detail17trampoline_kernelINS0_14default_configENS1_25partition_config_selectorILNS1_17partition_subalgoE9EllbEEZZNS1_14partition_implILS5_9ELb0ES3_jPlS8_PNS0_10empty_typeENS0_5tupleIJS8_S9_EEENSB_IJS8_SA_EEENS0_18inequality_wrapperIZN2at6native12_GLOBAL__N_124unique_dim_cuda_templateIiEESt5tupleIJNSF_6TensorESK_SK_EERKSK_lbbbEUlllE0_EEPmJS9_EEE10hipError_tPvRmT3_T4_T5_T6_T7_T9_mT8_P12ihipStream_tbDpT10_ENKUlT_T0_E_clISt17integral_constantIbLb0EES1A_EEDaS15_S16_EUlS15_E_NS1_11comp_targetILNS1_3genE9ELNS1_11target_archE1100ELNS1_3gpuE3ELNS1_3repE0EEENS1_30default_config_static_selectorELNS0_4arch9wavefront6targetE0EEEvT1_
    .private_segment_fixed_size: 0
    .sgpr_count:     0
    .sgpr_spill_count: 0
    .symbol:         _ZN7rocprim17ROCPRIM_400000_NS6detail17trampoline_kernelINS0_14default_configENS1_25partition_config_selectorILNS1_17partition_subalgoE9EllbEEZZNS1_14partition_implILS5_9ELb0ES3_jPlS8_PNS0_10empty_typeENS0_5tupleIJS8_S9_EEENSB_IJS8_SA_EEENS0_18inequality_wrapperIZN2at6native12_GLOBAL__N_124unique_dim_cuda_templateIiEESt5tupleIJNSF_6TensorESK_SK_EERKSK_lbbbEUlllE0_EEPmJS9_EEE10hipError_tPvRmT3_T4_T5_T6_T7_T9_mT8_P12ihipStream_tbDpT10_ENKUlT_T0_E_clISt17integral_constantIbLb0EES1A_EEDaS15_S16_EUlS15_E_NS1_11comp_targetILNS1_3genE9ELNS1_11target_archE1100ELNS1_3gpuE3ELNS1_3repE0EEENS1_30default_config_static_selectorELNS0_4arch9wavefront6targetE0EEEvT1_.kd
    .uniform_work_group_size: 1
    .uses_dynamic_stack: false
    .vgpr_count:     0
    .vgpr_spill_count: 0
    .wavefront_size: 32
  - .args:
      - .offset:         0
        .size:           120
        .value_kind:     by_value
    .group_segment_fixed_size: 0
    .kernarg_segment_align: 8
    .kernarg_segment_size: 120
    .language:       OpenCL C
    .language_version:
      - 2
      - 0
    .max_flat_workgroup_size: 512
    .name:           _ZN7rocprim17ROCPRIM_400000_NS6detail17trampoline_kernelINS0_14default_configENS1_25partition_config_selectorILNS1_17partition_subalgoE9EllbEEZZNS1_14partition_implILS5_9ELb0ES3_jPlS8_PNS0_10empty_typeENS0_5tupleIJS8_S9_EEENSB_IJS8_SA_EEENS0_18inequality_wrapperIZN2at6native12_GLOBAL__N_124unique_dim_cuda_templateIiEESt5tupleIJNSF_6TensorESK_SK_EERKSK_lbbbEUlllE0_EEPmJS9_EEE10hipError_tPvRmT3_T4_T5_T6_T7_T9_mT8_P12ihipStream_tbDpT10_ENKUlT_T0_E_clISt17integral_constantIbLb0EES1A_EEDaS15_S16_EUlS15_E_NS1_11comp_targetILNS1_3genE8ELNS1_11target_archE1030ELNS1_3gpuE2ELNS1_3repE0EEENS1_30default_config_static_selectorELNS0_4arch9wavefront6targetE0EEEvT1_
    .private_segment_fixed_size: 0
    .sgpr_count:     0
    .sgpr_spill_count: 0
    .symbol:         _ZN7rocprim17ROCPRIM_400000_NS6detail17trampoline_kernelINS0_14default_configENS1_25partition_config_selectorILNS1_17partition_subalgoE9EllbEEZZNS1_14partition_implILS5_9ELb0ES3_jPlS8_PNS0_10empty_typeENS0_5tupleIJS8_S9_EEENSB_IJS8_SA_EEENS0_18inequality_wrapperIZN2at6native12_GLOBAL__N_124unique_dim_cuda_templateIiEESt5tupleIJNSF_6TensorESK_SK_EERKSK_lbbbEUlllE0_EEPmJS9_EEE10hipError_tPvRmT3_T4_T5_T6_T7_T9_mT8_P12ihipStream_tbDpT10_ENKUlT_T0_E_clISt17integral_constantIbLb0EES1A_EEDaS15_S16_EUlS15_E_NS1_11comp_targetILNS1_3genE8ELNS1_11target_archE1030ELNS1_3gpuE2ELNS1_3repE0EEENS1_30default_config_static_selectorELNS0_4arch9wavefront6targetE0EEEvT1_.kd
    .uniform_work_group_size: 1
    .uses_dynamic_stack: false
    .vgpr_count:     0
    .vgpr_spill_count: 0
    .wavefront_size: 32
  - .args:
      - .offset:         0
        .size:           136
        .value_kind:     by_value
    .group_segment_fixed_size: 0
    .kernarg_segment_align: 8
    .kernarg_segment_size: 136
    .language:       OpenCL C
    .language_version:
      - 2
      - 0
    .max_flat_workgroup_size: 128
    .name:           _ZN7rocprim17ROCPRIM_400000_NS6detail17trampoline_kernelINS0_14default_configENS1_25partition_config_selectorILNS1_17partition_subalgoE9EllbEEZZNS1_14partition_implILS5_9ELb0ES3_jPlS8_PNS0_10empty_typeENS0_5tupleIJS8_S9_EEENSB_IJS8_SA_EEENS0_18inequality_wrapperIZN2at6native12_GLOBAL__N_124unique_dim_cuda_templateIiEESt5tupleIJNSF_6TensorESK_SK_EERKSK_lbbbEUlllE0_EEPmJS9_EEE10hipError_tPvRmT3_T4_T5_T6_T7_T9_mT8_P12ihipStream_tbDpT10_ENKUlT_T0_E_clISt17integral_constantIbLb1EES1A_EEDaS15_S16_EUlS15_E_NS1_11comp_targetILNS1_3genE0ELNS1_11target_archE4294967295ELNS1_3gpuE0ELNS1_3repE0EEENS1_30default_config_static_selectorELNS0_4arch9wavefront6targetE0EEEvT1_
    .private_segment_fixed_size: 0
    .sgpr_count:     0
    .sgpr_spill_count: 0
    .symbol:         _ZN7rocprim17ROCPRIM_400000_NS6detail17trampoline_kernelINS0_14default_configENS1_25partition_config_selectorILNS1_17partition_subalgoE9EllbEEZZNS1_14partition_implILS5_9ELb0ES3_jPlS8_PNS0_10empty_typeENS0_5tupleIJS8_S9_EEENSB_IJS8_SA_EEENS0_18inequality_wrapperIZN2at6native12_GLOBAL__N_124unique_dim_cuda_templateIiEESt5tupleIJNSF_6TensorESK_SK_EERKSK_lbbbEUlllE0_EEPmJS9_EEE10hipError_tPvRmT3_T4_T5_T6_T7_T9_mT8_P12ihipStream_tbDpT10_ENKUlT_T0_E_clISt17integral_constantIbLb1EES1A_EEDaS15_S16_EUlS15_E_NS1_11comp_targetILNS1_3genE0ELNS1_11target_archE4294967295ELNS1_3gpuE0ELNS1_3repE0EEENS1_30default_config_static_selectorELNS0_4arch9wavefront6targetE0EEEvT1_.kd
    .uniform_work_group_size: 1
    .uses_dynamic_stack: false
    .vgpr_count:     0
    .vgpr_spill_count: 0
    .wavefront_size: 32
  - .args:
      - .offset:         0
        .size:           136
        .value_kind:     by_value
    .group_segment_fixed_size: 0
    .kernarg_segment_align: 8
    .kernarg_segment_size: 136
    .language:       OpenCL C
    .language_version:
      - 2
      - 0
    .max_flat_workgroup_size: 512
    .name:           _ZN7rocprim17ROCPRIM_400000_NS6detail17trampoline_kernelINS0_14default_configENS1_25partition_config_selectorILNS1_17partition_subalgoE9EllbEEZZNS1_14partition_implILS5_9ELb0ES3_jPlS8_PNS0_10empty_typeENS0_5tupleIJS8_S9_EEENSB_IJS8_SA_EEENS0_18inequality_wrapperIZN2at6native12_GLOBAL__N_124unique_dim_cuda_templateIiEESt5tupleIJNSF_6TensorESK_SK_EERKSK_lbbbEUlllE0_EEPmJS9_EEE10hipError_tPvRmT3_T4_T5_T6_T7_T9_mT8_P12ihipStream_tbDpT10_ENKUlT_T0_E_clISt17integral_constantIbLb1EES1A_EEDaS15_S16_EUlS15_E_NS1_11comp_targetILNS1_3genE5ELNS1_11target_archE942ELNS1_3gpuE9ELNS1_3repE0EEENS1_30default_config_static_selectorELNS0_4arch9wavefront6targetE0EEEvT1_
    .private_segment_fixed_size: 0
    .sgpr_count:     0
    .sgpr_spill_count: 0
    .symbol:         _ZN7rocprim17ROCPRIM_400000_NS6detail17trampoline_kernelINS0_14default_configENS1_25partition_config_selectorILNS1_17partition_subalgoE9EllbEEZZNS1_14partition_implILS5_9ELb0ES3_jPlS8_PNS0_10empty_typeENS0_5tupleIJS8_S9_EEENSB_IJS8_SA_EEENS0_18inequality_wrapperIZN2at6native12_GLOBAL__N_124unique_dim_cuda_templateIiEESt5tupleIJNSF_6TensorESK_SK_EERKSK_lbbbEUlllE0_EEPmJS9_EEE10hipError_tPvRmT3_T4_T5_T6_T7_T9_mT8_P12ihipStream_tbDpT10_ENKUlT_T0_E_clISt17integral_constantIbLb1EES1A_EEDaS15_S16_EUlS15_E_NS1_11comp_targetILNS1_3genE5ELNS1_11target_archE942ELNS1_3gpuE9ELNS1_3repE0EEENS1_30default_config_static_selectorELNS0_4arch9wavefront6targetE0EEEvT1_.kd
    .uniform_work_group_size: 1
    .uses_dynamic_stack: false
    .vgpr_count:     0
    .vgpr_spill_count: 0
    .wavefront_size: 32
  - .args:
      - .offset:         0
        .size:           136
        .value_kind:     by_value
    .group_segment_fixed_size: 0
    .kernarg_segment_align: 8
    .kernarg_segment_size: 136
    .language:       OpenCL C
    .language_version:
      - 2
      - 0
    .max_flat_workgroup_size: 128
    .name:           _ZN7rocprim17ROCPRIM_400000_NS6detail17trampoline_kernelINS0_14default_configENS1_25partition_config_selectorILNS1_17partition_subalgoE9EllbEEZZNS1_14partition_implILS5_9ELb0ES3_jPlS8_PNS0_10empty_typeENS0_5tupleIJS8_S9_EEENSB_IJS8_SA_EEENS0_18inequality_wrapperIZN2at6native12_GLOBAL__N_124unique_dim_cuda_templateIiEESt5tupleIJNSF_6TensorESK_SK_EERKSK_lbbbEUlllE0_EEPmJS9_EEE10hipError_tPvRmT3_T4_T5_T6_T7_T9_mT8_P12ihipStream_tbDpT10_ENKUlT_T0_E_clISt17integral_constantIbLb1EES1A_EEDaS15_S16_EUlS15_E_NS1_11comp_targetILNS1_3genE4ELNS1_11target_archE910ELNS1_3gpuE8ELNS1_3repE0EEENS1_30default_config_static_selectorELNS0_4arch9wavefront6targetE0EEEvT1_
    .private_segment_fixed_size: 0
    .sgpr_count:     0
    .sgpr_spill_count: 0
    .symbol:         _ZN7rocprim17ROCPRIM_400000_NS6detail17trampoline_kernelINS0_14default_configENS1_25partition_config_selectorILNS1_17partition_subalgoE9EllbEEZZNS1_14partition_implILS5_9ELb0ES3_jPlS8_PNS0_10empty_typeENS0_5tupleIJS8_S9_EEENSB_IJS8_SA_EEENS0_18inequality_wrapperIZN2at6native12_GLOBAL__N_124unique_dim_cuda_templateIiEESt5tupleIJNSF_6TensorESK_SK_EERKSK_lbbbEUlllE0_EEPmJS9_EEE10hipError_tPvRmT3_T4_T5_T6_T7_T9_mT8_P12ihipStream_tbDpT10_ENKUlT_T0_E_clISt17integral_constantIbLb1EES1A_EEDaS15_S16_EUlS15_E_NS1_11comp_targetILNS1_3genE4ELNS1_11target_archE910ELNS1_3gpuE8ELNS1_3repE0EEENS1_30default_config_static_selectorELNS0_4arch9wavefront6targetE0EEEvT1_.kd
    .uniform_work_group_size: 1
    .uses_dynamic_stack: false
    .vgpr_count:     0
    .vgpr_spill_count: 0
    .wavefront_size: 32
  - .args:
      - .offset:         0
        .size:           136
        .value_kind:     by_value
    .group_segment_fixed_size: 0
    .kernarg_segment_align: 8
    .kernarg_segment_size: 136
    .language:       OpenCL C
    .language_version:
      - 2
      - 0
    .max_flat_workgroup_size: 128
    .name:           _ZN7rocprim17ROCPRIM_400000_NS6detail17trampoline_kernelINS0_14default_configENS1_25partition_config_selectorILNS1_17partition_subalgoE9EllbEEZZNS1_14partition_implILS5_9ELb0ES3_jPlS8_PNS0_10empty_typeENS0_5tupleIJS8_S9_EEENSB_IJS8_SA_EEENS0_18inequality_wrapperIZN2at6native12_GLOBAL__N_124unique_dim_cuda_templateIiEESt5tupleIJNSF_6TensorESK_SK_EERKSK_lbbbEUlllE0_EEPmJS9_EEE10hipError_tPvRmT3_T4_T5_T6_T7_T9_mT8_P12ihipStream_tbDpT10_ENKUlT_T0_E_clISt17integral_constantIbLb1EES1A_EEDaS15_S16_EUlS15_E_NS1_11comp_targetILNS1_3genE3ELNS1_11target_archE908ELNS1_3gpuE7ELNS1_3repE0EEENS1_30default_config_static_selectorELNS0_4arch9wavefront6targetE0EEEvT1_
    .private_segment_fixed_size: 0
    .sgpr_count:     0
    .sgpr_spill_count: 0
    .symbol:         _ZN7rocprim17ROCPRIM_400000_NS6detail17trampoline_kernelINS0_14default_configENS1_25partition_config_selectorILNS1_17partition_subalgoE9EllbEEZZNS1_14partition_implILS5_9ELb0ES3_jPlS8_PNS0_10empty_typeENS0_5tupleIJS8_S9_EEENSB_IJS8_SA_EEENS0_18inequality_wrapperIZN2at6native12_GLOBAL__N_124unique_dim_cuda_templateIiEESt5tupleIJNSF_6TensorESK_SK_EERKSK_lbbbEUlllE0_EEPmJS9_EEE10hipError_tPvRmT3_T4_T5_T6_T7_T9_mT8_P12ihipStream_tbDpT10_ENKUlT_T0_E_clISt17integral_constantIbLb1EES1A_EEDaS15_S16_EUlS15_E_NS1_11comp_targetILNS1_3genE3ELNS1_11target_archE908ELNS1_3gpuE7ELNS1_3repE0EEENS1_30default_config_static_selectorELNS0_4arch9wavefront6targetE0EEEvT1_.kd
    .uniform_work_group_size: 1
    .uses_dynamic_stack: false
    .vgpr_count:     0
    .vgpr_spill_count: 0
    .wavefront_size: 32
  - .args:
      - .offset:         0
        .size:           136
        .value_kind:     by_value
    .group_segment_fixed_size: 0
    .kernarg_segment_align: 8
    .kernarg_segment_size: 136
    .language:       OpenCL C
    .language_version:
      - 2
      - 0
    .max_flat_workgroup_size: 192
    .name:           _ZN7rocprim17ROCPRIM_400000_NS6detail17trampoline_kernelINS0_14default_configENS1_25partition_config_selectorILNS1_17partition_subalgoE9EllbEEZZNS1_14partition_implILS5_9ELb0ES3_jPlS8_PNS0_10empty_typeENS0_5tupleIJS8_S9_EEENSB_IJS8_SA_EEENS0_18inequality_wrapperIZN2at6native12_GLOBAL__N_124unique_dim_cuda_templateIiEESt5tupleIJNSF_6TensorESK_SK_EERKSK_lbbbEUlllE0_EEPmJS9_EEE10hipError_tPvRmT3_T4_T5_T6_T7_T9_mT8_P12ihipStream_tbDpT10_ENKUlT_T0_E_clISt17integral_constantIbLb1EES1A_EEDaS15_S16_EUlS15_E_NS1_11comp_targetILNS1_3genE2ELNS1_11target_archE906ELNS1_3gpuE6ELNS1_3repE0EEENS1_30default_config_static_selectorELNS0_4arch9wavefront6targetE0EEEvT1_
    .private_segment_fixed_size: 0
    .sgpr_count:     0
    .sgpr_spill_count: 0
    .symbol:         _ZN7rocprim17ROCPRIM_400000_NS6detail17trampoline_kernelINS0_14default_configENS1_25partition_config_selectorILNS1_17partition_subalgoE9EllbEEZZNS1_14partition_implILS5_9ELb0ES3_jPlS8_PNS0_10empty_typeENS0_5tupleIJS8_S9_EEENSB_IJS8_SA_EEENS0_18inequality_wrapperIZN2at6native12_GLOBAL__N_124unique_dim_cuda_templateIiEESt5tupleIJNSF_6TensorESK_SK_EERKSK_lbbbEUlllE0_EEPmJS9_EEE10hipError_tPvRmT3_T4_T5_T6_T7_T9_mT8_P12ihipStream_tbDpT10_ENKUlT_T0_E_clISt17integral_constantIbLb1EES1A_EEDaS15_S16_EUlS15_E_NS1_11comp_targetILNS1_3genE2ELNS1_11target_archE906ELNS1_3gpuE6ELNS1_3repE0EEENS1_30default_config_static_selectorELNS0_4arch9wavefront6targetE0EEEvT1_.kd
    .uniform_work_group_size: 1
    .uses_dynamic_stack: false
    .vgpr_count:     0
    .vgpr_spill_count: 0
    .wavefront_size: 32
  - .args:
      - .offset:         0
        .size:           136
        .value_kind:     by_value
    .group_segment_fixed_size: 0
    .kernarg_segment_align: 8
    .kernarg_segment_size: 136
    .language:       OpenCL C
    .language_version:
      - 2
      - 0
    .max_flat_workgroup_size: 384
    .name:           _ZN7rocprim17ROCPRIM_400000_NS6detail17trampoline_kernelINS0_14default_configENS1_25partition_config_selectorILNS1_17partition_subalgoE9EllbEEZZNS1_14partition_implILS5_9ELb0ES3_jPlS8_PNS0_10empty_typeENS0_5tupleIJS8_S9_EEENSB_IJS8_SA_EEENS0_18inequality_wrapperIZN2at6native12_GLOBAL__N_124unique_dim_cuda_templateIiEESt5tupleIJNSF_6TensorESK_SK_EERKSK_lbbbEUlllE0_EEPmJS9_EEE10hipError_tPvRmT3_T4_T5_T6_T7_T9_mT8_P12ihipStream_tbDpT10_ENKUlT_T0_E_clISt17integral_constantIbLb1EES1A_EEDaS15_S16_EUlS15_E_NS1_11comp_targetILNS1_3genE10ELNS1_11target_archE1200ELNS1_3gpuE4ELNS1_3repE0EEENS1_30default_config_static_selectorELNS0_4arch9wavefront6targetE0EEEvT1_
    .private_segment_fixed_size: 0
    .sgpr_count:     0
    .sgpr_spill_count: 0
    .symbol:         _ZN7rocprim17ROCPRIM_400000_NS6detail17trampoline_kernelINS0_14default_configENS1_25partition_config_selectorILNS1_17partition_subalgoE9EllbEEZZNS1_14partition_implILS5_9ELb0ES3_jPlS8_PNS0_10empty_typeENS0_5tupleIJS8_S9_EEENSB_IJS8_SA_EEENS0_18inequality_wrapperIZN2at6native12_GLOBAL__N_124unique_dim_cuda_templateIiEESt5tupleIJNSF_6TensorESK_SK_EERKSK_lbbbEUlllE0_EEPmJS9_EEE10hipError_tPvRmT3_T4_T5_T6_T7_T9_mT8_P12ihipStream_tbDpT10_ENKUlT_T0_E_clISt17integral_constantIbLb1EES1A_EEDaS15_S16_EUlS15_E_NS1_11comp_targetILNS1_3genE10ELNS1_11target_archE1200ELNS1_3gpuE4ELNS1_3repE0EEENS1_30default_config_static_selectorELNS0_4arch9wavefront6targetE0EEEvT1_.kd
    .uniform_work_group_size: 1
    .uses_dynamic_stack: false
    .vgpr_count:     0
    .vgpr_spill_count: 0
    .wavefront_size: 32
  - .args:
      - .offset:         0
        .size:           136
        .value_kind:     by_value
    .group_segment_fixed_size: 0
    .kernarg_segment_align: 8
    .kernarg_segment_size: 136
    .language:       OpenCL C
    .language_version:
      - 2
      - 0
    .max_flat_workgroup_size: 512
    .name:           _ZN7rocprim17ROCPRIM_400000_NS6detail17trampoline_kernelINS0_14default_configENS1_25partition_config_selectorILNS1_17partition_subalgoE9EllbEEZZNS1_14partition_implILS5_9ELb0ES3_jPlS8_PNS0_10empty_typeENS0_5tupleIJS8_S9_EEENSB_IJS8_SA_EEENS0_18inequality_wrapperIZN2at6native12_GLOBAL__N_124unique_dim_cuda_templateIiEESt5tupleIJNSF_6TensorESK_SK_EERKSK_lbbbEUlllE0_EEPmJS9_EEE10hipError_tPvRmT3_T4_T5_T6_T7_T9_mT8_P12ihipStream_tbDpT10_ENKUlT_T0_E_clISt17integral_constantIbLb1EES1A_EEDaS15_S16_EUlS15_E_NS1_11comp_targetILNS1_3genE9ELNS1_11target_archE1100ELNS1_3gpuE3ELNS1_3repE0EEENS1_30default_config_static_selectorELNS0_4arch9wavefront6targetE0EEEvT1_
    .private_segment_fixed_size: 0
    .sgpr_count:     0
    .sgpr_spill_count: 0
    .symbol:         _ZN7rocprim17ROCPRIM_400000_NS6detail17trampoline_kernelINS0_14default_configENS1_25partition_config_selectorILNS1_17partition_subalgoE9EllbEEZZNS1_14partition_implILS5_9ELb0ES3_jPlS8_PNS0_10empty_typeENS0_5tupleIJS8_S9_EEENSB_IJS8_SA_EEENS0_18inequality_wrapperIZN2at6native12_GLOBAL__N_124unique_dim_cuda_templateIiEESt5tupleIJNSF_6TensorESK_SK_EERKSK_lbbbEUlllE0_EEPmJS9_EEE10hipError_tPvRmT3_T4_T5_T6_T7_T9_mT8_P12ihipStream_tbDpT10_ENKUlT_T0_E_clISt17integral_constantIbLb1EES1A_EEDaS15_S16_EUlS15_E_NS1_11comp_targetILNS1_3genE9ELNS1_11target_archE1100ELNS1_3gpuE3ELNS1_3repE0EEENS1_30default_config_static_selectorELNS0_4arch9wavefront6targetE0EEEvT1_.kd
    .uniform_work_group_size: 1
    .uses_dynamic_stack: false
    .vgpr_count:     0
    .vgpr_spill_count: 0
    .wavefront_size: 32
  - .args:
      - .offset:         0
        .size:           136
        .value_kind:     by_value
    .group_segment_fixed_size: 0
    .kernarg_segment_align: 8
    .kernarg_segment_size: 136
    .language:       OpenCL C
    .language_version:
      - 2
      - 0
    .max_flat_workgroup_size: 512
    .name:           _ZN7rocprim17ROCPRIM_400000_NS6detail17trampoline_kernelINS0_14default_configENS1_25partition_config_selectorILNS1_17partition_subalgoE9EllbEEZZNS1_14partition_implILS5_9ELb0ES3_jPlS8_PNS0_10empty_typeENS0_5tupleIJS8_S9_EEENSB_IJS8_SA_EEENS0_18inequality_wrapperIZN2at6native12_GLOBAL__N_124unique_dim_cuda_templateIiEESt5tupleIJNSF_6TensorESK_SK_EERKSK_lbbbEUlllE0_EEPmJS9_EEE10hipError_tPvRmT3_T4_T5_T6_T7_T9_mT8_P12ihipStream_tbDpT10_ENKUlT_T0_E_clISt17integral_constantIbLb1EES1A_EEDaS15_S16_EUlS15_E_NS1_11comp_targetILNS1_3genE8ELNS1_11target_archE1030ELNS1_3gpuE2ELNS1_3repE0EEENS1_30default_config_static_selectorELNS0_4arch9wavefront6targetE0EEEvT1_
    .private_segment_fixed_size: 0
    .sgpr_count:     0
    .sgpr_spill_count: 0
    .symbol:         _ZN7rocprim17ROCPRIM_400000_NS6detail17trampoline_kernelINS0_14default_configENS1_25partition_config_selectorILNS1_17partition_subalgoE9EllbEEZZNS1_14partition_implILS5_9ELb0ES3_jPlS8_PNS0_10empty_typeENS0_5tupleIJS8_S9_EEENSB_IJS8_SA_EEENS0_18inequality_wrapperIZN2at6native12_GLOBAL__N_124unique_dim_cuda_templateIiEESt5tupleIJNSF_6TensorESK_SK_EERKSK_lbbbEUlllE0_EEPmJS9_EEE10hipError_tPvRmT3_T4_T5_T6_T7_T9_mT8_P12ihipStream_tbDpT10_ENKUlT_T0_E_clISt17integral_constantIbLb1EES1A_EEDaS15_S16_EUlS15_E_NS1_11comp_targetILNS1_3genE8ELNS1_11target_archE1030ELNS1_3gpuE2ELNS1_3repE0EEENS1_30default_config_static_selectorELNS0_4arch9wavefront6targetE0EEEvT1_.kd
    .uniform_work_group_size: 1
    .uses_dynamic_stack: false
    .vgpr_count:     0
    .vgpr_spill_count: 0
    .wavefront_size: 32
  - .args:
      - .offset:         0
        .size:           120
        .value_kind:     by_value
    .group_segment_fixed_size: 0
    .kernarg_segment_align: 8
    .kernarg_segment_size: 120
    .language:       OpenCL C
    .language_version:
      - 2
      - 0
    .max_flat_workgroup_size: 128
    .name:           _ZN7rocprim17ROCPRIM_400000_NS6detail17trampoline_kernelINS0_14default_configENS1_25partition_config_selectorILNS1_17partition_subalgoE9EllbEEZZNS1_14partition_implILS5_9ELb0ES3_jPlS8_PNS0_10empty_typeENS0_5tupleIJS8_S9_EEENSB_IJS8_SA_EEENS0_18inequality_wrapperIZN2at6native12_GLOBAL__N_124unique_dim_cuda_templateIiEESt5tupleIJNSF_6TensorESK_SK_EERKSK_lbbbEUlllE0_EEPmJS9_EEE10hipError_tPvRmT3_T4_T5_T6_T7_T9_mT8_P12ihipStream_tbDpT10_ENKUlT_T0_E_clISt17integral_constantIbLb1EES19_IbLb0EEEEDaS15_S16_EUlS15_E_NS1_11comp_targetILNS1_3genE0ELNS1_11target_archE4294967295ELNS1_3gpuE0ELNS1_3repE0EEENS1_30default_config_static_selectorELNS0_4arch9wavefront6targetE0EEEvT1_
    .private_segment_fixed_size: 0
    .sgpr_count:     0
    .sgpr_spill_count: 0
    .symbol:         _ZN7rocprim17ROCPRIM_400000_NS6detail17trampoline_kernelINS0_14default_configENS1_25partition_config_selectorILNS1_17partition_subalgoE9EllbEEZZNS1_14partition_implILS5_9ELb0ES3_jPlS8_PNS0_10empty_typeENS0_5tupleIJS8_S9_EEENSB_IJS8_SA_EEENS0_18inequality_wrapperIZN2at6native12_GLOBAL__N_124unique_dim_cuda_templateIiEESt5tupleIJNSF_6TensorESK_SK_EERKSK_lbbbEUlllE0_EEPmJS9_EEE10hipError_tPvRmT3_T4_T5_T6_T7_T9_mT8_P12ihipStream_tbDpT10_ENKUlT_T0_E_clISt17integral_constantIbLb1EES19_IbLb0EEEEDaS15_S16_EUlS15_E_NS1_11comp_targetILNS1_3genE0ELNS1_11target_archE4294967295ELNS1_3gpuE0ELNS1_3repE0EEENS1_30default_config_static_selectorELNS0_4arch9wavefront6targetE0EEEvT1_.kd
    .uniform_work_group_size: 1
    .uses_dynamic_stack: false
    .vgpr_count:     0
    .vgpr_spill_count: 0
    .wavefront_size: 32
  - .args:
      - .offset:         0
        .size:           120
        .value_kind:     by_value
    .group_segment_fixed_size: 0
    .kernarg_segment_align: 8
    .kernarg_segment_size: 120
    .language:       OpenCL C
    .language_version:
      - 2
      - 0
    .max_flat_workgroup_size: 512
    .name:           _ZN7rocprim17ROCPRIM_400000_NS6detail17trampoline_kernelINS0_14default_configENS1_25partition_config_selectorILNS1_17partition_subalgoE9EllbEEZZNS1_14partition_implILS5_9ELb0ES3_jPlS8_PNS0_10empty_typeENS0_5tupleIJS8_S9_EEENSB_IJS8_SA_EEENS0_18inequality_wrapperIZN2at6native12_GLOBAL__N_124unique_dim_cuda_templateIiEESt5tupleIJNSF_6TensorESK_SK_EERKSK_lbbbEUlllE0_EEPmJS9_EEE10hipError_tPvRmT3_T4_T5_T6_T7_T9_mT8_P12ihipStream_tbDpT10_ENKUlT_T0_E_clISt17integral_constantIbLb1EES19_IbLb0EEEEDaS15_S16_EUlS15_E_NS1_11comp_targetILNS1_3genE5ELNS1_11target_archE942ELNS1_3gpuE9ELNS1_3repE0EEENS1_30default_config_static_selectorELNS0_4arch9wavefront6targetE0EEEvT1_
    .private_segment_fixed_size: 0
    .sgpr_count:     0
    .sgpr_spill_count: 0
    .symbol:         _ZN7rocprim17ROCPRIM_400000_NS6detail17trampoline_kernelINS0_14default_configENS1_25partition_config_selectorILNS1_17partition_subalgoE9EllbEEZZNS1_14partition_implILS5_9ELb0ES3_jPlS8_PNS0_10empty_typeENS0_5tupleIJS8_S9_EEENSB_IJS8_SA_EEENS0_18inequality_wrapperIZN2at6native12_GLOBAL__N_124unique_dim_cuda_templateIiEESt5tupleIJNSF_6TensorESK_SK_EERKSK_lbbbEUlllE0_EEPmJS9_EEE10hipError_tPvRmT3_T4_T5_T6_T7_T9_mT8_P12ihipStream_tbDpT10_ENKUlT_T0_E_clISt17integral_constantIbLb1EES19_IbLb0EEEEDaS15_S16_EUlS15_E_NS1_11comp_targetILNS1_3genE5ELNS1_11target_archE942ELNS1_3gpuE9ELNS1_3repE0EEENS1_30default_config_static_selectorELNS0_4arch9wavefront6targetE0EEEvT1_.kd
    .uniform_work_group_size: 1
    .uses_dynamic_stack: false
    .vgpr_count:     0
    .vgpr_spill_count: 0
    .wavefront_size: 32
  - .args:
      - .offset:         0
        .size:           120
        .value_kind:     by_value
    .group_segment_fixed_size: 0
    .kernarg_segment_align: 8
    .kernarg_segment_size: 120
    .language:       OpenCL C
    .language_version:
      - 2
      - 0
    .max_flat_workgroup_size: 128
    .name:           _ZN7rocprim17ROCPRIM_400000_NS6detail17trampoline_kernelINS0_14default_configENS1_25partition_config_selectorILNS1_17partition_subalgoE9EllbEEZZNS1_14partition_implILS5_9ELb0ES3_jPlS8_PNS0_10empty_typeENS0_5tupleIJS8_S9_EEENSB_IJS8_SA_EEENS0_18inequality_wrapperIZN2at6native12_GLOBAL__N_124unique_dim_cuda_templateIiEESt5tupleIJNSF_6TensorESK_SK_EERKSK_lbbbEUlllE0_EEPmJS9_EEE10hipError_tPvRmT3_T4_T5_T6_T7_T9_mT8_P12ihipStream_tbDpT10_ENKUlT_T0_E_clISt17integral_constantIbLb1EES19_IbLb0EEEEDaS15_S16_EUlS15_E_NS1_11comp_targetILNS1_3genE4ELNS1_11target_archE910ELNS1_3gpuE8ELNS1_3repE0EEENS1_30default_config_static_selectorELNS0_4arch9wavefront6targetE0EEEvT1_
    .private_segment_fixed_size: 0
    .sgpr_count:     0
    .sgpr_spill_count: 0
    .symbol:         _ZN7rocprim17ROCPRIM_400000_NS6detail17trampoline_kernelINS0_14default_configENS1_25partition_config_selectorILNS1_17partition_subalgoE9EllbEEZZNS1_14partition_implILS5_9ELb0ES3_jPlS8_PNS0_10empty_typeENS0_5tupleIJS8_S9_EEENSB_IJS8_SA_EEENS0_18inequality_wrapperIZN2at6native12_GLOBAL__N_124unique_dim_cuda_templateIiEESt5tupleIJNSF_6TensorESK_SK_EERKSK_lbbbEUlllE0_EEPmJS9_EEE10hipError_tPvRmT3_T4_T5_T6_T7_T9_mT8_P12ihipStream_tbDpT10_ENKUlT_T0_E_clISt17integral_constantIbLb1EES19_IbLb0EEEEDaS15_S16_EUlS15_E_NS1_11comp_targetILNS1_3genE4ELNS1_11target_archE910ELNS1_3gpuE8ELNS1_3repE0EEENS1_30default_config_static_selectorELNS0_4arch9wavefront6targetE0EEEvT1_.kd
    .uniform_work_group_size: 1
    .uses_dynamic_stack: false
    .vgpr_count:     0
    .vgpr_spill_count: 0
    .wavefront_size: 32
  - .args:
      - .offset:         0
        .size:           120
        .value_kind:     by_value
    .group_segment_fixed_size: 0
    .kernarg_segment_align: 8
    .kernarg_segment_size: 120
    .language:       OpenCL C
    .language_version:
      - 2
      - 0
    .max_flat_workgroup_size: 128
    .name:           _ZN7rocprim17ROCPRIM_400000_NS6detail17trampoline_kernelINS0_14default_configENS1_25partition_config_selectorILNS1_17partition_subalgoE9EllbEEZZNS1_14partition_implILS5_9ELb0ES3_jPlS8_PNS0_10empty_typeENS0_5tupleIJS8_S9_EEENSB_IJS8_SA_EEENS0_18inequality_wrapperIZN2at6native12_GLOBAL__N_124unique_dim_cuda_templateIiEESt5tupleIJNSF_6TensorESK_SK_EERKSK_lbbbEUlllE0_EEPmJS9_EEE10hipError_tPvRmT3_T4_T5_T6_T7_T9_mT8_P12ihipStream_tbDpT10_ENKUlT_T0_E_clISt17integral_constantIbLb1EES19_IbLb0EEEEDaS15_S16_EUlS15_E_NS1_11comp_targetILNS1_3genE3ELNS1_11target_archE908ELNS1_3gpuE7ELNS1_3repE0EEENS1_30default_config_static_selectorELNS0_4arch9wavefront6targetE0EEEvT1_
    .private_segment_fixed_size: 0
    .sgpr_count:     0
    .sgpr_spill_count: 0
    .symbol:         _ZN7rocprim17ROCPRIM_400000_NS6detail17trampoline_kernelINS0_14default_configENS1_25partition_config_selectorILNS1_17partition_subalgoE9EllbEEZZNS1_14partition_implILS5_9ELb0ES3_jPlS8_PNS0_10empty_typeENS0_5tupleIJS8_S9_EEENSB_IJS8_SA_EEENS0_18inequality_wrapperIZN2at6native12_GLOBAL__N_124unique_dim_cuda_templateIiEESt5tupleIJNSF_6TensorESK_SK_EERKSK_lbbbEUlllE0_EEPmJS9_EEE10hipError_tPvRmT3_T4_T5_T6_T7_T9_mT8_P12ihipStream_tbDpT10_ENKUlT_T0_E_clISt17integral_constantIbLb1EES19_IbLb0EEEEDaS15_S16_EUlS15_E_NS1_11comp_targetILNS1_3genE3ELNS1_11target_archE908ELNS1_3gpuE7ELNS1_3repE0EEENS1_30default_config_static_selectorELNS0_4arch9wavefront6targetE0EEEvT1_.kd
    .uniform_work_group_size: 1
    .uses_dynamic_stack: false
    .vgpr_count:     0
    .vgpr_spill_count: 0
    .wavefront_size: 32
  - .args:
      - .offset:         0
        .size:           120
        .value_kind:     by_value
    .group_segment_fixed_size: 0
    .kernarg_segment_align: 8
    .kernarg_segment_size: 120
    .language:       OpenCL C
    .language_version:
      - 2
      - 0
    .max_flat_workgroup_size: 192
    .name:           _ZN7rocprim17ROCPRIM_400000_NS6detail17trampoline_kernelINS0_14default_configENS1_25partition_config_selectorILNS1_17partition_subalgoE9EllbEEZZNS1_14partition_implILS5_9ELb0ES3_jPlS8_PNS0_10empty_typeENS0_5tupleIJS8_S9_EEENSB_IJS8_SA_EEENS0_18inequality_wrapperIZN2at6native12_GLOBAL__N_124unique_dim_cuda_templateIiEESt5tupleIJNSF_6TensorESK_SK_EERKSK_lbbbEUlllE0_EEPmJS9_EEE10hipError_tPvRmT3_T4_T5_T6_T7_T9_mT8_P12ihipStream_tbDpT10_ENKUlT_T0_E_clISt17integral_constantIbLb1EES19_IbLb0EEEEDaS15_S16_EUlS15_E_NS1_11comp_targetILNS1_3genE2ELNS1_11target_archE906ELNS1_3gpuE6ELNS1_3repE0EEENS1_30default_config_static_selectorELNS0_4arch9wavefront6targetE0EEEvT1_
    .private_segment_fixed_size: 0
    .sgpr_count:     0
    .sgpr_spill_count: 0
    .symbol:         _ZN7rocprim17ROCPRIM_400000_NS6detail17trampoline_kernelINS0_14default_configENS1_25partition_config_selectorILNS1_17partition_subalgoE9EllbEEZZNS1_14partition_implILS5_9ELb0ES3_jPlS8_PNS0_10empty_typeENS0_5tupleIJS8_S9_EEENSB_IJS8_SA_EEENS0_18inequality_wrapperIZN2at6native12_GLOBAL__N_124unique_dim_cuda_templateIiEESt5tupleIJNSF_6TensorESK_SK_EERKSK_lbbbEUlllE0_EEPmJS9_EEE10hipError_tPvRmT3_T4_T5_T6_T7_T9_mT8_P12ihipStream_tbDpT10_ENKUlT_T0_E_clISt17integral_constantIbLb1EES19_IbLb0EEEEDaS15_S16_EUlS15_E_NS1_11comp_targetILNS1_3genE2ELNS1_11target_archE906ELNS1_3gpuE6ELNS1_3repE0EEENS1_30default_config_static_selectorELNS0_4arch9wavefront6targetE0EEEvT1_.kd
    .uniform_work_group_size: 1
    .uses_dynamic_stack: false
    .vgpr_count:     0
    .vgpr_spill_count: 0
    .wavefront_size: 32
  - .args:
      - .offset:         0
        .size:           120
        .value_kind:     by_value
    .group_segment_fixed_size: 0
    .kernarg_segment_align: 8
    .kernarg_segment_size: 120
    .language:       OpenCL C
    .language_version:
      - 2
      - 0
    .max_flat_workgroup_size: 384
    .name:           _ZN7rocprim17ROCPRIM_400000_NS6detail17trampoline_kernelINS0_14default_configENS1_25partition_config_selectorILNS1_17partition_subalgoE9EllbEEZZNS1_14partition_implILS5_9ELb0ES3_jPlS8_PNS0_10empty_typeENS0_5tupleIJS8_S9_EEENSB_IJS8_SA_EEENS0_18inequality_wrapperIZN2at6native12_GLOBAL__N_124unique_dim_cuda_templateIiEESt5tupleIJNSF_6TensorESK_SK_EERKSK_lbbbEUlllE0_EEPmJS9_EEE10hipError_tPvRmT3_T4_T5_T6_T7_T9_mT8_P12ihipStream_tbDpT10_ENKUlT_T0_E_clISt17integral_constantIbLb1EES19_IbLb0EEEEDaS15_S16_EUlS15_E_NS1_11comp_targetILNS1_3genE10ELNS1_11target_archE1200ELNS1_3gpuE4ELNS1_3repE0EEENS1_30default_config_static_selectorELNS0_4arch9wavefront6targetE0EEEvT1_
    .private_segment_fixed_size: 0
    .sgpr_count:     0
    .sgpr_spill_count: 0
    .symbol:         _ZN7rocprim17ROCPRIM_400000_NS6detail17trampoline_kernelINS0_14default_configENS1_25partition_config_selectorILNS1_17partition_subalgoE9EllbEEZZNS1_14partition_implILS5_9ELb0ES3_jPlS8_PNS0_10empty_typeENS0_5tupleIJS8_S9_EEENSB_IJS8_SA_EEENS0_18inequality_wrapperIZN2at6native12_GLOBAL__N_124unique_dim_cuda_templateIiEESt5tupleIJNSF_6TensorESK_SK_EERKSK_lbbbEUlllE0_EEPmJS9_EEE10hipError_tPvRmT3_T4_T5_T6_T7_T9_mT8_P12ihipStream_tbDpT10_ENKUlT_T0_E_clISt17integral_constantIbLb1EES19_IbLb0EEEEDaS15_S16_EUlS15_E_NS1_11comp_targetILNS1_3genE10ELNS1_11target_archE1200ELNS1_3gpuE4ELNS1_3repE0EEENS1_30default_config_static_selectorELNS0_4arch9wavefront6targetE0EEEvT1_.kd
    .uniform_work_group_size: 1
    .uses_dynamic_stack: false
    .vgpr_count:     0
    .vgpr_spill_count: 0
    .wavefront_size: 32
  - .args:
      - .offset:         0
        .size:           120
        .value_kind:     by_value
    .group_segment_fixed_size: 0
    .kernarg_segment_align: 8
    .kernarg_segment_size: 120
    .language:       OpenCL C
    .language_version:
      - 2
      - 0
    .max_flat_workgroup_size: 512
    .name:           _ZN7rocprim17ROCPRIM_400000_NS6detail17trampoline_kernelINS0_14default_configENS1_25partition_config_selectorILNS1_17partition_subalgoE9EllbEEZZNS1_14partition_implILS5_9ELb0ES3_jPlS8_PNS0_10empty_typeENS0_5tupleIJS8_S9_EEENSB_IJS8_SA_EEENS0_18inequality_wrapperIZN2at6native12_GLOBAL__N_124unique_dim_cuda_templateIiEESt5tupleIJNSF_6TensorESK_SK_EERKSK_lbbbEUlllE0_EEPmJS9_EEE10hipError_tPvRmT3_T4_T5_T6_T7_T9_mT8_P12ihipStream_tbDpT10_ENKUlT_T0_E_clISt17integral_constantIbLb1EES19_IbLb0EEEEDaS15_S16_EUlS15_E_NS1_11comp_targetILNS1_3genE9ELNS1_11target_archE1100ELNS1_3gpuE3ELNS1_3repE0EEENS1_30default_config_static_selectorELNS0_4arch9wavefront6targetE0EEEvT1_
    .private_segment_fixed_size: 0
    .sgpr_count:     0
    .sgpr_spill_count: 0
    .symbol:         _ZN7rocprim17ROCPRIM_400000_NS6detail17trampoline_kernelINS0_14default_configENS1_25partition_config_selectorILNS1_17partition_subalgoE9EllbEEZZNS1_14partition_implILS5_9ELb0ES3_jPlS8_PNS0_10empty_typeENS0_5tupleIJS8_S9_EEENSB_IJS8_SA_EEENS0_18inequality_wrapperIZN2at6native12_GLOBAL__N_124unique_dim_cuda_templateIiEESt5tupleIJNSF_6TensorESK_SK_EERKSK_lbbbEUlllE0_EEPmJS9_EEE10hipError_tPvRmT3_T4_T5_T6_T7_T9_mT8_P12ihipStream_tbDpT10_ENKUlT_T0_E_clISt17integral_constantIbLb1EES19_IbLb0EEEEDaS15_S16_EUlS15_E_NS1_11comp_targetILNS1_3genE9ELNS1_11target_archE1100ELNS1_3gpuE3ELNS1_3repE0EEENS1_30default_config_static_selectorELNS0_4arch9wavefront6targetE0EEEvT1_.kd
    .uniform_work_group_size: 1
    .uses_dynamic_stack: false
    .vgpr_count:     0
    .vgpr_spill_count: 0
    .wavefront_size: 32
  - .args:
      - .offset:         0
        .size:           120
        .value_kind:     by_value
    .group_segment_fixed_size: 0
    .kernarg_segment_align: 8
    .kernarg_segment_size: 120
    .language:       OpenCL C
    .language_version:
      - 2
      - 0
    .max_flat_workgroup_size: 512
    .name:           _ZN7rocprim17ROCPRIM_400000_NS6detail17trampoline_kernelINS0_14default_configENS1_25partition_config_selectorILNS1_17partition_subalgoE9EllbEEZZNS1_14partition_implILS5_9ELb0ES3_jPlS8_PNS0_10empty_typeENS0_5tupleIJS8_S9_EEENSB_IJS8_SA_EEENS0_18inequality_wrapperIZN2at6native12_GLOBAL__N_124unique_dim_cuda_templateIiEESt5tupleIJNSF_6TensorESK_SK_EERKSK_lbbbEUlllE0_EEPmJS9_EEE10hipError_tPvRmT3_T4_T5_T6_T7_T9_mT8_P12ihipStream_tbDpT10_ENKUlT_T0_E_clISt17integral_constantIbLb1EES19_IbLb0EEEEDaS15_S16_EUlS15_E_NS1_11comp_targetILNS1_3genE8ELNS1_11target_archE1030ELNS1_3gpuE2ELNS1_3repE0EEENS1_30default_config_static_selectorELNS0_4arch9wavefront6targetE0EEEvT1_
    .private_segment_fixed_size: 0
    .sgpr_count:     0
    .sgpr_spill_count: 0
    .symbol:         _ZN7rocprim17ROCPRIM_400000_NS6detail17trampoline_kernelINS0_14default_configENS1_25partition_config_selectorILNS1_17partition_subalgoE9EllbEEZZNS1_14partition_implILS5_9ELb0ES3_jPlS8_PNS0_10empty_typeENS0_5tupleIJS8_S9_EEENSB_IJS8_SA_EEENS0_18inequality_wrapperIZN2at6native12_GLOBAL__N_124unique_dim_cuda_templateIiEESt5tupleIJNSF_6TensorESK_SK_EERKSK_lbbbEUlllE0_EEPmJS9_EEE10hipError_tPvRmT3_T4_T5_T6_T7_T9_mT8_P12ihipStream_tbDpT10_ENKUlT_T0_E_clISt17integral_constantIbLb1EES19_IbLb0EEEEDaS15_S16_EUlS15_E_NS1_11comp_targetILNS1_3genE8ELNS1_11target_archE1030ELNS1_3gpuE2ELNS1_3repE0EEENS1_30default_config_static_selectorELNS0_4arch9wavefront6targetE0EEEvT1_.kd
    .uniform_work_group_size: 1
    .uses_dynamic_stack: false
    .vgpr_count:     0
    .vgpr_spill_count: 0
    .wavefront_size: 32
  - .args:
      - .offset:         0
        .size:           136
        .value_kind:     by_value
    .group_segment_fixed_size: 5128
    .kernarg_segment_align: 8
    .kernarg_segment_size: 136
    .language:       OpenCL C
    .language_version:
      - 2
      - 0
    .max_flat_workgroup_size: 128
    .name:           _ZN7rocprim17ROCPRIM_400000_NS6detail17trampoline_kernelINS0_14default_configENS1_25partition_config_selectorILNS1_17partition_subalgoE9EllbEEZZNS1_14partition_implILS5_9ELb0ES3_jPlS8_PNS0_10empty_typeENS0_5tupleIJS8_S9_EEENSB_IJS8_SA_EEENS0_18inequality_wrapperIZN2at6native12_GLOBAL__N_124unique_dim_cuda_templateIiEESt5tupleIJNSF_6TensorESK_SK_EERKSK_lbbbEUlllE0_EEPmJS9_EEE10hipError_tPvRmT3_T4_T5_T6_T7_T9_mT8_P12ihipStream_tbDpT10_ENKUlT_T0_E_clISt17integral_constantIbLb0EES19_IbLb1EEEEDaS15_S16_EUlS15_E_NS1_11comp_targetILNS1_3genE0ELNS1_11target_archE4294967295ELNS1_3gpuE0ELNS1_3repE0EEENS1_30default_config_static_selectorELNS0_4arch9wavefront6targetE0EEEvT1_
    .private_segment_fixed_size: 0
    .sgpr_count:     38
    .sgpr_spill_count: 0
    .symbol:         _ZN7rocprim17ROCPRIM_400000_NS6detail17trampoline_kernelINS0_14default_configENS1_25partition_config_selectorILNS1_17partition_subalgoE9EllbEEZZNS1_14partition_implILS5_9ELb0ES3_jPlS8_PNS0_10empty_typeENS0_5tupleIJS8_S9_EEENSB_IJS8_SA_EEENS0_18inequality_wrapperIZN2at6native12_GLOBAL__N_124unique_dim_cuda_templateIiEESt5tupleIJNSF_6TensorESK_SK_EERKSK_lbbbEUlllE0_EEPmJS9_EEE10hipError_tPvRmT3_T4_T5_T6_T7_T9_mT8_P12ihipStream_tbDpT10_ENKUlT_T0_E_clISt17integral_constantIbLb0EES19_IbLb1EEEEDaS15_S16_EUlS15_E_NS1_11comp_targetILNS1_3genE0ELNS1_11target_archE4294967295ELNS1_3gpuE0ELNS1_3repE0EEENS1_30default_config_static_selectorELNS0_4arch9wavefront6targetE0EEEvT1_.kd
    .uniform_work_group_size: 1
    .uses_dynamic_stack: false
    .vgpr_count:     55
    .vgpr_spill_count: 0
    .wavefront_size: 32
  - .args:
      - .offset:         0
        .size:           136
        .value_kind:     by_value
    .group_segment_fixed_size: 0
    .kernarg_segment_align: 8
    .kernarg_segment_size: 136
    .language:       OpenCL C
    .language_version:
      - 2
      - 0
    .max_flat_workgroup_size: 512
    .name:           _ZN7rocprim17ROCPRIM_400000_NS6detail17trampoline_kernelINS0_14default_configENS1_25partition_config_selectorILNS1_17partition_subalgoE9EllbEEZZNS1_14partition_implILS5_9ELb0ES3_jPlS8_PNS0_10empty_typeENS0_5tupleIJS8_S9_EEENSB_IJS8_SA_EEENS0_18inequality_wrapperIZN2at6native12_GLOBAL__N_124unique_dim_cuda_templateIiEESt5tupleIJNSF_6TensorESK_SK_EERKSK_lbbbEUlllE0_EEPmJS9_EEE10hipError_tPvRmT3_T4_T5_T6_T7_T9_mT8_P12ihipStream_tbDpT10_ENKUlT_T0_E_clISt17integral_constantIbLb0EES19_IbLb1EEEEDaS15_S16_EUlS15_E_NS1_11comp_targetILNS1_3genE5ELNS1_11target_archE942ELNS1_3gpuE9ELNS1_3repE0EEENS1_30default_config_static_selectorELNS0_4arch9wavefront6targetE0EEEvT1_
    .private_segment_fixed_size: 0
    .sgpr_count:     0
    .sgpr_spill_count: 0
    .symbol:         _ZN7rocprim17ROCPRIM_400000_NS6detail17trampoline_kernelINS0_14default_configENS1_25partition_config_selectorILNS1_17partition_subalgoE9EllbEEZZNS1_14partition_implILS5_9ELb0ES3_jPlS8_PNS0_10empty_typeENS0_5tupleIJS8_S9_EEENSB_IJS8_SA_EEENS0_18inequality_wrapperIZN2at6native12_GLOBAL__N_124unique_dim_cuda_templateIiEESt5tupleIJNSF_6TensorESK_SK_EERKSK_lbbbEUlllE0_EEPmJS9_EEE10hipError_tPvRmT3_T4_T5_T6_T7_T9_mT8_P12ihipStream_tbDpT10_ENKUlT_T0_E_clISt17integral_constantIbLb0EES19_IbLb1EEEEDaS15_S16_EUlS15_E_NS1_11comp_targetILNS1_3genE5ELNS1_11target_archE942ELNS1_3gpuE9ELNS1_3repE0EEENS1_30default_config_static_selectorELNS0_4arch9wavefront6targetE0EEEvT1_.kd
    .uniform_work_group_size: 1
    .uses_dynamic_stack: false
    .vgpr_count:     0
    .vgpr_spill_count: 0
    .wavefront_size: 32
  - .args:
      - .offset:         0
        .size:           136
        .value_kind:     by_value
    .group_segment_fixed_size: 0
    .kernarg_segment_align: 8
    .kernarg_segment_size: 136
    .language:       OpenCL C
    .language_version:
      - 2
      - 0
    .max_flat_workgroup_size: 128
    .name:           _ZN7rocprim17ROCPRIM_400000_NS6detail17trampoline_kernelINS0_14default_configENS1_25partition_config_selectorILNS1_17partition_subalgoE9EllbEEZZNS1_14partition_implILS5_9ELb0ES3_jPlS8_PNS0_10empty_typeENS0_5tupleIJS8_S9_EEENSB_IJS8_SA_EEENS0_18inequality_wrapperIZN2at6native12_GLOBAL__N_124unique_dim_cuda_templateIiEESt5tupleIJNSF_6TensorESK_SK_EERKSK_lbbbEUlllE0_EEPmJS9_EEE10hipError_tPvRmT3_T4_T5_T6_T7_T9_mT8_P12ihipStream_tbDpT10_ENKUlT_T0_E_clISt17integral_constantIbLb0EES19_IbLb1EEEEDaS15_S16_EUlS15_E_NS1_11comp_targetILNS1_3genE4ELNS1_11target_archE910ELNS1_3gpuE8ELNS1_3repE0EEENS1_30default_config_static_selectorELNS0_4arch9wavefront6targetE0EEEvT1_
    .private_segment_fixed_size: 0
    .sgpr_count:     0
    .sgpr_spill_count: 0
    .symbol:         _ZN7rocprim17ROCPRIM_400000_NS6detail17trampoline_kernelINS0_14default_configENS1_25partition_config_selectorILNS1_17partition_subalgoE9EllbEEZZNS1_14partition_implILS5_9ELb0ES3_jPlS8_PNS0_10empty_typeENS0_5tupleIJS8_S9_EEENSB_IJS8_SA_EEENS0_18inequality_wrapperIZN2at6native12_GLOBAL__N_124unique_dim_cuda_templateIiEESt5tupleIJNSF_6TensorESK_SK_EERKSK_lbbbEUlllE0_EEPmJS9_EEE10hipError_tPvRmT3_T4_T5_T6_T7_T9_mT8_P12ihipStream_tbDpT10_ENKUlT_T0_E_clISt17integral_constantIbLb0EES19_IbLb1EEEEDaS15_S16_EUlS15_E_NS1_11comp_targetILNS1_3genE4ELNS1_11target_archE910ELNS1_3gpuE8ELNS1_3repE0EEENS1_30default_config_static_selectorELNS0_4arch9wavefront6targetE0EEEvT1_.kd
    .uniform_work_group_size: 1
    .uses_dynamic_stack: false
    .vgpr_count:     0
    .vgpr_spill_count: 0
    .wavefront_size: 32
  - .args:
      - .offset:         0
        .size:           136
        .value_kind:     by_value
    .group_segment_fixed_size: 0
    .kernarg_segment_align: 8
    .kernarg_segment_size: 136
    .language:       OpenCL C
    .language_version:
      - 2
      - 0
    .max_flat_workgroup_size: 128
    .name:           _ZN7rocprim17ROCPRIM_400000_NS6detail17trampoline_kernelINS0_14default_configENS1_25partition_config_selectorILNS1_17partition_subalgoE9EllbEEZZNS1_14partition_implILS5_9ELb0ES3_jPlS8_PNS0_10empty_typeENS0_5tupleIJS8_S9_EEENSB_IJS8_SA_EEENS0_18inequality_wrapperIZN2at6native12_GLOBAL__N_124unique_dim_cuda_templateIiEESt5tupleIJNSF_6TensorESK_SK_EERKSK_lbbbEUlllE0_EEPmJS9_EEE10hipError_tPvRmT3_T4_T5_T6_T7_T9_mT8_P12ihipStream_tbDpT10_ENKUlT_T0_E_clISt17integral_constantIbLb0EES19_IbLb1EEEEDaS15_S16_EUlS15_E_NS1_11comp_targetILNS1_3genE3ELNS1_11target_archE908ELNS1_3gpuE7ELNS1_3repE0EEENS1_30default_config_static_selectorELNS0_4arch9wavefront6targetE0EEEvT1_
    .private_segment_fixed_size: 0
    .sgpr_count:     0
    .sgpr_spill_count: 0
    .symbol:         _ZN7rocprim17ROCPRIM_400000_NS6detail17trampoline_kernelINS0_14default_configENS1_25partition_config_selectorILNS1_17partition_subalgoE9EllbEEZZNS1_14partition_implILS5_9ELb0ES3_jPlS8_PNS0_10empty_typeENS0_5tupleIJS8_S9_EEENSB_IJS8_SA_EEENS0_18inequality_wrapperIZN2at6native12_GLOBAL__N_124unique_dim_cuda_templateIiEESt5tupleIJNSF_6TensorESK_SK_EERKSK_lbbbEUlllE0_EEPmJS9_EEE10hipError_tPvRmT3_T4_T5_T6_T7_T9_mT8_P12ihipStream_tbDpT10_ENKUlT_T0_E_clISt17integral_constantIbLb0EES19_IbLb1EEEEDaS15_S16_EUlS15_E_NS1_11comp_targetILNS1_3genE3ELNS1_11target_archE908ELNS1_3gpuE7ELNS1_3repE0EEENS1_30default_config_static_selectorELNS0_4arch9wavefront6targetE0EEEvT1_.kd
    .uniform_work_group_size: 1
    .uses_dynamic_stack: false
    .vgpr_count:     0
    .vgpr_spill_count: 0
    .wavefront_size: 32
  - .args:
      - .offset:         0
        .size:           136
        .value_kind:     by_value
    .group_segment_fixed_size: 0
    .kernarg_segment_align: 8
    .kernarg_segment_size: 136
    .language:       OpenCL C
    .language_version:
      - 2
      - 0
    .max_flat_workgroup_size: 192
    .name:           _ZN7rocprim17ROCPRIM_400000_NS6detail17trampoline_kernelINS0_14default_configENS1_25partition_config_selectorILNS1_17partition_subalgoE9EllbEEZZNS1_14partition_implILS5_9ELb0ES3_jPlS8_PNS0_10empty_typeENS0_5tupleIJS8_S9_EEENSB_IJS8_SA_EEENS0_18inequality_wrapperIZN2at6native12_GLOBAL__N_124unique_dim_cuda_templateIiEESt5tupleIJNSF_6TensorESK_SK_EERKSK_lbbbEUlllE0_EEPmJS9_EEE10hipError_tPvRmT3_T4_T5_T6_T7_T9_mT8_P12ihipStream_tbDpT10_ENKUlT_T0_E_clISt17integral_constantIbLb0EES19_IbLb1EEEEDaS15_S16_EUlS15_E_NS1_11comp_targetILNS1_3genE2ELNS1_11target_archE906ELNS1_3gpuE6ELNS1_3repE0EEENS1_30default_config_static_selectorELNS0_4arch9wavefront6targetE0EEEvT1_
    .private_segment_fixed_size: 0
    .sgpr_count:     0
    .sgpr_spill_count: 0
    .symbol:         _ZN7rocprim17ROCPRIM_400000_NS6detail17trampoline_kernelINS0_14default_configENS1_25partition_config_selectorILNS1_17partition_subalgoE9EllbEEZZNS1_14partition_implILS5_9ELb0ES3_jPlS8_PNS0_10empty_typeENS0_5tupleIJS8_S9_EEENSB_IJS8_SA_EEENS0_18inequality_wrapperIZN2at6native12_GLOBAL__N_124unique_dim_cuda_templateIiEESt5tupleIJNSF_6TensorESK_SK_EERKSK_lbbbEUlllE0_EEPmJS9_EEE10hipError_tPvRmT3_T4_T5_T6_T7_T9_mT8_P12ihipStream_tbDpT10_ENKUlT_T0_E_clISt17integral_constantIbLb0EES19_IbLb1EEEEDaS15_S16_EUlS15_E_NS1_11comp_targetILNS1_3genE2ELNS1_11target_archE906ELNS1_3gpuE6ELNS1_3repE0EEENS1_30default_config_static_selectorELNS0_4arch9wavefront6targetE0EEEvT1_.kd
    .uniform_work_group_size: 1
    .uses_dynamic_stack: false
    .vgpr_count:     0
    .vgpr_spill_count: 0
    .wavefront_size: 32
  - .args:
      - .offset:         0
        .size:           136
        .value_kind:     by_value
    .group_segment_fixed_size: 0
    .kernarg_segment_align: 8
    .kernarg_segment_size: 136
    .language:       OpenCL C
    .language_version:
      - 2
      - 0
    .max_flat_workgroup_size: 384
    .name:           _ZN7rocprim17ROCPRIM_400000_NS6detail17trampoline_kernelINS0_14default_configENS1_25partition_config_selectorILNS1_17partition_subalgoE9EllbEEZZNS1_14partition_implILS5_9ELb0ES3_jPlS8_PNS0_10empty_typeENS0_5tupleIJS8_S9_EEENSB_IJS8_SA_EEENS0_18inequality_wrapperIZN2at6native12_GLOBAL__N_124unique_dim_cuda_templateIiEESt5tupleIJNSF_6TensorESK_SK_EERKSK_lbbbEUlllE0_EEPmJS9_EEE10hipError_tPvRmT3_T4_T5_T6_T7_T9_mT8_P12ihipStream_tbDpT10_ENKUlT_T0_E_clISt17integral_constantIbLb0EES19_IbLb1EEEEDaS15_S16_EUlS15_E_NS1_11comp_targetILNS1_3genE10ELNS1_11target_archE1200ELNS1_3gpuE4ELNS1_3repE0EEENS1_30default_config_static_selectorELNS0_4arch9wavefront6targetE0EEEvT1_
    .private_segment_fixed_size: 0
    .sgpr_count:     0
    .sgpr_spill_count: 0
    .symbol:         _ZN7rocprim17ROCPRIM_400000_NS6detail17trampoline_kernelINS0_14default_configENS1_25partition_config_selectorILNS1_17partition_subalgoE9EllbEEZZNS1_14partition_implILS5_9ELb0ES3_jPlS8_PNS0_10empty_typeENS0_5tupleIJS8_S9_EEENSB_IJS8_SA_EEENS0_18inequality_wrapperIZN2at6native12_GLOBAL__N_124unique_dim_cuda_templateIiEESt5tupleIJNSF_6TensorESK_SK_EERKSK_lbbbEUlllE0_EEPmJS9_EEE10hipError_tPvRmT3_T4_T5_T6_T7_T9_mT8_P12ihipStream_tbDpT10_ENKUlT_T0_E_clISt17integral_constantIbLb0EES19_IbLb1EEEEDaS15_S16_EUlS15_E_NS1_11comp_targetILNS1_3genE10ELNS1_11target_archE1200ELNS1_3gpuE4ELNS1_3repE0EEENS1_30default_config_static_selectorELNS0_4arch9wavefront6targetE0EEEvT1_.kd
    .uniform_work_group_size: 1
    .uses_dynamic_stack: false
    .vgpr_count:     0
    .vgpr_spill_count: 0
    .wavefront_size: 32
  - .args:
      - .offset:         0
        .size:           136
        .value_kind:     by_value
    .group_segment_fixed_size: 0
    .kernarg_segment_align: 8
    .kernarg_segment_size: 136
    .language:       OpenCL C
    .language_version:
      - 2
      - 0
    .max_flat_workgroup_size: 512
    .name:           _ZN7rocprim17ROCPRIM_400000_NS6detail17trampoline_kernelINS0_14default_configENS1_25partition_config_selectorILNS1_17partition_subalgoE9EllbEEZZNS1_14partition_implILS5_9ELb0ES3_jPlS8_PNS0_10empty_typeENS0_5tupleIJS8_S9_EEENSB_IJS8_SA_EEENS0_18inequality_wrapperIZN2at6native12_GLOBAL__N_124unique_dim_cuda_templateIiEESt5tupleIJNSF_6TensorESK_SK_EERKSK_lbbbEUlllE0_EEPmJS9_EEE10hipError_tPvRmT3_T4_T5_T6_T7_T9_mT8_P12ihipStream_tbDpT10_ENKUlT_T0_E_clISt17integral_constantIbLb0EES19_IbLb1EEEEDaS15_S16_EUlS15_E_NS1_11comp_targetILNS1_3genE9ELNS1_11target_archE1100ELNS1_3gpuE3ELNS1_3repE0EEENS1_30default_config_static_selectorELNS0_4arch9wavefront6targetE0EEEvT1_
    .private_segment_fixed_size: 0
    .sgpr_count:     0
    .sgpr_spill_count: 0
    .symbol:         _ZN7rocprim17ROCPRIM_400000_NS6detail17trampoline_kernelINS0_14default_configENS1_25partition_config_selectorILNS1_17partition_subalgoE9EllbEEZZNS1_14partition_implILS5_9ELb0ES3_jPlS8_PNS0_10empty_typeENS0_5tupleIJS8_S9_EEENSB_IJS8_SA_EEENS0_18inequality_wrapperIZN2at6native12_GLOBAL__N_124unique_dim_cuda_templateIiEESt5tupleIJNSF_6TensorESK_SK_EERKSK_lbbbEUlllE0_EEPmJS9_EEE10hipError_tPvRmT3_T4_T5_T6_T7_T9_mT8_P12ihipStream_tbDpT10_ENKUlT_T0_E_clISt17integral_constantIbLb0EES19_IbLb1EEEEDaS15_S16_EUlS15_E_NS1_11comp_targetILNS1_3genE9ELNS1_11target_archE1100ELNS1_3gpuE3ELNS1_3repE0EEENS1_30default_config_static_selectorELNS0_4arch9wavefront6targetE0EEEvT1_.kd
    .uniform_work_group_size: 1
    .uses_dynamic_stack: false
    .vgpr_count:     0
    .vgpr_spill_count: 0
    .wavefront_size: 32
  - .args:
      - .offset:         0
        .size:           136
        .value_kind:     by_value
    .group_segment_fixed_size: 0
    .kernarg_segment_align: 8
    .kernarg_segment_size: 136
    .language:       OpenCL C
    .language_version:
      - 2
      - 0
    .max_flat_workgroup_size: 512
    .name:           _ZN7rocprim17ROCPRIM_400000_NS6detail17trampoline_kernelINS0_14default_configENS1_25partition_config_selectorILNS1_17partition_subalgoE9EllbEEZZNS1_14partition_implILS5_9ELb0ES3_jPlS8_PNS0_10empty_typeENS0_5tupleIJS8_S9_EEENSB_IJS8_SA_EEENS0_18inequality_wrapperIZN2at6native12_GLOBAL__N_124unique_dim_cuda_templateIiEESt5tupleIJNSF_6TensorESK_SK_EERKSK_lbbbEUlllE0_EEPmJS9_EEE10hipError_tPvRmT3_T4_T5_T6_T7_T9_mT8_P12ihipStream_tbDpT10_ENKUlT_T0_E_clISt17integral_constantIbLb0EES19_IbLb1EEEEDaS15_S16_EUlS15_E_NS1_11comp_targetILNS1_3genE8ELNS1_11target_archE1030ELNS1_3gpuE2ELNS1_3repE0EEENS1_30default_config_static_selectorELNS0_4arch9wavefront6targetE0EEEvT1_
    .private_segment_fixed_size: 0
    .sgpr_count:     0
    .sgpr_spill_count: 0
    .symbol:         _ZN7rocprim17ROCPRIM_400000_NS6detail17trampoline_kernelINS0_14default_configENS1_25partition_config_selectorILNS1_17partition_subalgoE9EllbEEZZNS1_14partition_implILS5_9ELb0ES3_jPlS8_PNS0_10empty_typeENS0_5tupleIJS8_S9_EEENSB_IJS8_SA_EEENS0_18inequality_wrapperIZN2at6native12_GLOBAL__N_124unique_dim_cuda_templateIiEESt5tupleIJNSF_6TensorESK_SK_EERKSK_lbbbEUlllE0_EEPmJS9_EEE10hipError_tPvRmT3_T4_T5_T6_T7_T9_mT8_P12ihipStream_tbDpT10_ENKUlT_T0_E_clISt17integral_constantIbLb0EES19_IbLb1EEEEDaS15_S16_EUlS15_E_NS1_11comp_targetILNS1_3genE8ELNS1_11target_archE1030ELNS1_3gpuE2ELNS1_3repE0EEENS1_30default_config_static_selectorELNS0_4arch9wavefront6targetE0EEEvT1_.kd
    .uniform_work_group_size: 1
    .uses_dynamic_stack: false
    .vgpr_count:     0
    .vgpr_spill_count: 0
    .wavefront_size: 32
  - .args:
      - .offset:         0
        .size:           72
        .value_kind:     by_value
      - .offset:         72
        .size:           4
        .value_kind:     hidden_block_count_x
      - .offset:         76
        .size:           4
        .value_kind:     hidden_block_count_y
      - .offset:         80
        .size:           4
        .value_kind:     hidden_block_count_z
      - .offset:         84
        .size:           2
        .value_kind:     hidden_group_size_x
      - .offset:         86
        .size:           2
        .value_kind:     hidden_group_size_y
      - .offset:         88
        .size:           2
        .value_kind:     hidden_group_size_z
      - .offset:         90
        .size:           2
        .value_kind:     hidden_remainder_x
      - .offset:         92
        .size:           2
        .value_kind:     hidden_remainder_y
      - .offset:         94
        .size:           2
        .value_kind:     hidden_remainder_z
      - .offset:         112
        .size:           8
        .value_kind:     hidden_global_offset_x
      - .offset:         120
        .size:           8
        .value_kind:     hidden_global_offset_y
      - .offset:         128
        .size:           8
        .value_kind:     hidden_global_offset_z
      - .offset:         136
        .size:           2
        .value_kind:     hidden_grid_dims
    .group_segment_fixed_size: 16896
    .kernarg_segment_align: 8
    .kernarg_segment_size: 328
    .language:       OpenCL C
    .language_version:
      - 2
      - 0
    .max_flat_workgroup_size: 256
    .name:           _ZN7rocprim17ROCPRIM_400000_NS6detail17trampoline_kernelINS0_14default_configENS1_37merge_sort_block_sort_config_selectorIlNS0_10empty_typeEEEZNS1_21merge_sort_block_sortIS3_PlS8_PS5_S9_ZN2at6native12_GLOBAL__N_124unique_dim_cuda_templateIlEESt5tupleIJNSA_6TensorESF_SF_EERKSF_lbbbEUlllE_EE10hipError_tT0_T1_T2_T3_mRjT4_P12ihipStream_tbNS1_7vsmem_tEEUlT_E_NS1_11comp_targetILNS1_3genE0ELNS1_11target_archE4294967295ELNS1_3gpuE0ELNS1_3repE0EEENS1_30default_config_static_selectorELNS0_4arch9wavefront6targetE0EEEvSM_
    .private_segment_fixed_size: 0
    .sgpr_count:     41
    .sgpr_spill_count: 0
    .symbol:         _ZN7rocprim17ROCPRIM_400000_NS6detail17trampoline_kernelINS0_14default_configENS1_37merge_sort_block_sort_config_selectorIlNS0_10empty_typeEEEZNS1_21merge_sort_block_sortIS3_PlS8_PS5_S9_ZN2at6native12_GLOBAL__N_124unique_dim_cuda_templateIlEESt5tupleIJNSA_6TensorESF_SF_EERKSF_lbbbEUlllE_EE10hipError_tT0_T1_T2_T3_mRjT4_P12ihipStream_tbNS1_7vsmem_tEEUlT_E_NS1_11comp_targetILNS1_3genE0ELNS1_11target_archE4294967295ELNS1_3gpuE0ELNS1_3repE0EEENS1_30default_config_static_selectorELNS0_4arch9wavefront6targetE0EEEvSM_.kd
    .uniform_work_group_size: 1
    .uses_dynamic_stack: false
    .vgpr_count:     58
    .vgpr_spill_count: 0
    .wavefront_size: 32
  - .args:
      - .offset:         0
        .size:           72
        .value_kind:     by_value
    .group_segment_fixed_size: 0
    .kernarg_segment_align: 8
    .kernarg_segment_size: 72
    .language:       OpenCL C
    .language_version:
      - 2
      - 0
    .max_flat_workgroup_size: 256
    .name:           _ZN7rocprim17ROCPRIM_400000_NS6detail17trampoline_kernelINS0_14default_configENS1_37merge_sort_block_sort_config_selectorIlNS0_10empty_typeEEEZNS1_21merge_sort_block_sortIS3_PlS8_PS5_S9_ZN2at6native12_GLOBAL__N_124unique_dim_cuda_templateIlEESt5tupleIJNSA_6TensorESF_SF_EERKSF_lbbbEUlllE_EE10hipError_tT0_T1_T2_T3_mRjT4_P12ihipStream_tbNS1_7vsmem_tEEUlT_E_NS1_11comp_targetILNS1_3genE5ELNS1_11target_archE942ELNS1_3gpuE9ELNS1_3repE0EEENS1_30default_config_static_selectorELNS0_4arch9wavefront6targetE0EEEvSM_
    .private_segment_fixed_size: 0
    .sgpr_count:     0
    .sgpr_spill_count: 0
    .symbol:         _ZN7rocprim17ROCPRIM_400000_NS6detail17trampoline_kernelINS0_14default_configENS1_37merge_sort_block_sort_config_selectorIlNS0_10empty_typeEEEZNS1_21merge_sort_block_sortIS3_PlS8_PS5_S9_ZN2at6native12_GLOBAL__N_124unique_dim_cuda_templateIlEESt5tupleIJNSA_6TensorESF_SF_EERKSF_lbbbEUlllE_EE10hipError_tT0_T1_T2_T3_mRjT4_P12ihipStream_tbNS1_7vsmem_tEEUlT_E_NS1_11comp_targetILNS1_3genE5ELNS1_11target_archE942ELNS1_3gpuE9ELNS1_3repE0EEENS1_30default_config_static_selectorELNS0_4arch9wavefront6targetE0EEEvSM_.kd
    .uniform_work_group_size: 1
    .uses_dynamic_stack: false
    .vgpr_count:     0
    .vgpr_spill_count: 0
    .wavefront_size: 32
  - .args:
      - .offset:         0
        .size:           72
        .value_kind:     by_value
    .group_segment_fixed_size: 0
    .kernarg_segment_align: 8
    .kernarg_segment_size: 72
    .language:       OpenCL C
    .language_version:
      - 2
      - 0
    .max_flat_workgroup_size: 256
    .name:           _ZN7rocprim17ROCPRIM_400000_NS6detail17trampoline_kernelINS0_14default_configENS1_37merge_sort_block_sort_config_selectorIlNS0_10empty_typeEEEZNS1_21merge_sort_block_sortIS3_PlS8_PS5_S9_ZN2at6native12_GLOBAL__N_124unique_dim_cuda_templateIlEESt5tupleIJNSA_6TensorESF_SF_EERKSF_lbbbEUlllE_EE10hipError_tT0_T1_T2_T3_mRjT4_P12ihipStream_tbNS1_7vsmem_tEEUlT_E_NS1_11comp_targetILNS1_3genE4ELNS1_11target_archE910ELNS1_3gpuE8ELNS1_3repE0EEENS1_30default_config_static_selectorELNS0_4arch9wavefront6targetE0EEEvSM_
    .private_segment_fixed_size: 0
    .sgpr_count:     0
    .sgpr_spill_count: 0
    .symbol:         _ZN7rocprim17ROCPRIM_400000_NS6detail17trampoline_kernelINS0_14default_configENS1_37merge_sort_block_sort_config_selectorIlNS0_10empty_typeEEEZNS1_21merge_sort_block_sortIS3_PlS8_PS5_S9_ZN2at6native12_GLOBAL__N_124unique_dim_cuda_templateIlEESt5tupleIJNSA_6TensorESF_SF_EERKSF_lbbbEUlllE_EE10hipError_tT0_T1_T2_T3_mRjT4_P12ihipStream_tbNS1_7vsmem_tEEUlT_E_NS1_11comp_targetILNS1_3genE4ELNS1_11target_archE910ELNS1_3gpuE8ELNS1_3repE0EEENS1_30default_config_static_selectorELNS0_4arch9wavefront6targetE0EEEvSM_.kd
    .uniform_work_group_size: 1
    .uses_dynamic_stack: false
    .vgpr_count:     0
    .vgpr_spill_count: 0
    .wavefront_size: 32
  - .args:
      - .offset:         0
        .size:           72
        .value_kind:     by_value
    .group_segment_fixed_size: 0
    .kernarg_segment_align: 8
    .kernarg_segment_size: 72
    .language:       OpenCL C
    .language_version:
      - 2
      - 0
    .max_flat_workgroup_size: 256
    .name:           _ZN7rocprim17ROCPRIM_400000_NS6detail17trampoline_kernelINS0_14default_configENS1_37merge_sort_block_sort_config_selectorIlNS0_10empty_typeEEEZNS1_21merge_sort_block_sortIS3_PlS8_PS5_S9_ZN2at6native12_GLOBAL__N_124unique_dim_cuda_templateIlEESt5tupleIJNSA_6TensorESF_SF_EERKSF_lbbbEUlllE_EE10hipError_tT0_T1_T2_T3_mRjT4_P12ihipStream_tbNS1_7vsmem_tEEUlT_E_NS1_11comp_targetILNS1_3genE3ELNS1_11target_archE908ELNS1_3gpuE7ELNS1_3repE0EEENS1_30default_config_static_selectorELNS0_4arch9wavefront6targetE0EEEvSM_
    .private_segment_fixed_size: 0
    .sgpr_count:     0
    .sgpr_spill_count: 0
    .symbol:         _ZN7rocprim17ROCPRIM_400000_NS6detail17trampoline_kernelINS0_14default_configENS1_37merge_sort_block_sort_config_selectorIlNS0_10empty_typeEEEZNS1_21merge_sort_block_sortIS3_PlS8_PS5_S9_ZN2at6native12_GLOBAL__N_124unique_dim_cuda_templateIlEESt5tupleIJNSA_6TensorESF_SF_EERKSF_lbbbEUlllE_EE10hipError_tT0_T1_T2_T3_mRjT4_P12ihipStream_tbNS1_7vsmem_tEEUlT_E_NS1_11comp_targetILNS1_3genE3ELNS1_11target_archE908ELNS1_3gpuE7ELNS1_3repE0EEENS1_30default_config_static_selectorELNS0_4arch9wavefront6targetE0EEEvSM_.kd
    .uniform_work_group_size: 1
    .uses_dynamic_stack: false
    .vgpr_count:     0
    .vgpr_spill_count: 0
    .wavefront_size: 32
  - .args:
      - .offset:         0
        .size:           72
        .value_kind:     by_value
    .group_segment_fixed_size: 0
    .kernarg_segment_align: 8
    .kernarg_segment_size: 72
    .language:       OpenCL C
    .language_version:
      - 2
      - 0
    .max_flat_workgroup_size: 256
    .name:           _ZN7rocprim17ROCPRIM_400000_NS6detail17trampoline_kernelINS0_14default_configENS1_37merge_sort_block_sort_config_selectorIlNS0_10empty_typeEEEZNS1_21merge_sort_block_sortIS3_PlS8_PS5_S9_ZN2at6native12_GLOBAL__N_124unique_dim_cuda_templateIlEESt5tupleIJNSA_6TensorESF_SF_EERKSF_lbbbEUlllE_EE10hipError_tT0_T1_T2_T3_mRjT4_P12ihipStream_tbNS1_7vsmem_tEEUlT_E_NS1_11comp_targetILNS1_3genE2ELNS1_11target_archE906ELNS1_3gpuE6ELNS1_3repE0EEENS1_30default_config_static_selectorELNS0_4arch9wavefront6targetE0EEEvSM_
    .private_segment_fixed_size: 0
    .sgpr_count:     0
    .sgpr_spill_count: 0
    .symbol:         _ZN7rocprim17ROCPRIM_400000_NS6detail17trampoline_kernelINS0_14default_configENS1_37merge_sort_block_sort_config_selectorIlNS0_10empty_typeEEEZNS1_21merge_sort_block_sortIS3_PlS8_PS5_S9_ZN2at6native12_GLOBAL__N_124unique_dim_cuda_templateIlEESt5tupleIJNSA_6TensorESF_SF_EERKSF_lbbbEUlllE_EE10hipError_tT0_T1_T2_T3_mRjT4_P12ihipStream_tbNS1_7vsmem_tEEUlT_E_NS1_11comp_targetILNS1_3genE2ELNS1_11target_archE906ELNS1_3gpuE6ELNS1_3repE0EEENS1_30default_config_static_selectorELNS0_4arch9wavefront6targetE0EEEvSM_.kd
    .uniform_work_group_size: 1
    .uses_dynamic_stack: false
    .vgpr_count:     0
    .vgpr_spill_count: 0
    .wavefront_size: 32
  - .args:
      - .offset:         0
        .size:           72
        .value_kind:     by_value
    .group_segment_fixed_size: 0
    .kernarg_segment_align: 8
    .kernarg_segment_size: 72
    .language:       OpenCL C
    .language_version:
      - 2
      - 0
    .max_flat_workgroup_size: 256
    .name:           _ZN7rocprim17ROCPRIM_400000_NS6detail17trampoline_kernelINS0_14default_configENS1_37merge_sort_block_sort_config_selectorIlNS0_10empty_typeEEEZNS1_21merge_sort_block_sortIS3_PlS8_PS5_S9_ZN2at6native12_GLOBAL__N_124unique_dim_cuda_templateIlEESt5tupleIJNSA_6TensorESF_SF_EERKSF_lbbbEUlllE_EE10hipError_tT0_T1_T2_T3_mRjT4_P12ihipStream_tbNS1_7vsmem_tEEUlT_E_NS1_11comp_targetILNS1_3genE10ELNS1_11target_archE1201ELNS1_3gpuE5ELNS1_3repE0EEENS1_30default_config_static_selectorELNS0_4arch9wavefront6targetE0EEEvSM_
    .private_segment_fixed_size: 0
    .sgpr_count:     0
    .sgpr_spill_count: 0
    .symbol:         _ZN7rocprim17ROCPRIM_400000_NS6detail17trampoline_kernelINS0_14default_configENS1_37merge_sort_block_sort_config_selectorIlNS0_10empty_typeEEEZNS1_21merge_sort_block_sortIS3_PlS8_PS5_S9_ZN2at6native12_GLOBAL__N_124unique_dim_cuda_templateIlEESt5tupleIJNSA_6TensorESF_SF_EERKSF_lbbbEUlllE_EE10hipError_tT0_T1_T2_T3_mRjT4_P12ihipStream_tbNS1_7vsmem_tEEUlT_E_NS1_11comp_targetILNS1_3genE10ELNS1_11target_archE1201ELNS1_3gpuE5ELNS1_3repE0EEENS1_30default_config_static_selectorELNS0_4arch9wavefront6targetE0EEEvSM_.kd
    .uniform_work_group_size: 1
    .uses_dynamic_stack: false
    .vgpr_count:     0
    .vgpr_spill_count: 0
    .wavefront_size: 32
  - .args:
      - .offset:         0
        .size:           72
        .value_kind:     by_value
    .group_segment_fixed_size: 0
    .kernarg_segment_align: 8
    .kernarg_segment_size: 72
    .language:       OpenCL C
    .language_version:
      - 2
      - 0
    .max_flat_workgroup_size: 512
    .name:           _ZN7rocprim17ROCPRIM_400000_NS6detail17trampoline_kernelINS0_14default_configENS1_37merge_sort_block_sort_config_selectorIlNS0_10empty_typeEEEZNS1_21merge_sort_block_sortIS3_PlS8_PS5_S9_ZN2at6native12_GLOBAL__N_124unique_dim_cuda_templateIlEESt5tupleIJNSA_6TensorESF_SF_EERKSF_lbbbEUlllE_EE10hipError_tT0_T1_T2_T3_mRjT4_P12ihipStream_tbNS1_7vsmem_tEEUlT_E_NS1_11comp_targetILNS1_3genE10ELNS1_11target_archE1200ELNS1_3gpuE4ELNS1_3repE0EEENS1_30default_config_static_selectorELNS0_4arch9wavefront6targetE0EEEvSM_
    .private_segment_fixed_size: 0
    .sgpr_count:     0
    .sgpr_spill_count: 0
    .symbol:         _ZN7rocprim17ROCPRIM_400000_NS6detail17trampoline_kernelINS0_14default_configENS1_37merge_sort_block_sort_config_selectorIlNS0_10empty_typeEEEZNS1_21merge_sort_block_sortIS3_PlS8_PS5_S9_ZN2at6native12_GLOBAL__N_124unique_dim_cuda_templateIlEESt5tupleIJNSA_6TensorESF_SF_EERKSF_lbbbEUlllE_EE10hipError_tT0_T1_T2_T3_mRjT4_P12ihipStream_tbNS1_7vsmem_tEEUlT_E_NS1_11comp_targetILNS1_3genE10ELNS1_11target_archE1200ELNS1_3gpuE4ELNS1_3repE0EEENS1_30default_config_static_selectorELNS0_4arch9wavefront6targetE0EEEvSM_.kd
    .uniform_work_group_size: 1
    .uses_dynamic_stack: false
    .vgpr_count:     0
    .vgpr_spill_count: 0
    .wavefront_size: 32
  - .args:
      - .offset:         0
        .size:           72
        .value_kind:     by_value
    .group_segment_fixed_size: 0
    .kernarg_segment_align: 8
    .kernarg_segment_size: 72
    .language:       OpenCL C
    .language_version:
      - 2
      - 0
    .max_flat_workgroup_size: 256
    .name:           _ZN7rocprim17ROCPRIM_400000_NS6detail17trampoline_kernelINS0_14default_configENS1_37merge_sort_block_sort_config_selectorIlNS0_10empty_typeEEEZNS1_21merge_sort_block_sortIS3_PlS8_PS5_S9_ZN2at6native12_GLOBAL__N_124unique_dim_cuda_templateIlEESt5tupleIJNSA_6TensorESF_SF_EERKSF_lbbbEUlllE_EE10hipError_tT0_T1_T2_T3_mRjT4_P12ihipStream_tbNS1_7vsmem_tEEUlT_E_NS1_11comp_targetILNS1_3genE9ELNS1_11target_archE1100ELNS1_3gpuE3ELNS1_3repE0EEENS1_30default_config_static_selectorELNS0_4arch9wavefront6targetE0EEEvSM_
    .private_segment_fixed_size: 0
    .sgpr_count:     0
    .sgpr_spill_count: 0
    .symbol:         _ZN7rocprim17ROCPRIM_400000_NS6detail17trampoline_kernelINS0_14default_configENS1_37merge_sort_block_sort_config_selectorIlNS0_10empty_typeEEEZNS1_21merge_sort_block_sortIS3_PlS8_PS5_S9_ZN2at6native12_GLOBAL__N_124unique_dim_cuda_templateIlEESt5tupleIJNSA_6TensorESF_SF_EERKSF_lbbbEUlllE_EE10hipError_tT0_T1_T2_T3_mRjT4_P12ihipStream_tbNS1_7vsmem_tEEUlT_E_NS1_11comp_targetILNS1_3genE9ELNS1_11target_archE1100ELNS1_3gpuE3ELNS1_3repE0EEENS1_30default_config_static_selectorELNS0_4arch9wavefront6targetE0EEEvSM_.kd
    .uniform_work_group_size: 1
    .uses_dynamic_stack: false
    .vgpr_count:     0
    .vgpr_spill_count: 0
    .wavefront_size: 32
  - .args:
      - .offset:         0
        .size:           72
        .value_kind:     by_value
    .group_segment_fixed_size: 0
    .kernarg_segment_align: 8
    .kernarg_segment_size: 72
    .language:       OpenCL C
    .language_version:
      - 2
      - 0
    .max_flat_workgroup_size: 256
    .name:           _ZN7rocprim17ROCPRIM_400000_NS6detail17trampoline_kernelINS0_14default_configENS1_37merge_sort_block_sort_config_selectorIlNS0_10empty_typeEEEZNS1_21merge_sort_block_sortIS3_PlS8_PS5_S9_ZN2at6native12_GLOBAL__N_124unique_dim_cuda_templateIlEESt5tupleIJNSA_6TensorESF_SF_EERKSF_lbbbEUlllE_EE10hipError_tT0_T1_T2_T3_mRjT4_P12ihipStream_tbNS1_7vsmem_tEEUlT_E_NS1_11comp_targetILNS1_3genE8ELNS1_11target_archE1030ELNS1_3gpuE2ELNS1_3repE0EEENS1_30default_config_static_selectorELNS0_4arch9wavefront6targetE0EEEvSM_
    .private_segment_fixed_size: 0
    .sgpr_count:     0
    .sgpr_spill_count: 0
    .symbol:         _ZN7rocprim17ROCPRIM_400000_NS6detail17trampoline_kernelINS0_14default_configENS1_37merge_sort_block_sort_config_selectorIlNS0_10empty_typeEEEZNS1_21merge_sort_block_sortIS3_PlS8_PS5_S9_ZN2at6native12_GLOBAL__N_124unique_dim_cuda_templateIlEESt5tupleIJNSA_6TensorESF_SF_EERKSF_lbbbEUlllE_EE10hipError_tT0_T1_T2_T3_mRjT4_P12ihipStream_tbNS1_7vsmem_tEEUlT_E_NS1_11comp_targetILNS1_3genE8ELNS1_11target_archE1030ELNS1_3gpuE2ELNS1_3repE0EEENS1_30default_config_static_selectorELNS0_4arch9wavefront6targetE0EEEvSM_.kd
    .uniform_work_group_size: 1
    .uses_dynamic_stack: false
    .vgpr_count:     0
    .vgpr_spill_count: 0
    .wavefront_size: 32
  - .args:
      - .offset:         0
        .size:           56
        .value_kind:     by_value
    .group_segment_fixed_size: 0
    .kernarg_segment_align: 8
    .kernarg_segment_size: 56
    .language:       OpenCL C
    .language_version:
      - 2
      - 0
    .max_flat_workgroup_size: 128
    .name:           _ZN7rocprim17ROCPRIM_400000_NS6detail17trampoline_kernelINS0_14default_configENS1_38merge_sort_block_merge_config_selectorIlNS0_10empty_typeEEEZZNS1_27merge_sort_block_merge_implIS3_PlPS5_mZN2at6native12_GLOBAL__N_124unique_dim_cuda_templateIlEESt5tupleIJNSA_6TensorESF_SF_EERKSF_lbbbEUlllE_EE10hipError_tT0_T1_T2_jT3_P12ihipStream_tbPNSt15iterator_traitsISL_E10value_typeEPNSR_ISM_E10value_typeEPSN_NS1_7vsmem_tEENKUlT_SL_SM_SN_E_clIS8_S8_S9_S9_EESK_S10_SL_SM_SN_EUlS10_E_NS1_11comp_targetILNS1_3genE0ELNS1_11target_archE4294967295ELNS1_3gpuE0ELNS1_3repE0EEENS1_48merge_mergepath_partition_config_static_selectorELNS0_4arch9wavefront6targetE0EEEvSM_
    .private_segment_fixed_size: 0
    .sgpr_count:     22
    .sgpr_spill_count: 0
    .symbol:         _ZN7rocprim17ROCPRIM_400000_NS6detail17trampoline_kernelINS0_14default_configENS1_38merge_sort_block_merge_config_selectorIlNS0_10empty_typeEEEZZNS1_27merge_sort_block_merge_implIS3_PlPS5_mZN2at6native12_GLOBAL__N_124unique_dim_cuda_templateIlEESt5tupleIJNSA_6TensorESF_SF_EERKSF_lbbbEUlllE_EE10hipError_tT0_T1_T2_jT3_P12ihipStream_tbPNSt15iterator_traitsISL_E10value_typeEPNSR_ISM_E10value_typeEPSN_NS1_7vsmem_tEENKUlT_SL_SM_SN_E_clIS8_S8_S9_S9_EESK_S10_SL_SM_SN_EUlS10_E_NS1_11comp_targetILNS1_3genE0ELNS1_11target_archE4294967295ELNS1_3gpuE0ELNS1_3repE0EEENS1_48merge_mergepath_partition_config_static_selectorELNS0_4arch9wavefront6targetE0EEEvSM_.kd
    .uniform_work_group_size: 1
    .uses_dynamic_stack: false
    .vgpr_count:     22
    .vgpr_spill_count: 0
    .wavefront_size: 32
  - .args:
      - .offset:         0
        .size:           56
        .value_kind:     by_value
    .group_segment_fixed_size: 0
    .kernarg_segment_align: 8
    .kernarg_segment_size: 56
    .language:       OpenCL C
    .language_version:
      - 2
      - 0
    .max_flat_workgroup_size: 128
    .name:           _ZN7rocprim17ROCPRIM_400000_NS6detail17trampoline_kernelINS0_14default_configENS1_38merge_sort_block_merge_config_selectorIlNS0_10empty_typeEEEZZNS1_27merge_sort_block_merge_implIS3_PlPS5_mZN2at6native12_GLOBAL__N_124unique_dim_cuda_templateIlEESt5tupleIJNSA_6TensorESF_SF_EERKSF_lbbbEUlllE_EE10hipError_tT0_T1_T2_jT3_P12ihipStream_tbPNSt15iterator_traitsISL_E10value_typeEPNSR_ISM_E10value_typeEPSN_NS1_7vsmem_tEENKUlT_SL_SM_SN_E_clIS8_S8_S9_S9_EESK_S10_SL_SM_SN_EUlS10_E_NS1_11comp_targetILNS1_3genE10ELNS1_11target_archE1201ELNS1_3gpuE5ELNS1_3repE0EEENS1_48merge_mergepath_partition_config_static_selectorELNS0_4arch9wavefront6targetE0EEEvSM_
    .private_segment_fixed_size: 0
    .sgpr_count:     0
    .sgpr_spill_count: 0
    .symbol:         _ZN7rocprim17ROCPRIM_400000_NS6detail17trampoline_kernelINS0_14default_configENS1_38merge_sort_block_merge_config_selectorIlNS0_10empty_typeEEEZZNS1_27merge_sort_block_merge_implIS3_PlPS5_mZN2at6native12_GLOBAL__N_124unique_dim_cuda_templateIlEESt5tupleIJNSA_6TensorESF_SF_EERKSF_lbbbEUlllE_EE10hipError_tT0_T1_T2_jT3_P12ihipStream_tbPNSt15iterator_traitsISL_E10value_typeEPNSR_ISM_E10value_typeEPSN_NS1_7vsmem_tEENKUlT_SL_SM_SN_E_clIS8_S8_S9_S9_EESK_S10_SL_SM_SN_EUlS10_E_NS1_11comp_targetILNS1_3genE10ELNS1_11target_archE1201ELNS1_3gpuE5ELNS1_3repE0EEENS1_48merge_mergepath_partition_config_static_selectorELNS0_4arch9wavefront6targetE0EEEvSM_.kd
    .uniform_work_group_size: 1
    .uses_dynamic_stack: false
    .vgpr_count:     0
    .vgpr_spill_count: 0
    .wavefront_size: 32
  - .args:
      - .offset:         0
        .size:           56
        .value_kind:     by_value
    .group_segment_fixed_size: 0
    .kernarg_segment_align: 8
    .kernarg_segment_size: 56
    .language:       OpenCL C
    .language_version:
      - 2
      - 0
    .max_flat_workgroup_size: 128
    .name:           _ZN7rocprim17ROCPRIM_400000_NS6detail17trampoline_kernelINS0_14default_configENS1_38merge_sort_block_merge_config_selectorIlNS0_10empty_typeEEEZZNS1_27merge_sort_block_merge_implIS3_PlPS5_mZN2at6native12_GLOBAL__N_124unique_dim_cuda_templateIlEESt5tupleIJNSA_6TensorESF_SF_EERKSF_lbbbEUlllE_EE10hipError_tT0_T1_T2_jT3_P12ihipStream_tbPNSt15iterator_traitsISL_E10value_typeEPNSR_ISM_E10value_typeEPSN_NS1_7vsmem_tEENKUlT_SL_SM_SN_E_clIS8_S8_S9_S9_EESK_S10_SL_SM_SN_EUlS10_E_NS1_11comp_targetILNS1_3genE5ELNS1_11target_archE942ELNS1_3gpuE9ELNS1_3repE0EEENS1_48merge_mergepath_partition_config_static_selectorELNS0_4arch9wavefront6targetE0EEEvSM_
    .private_segment_fixed_size: 0
    .sgpr_count:     0
    .sgpr_spill_count: 0
    .symbol:         _ZN7rocprim17ROCPRIM_400000_NS6detail17trampoline_kernelINS0_14default_configENS1_38merge_sort_block_merge_config_selectorIlNS0_10empty_typeEEEZZNS1_27merge_sort_block_merge_implIS3_PlPS5_mZN2at6native12_GLOBAL__N_124unique_dim_cuda_templateIlEESt5tupleIJNSA_6TensorESF_SF_EERKSF_lbbbEUlllE_EE10hipError_tT0_T1_T2_jT3_P12ihipStream_tbPNSt15iterator_traitsISL_E10value_typeEPNSR_ISM_E10value_typeEPSN_NS1_7vsmem_tEENKUlT_SL_SM_SN_E_clIS8_S8_S9_S9_EESK_S10_SL_SM_SN_EUlS10_E_NS1_11comp_targetILNS1_3genE5ELNS1_11target_archE942ELNS1_3gpuE9ELNS1_3repE0EEENS1_48merge_mergepath_partition_config_static_selectorELNS0_4arch9wavefront6targetE0EEEvSM_.kd
    .uniform_work_group_size: 1
    .uses_dynamic_stack: false
    .vgpr_count:     0
    .vgpr_spill_count: 0
    .wavefront_size: 32
  - .args:
      - .offset:         0
        .size:           56
        .value_kind:     by_value
    .group_segment_fixed_size: 0
    .kernarg_segment_align: 8
    .kernarg_segment_size: 56
    .language:       OpenCL C
    .language_version:
      - 2
      - 0
    .max_flat_workgroup_size: 128
    .name:           _ZN7rocprim17ROCPRIM_400000_NS6detail17trampoline_kernelINS0_14default_configENS1_38merge_sort_block_merge_config_selectorIlNS0_10empty_typeEEEZZNS1_27merge_sort_block_merge_implIS3_PlPS5_mZN2at6native12_GLOBAL__N_124unique_dim_cuda_templateIlEESt5tupleIJNSA_6TensorESF_SF_EERKSF_lbbbEUlllE_EE10hipError_tT0_T1_T2_jT3_P12ihipStream_tbPNSt15iterator_traitsISL_E10value_typeEPNSR_ISM_E10value_typeEPSN_NS1_7vsmem_tEENKUlT_SL_SM_SN_E_clIS8_S8_S9_S9_EESK_S10_SL_SM_SN_EUlS10_E_NS1_11comp_targetILNS1_3genE4ELNS1_11target_archE910ELNS1_3gpuE8ELNS1_3repE0EEENS1_48merge_mergepath_partition_config_static_selectorELNS0_4arch9wavefront6targetE0EEEvSM_
    .private_segment_fixed_size: 0
    .sgpr_count:     0
    .sgpr_spill_count: 0
    .symbol:         _ZN7rocprim17ROCPRIM_400000_NS6detail17trampoline_kernelINS0_14default_configENS1_38merge_sort_block_merge_config_selectorIlNS0_10empty_typeEEEZZNS1_27merge_sort_block_merge_implIS3_PlPS5_mZN2at6native12_GLOBAL__N_124unique_dim_cuda_templateIlEESt5tupleIJNSA_6TensorESF_SF_EERKSF_lbbbEUlllE_EE10hipError_tT0_T1_T2_jT3_P12ihipStream_tbPNSt15iterator_traitsISL_E10value_typeEPNSR_ISM_E10value_typeEPSN_NS1_7vsmem_tEENKUlT_SL_SM_SN_E_clIS8_S8_S9_S9_EESK_S10_SL_SM_SN_EUlS10_E_NS1_11comp_targetILNS1_3genE4ELNS1_11target_archE910ELNS1_3gpuE8ELNS1_3repE0EEENS1_48merge_mergepath_partition_config_static_selectorELNS0_4arch9wavefront6targetE0EEEvSM_.kd
    .uniform_work_group_size: 1
    .uses_dynamic_stack: false
    .vgpr_count:     0
    .vgpr_spill_count: 0
    .wavefront_size: 32
  - .args:
      - .offset:         0
        .size:           56
        .value_kind:     by_value
    .group_segment_fixed_size: 0
    .kernarg_segment_align: 8
    .kernarg_segment_size: 56
    .language:       OpenCL C
    .language_version:
      - 2
      - 0
    .max_flat_workgroup_size: 128
    .name:           _ZN7rocprim17ROCPRIM_400000_NS6detail17trampoline_kernelINS0_14default_configENS1_38merge_sort_block_merge_config_selectorIlNS0_10empty_typeEEEZZNS1_27merge_sort_block_merge_implIS3_PlPS5_mZN2at6native12_GLOBAL__N_124unique_dim_cuda_templateIlEESt5tupleIJNSA_6TensorESF_SF_EERKSF_lbbbEUlllE_EE10hipError_tT0_T1_T2_jT3_P12ihipStream_tbPNSt15iterator_traitsISL_E10value_typeEPNSR_ISM_E10value_typeEPSN_NS1_7vsmem_tEENKUlT_SL_SM_SN_E_clIS8_S8_S9_S9_EESK_S10_SL_SM_SN_EUlS10_E_NS1_11comp_targetILNS1_3genE3ELNS1_11target_archE908ELNS1_3gpuE7ELNS1_3repE0EEENS1_48merge_mergepath_partition_config_static_selectorELNS0_4arch9wavefront6targetE0EEEvSM_
    .private_segment_fixed_size: 0
    .sgpr_count:     0
    .sgpr_spill_count: 0
    .symbol:         _ZN7rocprim17ROCPRIM_400000_NS6detail17trampoline_kernelINS0_14default_configENS1_38merge_sort_block_merge_config_selectorIlNS0_10empty_typeEEEZZNS1_27merge_sort_block_merge_implIS3_PlPS5_mZN2at6native12_GLOBAL__N_124unique_dim_cuda_templateIlEESt5tupleIJNSA_6TensorESF_SF_EERKSF_lbbbEUlllE_EE10hipError_tT0_T1_T2_jT3_P12ihipStream_tbPNSt15iterator_traitsISL_E10value_typeEPNSR_ISM_E10value_typeEPSN_NS1_7vsmem_tEENKUlT_SL_SM_SN_E_clIS8_S8_S9_S9_EESK_S10_SL_SM_SN_EUlS10_E_NS1_11comp_targetILNS1_3genE3ELNS1_11target_archE908ELNS1_3gpuE7ELNS1_3repE0EEENS1_48merge_mergepath_partition_config_static_selectorELNS0_4arch9wavefront6targetE0EEEvSM_.kd
    .uniform_work_group_size: 1
    .uses_dynamic_stack: false
    .vgpr_count:     0
    .vgpr_spill_count: 0
    .wavefront_size: 32
  - .args:
      - .offset:         0
        .size:           56
        .value_kind:     by_value
    .group_segment_fixed_size: 0
    .kernarg_segment_align: 8
    .kernarg_segment_size: 56
    .language:       OpenCL C
    .language_version:
      - 2
      - 0
    .max_flat_workgroup_size: 128
    .name:           _ZN7rocprim17ROCPRIM_400000_NS6detail17trampoline_kernelINS0_14default_configENS1_38merge_sort_block_merge_config_selectorIlNS0_10empty_typeEEEZZNS1_27merge_sort_block_merge_implIS3_PlPS5_mZN2at6native12_GLOBAL__N_124unique_dim_cuda_templateIlEESt5tupleIJNSA_6TensorESF_SF_EERKSF_lbbbEUlllE_EE10hipError_tT0_T1_T2_jT3_P12ihipStream_tbPNSt15iterator_traitsISL_E10value_typeEPNSR_ISM_E10value_typeEPSN_NS1_7vsmem_tEENKUlT_SL_SM_SN_E_clIS8_S8_S9_S9_EESK_S10_SL_SM_SN_EUlS10_E_NS1_11comp_targetILNS1_3genE2ELNS1_11target_archE906ELNS1_3gpuE6ELNS1_3repE0EEENS1_48merge_mergepath_partition_config_static_selectorELNS0_4arch9wavefront6targetE0EEEvSM_
    .private_segment_fixed_size: 0
    .sgpr_count:     0
    .sgpr_spill_count: 0
    .symbol:         _ZN7rocprim17ROCPRIM_400000_NS6detail17trampoline_kernelINS0_14default_configENS1_38merge_sort_block_merge_config_selectorIlNS0_10empty_typeEEEZZNS1_27merge_sort_block_merge_implIS3_PlPS5_mZN2at6native12_GLOBAL__N_124unique_dim_cuda_templateIlEESt5tupleIJNSA_6TensorESF_SF_EERKSF_lbbbEUlllE_EE10hipError_tT0_T1_T2_jT3_P12ihipStream_tbPNSt15iterator_traitsISL_E10value_typeEPNSR_ISM_E10value_typeEPSN_NS1_7vsmem_tEENKUlT_SL_SM_SN_E_clIS8_S8_S9_S9_EESK_S10_SL_SM_SN_EUlS10_E_NS1_11comp_targetILNS1_3genE2ELNS1_11target_archE906ELNS1_3gpuE6ELNS1_3repE0EEENS1_48merge_mergepath_partition_config_static_selectorELNS0_4arch9wavefront6targetE0EEEvSM_.kd
    .uniform_work_group_size: 1
    .uses_dynamic_stack: false
    .vgpr_count:     0
    .vgpr_spill_count: 0
    .wavefront_size: 32
  - .args:
      - .offset:         0
        .size:           56
        .value_kind:     by_value
    .group_segment_fixed_size: 0
    .kernarg_segment_align: 8
    .kernarg_segment_size: 56
    .language:       OpenCL C
    .language_version:
      - 2
      - 0
    .max_flat_workgroup_size: 128
    .name:           _ZN7rocprim17ROCPRIM_400000_NS6detail17trampoline_kernelINS0_14default_configENS1_38merge_sort_block_merge_config_selectorIlNS0_10empty_typeEEEZZNS1_27merge_sort_block_merge_implIS3_PlPS5_mZN2at6native12_GLOBAL__N_124unique_dim_cuda_templateIlEESt5tupleIJNSA_6TensorESF_SF_EERKSF_lbbbEUlllE_EE10hipError_tT0_T1_T2_jT3_P12ihipStream_tbPNSt15iterator_traitsISL_E10value_typeEPNSR_ISM_E10value_typeEPSN_NS1_7vsmem_tEENKUlT_SL_SM_SN_E_clIS8_S8_S9_S9_EESK_S10_SL_SM_SN_EUlS10_E_NS1_11comp_targetILNS1_3genE9ELNS1_11target_archE1100ELNS1_3gpuE3ELNS1_3repE0EEENS1_48merge_mergepath_partition_config_static_selectorELNS0_4arch9wavefront6targetE0EEEvSM_
    .private_segment_fixed_size: 0
    .sgpr_count:     0
    .sgpr_spill_count: 0
    .symbol:         _ZN7rocprim17ROCPRIM_400000_NS6detail17trampoline_kernelINS0_14default_configENS1_38merge_sort_block_merge_config_selectorIlNS0_10empty_typeEEEZZNS1_27merge_sort_block_merge_implIS3_PlPS5_mZN2at6native12_GLOBAL__N_124unique_dim_cuda_templateIlEESt5tupleIJNSA_6TensorESF_SF_EERKSF_lbbbEUlllE_EE10hipError_tT0_T1_T2_jT3_P12ihipStream_tbPNSt15iterator_traitsISL_E10value_typeEPNSR_ISM_E10value_typeEPSN_NS1_7vsmem_tEENKUlT_SL_SM_SN_E_clIS8_S8_S9_S9_EESK_S10_SL_SM_SN_EUlS10_E_NS1_11comp_targetILNS1_3genE9ELNS1_11target_archE1100ELNS1_3gpuE3ELNS1_3repE0EEENS1_48merge_mergepath_partition_config_static_selectorELNS0_4arch9wavefront6targetE0EEEvSM_.kd
    .uniform_work_group_size: 1
    .uses_dynamic_stack: false
    .vgpr_count:     0
    .vgpr_spill_count: 0
    .wavefront_size: 32
  - .args:
      - .offset:         0
        .size:           56
        .value_kind:     by_value
    .group_segment_fixed_size: 0
    .kernarg_segment_align: 8
    .kernarg_segment_size: 56
    .language:       OpenCL C
    .language_version:
      - 2
      - 0
    .max_flat_workgroup_size: 128
    .name:           _ZN7rocprim17ROCPRIM_400000_NS6detail17trampoline_kernelINS0_14default_configENS1_38merge_sort_block_merge_config_selectorIlNS0_10empty_typeEEEZZNS1_27merge_sort_block_merge_implIS3_PlPS5_mZN2at6native12_GLOBAL__N_124unique_dim_cuda_templateIlEESt5tupleIJNSA_6TensorESF_SF_EERKSF_lbbbEUlllE_EE10hipError_tT0_T1_T2_jT3_P12ihipStream_tbPNSt15iterator_traitsISL_E10value_typeEPNSR_ISM_E10value_typeEPSN_NS1_7vsmem_tEENKUlT_SL_SM_SN_E_clIS8_S8_S9_S9_EESK_S10_SL_SM_SN_EUlS10_E_NS1_11comp_targetILNS1_3genE8ELNS1_11target_archE1030ELNS1_3gpuE2ELNS1_3repE0EEENS1_48merge_mergepath_partition_config_static_selectorELNS0_4arch9wavefront6targetE0EEEvSM_
    .private_segment_fixed_size: 0
    .sgpr_count:     0
    .sgpr_spill_count: 0
    .symbol:         _ZN7rocprim17ROCPRIM_400000_NS6detail17trampoline_kernelINS0_14default_configENS1_38merge_sort_block_merge_config_selectorIlNS0_10empty_typeEEEZZNS1_27merge_sort_block_merge_implIS3_PlPS5_mZN2at6native12_GLOBAL__N_124unique_dim_cuda_templateIlEESt5tupleIJNSA_6TensorESF_SF_EERKSF_lbbbEUlllE_EE10hipError_tT0_T1_T2_jT3_P12ihipStream_tbPNSt15iterator_traitsISL_E10value_typeEPNSR_ISM_E10value_typeEPSN_NS1_7vsmem_tEENKUlT_SL_SM_SN_E_clIS8_S8_S9_S9_EESK_S10_SL_SM_SN_EUlS10_E_NS1_11comp_targetILNS1_3genE8ELNS1_11target_archE1030ELNS1_3gpuE2ELNS1_3repE0EEENS1_48merge_mergepath_partition_config_static_selectorELNS0_4arch9wavefront6targetE0EEEvSM_.kd
    .uniform_work_group_size: 1
    .uses_dynamic_stack: false
    .vgpr_count:     0
    .vgpr_spill_count: 0
    .wavefront_size: 32
  - .args:
      - .offset:         0
        .size:           88
        .value_kind:     by_value
      - .offset:         88
        .size:           4
        .value_kind:     hidden_block_count_x
      - .offset:         92
        .size:           4
        .value_kind:     hidden_block_count_y
      - .offset:         96
        .size:           4
        .value_kind:     hidden_block_count_z
      - .offset:         100
        .size:           2
        .value_kind:     hidden_group_size_x
      - .offset:         102
        .size:           2
        .value_kind:     hidden_group_size_y
      - .offset:         104
        .size:           2
        .value_kind:     hidden_group_size_z
      - .offset:         106
        .size:           2
        .value_kind:     hidden_remainder_x
      - .offset:         108
        .size:           2
        .value_kind:     hidden_remainder_y
      - .offset:         110
        .size:           2
        .value_kind:     hidden_remainder_z
      - .offset:         128
        .size:           8
        .value_kind:     hidden_global_offset_x
      - .offset:         136
        .size:           8
        .value_kind:     hidden_global_offset_y
      - .offset:         144
        .size:           8
        .value_kind:     hidden_global_offset_z
      - .offset:         152
        .size:           2
        .value_kind:     hidden_grid_dims
    .group_segment_fixed_size: 8448
    .kernarg_segment_align: 8
    .kernarg_segment_size: 344
    .language:       OpenCL C
    .language_version:
      - 2
      - 0
    .max_flat_workgroup_size: 128
    .name:           _ZN7rocprim17ROCPRIM_400000_NS6detail17trampoline_kernelINS0_14default_configENS1_38merge_sort_block_merge_config_selectorIlNS0_10empty_typeEEEZZNS1_27merge_sort_block_merge_implIS3_PlPS5_mZN2at6native12_GLOBAL__N_124unique_dim_cuda_templateIlEESt5tupleIJNSA_6TensorESF_SF_EERKSF_lbbbEUlllE_EE10hipError_tT0_T1_T2_jT3_P12ihipStream_tbPNSt15iterator_traitsISL_E10value_typeEPNSR_ISM_E10value_typeEPSN_NS1_7vsmem_tEENKUlT_SL_SM_SN_E_clIS8_S8_S9_S9_EESK_S10_SL_SM_SN_EUlS10_E0_NS1_11comp_targetILNS1_3genE0ELNS1_11target_archE4294967295ELNS1_3gpuE0ELNS1_3repE0EEENS1_38merge_mergepath_config_static_selectorELNS0_4arch9wavefront6targetE0EEEvSM_
    .private_segment_fixed_size: 0
    .sgpr_count:     33
    .sgpr_spill_count: 0
    .symbol:         _ZN7rocprim17ROCPRIM_400000_NS6detail17trampoline_kernelINS0_14default_configENS1_38merge_sort_block_merge_config_selectorIlNS0_10empty_typeEEEZZNS1_27merge_sort_block_merge_implIS3_PlPS5_mZN2at6native12_GLOBAL__N_124unique_dim_cuda_templateIlEESt5tupleIJNSA_6TensorESF_SF_EERKSF_lbbbEUlllE_EE10hipError_tT0_T1_T2_jT3_P12ihipStream_tbPNSt15iterator_traitsISL_E10value_typeEPNSR_ISM_E10value_typeEPSN_NS1_7vsmem_tEENKUlT_SL_SM_SN_E_clIS8_S8_S9_S9_EESK_S10_SL_SM_SN_EUlS10_E0_NS1_11comp_targetILNS1_3genE0ELNS1_11target_archE4294967295ELNS1_3gpuE0ELNS1_3repE0EEENS1_38merge_mergepath_config_static_selectorELNS0_4arch9wavefront6targetE0EEEvSM_.kd
    .uniform_work_group_size: 1
    .uses_dynamic_stack: false
    .vgpr_count:     42
    .vgpr_spill_count: 0
    .wavefront_size: 32
  - .args:
      - .offset:         0
        .size:           88
        .value_kind:     by_value
    .group_segment_fixed_size: 0
    .kernarg_segment_align: 8
    .kernarg_segment_size: 88
    .language:       OpenCL C
    .language_version:
      - 2
      - 0
    .max_flat_workgroup_size: 512
    .name:           _ZN7rocprim17ROCPRIM_400000_NS6detail17trampoline_kernelINS0_14default_configENS1_38merge_sort_block_merge_config_selectorIlNS0_10empty_typeEEEZZNS1_27merge_sort_block_merge_implIS3_PlPS5_mZN2at6native12_GLOBAL__N_124unique_dim_cuda_templateIlEESt5tupleIJNSA_6TensorESF_SF_EERKSF_lbbbEUlllE_EE10hipError_tT0_T1_T2_jT3_P12ihipStream_tbPNSt15iterator_traitsISL_E10value_typeEPNSR_ISM_E10value_typeEPSN_NS1_7vsmem_tEENKUlT_SL_SM_SN_E_clIS8_S8_S9_S9_EESK_S10_SL_SM_SN_EUlS10_E0_NS1_11comp_targetILNS1_3genE10ELNS1_11target_archE1201ELNS1_3gpuE5ELNS1_3repE0EEENS1_38merge_mergepath_config_static_selectorELNS0_4arch9wavefront6targetE0EEEvSM_
    .private_segment_fixed_size: 0
    .sgpr_count:     0
    .sgpr_spill_count: 0
    .symbol:         _ZN7rocprim17ROCPRIM_400000_NS6detail17trampoline_kernelINS0_14default_configENS1_38merge_sort_block_merge_config_selectorIlNS0_10empty_typeEEEZZNS1_27merge_sort_block_merge_implIS3_PlPS5_mZN2at6native12_GLOBAL__N_124unique_dim_cuda_templateIlEESt5tupleIJNSA_6TensorESF_SF_EERKSF_lbbbEUlllE_EE10hipError_tT0_T1_T2_jT3_P12ihipStream_tbPNSt15iterator_traitsISL_E10value_typeEPNSR_ISM_E10value_typeEPSN_NS1_7vsmem_tEENKUlT_SL_SM_SN_E_clIS8_S8_S9_S9_EESK_S10_SL_SM_SN_EUlS10_E0_NS1_11comp_targetILNS1_3genE10ELNS1_11target_archE1201ELNS1_3gpuE5ELNS1_3repE0EEENS1_38merge_mergepath_config_static_selectorELNS0_4arch9wavefront6targetE0EEEvSM_.kd
    .uniform_work_group_size: 1
    .uses_dynamic_stack: false
    .vgpr_count:     0
    .vgpr_spill_count: 0
    .wavefront_size: 32
  - .args:
      - .offset:         0
        .size:           88
        .value_kind:     by_value
    .group_segment_fixed_size: 0
    .kernarg_segment_align: 8
    .kernarg_segment_size: 88
    .language:       OpenCL C
    .language_version:
      - 2
      - 0
    .max_flat_workgroup_size: 128
    .name:           _ZN7rocprim17ROCPRIM_400000_NS6detail17trampoline_kernelINS0_14default_configENS1_38merge_sort_block_merge_config_selectorIlNS0_10empty_typeEEEZZNS1_27merge_sort_block_merge_implIS3_PlPS5_mZN2at6native12_GLOBAL__N_124unique_dim_cuda_templateIlEESt5tupleIJNSA_6TensorESF_SF_EERKSF_lbbbEUlllE_EE10hipError_tT0_T1_T2_jT3_P12ihipStream_tbPNSt15iterator_traitsISL_E10value_typeEPNSR_ISM_E10value_typeEPSN_NS1_7vsmem_tEENKUlT_SL_SM_SN_E_clIS8_S8_S9_S9_EESK_S10_SL_SM_SN_EUlS10_E0_NS1_11comp_targetILNS1_3genE5ELNS1_11target_archE942ELNS1_3gpuE9ELNS1_3repE0EEENS1_38merge_mergepath_config_static_selectorELNS0_4arch9wavefront6targetE0EEEvSM_
    .private_segment_fixed_size: 0
    .sgpr_count:     0
    .sgpr_spill_count: 0
    .symbol:         _ZN7rocprim17ROCPRIM_400000_NS6detail17trampoline_kernelINS0_14default_configENS1_38merge_sort_block_merge_config_selectorIlNS0_10empty_typeEEEZZNS1_27merge_sort_block_merge_implIS3_PlPS5_mZN2at6native12_GLOBAL__N_124unique_dim_cuda_templateIlEESt5tupleIJNSA_6TensorESF_SF_EERKSF_lbbbEUlllE_EE10hipError_tT0_T1_T2_jT3_P12ihipStream_tbPNSt15iterator_traitsISL_E10value_typeEPNSR_ISM_E10value_typeEPSN_NS1_7vsmem_tEENKUlT_SL_SM_SN_E_clIS8_S8_S9_S9_EESK_S10_SL_SM_SN_EUlS10_E0_NS1_11comp_targetILNS1_3genE5ELNS1_11target_archE942ELNS1_3gpuE9ELNS1_3repE0EEENS1_38merge_mergepath_config_static_selectorELNS0_4arch9wavefront6targetE0EEEvSM_.kd
    .uniform_work_group_size: 1
    .uses_dynamic_stack: false
    .vgpr_count:     0
    .vgpr_spill_count: 0
    .wavefront_size: 32
  - .args:
      - .offset:         0
        .size:           88
        .value_kind:     by_value
    .group_segment_fixed_size: 0
    .kernarg_segment_align: 8
    .kernarg_segment_size: 88
    .language:       OpenCL C
    .language_version:
      - 2
      - 0
    .max_flat_workgroup_size: 256
    .name:           _ZN7rocprim17ROCPRIM_400000_NS6detail17trampoline_kernelINS0_14default_configENS1_38merge_sort_block_merge_config_selectorIlNS0_10empty_typeEEEZZNS1_27merge_sort_block_merge_implIS3_PlPS5_mZN2at6native12_GLOBAL__N_124unique_dim_cuda_templateIlEESt5tupleIJNSA_6TensorESF_SF_EERKSF_lbbbEUlllE_EE10hipError_tT0_T1_T2_jT3_P12ihipStream_tbPNSt15iterator_traitsISL_E10value_typeEPNSR_ISM_E10value_typeEPSN_NS1_7vsmem_tEENKUlT_SL_SM_SN_E_clIS8_S8_S9_S9_EESK_S10_SL_SM_SN_EUlS10_E0_NS1_11comp_targetILNS1_3genE4ELNS1_11target_archE910ELNS1_3gpuE8ELNS1_3repE0EEENS1_38merge_mergepath_config_static_selectorELNS0_4arch9wavefront6targetE0EEEvSM_
    .private_segment_fixed_size: 0
    .sgpr_count:     0
    .sgpr_spill_count: 0
    .symbol:         _ZN7rocprim17ROCPRIM_400000_NS6detail17trampoline_kernelINS0_14default_configENS1_38merge_sort_block_merge_config_selectorIlNS0_10empty_typeEEEZZNS1_27merge_sort_block_merge_implIS3_PlPS5_mZN2at6native12_GLOBAL__N_124unique_dim_cuda_templateIlEESt5tupleIJNSA_6TensorESF_SF_EERKSF_lbbbEUlllE_EE10hipError_tT0_T1_T2_jT3_P12ihipStream_tbPNSt15iterator_traitsISL_E10value_typeEPNSR_ISM_E10value_typeEPSN_NS1_7vsmem_tEENKUlT_SL_SM_SN_E_clIS8_S8_S9_S9_EESK_S10_SL_SM_SN_EUlS10_E0_NS1_11comp_targetILNS1_3genE4ELNS1_11target_archE910ELNS1_3gpuE8ELNS1_3repE0EEENS1_38merge_mergepath_config_static_selectorELNS0_4arch9wavefront6targetE0EEEvSM_.kd
    .uniform_work_group_size: 1
    .uses_dynamic_stack: false
    .vgpr_count:     0
    .vgpr_spill_count: 0
    .wavefront_size: 32
  - .args:
      - .offset:         0
        .size:           88
        .value_kind:     by_value
    .group_segment_fixed_size: 0
    .kernarg_segment_align: 8
    .kernarg_segment_size: 88
    .language:       OpenCL C
    .language_version:
      - 2
      - 0
    .max_flat_workgroup_size: 128
    .name:           _ZN7rocprim17ROCPRIM_400000_NS6detail17trampoline_kernelINS0_14default_configENS1_38merge_sort_block_merge_config_selectorIlNS0_10empty_typeEEEZZNS1_27merge_sort_block_merge_implIS3_PlPS5_mZN2at6native12_GLOBAL__N_124unique_dim_cuda_templateIlEESt5tupleIJNSA_6TensorESF_SF_EERKSF_lbbbEUlllE_EE10hipError_tT0_T1_T2_jT3_P12ihipStream_tbPNSt15iterator_traitsISL_E10value_typeEPNSR_ISM_E10value_typeEPSN_NS1_7vsmem_tEENKUlT_SL_SM_SN_E_clIS8_S8_S9_S9_EESK_S10_SL_SM_SN_EUlS10_E0_NS1_11comp_targetILNS1_3genE3ELNS1_11target_archE908ELNS1_3gpuE7ELNS1_3repE0EEENS1_38merge_mergepath_config_static_selectorELNS0_4arch9wavefront6targetE0EEEvSM_
    .private_segment_fixed_size: 0
    .sgpr_count:     0
    .sgpr_spill_count: 0
    .symbol:         _ZN7rocprim17ROCPRIM_400000_NS6detail17trampoline_kernelINS0_14default_configENS1_38merge_sort_block_merge_config_selectorIlNS0_10empty_typeEEEZZNS1_27merge_sort_block_merge_implIS3_PlPS5_mZN2at6native12_GLOBAL__N_124unique_dim_cuda_templateIlEESt5tupleIJNSA_6TensorESF_SF_EERKSF_lbbbEUlllE_EE10hipError_tT0_T1_T2_jT3_P12ihipStream_tbPNSt15iterator_traitsISL_E10value_typeEPNSR_ISM_E10value_typeEPSN_NS1_7vsmem_tEENKUlT_SL_SM_SN_E_clIS8_S8_S9_S9_EESK_S10_SL_SM_SN_EUlS10_E0_NS1_11comp_targetILNS1_3genE3ELNS1_11target_archE908ELNS1_3gpuE7ELNS1_3repE0EEENS1_38merge_mergepath_config_static_selectorELNS0_4arch9wavefront6targetE0EEEvSM_.kd
    .uniform_work_group_size: 1
    .uses_dynamic_stack: false
    .vgpr_count:     0
    .vgpr_spill_count: 0
    .wavefront_size: 32
  - .args:
      - .offset:         0
        .size:           88
        .value_kind:     by_value
    .group_segment_fixed_size: 0
    .kernarg_segment_align: 8
    .kernarg_segment_size: 88
    .language:       OpenCL C
    .language_version:
      - 2
      - 0
    .max_flat_workgroup_size: 256
    .name:           _ZN7rocprim17ROCPRIM_400000_NS6detail17trampoline_kernelINS0_14default_configENS1_38merge_sort_block_merge_config_selectorIlNS0_10empty_typeEEEZZNS1_27merge_sort_block_merge_implIS3_PlPS5_mZN2at6native12_GLOBAL__N_124unique_dim_cuda_templateIlEESt5tupleIJNSA_6TensorESF_SF_EERKSF_lbbbEUlllE_EE10hipError_tT0_T1_T2_jT3_P12ihipStream_tbPNSt15iterator_traitsISL_E10value_typeEPNSR_ISM_E10value_typeEPSN_NS1_7vsmem_tEENKUlT_SL_SM_SN_E_clIS8_S8_S9_S9_EESK_S10_SL_SM_SN_EUlS10_E0_NS1_11comp_targetILNS1_3genE2ELNS1_11target_archE906ELNS1_3gpuE6ELNS1_3repE0EEENS1_38merge_mergepath_config_static_selectorELNS0_4arch9wavefront6targetE0EEEvSM_
    .private_segment_fixed_size: 0
    .sgpr_count:     0
    .sgpr_spill_count: 0
    .symbol:         _ZN7rocprim17ROCPRIM_400000_NS6detail17trampoline_kernelINS0_14default_configENS1_38merge_sort_block_merge_config_selectorIlNS0_10empty_typeEEEZZNS1_27merge_sort_block_merge_implIS3_PlPS5_mZN2at6native12_GLOBAL__N_124unique_dim_cuda_templateIlEESt5tupleIJNSA_6TensorESF_SF_EERKSF_lbbbEUlllE_EE10hipError_tT0_T1_T2_jT3_P12ihipStream_tbPNSt15iterator_traitsISL_E10value_typeEPNSR_ISM_E10value_typeEPSN_NS1_7vsmem_tEENKUlT_SL_SM_SN_E_clIS8_S8_S9_S9_EESK_S10_SL_SM_SN_EUlS10_E0_NS1_11comp_targetILNS1_3genE2ELNS1_11target_archE906ELNS1_3gpuE6ELNS1_3repE0EEENS1_38merge_mergepath_config_static_selectorELNS0_4arch9wavefront6targetE0EEEvSM_.kd
    .uniform_work_group_size: 1
    .uses_dynamic_stack: false
    .vgpr_count:     0
    .vgpr_spill_count: 0
    .wavefront_size: 32
  - .args:
      - .offset:         0
        .size:           88
        .value_kind:     by_value
    .group_segment_fixed_size: 0
    .kernarg_segment_align: 8
    .kernarg_segment_size: 88
    .language:       OpenCL C
    .language_version:
      - 2
      - 0
    .max_flat_workgroup_size: 512
    .name:           _ZN7rocprim17ROCPRIM_400000_NS6detail17trampoline_kernelINS0_14default_configENS1_38merge_sort_block_merge_config_selectorIlNS0_10empty_typeEEEZZNS1_27merge_sort_block_merge_implIS3_PlPS5_mZN2at6native12_GLOBAL__N_124unique_dim_cuda_templateIlEESt5tupleIJNSA_6TensorESF_SF_EERKSF_lbbbEUlllE_EE10hipError_tT0_T1_T2_jT3_P12ihipStream_tbPNSt15iterator_traitsISL_E10value_typeEPNSR_ISM_E10value_typeEPSN_NS1_7vsmem_tEENKUlT_SL_SM_SN_E_clIS8_S8_S9_S9_EESK_S10_SL_SM_SN_EUlS10_E0_NS1_11comp_targetILNS1_3genE9ELNS1_11target_archE1100ELNS1_3gpuE3ELNS1_3repE0EEENS1_38merge_mergepath_config_static_selectorELNS0_4arch9wavefront6targetE0EEEvSM_
    .private_segment_fixed_size: 0
    .sgpr_count:     0
    .sgpr_spill_count: 0
    .symbol:         _ZN7rocprim17ROCPRIM_400000_NS6detail17trampoline_kernelINS0_14default_configENS1_38merge_sort_block_merge_config_selectorIlNS0_10empty_typeEEEZZNS1_27merge_sort_block_merge_implIS3_PlPS5_mZN2at6native12_GLOBAL__N_124unique_dim_cuda_templateIlEESt5tupleIJNSA_6TensorESF_SF_EERKSF_lbbbEUlllE_EE10hipError_tT0_T1_T2_jT3_P12ihipStream_tbPNSt15iterator_traitsISL_E10value_typeEPNSR_ISM_E10value_typeEPSN_NS1_7vsmem_tEENKUlT_SL_SM_SN_E_clIS8_S8_S9_S9_EESK_S10_SL_SM_SN_EUlS10_E0_NS1_11comp_targetILNS1_3genE9ELNS1_11target_archE1100ELNS1_3gpuE3ELNS1_3repE0EEENS1_38merge_mergepath_config_static_selectorELNS0_4arch9wavefront6targetE0EEEvSM_.kd
    .uniform_work_group_size: 1
    .uses_dynamic_stack: false
    .vgpr_count:     0
    .vgpr_spill_count: 0
    .wavefront_size: 32
  - .args:
      - .offset:         0
        .size:           88
        .value_kind:     by_value
    .group_segment_fixed_size: 0
    .kernarg_segment_align: 8
    .kernarg_segment_size: 88
    .language:       OpenCL C
    .language_version:
      - 2
      - 0
    .max_flat_workgroup_size: 1024
    .name:           _ZN7rocprim17ROCPRIM_400000_NS6detail17trampoline_kernelINS0_14default_configENS1_38merge_sort_block_merge_config_selectorIlNS0_10empty_typeEEEZZNS1_27merge_sort_block_merge_implIS3_PlPS5_mZN2at6native12_GLOBAL__N_124unique_dim_cuda_templateIlEESt5tupleIJNSA_6TensorESF_SF_EERKSF_lbbbEUlllE_EE10hipError_tT0_T1_T2_jT3_P12ihipStream_tbPNSt15iterator_traitsISL_E10value_typeEPNSR_ISM_E10value_typeEPSN_NS1_7vsmem_tEENKUlT_SL_SM_SN_E_clIS8_S8_S9_S9_EESK_S10_SL_SM_SN_EUlS10_E0_NS1_11comp_targetILNS1_3genE8ELNS1_11target_archE1030ELNS1_3gpuE2ELNS1_3repE0EEENS1_38merge_mergepath_config_static_selectorELNS0_4arch9wavefront6targetE0EEEvSM_
    .private_segment_fixed_size: 0
    .sgpr_count:     0
    .sgpr_spill_count: 0
    .symbol:         _ZN7rocprim17ROCPRIM_400000_NS6detail17trampoline_kernelINS0_14default_configENS1_38merge_sort_block_merge_config_selectorIlNS0_10empty_typeEEEZZNS1_27merge_sort_block_merge_implIS3_PlPS5_mZN2at6native12_GLOBAL__N_124unique_dim_cuda_templateIlEESt5tupleIJNSA_6TensorESF_SF_EERKSF_lbbbEUlllE_EE10hipError_tT0_T1_T2_jT3_P12ihipStream_tbPNSt15iterator_traitsISL_E10value_typeEPNSR_ISM_E10value_typeEPSN_NS1_7vsmem_tEENKUlT_SL_SM_SN_E_clIS8_S8_S9_S9_EESK_S10_SL_SM_SN_EUlS10_E0_NS1_11comp_targetILNS1_3genE8ELNS1_11target_archE1030ELNS1_3gpuE2ELNS1_3repE0EEENS1_38merge_mergepath_config_static_selectorELNS0_4arch9wavefront6targetE0EEEvSM_.kd
    .uniform_work_group_size: 1
    .uses_dynamic_stack: false
    .vgpr_count:     0
    .vgpr_spill_count: 0
    .wavefront_size: 32
  - .args:
      - .offset:         0
        .size:           64
        .value_kind:     by_value
    .group_segment_fixed_size: 0
    .kernarg_segment_align: 8
    .kernarg_segment_size: 64
    .language:       OpenCL C
    .language_version:
      - 2
      - 0
    .max_flat_workgroup_size: 256
    .name:           _ZN7rocprim17ROCPRIM_400000_NS6detail17trampoline_kernelINS0_14default_configENS1_38merge_sort_block_merge_config_selectorIlNS0_10empty_typeEEEZZNS1_27merge_sort_block_merge_implIS3_PlPS5_mZN2at6native12_GLOBAL__N_124unique_dim_cuda_templateIlEESt5tupleIJNSA_6TensorESF_SF_EERKSF_lbbbEUlllE_EE10hipError_tT0_T1_T2_jT3_P12ihipStream_tbPNSt15iterator_traitsISL_E10value_typeEPNSR_ISM_E10value_typeEPSN_NS1_7vsmem_tEENKUlT_SL_SM_SN_E_clIS8_S8_S9_S9_EESK_S10_SL_SM_SN_EUlS10_E1_NS1_11comp_targetILNS1_3genE0ELNS1_11target_archE4294967295ELNS1_3gpuE0ELNS1_3repE0EEENS1_36merge_oddeven_config_static_selectorELNS0_4arch9wavefront6targetE0EEEvSM_
    .private_segment_fixed_size: 0
    .sgpr_count:     29
    .sgpr_spill_count: 0
    .symbol:         _ZN7rocprim17ROCPRIM_400000_NS6detail17trampoline_kernelINS0_14default_configENS1_38merge_sort_block_merge_config_selectorIlNS0_10empty_typeEEEZZNS1_27merge_sort_block_merge_implIS3_PlPS5_mZN2at6native12_GLOBAL__N_124unique_dim_cuda_templateIlEESt5tupleIJNSA_6TensorESF_SF_EERKSF_lbbbEUlllE_EE10hipError_tT0_T1_T2_jT3_P12ihipStream_tbPNSt15iterator_traitsISL_E10value_typeEPNSR_ISM_E10value_typeEPSN_NS1_7vsmem_tEENKUlT_SL_SM_SN_E_clIS8_S8_S9_S9_EESK_S10_SL_SM_SN_EUlS10_E1_NS1_11comp_targetILNS1_3genE0ELNS1_11target_archE4294967295ELNS1_3gpuE0ELNS1_3repE0EEENS1_36merge_oddeven_config_static_selectorELNS0_4arch9wavefront6targetE0EEEvSM_.kd
    .uniform_work_group_size: 1
    .uses_dynamic_stack: false
    .vgpr_count:     20
    .vgpr_spill_count: 0
    .wavefront_size: 32
  - .args:
      - .offset:         0
        .size:           64
        .value_kind:     by_value
    .group_segment_fixed_size: 0
    .kernarg_segment_align: 8
    .kernarg_segment_size: 64
    .language:       OpenCL C
    .language_version:
      - 2
      - 0
    .max_flat_workgroup_size: 256
    .name:           _ZN7rocprim17ROCPRIM_400000_NS6detail17trampoline_kernelINS0_14default_configENS1_38merge_sort_block_merge_config_selectorIlNS0_10empty_typeEEEZZNS1_27merge_sort_block_merge_implIS3_PlPS5_mZN2at6native12_GLOBAL__N_124unique_dim_cuda_templateIlEESt5tupleIJNSA_6TensorESF_SF_EERKSF_lbbbEUlllE_EE10hipError_tT0_T1_T2_jT3_P12ihipStream_tbPNSt15iterator_traitsISL_E10value_typeEPNSR_ISM_E10value_typeEPSN_NS1_7vsmem_tEENKUlT_SL_SM_SN_E_clIS8_S8_S9_S9_EESK_S10_SL_SM_SN_EUlS10_E1_NS1_11comp_targetILNS1_3genE10ELNS1_11target_archE1201ELNS1_3gpuE5ELNS1_3repE0EEENS1_36merge_oddeven_config_static_selectorELNS0_4arch9wavefront6targetE0EEEvSM_
    .private_segment_fixed_size: 0
    .sgpr_count:     0
    .sgpr_spill_count: 0
    .symbol:         _ZN7rocprim17ROCPRIM_400000_NS6detail17trampoline_kernelINS0_14default_configENS1_38merge_sort_block_merge_config_selectorIlNS0_10empty_typeEEEZZNS1_27merge_sort_block_merge_implIS3_PlPS5_mZN2at6native12_GLOBAL__N_124unique_dim_cuda_templateIlEESt5tupleIJNSA_6TensorESF_SF_EERKSF_lbbbEUlllE_EE10hipError_tT0_T1_T2_jT3_P12ihipStream_tbPNSt15iterator_traitsISL_E10value_typeEPNSR_ISM_E10value_typeEPSN_NS1_7vsmem_tEENKUlT_SL_SM_SN_E_clIS8_S8_S9_S9_EESK_S10_SL_SM_SN_EUlS10_E1_NS1_11comp_targetILNS1_3genE10ELNS1_11target_archE1201ELNS1_3gpuE5ELNS1_3repE0EEENS1_36merge_oddeven_config_static_selectorELNS0_4arch9wavefront6targetE0EEEvSM_.kd
    .uniform_work_group_size: 1
    .uses_dynamic_stack: false
    .vgpr_count:     0
    .vgpr_spill_count: 0
    .wavefront_size: 32
  - .args:
      - .offset:         0
        .size:           64
        .value_kind:     by_value
    .group_segment_fixed_size: 0
    .kernarg_segment_align: 8
    .kernarg_segment_size: 64
    .language:       OpenCL C
    .language_version:
      - 2
      - 0
    .max_flat_workgroup_size: 256
    .name:           _ZN7rocprim17ROCPRIM_400000_NS6detail17trampoline_kernelINS0_14default_configENS1_38merge_sort_block_merge_config_selectorIlNS0_10empty_typeEEEZZNS1_27merge_sort_block_merge_implIS3_PlPS5_mZN2at6native12_GLOBAL__N_124unique_dim_cuda_templateIlEESt5tupleIJNSA_6TensorESF_SF_EERKSF_lbbbEUlllE_EE10hipError_tT0_T1_T2_jT3_P12ihipStream_tbPNSt15iterator_traitsISL_E10value_typeEPNSR_ISM_E10value_typeEPSN_NS1_7vsmem_tEENKUlT_SL_SM_SN_E_clIS8_S8_S9_S9_EESK_S10_SL_SM_SN_EUlS10_E1_NS1_11comp_targetILNS1_3genE5ELNS1_11target_archE942ELNS1_3gpuE9ELNS1_3repE0EEENS1_36merge_oddeven_config_static_selectorELNS0_4arch9wavefront6targetE0EEEvSM_
    .private_segment_fixed_size: 0
    .sgpr_count:     0
    .sgpr_spill_count: 0
    .symbol:         _ZN7rocprim17ROCPRIM_400000_NS6detail17trampoline_kernelINS0_14default_configENS1_38merge_sort_block_merge_config_selectorIlNS0_10empty_typeEEEZZNS1_27merge_sort_block_merge_implIS3_PlPS5_mZN2at6native12_GLOBAL__N_124unique_dim_cuda_templateIlEESt5tupleIJNSA_6TensorESF_SF_EERKSF_lbbbEUlllE_EE10hipError_tT0_T1_T2_jT3_P12ihipStream_tbPNSt15iterator_traitsISL_E10value_typeEPNSR_ISM_E10value_typeEPSN_NS1_7vsmem_tEENKUlT_SL_SM_SN_E_clIS8_S8_S9_S9_EESK_S10_SL_SM_SN_EUlS10_E1_NS1_11comp_targetILNS1_3genE5ELNS1_11target_archE942ELNS1_3gpuE9ELNS1_3repE0EEENS1_36merge_oddeven_config_static_selectorELNS0_4arch9wavefront6targetE0EEEvSM_.kd
    .uniform_work_group_size: 1
    .uses_dynamic_stack: false
    .vgpr_count:     0
    .vgpr_spill_count: 0
    .wavefront_size: 32
  - .args:
      - .offset:         0
        .size:           64
        .value_kind:     by_value
    .group_segment_fixed_size: 0
    .kernarg_segment_align: 8
    .kernarg_segment_size: 64
    .language:       OpenCL C
    .language_version:
      - 2
      - 0
    .max_flat_workgroup_size: 256
    .name:           _ZN7rocprim17ROCPRIM_400000_NS6detail17trampoline_kernelINS0_14default_configENS1_38merge_sort_block_merge_config_selectorIlNS0_10empty_typeEEEZZNS1_27merge_sort_block_merge_implIS3_PlPS5_mZN2at6native12_GLOBAL__N_124unique_dim_cuda_templateIlEESt5tupleIJNSA_6TensorESF_SF_EERKSF_lbbbEUlllE_EE10hipError_tT0_T1_T2_jT3_P12ihipStream_tbPNSt15iterator_traitsISL_E10value_typeEPNSR_ISM_E10value_typeEPSN_NS1_7vsmem_tEENKUlT_SL_SM_SN_E_clIS8_S8_S9_S9_EESK_S10_SL_SM_SN_EUlS10_E1_NS1_11comp_targetILNS1_3genE4ELNS1_11target_archE910ELNS1_3gpuE8ELNS1_3repE0EEENS1_36merge_oddeven_config_static_selectorELNS0_4arch9wavefront6targetE0EEEvSM_
    .private_segment_fixed_size: 0
    .sgpr_count:     0
    .sgpr_spill_count: 0
    .symbol:         _ZN7rocprim17ROCPRIM_400000_NS6detail17trampoline_kernelINS0_14default_configENS1_38merge_sort_block_merge_config_selectorIlNS0_10empty_typeEEEZZNS1_27merge_sort_block_merge_implIS3_PlPS5_mZN2at6native12_GLOBAL__N_124unique_dim_cuda_templateIlEESt5tupleIJNSA_6TensorESF_SF_EERKSF_lbbbEUlllE_EE10hipError_tT0_T1_T2_jT3_P12ihipStream_tbPNSt15iterator_traitsISL_E10value_typeEPNSR_ISM_E10value_typeEPSN_NS1_7vsmem_tEENKUlT_SL_SM_SN_E_clIS8_S8_S9_S9_EESK_S10_SL_SM_SN_EUlS10_E1_NS1_11comp_targetILNS1_3genE4ELNS1_11target_archE910ELNS1_3gpuE8ELNS1_3repE0EEENS1_36merge_oddeven_config_static_selectorELNS0_4arch9wavefront6targetE0EEEvSM_.kd
    .uniform_work_group_size: 1
    .uses_dynamic_stack: false
    .vgpr_count:     0
    .vgpr_spill_count: 0
    .wavefront_size: 32
  - .args:
      - .offset:         0
        .size:           64
        .value_kind:     by_value
    .group_segment_fixed_size: 0
    .kernarg_segment_align: 8
    .kernarg_segment_size: 64
    .language:       OpenCL C
    .language_version:
      - 2
      - 0
    .max_flat_workgroup_size: 256
    .name:           _ZN7rocprim17ROCPRIM_400000_NS6detail17trampoline_kernelINS0_14default_configENS1_38merge_sort_block_merge_config_selectorIlNS0_10empty_typeEEEZZNS1_27merge_sort_block_merge_implIS3_PlPS5_mZN2at6native12_GLOBAL__N_124unique_dim_cuda_templateIlEESt5tupleIJNSA_6TensorESF_SF_EERKSF_lbbbEUlllE_EE10hipError_tT0_T1_T2_jT3_P12ihipStream_tbPNSt15iterator_traitsISL_E10value_typeEPNSR_ISM_E10value_typeEPSN_NS1_7vsmem_tEENKUlT_SL_SM_SN_E_clIS8_S8_S9_S9_EESK_S10_SL_SM_SN_EUlS10_E1_NS1_11comp_targetILNS1_3genE3ELNS1_11target_archE908ELNS1_3gpuE7ELNS1_3repE0EEENS1_36merge_oddeven_config_static_selectorELNS0_4arch9wavefront6targetE0EEEvSM_
    .private_segment_fixed_size: 0
    .sgpr_count:     0
    .sgpr_spill_count: 0
    .symbol:         _ZN7rocprim17ROCPRIM_400000_NS6detail17trampoline_kernelINS0_14default_configENS1_38merge_sort_block_merge_config_selectorIlNS0_10empty_typeEEEZZNS1_27merge_sort_block_merge_implIS3_PlPS5_mZN2at6native12_GLOBAL__N_124unique_dim_cuda_templateIlEESt5tupleIJNSA_6TensorESF_SF_EERKSF_lbbbEUlllE_EE10hipError_tT0_T1_T2_jT3_P12ihipStream_tbPNSt15iterator_traitsISL_E10value_typeEPNSR_ISM_E10value_typeEPSN_NS1_7vsmem_tEENKUlT_SL_SM_SN_E_clIS8_S8_S9_S9_EESK_S10_SL_SM_SN_EUlS10_E1_NS1_11comp_targetILNS1_3genE3ELNS1_11target_archE908ELNS1_3gpuE7ELNS1_3repE0EEENS1_36merge_oddeven_config_static_selectorELNS0_4arch9wavefront6targetE0EEEvSM_.kd
    .uniform_work_group_size: 1
    .uses_dynamic_stack: false
    .vgpr_count:     0
    .vgpr_spill_count: 0
    .wavefront_size: 32
  - .args:
      - .offset:         0
        .size:           64
        .value_kind:     by_value
    .group_segment_fixed_size: 0
    .kernarg_segment_align: 8
    .kernarg_segment_size: 64
    .language:       OpenCL C
    .language_version:
      - 2
      - 0
    .max_flat_workgroup_size: 256
    .name:           _ZN7rocprim17ROCPRIM_400000_NS6detail17trampoline_kernelINS0_14default_configENS1_38merge_sort_block_merge_config_selectorIlNS0_10empty_typeEEEZZNS1_27merge_sort_block_merge_implIS3_PlPS5_mZN2at6native12_GLOBAL__N_124unique_dim_cuda_templateIlEESt5tupleIJNSA_6TensorESF_SF_EERKSF_lbbbEUlllE_EE10hipError_tT0_T1_T2_jT3_P12ihipStream_tbPNSt15iterator_traitsISL_E10value_typeEPNSR_ISM_E10value_typeEPSN_NS1_7vsmem_tEENKUlT_SL_SM_SN_E_clIS8_S8_S9_S9_EESK_S10_SL_SM_SN_EUlS10_E1_NS1_11comp_targetILNS1_3genE2ELNS1_11target_archE906ELNS1_3gpuE6ELNS1_3repE0EEENS1_36merge_oddeven_config_static_selectorELNS0_4arch9wavefront6targetE0EEEvSM_
    .private_segment_fixed_size: 0
    .sgpr_count:     0
    .sgpr_spill_count: 0
    .symbol:         _ZN7rocprim17ROCPRIM_400000_NS6detail17trampoline_kernelINS0_14default_configENS1_38merge_sort_block_merge_config_selectorIlNS0_10empty_typeEEEZZNS1_27merge_sort_block_merge_implIS3_PlPS5_mZN2at6native12_GLOBAL__N_124unique_dim_cuda_templateIlEESt5tupleIJNSA_6TensorESF_SF_EERKSF_lbbbEUlllE_EE10hipError_tT0_T1_T2_jT3_P12ihipStream_tbPNSt15iterator_traitsISL_E10value_typeEPNSR_ISM_E10value_typeEPSN_NS1_7vsmem_tEENKUlT_SL_SM_SN_E_clIS8_S8_S9_S9_EESK_S10_SL_SM_SN_EUlS10_E1_NS1_11comp_targetILNS1_3genE2ELNS1_11target_archE906ELNS1_3gpuE6ELNS1_3repE0EEENS1_36merge_oddeven_config_static_selectorELNS0_4arch9wavefront6targetE0EEEvSM_.kd
    .uniform_work_group_size: 1
    .uses_dynamic_stack: false
    .vgpr_count:     0
    .vgpr_spill_count: 0
    .wavefront_size: 32
  - .args:
      - .offset:         0
        .size:           64
        .value_kind:     by_value
    .group_segment_fixed_size: 0
    .kernarg_segment_align: 8
    .kernarg_segment_size: 64
    .language:       OpenCL C
    .language_version:
      - 2
      - 0
    .max_flat_workgroup_size: 256
    .name:           _ZN7rocprim17ROCPRIM_400000_NS6detail17trampoline_kernelINS0_14default_configENS1_38merge_sort_block_merge_config_selectorIlNS0_10empty_typeEEEZZNS1_27merge_sort_block_merge_implIS3_PlPS5_mZN2at6native12_GLOBAL__N_124unique_dim_cuda_templateIlEESt5tupleIJNSA_6TensorESF_SF_EERKSF_lbbbEUlllE_EE10hipError_tT0_T1_T2_jT3_P12ihipStream_tbPNSt15iterator_traitsISL_E10value_typeEPNSR_ISM_E10value_typeEPSN_NS1_7vsmem_tEENKUlT_SL_SM_SN_E_clIS8_S8_S9_S9_EESK_S10_SL_SM_SN_EUlS10_E1_NS1_11comp_targetILNS1_3genE9ELNS1_11target_archE1100ELNS1_3gpuE3ELNS1_3repE0EEENS1_36merge_oddeven_config_static_selectorELNS0_4arch9wavefront6targetE0EEEvSM_
    .private_segment_fixed_size: 0
    .sgpr_count:     0
    .sgpr_spill_count: 0
    .symbol:         _ZN7rocprim17ROCPRIM_400000_NS6detail17trampoline_kernelINS0_14default_configENS1_38merge_sort_block_merge_config_selectorIlNS0_10empty_typeEEEZZNS1_27merge_sort_block_merge_implIS3_PlPS5_mZN2at6native12_GLOBAL__N_124unique_dim_cuda_templateIlEESt5tupleIJNSA_6TensorESF_SF_EERKSF_lbbbEUlllE_EE10hipError_tT0_T1_T2_jT3_P12ihipStream_tbPNSt15iterator_traitsISL_E10value_typeEPNSR_ISM_E10value_typeEPSN_NS1_7vsmem_tEENKUlT_SL_SM_SN_E_clIS8_S8_S9_S9_EESK_S10_SL_SM_SN_EUlS10_E1_NS1_11comp_targetILNS1_3genE9ELNS1_11target_archE1100ELNS1_3gpuE3ELNS1_3repE0EEENS1_36merge_oddeven_config_static_selectorELNS0_4arch9wavefront6targetE0EEEvSM_.kd
    .uniform_work_group_size: 1
    .uses_dynamic_stack: false
    .vgpr_count:     0
    .vgpr_spill_count: 0
    .wavefront_size: 32
  - .args:
      - .offset:         0
        .size:           64
        .value_kind:     by_value
    .group_segment_fixed_size: 0
    .kernarg_segment_align: 8
    .kernarg_segment_size: 64
    .language:       OpenCL C
    .language_version:
      - 2
      - 0
    .max_flat_workgroup_size: 256
    .name:           _ZN7rocprim17ROCPRIM_400000_NS6detail17trampoline_kernelINS0_14default_configENS1_38merge_sort_block_merge_config_selectorIlNS0_10empty_typeEEEZZNS1_27merge_sort_block_merge_implIS3_PlPS5_mZN2at6native12_GLOBAL__N_124unique_dim_cuda_templateIlEESt5tupleIJNSA_6TensorESF_SF_EERKSF_lbbbEUlllE_EE10hipError_tT0_T1_T2_jT3_P12ihipStream_tbPNSt15iterator_traitsISL_E10value_typeEPNSR_ISM_E10value_typeEPSN_NS1_7vsmem_tEENKUlT_SL_SM_SN_E_clIS8_S8_S9_S9_EESK_S10_SL_SM_SN_EUlS10_E1_NS1_11comp_targetILNS1_3genE8ELNS1_11target_archE1030ELNS1_3gpuE2ELNS1_3repE0EEENS1_36merge_oddeven_config_static_selectorELNS0_4arch9wavefront6targetE0EEEvSM_
    .private_segment_fixed_size: 0
    .sgpr_count:     0
    .sgpr_spill_count: 0
    .symbol:         _ZN7rocprim17ROCPRIM_400000_NS6detail17trampoline_kernelINS0_14default_configENS1_38merge_sort_block_merge_config_selectorIlNS0_10empty_typeEEEZZNS1_27merge_sort_block_merge_implIS3_PlPS5_mZN2at6native12_GLOBAL__N_124unique_dim_cuda_templateIlEESt5tupleIJNSA_6TensorESF_SF_EERKSF_lbbbEUlllE_EE10hipError_tT0_T1_T2_jT3_P12ihipStream_tbPNSt15iterator_traitsISL_E10value_typeEPNSR_ISM_E10value_typeEPSN_NS1_7vsmem_tEENKUlT_SL_SM_SN_E_clIS8_S8_S9_S9_EESK_S10_SL_SM_SN_EUlS10_E1_NS1_11comp_targetILNS1_3genE8ELNS1_11target_archE1030ELNS1_3gpuE2ELNS1_3repE0EEENS1_36merge_oddeven_config_static_selectorELNS0_4arch9wavefront6targetE0EEEvSM_.kd
    .uniform_work_group_size: 1
    .uses_dynamic_stack: false
    .vgpr_count:     0
    .vgpr_spill_count: 0
    .wavefront_size: 32
  - .args:
      - .offset:         0
        .size:           64
        .value_kind:     by_value
    .group_segment_fixed_size: 2048
    .kernarg_segment_align: 8
    .kernarg_segment_size: 64
    .language:       OpenCL C
    .language_version:
      - 2
      - 0
    .max_flat_workgroup_size: 128
    .name:           _ZN7rocprim17ROCPRIM_400000_NS6detail17trampoline_kernelINS0_14default_configENS1_35adjacent_difference_config_selectorILb0ElEEZNS1_24adjacent_difference_implIS3_Lb0ELb0EPlS7_ZN2at6native12_GLOBAL__N_124unique_dim_cuda_templateIlEESt5tupleIJNS8_6TensorESD_SD_EERKSD_lbbbEUlllE1_EE10hipError_tPvRmT2_T3_mT4_P12ihipStream_tbEUlT_E_NS1_11comp_targetILNS1_3genE0ELNS1_11target_archE4294967295ELNS1_3gpuE0ELNS1_3repE0EEENS1_30default_config_static_selectorELNS0_4arch9wavefront6targetE0EEEvT1_
    .private_segment_fixed_size: 0
    .sgpr_count:     26
    .sgpr_spill_count: 0
    .symbol:         _ZN7rocprim17ROCPRIM_400000_NS6detail17trampoline_kernelINS0_14default_configENS1_35adjacent_difference_config_selectorILb0ElEEZNS1_24adjacent_difference_implIS3_Lb0ELb0EPlS7_ZN2at6native12_GLOBAL__N_124unique_dim_cuda_templateIlEESt5tupleIJNS8_6TensorESD_SD_EERKSD_lbbbEUlllE1_EE10hipError_tPvRmT2_T3_mT4_P12ihipStream_tbEUlT_E_NS1_11comp_targetILNS1_3genE0ELNS1_11target_archE4294967295ELNS1_3gpuE0ELNS1_3repE0EEENS1_30default_config_static_selectorELNS0_4arch9wavefront6targetE0EEEvT1_.kd
    .uniform_work_group_size: 1
    .uses_dynamic_stack: false
    .vgpr_count:     12
    .vgpr_spill_count: 0
    .wavefront_size: 32
  - .args:
      - .offset:         0
        .size:           64
        .value_kind:     by_value
    .group_segment_fixed_size: 0
    .kernarg_segment_align: 8
    .kernarg_segment_size: 64
    .language:       OpenCL C
    .language_version:
      - 2
      - 0
    .max_flat_workgroup_size: 128
    .name:           _ZN7rocprim17ROCPRIM_400000_NS6detail17trampoline_kernelINS0_14default_configENS1_35adjacent_difference_config_selectorILb0ElEEZNS1_24adjacent_difference_implIS3_Lb0ELb0EPlS7_ZN2at6native12_GLOBAL__N_124unique_dim_cuda_templateIlEESt5tupleIJNS8_6TensorESD_SD_EERKSD_lbbbEUlllE1_EE10hipError_tPvRmT2_T3_mT4_P12ihipStream_tbEUlT_E_NS1_11comp_targetILNS1_3genE10ELNS1_11target_archE1201ELNS1_3gpuE5ELNS1_3repE0EEENS1_30default_config_static_selectorELNS0_4arch9wavefront6targetE0EEEvT1_
    .private_segment_fixed_size: 0
    .sgpr_count:     0
    .sgpr_spill_count: 0
    .symbol:         _ZN7rocprim17ROCPRIM_400000_NS6detail17trampoline_kernelINS0_14default_configENS1_35adjacent_difference_config_selectorILb0ElEEZNS1_24adjacent_difference_implIS3_Lb0ELb0EPlS7_ZN2at6native12_GLOBAL__N_124unique_dim_cuda_templateIlEESt5tupleIJNS8_6TensorESD_SD_EERKSD_lbbbEUlllE1_EE10hipError_tPvRmT2_T3_mT4_P12ihipStream_tbEUlT_E_NS1_11comp_targetILNS1_3genE10ELNS1_11target_archE1201ELNS1_3gpuE5ELNS1_3repE0EEENS1_30default_config_static_selectorELNS0_4arch9wavefront6targetE0EEEvT1_.kd
    .uniform_work_group_size: 1
    .uses_dynamic_stack: false
    .vgpr_count:     0
    .vgpr_spill_count: 0
    .wavefront_size: 32
  - .args:
      - .offset:         0
        .size:           64
        .value_kind:     by_value
    .group_segment_fixed_size: 0
    .kernarg_segment_align: 8
    .kernarg_segment_size: 64
    .language:       OpenCL C
    .language_version:
      - 2
      - 0
    .max_flat_workgroup_size: 64
    .name:           _ZN7rocprim17ROCPRIM_400000_NS6detail17trampoline_kernelINS0_14default_configENS1_35adjacent_difference_config_selectorILb0ElEEZNS1_24adjacent_difference_implIS3_Lb0ELb0EPlS7_ZN2at6native12_GLOBAL__N_124unique_dim_cuda_templateIlEESt5tupleIJNS8_6TensorESD_SD_EERKSD_lbbbEUlllE1_EE10hipError_tPvRmT2_T3_mT4_P12ihipStream_tbEUlT_E_NS1_11comp_targetILNS1_3genE5ELNS1_11target_archE942ELNS1_3gpuE9ELNS1_3repE0EEENS1_30default_config_static_selectorELNS0_4arch9wavefront6targetE0EEEvT1_
    .private_segment_fixed_size: 0
    .sgpr_count:     0
    .sgpr_spill_count: 0
    .symbol:         _ZN7rocprim17ROCPRIM_400000_NS6detail17trampoline_kernelINS0_14default_configENS1_35adjacent_difference_config_selectorILb0ElEEZNS1_24adjacent_difference_implIS3_Lb0ELb0EPlS7_ZN2at6native12_GLOBAL__N_124unique_dim_cuda_templateIlEESt5tupleIJNS8_6TensorESD_SD_EERKSD_lbbbEUlllE1_EE10hipError_tPvRmT2_T3_mT4_P12ihipStream_tbEUlT_E_NS1_11comp_targetILNS1_3genE5ELNS1_11target_archE942ELNS1_3gpuE9ELNS1_3repE0EEENS1_30default_config_static_selectorELNS0_4arch9wavefront6targetE0EEEvT1_.kd
    .uniform_work_group_size: 1
    .uses_dynamic_stack: false
    .vgpr_count:     0
    .vgpr_spill_count: 0
    .wavefront_size: 32
  - .args:
      - .offset:         0
        .size:           64
        .value_kind:     by_value
    .group_segment_fixed_size: 0
    .kernarg_segment_align: 8
    .kernarg_segment_size: 64
    .language:       OpenCL C
    .language_version:
      - 2
      - 0
    .max_flat_workgroup_size: 256
    .name:           _ZN7rocprim17ROCPRIM_400000_NS6detail17trampoline_kernelINS0_14default_configENS1_35adjacent_difference_config_selectorILb0ElEEZNS1_24adjacent_difference_implIS3_Lb0ELb0EPlS7_ZN2at6native12_GLOBAL__N_124unique_dim_cuda_templateIlEESt5tupleIJNS8_6TensorESD_SD_EERKSD_lbbbEUlllE1_EE10hipError_tPvRmT2_T3_mT4_P12ihipStream_tbEUlT_E_NS1_11comp_targetILNS1_3genE4ELNS1_11target_archE910ELNS1_3gpuE8ELNS1_3repE0EEENS1_30default_config_static_selectorELNS0_4arch9wavefront6targetE0EEEvT1_
    .private_segment_fixed_size: 0
    .sgpr_count:     0
    .sgpr_spill_count: 0
    .symbol:         _ZN7rocprim17ROCPRIM_400000_NS6detail17trampoline_kernelINS0_14default_configENS1_35adjacent_difference_config_selectorILb0ElEEZNS1_24adjacent_difference_implIS3_Lb0ELb0EPlS7_ZN2at6native12_GLOBAL__N_124unique_dim_cuda_templateIlEESt5tupleIJNS8_6TensorESD_SD_EERKSD_lbbbEUlllE1_EE10hipError_tPvRmT2_T3_mT4_P12ihipStream_tbEUlT_E_NS1_11comp_targetILNS1_3genE4ELNS1_11target_archE910ELNS1_3gpuE8ELNS1_3repE0EEENS1_30default_config_static_selectorELNS0_4arch9wavefront6targetE0EEEvT1_.kd
    .uniform_work_group_size: 1
    .uses_dynamic_stack: false
    .vgpr_count:     0
    .vgpr_spill_count: 0
    .wavefront_size: 32
  - .args:
      - .offset:         0
        .size:           64
        .value_kind:     by_value
    .group_segment_fixed_size: 0
    .kernarg_segment_align: 8
    .kernarg_segment_size: 64
    .language:       OpenCL C
    .language_version:
      - 2
      - 0
    .max_flat_workgroup_size: 128
    .name:           _ZN7rocprim17ROCPRIM_400000_NS6detail17trampoline_kernelINS0_14default_configENS1_35adjacent_difference_config_selectorILb0ElEEZNS1_24adjacent_difference_implIS3_Lb0ELb0EPlS7_ZN2at6native12_GLOBAL__N_124unique_dim_cuda_templateIlEESt5tupleIJNS8_6TensorESD_SD_EERKSD_lbbbEUlllE1_EE10hipError_tPvRmT2_T3_mT4_P12ihipStream_tbEUlT_E_NS1_11comp_targetILNS1_3genE3ELNS1_11target_archE908ELNS1_3gpuE7ELNS1_3repE0EEENS1_30default_config_static_selectorELNS0_4arch9wavefront6targetE0EEEvT1_
    .private_segment_fixed_size: 0
    .sgpr_count:     0
    .sgpr_spill_count: 0
    .symbol:         _ZN7rocprim17ROCPRIM_400000_NS6detail17trampoline_kernelINS0_14default_configENS1_35adjacent_difference_config_selectorILb0ElEEZNS1_24adjacent_difference_implIS3_Lb0ELb0EPlS7_ZN2at6native12_GLOBAL__N_124unique_dim_cuda_templateIlEESt5tupleIJNS8_6TensorESD_SD_EERKSD_lbbbEUlllE1_EE10hipError_tPvRmT2_T3_mT4_P12ihipStream_tbEUlT_E_NS1_11comp_targetILNS1_3genE3ELNS1_11target_archE908ELNS1_3gpuE7ELNS1_3repE0EEENS1_30default_config_static_selectorELNS0_4arch9wavefront6targetE0EEEvT1_.kd
    .uniform_work_group_size: 1
    .uses_dynamic_stack: false
    .vgpr_count:     0
    .vgpr_spill_count: 0
    .wavefront_size: 32
  - .args:
      - .offset:         0
        .size:           64
        .value_kind:     by_value
    .group_segment_fixed_size: 0
    .kernarg_segment_align: 8
    .kernarg_segment_size: 64
    .language:       OpenCL C
    .language_version:
      - 2
      - 0
    .max_flat_workgroup_size: 128
    .name:           _ZN7rocprim17ROCPRIM_400000_NS6detail17trampoline_kernelINS0_14default_configENS1_35adjacent_difference_config_selectorILb0ElEEZNS1_24adjacent_difference_implIS3_Lb0ELb0EPlS7_ZN2at6native12_GLOBAL__N_124unique_dim_cuda_templateIlEESt5tupleIJNS8_6TensorESD_SD_EERKSD_lbbbEUlllE1_EE10hipError_tPvRmT2_T3_mT4_P12ihipStream_tbEUlT_E_NS1_11comp_targetILNS1_3genE2ELNS1_11target_archE906ELNS1_3gpuE6ELNS1_3repE0EEENS1_30default_config_static_selectorELNS0_4arch9wavefront6targetE0EEEvT1_
    .private_segment_fixed_size: 0
    .sgpr_count:     0
    .sgpr_spill_count: 0
    .symbol:         _ZN7rocprim17ROCPRIM_400000_NS6detail17trampoline_kernelINS0_14default_configENS1_35adjacent_difference_config_selectorILb0ElEEZNS1_24adjacent_difference_implIS3_Lb0ELb0EPlS7_ZN2at6native12_GLOBAL__N_124unique_dim_cuda_templateIlEESt5tupleIJNS8_6TensorESD_SD_EERKSD_lbbbEUlllE1_EE10hipError_tPvRmT2_T3_mT4_P12ihipStream_tbEUlT_E_NS1_11comp_targetILNS1_3genE2ELNS1_11target_archE906ELNS1_3gpuE6ELNS1_3repE0EEENS1_30default_config_static_selectorELNS0_4arch9wavefront6targetE0EEEvT1_.kd
    .uniform_work_group_size: 1
    .uses_dynamic_stack: false
    .vgpr_count:     0
    .vgpr_spill_count: 0
    .wavefront_size: 32
  - .args:
      - .offset:         0
        .size:           64
        .value_kind:     by_value
    .group_segment_fixed_size: 0
    .kernarg_segment_align: 8
    .kernarg_segment_size: 64
    .language:       OpenCL C
    .language_version:
      - 2
      - 0
    .max_flat_workgroup_size: 512
    .name:           _ZN7rocprim17ROCPRIM_400000_NS6detail17trampoline_kernelINS0_14default_configENS1_35adjacent_difference_config_selectorILb0ElEEZNS1_24adjacent_difference_implIS3_Lb0ELb0EPlS7_ZN2at6native12_GLOBAL__N_124unique_dim_cuda_templateIlEESt5tupleIJNS8_6TensorESD_SD_EERKSD_lbbbEUlllE1_EE10hipError_tPvRmT2_T3_mT4_P12ihipStream_tbEUlT_E_NS1_11comp_targetILNS1_3genE9ELNS1_11target_archE1100ELNS1_3gpuE3ELNS1_3repE0EEENS1_30default_config_static_selectorELNS0_4arch9wavefront6targetE0EEEvT1_
    .private_segment_fixed_size: 0
    .sgpr_count:     0
    .sgpr_spill_count: 0
    .symbol:         _ZN7rocprim17ROCPRIM_400000_NS6detail17trampoline_kernelINS0_14default_configENS1_35adjacent_difference_config_selectorILb0ElEEZNS1_24adjacent_difference_implIS3_Lb0ELb0EPlS7_ZN2at6native12_GLOBAL__N_124unique_dim_cuda_templateIlEESt5tupleIJNS8_6TensorESD_SD_EERKSD_lbbbEUlllE1_EE10hipError_tPvRmT2_T3_mT4_P12ihipStream_tbEUlT_E_NS1_11comp_targetILNS1_3genE9ELNS1_11target_archE1100ELNS1_3gpuE3ELNS1_3repE0EEENS1_30default_config_static_selectorELNS0_4arch9wavefront6targetE0EEEvT1_.kd
    .uniform_work_group_size: 1
    .uses_dynamic_stack: false
    .vgpr_count:     0
    .vgpr_spill_count: 0
    .wavefront_size: 32
  - .args:
      - .offset:         0
        .size:           64
        .value_kind:     by_value
    .group_segment_fixed_size: 0
    .kernarg_segment_align: 8
    .kernarg_segment_size: 64
    .language:       OpenCL C
    .language_version:
      - 2
      - 0
    .max_flat_workgroup_size: 1024
    .name:           _ZN7rocprim17ROCPRIM_400000_NS6detail17trampoline_kernelINS0_14default_configENS1_35adjacent_difference_config_selectorILb0ElEEZNS1_24adjacent_difference_implIS3_Lb0ELb0EPlS7_ZN2at6native12_GLOBAL__N_124unique_dim_cuda_templateIlEESt5tupleIJNS8_6TensorESD_SD_EERKSD_lbbbEUlllE1_EE10hipError_tPvRmT2_T3_mT4_P12ihipStream_tbEUlT_E_NS1_11comp_targetILNS1_3genE8ELNS1_11target_archE1030ELNS1_3gpuE2ELNS1_3repE0EEENS1_30default_config_static_selectorELNS0_4arch9wavefront6targetE0EEEvT1_
    .private_segment_fixed_size: 0
    .sgpr_count:     0
    .sgpr_spill_count: 0
    .symbol:         _ZN7rocprim17ROCPRIM_400000_NS6detail17trampoline_kernelINS0_14default_configENS1_35adjacent_difference_config_selectorILb0ElEEZNS1_24adjacent_difference_implIS3_Lb0ELb0EPlS7_ZN2at6native12_GLOBAL__N_124unique_dim_cuda_templateIlEESt5tupleIJNS8_6TensorESD_SD_EERKSD_lbbbEUlllE1_EE10hipError_tPvRmT2_T3_mT4_P12ihipStream_tbEUlT_E_NS1_11comp_targetILNS1_3genE8ELNS1_11target_archE1030ELNS1_3gpuE2ELNS1_3repE0EEENS1_30default_config_static_selectorELNS0_4arch9wavefront6targetE0EEEvT1_.kd
    .uniform_work_group_size: 1
    .uses_dynamic_stack: false
    .vgpr_count:     0
    .vgpr_spill_count: 0
    .wavefront_size: 32
  - .args:
      - .offset:         0
        .size:           56
        .value_kind:     by_value
      - .offset:         56
        .size:           4
        .value_kind:     hidden_block_count_x
      - .offset:         60
        .size:           4
        .value_kind:     hidden_block_count_y
      - .offset:         64
        .size:           4
        .value_kind:     hidden_block_count_z
      - .offset:         68
        .size:           2
        .value_kind:     hidden_group_size_x
      - .offset:         70
        .size:           2
        .value_kind:     hidden_group_size_y
      - .offset:         72
        .size:           2
        .value_kind:     hidden_group_size_z
      - .offset:         74
        .size:           2
        .value_kind:     hidden_remainder_x
      - .offset:         76
        .size:           2
        .value_kind:     hidden_remainder_y
      - .offset:         78
        .size:           2
        .value_kind:     hidden_remainder_z
      - .offset:         96
        .size:           8
        .value_kind:     hidden_global_offset_x
      - .offset:         104
        .size:           8
        .value_kind:     hidden_global_offset_y
      - .offset:         112
        .size:           8
        .value_kind:     hidden_global_offset_z
      - .offset:         120
        .size:           2
        .value_kind:     hidden_grid_dims
    .group_segment_fixed_size: 0
    .kernarg_segment_align: 8
    .kernarg_segment_size: 312
    .language:       OpenCL C
    .language_version:
      - 2
      - 0
    .max_flat_workgroup_size: 128
    .name:           _ZN7rocprim17ROCPRIM_400000_NS6detail17trampoline_kernelINS0_14default_configENS1_25transform_config_selectorIlLb0EEEZNS1_14transform_implILb0ES3_S5_NS0_18transform_iteratorINS0_17counting_iteratorImlEEZNS1_24adjacent_difference_implIS3_Lb1ELb0EPlSB_ZN2at6native12_GLOBAL__N_124unique_dim_cuda_templateIlEESt5tupleIJNSC_6TensorESH_SH_EERKSH_lbbbEUlllE1_EE10hipError_tPvRmT2_T3_mT4_P12ihipStream_tbEUlmE_lEESB_NS0_8identityIvEEEESM_SP_SQ_mSR_ST_bEUlT_E_NS1_11comp_targetILNS1_3genE0ELNS1_11target_archE4294967295ELNS1_3gpuE0ELNS1_3repE0EEENS1_30default_config_static_selectorELNS0_4arch9wavefront6targetE0EEEvT1_
    .private_segment_fixed_size: 0
    .sgpr_count:     16
    .sgpr_spill_count: 0
    .symbol:         _ZN7rocprim17ROCPRIM_400000_NS6detail17trampoline_kernelINS0_14default_configENS1_25transform_config_selectorIlLb0EEEZNS1_14transform_implILb0ES3_S5_NS0_18transform_iteratorINS0_17counting_iteratorImlEEZNS1_24adjacent_difference_implIS3_Lb1ELb0EPlSB_ZN2at6native12_GLOBAL__N_124unique_dim_cuda_templateIlEESt5tupleIJNSC_6TensorESH_SH_EERKSH_lbbbEUlllE1_EE10hipError_tPvRmT2_T3_mT4_P12ihipStream_tbEUlmE_lEESB_NS0_8identityIvEEEESM_SP_SQ_mSR_ST_bEUlT_E_NS1_11comp_targetILNS1_3genE0ELNS1_11target_archE4294967295ELNS1_3gpuE0ELNS1_3repE0EEENS1_30default_config_static_selectorELNS0_4arch9wavefront6targetE0EEEvT1_.kd
    .uniform_work_group_size: 1
    .uses_dynamic_stack: false
    .vgpr_count:     4
    .vgpr_spill_count: 0
    .wavefront_size: 32
  - .args:
      - .offset:         0
        .size:           56
        .value_kind:     by_value
    .group_segment_fixed_size: 0
    .kernarg_segment_align: 8
    .kernarg_segment_size: 56
    .language:       OpenCL C
    .language_version:
      - 2
      - 0
    .max_flat_workgroup_size: 512
    .name:           _ZN7rocprim17ROCPRIM_400000_NS6detail17trampoline_kernelINS0_14default_configENS1_25transform_config_selectorIlLb0EEEZNS1_14transform_implILb0ES3_S5_NS0_18transform_iteratorINS0_17counting_iteratorImlEEZNS1_24adjacent_difference_implIS3_Lb1ELb0EPlSB_ZN2at6native12_GLOBAL__N_124unique_dim_cuda_templateIlEESt5tupleIJNSC_6TensorESH_SH_EERKSH_lbbbEUlllE1_EE10hipError_tPvRmT2_T3_mT4_P12ihipStream_tbEUlmE_lEESB_NS0_8identityIvEEEESM_SP_SQ_mSR_ST_bEUlT_E_NS1_11comp_targetILNS1_3genE5ELNS1_11target_archE942ELNS1_3gpuE9ELNS1_3repE0EEENS1_30default_config_static_selectorELNS0_4arch9wavefront6targetE0EEEvT1_
    .private_segment_fixed_size: 0
    .sgpr_count:     0
    .sgpr_spill_count: 0
    .symbol:         _ZN7rocprim17ROCPRIM_400000_NS6detail17trampoline_kernelINS0_14default_configENS1_25transform_config_selectorIlLb0EEEZNS1_14transform_implILb0ES3_S5_NS0_18transform_iteratorINS0_17counting_iteratorImlEEZNS1_24adjacent_difference_implIS3_Lb1ELb0EPlSB_ZN2at6native12_GLOBAL__N_124unique_dim_cuda_templateIlEESt5tupleIJNSC_6TensorESH_SH_EERKSH_lbbbEUlllE1_EE10hipError_tPvRmT2_T3_mT4_P12ihipStream_tbEUlmE_lEESB_NS0_8identityIvEEEESM_SP_SQ_mSR_ST_bEUlT_E_NS1_11comp_targetILNS1_3genE5ELNS1_11target_archE942ELNS1_3gpuE9ELNS1_3repE0EEENS1_30default_config_static_selectorELNS0_4arch9wavefront6targetE0EEEvT1_.kd
    .uniform_work_group_size: 1
    .uses_dynamic_stack: false
    .vgpr_count:     0
    .vgpr_spill_count: 0
    .wavefront_size: 32
  - .args:
      - .offset:         0
        .size:           56
        .value_kind:     by_value
    .group_segment_fixed_size: 0
    .kernarg_segment_align: 8
    .kernarg_segment_size: 56
    .language:       OpenCL C
    .language_version:
      - 2
      - 0
    .max_flat_workgroup_size: 256
    .name:           _ZN7rocprim17ROCPRIM_400000_NS6detail17trampoline_kernelINS0_14default_configENS1_25transform_config_selectorIlLb0EEEZNS1_14transform_implILb0ES3_S5_NS0_18transform_iteratorINS0_17counting_iteratorImlEEZNS1_24adjacent_difference_implIS3_Lb1ELb0EPlSB_ZN2at6native12_GLOBAL__N_124unique_dim_cuda_templateIlEESt5tupleIJNSC_6TensorESH_SH_EERKSH_lbbbEUlllE1_EE10hipError_tPvRmT2_T3_mT4_P12ihipStream_tbEUlmE_lEESB_NS0_8identityIvEEEESM_SP_SQ_mSR_ST_bEUlT_E_NS1_11comp_targetILNS1_3genE4ELNS1_11target_archE910ELNS1_3gpuE8ELNS1_3repE0EEENS1_30default_config_static_selectorELNS0_4arch9wavefront6targetE0EEEvT1_
    .private_segment_fixed_size: 0
    .sgpr_count:     0
    .sgpr_spill_count: 0
    .symbol:         _ZN7rocprim17ROCPRIM_400000_NS6detail17trampoline_kernelINS0_14default_configENS1_25transform_config_selectorIlLb0EEEZNS1_14transform_implILb0ES3_S5_NS0_18transform_iteratorINS0_17counting_iteratorImlEEZNS1_24adjacent_difference_implIS3_Lb1ELb0EPlSB_ZN2at6native12_GLOBAL__N_124unique_dim_cuda_templateIlEESt5tupleIJNSC_6TensorESH_SH_EERKSH_lbbbEUlllE1_EE10hipError_tPvRmT2_T3_mT4_P12ihipStream_tbEUlmE_lEESB_NS0_8identityIvEEEESM_SP_SQ_mSR_ST_bEUlT_E_NS1_11comp_targetILNS1_3genE4ELNS1_11target_archE910ELNS1_3gpuE8ELNS1_3repE0EEENS1_30default_config_static_selectorELNS0_4arch9wavefront6targetE0EEEvT1_.kd
    .uniform_work_group_size: 1
    .uses_dynamic_stack: false
    .vgpr_count:     0
    .vgpr_spill_count: 0
    .wavefront_size: 32
  - .args:
      - .offset:         0
        .size:           56
        .value_kind:     by_value
    .group_segment_fixed_size: 0
    .kernarg_segment_align: 8
    .kernarg_segment_size: 56
    .language:       OpenCL C
    .language_version:
      - 2
      - 0
    .max_flat_workgroup_size: 128
    .name:           _ZN7rocprim17ROCPRIM_400000_NS6detail17trampoline_kernelINS0_14default_configENS1_25transform_config_selectorIlLb0EEEZNS1_14transform_implILb0ES3_S5_NS0_18transform_iteratorINS0_17counting_iteratorImlEEZNS1_24adjacent_difference_implIS3_Lb1ELb0EPlSB_ZN2at6native12_GLOBAL__N_124unique_dim_cuda_templateIlEESt5tupleIJNSC_6TensorESH_SH_EERKSH_lbbbEUlllE1_EE10hipError_tPvRmT2_T3_mT4_P12ihipStream_tbEUlmE_lEESB_NS0_8identityIvEEEESM_SP_SQ_mSR_ST_bEUlT_E_NS1_11comp_targetILNS1_3genE3ELNS1_11target_archE908ELNS1_3gpuE7ELNS1_3repE0EEENS1_30default_config_static_selectorELNS0_4arch9wavefront6targetE0EEEvT1_
    .private_segment_fixed_size: 0
    .sgpr_count:     0
    .sgpr_spill_count: 0
    .symbol:         _ZN7rocprim17ROCPRIM_400000_NS6detail17trampoline_kernelINS0_14default_configENS1_25transform_config_selectorIlLb0EEEZNS1_14transform_implILb0ES3_S5_NS0_18transform_iteratorINS0_17counting_iteratorImlEEZNS1_24adjacent_difference_implIS3_Lb1ELb0EPlSB_ZN2at6native12_GLOBAL__N_124unique_dim_cuda_templateIlEESt5tupleIJNSC_6TensorESH_SH_EERKSH_lbbbEUlllE1_EE10hipError_tPvRmT2_T3_mT4_P12ihipStream_tbEUlmE_lEESB_NS0_8identityIvEEEESM_SP_SQ_mSR_ST_bEUlT_E_NS1_11comp_targetILNS1_3genE3ELNS1_11target_archE908ELNS1_3gpuE7ELNS1_3repE0EEENS1_30default_config_static_selectorELNS0_4arch9wavefront6targetE0EEEvT1_.kd
    .uniform_work_group_size: 1
    .uses_dynamic_stack: false
    .vgpr_count:     0
    .vgpr_spill_count: 0
    .wavefront_size: 32
  - .args:
      - .offset:         0
        .size:           56
        .value_kind:     by_value
    .group_segment_fixed_size: 0
    .kernarg_segment_align: 8
    .kernarg_segment_size: 56
    .language:       OpenCL C
    .language_version:
      - 2
      - 0
    .max_flat_workgroup_size: 512
    .name:           _ZN7rocprim17ROCPRIM_400000_NS6detail17trampoline_kernelINS0_14default_configENS1_25transform_config_selectorIlLb0EEEZNS1_14transform_implILb0ES3_S5_NS0_18transform_iteratorINS0_17counting_iteratorImlEEZNS1_24adjacent_difference_implIS3_Lb1ELb0EPlSB_ZN2at6native12_GLOBAL__N_124unique_dim_cuda_templateIlEESt5tupleIJNSC_6TensorESH_SH_EERKSH_lbbbEUlllE1_EE10hipError_tPvRmT2_T3_mT4_P12ihipStream_tbEUlmE_lEESB_NS0_8identityIvEEEESM_SP_SQ_mSR_ST_bEUlT_E_NS1_11comp_targetILNS1_3genE2ELNS1_11target_archE906ELNS1_3gpuE6ELNS1_3repE0EEENS1_30default_config_static_selectorELNS0_4arch9wavefront6targetE0EEEvT1_
    .private_segment_fixed_size: 0
    .sgpr_count:     0
    .sgpr_spill_count: 0
    .symbol:         _ZN7rocprim17ROCPRIM_400000_NS6detail17trampoline_kernelINS0_14default_configENS1_25transform_config_selectorIlLb0EEEZNS1_14transform_implILb0ES3_S5_NS0_18transform_iteratorINS0_17counting_iteratorImlEEZNS1_24adjacent_difference_implIS3_Lb1ELb0EPlSB_ZN2at6native12_GLOBAL__N_124unique_dim_cuda_templateIlEESt5tupleIJNSC_6TensorESH_SH_EERKSH_lbbbEUlllE1_EE10hipError_tPvRmT2_T3_mT4_P12ihipStream_tbEUlmE_lEESB_NS0_8identityIvEEEESM_SP_SQ_mSR_ST_bEUlT_E_NS1_11comp_targetILNS1_3genE2ELNS1_11target_archE906ELNS1_3gpuE6ELNS1_3repE0EEENS1_30default_config_static_selectorELNS0_4arch9wavefront6targetE0EEEvT1_.kd
    .uniform_work_group_size: 1
    .uses_dynamic_stack: false
    .vgpr_count:     0
    .vgpr_spill_count: 0
    .wavefront_size: 32
  - .args:
      - .offset:         0
        .size:           56
        .value_kind:     by_value
    .group_segment_fixed_size: 0
    .kernarg_segment_align: 8
    .kernarg_segment_size: 56
    .language:       OpenCL C
    .language_version:
      - 2
      - 0
    .max_flat_workgroup_size: 1024
    .name:           _ZN7rocprim17ROCPRIM_400000_NS6detail17trampoline_kernelINS0_14default_configENS1_25transform_config_selectorIlLb0EEEZNS1_14transform_implILb0ES3_S5_NS0_18transform_iteratorINS0_17counting_iteratorImlEEZNS1_24adjacent_difference_implIS3_Lb1ELb0EPlSB_ZN2at6native12_GLOBAL__N_124unique_dim_cuda_templateIlEESt5tupleIJNSC_6TensorESH_SH_EERKSH_lbbbEUlllE1_EE10hipError_tPvRmT2_T3_mT4_P12ihipStream_tbEUlmE_lEESB_NS0_8identityIvEEEESM_SP_SQ_mSR_ST_bEUlT_E_NS1_11comp_targetILNS1_3genE10ELNS1_11target_archE1201ELNS1_3gpuE5ELNS1_3repE0EEENS1_30default_config_static_selectorELNS0_4arch9wavefront6targetE0EEEvT1_
    .private_segment_fixed_size: 0
    .sgpr_count:     0
    .sgpr_spill_count: 0
    .symbol:         _ZN7rocprim17ROCPRIM_400000_NS6detail17trampoline_kernelINS0_14default_configENS1_25transform_config_selectorIlLb0EEEZNS1_14transform_implILb0ES3_S5_NS0_18transform_iteratorINS0_17counting_iteratorImlEEZNS1_24adjacent_difference_implIS3_Lb1ELb0EPlSB_ZN2at6native12_GLOBAL__N_124unique_dim_cuda_templateIlEESt5tupleIJNSC_6TensorESH_SH_EERKSH_lbbbEUlllE1_EE10hipError_tPvRmT2_T3_mT4_P12ihipStream_tbEUlmE_lEESB_NS0_8identityIvEEEESM_SP_SQ_mSR_ST_bEUlT_E_NS1_11comp_targetILNS1_3genE10ELNS1_11target_archE1201ELNS1_3gpuE5ELNS1_3repE0EEENS1_30default_config_static_selectorELNS0_4arch9wavefront6targetE0EEEvT1_.kd
    .uniform_work_group_size: 1
    .uses_dynamic_stack: false
    .vgpr_count:     0
    .vgpr_spill_count: 0
    .wavefront_size: 32
  - .args:
      - .offset:         0
        .size:           56
        .value_kind:     by_value
    .group_segment_fixed_size: 0
    .kernarg_segment_align: 8
    .kernarg_segment_size: 56
    .language:       OpenCL C
    .language_version:
      - 2
      - 0
    .max_flat_workgroup_size: 512
    .name:           _ZN7rocprim17ROCPRIM_400000_NS6detail17trampoline_kernelINS0_14default_configENS1_25transform_config_selectorIlLb0EEEZNS1_14transform_implILb0ES3_S5_NS0_18transform_iteratorINS0_17counting_iteratorImlEEZNS1_24adjacent_difference_implIS3_Lb1ELb0EPlSB_ZN2at6native12_GLOBAL__N_124unique_dim_cuda_templateIlEESt5tupleIJNSC_6TensorESH_SH_EERKSH_lbbbEUlllE1_EE10hipError_tPvRmT2_T3_mT4_P12ihipStream_tbEUlmE_lEESB_NS0_8identityIvEEEESM_SP_SQ_mSR_ST_bEUlT_E_NS1_11comp_targetILNS1_3genE10ELNS1_11target_archE1200ELNS1_3gpuE4ELNS1_3repE0EEENS1_30default_config_static_selectorELNS0_4arch9wavefront6targetE0EEEvT1_
    .private_segment_fixed_size: 0
    .sgpr_count:     0
    .sgpr_spill_count: 0
    .symbol:         _ZN7rocprim17ROCPRIM_400000_NS6detail17trampoline_kernelINS0_14default_configENS1_25transform_config_selectorIlLb0EEEZNS1_14transform_implILb0ES3_S5_NS0_18transform_iteratorINS0_17counting_iteratorImlEEZNS1_24adjacent_difference_implIS3_Lb1ELb0EPlSB_ZN2at6native12_GLOBAL__N_124unique_dim_cuda_templateIlEESt5tupleIJNSC_6TensorESH_SH_EERKSH_lbbbEUlllE1_EE10hipError_tPvRmT2_T3_mT4_P12ihipStream_tbEUlmE_lEESB_NS0_8identityIvEEEESM_SP_SQ_mSR_ST_bEUlT_E_NS1_11comp_targetILNS1_3genE10ELNS1_11target_archE1200ELNS1_3gpuE4ELNS1_3repE0EEENS1_30default_config_static_selectorELNS0_4arch9wavefront6targetE0EEEvT1_.kd
    .uniform_work_group_size: 1
    .uses_dynamic_stack: false
    .vgpr_count:     0
    .vgpr_spill_count: 0
    .wavefront_size: 32
  - .args:
      - .offset:         0
        .size:           56
        .value_kind:     by_value
    .group_segment_fixed_size: 0
    .kernarg_segment_align: 8
    .kernarg_segment_size: 56
    .language:       OpenCL C
    .language_version:
      - 2
      - 0
    .max_flat_workgroup_size: 512
    .name:           _ZN7rocprim17ROCPRIM_400000_NS6detail17trampoline_kernelINS0_14default_configENS1_25transform_config_selectorIlLb0EEEZNS1_14transform_implILb0ES3_S5_NS0_18transform_iteratorINS0_17counting_iteratorImlEEZNS1_24adjacent_difference_implIS3_Lb1ELb0EPlSB_ZN2at6native12_GLOBAL__N_124unique_dim_cuda_templateIlEESt5tupleIJNSC_6TensorESH_SH_EERKSH_lbbbEUlllE1_EE10hipError_tPvRmT2_T3_mT4_P12ihipStream_tbEUlmE_lEESB_NS0_8identityIvEEEESM_SP_SQ_mSR_ST_bEUlT_E_NS1_11comp_targetILNS1_3genE9ELNS1_11target_archE1100ELNS1_3gpuE3ELNS1_3repE0EEENS1_30default_config_static_selectorELNS0_4arch9wavefront6targetE0EEEvT1_
    .private_segment_fixed_size: 0
    .sgpr_count:     0
    .sgpr_spill_count: 0
    .symbol:         _ZN7rocprim17ROCPRIM_400000_NS6detail17trampoline_kernelINS0_14default_configENS1_25transform_config_selectorIlLb0EEEZNS1_14transform_implILb0ES3_S5_NS0_18transform_iteratorINS0_17counting_iteratorImlEEZNS1_24adjacent_difference_implIS3_Lb1ELb0EPlSB_ZN2at6native12_GLOBAL__N_124unique_dim_cuda_templateIlEESt5tupleIJNSC_6TensorESH_SH_EERKSH_lbbbEUlllE1_EE10hipError_tPvRmT2_T3_mT4_P12ihipStream_tbEUlmE_lEESB_NS0_8identityIvEEEESM_SP_SQ_mSR_ST_bEUlT_E_NS1_11comp_targetILNS1_3genE9ELNS1_11target_archE1100ELNS1_3gpuE3ELNS1_3repE0EEENS1_30default_config_static_selectorELNS0_4arch9wavefront6targetE0EEEvT1_.kd
    .uniform_work_group_size: 1
    .uses_dynamic_stack: false
    .vgpr_count:     0
    .vgpr_spill_count: 0
    .wavefront_size: 32
  - .args:
      - .offset:         0
        .size:           56
        .value_kind:     by_value
    .group_segment_fixed_size: 0
    .kernarg_segment_align: 8
    .kernarg_segment_size: 56
    .language:       OpenCL C
    .language_version:
      - 2
      - 0
    .max_flat_workgroup_size: 512
    .name:           _ZN7rocprim17ROCPRIM_400000_NS6detail17trampoline_kernelINS0_14default_configENS1_25transform_config_selectorIlLb0EEEZNS1_14transform_implILb0ES3_S5_NS0_18transform_iteratorINS0_17counting_iteratorImlEEZNS1_24adjacent_difference_implIS3_Lb1ELb0EPlSB_ZN2at6native12_GLOBAL__N_124unique_dim_cuda_templateIlEESt5tupleIJNSC_6TensorESH_SH_EERKSH_lbbbEUlllE1_EE10hipError_tPvRmT2_T3_mT4_P12ihipStream_tbEUlmE_lEESB_NS0_8identityIvEEEESM_SP_SQ_mSR_ST_bEUlT_E_NS1_11comp_targetILNS1_3genE8ELNS1_11target_archE1030ELNS1_3gpuE2ELNS1_3repE0EEENS1_30default_config_static_selectorELNS0_4arch9wavefront6targetE0EEEvT1_
    .private_segment_fixed_size: 0
    .sgpr_count:     0
    .sgpr_spill_count: 0
    .symbol:         _ZN7rocprim17ROCPRIM_400000_NS6detail17trampoline_kernelINS0_14default_configENS1_25transform_config_selectorIlLb0EEEZNS1_14transform_implILb0ES3_S5_NS0_18transform_iteratorINS0_17counting_iteratorImlEEZNS1_24adjacent_difference_implIS3_Lb1ELb0EPlSB_ZN2at6native12_GLOBAL__N_124unique_dim_cuda_templateIlEESt5tupleIJNSC_6TensorESH_SH_EERKSH_lbbbEUlllE1_EE10hipError_tPvRmT2_T3_mT4_P12ihipStream_tbEUlmE_lEESB_NS0_8identityIvEEEESM_SP_SQ_mSR_ST_bEUlT_E_NS1_11comp_targetILNS1_3genE8ELNS1_11target_archE1030ELNS1_3gpuE2ELNS1_3repE0EEENS1_30default_config_static_selectorELNS0_4arch9wavefront6targetE0EEEvT1_.kd
    .uniform_work_group_size: 1
    .uses_dynamic_stack: false
    .vgpr_count:     0
    .vgpr_spill_count: 0
    .wavefront_size: 32
  - .args:
      - .offset:         0
        .size:           64
        .value_kind:     by_value
    .group_segment_fixed_size: 8448
    .kernarg_segment_align: 8
    .kernarg_segment_size: 64
    .language:       OpenCL C
    .language_version:
      - 2
      - 0
    .max_flat_workgroup_size: 512
    .name:           _ZN7rocprim17ROCPRIM_400000_NS6detail17trampoline_kernelINS0_14default_configENS1_35adjacent_difference_config_selectorILb1ElEEZNS1_24adjacent_difference_implIS3_Lb1ELb0EPlS7_ZN2at6native12_GLOBAL__N_124unique_dim_cuda_templateIlEESt5tupleIJNS8_6TensorESD_SD_EERKSD_lbbbEUlllE1_EE10hipError_tPvRmT2_T3_mT4_P12ihipStream_tbEUlT_E_NS1_11comp_targetILNS1_3genE0ELNS1_11target_archE4294967295ELNS1_3gpuE0ELNS1_3repE0EEENS1_30default_config_static_selectorELNS0_4arch9wavefront6targetE0EEEvT1_
    .private_segment_fixed_size: 0
    .sgpr_count:     31
    .sgpr_spill_count: 0
    .symbol:         _ZN7rocprim17ROCPRIM_400000_NS6detail17trampoline_kernelINS0_14default_configENS1_35adjacent_difference_config_selectorILb1ElEEZNS1_24adjacent_difference_implIS3_Lb1ELb0EPlS7_ZN2at6native12_GLOBAL__N_124unique_dim_cuda_templateIlEESt5tupleIJNS8_6TensorESD_SD_EERKSD_lbbbEUlllE1_EE10hipError_tPvRmT2_T3_mT4_P12ihipStream_tbEUlT_E_NS1_11comp_targetILNS1_3genE0ELNS1_11target_archE4294967295ELNS1_3gpuE0ELNS1_3repE0EEENS1_30default_config_static_selectorELNS0_4arch9wavefront6targetE0EEEvT1_.kd
    .uniform_work_group_size: 1
    .uses_dynamic_stack: false
    .vgpr_count:     16
    .vgpr_spill_count: 0
    .wavefront_size: 32
  - .args:
      - .offset:         0
        .size:           64
        .value_kind:     by_value
    .group_segment_fixed_size: 0
    .kernarg_segment_align: 8
    .kernarg_segment_size: 64
    .language:       OpenCL C
    .language_version:
      - 2
      - 0
    .max_flat_workgroup_size: 32
    .name:           _ZN7rocprim17ROCPRIM_400000_NS6detail17trampoline_kernelINS0_14default_configENS1_35adjacent_difference_config_selectorILb1ElEEZNS1_24adjacent_difference_implIS3_Lb1ELb0EPlS7_ZN2at6native12_GLOBAL__N_124unique_dim_cuda_templateIlEESt5tupleIJNS8_6TensorESD_SD_EERKSD_lbbbEUlllE1_EE10hipError_tPvRmT2_T3_mT4_P12ihipStream_tbEUlT_E_NS1_11comp_targetILNS1_3genE10ELNS1_11target_archE1201ELNS1_3gpuE5ELNS1_3repE0EEENS1_30default_config_static_selectorELNS0_4arch9wavefront6targetE0EEEvT1_
    .private_segment_fixed_size: 0
    .sgpr_count:     0
    .sgpr_spill_count: 0
    .symbol:         _ZN7rocprim17ROCPRIM_400000_NS6detail17trampoline_kernelINS0_14default_configENS1_35adjacent_difference_config_selectorILb1ElEEZNS1_24adjacent_difference_implIS3_Lb1ELb0EPlS7_ZN2at6native12_GLOBAL__N_124unique_dim_cuda_templateIlEESt5tupleIJNS8_6TensorESD_SD_EERKSD_lbbbEUlllE1_EE10hipError_tPvRmT2_T3_mT4_P12ihipStream_tbEUlT_E_NS1_11comp_targetILNS1_3genE10ELNS1_11target_archE1201ELNS1_3gpuE5ELNS1_3repE0EEENS1_30default_config_static_selectorELNS0_4arch9wavefront6targetE0EEEvT1_.kd
    .uniform_work_group_size: 1
    .uses_dynamic_stack: false
    .vgpr_count:     0
    .vgpr_spill_count: 0
    .wavefront_size: 32
  - .args:
      - .offset:         0
        .size:           64
        .value_kind:     by_value
    .group_segment_fixed_size: 0
    .kernarg_segment_align: 8
    .kernarg_segment_size: 64
    .language:       OpenCL C
    .language_version:
      - 2
      - 0
    .max_flat_workgroup_size: 256
    .name:           _ZN7rocprim17ROCPRIM_400000_NS6detail17trampoline_kernelINS0_14default_configENS1_35adjacent_difference_config_selectorILb1ElEEZNS1_24adjacent_difference_implIS3_Lb1ELb0EPlS7_ZN2at6native12_GLOBAL__N_124unique_dim_cuda_templateIlEESt5tupleIJNS8_6TensorESD_SD_EERKSD_lbbbEUlllE1_EE10hipError_tPvRmT2_T3_mT4_P12ihipStream_tbEUlT_E_NS1_11comp_targetILNS1_3genE5ELNS1_11target_archE942ELNS1_3gpuE9ELNS1_3repE0EEENS1_30default_config_static_selectorELNS0_4arch9wavefront6targetE0EEEvT1_
    .private_segment_fixed_size: 0
    .sgpr_count:     0
    .sgpr_spill_count: 0
    .symbol:         _ZN7rocprim17ROCPRIM_400000_NS6detail17trampoline_kernelINS0_14default_configENS1_35adjacent_difference_config_selectorILb1ElEEZNS1_24adjacent_difference_implIS3_Lb1ELb0EPlS7_ZN2at6native12_GLOBAL__N_124unique_dim_cuda_templateIlEESt5tupleIJNS8_6TensorESD_SD_EERKSD_lbbbEUlllE1_EE10hipError_tPvRmT2_T3_mT4_P12ihipStream_tbEUlT_E_NS1_11comp_targetILNS1_3genE5ELNS1_11target_archE942ELNS1_3gpuE9ELNS1_3repE0EEENS1_30default_config_static_selectorELNS0_4arch9wavefront6targetE0EEEvT1_.kd
    .uniform_work_group_size: 1
    .uses_dynamic_stack: false
    .vgpr_count:     0
    .vgpr_spill_count: 0
    .wavefront_size: 32
  - .args:
      - .offset:         0
        .size:           64
        .value_kind:     by_value
    .group_segment_fixed_size: 0
    .kernarg_segment_align: 8
    .kernarg_segment_size: 64
    .language:       OpenCL C
    .language_version:
      - 2
      - 0
    .max_flat_workgroup_size: 512
    .name:           _ZN7rocprim17ROCPRIM_400000_NS6detail17trampoline_kernelINS0_14default_configENS1_35adjacent_difference_config_selectorILb1ElEEZNS1_24adjacent_difference_implIS3_Lb1ELb0EPlS7_ZN2at6native12_GLOBAL__N_124unique_dim_cuda_templateIlEESt5tupleIJNS8_6TensorESD_SD_EERKSD_lbbbEUlllE1_EE10hipError_tPvRmT2_T3_mT4_P12ihipStream_tbEUlT_E_NS1_11comp_targetILNS1_3genE4ELNS1_11target_archE910ELNS1_3gpuE8ELNS1_3repE0EEENS1_30default_config_static_selectorELNS0_4arch9wavefront6targetE0EEEvT1_
    .private_segment_fixed_size: 0
    .sgpr_count:     0
    .sgpr_spill_count: 0
    .symbol:         _ZN7rocprim17ROCPRIM_400000_NS6detail17trampoline_kernelINS0_14default_configENS1_35adjacent_difference_config_selectorILb1ElEEZNS1_24adjacent_difference_implIS3_Lb1ELb0EPlS7_ZN2at6native12_GLOBAL__N_124unique_dim_cuda_templateIlEESt5tupleIJNS8_6TensorESD_SD_EERKSD_lbbbEUlllE1_EE10hipError_tPvRmT2_T3_mT4_P12ihipStream_tbEUlT_E_NS1_11comp_targetILNS1_3genE4ELNS1_11target_archE910ELNS1_3gpuE8ELNS1_3repE0EEENS1_30default_config_static_selectorELNS0_4arch9wavefront6targetE0EEEvT1_.kd
    .uniform_work_group_size: 1
    .uses_dynamic_stack: false
    .vgpr_count:     0
    .vgpr_spill_count: 0
    .wavefront_size: 32
  - .args:
      - .offset:         0
        .size:           64
        .value_kind:     by_value
    .group_segment_fixed_size: 0
    .kernarg_segment_align: 8
    .kernarg_segment_size: 64
    .language:       OpenCL C
    .language_version:
      - 2
      - 0
    .max_flat_workgroup_size: 512
    .name:           _ZN7rocprim17ROCPRIM_400000_NS6detail17trampoline_kernelINS0_14default_configENS1_35adjacent_difference_config_selectorILb1ElEEZNS1_24adjacent_difference_implIS3_Lb1ELb0EPlS7_ZN2at6native12_GLOBAL__N_124unique_dim_cuda_templateIlEESt5tupleIJNS8_6TensorESD_SD_EERKSD_lbbbEUlllE1_EE10hipError_tPvRmT2_T3_mT4_P12ihipStream_tbEUlT_E_NS1_11comp_targetILNS1_3genE3ELNS1_11target_archE908ELNS1_3gpuE7ELNS1_3repE0EEENS1_30default_config_static_selectorELNS0_4arch9wavefront6targetE0EEEvT1_
    .private_segment_fixed_size: 0
    .sgpr_count:     0
    .sgpr_spill_count: 0
    .symbol:         _ZN7rocprim17ROCPRIM_400000_NS6detail17trampoline_kernelINS0_14default_configENS1_35adjacent_difference_config_selectorILb1ElEEZNS1_24adjacent_difference_implIS3_Lb1ELb0EPlS7_ZN2at6native12_GLOBAL__N_124unique_dim_cuda_templateIlEESt5tupleIJNS8_6TensorESD_SD_EERKSD_lbbbEUlllE1_EE10hipError_tPvRmT2_T3_mT4_P12ihipStream_tbEUlT_E_NS1_11comp_targetILNS1_3genE3ELNS1_11target_archE908ELNS1_3gpuE7ELNS1_3repE0EEENS1_30default_config_static_selectorELNS0_4arch9wavefront6targetE0EEEvT1_.kd
    .uniform_work_group_size: 1
    .uses_dynamic_stack: false
    .vgpr_count:     0
    .vgpr_spill_count: 0
    .wavefront_size: 32
  - .args:
      - .offset:         0
        .size:           64
        .value_kind:     by_value
    .group_segment_fixed_size: 0
    .kernarg_segment_align: 8
    .kernarg_segment_size: 64
    .language:       OpenCL C
    .language_version:
      - 2
      - 0
    .max_flat_workgroup_size: 128
    .name:           _ZN7rocprim17ROCPRIM_400000_NS6detail17trampoline_kernelINS0_14default_configENS1_35adjacent_difference_config_selectorILb1ElEEZNS1_24adjacent_difference_implIS3_Lb1ELb0EPlS7_ZN2at6native12_GLOBAL__N_124unique_dim_cuda_templateIlEESt5tupleIJNS8_6TensorESD_SD_EERKSD_lbbbEUlllE1_EE10hipError_tPvRmT2_T3_mT4_P12ihipStream_tbEUlT_E_NS1_11comp_targetILNS1_3genE2ELNS1_11target_archE906ELNS1_3gpuE6ELNS1_3repE0EEENS1_30default_config_static_selectorELNS0_4arch9wavefront6targetE0EEEvT1_
    .private_segment_fixed_size: 0
    .sgpr_count:     0
    .sgpr_spill_count: 0
    .symbol:         _ZN7rocprim17ROCPRIM_400000_NS6detail17trampoline_kernelINS0_14default_configENS1_35adjacent_difference_config_selectorILb1ElEEZNS1_24adjacent_difference_implIS3_Lb1ELb0EPlS7_ZN2at6native12_GLOBAL__N_124unique_dim_cuda_templateIlEESt5tupleIJNS8_6TensorESD_SD_EERKSD_lbbbEUlllE1_EE10hipError_tPvRmT2_T3_mT4_P12ihipStream_tbEUlT_E_NS1_11comp_targetILNS1_3genE2ELNS1_11target_archE906ELNS1_3gpuE6ELNS1_3repE0EEENS1_30default_config_static_selectorELNS0_4arch9wavefront6targetE0EEEvT1_.kd
    .uniform_work_group_size: 1
    .uses_dynamic_stack: false
    .vgpr_count:     0
    .vgpr_spill_count: 0
    .wavefront_size: 32
  - .args:
      - .offset:         0
        .size:           64
        .value_kind:     by_value
    .group_segment_fixed_size: 0
    .kernarg_segment_align: 8
    .kernarg_segment_size: 64
    .language:       OpenCL C
    .language_version:
      - 2
      - 0
    .max_flat_workgroup_size: 128
    .name:           _ZN7rocprim17ROCPRIM_400000_NS6detail17trampoline_kernelINS0_14default_configENS1_35adjacent_difference_config_selectorILb1ElEEZNS1_24adjacent_difference_implIS3_Lb1ELb0EPlS7_ZN2at6native12_GLOBAL__N_124unique_dim_cuda_templateIlEESt5tupleIJNS8_6TensorESD_SD_EERKSD_lbbbEUlllE1_EE10hipError_tPvRmT2_T3_mT4_P12ihipStream_tbEUlT_E_NS1_11comp_targetILNS1_3genE9ELNS1_11target_archE1100ELNS1_3gpuE3ELNS1_3repE0EEENS1_30default_config_static_selectorELNS0_4arch9wavefront6targetE0EEEvT1_
    .private_segment_fixed_size: 0
    .sgpr_count:     0
    .sgpr_spill_count: 0
    .symbol:         _ZN7rocprim17ROCPRIM_400000_NS6detail17trampoline_kernelINS0_14default_configENS1_35adjacent_difference_config_selectorILb1ElEEZNS1_24adjacent_difference_implIS3_Lb1ELb0EPlS7_ZN2at6native12_GLOBAL__N_124unique_dim_cuda_templateIlEESt5tupleIJNS8_6TensorESD_SD_EERKSD_lbbbEUlllE1_EE10hipError_tPvRmT2_T3_mT4_P12ihipStream_tbEUlT_E_NS1_11comp_targetILNS1_3genE9ELNS1_11target_archE1100ELNS1_3gpuE3ELNS1_3repE0EEENS1_30default_config_static_selectorELNS0_4arch9wavefront6targetE0EEEvT1_.kd
    .uniform_work_group_size: 1
    .uses_dynamic_stack: false
    .vgpr_count:     0
    .vgpr_spill_count: 0
    .wavefront_size: 32
  - .args:
      - .offset:         0
        .size:           64
        .value_kind:     by_value
    .group_segment_fixed_size: 0
    .kernarg_segment_align: 8
    .kernarg_segment_size: 64
    .language:       OpenCL C
    .language_version:
      - 2
      - 0
    .max_flat_workgroup_size: 32
    .name:           _ZN7rocprim17ROCPRIM_400000_NS6detail17trampoline_kernelINS0_14default_configENS1_35adjacent_difference_config_selectorILb1ElEEZNS1_24adjacent_difference_implIS3_Lb1ELb0EPlS7_ZN2at6native12_GLOBAL__N_124unique_dim_cuda_templateIlEESt5tupleIJNS8_6TensorESD_SD_EERKSD_lbbbEUlllE1_EE10hipError_tPvRmT2_T3_mT4_P12ihipStream_tbEUlT_E_NS1_11comp_targetILNS1_3genE8ELNS1_11target_archE1030ELNS1_3gpuE2ELNS1_3repE0EEENS1_30default_config_static_selectorELNS0_4arch9wavefront6targetE0EEEvT1_
    .private_segment_fixed_size: 0
    .sgpr_count:     0
    .sgpr_spill_count: 0
    .symbol:         _ZN7rocprim17ROCPRIM_400000_NS6detail17trampoline_kernelINS0_14default_configENS1_35adjacent_difference_config_selectorILb1ElEEZNS1_24adjacent_difference_implIS3_Lb1ELb0EPlS7_ZN2at6native12_GLOBAL__N_124unique_dim_cuda_templateIlEESt5tupleIJNS8_6TensorESD_SD_EERKSD_lbbbEUlllE1_EE10hipError_tPvRmT2_T3_mT4_P12ihipStream_tbEUlT_E_NS1_11comp_targetILNS1_3genE8ELNS1_11target_archE1030ELNS1_3gpuE2ELNS1_3repE0EEENS1_30default_config_static_selectorELNS0_4arch9wavefront6targetE0EEEvT1_.kd
    .uniform_work_group_size: 1
    .uses_dynamic_stack: false
    .vgpr_count:     0
    .vgpr_spill_count: 0
    .wavefront_size: 32
  - .args:
      - .offset:         0
        .size:           120
        .value_kind:     by_value
    .group_segment_fixed_size: 28680
    .kernarg_segment_align: 8
    .kernarg_segment_size: 120
    .language:       OpenCL C
    .language_version:
      - 2
      - 0
    .max_flat_workgroup_size: 512
    .name:           _ZN7rocprim17ROCPRIM_400000_NS6detail17trampoline_kernelINS0_14default_configENS1_25partition_config_selectorILNS1_17partition_subalgoE8ElNS0_10empty_typeEbEEZZNS1_14partition_implILS5_8ELb0ES3_jPlPS6_PKS6_NS0_5tupleIJS9_S6_EEENSD_IJSA_SA_EEENS0_18inequality_wrapperIZN2at6native12_GLOBAL__N_124unique_dim_cuda_templateIlEESt5tupleIJNSH_6TensorESM_SM_EERKSM_lbbbEUlllE0_EEPmJS6_EEE10hipError_tPvRmT3_T4_T5_T6_T7_T9_mT8_P12ihipStream_tbDpT10_ENKUlT_T0_E_clISt17integral_constantIbLb0EES1C_EEDaS17_S18_EUlS17_E_NS1_11comp_targetILNS1_3genE0ELNS1_11target_archE4294967295ELNS1_3gpuE0ELNS1_3repE0EEENS1_30default_config_static_selectorELNS0_4arch9wavefront6targetE0EEEvT1_
    .private_segment_fixed_size: 0
    .sgpr_count:     38
    .sgpr_spill_count: 0
    .symbol:         _ZN7rocprim17ROCPRIM_400000_NS6detail17trampoline_kernelINS0_14default_configENS1_25partition_config_selectorILNS1_17partition_subalgoE8ElNS0_10empty_typeEbEEZZNS1_14partition_implILS5_8ELb0ES3_jPlPS6_PKS6_NS0_5tupleIJS9_S6_EEENSD_IJSA_SA_EEENS0_18inequality_wrapperIZN2at6native12_GLOBAL__N_124unique_dim_cuda_templateIlEESt5tupleIJNSH_6TensorESM_SM_EERKSM_lbbbEUlllE0_EEPmJS6_EEE10hipError_tPvRmT3_T4_T5_T6_T7_T9_mT8_P12ihipStream_tbDpT10_ENKUlT_T0_E_clISt17integral_constantIbLb0EES1C_EEDaS17_S18_EUlS17_E_NS1_11comp_targetILNS1_3genE0ELNS1_11target_archE4294967295ELNS1_3gpuE0ELNS1_3repE0EEENS1_30default_config_static_selectorELNS0_4arch9wavefront6targetE0EEEvT1_.kd
    .uniform_work_group_size: 1
    .uses_dynamic_stack: false
    .vgpr_count:     54
    .vgpr_spill_count: 0
    .wavefront_size: 32
  - .args:
      - .offset:         0
        .size:           120
        .value_kind:     by_value
    .group_segment_fixed_size: 0
    .kernarg_segment_align: 8
    .kernarg_segment_size: 120
    .language:       OpenCL C
    .language_version:
      - 2
      - 0
    .max_flat_workgroup_size: 512
    .name:           _ZN7rocprim17ROCPRIM_400000_NS6detail17trampoline_kernelINS0_14default_configENS1_25partition_config_selectorILNS1_17partition_subalgoE8ElNS0_10empty_typeEbEEZZNS1_14partition_implILS5_8ELb0ES3_jPlPS6_PKS6_NS0_5tupleIJS9_S6_EEENSD_IJSA_SA_EEENS0_18inequality_wrapperIZN2at6native12_GLOBAL__N_124unique_dim_cuda_templateIlEESt5tupleIJNSH_6TensorESM_SM_EERKSM_lbbbEUlllE0_EEPmJS6_EEE10hipError_tPvRmT3_T4_T5_T6_T7_T9_mT8_P12ihipStream_tbDpT10_ENKUlT_T0_E_clISt17integral_constantIbLb0EES1C_EEDaS17_S18_EUlS17_E_NS1_11comp_targetILNS1_3genE5ELNS1_11target_archE942ELNS1_3gpuE9ELNS1_3repE0EEENS1_30default_config_static_selectorELNS0_4arch9wavefront6targetE0EEEvT1_
    .private_segment_fixed_size: 0
    .sgpr_count:     0
    .sgpr_spill_count: 0
    .symbol:         _ZN7rocprim17ROCPRIM_400000_NS6detail17trampoline_kernelINS0_14default_configENS1_25partition_config_selectorILNS1_17partition_subalgoE8ElNS0_10empty_typeEbEEZZNS1_14partition_implILS5_8ELb0ES3_jPlPS6_PKS6_NS0_5tupleIJS9_S6_EEENSD_IJSA_SA_EEENS0_18inequality_wrapperIZN2at6native12_GLOBAL__N_124unique_dim_cuda_templateIlEESt5tupleIJNSH_6TensorESM_SM_EERKSM_lbbbEUlllE0_EEPmJS6_EEE10hipError_tPvRmT3_T4_T5_T6_T7_T9_mT8_P12ihipStream_tbDpT10_ENKUlT_T0_E_clISt17integral_constantIbLb0EES1C_EEDaS17_S18_EUlS17_E_NS1_11comp_targetILNS1_3genE5ELNS1_11target_archE942ELNS1_3gpuE9ELNS1_3repE0EEENS1_30default_config_static_selectorELNS0_4arch9wavefront6targetE0EEEvT1_.kd
    .uniform_work_group_size: 1
    .uses_dynamic_stack: false
    .vgpr_count:     0
    .vgpr_spill_count: 0
    .wavefront_size: 32
  - .args:
      - .offset:         0
        .size:           120
        .value_kind:     by_value
    .group_segment_fixed_size: 0
    .kernarg_segment_align: 8
    .kernarg_segment_size: 120
    .language:       OpenCL C
    .language_version:
      - 2
      - 0
    .max_flat_workgroup_size: 256
    .name:           _ZN7rocprim17ROCPRIM_400000_NS6detail17trampoline_kernelINS0_14default_configENS1_25partition_config_selectorILNS1_17partition_subalgoE8ElNS0_10empty_typeEbEEZZNS1_14partition_implILS5_8ELb0ES3_jPlPS6_PKS6_NS0_5tupleIJS9_S6_EEENSD_IJSA_SA_EEENS0_18inequality_wrapperIZN2at6native12_GLOBAL__N_124unique_dim_cuda_templateIlEESt5tupleIJNSH_6TensorESM_SM_EERKSM_lbbbEUlllE0_EEPmJS6_EEE10hipError_tPvRmT3_T4_T5_T6_T7_T9_mT8_P12ihipStream_tbDpT10_ENKUlT_T0_E_clISt17integral_constantIbLb0EES1C_EEDaS17_S18_EUlS17_E_NS1_11comp_targetILNS1_3genE4ELNS1_11target_archE910ELNS1_3gpuE8ELNS1_3repE0EEENS1_30default_config_static_selectorELNS0_4arch9wavefront6targetE0EEEvT1_
    .private_segment_fixed_size: 0
    .sgpr_count:     0
    .sgpr_spill_count: 0
    .symbol:         _ZN7rocprim17ROCPRIM_400000_NS6detail17trampoline_kernelINS0_14default_configENS1_25partition_config_selectorILNS1_17partition_subalgoE8ElNS0_10empty_typeEbEEZZNS1_14partition_implILS5_8ELb0ES3_jPlPS6_PKS6_NS0_5tupleIJS9_S6_EEENSD_IJSA_SA_EEENS0_18inequality_wrapperIZN2at6native12_GLOBAL__N_124unique_dim_cuda_templateIlEESt5tupleIJNSH_6TensorESM_SM_EERKSM_lbbbEUlllE0_EEPmJS6_EEE10hipError_tPvRmT3_T4_T5_T6_T7_T9_mT8_P12ihipStream_tbDpT10_ENKUlT_T0_E_clISt17integral_constantIbLb0EES1C_EEDaS17_S18_EUlS17_E_NS1_11comp_targetILNS1_3genE4ELNS1_11target_archE910ELNS1_3gpuE8ELNS1_3repE0EEENS1_30default_config_static_selectorELNS0_4arch9wavefront6targetE0EEEvT1_.kd
    .uniform_work_group_size: 1
    .uses_dynamic_stack: false
    .vgpr_count:     0
    .vgpr_spill_count: 0
    .wavefront_size: 32
  - .args:
      - .offset:         0
        .size:           120
        .value_kind:     by_value
    .group_segment_fixed_size: 0
    .kernarg_segment_align: 8
    .kernarg_segment_size: 120
    .language:       OpenCL C
    .language_version:
      - 2
      - 0
    .max_flat_workgroup_size: 512
    .name:           _ZN7rocprim17ROCPRIM_400000_NS6detail17trampoline_kernelINS0_14default_configENS1_25partition_config_selectorILNS1_17partition_subalgoE8ElNS0_10empty_typeEbEEZZNS1_14partition_implILS5_8ELb0ES3_jPlPS6_PKS6_NS0_5tupleIJS9_S6_EEENSD_IJSA_SA_EEENS0_18inequality_wrapperIZN2at6native12_GLOBAL__N_124unique_dim_cuda_templateIlEESt5tupleIJNSH_6TensorESM_SM_EERKSM_lbbbEUlllE0_EEPmJS6_EEE10hipError_tPvRmT3_T4_T5_T6_T7_T9_mT8_P12ihipStream_tbDpT10_ENKUlT_T0_E_clISt17integral_constantIbLb0EES1C_EEDaS17_S18_EUlS17_E_NS1_11comp_targetILNS1_3genE3ELNS1_11target_archE908ELNS1_3gpuE7ELNS1_3repE0EEENS1_30default_config_static_selectorELNS0_4arch9wavefront6targetE0EEEvT1_
    .private_segment_fixed_size: 0
    .sgpr_count:     0
    .sgpr_spill_count: 0
    .symbol:         _ZN7rocprim17ROCPRIM_400000_NS6detail17trampoline_kernelINS0_14default_configENS1_25partition_config_selectorILNS1_17partition_subalgoE8ElNS0_10empty_typeEbEEZZNS1_14partition_implILS5_8ELb0ES3_jPlPS6_PKS6_NS0_5tupleIJS9_S6_EEENSD_IJSA_SA_EEENS0_18inequality_wrapperIZN2at6native12_GLOBAL__N_124unique_dim_cuda_templateIlEESt5tupleIJNSH_6TensorESM_SM_EERKSM_lbbbEUlllE0_EEPmJS6_EEE10hipError_tPvRmT3_T4_T5_T6_T7_T9_mT8_P12ihipStream_tbDpT10_ENKUlT_T0_E_clISt17integral_constantIbLb0EES1C_EEDaS17_S18_EUlS17_E_NS1_11comp_targetILNS1_3genE3ELNS1_11target_archE908ELNS1_3gpuE7ELNS1_3repE0EEENS1_30default_config_static_selectorELNS0_4arch9wavefront6targetE0EEEvT1_.kd
    .uniform_work_group_size: 1
    .uses_dynamic_stack: false
    .vgpr_count:     0
    .vgpr_spill_count: 0
    .wavefront_size: 32
  - .args:
      - .offset:         0
        .size:           120
        .value_kind:     by_value
    .group_segment_fixed_size: 0
    .kernarg_segment_align: 8
    .kernarg_segment_size: 120
    .language:       OpenCL C
    .language_version:
      - 2
      - 0
    .max_flat_workgroup_size: 256
    .name:           _ZN7rocprim17ROCPRIM_400000_NS6detail17trampoline_kernelINS0_14default_configENS1_25partition_config_selectorILNS1_17partition_subalgoE8ElNS0_10empty_typeEbEEZZNS1_14partition_implILS5_8ELb0ES3_jPlPS6_PKS6_NS0_5tupleIJS9_S6_EEENSD_IJSA_SA_EEENS0_18inequality_wrapperIZN2at6native12_GLOBAL__N_124unique_dim_cuda_templateIlEESt5tupleIJNSH_6TensorESM_SM_EERKSM_lbbbEUlllE0_EEPmJS6_EEE10hipError_tPvRmT3_T4_T5_T6_T7_T9_mT8_P12ihipStream_tbDpT10_ENKUlT_T0_E_clISt17integral_constantIbLb0EES1C_EEDaS17_S18_EUlS17_E_NS1_11comp_targetILNS1_3genE2ELNS1_11target_archE906ELNS1_3gpuE6ELNS1_3repE0EEENS1_30default_config_static_selectorELNS0_4arch9wavefront6targetE0EEEvT1_
    .private_segment_fixed_size: 0
    .sgpr_count:     0
    .sgpr_spill_count: 0
    .symbol:         _ZN7rocprim17ROCPRIM_400000_NS6detail17trampoline_kernelINS0_14default_configENS1_25partition_config_selectorILNS1_17partition_subalgoE8ElNS0_10empty_typeEbEEZZNS1_14partition_implILS5_8ELb0ES3_jPlPS6_PKS6_NS0_5tupleIJS9_S6_EEENSD_IJSA_SA_EEENS0_18inequality_wrapperIZN2at6native12_GLOBAL__N_124unique_dim_cuda_templateIlEESt5tupleIJNSH_6TensorESM_SM_EERKSM_lbbbEUlllE0_EEPmJS6_EEE10hipError_tPvRmT3_T4_T5_T6_T7_T9_mT8_P12ihipStream_tbDpT10_ENKUlT_T0_E_clISt17integral_constantIbLb0EES1C_EEDaS17_S18_EUlS17_E_NS1_11comp_targetILNS1_3genE2ELNS1_11target_archE906ELNS1_3gpuE6ELNS1_3repE0EEENS1_30default_config_static_selectorELNS0_4arch9wavefront6targetE0EEEvT1_.kd
    .uniform_work_group_size: 1
    .uses_dynamic_stack: false
    .vgpr_count:     0
    .vgpr_spill_count: 0
    .wavefront_size: 32
  - .args:
      - .offset:         0
        .size:           120
        .value_kind:     by_value
    .group_segment_fixed_size: 0
    .kernarg_segment_align: 8
    .kernarg_segment_size: 120
    .language:       OpenCL C
    .language_version:
      - 2
      - 0
    .max_flat_workgroup_size: 384
    .name:           _ZN7rocprim17ROCPRIM_400000_NS6detail17trampoline_kernelINS0_14default_configENS1_25partition_config_selectorILNS1_17partition_subalgoE8ElNS0_10empty_typeEbEEZZNS1_14partition_implILS5_8ELb0ES3_jPlPS6_PKS6_NS0_5tupleIJS9_S6_EEENSD_IJSA_SA_EEENS0_18inequality_wrapperIZN2at6native12_GLOBAL__N_124unique_dim_cuda_templateIlEESt5tupleIJNSH_6TensorESM_SM_EERKSM_lbbbEUlllE0_EEPmJS6_EEE10hipError_tPvRmT3_T4_T5_T6_T7_T9_mT8_P12ihipStream_tbDpT10_ENKUlT_T0_E_clISt17integral_constantIbLb0EES1C_EEDaS17_S18_EUlS17_E_NS1_11comp_targetILNS1_3genE10ELNS1_11target_archE1200ELNS1_3gpuE4ELNS1_3repE0EEENS1_30default_config_static_selectorELNS0_4arch9wavefront6targetE0EEEvT1_
    .private_segment_fixed_size: 0
    .sgpr_count:     0
    .sgpr_spill_count: 0
    .symbol:         _ZN7rocprim17ROCPRIM_400000_NS6detail17trampoline_kernelINS0_14default_configENS1_25partition_config_selectorILNS1_17partition_subalgoE8ElNS0_10empty_typeEbEEZZNS1_14partition_implILS5_8ELb0ES3_jPlPS6_PKS6_NS0_5tupleIJS9_S6_EEENSD_IJSA_SA_EEENS0_18inequality_wrapperIZN2at6native12_GLOBAL__N_124unique_dim_cuda_templateIlEESt5tupleIJNSH_6TensorESM_SM_EERKSM_lbbbEUlllE0_EEPmJS6_EEE10hipError_tPvRmT3_T4_T5_T6_T7_T9_mT8_P12ihipStream_tbDpT10_ENKUlT_T0_E_clISt17integral_constantIbLb0EES1C_EEDaS17_S18_EUlS17_E_NS1_11comp_targetILNS1_3genE10ELNS1_11target_archE1200ELNS1_3gpuE4ELNS1_3repE0EEENS1_30default_config_static_selectorELNS0_4arch9wavefront6targetE0EEEvT1_.kd
    .uniform_work_group_size: 1
    .uses_dynamic_stack: false
    .vgpr_count:     0
    .vgpr_spill_count: 0
    .wavefront_size: 32
  - .args:
      - .offset:         0
        .size:           120
        .value_kind:     by_value
    .group_segment_fixed_size: 0
    .kernarg_segment_align: 8
    .kernarg_segment_size: 120
    .language:       OpenCL C
    .language_version:
      - 2
      - 0
    .max_flat_workgroup_size: 512
    .name:           _ZN7rocprim17ROCPRIM_400000_NS6detail17trampoline_kernelINS0_14default_configENS1_25partition_config_selectorILNS1_17partition_subalgoE8ElNS0_10empty_typeEbEEZZNS1_14partition_implILS5_8ELb0ES3_jPlPS6_PKS6_NS0_5tupleIJS9_S6_EEENSD_IJSA_SA_EEENS0_18inequality_wrapperIZN2at6native12_GLOBAL__N_124unique_dim_cuda_templateIlEESt5tupleIJNSH_6TensorESM_SM_EERKSM_lbbbEUlllE0_EEPmJS6_EEE10hipError_tPvRmT3_T4_T5_T6_T7_T9_mT8_P12ihipStream_tbDpT10_ENKUlT_T0_E_clISt17integral_constantIbLb0EES1C_EEDaS17_S18_EUlS17_E_NS1_11comp_targetILNS1_3genE9ELNS1_11target_archE1100ELNS1_3gpuE3ELNS1_3repE0EEENS1_30default_config_static_selectorELNS0_4arch9wavefront6targetE0EEEvT1_
    .private_segment_fixed_size: 0
    .sgpr_count:     0
    .sgpr_spill_count: 0
    .symbol:         _ZN7rocprim17ROCPRIM_400000_NS6detail17trampoline_kernelINS0_14default_configENS1_25partition_config_selectorILNS1_17partition_subalgoE8ElNS0_10empty_typeEbEEZZNS1_14partition_implILS5_8ELb0ES3_jPlPS6_PKS6_NS0_5tupleIJS9_S6_EEENSD_IJSA_SA_EEENS0_18inequality_wrapperIZN2at6native12_GLOBAL__N_124unique_dim_cuda_templateIlEESt5tupleIJNSH_6TensorESM_SM_EERKSM_lbbbEUlllE0_EEPmJS6_EEE10hipError_tPvRmT3_T4_T5_T6_T7_T9_mT8_P12ihipStream_tbDpT10_ENKUlT_T0_E_clISt17integral_constantIbLb0EES1C_EEDaS17_S18_EUlS17_E_NS1_11comp_targetILNS1_3genE9ELNS1_11target_archE1100ELNS1_3gpuE3ELNS1_3repE0EEENS1_30default_config_static_selectorELNS0_4arch9wavefront6targetE0EEEvT1_.kd
    .uniform_work_group_size: 1
    .uses_dynamic_stack: false
    .vgpr_count:     0
    .vgpr_spill_count: 0
    .wavefront_size: 32
  - .args:
      - .offset:         0
        .size:           120
        .value_kind:     by_value
    .group_segment_fixed_size: 0
    .kernarg_segment_align: 8
    .kernarg_segment_size: 120
    .language:       OpenCL C
    .language_version:
      - 2
      - 0
    .max_flat_workgroup_size: 512
    .name:           _ZN7rocprim17ROCPRIM_400000_NS6detail17trampoline_kernelINS0_14default_configENS1_25partition_config_selectorILNS1_17partition_subalgoE8ElNS0_10empty_typeEbEEZZNS1_14partition_implILS5_8ELb0ES3_jPlPS6_PKS6_NS0_5tupleIJS9_S6_EEENSD_IJSA_SA_EEENS0_18inequality_wrapperIZN2at6native12_GLOBAL__N_124unique_dim_cuda_templateIlEESt5tupleIJNSH_6TensorESM_SM_EERKSM_lbbbEUlllE0_EEPmJS6_EEE10hipError_tPvRmT3_T4_T5_T6_T7_T9_mT8_P12ihipStream_tbDpT10_ENKUlT_T0_E_clISt17integral_constantIbLb0EES1C_EEDaS17_S18_EUlS17_E_NS1_11comp_targetILNS1_3genE8ELNS1_11target_archE1030ELNS1_3gpuE2ELNS1_3repE0EEENS1_30default_config_static_selectorELNS0_4arch9wavefront6targetE0EEEvT1_
    .private_segment_fixed_size: 0
    .sgpr_count:     0
    .sgpr_spill_count: 0
    .symbol:         _ZN7rocprim17ROCPRIM_400000_NS6detail17trampoline_kernelINS0_14default_configENS1_25partition_config_selectorILNS1_17partition_subalgoE8ElNS0_10empty_typeEbEEZZNS1_14partition_implILS5_8ELb0ES3_jPlPS6_PKS6_NS0_5tupleIJS9_S6_EEENSD_IJSA_SA_EEENS0_18inequality_wrapperIZN2at6native12_GLOBAL__N_124unique_dim_cuda_templateIlEESt5tupleIJNSH_6TensorESM_SM_EERKSM_lbbbEUlllE0_EEPmJS6_EEE10hipError_tPvRmT3_T4_T5_T6_T7_T9_mT8_P12ihipStream_tbDpT10_ENKUlT_T0_E_clISt17integral_constantIbLb0EES1C_EEDaS17_S18_EUlS17_E_NS1_11comp_targetILNS1_3genE8ELNS1_11target_archE1030ELNS1_3gpuE2ELNS1_3repE0EEENS1_30default_config_static_selectorELNS0_4arch9wavefront6targetE0EEEvT1_.kd
    .uniform_work_group_size: 1
    .uses_dynamic_stack: false
    .vgpr_count:     0
    .vgpr_spill_count: 0
    .wavefront_size: 32
  - .args:
      - .offset:         0
        .size:           136
        .value_kind:     by_value
    .group_segment_fixed_size: 0
    .kernarg_segment_align: 8
    .kernarg_segment_size: 136
    .language:       OpenCL C
    .language_version:
      - 2
      - 0
    .max_flat_workgroup_size: 512
    .name:           _ZN7rocprim17ROCPRIM_400000_NS6detail17trampoline_kernelINS0_14default_configENS1_25partition_config_selectorILNS1_17partition_subalgoE8ElNS0_10empty_typeEbEEZZNS1_14partition_implILS5_8ELb0ES3_jPlPS6_PKS6_NS0_5tupleIJS9_S6_EEENSD_IJSA_SA_EEENS0_18inequality_wrapperIZN2at6native12_GLOBAL__N_124unique_dim_cuda_templateIlEESt5tupleIJNSH_6TensorESM_SM_EERKSM_lbbbEUlllE0_EEPmJS6_EEE10hipError_tPvRmT3_T4_T5_T6_T7_T9_mT8_P12ihipStream_tbDpT10_ENKUlT_T0_E_clISt17integral_constantIbLb1EES1C_EEDaS17_S18_EUlS17_E_NS1_11comp_targetILNS1_3genE0ELNS1_11target_archE4294967295ELNS1_3gpuE0ELNS1_3repE0EEENS1_30default_config_static_selectorELNS0_4arch9wavefront6targetE0EEEvT1_
    .private_segment_fixed_size: 0
    .sgpr_count:     0
    .sgpr_spill_count: 0
    .symbol:         _ZN7rocprim17ROCPRIM_400000_NS6detail17trampoline_kernelINS0_14default_configENS1_25partition_config_selectorILNS1_17partition_subalgoE8ElNS0_10empty_typeEbEEZZNS1_14partition_implILS5_8ELb0ES3_jPlPS6_PKS6_NS0_5tupleIJS9_S6_EEENSD_IJSA_SA_EEENS0_18inequality_wrapperIZN2at6native12_GLOBAL__N_124unique_dim_cuda_templateIlEESt5tupleIJNSH_6TensorESM_SM_EERKSM_lbbbEUlllE0_EEPmJS6_EEE10hipError_tPvRmT3_T4_T5_T6_T7_T9_mT8_P12ihipStream_tbDpT10_ENKUlT_T0_E_clISt17integral_constantIbLb1EES1C_EEDaS17_S18_EUlS17_E_NS1_11comp_targetILNS1_3genE0ELNS1_11target_archE4294967295ELNS1_3gpuE0ELNS1_3repE0EEENS1_30default_config_static_selectorELNS0_4arch9wavefront6targetE0EEEvT1_.kd
    .uniform_work_group_size: 1
    .uses_dynamic_stack: false
    .vgpr_count:     0
    .vgpr_spill_count: 0
    .wavefront_size: 32
  - .args:
      - .offset:         0
        .size:           136
        .value_kind:     by_value
    .group_segment_fixed_size: 0
    .kernarg_segment_align: 8
    .kernarg_segment_size: 136
    .language:       OpenCL C
    .language_version:
      - 2
      - 0
    .max_flat_workgroup_size: 512
    .name:           _ZN7rocprim17ROCPRIM_400000_NS6detail17trampoline_kernelINS0_14default_configENS1_25partition_config_selectorILNS1_17partition_subalgoE8ElNS0_10empty_typeEbEEZZNS1_14partition_implILS5_8ELb0ES3_jPlPS6_PKS6_NS0_5tupleIJS9_S6_EEENSD_IJSA_SA_EEENS0_18inequality_wrapperIZN2at6native12_GLOBAL__N_124unique_dim_cuda_templateIlEESt5tupleIJNSH_6TensorESM_SM_EERKSM_lbbbEUlllE0_EEPmJS6_EEE10hipError_tPvRmT3_T4_T5_T6_T7_T9_mT8_P12ihipStream_tbDpT10_ENKUlT_T0_E_clISt17integral_constantIbLb1EES1C_EEDaS17_S18_EUlS17_E_NS1_11comp_targetILNS1_3genE5ELNS1_11target_archE942ELNS1_3gpuE9ELNS1_3repE0EEENS1_30default_config_static_selectorELNS0_4arch9wavefront6targetE0EEEvT1_
    .private_segment_fixed_size: 0
    .sgpr_count:     0
    .sgpr_spill_count: 0
    .symbol:         _ZN7rocprim17ROCPRIM_400000_NS6detail17trampoline_kernelINS0_14default_configENS1_25partition_config_selectorILNS1_17partition_subalgoE8ElNS0_10empty_typeEbEEZZNS1_14partition_implILS5_8ELb0ES3_jPlPS6_PKS6_NS0_5tupleIJS9_S6_EEENSD_IJSA_SA_EEENS0_18inequality_wrapperIZN2at6native12_GLOBAL__N_124unique_dim_cuda_templateIlEESt5tupleIJNSH_6TensorESM_SM_EERKSM_lbbbEUlllE0_EEPmJS6_EEE10hipError_tPvRmT3_T4_T5_T6_T7_T9_mT8_P12ihipStream_tbDpT10_ENKUlT_T0_E_clISt17integral_constantIbLb1EES1C_EEDaS17_S18_EUlS17_E_NS1_11comp_targetILNS1_3genE5ELNS1_11target_archE942ELNS1_3gpuE9ELNS1_3repE0EEENS1_30default_config_static_selectorELNS0_4arch9wavefront6targetE0EEEvT1_.kd
    .uniform_work_group_size: 1
    .uses_dynamic_stack: false
    .vgpr_count:     0
    .vgpr_spill_count: 0
    .wavefront_size: 32
  - .args:
      - .offset:         0
        .size:           136
        .value_kind:     by_value
    .group_segment_fixed_size: 0
    .kernarg_segment_align: 8
    .kernarg_segment_size: 136
    .language:       OpenCL C
    .language_version:
      - 2
      - 0
    .max_flat_workgroup_size: 256
    .name:           _ZN7rocprim17ROCPRIM_400000_NS6detail17trampoline_kernelINS0_14default_configENS1_25partition_config_selectorILNS1_17partition_subalgoE8ElNS0_10empty_typeEbEEZZNS1_14partition_implILS5_8ELb0ES3_jPlPS6_PKS6_NS0_5tupleIJS9_S6_EEENSD_IJSA_SA_EEENS0_18inequality_wrapperIZN2at6native12_GLOBAL__N_124unique_dim_cuda_templateIlEESt5tupleIJNSH_6TensorESM_SM_EERKSM_lbbbEUlllE0_EEPmJS6_EEE10hipError_tPvRmT3_T4_T5_T6_T7_T9_mT8_P12ihipStream_tbDpT10_ENKUlT_T0_E_clISt17integral_constantIbLb1EES1C_EEDaS17_S18_EUlS17_E_NS1_11comp_targetILNS1_3genE4ELNS1_11target_archE910ELNS1_3gpuE8ELNS1_3repE0EEENS1_30default_config_static_selectorELNS0_4arch9wavefront6targetE0EEEvT1_
    .private_segment_fixed_size: 0
    .sgpr_count:     0
    .sgpr_spill_count: 0
    .symbol:         _ZN7rocprim17ROCPRIM_400000_NS6detail17trampoline_kernelINS0_14default_configENS1_25partition_config_selectorILNS1_17partition_subalgoE8ElNS0_10empty_typeEbEEZZNS1_14partition_implILS5_8ELb0ES3_jPlPS6_PKS6_NS0_5tupleIJS9_S6_EEENSD_IJSA_SA_EEENS0_18inequality_wrapperIZN2at6native12_GLOBAL__N_124unique_dim_cuda_templateIlEESt5tupleIJNSH_6TensorESM_SM_EERKSM_lbbbEUlllE0_EEPmJS6_EEE10hipError_tPvRmT3_T4_T5_T6_T7_T9_mT8_P12ihipStream_tbDpT10_ENKUlT_T0_E_clISt17integral_constantIbLb1EES1C_EEDaS17_S18_EUlS17_E_NS1_11comp_targetILNS1_3genE4ELNS1_11target_archE910ELNS1_3gpuE8ELNS1_3repE0EEENS1_30default_config_static_selectorELNS0_4arch9wavefront6targetE0EEEvT1_.kd
    .uniform_work_group_size: 1
    .uses_dynamic_stack: false
    .vgpr_count:     0
    .vgpr_spill_count: 0
    .wavefront_size: 32
  - .args:
      - .offset:         0
        .size:           136
        .value_kind:     by_value
    .group_segment_fixed_size: 0
    .kernarg_segment_align: 8
    .kernarg_segment_size: 136
    .language:       OpenCL C
    .language_version:
      - 2
      - 0
    .max_flat_workgroup_size: 512
    .name:           _ZN7rocprim17ROCPRIM_400000_NS6detail17trampoline_kernelINS0_14default_configENS1_25partition_config_selectorILNS1_17partition_subalgoE8ElNS0_10empty_typeEbEEZZNS1_14partition_implILS5_8ELb0ES3_jPlPS6_PKS6_NS0_5tupleIJS9_S6_EEENSD_IJSA_SA_EEENS0_18inequality_wrapperIZN2at6native12_GLOBAL__N_124unique_dim_cuda_templateIlEESt5tupleIJNSH_6TensorESM_SM_EERKSM_lbbbEUlllE0_EEPmJS6_EEE10hipError_tPvRmT3_T4_T5_T6_T7_T9_mT8_P12ihipStream_tbDpT10_ENKUlT_T0_E_clISt17integral_constantIbLb1EES1C_EEDaS17_S18_EUlS17_E_NS1_11comp_targetILNS1_3genE3ELNS1_11target_archE908ELNS1_3gpuE7ELNS1_3repE0EEENS1_30default_config_static_selectorELNS0_4arch9wavefront6targetE0EEEvT1_
    .private_segment_fixed_size: 0
    .sgpr_count:     0
    .sgpr_spill_count: 0
    .symbol:         _ZN7rocprim17ROCPRIM_400000_NS6detail17trampoline_kernelINS0_14default_configENS1_25partition_config_selectorILNS1_17partition_subalgoE8ElNS0_10empty_typeEbEEZZNS1_14partition_implILS5_8ELb0ES3_jPlPS6_PKS6_NS0_5tupleIJS9_S6_EEENSD_IJSA_SA_EEENS0_18inequality_wrapperIZN2at6native12_GLOBAL__N_124unique_dim_cuda_templateIlEESt5tupleIJNSH_6TensorESM_SM_EERKSM_lbbbEUlllE0_EEPmJS6_EEE10hipError_tPvRmT3_T4_T5_T6_T7_T9_mT8_P12ihipStream_tbDpT10_ENKUlT_T0_E_clISt17integral_constantIbLb1EES1C_EEDaS17_S18_EUlS17_E_NS1_11comp_targetILNS1_3genE3ELNS1_11target_archE908ELNS1_3gpuE7ELNS1_3repE0EEENS1_30default_config_static_selectorELNS0_4arch9wavefront6targetE0EEEvT1_.kd
    .uniform_work_group_size: 1
    .uses_dynamic_stack: false
    .vgpr_count:     0
    .vgpr_spill_count: 0
    .wavefront_size: 32
  - .args:
      - .offset:         0
        .size:           136
        .value_kind:     by_value
    .group_segment_fixed_size: 0
    .kernarg_segment_align: 8
    .kernarg_segment_size: 136
    .language:       OpenCL C
    .language_version:
      - 2
      - 0
    .max_flat_workgroup_size: 256
    .name:           _ZN7rocprim17ROCPRIM_400000_NS6detail17trampoline_kernelINS0_14default_configENS1_25partition_config_selectorILNS1_17partition_subalgoE8ElNS0_10empty_typeEbEEZZNS1_14partition_implILS5_8ELb0ES3_jPlPS6_PKS6_NS0_5tupleIJS9_S6_EEENSD_IJSA_SA_EEENS0_18inequality_wrapperIZN2at6native12_GLOBAL__N_124unique_dim_cuda_templateIlEESt5tupleIJNSH_6TensorESM_SM_EERKSM_lbbbEUlllE0_EEPmJS6_EEE10hipError_tPvRmT3_T4_T5_T6_T7_T9_mT8_P12ihipStream_tbDpT10_ENKUlT_T0_E_clISt17integral_constantIbLb1EES1C_EEDaS17_S18_EUlS17_E_NS1_11comp_targetILNS1_3genE2ELNS1_11target_archE906ELNS1_3gpuE6ELNS1_3repE0EEENS1_30default_config_static_selectorELNS0_4arch9wavefront6targetE0EEEvT1_
    .private_segment_fixed_size: 0
    .sgpr_count:     0
    .sgpr_spill_count: 0
    .symbol:         _ZN7rocprim17ROCPRIM_400000_NS6detail17trampoline_kernelINS0_14default_configENS1_25partition_config_selectorILNS1_17partition_subalgoE8ElNS0_10empty_typeEbEEZZNS1_14partition_implILS5_8ELb0ES3_jPlPS6_PKS6_NS0_5tupleIJS9_S6_EEENSD_IJSA_SA_EEENS0_18inequality_wrapperIZN2at6native12_GLOBAL__N_124unique_dim_cuda_templateIlEESt5tupleIJNSH_6TensorESM_SM_EERKSM_lbbbEUlllE0_EEPmJS6_EEE10hipError_tPvRmT3_T4_T5_T6_T7_T9_mT8_P12ihipStream_tbDpT10_ENKUlT_T0_E_clISt17integral_constantIbLb1EES1C_EEDaS17_S18_EUlS17_E_NS1_11comp_targetILNS1_3genE2ELNS1_11target_archE906ELNS1_3gpuE6ELNS1_3repE0EEENS1_30default_config_static_selectorELNS0_4arch9wavefront6targetE0EEEvT1_.kd
    .uniform_work_group_size: 1
    .uses_dynamic_stack: false
    .vgpr_count:     0
    .vgpr_spill_count: 0
    .wavefront_size: 32
  - .args:
      - .offset:         0
        .size:           136
        .value_kind:     by_value
    .group_segment_fixed_size: 0
    .kernarg_segment_align: 8
    .kernarg_segment_size: 136
    .language:       OpenCL C
    .language_version:
      - 2
      - 0
    .max_flat_workgroup_size: 384
    .name:           _ZN7rocprim17ROCPRIM_400000_NS6detail17trampoline_kernelINS0_14default_configENS1_25partition_config_selectorILNS1_17partition_subalgoE8ElNS0_10empty_typeEbEEZZNS1_14partition_implILS5_8ELb0ES3_jPlPS6_PKS6_NS0_5tupleIJS9_S6_EEENSD_IJSA_SA_EEENS0_18inequality_wrapperIZN2at6native12_GLOBAL__N_124unique_dim_cuda_templateIlEESt5tupleIJNSH_6TensorESM_SM_EERKSM_lbbbEUlllE0_EEPmJS6_EEE10hipError_tPvRmT3_T4_T5_T6_T7_T9_mT8_P12ihipStream_tbDpT10_ENKUlT_T0_E_clISt17integral_constantIbLb1EES1C_EEDaS17_S18_EUlS17_E_NS1_11comp_targetILNS1_3genE10ELNS1_11target_archE1200ELNS1_3gpuE4ELNS1_3repE0EEENS1_30default_config_static_selectorELNS0_4arch9wavefront6targetE0EEEvT1_
    .private_segment_fixed_size: 0
    .sgpr_count:     0
    .sgpr_spill_count: 0
    .symbol:         _ZN7rocprim17ROCPRIM_400000_NS6detail17trampoline_kernelINS0_14default_configENS1_25partition_config_selectorILNS1_17partition_subalgoE8ElNS0_10empty_typeEbEEZZNS1_14partition_implILS5_8ELb0ES3_jPlPS6_PKS6_NS0_5tupleIJS9_S6_EEENSD_IJSA_SA_EEENS0_18inequality_wrapperIZN2at6native12_GLOBAL__N_124unique_dim_cuda_templateIlEESt5tupleIJNSH_6TensorESM_SM_EERKSM_lbbbEUlllE0_EEPmJS6_EEE10hipError_tPvRmT3_T4_T5_T6_T7_T9_mT8_P12ihipStream_tbDpT10_ENKUlT_T0_E_clISt17integral_constantIbLb1EES1C_EEDaS17_S18_EUlS17_E_NS1_11comp_targetILNS1_3genE10ELNS1_11target_archE1200ELNS1_3gpuE4ELNS1_3repE0EEENS1_30default_config_static_selectorELNS0_4arch9wavefront6targetE0EEEvT1_.kd
    .uniform_work_group_size: 1
    .uses_dynamic_stack: false
    .vgpr_count:     0
    .vgpr_spill_count: 0
    .wavefront_size: 32
  - .args:
      - .offset:         0
        .size:           136
        .value_kind:     by_value
    .group_segment_fixed_size: 0
    .kernarg_segment_align: 8
    .kernarg_segment_size: 136
    .language:       OpenCL C
    .language_version:
      - 2
      - 0
    .max_flat_workgroup_size: 512
    .name:           _ZN7rocprim17ROCPRIM_400000_NS6detail17trampoline_kernelINS0_14default_configENS1_25partition_config_selectorILNS1_17partition_subalgoE8ElNS0_10empty_typeEbEEZZNS1_14partition_implILS5_8ELb0ES3_jPlPS6_PKS6_NS0_5tupleIJS9_S6_EEENSD_IJSA_SA_EEENS0_18inequality_wrapperIZN2at6native12_GLOBAL__N_124unique_dim_cuda_templateIlEESt5tupleIJNSH_6TensorESM_SM_EERKSM_lbbbEUlllE0_EEPmJS6_EEE10hipError_tPvRmT3_T4_T5_T6_T7_T9_mT8_P12ihipStream_tbDpT10_ENKUlT_T0_E_clISt17integral_constantIbLb1EES1C_EEDaS17_S18_EUlS17_E_NS1_11comp_targetILNS1_3genE9ELNS1_11target_archE1100ELNS1_3gpuE3ELNS1_3repE0EEENS1_30default_config_static_selectorELNS0_4arch9wavefront6targetE0EEEvT1_
    .private_segment_fixed_size: 0
    .sgpr_count:     0
    .sgpr_spill_count: 0
    .symbol:         _ZN7rocprim17ROCPRIM_400000_NS6detail17trampoline_kernelINS0_14default_configENS1_25partition_config_selectorILNS1_17partition_subalgoE8ElNS0_10empty_typeEbEEZZNS1_14partition_implILS5_8ELb0ES3_jPlPS6_PKS6_NS0_5tupleIJS9_S6_EEENSD_IJSA_SA_EEENS0_18inequality_wrapperIZN2at6native12_GLOBAL__N_124unique_dim_cuda_templateIlEESt5tupleIJNSH_6TensorESM_SM_EERKSM_lbbbEUlllE0_EEPmJS6_EEE10hipError_tPvRmT3_T4_T5_T6_T7_T9_mT8_P12ihipStream_tbDpT10_ENKUlT_T0_E_clISt17integral_constantIbLb1EES1C_EEDaS17_S18_EUlS17_E_NS1_11comp_targetILNS1_3genE9ELNS1_11target_archE1100ELNS1_3gpuE3ELNS1_3repE0EEENS1_30default_config_static_selectorELNS0_4arch9wavefront6targetE0EEEvT1_.kd
    .uniform_work_group_size: 1
    .uses_dynamic_stack: false
    .vgpr_count:     0
    .vgpr_spill_count: 0
    .wavefront_size: 32
  - .args:
      - .offset:         0
        .size:           136
        .value_kind:     by_value
    .group_segment_fixed_size: 0
    .kernarg_segment_align: 8
    .kernarg_segment_size: 136
    .language:       OpenCL C
    .language_version:
      - 2
      - 0
    .max_flat_workgroup_size: 512
    .name:           _ZN7rocprim17ROCPRIM_400000_NS6detail17trampoline_kernelINS0_14default_configENS1_25partition_config_selectorILNS1_17partition_subalgoE8ElNS0_10empty_typeEbEEZZNS1_14partition_implILS5_8ELb0ES3_jPlPS6_PKS6_NS0_5tupleIJS9_S6_EEENSD_IJSA_SA_EEENS0_18inequality_wrapperIZN2at6native12_GLOBAL__N_124unique_dim_cuda_templateIlEESt5tupleIJNSH_6TensorESM_SM_EERKSM_lbbbEUlllE0_EEPmJS6_EEE10hipError_tPvRmT3_T4_T5_T6_T7_T9_mT8_P12ihipStream_tbDpT10_ENKUlT_T0_E_clISt17integral_constantIbLb1EES1C_EEDaS17_S18_EUlS17_E_NS1_11comp_targetILNS1_3genE8ELNS1_11target_archE1030ELNS1_3gpuE2ELNS1_3repE0EEENS1_30default_config_static_selectorELNS0_4arch9wavefront6targetE0EEEvT1_
    .private_segment_fixed_size: 0
    .sgpr_count:     0
    .sgpr_spill_count: 0
    .symbol:         _ZN7rocprim17ROCPRIM_400000_NS6detail17trampoline_kernelINS0_14default_configENS1_25partition_config_selectorILNS1_17partition_subalgoE8ElNS0_10empty_typeEbEEZZNS1_14partition_implILS5_8ELb0ES3_jPlPS6_PKS6_NS0_5tupleIJS9_S6_EEENSD_IJSA_SA_EEENS0_18inequality_wrapperIZN2at6native12_GLOBAL__N_124unique_dim_cuda_templateIlEESt5tupleIJNSH_6TensorESM_SM_EERKSM_lbbbEUlllE0_EEPmJS6_EEE10hipError_tPvRmT3_T4_T5_T6_T7_T9_mT8_P12ihipStream_tbDpT10_ENKUlT_T0_E_clISt17integral_constantIbLb1EES1C_EEDaS17_S18_EUlS17_E_NS1_11comp_targetILNS1_3genE8ELNS1_11target_archE1030ELNS1_3gpuE2ELNS1_3repE0EEENS1_30default_config_static_selectorELNS0_4arch9wavefront6targetE0EEEvT1_.kd
    .uniform_work_group_size: 1
    .uses_dynamic_stack: false
    .vgpr_count:     0
    .vgpr_spill_count: 0
    .wavefront_size: 32
  - .args:
      - .offset:         0
        .size:           120
        .value_kind:     by_value
    .group_segment_fixed_size: 0
    .kernarg_segment_align: 8
    .kernarg_segment_size: 120
    .language:       OpenCL C
    .language_version:
      - 2
      - 0
    .max_flat_workgroup_size: 512
    .name:           _ZN7rocprim17ROCPRIM_400000_NS6detail17trampoline_kernelINS0_14default_configENS1_25partition_config_selectorILNS1_17partition_subalgoE8ElNS0_10empty_typeEbEEZZNS1_14partition_implILS5_8ELb0ES3_jPlPS6_PKS6_NS0_5tupleIJS9_S6_EEENSD_IJSA_SA_EEENS0_18inequality_wrapperIZN2at6native12_GLOBAL__N_124unique_dim_cuda_templateIlEESt5tupleIJNSH_6TensorESM_SM_EERKSM_lbbbEUlllE0_EEPmJS6_EEE10hipError_tPvRmT3_T4_T5_T6_T7_T9_mT8_P12ihipStream_tbDpT10_ENKUlT_T0_E_clISt17integral_constantIbLb1EES1B_IbLb0EEEEDaS17_S18_EUlS17_E_NS1_11comp_targetILNS1_3genE0ELNS1_11target_archE4294967295ELNS1_3gpuE0ELNS1_3repE0EEENS1_30default_config_static_selectorELNS0_4arch9wavefront6targetE0EEEvT1_
    .private_segment_fixed_size: 0
    .sgpr_count:     0
    .sgpr_spill_count: 0
    .symbol:         _ZN7rocprim17ROCPRIM_400000_NS6detail17trampoline_kernelINS0_14default_configENS1_25partition_config_selectorILNS1_17partition_subalgoE8ElNS0_10empty_typeEbEEZZNS1_14partition_implILS5_8ELb0ES3_jPlPS6_PKS6_NS0_5tupleIJS9_S6_EEENSD_IJSA_SA_EEENS0_18inequality_wrapperIZN2at6native12_GLOBAL__N_124unique_dim_cuda_templateIlEESt5tupleIJNSH_6TensorESM_SM_EERKSM_lbbbEUlllE0_EEPmJS6_EEE10hipError_tPvRmT3_T4_T5_T6_T7_T9_mT8_P12ihipStream_tbDpT10_ENKUlT_T0_E_clISt17integral_constantIbLb1EES1B_IbLb0EEEEDaS17_S18_EUlS17_E_NS1_11comp_targetILNS1_3genE0ELNS1_11target_archE4294967295ELNS1_3gpuE0ELNS1_3repE0EEENS1_30default_config_static_selectorELNS0_4arch9wavefront6targetE0EEEvT1_.kd
    .uniform_work_group_size: 1
    .uses_dynamic_stack: false
    .vgpr_count:     0
    .vgpr_spill_count: 0
    .wavefront_size: 32
  - .args:
      - .offset:         0
        .size:           120
        .value_kind:     by_value
    .group_segment_fixed_size: 0
    .kernarg_segment_align: 8
    .kernarg_segment_size: 120
    .language:       OpenCL C
    .language_version:
      - 2
      - 0
    .max_flat_workgroup_size: 512
    .name:           _ZN7rocprim17ROCPRIM_400000_NS6detail17trampoline_kernelINS0_14default_configENS1_25partition_config_selectorILNS1_17partition_subalgoE8ElNS0_10empty_typeEbEEZZNS1_14partition_implILS5_8ELb0ES3_jPlPS6_PKS6_NS0_5tupleIJS9_S6_EEENSD_IJSA_SA_EEENS0_18inequality_wrapperIZN2at6native12_GLOBAL__N_124unique_dim_cuda_templateIlEESt5tupleIJNSH_6TensorESM_SM_EERKSM_lbbbEUlllE0_EEPmJS6_EEE10hipError_tPvRmT3_T4_T5_T6_T7_T9_mT8_P12ihipStream_tbDpT10_ENKUlT_T0_E_clISt17integral_constantIbLb1EES1B_IbLb0EEEEDaS17_S18_EUlS17_E_NS1_11comp_targetILNS1_3genE5ELNS1_11target_archE942ELNS1_3gpuE9ELNS1_3repE0EEENS1_30default_config_static_selectorELNS0_4arch9wavefront6targetE0EEEvT1_
    .private_segment_fixed_size: 0
    .sgpr_count:     0
    .sgpr_spill_count: 0
    .symbol:         _ZN7rocprim17ROCPRIM_400000_NS6detail17trampoline_kernelINS0_14default_configENS1_25partition_config_selectorILNS1_17partition_subalgoE8ElNS0_10empty_typeEbEEZZNS1_14partition_implILS5_8ELb0ES3_jPlPS6_PKS6_NS0_5tupleIJS9_S6_EEENSD_IJSA_SA_EEENS0_18inequality_wrapperIZN2at6native12_GLOBAL__N_124unique_dim_cuda_templateIlEESt5tupleIJNSH_6TensorESM_SM_EERKSM_lbbbEUlllE0_EEPmJS6_EEE10hipError_tPvRmT3_T4_T5_T6_T7_T9_mT8_P12ihipStream_tbDpT10_ENKUlT_T0_E_clISt17integral_constantIbLb1EES1B_IbLb0EEEEDaS17_S18_EUlS17_E_NS1_11comp_targetILNS1_3genE5ELNS1_11target_archE942ELNS1_3gpuE9ELNS1_3repE0EEENS1_30default_config_static_selectorELNS0_4arch9wavefront6targetE0EEEvT1_.kd
    .uniform_work_group_size: 1
    .uses_dynamic_stack: false
    .vgpr_count:     0
    .vgpr_spill_count: 0
    .wavefront_size: 32
  - .args:
      - .offset:         0
        .size:           120
        .value_kind:     by_value
    .group_segment_fixed_size: 0
    .kernarg_segment_align: 8
    .kernarg_segment_size: 120
    .language:       OpenCL C
    .language_version:
      - 2
      - 0
    .max_flat_workgroup_size: 256
    .name:           _ZN7rocprim17ROCPRIM_400000_NS6detail17trampoline_kernelINS0_14default_configENS1_25partition_config_selectorILNS1_17partition_subalgoE8ElNS0_10empty_typeEbEEZZNS1_14partition_implILS5_8ELb0ES3_jPlPS6_PKS6_NS0_5tupleIJS9_S6_EEENSD_IJSA_SA_EEENS0_18inequality_wrapperIZN2at6native12_GLOBAL__N_124unique_dim_cuda_templateIlEESt5tupleIJNSH_6TensorESM_SM_EERKSM_lbbbEUlllE0_EEPmJS6_EEE10hipError_tPvRmT3_T4_T5_T6_T7_T9_mT8_P12ihipStream_tbDpT10_ENKUlT_T0_E_clISt17integral_constantIbLb1EES1B_IbLb0EEEEDaS17_S18_EUlS17_E_NS1_11comp_targetILNS1_3genE4ELNS1_11target_archE910ELNS1_3gpuE8ELNS1_3repE0EEENS1_30default_config_static_selectorELNS0_4arch9wavefront6targetE0EEEvT1_
    .private_segment_fixed_size: 0
    .sgpr_count:     0
    .sgpr_spill_count: 0
    .symbol:         _ZN7rocprim17ROCPRIM_400000_NS6detail17trampoline_kernelINS0_14default_configENS1_25partition_config_selectorILNS1_17partition_subalgoE8ElNS0_10empty_typeEbEEZZNS1_14partition_implILS5_8ELb0ES3_jPlPS6_PKS6_NS0_5tupleIJS9_S6_EEENSD_IJSA_SA_EEENS0_18inequality_wrapperIZN2at6native12_GLOBAL__N_124unique_dim_cuda_templateIlEESt5tupleIJNSH_6TensorESM_SM_EERKSM_lbbbEUlllE0_EEPmJS6_EEE10hipError_tPvRmT3_T4_T5_T6_T7_T9_mT8_P12ihipStream_tbDpT10_ENKUlT_T0_E_clISt17integral_constantIbLb1EES1B_IbLb0EEEEDaS17_S18_EUlS17_E_NS1_11comp_targetILNS1_3genE4ELNS1_11target_archE910ELNS1_3gpuE8ELNS1_3repE0EEENS1_30default_config_static_selectorELNS0_4arch9wavefront6targetE0EEEvT1_.kd
    .uniform_work_group_size: 1
    .uses_dynamic_stack: false
    .vgpr_count:     0
    .vgpr_spill_count: 0
    .wavefront_size: 32
  - .args:
      - .offset:         0
        .size:           120
        .value_kind:     by_value
    .group_segment_fixed_size: 0
    .kernarg_segment_align: 8
    .kernarg_segment_size: 120
    .language:       OpenCL C
    .language_version:
      - 2
      - 0
    .max_flat_workgroup_size: 512
    .name:           _ZN7rocprim17ROCPRIM_400000_NS6detail17trampoline_kernelINS0_14default_configENS1_25partition_config_selectorILNS1_17partition_subalgoE8ElNS0_10empty_typeEbEEZZNS1_14partition_implILS5_8ELb0ES3_jPlPS6_PKS6_NS0_5tupleIJS9_S6_EEENSD_IJSA_SA_EEENS0_18inequality_wrapperIZN2at6native12_GLOBAL__N_124unique_dim_cuda_templateIlEESt5tupleIJNSH_6TensorESM_SM_EERKSM_lbbbEUlllE0_EEPmJS6_EEE10hipError_tPvRmT3_T4_T5_T6_T7_T9_mT8_P12ihipStream_tbDpT10_ENKUlT_T0_E_clISt17integral_constantIbLb1EES1B_IbLb0EEEEDaS17_S18_EUlS17_E_NS1_11comp_targetILNS1_3genE3ELNS1_11target_archE908ELNS1_3gpuE7ELNS1_3repE0EEENS1_30default_config_static_selectorELNS0_4arch9wavefront6targetE0EEEvT1_
    .private_segment_fixed_size: 0
    .sgpr_count:     0
    .sgpr_spill_count: 0
    .symbol:         _ZN7rocprim17ROCPRIM_400000_NS6detail17trampoline_kernelINS0_14default_configENS1_25partition_config_selectorILNS1_17partition_subalgoE8ElNS0_10empty_typeEbEEZZNS1_14partition_implILS5_8ELb0ES3_jPlPS6_PKS6_NS0_5tupleIJS9_S6_EEENSD_IJSA_SA_EEENS0_18inequality_wrapperIZN2at6native12_GLOBAL__N_124unique_dim_cuda_templateIlEESt5tupleIJNSH_6TensorESM_SM_EERKSM_lbbbEUlllE0_EEPmJS6_EEE10hipError_tPvRmT3_T4_T5_T6_T7_T9_mT8_P12ihipStream_tbDpT10_ENKUlT_T0_E_clISt17integral_constantIbLb1EES1B_IbLb0EEEEDaS17_S18_EUlS17_E_NS1_11comp_targetILNS1_3genE3ELNS1_11target_archE908ELNS1_3gpuE7ELNS1_3repE0EEENS1_30default_config_static_selectorELNS0_4arch9wavefront6targetE0EEEvT1_.kd
    .uniform_work_group_size: 1
    .uses_dynamic_stack: false
    .vgpr_count:     0
    .vgpr_spill_count: 0
    .wavefront_size: 32
  - .args:
      - .offset:         0
        .size:           120
        .value_kind:     by_value
    .group_segment_fixed_size: 0
    .kernarg_segment_align: 8
    .kernarg_segment_size: 120
    .language:       OpenCL C
    .language_version:
      - 2
      - 0
    .max_flat_workgroup_size: 256
    .name:           _ZN7rocprim17ROCPRIM_400000_NS6detail17trampoline_kernelINS0_14default_configENS1_25partition_config_selectorILNS1_17partition_subalgoE8ElNS0_10empty_typeEbEEZZNS1_14partition_implILS5_8ELb0ES3_jPlPS6_PKS6_NS0_5tupleIJS9_S6_EEENSD_IJSA_SA_EEENS0_18inequality_wrapperIZN2at6native12_GLOBAL__N_124unique_dim_cuda_templateIlEESt5tupleIJNSH_6TensorESM_SM_EERKSM_lbbbEUlllE0_EEPmJS6_EEE10hipError_tPvRmT3_T4_T5_T6_T7_T9_mT8_P12ihipStream_tbDpT10_ENKUlT_T0_E_clISt17integral_constantIbLb1EES1B_IbLb0EEEEDaS17_S18_EUlS17_E_NS1_11comp_targetILNS1_3genE2ELNS1_11target_archE906ELNS1_3gpuE6ELNS1_3repE0EEENS1_30default_config_static_selectorELNS0_4arch9wavefront6targetE0EEEvT1_
    .private_segment_fixed_size: 0
    .sgpr_count:     0
    .sgpr_spill_count: 0
    .symbol:         _ZN7rocprim17ROCPRIM_400000_NS6detail17trampoline_kernelINS0_14default_configENS1_25partition_config_selectorILNS1_17partition_subalgoE8ElNS0_10empty_typeEbEEZZNS1_14partition_implILS5_8ELb0ES3_jPlPS6_PKS6_NS0_5tupleIJS9_S6_EEENSD_IJSA_SA_EEENS0_18inequality_wrapperIZN2at6native12_GLOBAL__N_124unique_dim_cuda_templateIlEESt5tupleIJNSH_6TensorESM_SM_EERKSM_lbbbEUlllE0_EEPmJS6_EEE10hipError_tPvRmT3_T4_T5_T6_T7_T9_mT8_P12ihipStream_tbDpT10_ENKUlT_T0_E_clISt17integral_constantIbLb1EES1B_IbLb0EEEEDaS17_S18_EUlS17_E_NS1_11comp_targetILNS1_3genE2ELNS1_11target_archE906ELNS1_3gpuE6ELNS1_3repE0EEENS1_30default_config_static_selectorELNS0_4arch9wavefront6targetE0EEEvT1_.kd
    .uniform_work_group_size: 1
    .uses_dynamic_stack: false
    .vgpr_count:     0
    .vgpr_spill_count: 0
    .wavefront_size: 32
  - .args:
      - .offset:         0
        .size:           120
        .value_kind:     by_value
    .group_segment_fixed_size: 0
    .kernarg_segment_align: 8
    .kernarg_segment_size: 120
    .language:       OpenCL C
    .language_version:
      - 2
      - 0
    .max_flat_workgroup_size: 384
    .name:           _ZN7rocprim17ROCPRIM_400000_NS6detail17trampoline_kernelINS0_14default_configENS1_25partition_config_selectorILNS1_17partition_subalgoE8ElNS0_10empty_typeEbEEZZNS1_14partition_implILS5_8ELb0ES3_jPlPS6_PKS6_NS0_5tupleIJS9_S6_EEENSD_IJSA_SA_EEENS0_18inequality_wrapperIZN2at6native12_GLOBAL__N_124unique_dim_cuda_templateIlEESt5tupleIJNSH_6TensorESM_SM_EERKSM_lbbbEUlllE0_EEPmJS6_EEE10hipError_tPvRmT3_T4_T5_T6_T7_T9_mT8_P12ihipStream_tbDpT10_ENKUlT_T0_E_clISt17integral_constantIbLb1EES1B_IbLb0EEEEDaS17_S18_EUlS17_E_NS1_11comp_targetILNS1_3genE10ELNS1_11target_archE1200ELNS1_3gpuE4ELNS1_3repE0EEENS1_30default_config_static_selectorELNS0_4arch9wavefront6targetE0EEEvT1_
    .private_segment_fixed_size: 0
    .sgpr_count:     0
    .sgpr_spill_count: 0
    .symbol:         _ZN7rocprim17ROCPRIM_400000_NS6detail17trampoline_kernelINS0_14default_configENS1_25partition_config_selectorILNS1_17partition_subalgoE8ElNS0_10empty_typeEbEEZZNS1_14partition_implILS5_8ELb0ES3_jPlPS6_PKS6_NS0_5tupleIJS9_S6_EEENSD_IJSA_SA_EEENS0_18inequality_wrapperIZN2at6native12_GLOBAL__N_124unique_dim_cuda_templateIlEESt5tupleIJNSH_6TensorESM_SM_EERKSM_lbbbEUlllE0_EEPmJS6_EEE10hipError_tPvRmT3_T4_T5_T6_T7_T9_mT8_P12ihipStream_tbDpT10_ENKUlT_T0_E_clISt17integral_constantIbLb1EES1B_IbLb0EEEEDaS17_S18_EUlS17_E_NS1_11comp_targetILNS1_3genE10ELNS1_11target_archE1200ELNS1_3gpuE4ELNS1_3repE0EEENS1_30default_config_static_selectorELNS0_4arch9wavefront6targetE0EEEvT1_.kd
    .uniform_work_group_size: 1
    .uses_dynamic_stack: false
    .vgpr_count:     0
    .vgpr_spill_count: 0
    .wavefront_size: 32
  - .args:
      - .offset:         0
        .size:           120
        .value_kind:     by_value
    .group_segment_fixed_size: 0
    .kernarg_segment_align: 8
    .kernarg_segment_size: 120
    .language:       OpenCL C
    .language_version:
      - 2
      - 0
    .max_flat_workgroup_size: 512
    .name:           _ZN7rocprim17ROCPRIM_400000_NS6detail17trampoline_kernelINS0_14default_configENS1_25partition_config_selectorILNS1_17partition_subalgoE8ElNS0_10empty_typeEbEEZZNS1_14partition_implILS5_8ELb0ES3_jPlPS6_PKS6_NS0_5tupleIJS9_S6_EEENSD_IJSA_SA_EEENS0_18inequality_wrapperIZN2at6native12_GLOBAL__N_124unique_dim_cuda_templateIlEESt5tupleIJNSH_6TensorESM_SM_EERKSM_lbbbEUlllE0_EEPmJS6_EEE10hipError_tPvRmT3_T4_T5_T6_T7_T9_mT8_P12ihipStream_tbDpT10_ENKUlT_T0_E_clISt17integral_constantIbLb1EES1B_IbLb0EEEEDaS17_S18_EUlS17_E_NS1_11comp_targetILNS1_3genE9ELNS1_11target_archE1100ELNS1_3gpuE3ELNS1_3repE0EEENS1_30default_config_static_selectorELNS0_4arch9wavefront6targetE0EEEvT1_
    .private_segment_fixed_size: 0
    .sgpr_count:     0
    .sgpr_spill_count: 0
    .symbol:         _ZN7rocprim17ROCPRIM_400000_NS6detail17trampoline_kernelINS0_14default_configENS1_25partition_config_selectorILNS1_17partition_subalgoE8ElNS0_10empty_typeEbEEZZNS1_14partition_implILS5_8ELb0ES3_jPlPS6_PKS6_NS0_5tupleIJS9_S6_EEENSD_IJSA_SA_EEENS0_18inequality_wrapperIZN2at6native12_GLOBAL__N_124unique_dim_cuda_templateIlEESt5tupleIJNSH_6TensorESM_SM_EERKSM_lbbbEUlllE0_EEPmJS6_EEE10hipError_tPvRmT3_T4_T5_T6_T7_T9_mT8_P12ihipStream_tbDpT10_ENKUlT_T0_E_clISt17integral_constantIbLb1EES1B_IbLb0EEEEDaS17_S18_EUlS17_E_NS1_11comp_targetILNS1_3genE9ELNS1_11target_archE1100ELNS1_3gpuE3ELNS1_3repE0EEENS1_30default_config_static_selectorELNS0_4arch9wavefront6targetE0EEEvT1_.kd
    .uniform_work_group_size: 1
    .uses_dynamic_stack: false
    .vgpr_count:     0
    .vgpr_spill_count: 0
    .wavefront_size: 32
  - .args:
      - .offset:         0
        .size:           120
        .value_kind:     by_value
    .group_segment_fixed_size: 0
    .kernarg_segment_align: 8
    .kernarg_segment_size: 120
    .language:       OpenCL C
    .language_version:
      - 2
      - 0
    .max_flat_workgroup_size: 512
    .name:           _ZN7rocprim17ROCPRIM_400000_NS6detail17trampoline_kernelINS0_14default_configENS1_25partition_config_selectorILNS1_17partition_subalgoE8ElNS0_10empty_typeEbEEZZNS1_14partition_implILS5_8ELb0ES3_jPlPS6_PKS6_NS0_5tupleIJS9_S6_EEENSD_IJSA_SA_EEENS0_18inequality_wrapperIZN2at6native12_GLOBAL__N_124unique_dim_cuda_templateIlEESt5tupleIJNSH_6TensorESM_SM_EERKSM_lbbbEUlllE0_EEPmJS6_EEE10hipError_tPvRmT3_T4_T5_T6_T7_T9_mT8_P12ihipStream_tbDpT10_ENKUlT_T0_E_clISt17integral_constantIbLb1EES1B_IbLb0EEEEDaS17_S18_EUlS17_E_NS1_11comp_targetILNS1_3genE8ELNS1_11target_archE1030ELNS1_3gpuE2ELNS1_3repE0EEENS1_30default_config_static_selectorELNS0_4arch9wavefront6targetE0EEEvT1_
    .private_segment_fixed_size: 0
    .sgpr_count:     0
    .sgpr_spill_count: 0
    .symbol:         _ZN7rocprim17ROCPRIM_400000_NS6detail17trampoline_kernelINS0_14default_configENS1_25partition_config_selectorILNS1_17partition_subalgoE8ElNS0_10empty_typeEbEEZZNS1_14partition_implILS5_8ELb0ES3_jPlPS6_PKS6_NS0_5tupleIJS9_S6_EEENSD_IJSA_SA_EEENS0_18inequality_wrapperIZN2at6native12_GLOBAL__N_124unique_dim_cuda_templateIlEESt5tupleIJNSH_6TensorESM_SM_EERKSM_lbbbEUlllE0_EEPmJS6_EEE10hipError_tPvRmT3_T4_T5_T6_T7_T9_mT8_P12ihipStream_tbDpT10_ENKUlT_T0_E_clISt17integral_constantIbLb1EES1B_IbLb0EEEEDaS17_S18_EUlS17_E_NS1_11comp_targetILNS1_3genE8ELNS1_11target_archE1030ELNS1_3gpuE2ELNS1_3repE0EEENS1_30default_config_static_selectorELNS0_4arch9wavefront6targetE0EEEvT1_.kd
    .uniform_work_group_size: 1
    .uses_dynamic_stack: false
    .vgpr_count:     0
    .vgpr_spill_count: 0
    .wavefront_size: 32
  - .args:
      - .offset:         0
        .size:           136
        .value_kind:     by_value
    .group_segment_fixed_size: 28680
    .kernarg_segment_align: 8
    .kernarg_segment_size: 136
    .language:       OpenCL C
    .language_version:
      - 2
      - 0
    .max_flat_workgroup_size: 512
    .name:           _ZN7rocprim17ROCPRIM_400000_NS6detail17trampoline_kernelINS0_14default_configENS1_25partition_config_selectorILNS1_17partition_subalgoE8ElNS0_10empty_typeEbEEZZNS1_14partition_implILS5_8ELb0ES3_jPlPS6_PKS6_NS0_5tupleIJS9_S6_EEENSD_IJSA_SA_EEENS0_18inequality_wrapperIZN2at6native12_GLOBAL__N_124unique_dim_cuda_templateIlEESt5tupleIJNSH_6TensorESM_SM_EERKSM_lbbbEUlllE0_EEPmJS6_EEE10hipError_tPvRmT3_T4_T5_T6_T7_T9_mT8_P12ihipStream_tbDpT10_ENKUlT_T0_E_clISt17integral_constantIbLb0EES1B_IbLb1EEEEDaS17_S18_EUlS17_E_NS1_11comp_targetILNS1_3genE0ELNS1_11target_archE4294967295ELNS1_3gpuE0ELNS1_3repE0EEENS1_30default_config_static_selectorELNS0_4arch9wavefront6targetE0EEEvT1_
    .private_segment_fixed_size: 0
    .sgpr_count:     38
    .sgpr_spill_count: 0
    .symbol:         _ZN7rocprim17ROCPRIM_400000_NS6detail17trampoline_kernelINS0_14default_configENS1_25partition_config_selectorILNS1_17partition_subalgoE8ElNS0_10empty_typeEbEEZZNS1_14partition_implILS5_8ELb0ES3_jPlPS6_PKS6_NS0_5tupleIJS9_S6_EEENSD_IJSA_SA_EEENS0_18inequality_wrapperIZN2at6native12_GLOBAL__N_124unique_dim_cuda_templateIlEESt5tupleIJNSH_6TensorESM_SM_EERKSM_lbbbEUlllE0_EEPmJS6_EEE10hipError_tPvRmT3_T4_T5_T6_T7_T9_mT8_P12ihipStream_tbDpT10_ENKUlT_T0_E_clISt17integral_constantIbLb0EES1B_IbLb1EEEEDaS17_S18_EUlS17_E_NS1_11comp_targetILNS1_3genE0ELNS1_11target_archE4294967295ELNS1_3gpuE0ELNS1_3repE0EEENS1_30default_config_static_selectorELNS0_4arch9wavefront6targetE0EEEvT1_.kd
    .uniform_work_group_size: 1
    .uses_dynamic_stack: false
    .vgpr_count:     53
    .vgpr_spill_count: 0
    .wavefront_size: 32
  - .args:
      - .offset:         0
        .size:           136
        .value_kind:     by_value
    .group_segment_fixed_size: 0
    .kernarg_segment_align: 8
    .kernarg_segment_size: 136
    .language:       OpenCL C
    .language_version:
      - 2
      - 0
    .max_flat_workgroup_size: 512
    .name:           _ZN7rocprim17ROCPRIM_400000_NS6detail17trampoline_kernelINS0_14default_configENS1_25partition_config_selectorILNS1_17partition_subalgoE8ElNS0_10empty_typeEbEEZZNS1_14partition_implILS5_8ELb0ES3_jPlPS6_PKS6_NS0_5tupleIJS9_S6_EEENSD_IJSA_SA_EEENS0_18inequality_wrapperIZN2at6native12_GLOBAL__N_124unique_dim_cuda_templateIlEESt5tupleIJNSH_6TensorESM_SM_EERKSM_lbbbEUlllE0_EEPmJS6_EEE10hipError_tPvRmT3_T4_T5_T6_T7_T9_mT8_P12ihipStream_tbDpT10_ENKUlT_T0_E_clISt17integral_constantIbLb0EES1B_IbLb1EEEEDaS17_S18_EUlS17_E_NS1_11comp_targetILNS1_3genE5ELNS1_11target_archE942ELNS1_3gpuE9ELNS1_3repE0EEENS1_30default_config_static_selectorELNS0_4arch9wavefront6targetE0EEEvT1_
    .private_segment_fixed_size: 0
    .sgpr_count:     0
    .sgpr_spill_count: 0
    .symbol:         _ZN7rocprim17ROCPRIM_400000_NS6detail17trampoline_kernelINS0_14default_configENS1_25partition_config_selectorILNS1_17partition_subalgoE8ElNS0_10empty_typeEbEEZZNS1_14partition_implILS5_8ELb0ES3_jPlPS6_PKS6_NS0_5tupleIJS9_S6_EEENSD_IJSA_SA_EEENS0_18inequality_wrapperIZN2at6native12_GLOBAL__N_124unique_dim_cuda_templateIlEESt5tupleIJNSH_6TensorESM_SM_EERKSM_lbbbEUlllE0_EEPmJS6_EEE10hipError_tPvRmT3_T4_T5_T6_T7_T9_mT8_P12ihipStream_tbDpT10_ENKUlT_T0_E_clISt17integral_constantIbLb0EES1B_IbLb1EEEEDaS17_S18_EUlS17_E_NS1_11comp_targetILNS1_3genE5ELNS1_11target_archE942ELNS1_3gpuE9ELNS1_3repE0EEENS1_30default_config_static_selectorELNS0_4arch9wavefront6targetE0EEEvT1_.kd
    .uniform_work_group_size: 1
    .uses_dynamic_stack: false
    .vgpr_count:     0
    .vgpr_spill_count: 0
    .wavefront_size: 32
  - .args:
      - .offset:         0
        .size:           136
        .value_kind:     by_value
    .group_segment_fixed_size: 0
    .kernarg_segment_align: 8
    .kernarg_segment_size: 136
    .language:       OpenCL C
    .language_version:
      - 2
      - 0
    .max_flat_workgroup_size: 256
    .name:           _ZN7rocprim17ROCPRIM_400000_NS6detail17trampoline_kernelINS0_14default_configENS1_25partition_config_selectorILNS1_17partition_subalgoE8ElNS0_10empty_typeEbEEZZNS1_14partition_implILS5_8ELb0ES3_jPlPS6_PKS6_NS0_5tupleIJS9_S6_EEENSD_IJSA_SA_EEENS0_18inequality_wrapperIZN2at6native12_GLOBAL__N_124unique_dim_cuda_templateIlEESt5tupleIJNSH_6TensorESM_SM_EERKSM_lbbbEUlllE0_EEPmJS6_EEE10hipError_tPvRmT3_T4_T5_T6_T7_T9_mT8_P12ihipStream_tbDpT10_ENKUlT_T0_E_clISt17integral_constantIbLb0EES1B_IbLb1EEEEDaS17_S18_EUlS17_E_NS1_11comp_targetILNS1_3genE4ELNS1_11target_archE910ELNS1_3gpuE8ELNS1_3repE0EEENS1_30default_config_static_selectorELNS0_4arch9wavefront6targetE0EEEvT1_
    .private_segment_fixed_size: 0
    .sgpr_count:     0
    .sgpr_spill_count: 0
    .symbol:         _ZN7rocprim17ROCPRIM_400000_NS6detail17trampoline_kernelINS0_14default_configENS1_25partition_config_selectorILNS1_17partition_subalgoE8ElNS0_10empty_typeEbEEZZNS1_14partition_implILS5_8ELb0ES3_jPlPS6_PKS6_NS0_5tupleIJS9_S6_EEENSD_IJSA_SA_EEENS0_18inequality_wrapperIZN2at6native12_GLOBAL__N_124unique_dim_cuda_templateIlEESt5tupleIJNSH_6TensorESM_SM_EERKSM_lbbbEUlllE0_EEPmJS6_EEE10hipError_tPvRmT3_T4_T5_T6_T7_T9_mT8_P12ihipStream_tbDpT10_ENKUlT_T0_E_clISt17integral_constantIbLb0EES1B_IbLb1EEEEDaS17_S18_EUlS17_E_NS1_11comp_targetILNS1_3genE4ELNS1_11target_archE910ELNS1_3gpuE8ELNS1_3repE0EEENS1_30default_config_static_selectorELNS0_4arch9wavefront6targetE0EEEvT1_.kd
    .uniform_work_group_size: 1
    .uses_dynamic_stack: false
    .vgpr_count:     0
    .vgpr_spill_count: 0
    .wavefront_size: 32
  - .args:
      - .offset:         0
        .size:           136
        .value_kind:     by_value
    .group_segment_fixed_size: 0
    .kernarg_segment_align: 8
    .kernarg_segment_size: 136
    .language:       OpenCL C
    .language_version:
      - 2
      - 0
    .max_flat_workgroup_size: 512
    .name:           _ZN7rocprim17ROCPRIM_400000_NS6detail17trampoline_kernelINS0_14default_configENS1_25partition_config_selectorILNS1_17partition_subalgoE8ElNS0_10empty_typeEbEEZZNS1_14partition_implILS5_8ELb0ES3_jPlPS6_PKS6_NS0_5tupleIJS9_S6_EEENSD_IJSA_SA_EEENS0_18inequality_wrapperIZN2at6native12_GLOBAL__N_124unique_dim_cuda_templateIlEESt5tupleIJNSH_6TensorESM_SM_EERKSM_lbbbEUlllE0_EEPmJS6_EEE10hipError_tPvRmT3_T4_T5_T6_T7_T9_mT8_P12ihipStream_tbDpT10_ENKUlT_T0_E_clISt17integral_constantIbLb0EES1B_IbLb1EEEEDaS17_S18_EUlS17_E_NS1_11comp_targetILNS1_3genE3ELNS1_11target_archE908ELNS1_3gpuE7ELNS1_3repE0EEENS1_30default_config_static_selectorELNS0_4arch9wavefront6targetE0EEEvT1_
    .private_segment_fixed_size: 0
    .sgpr_count:     0
    .sgpr_spill_count: 0
    .symbol:         _ZN7rocprim17ROCPRIM_400000_NS6detail17trampoline_kernelINS0_14default_configENS1_25partition_config_selectorILNS1_17partition_subalgoE8ElNS0_10empty_typeEbEEZZNS1_14partition_implILS5_8ELb0ES3_jPlPS6_PKS6_NS0_5tupleIJS9_S6_EEENSD_IJSA_SA_EEENS0_18inequality_wrapperIZN2at6native12_GLOBAL__N_124unique_dim_cuda_templateIlEESt5tupleIJNSH_6TensorESM_SM_EERKSM_lbbbEUlllE0_EEPmJS6_EEE10hipError_tPvRmT3_T4_T5_T6_T7_T9_mT8_P12ihipStream_tbDpT10_ENKUlT_T0_E_clISt17integral_constantIbLb0EES1B_IbLb1EEEEDaS17_S18_EUlS17_E_NS1_11comp_targetILNS1_3genE3ELNS1_11target_archE908ELNS1_3gpuE7ELNS1_3repE0EEENS1_30default_config_static_selectorELNS0_4arch9wavefront6targetE0EEEvT1_.kd
    .uniform_work_group_size: 1
    .uses_dynamic_stack: false
    .vgpr_count:     0
    .vgpr_spill_count: 0
    .wavefront_size: 32
  - .args:
      - .offset:         0
        .size:           136
        .value_kind:     by_value
    .group_segment_fixed_size: 0
    .kernarg_segment_align: 8
    .kernarg_segment_size: 136
    .language:       OpenCL C
    .language_version:
      - 2
      - 0
    .max_flat_workgroup_size: 256
    .name:           _ZN7rocprim17ROCPRIM_400000_NS6detail17trampoline_kernelINS0_14default_configENS1_25partition_config_selectorILNS1_17partition_subalgoE8ElNS0_10empty_typeEbEEZZNS1_14partition_implILS5_8ELb0ES3_jPlPS6_PKS6_NS0_5tupleIJS9_S6_EEENSD_IJSA_SA_EEENS0_18inequality_wrapperIZN2at6native12_GLOBAL__N_124unique_dim_cuda_templateIlEESt5tupleIJNSH_6TensorESM_SM_EERKSM_lbbbEUlllE0_EEPmJS6_EEE10hipError_tPvRmT3_T4_T5_T6_T7_T9_mT8_P12ihipStream_tbDpT10_ENKUlT_T0_E_clISt17integral_constantIbLb0EES1B_IbLb1EEEEDaS17_S18_EUlS17_E_NS1_11comp_targetILNS1_3genE2ELNS1_11target_archE906ELNS1_3gpuE6ELNS1_3repE0EEENS1_30default_config_static_selectorELNS0_4arch9wavefront6targetE0EEEvT1_
    .private_segment_fixed_size: 0
    .sgpr_count:     0
    .sgpr_spill_count: 0
    .symbol:         _ZN7rocprim17ROCPRIM_400000_NS6detail17trampoline_kernelINS0_14default_configENS1_25partition_config_selectorILNS1_17partition_subalgoE8ElNS0_10empty_typeEbEEZZNS1_14partition_implILS5_8ELb0ES3_jPlPS6_PKS6_NS0_5tupleIJS9_S6_EEENSD_IJSA_SA_EEENS0_18inequality_wrapperIZN2at6native12_GLOBAL__N_124unique_dim_cuda_templateIlEESt5tupleIJNSH_6TensorESM_SM_EERKSM_lbbbEUlllE0_EEPmJS6_EEE10hipError_tPvRmT3_T4_T5_T6_T7_T9_mT8_P12ihipStream_tbDpT10_ENKUlT_T0_E_clISt17integral_constantIbLb0EES1B_IbLb1EEEEDaS17_S18_EUlS17_E_NS1_11comp_targetILNS1_3genE2ELNS1_11target_archE906ELNS1_3gpuE6ELNS1_3repE0EEENS1_30default_config_static_selectorELNS0_4arch9wavefront6targetE0EEEvT1_.kd
    .uniform_work_group_size: 1
    .uses_dynamic_stack: false
    .vgpr_count:     0
    .vgpr_spill_count: 0
    .wavefront_size: 32
  - .args:
      - .offset:         0
        .size:           136
        .value_kind:     by_value
    .group_segment_fixed_size: 0
    .kernarg_segment_align: 8
    .kernarg_segment_size: 136
    .language:       OpenCL C
    .language_version:
      - 2
      - 0
    .max_flat_workgroup_size: 384
    .name:           _ZN7rocprim17ROCPRIM_400000_NS6detail17trampoline_kernelINS0_14default_configENS1_25partition_config_selectorILNS1_17partition_subalgoE8ElNS0_10empty_typeEbEEZZNS1_14partition_implILS5_8ELb0ES3_jPlPS6_PKS6_NS0_5tupleIJS9_S6_EEENSD_IJSA_SA_EEENS0_18inequality_wrapperIZN2at6native12_GLOBAL__N_124unique_dim_cuda_templateIlEESt5tupleIJNSH_6TensorESM_SM_EERKSM_lbbbEUlllE0_EEPmJS6_EEE10hipError_tPvRmT3_T4_T5_T6_T7_T9_mT8_P12ihipStream_tbDpT10_ENKUlT_T0_E_clISt17integral_constantIbLb0EES1B_IbLb1EEEEDaS17_S18_EUlS17_E_NS1_11comp_targetILNS1_3genE10ELNS1_11target_archE1200ELNS1_3gpuE4ELNS1_3repE0EEENS1_30default_config_static_selectorELNS0_4arch9wavefront6targetE0EEEvT1_
    .private_segment_fixed_size: 0
    .sgpr_count:     0
    .sgpr_spill_count: 0
    .symbol:         _ZN7rocprim17ROCPRIM_400000_NS6detail17trampoline_kernelINS0_14default_configENS1_25partition_config_selectorILNS1_17partition_subalgoE8ElNS0_10empty_typeEbEEZZNS1_14partition_implILS5_8ELb0ES3_jPlPS6_PKS6_NS0_5tupleIJS9_S6_EEENSD_IJSA_SA_EEENS0_18inequality_wrapperIZN2at6native12_GLOBAL__N_124unique_dim_cuda_templateIlEESt5tupleIJNSH_6TensorESM_SM_EERKSM_lbbbEUlllE0_EEPmJS6_EEE10hipError_tPvRmT3_T4_T5_T6_T7_T9_mT8_P12ihipStream_tbDpT10_ENKUlT_T0_E_clISt17integral_constantIbLb0EES1B_IbLb1EEEEDaS17_S18_EUlS17_E_NS1_11comp_targetILNS1_3genE10ELNS1_11target_archE1200ELNS1_3gpuE4ELNS1_3repE0EEENS1_30default_config_static_selectorELNS0_4arch9wavefront6targetE0EEEvT1_.kd
    .uniform_work_group_size: 1
    .uses_dynamic_stack: false
    .vgpr_count:     0
    .vgpr_spill_count: 0
    .wavefront_size: 32
  - .args:
      - .offset:         0
        .size:           136
        .value_kind:     by_value
    .group_segment_fixed_size: 0
    .kernarg_segment_align: 8
    .kernarg_segment_size: 136
    .language:       OpenCL C
    .language_version:
      - 2
      - 0
    .max_flat_workgroup_size: 512
    .name:           _ZN7rocprim17ROCPRIM_400000_NS6detail17trampoline_kernelINS0_14default_configENS1_25partition_config_selectorILNS1_17partition_subalgoE8ElNS0_10empty_typeEbEEZZNS1_14partition_implILS5_8ELb0ES3_jPlPS6_PKS6_NS0_5tupleIJS9_S6_EEENSD_IJSA_SA_EEENS0_18inequality_wrapperIZN2at6native12_GLOBAL__N_124unique_dim_cuda_templateIlEESt5tupleIJNSH_6TensorESM_SM_EERKSM_lbbbEUlllE0_EEPmJS6_EEE10hipError_tPvRmT3_T4_T5_T6_T7_T9_mT8_P12ihipStream_tbDpT10_ENKUlT_T0_E_clISt17integral_constantIbLb0EES1B_IbLb1EEEEDaS17_S18_EUlS17_E_NS1_11comp_targetILNS1_3genE9ELNS1_11target_archE1100ELNS1_3gpuE3ELNS1_3repE0EEENS1_30default_config_static_selectorELNS0_4arch9wavefront6targetE0EEEvT1_
    .private_segment_fixed_size: 0
    .sgpr_count:     0
    .sgpr_spill_count: 0
    .symbol:         _ZN7rocprim17ROCPRIM_400000_NS6detail17trampoline_kernelINS0_14default_configENS1_25partition_config_selectorILNS1_17partition_subalgoE8ElNS0_10empty_typeEbEEZZNS1_14partition_implILS5_8ELb0ES3_jPlPS6_PKS6_NS0_5tupleIJS9_S6_EEENSD_IJSA_SA_EEENS0_18inequality_wrapperIZN2at6native12_GLOBAL__N_124unique_dim_cuda_templateIlEESt5tupleIJNSH_6TensorESM_SM_EERKSM_lbbbEUlllE0_EEPmJS6_EEE10hipError_tPvRmT3_T4_T5_T6_T7_T9_mT8_P12ihipStream_tbDpT10_ENKUlT_T0_E_clISt17integral_constantIbLb0EES1B_IbLb1EEEEDaS17_S18_EUlS17_E_NS1_11comp_targetILNS1_3genE9ELNS1_11target_archE1100ELNS1_3gpuE3ELNS1_3repE0EEENS1_30default_config_static_selectorELNS0_4arch9wavefront6targetE0EEEvT1_.kd
    .uniform_work_group_size: 1
    .uses_dynamic_stack: false
    .vgpr_count:     0
    .vgpr_spill_count: 0
    .wavefront_size: 32
  - .args:
      - .offset:         0
        .size:           136
        .value_kind:     by_value
    .group_segment_fixed_size: 0
    .kernarg_segment_align: 8
    .kernarg_segment_size: 136
    .language:       OpenCL C
    .language_version:
      - 2
      - 0
    .max_flat_workgroup_size: 512
    .name:           _ZN7rocprim17ROCPRIM_400000_NS6detail17trampoline_kernelINS0_14default_configENS1_25partition_config_selectorILNS1_17partition_subalgoE8ElNS0_10empty_typeEbEEZZNS1_14partition_implILS5_8ELb0ES3_jPlPS6_PKS6_NS0_5tupleIJS9_S6_EEENSD_IJSA_SA_EEENS0_18inequality_wrapperIZN2at6native12_GLOBAL__N_124unique_dim_cuda_templateIlEESt5tupleIJNSH_6TensorESM_SM_EERKSM_lbbbEUlllE0_EEPmJS6_EEE10hipError_tPvRmT3_T4_T5_T6_T7_T9_mT8_P12ihipStream_tbDpT10_ENKUlT_T0_E_clISt17integral_constantIbLb0EES1B_IbLb1EEEEDaS17_S18_EUlS17_E_NS1_11comp_targetILNS1_3genE8ELNS1_11target_archE1030ELNS1_3gpuE2ELNS1_3repE0EEENS1_30default_config_static_selectorELNS0_4arch9wavefront6targetE0EEEvT1_
    .private_segment_fixed_size: 0
    .sgpr_count:     0
    .sgpr_spill_count: 0
    .symbol:         _ZN7rocprim17ROCPRIM_400000_NS6detail17trampoline_kernelINS0_14default_configENS1_25partition_config_selectorILNS1_17partition_subalgoE8ElNS0_10empty_typeEbEEZZNS1_14partition_implILS5_8ELb0ES3_jPlPS6_PKS6_NS0_5tupleIJS9_S6_EEENSD_IJSA_SA_EEENS0_18inequality_wrapperIZN2at6native12_GLOBAL__N_124unique_dim_cuda_templateIlEESt5tupleIJNSH_6TensorESM_SM_EERKSM_lbbbEUlllE0_EEPmJS6_EEE10hipError_tPvRmT3_T4_T5_T6_T7_T9_mT8_P12ihipStream_tbDpT10_ENKUlT_T0_E_clISt17integral_constantIbLb0EES1B_IbLb1EEEEDaS17_S18_EUlS17_E_NS1_11comp_targetILNS1_3genE8ELNS1_11target_archE1030ELNS1_3gpuE2ELNS1_3repE0EEENS1_30default_config_static_selectorELNS0_4arch9wavefront6targetE0EEEvT1_.kd
    .uniform_work_group_size: 1
    .uses_dynamic_stack: false
    .vgpr_count:     0
    .vgpr_spill_count: 0
    .wavefront_size: 32
  - .args:
      - .offset:         0
        .size:           120
        .value_kind:     by_value
    .group_segment_fixed_size: 5128
    .kernarg_segment_align: 8
    .kernarg_segment_size: 120
    .language:       OpenCL C
    .language_version:
      - 2
      - 0
    .max_flat_workgroup_size: 128
    .name:           _ZN7rocprim17ROCPRIM_400000_NS6detail17trampoline_kernelINS0_14default_configENS1_25partition_config_selectorILNS1_17partition_subalgoE9EllbEEZZNS1_14partition_implILS5_9ELb0ES3_jPlS8_PNS0_10empty_typeENS0_5tupleIJS8_S9_EEENSB_IJS8_SA_EEENS0_18inequality_wrapperIZN2at6native12_GLOBAL__N_124unique_dim_cuda_templateIlEESt5tupleIJNSF_6TensorESK_SK_EERKSK_lbbbEUlllE0_EEPmJS9_EEE10hipError_tPvRmT3_T4_T5_T6_T7_T9_mT8_P12ihipStream_tbDpT10_ENKUlT_T0_E_clISt17integral_constantIbLb0EES1A_EEDaS15_S16_EUlS15_E_NS1_11comp_targetILNS1_3genE0ELNS1_11target_archE4294967295ELNS1_3gpuE0ELNS1_3repE0EEENS1_30default_config_static_selectorELNS0_4arch9wavefront6targetE0EEEvT1_
    .private_segment_fixed_size: 0
    .sgpr_count:     34
    .sgpr_spill_count: 0
    .symbol:         _ZN7rocprim17ROCPRIM_400000_NS6detail17trampoline_kernelINS0_14default_configENS1_25partition_config_selectorILNS1_17partition_subalgoE9EllbEEZZNS1_14partition_implILS5_9ELb0ES3_jPlS8_PNS0_10empty_typeENS0_5tupleIJS8_S9_EEENSB_IJS8_SA_EEENS0_18inequality_wrapperIZN2at6native12_GLOBAL__N_124unique_dim_cuda_templateIlEESt5tupleIJNSF_6TensorESK_SK_EERKSK_lbbbEUlllE0_EEPmJS9_EEE10hipError_tPvRmT3_T4_T5_T6_T7_T9_mT8_P12ihipStream_tbDpT10_ENKUlT_T0_E_clISt17integral_constantIbLb0EES1A_EEDaS15_S16_EUlS15_E_NS1_11comp_targetILNS1_3genE0ELNS1_11target_archE4294967295ELNS1_3gpuE0ELNS1_3repE0EEENS1_30default_config_static_selectorELNS0_4arch9wavefront6targetE0EEEvT1_.kd
    .uniform_work_group_size: 1
    .uses_dynamic_stack: false
    .vgpr_count:     56
    .vgpr_spill_count: 0
    .wavefront_size: 32
  - .args:
      - .offset:         0
        .size:           120
        .value_kind:     by_value
    .group_segment_fixed_size: 0
    .kernarg_segment_align: 8
    .kernarg_segment_size: 120
    .language:       OpenCL C
    .language_version:
      - 2
      - 0
    .max_flat_workgroup_size: 512
    .name:           _ZN7rocprim17ROCPRIM_400000_NS6detail17trampoline_kernelINS0_14default_configENS1_25partition_config_selectorILNS1_17partition_subalgoE9EllbEEZZNS1_14partition_implILS5_9ELb0ES3_jPlS8_PNS0_10empty_typeENS0_5tupleIJS8_S9_EEENSB_IJS8_SA_EEENS0_18inequality_wrapperIZN2at6native12_GLOBAL__N_124unique_dim_cuda_templateIlEESt5tupleIJNSF_6TensorESK_SK_EERKSK_lbbbEUlllE0_EEPmJS9_EEE10hipError_tPvRmT3_T4_T5_T6_T7_T9_mT8_P12ihipStream_tbDpT10_ENKUlT_T0_E_clISt17integral_constantIbLb0EES1A_EEDaS15_S16_EUlS15_E_NS1_11comp_targetILNS1_3genE5ELNS1_11target_archE942ELNS1_3gpuE9ELNS1_3repE0EEENS1_30default_config_static_selectorELNS0_4arch9wavefront6targetE0EEEvT1_
    .private_segment_fixed_size: 0
    .sgpr_count:     0
    .sgpr_spill_count: 0
    .symbol:         _ZN7rocprim17ROCPRIM_400000_NS6detail17trampoline_kernelINS0_14default_configENS1_25partition_config_selectorILNS1_17partition_subalgoE9EllbEEZZNS1_14partition_implILS5_9ELb0ES3_jPlS8_PNS0_10empty_typeENS0_5tupleIJS8_S9_EEENSB_IJS8_SA_EEENS0_18inequality_wrapperIZN2at6native12_GLOBAL__N_124unique_dim_cuda_templateIlEESt5tupleIJNSF_6TensorESK_SK_EERKSK_lbbbEUlllE0_EEPmJS9_EEE10hipError_tPvRmT3_T4_T5_T6_T7_T9_mT8_P12ihipStream_tbDpT10_ENKUlT_T0_E_clISt17integral_constantIbLb0EES1A_EEDaS15_S16_EUlS15_E_NS1_11comp_targetILNS1_3genE5ELNS1_11target_archE942ELNS1_3gpuE9ELNS1_3repE0EEENS1_30default_config_static_selectorELNS0_4arch9wavefront6targetE0EEEvT1_.kd
    .uniform_work_group_size: 1
    .uses_dynamic_stack: false
    .vgpr_count:     0
    .vgpr_spill_count: 0
    .wavefront_size: 32
  - .args:
      - .offset:         0
        .size:           120
        .value_kind:     by_value
    .group_segment_fixed_size: 0
    .kernarg_segment_align: 8
    .kernarg_segment_size: 120
    .language:       OpenCL C
    .language_version:
      - 2
      - 0
    .max_flat_workgroup_size: 128
    .name:           _ZN7rocprim17ROCPRIM_400000_NS6detail17trampoline_kernelINS0_14default_configENS1_25partition_config_selectorILNS1_17partition_subalgoE9EllbEEZZNS1_14partition_implILS5_9ELb0ES3_jPlS8_PNS0_10empty_typeENS0_5tupleIJS8_S9_EEENSB_IJS8_SA_EEENS0_18inequality_wrapperIZN2at6native12_GLOBAL__N_124unique_dim_cuda_templateIlEESt5tupleIJNSF_6TensorESK_SK_EERKSK_lbbbEUlllE0_EEPmJS9_EEE10hipError_tPvRmT3_T4_T5_T6_T7_T9_mT8_P12ihipStream_tbDpT10_ENKUlT_T0_E_clISt17integral_constantIbLb0EES1A_EEDaS15_S16_EUlS15_E_NS1_11comp_targetILNS1_3genE4ELNS1_11target_archE910ELNS1_3gpuE8ELNS1_3repE0EEENS1_30default_config_static_selectorELNS0_4arch9wavefront6targetE0EEEvT1_
    .private_segment_fixed_size: 0
    .sgpr_count:     0
    .sgpr_spill_count: 0
    .symbol:         _ZN7rocprim17ROCPRIM_400000_NS6detail17trampoline_kernelINS0_14default_configENS1_25partition_config_selectorILNS1_17partition_subalgoE9EllbEEZZNS1_14partition_implILS5_9ELb0ES3_jPlS8_PNS0_10empty_typeENS0_5tupleIJS8_S9_EEENSB_IJS8_SA_EEENS0_18inequality_wrapperIZN2at6native12_GLOBAL__N_124unique_dim_cuda_templateIlEESt5tupleIJNSF_6TensorESK_SK_EERKSK_lbbbEUlllE0_EEPmJS9_EEE10hipError_tPvRmT3_T4_T5_T6_T7_T9_mT8_P12ihipStream_tbDpT10_ENKUlT_T0_E_clISt17integral_constantIbLb0EES1A_EEDaS15_S16_EUlS15_E_NS1_11comp_targetILNS1_3genE4ELNS1_11target_archE910ELNS1_3gpuE8ELNS1_3repE0EEENS1_30default_config_static_selectorELNS0_4arch9wavefront6targetE0EEEvT1_.kd
    .uniform_work_group_size: 1
    .uses_dynamic_stack: false
    .vgpr_count:     0
    .vgpr_spill_count: 0
    .wavefront_size: 32
  - .args:
      - .offset:         0
        .size:           120
        .value_kind:     by_value
    .group_segment_fixed_size: 0
    .kernarg_segment_align: 8
    .kernarg_segment_size: 120
    .language:       OpenCL C
    .language_version:
      - 2
      - 0
    .max_flat_workgroup_size: 128
    .name:           _ZN7rocprim17ROCPRIM_400000_NS6detail17trampoline_kernelINS0_14default_configENS1_25partition_config_selectorILNS1_17partition_subalgoE9EllbEEZZNS1_14partition_implILS5_9ELb0ES3_jPlS8_PNS0_10empty_typeENS0_5tupleIJS8_S9_EEENSB_IJS8_SA_EEENS0_18inequality_wrapperIZN2at6native12_GLOBAL__N_124unique_dim_cuda_templateIlEESt5tupleIJNSF_6TensorESK_SK_EERKSK_lbbbEUlllE0_EEPmJS9_EEE10hipError_tPvRmT3_T4_T5_T6_T7_T9_mT8_P12ihipStream_tbDpT10_ENKUlT_T0_E_clISt17integral_constantIbLb0EES1A_EEDaS15_S16_EUlS15_E_NS1_11comp_targetILNS1_3genE3ELNS1_11target_archE908ELNS1_3gpuE7ELNS1_3repE0EEENS1_30default_config_static_selectorELNS0_4arch9wavefront6targetE0EEEvT1_
    .private_segment_fixed_size: 0
    .sgpr_count:     0
    .sgpr_spill_count: 0
    .symbol:         _ZN7rocprim17ROCPRIM_400000_NS6detail17trampoline_kernelINS0_14default_configENS1_25partition_config_selectorILNS1_17partition_subalgoE9EllbEEZZNS1_14partition_implILS5_9ELb0ES3_jPlS8_PNS0_10empty_typeENS0_5tupleIJS8_S9_EEENSB_IJS8_SA_EEENS0_18inequality_wrapperIZN2at6native12_GLOBAL__N_124unique_dim_cuda_templateIlEESt5tupleIJNSF_6TensorESK_SK_EERKSK_lbbbEUlllE0_EEPmJS9_EEE10hipError_tPvRmT3_T4_T5_T6_T7_T9_mT8_P12ihipStream_tbDpT10_ENKUlT_T0_E_clISt17integral_constantIbLb0EES1A_EEDaS15_S16_EUlS15_E_NS1_11comp_targetILNS1_3genE3ELNS1_11target_archE908ELNS1_3gpuE7ELNS1_3repE0EEENS1_30default_config_static_selectorELNS0_4arch9wavefront6targetE0EEEvT1_.kd
    .uniform_work_group_size: 1
    .uses_dynamic_stack: false
    .vgpr_count:     0
    .vgpr_spill_count: 0
    .wavefront_size: 32
  - .args:
      - .offset:         0
        .size:           120
        .value_kind:     by_value
    .group_segment_fixed_size: 0
    .kernarg_segment_align: 8
    .kernarg_segment_size: 120
    .language:       OpenCL C
    .language_version:
      - 2
      - 0
    .max_flat_workgroup_size: 192
    .name:           _ZN7rocprim17ROCPRIM_400000_NS6detail17trampoline_kernelINS0_14default_configENS1_25partition_config_selectorILNS1_17partition_subalgoE9EllbEEZZNS1_14partition_implILS5_9ELb0ES3_jPlS8_PNS0_10empty_typeENS0_5tupleIJS8_S9_EEENSB_IJS8_SA_EEENS0_18inequality_wrapperIZN2at6native12_GLOBAL__N_124unique_dim_cuda_templateIlEESt5tupleIJNSF_6TensorESK_SK_EERKSK_lbbbEUlllE0_EEPmJS9_EEE10hipError_tPvRmT3_T4_T5_T6_T7_T9_mT8_P12ihipStream_tbDpT10_ENKUlT_T0_E_clISt17integral_constantIbLb0EES1A_EEDaS15_S16_EUlS15_E_NS1_11comp_targetILNS1_3genE2ELNS1_11target_archE906ELNS1_3gpuE6ELNS1_3repE0EEENS1_30default_config_static_selectorELNS0_4arch9wavefront6targetE0EEEvT1_
    .private_segment_fixed_size: 0
    .sgpr_count:     0
    .sgpr_spill_count: 0
    .symbol:         _ZN7rocprim17ROCPRIM_400000_NS6detail17trampoline_kernelINS0_14default_configENS1_25partition_config_selectorILNS1_17partition_subalgoE9EllbEEZZNS1_14partition_implILS5_9ELb0ES3_jPlS8_PNS0_10empty_typeENS0_5tupleIJS8_S9_EEENSB_IJS8_SA_EEENS0_18inequality_wrapperIZN2at6native12_GLOBAL__N_124unique_dim_cuda_templateIlEESt5tupleIJNSF_6TensorESK_SK_EERKSK_lbbbEUlllE0_EEPmJS9_EEE10hipError_tPvRmT3_T4_T5_T6_T7_T9_mT8_P12ihipStream_tbDpT10_ENKUlT_T0_E_clISt17integral_constantIbLb0EES1A_EEDaS15_S16_EUlS15_E_NS1_11comp_targetILNS1_3genE2ELNS1_11target_archE906ELNS1_3gpuE6ELNS1_3repE0EEENS1_30default_config_static_selectorELNS0_4arch9wavefront6targetE0EEEvT1_.kd
    .uniform_work_group_size: 1
    .uses_dynamic_stack: false
    .vgpr_count:     0
    .vgpr_spill_count: 0
    .wavefront_size: 32
  - .args:
      - .offset:         0
        .size:           120
        .value_kind:     by_value
    .group_segment_fixed_size: 0
    .kernarg_segment_align: 8
    .kernarg_segment_size: 120
    .language:       OpenCL C
    .language_version:
      - 2
      - 0
    .max_flat_workgroup_size: 384
    .name:           _ZN7rocprim17ROCPRIM_400000_NS6detail17trampoline_kernelINS0_14default_configENS1_25partition_config_selectorILNS1_17partition_subalgoE9EllbEEZZNS1_14partition_implILS5_9ELb0ES3_jPlS8_PNS0_10empty_typeENS0_5tupleIJS8_S9_EEENSB_IJS8_SA_EEENS0_18inequality_wrapperIZN2at6native12_GLOBAL__N_124unique_dim_cuda_templateIlEESt5tupleIJNSF_6TensorESK_SK_EERKSK_lbbbEUlllE0_EEPmJS9_EEE10hipError_tPvRmT3_T4_T5_T6_T7_T9_mT8_P12ihipStream_tbDpT10_ENKUlT_T0_E_clISt17integral_constantIbLb0EES1A_EEDaS15_S16_EUlS15_E_NS1_11comp_targetILNS1_3genE10ELNS1_11target_archE1200ELNS1_3gpuE4ELNS1_3repE0EEENS1_30default_config_static_selectorELNS0_4arch9wavefront6targetE0EEEvT1_
    .private_segment_fixed_size: 0
    .sgpr_count:     0
    .sgpr_spill_count: 0
    .symbol:         _ZN7rocprim17ROCPRIM_400000_NS6detail17trampoline_kernelINS0_14default_configENS1_25partition_config_selectorILNS1_17partition_subalgoE9EllbEEZZNS1_14partition_implILS5_9ELb0ES3_jPlS8_PNS0_10empty_typeENS0_5tupleIJS8_S9_EEENSB_IJS8_SA_EEENS0_18inequality_wrapperIZN2at6native12_GLOBAL__N_124unique_dim_cuda_templateIlEESt5tupleIJNSF_6TensorESK_SK_EERKSK_lbbbEUlllE0_EEPmJS9_EEE10hipError_tPvRmT3_T4_T5_T6_T7_T9_mT8_P12ihipStream_tbDpT10_ENKUlT_T0_E_clISt17integral_constantIbLb0EES1A_EEDaS15_S16_EUlS15_E_NS1_11comp_targetILNS1_3genE10ELNS1_11target_archE1200ELNS1_3gpuE4ELNS1_3repE0EEENS1_30default_config_static_selectorELNS0_4arch9wavefront6targetE0EEEvT1_.kd
    .uniform_work_group_size: 1
    .uses_dynamic_stack: false
    .vgpr_count:     0
    .vgpr_spill_count: 0
    .wavefront_size: 32
  - .args:
      - .offset:         0
        .size:           120
        .value_kind:     by_value
    .group_segment_fixed_size: 0
    .kernarg_segment_align: 8
    .kernarg_segment_size: 120
    .language:       OpenCL C
    .language_version:
      - 2
      - 0
    .max_flat_workgroup_size: 512
    .name:           _ZN7rocprim17ROCPRIM_400000_NS6detail17trampoline_kernelINS0_14default_configENS1_25partition_config_selectorILNS1_17partition_subalgoE9EllbEEZZNS1_14partition_implILS5_9ELb0ES3_jPlS8_PNS0_10empty_typeENS0_5tupleIJS8_S9_EEENSB_IJS8_SA_EEENS0_18inequality_wrapperIZN2at6native12_GLOBAL__N_124unique_dim_cuda_templateIlEESt5tupleIJNSF_6TensorESK_SK_EERKSK_lbbbEUlllE0_EEPmJS9_EEE10hipError_tPvRmT3_T4_T5_T6_T7_T9_mT8_P12ihipStream_tbDpT10_ENKUlT_T0_E_clISt17integral_constantIbLb0EES1A_EEDaS15_S16_EUlS15_E_NS1_11comp_targetILNS1_3genE9ELNS1_11target_archE1100ELNS1_3gpuE3ELNS1_3repE0EEENS1_30default_config_static_selectorELNS0_4arch9wavefront6targetE0EEEvT1_
    .private_segment_fixed_size: 0
    .sgpr_count:     0
    .sgpr_spill_count: 0
    .symbol:         _ZN7rocprim17ROCPRIM_400000_NS6detail17trampoline_kernelINS0_14default_configENS1_25partition_config_selectorILNS1_17partition_subalgoE9EllbEEZZNS1_14partition_implILS5_9ELb0ES3_jPlS8_PNS0_10empty_typeENS0_5tupleIJS8_S9_EEENSB_IJS8_SA_EEENS0_18inequality_wrapperIZN2at6native12_GLOBAL__N_124unique_dim_cuda_templateIlEESt5tupleIJNSF_6TensorESK_SK_EERKSK_lbbbEUlllE0_EEPmJS9_EEE10hipError_tPvRmT3_T4_T5_T6_T7_T9_mT8_P12ihipStream_tbDpT10_ENKUlT_T0_E_clISt17integral_constantIbLb0EES1A_EEDaS15_S16_EUlS15_E_NS1_11comp_targetILNS1_3genE9ELNS1_11target_archE1100ELNS1_3gpuE3ELNS1_3repE0EEENS1_30default_config_static_selectorELNS0_4arch9wavefront6targetE0EEEvT1_.kd
    .uniform_work_group_size: 1
    .uses_dynamic_stack: false
    .vgpr_count:     0
    .vgpr_spill_count: 0
    .wavefront_size: 32
  - .args:
      - .offset:         0
        .size:           120
        .value_kind:     by_value
    .group_segment_fixed_size: 0
    .kernarg_segment_align: 8
    .kernarg_segment_size: 120
    .language:       OpenCL C
    .language_version:
      - 2
      - 0
    .max_flat_workgroup_size: 512
    .name:           _ZN7rocprim17ROCPRIM_400000_NS6detail17trampoline_kernelINS0_14default_configENS1_25partition_config_selectorILNS1_17partition_subalgoE9EllbEEZZNS1_14partition_implILS5_9ELb0ES3_jPlS8_PNS0_10empty_typeENS0_5tupleIJS8_S9_EEENSB_IJS8_SA_EEENS0_18inequality_wrapperIZN2at6native12_GLOBAL__N_124unique_dim_cuda_templateIlEESt5tupleIJNSF_6TensorESK_SK_EERKSK_lbbbEUlllE0_EEPmJS9_EEE10hipError_tPvRmT3_T4_T5_T6_T7_T9_mT8_P12ihipStream_tbDpT10_ENKUlT_T0_E_clISt17integral_constantIbLb0EES1A_EEDaS15_S16_EUlS15_E_NS1_11comp_targetILNS1_3genE8ELNS1_11target_archE1030ELNS1_3gpuE2ELNS1_3repE0EEENS1_30default_config_static_selectorELNS0_4arch9wavefront6targetE0EEEvT1_
    .private_segment_fixed_size: 0
    .sgpr_count:     0
    .sgpr_spill_count: 0
    .symbol:         _ZN7rocprim17ROCPRIM_400000_NS6detail17trampoline_kernelINS0_14default_configENS1_25partition_config_selectorILNS1_17partition_subalgoE9EllbEEZZNS1_14partition_implILS5_9ELb0ES3_jPlS8_PNS0_10empty_typeENS0_5tupleIJS8_S9_EEENSB_IJS8_SA_EEENS0_18inequality_wrapperIZN2at6native12_GLOBAL__N_124unique_dim_cuda_templateIlEESt5tupleIJNSF_6TensorESK_SK_EERKSK_lbbbEUlllE0_EEPmJS9_EEE10hipError_tPvRmT3_T4_T5_T6_T7_T9_mT8_P12ihipStream_tbDpT10_ENKUlT_T0_E_clISt17integral_constantIbLb0EES1A_EEDaS15_S16_EUlS15_E_NS1_11comp_targetILNS1_3genE8ELNS1_11target_archE1030ELNS1_3gpuE2ELNS1_3repE0EEENS1_30default_config_static_selectorELNS0_4arch9wavefront6targetE0EEEvT1_.kd
    .uniform_work_group_size: 1
    .uses_dynamic_stack: false
    .vgpr_count:     0
    .vgpr_spill_count: 0
    .wavefront_size: 32
  - .args:
      - .offset:         0
        .size:           136
        .value_kind:     by_value
    .group_segment_fixed_size: 0
    .kernarg_segment_align: 8
    .kernarg_segment_size: 136
    .language:       OpenCL C
    .language_version:
      - 2
      - 0
    .max_flat_workgroup_size: 128
    .name:           _ZN7rocprim17ROCPRIM_400000_NS6detail17trampoline_kernelINS0_14default_configENS1_25partition_config_selectorILNS1_17partition_subalgoE9EllbEEZZNS1_14partition_implILS5_9ELb0ES3_jPlS8_PNS0_10empty_typeENS0_5tupleIJS8_S9_EEENSB_IJS8_SA_EEENS0_18inequality_wrapperIZN2at6native12_GLOBAL__N_124unique_dim_cuda_templateIlEESt5tupleIJNSF_6TensorESK_SK_EERKSK_lbbbEUlllE0_EEPmJS9_EEE10hipError_tPvRmT3_T4_T5_T6_T7_T9_mT8_P12ihipStream_tbDpT10_ENKUlT_T0_E_clISt17integral_constantIbLb1EES1A_EEDaS15_S16_EUlS15_E_NS1_11comp_targetILNS1_3genE0ELNS1_11target_archE4294967295ELNS1_3gpuE0ELNS1_3repE0EEENS1_30default_config_static_selectorELNS0_4arch9wavefront6targetE0EEEvT1_
    .private_segment_fixed_size: 0
    .sgpr_count:     0
    .sgpr_spill_count: 0
    .symbol:         _ZN7rocprim17ROCPRIM_400000_NS6detail17trampoline_kernelINS0_14default_configENS1_25partition_config_selectorILNS1_17partition_subalgoE9EllbEEZZNS1_14partition_implILS5_9ELb0ES3_jPlS8_PNS0_10empty_typeENS0_5tupleIJS8_S9_EEENSB_IJS8_SA_EEENS0_18inequality_wrapperIZN2at6native12_GLOBAL__N_124unique_dim_cuda_templateIlEESt5tupleIJNSF_6TensorESK_SK_EERKSK_lbbbEUlllE0_EEPmJS9_EEE10hipError_tPvRmT3_T4_T5_T6_T7_T9_mT8_P12ihipStream_tbDpT10_ENKUlT_T0_E_clISt17integral_constantIbLb1EES1A_EEDaS15_S16_EUlS15_E_NS1_11comp_targetILNS1_3genE0ELNS1_11target_archE4294967295ELNS1_3gpuE0ELNS1_3repE0EEENS1_30default_config_static_selectorELNS0_4arch9wavefront6targetE0EEEvT1_.kd
    .uniform_work_group_size: 1
    .uses_dynamic_stack: false
    .vgpr_count:     0
    .vgpr_spill_count: 0
    .wavefront_size: 32
  - .args:
      - .offset:         0
        .size:           136
        .value_kind:     by_value
    .group_segment_fixed_size: 0
    .kernarg_segment_align: 8
    .kernarg_segment_size: 136
    .language:       OpenCL C
    .language_version:
      - 2
      - 0
    .max_flat_workgroup_size: 512
    .name:           _ZN7rocprim17ROCPRIM_400000_NS6detail17trampoline_kernelINS0_14default_configENS1_25partition_config_selectorILNS1_17partition_subalgoE9EllbEEZZNS1_14partition_implILS5_9ELb0ES3_jPlS8_PNS0_10empty_typeENS0_5tupleIJS8_S9_EEENSB_IJS8_SA_EEENS0_18inequality_wrapperIZN2at6native12_GLOBAL__N_124unique_dim_cuda_templateIlEESt5tupleIJNSF_6TensorESK_SK_EERKSK_lbbbEUlllE0_EEPmJS9_EEE10hipError_tPvRmT3_T4_T5_T6_T7_T9_mT8_P12ihipStream_tbDpT10_ENKUlT_T0_E_clISt17integral_constantIbLb1EES1A_EEDaS15_S16_EUlS15_E_NS1_11comp_targetILNS1_3genE5ELNS1_11target_archE942ELNS1_3gpuE9ELNS1_3repE0EEENS1_30default_config_static_selectorELNS0_4arch9wavefront6targetE0EEEvT1_
    .private_segment_fixed_size: 0
    .sgpr_count:     0
    .sgpr_spill_count: 0
    .symbol:         _ZN7rocprim17ROCPRIM_400000_NS6detail17trampoline_kernelINS0_14default_configENS1_25partition_config_selectorILNS1_17partition_subalgoE9EllbEEZZNS1_14partition_implILS5_9ELb0ES3_jPlS8_PNS0_10empty_typeENS0_5tupleIJS8_S9_EEENSB_IJS8_SA_EEENS0_18inequality_wrapperIZN2at6native12_GLOBAL__N_124unique_dim_cuda_templateIlEESt5tupleIJNSF_6TensorESK_SK_EERKSK_lbbbEUlllE0_EEPmJS9_EEE10hipError_tPvRmT3_T4_T5_T6_T7_T9_mT8_P12ihipStream_tbDpT10_ENKUlT_T0_E_clISt17integral_constantIbLb1EES1A_EEDaS15_S16_EUlS15_E_NS1_11comp_targetILNS1_3genE5ELNS1_11target_archE942ELNS1_3gpuE9ELNS1_3repE0EEENS1_30default_config_static_selectorELNS0_4arch9wavefront6targetE0EEEvT1_.kd
    .uniform_work_group_size: 1
    .uses_dynamic_stack: false
    .vgpr_count:     0
    .vgpr_spill_count: 0
    .wavefront_size: 32
  - .args:
      - .offset:         0
        .size:           136
        .value_kind:     by_value
    .group_segment_fixed_size: 0
    .kernarg_segment_align: 8
    .kernarg_segment_size: 136
    .language:       OpenCL C
    .language_version:
      - 2
      - 0
    .max_flat_workgroup_size: 128
    .name:           _ZN7rocprim17ROCPRIM_400000_NS6detail17trampoline_kernelINS0_14default_configENS1_25partition_config_selectorILNS1_17partition_subalgoE9EllbEEZZNS1_14partition_implILS5_9ELb0ES3_jPlS8_PNS0_10empty_typeENS0_5tupleIJS8_S9_EEENSB_IJS8_SA_EEENS0_18inequality_wrapperIZN2at6native12_GLOBAL__N_124unique_dim_cuda_templateIlEESt5tupleIJNSF_6TensorESK_SK_EERKSK_lbbbEUlllE0_EEPmJS9_EEE10hipError_tPvRmT3_T4_T5_T6_T7_T9_mT8_P12ihipStream_tbDpT10_ENKUlT_T0_E_clISt17integral_constantIbLb1EES1A_EEDaS15_S16_EUlS15_E_NS1_11comp_targetILNS1_3genE4ELNS1_11target_archE910ELNS1_3gpuE8ELNS1_3repE0EEENS1_30default_config_static_selectorELNS0_4arch9wavefront6targetE0EEEvT1_
    .private_segment_fixed_size: 0
    .sgpr_count:     0
    .sgpr_spill_count: 0
    .symbol:         _ZN7rocprim17ROCPRIM_400000_NS6detail17trampoline_kernelINS0_14default_configENS1_25partition_config_selectorILNS1_17partition_subalgoE9EllbEEZZNS1_14partition_implILS5_9ELb0ES3_jPlS8_PNS0_10empty_typeENS0_5tupleIJS8_S9_EEENSB_IJS8_SA_EEENS0_18inequality_wrapperIZN2at6native12_GLOBAL__N_124unique_dim_cuda_templateIlEESt5tupleIJNSF_6TensorESK_SK_EERKSK_lbbbEUlllE0_EEPmJS9_EEE10hipError_tPvRmT3_T4_T5_T6_T7_T9_mT8_P12ihipStream_tbDpT10_ENKUlT_T0_E_clISt17integral_constantIbLb1EES1A_EEDaS15_S16_EUlS15_E_NS1_11comp_targetILNS1_3genE4ELNS1_11target_archE910ELNS1_3gpuE8ELNS1_3repE0EEENS1_30default_config_static_selectorELNS0_4arch9wavefront6targetE0EEEvT1_.kd
    .uniform_work_group_size: 1
    .uses_dynamic_stack: false
    .vgpr_count:     0
    .vgpr_spill_count: 0
    .wavefront_size: 32
  - .args:
      - .offset:         0
        .size:           136
        .value_kind:     by_value
    .group_segment_fixed_size: 0
    .kernarg_segment_align: 8
    .kernarg_segment_size: 136
    .language:       OpenCL C
    .language_version:
      - 2
      - 0
    .max_flat_workgroup_size: 128
    .name:           _ZN7rocprim17ROCPRIM_400000_NS6detail17trampoline_kernelINS0_14default_configENS1_25partition_config_selectorILNS1_17partition_subalgoE9EllbEEZZNS1_14partition_implILS5_9ELb0ES3_jPlS8_PNS0_10empty_typeENS0_5tupleIJS8_S9_EEENSB_IJS8_SA_EEENS0_18inequality_wrapperIZN2at6native12_GLOBAL__N_124unique_dim_cuda_templateIlEESt5tupleIJNSF_6TensorESK_SK_EERKSK_lbbbEUlllE0_EEPmJS9_EEE10hipError_tPvRmT3_T4_T5_T6_T7_T9_mT8_P12ihipStream_tbDpT10_ENKUlT_T0_E_clISt17integral_constantIbLb1EES1A_EEDaS15_S16_EUlS15_E_NS1_11comp_targetILNS1_3genE3ELNS1_11target_archE908ELNS1_3gpuE7ELNS1_3repE0EEENS1_30default_config_static_selectorELNS0_4arch9wavefront6targetE0EEEvT1_
    .private_segment_fixed_size: 0
    .sgpr_count:     0
    .sgpr_spill_count: 0
    .symbol:         _ZN7rocprim17ROCPRIM_400000_NS6detail17trampoline_kernelINS0_14default_configENS1_25partition_config_selectorILNS1_17partition_subalgoE9EllbEEZZNS1_14partition_implILS5_9ELb0ES3_jPlS8_PNS0_10empty_typeENS0_5tupleIJS8_S9_EEENSB_IJS8_SA_EEENS0_18inequality_wrapperIZN2at6native12_GLOBAL__N_124unique_dim_cuda_templateIlEESt5tupleIJNSF_6TensorESK_SK_EERKSK_lbbbEUlllE0_EEPmJS9_EEE10hipError_tPvRmT3_T4_T5_T6_T7_T9_mT8_P12ihipStream_tbDpT10_ENKUlT_T0_E_clISt17integral_constantIbLb1EES1A_EEDaS15_S16_EUlS15_E_NS1_11comp_targetILNS1_3genE3ELNS1_11target_archE908ELNS1_3gpuE7ELNS1_3repE0EEENS1_30default_config_static_selectorELNS0_4arch9wavefront6targetE0EEEvT1_.kd
    .uniform_work_group_size: 1
    .uses_dynamic_stack: false
    .vgpr_count:     0
    .vgpr_spill_count: 0
    .wavefront_size: 32
  - .args:
      - .offset:         0
        .size:           136
        .value_kind:     by_value
    .group_segment_fixed_size: 0
    .kernarg_segment_align: 8
    .kernarg_segment_size: 136
    .language:       OpenCL C
    .language_version:
      - 2
      - 0
    .max_flat_workgroup_size: 192
    .name:           _ZN7rocprim17ROCPRIM_400000_NS6detail17trampoline_kernelINS0_14default_configENS1_25partition_config_selectorILNS1_17partition_subalgoE9EllbEEZZNS1_14partition_implILS5_9ELb0ES3_jPlS8_PNS0_10empty_typeENS0_5tupleIJS8_S9_EEENSB_IJS8_SA_EEENS0_18inequality_wrapperIZN2at6native12_GLOBAL__N_124unique_dim_cuda_templateIlEESt5tupleIJNSF_6TensorESK_SK_EERKSK_lbbbEUlllE0_EEPmJS9_EEE10hipError_tPvRmT3_T4_T5_T6_T7_T9_mT8_P12ihipStream_tbDpT10_ENKUlT_T0_E_clISt17integral_constantIbLb1EES1A_EEDaS15_S16_EUlS15_E_NS1_11comp_targetILNS1_3genE2ELNS1_11target_archE906ELNS1_3gpuE6ELNS1_3repE0EEENS1_30default_config_static_selectorELNS0_4arch9wavefront6targetE0EEEvT1_
    .private_segment_fixed_size: 0
    .sgpr_count:     0
    .sgpr_spill_count: 0
    .symbol:         _ZN7rocprim17ROCPRIM_400000_NS6detail17trampoline_kernelINS0_14default_configENS1_25partition_config_selectorILNS1_17partition_subalgoE9EllbEEZZNS1_14partition_implILS5_9ELb0ES3_jPlS8_PNS0_10empty_typeENS0_5tupleIJS8_S9_EEENSB_IJS8_SA_EEENS0_18inequality_wrapperIZN2at6native12_GLOBAL__N_124unique_dim_cuda_templateIlEESt5tupleIJNSF_6TensorESK_SK_EERKSK_lbbbEUlllE0_EEPmJS9_EEE10hipError_tPvRmT3_T4_T5_T6_T7_T9_mT8_P12ihipStream_tbDpT10_ENKUlT_T0_E_clISt17integral_constantIbLb1EES1A_EEDaS15_S16_EUlS15_E_NS1_11comp_targetILNS1_3genE2ELNS1_11target_archE906ELNS1_3gpuE6ELNS1_3repE0EEENS1_30default_config_static_selectorELNS0_4arch9wavefront6targetE0EEEvT1_.kd
    .uniform_work_group_size: 1
    .uses_dynamic_stack: false
    .vgpr_count:     0
    .vgpr_spill_count: 0
    .wavefront_size: 32
  - .args:
      - .offset:         0
        .size:           136
        .value_kind:     by_value
    .group_segment_fixed_size: 0
    .kernarg_segment_align: 8
    .kernarg_segment_size: 136
    .language:       OpenCL C
    .language_version:
      - 2
      - 0
    .max_flat_workgroup_size: 384
    .name:           _ZN7rocprim17ROCPRIM_400000_NS6detail17trampoline_kernelINS0_14default_configENS1_25partition_config_selectorILNS1_17partition_subalgoE9EllbEEZZNS1_14partition_implILS5_9ELb0ES3_jPlS8_PNS0_10empty_typeENS0_5tupleIJS8_S9_EEENSB_IJS8_SA_EEENS0_18inequality_wrapperIZN2at6native12_GLOBAL__N_124unique_dim_cuda_templateIlEESt5tupleIJNSF_6TensorESK_SK_EERKSK_lbbbEUlllE0_EEPmJS9_EEE10hipError_tPvRmT3_T4_T5_T6_T7_T9_mT8_P12ihipStream_tbDpT10_ENKUlT_T0_E_clISt17integral_constantIbLb1EES1A_EEDaS15_S16_EUlS15_E_NS1_11comp_targetILNS1_3genE10ELNS1_11target_archE1200ELNS1_3gpuE4ELNS1_3repE0EEENS1_30default_config_static_selectorELNS0_4arch9wavefront6targetE0EEEvT1_
    .private_segment_fixed_size: 0
    .sgpr_count:     0
    .sgpr_spill_count: 0
    .symbol:         _ZN7rocprim17ROCPRIM_400000_NS6detail17trampoline_kernelINS0_14default_configENS1_25partition_config_selectorILNS1_17partition_subalgoE9EllbEEZZNS1_14partition_implILS5_9ELb0ES3_jPlS8_PNS0_10empty_typeENS0_5tupleIJS8_S9_EEENSB_IJS8_SA_EEENS0_18inequality_wrapperIZN2at6native12_GLOBAL__N_124unique_dim_cuda_templateIlEESt5tupleIJNSF_6TensorESK_SK_EERKSK_lbbbEUlllE0_EEPmJS9_EEE10hipError_tPvRmT3_T4_T5_T6_T7_T9_mT8_P12ihipStream_tbDpT10_ENKUlT_T0_E_clISt17integral_constantIbLb1EES1A_EEDaS15_S16_EUlS15_E_NS1_11comp_targetILNS1_3genE10ELNS1_11target_archE1200ELNS1_3gpuE4ELNS1_3repE0EEENS1_30default_config_static_selectorELNS0_4arch9wavefront6targetE0EEEvT1_.kd
    .uniform_work_group_size: 1
    .uses_dynamic_stack: false
    .vgpr_count:     0
    .vgpr_spill_count: 0
    .wavefront_size: 32
  - .args:
      - .offset:         0
        .size:           136
        .value_kind:     by_value
    .group_segment_fixed_size: 0
    .kernarg_segment_align: 8
    .kernarg_segment_size: 136
    .language:       OpenCL C
    .language_version:
      - 2
      - 0
    .max_flat_workgroup_size: 512
    .name:           _ZN7rocprim17ROCPRIM_400000_NS6detail17trampoline_kernelINS0_14default_configENS1_25partition_config_selectorILNS1_17partition_subalgoE9EllbEEZZNS1_14partition_implILS5_9ELb0ES3_jPlS8_PNS0_10empty_typeENS0_5tupleIJS8_S9_EEENSB_IJS8_SA_EEENS0_18inequality_wrapperIZN2at6native12_GLOBAL__N_124unique_dim_cuda_templateIlEESt5tupleIJNSF_6TensorESK_SK_EERKSK_lbbbEUlllE0_EEPmJS9_EEE10hipError_tPvRmT3_T4_T5_T6_T7_T9_mT8_P12ihipStream_tbDpT10_ENKUlT_T0_E_clISt17integral_constantIbLb1EES1A_EEDaS15_S16_EUlS15_E_NS1_11comp_targetILNS1_3genE9ELNS1_11target_archE1100ELNS1_3gpuE3ELNS1_3repE0EEENS1_30default_config_static_selectorELNS0_4arch9wavefront6targetE0EEEvT1_
    .private_segment_fixed_size: 0
    .sgpr_count:     0
    .sgpr_spill_count: 0
    .symbol:         _ZN7rocprim17ROCPRIM_400000_NS6detail17trampoline_kernelINS0_14default_configENS1_25partition_config_selectorILNS1_17partition_subalgoE9EllbEEZZNS1_14partition_implILS5_9ELb0ES3_jPlS8_PNS0_10empty_typeENS0_5tupleIJS8_S9_EEENSB_IJS8_SA_EEENS0_18inequality_wrapperIZN2at6native12_GLOBAL__N_124unique_dim_cuda_templateIlEESt5tupleIJNSF_6TensorESK_SK_EERKSK_lbbbEUlllE0_EEPmJS9_EEE10hipError_tPvRmT3_T4_T5_T6_T7_T9_mT8_P12ihipStream_tbDpT10_ENKUlT_T0_E_clISt17integral_constantIbLb1EES1A_EEDaS15_S16_EUlS15_E_NS1_11comp_targetILNS1_3genE9ELNS1_11target_archE1100ELNS1_3gpuE3ELNS1_3repE0EEENS1_30default_config_static_selectorELNS0_4arch9wavefront6targetE0EEEvT1_.kd
    .uniform_work_group_size: 1
    .uses_dynamic_stack: false
    .vgpr_count:     0
    .vgpr_spill_count: 0
    .wavefront_size: 32
  - .args:
      - .offset:         0
        .size:           136
        .value_kind:     by_value
    .group_segment_fixed_size: 0
    .kernarg_segment_align: 8
    .kernarg_segment_size: 136
    .language:       OpenCL C
    .language_version:
      - 2
      - 0
    .max_flat_workgroup_size: 512
    .name:           _ZN7rocprim17ROCPRIM_400000_NS6detail17trampoline_kernelINS0_14default_configENS1_25partition_config_selectorILNS1_17partition_subalgoE9EllbEEZZNS1_14partition_implILS5_9ELb0ES3_jPlS8_PNS0_10empty_typeENS0_5tupleIJS8_S9_EEENSB_IJS8_SA_EEENS0_18inequality_wrapperIZN2at6native12_GLOBAL__N_124unique_dim_cuda_templateIlEESt5tupleIJNSF_6TensorESK_SK_EERKSK_lbbbEUlllE0_EEPmJS9_EEE10hipError_tPvRmT3_T4_T5_T6_T7_T9_mT8_P12ihipStream_tbDpT10_ENKUlT_T0_E_clISt17integral_constantIbLb1EES1A_EEDaS15_S16_EUlS15_E_NS1_11comp_targetILNS1_3genE8ELNS1_11target_archE1030ELNS1_3gpuE2ELNS1_3repE0EEENS1_30default_config_static_selectorELNS0_4arch9wavefront6targetE0EEEvT1_
    .private_segment_fixed_size: 0
    .sgpr_count:     0
    .sgpr_spill_count: 0
    .symbol:         _ZN7rocprim17ROCPRIM_400000_NS6detail17trampoline_kernelINS0_14default_configENS1_25partition_config_selectorILNS1_17partition_subalgoE9EllbEEZZNS1_14partition_implILS5_9ELb0ES3_jPlS8_PNS0_10empty_typeENS0_5tupleIJS8_S9_EEENSB_IJS8_SA_EEENS0_18inequality_wrapperIZN2at6native12_GLOBAL__N_124unique_dim_cuda_templateIlEESt5tupleIJNSF_6TensorESK_SK_EERKSK_lbbbEUlllE0_EEPmJS9_EEE10hipError_tPvRmT3_T4_T5_T6_T7_T9_mT8_P12ihipStream_tbDpT10_ENKUlT_T0_E_clISt17integral_constantIbLb1EES1A_EEDaS15_S16_EUlS15_E_NS1_11comp_targetILNS1_3genE8ELNS1_11target_archE1030ELNS1_3gpuE2ELNS1_3repE0EEENS1_30default_config_static_selectorELNS0_4arch9wavefront6targetE0EEEvT1_.kd
    .uniform_work_group_size: 1
    .uses_dynamic_stack: false
    .vgpr_count:     0
    .vgpr_spill_count: 0
    .wavefront_size: 32
  - .args:
      - .offset:         0
        .size:           120
        .value_kind:     by_value
    .group_segment_fixed_size: 0
    .kernarg_segment_align: 8
    .kernarg_segment_size: 120
    .language:       OpenCL C
    .language_version:
      - 2
      - 0
    .max_flat_workgroup_size: 128
    .name:           _ZN7rocprim17ROCPRIM_400000_NS6detail17trampoline_kernelINS0_14default_configENS1_25partition_config_selectorILNS1_17partition_subalgoE9EllbEEZZNS1_14partition_implILS5_9ELb0ES3_jPlS8_PNS0_10empty_typeENS0_5tupleIJS8_S9_EEENSB_IJS8_SA_EEENS0_18inequality_wrapperIZN2at6native12_GLOBAL__N_124unique_dim_cuda_templateIlEESt5tupleIJNSF_6TensorESK_SK_EERKSK_lbbbEUlllE0_EEPmJS9_EEE10hipError_tPvRmT3_T4_T5_T6_T7_T9_mT8_P12ihipStream_tbDpT10_ENKUlT_T0_E_clISt17integral_constantIbLb1EES19_IbLb0EEEEDaS15_S16_EUlS15_E_NS1_11comp_targetILNS1_3genE0ELNS1_11target_archE4294967295ELNS1_3gpuE0ELNS1_3repE0EEENS1_30default_config_static_selectorELNS0_4arch9wavefront6targetE0EEEvT1_
    .private_segment_fixed_size: 0
    .sgpr_count:     0
    .sgpr_spill_count: 0
    .symbol:         _ZN7rocprim17ROCPRIM_400000_NS6detail17trampoline_kernelINS0_14default_configENS1_25partition_config_selectorILNS1_17partition_subalgoE9EllbEEZZNS1_14partition_implILS5_9ELb0ES3_jPlS8_PNS0_10empty_typeENS0_5tupleIJS8_S9_EEENSB_IJS8_SA_EEENS0_18inequality_wrapperIZN2at6native12_GLOBAL__N_124unique_dim_cuda_templateIlEESt5tupleIJNSF_6TensorESK_SK_EERKSK_lbbbEUlllE0_EEPmJS9_EEE10hipError_tPvRmT3_T4_T5_T6_T7_T9_mT8_P12ihipStream_tbDpT10_ENKUlT_T0_E_clISt17integral_constantIbLb1EES19_IbLb0EEEEDaS15_S16_EUlS15_E_NS1_11comp_targetILNS1_3genE0ELNS1_11target_archE4294967295ELNS1_3gpuE0ELNS1_3repE0EEENS1_30default_config_static_selectorELNS0_4arch9wavefront6targetE0EEEvT1_.kd
    .uniform_work_group_size: 1
    .uses_dynamic_stack: false
    .vgpr_count:     0
    .vgpr_spill_count: 0
    .wavefront_size: 32
  - .args:
      - .offset:         0
        .size:           120
        .value_kind:     by_value
    .group_segment_fixed_size: 0
    .kernarg_segment_align: 8
    .kernarg_segment_size: 120
    .language:       OpenCL C
    .language_version:
      - 2
      - 0
    .max_flat_workgroup_size: 512
    .name:           _ZN7rocprim17ROCPRIM_400000_NS6detail17trampoline_kernelINS0_14default_configENS1_25partition_config_selectorILNS1_17partition_subalgoE9EllbEEZZNS1_14partition_implILS5_9ELb0ES3_jPlS8_PNS0_10empty_typeENS0_5tupleIJS8_S9_EEENSB_IJS8_SA_EEENS0_18inequality_wrapperIZN2at6native12_GLOBAL__N_124unique_dim_cuda_templateIlEESt5tupleIJNSF_6TensorESK_SK_EERKSK_lbbbEUlllE0_EEPmJS9_EEE10hipError_tPvRmT3_T4_T5_T6_T7_T9_mT8_P12ihipStream_tbDpT10_ENKUlT_T0_E_clISt17integral_constantIbLb1EES19_IbLb0EEEEDaS15_S16_EUlS15_E_NS1_11comp_targetILNS1_3genE5ELNS1_11target_archE942ELNS1_3gpuE9ELNS1_3repE0EEENS1_30default_config_static_selectorELNS0_4arch9wavefront6targetE0EEEvT1_
    .private_segment_fixed_size: 0
    .sgpr_count:     0
    .sgpr_spill_count: 0
    .symbol:         _ZN7rocprim17ROCPRIM_400000_NS6detail17trampoline_kernelINS0_14default_configENS1_25partition_config_selectorILNS1_17partition_subalgoE9EllbEEZZNS1_14partition_implILS5_9ELb0ES3_jPlS8_PNS0_10empty_typeENS0_5tupleIJS8_S9_EEENSB_IJS8_SA_EEENS0_18inequality_wrapperIZN2at6native12_GLOBAL__N_124unique_dim_cuda_templateIlEESt5tupleIJNSF_6TensorESK_SK_EERKSK_lbbbEUlllE0_EEPmJS9_EEE10hipError_tPvRmT3_T4_T5_T6_T7_T9_mT8_P12ihipStream_tbDpT10_ENKUlT_T0_E_clISt17integral_constantIbLb1EES19_IbLb0EEEEDaS15_S16_EUlS15_E_NS1_11comp_targetILNS1_3genE5ELNS1_11target_archE942ELNS1_3gpuE9ELNS1_3repE0EEENS1_30default_config_static_selectorELNS0_4arch9wavefront6targetE0EEEvT1_.kd
    .uniform_work_group_size: 1
    .uses_dynamic_stack: false
    .vgpr_count:     0
    .vgpr_spill_count: 0
    .wavefront_size: 32
  - .args:
      - .offset:         0
        .size:           120
        .value_kind:     by_value
    .group_segment_fixed_size: 0
    .kernarg_segment_align: 8
    .kernarg_segment_size: 120
    .language:       OpenCL C
    .language_version:
      - 2
      - 0
    .max_flat_workgroup_size: 128
    .name:           _ZN7rocprim17ROCPRIM_400000_NS6detail17trampoline_kernelINS0_14default_configENS1_25partition_config_selectorILNS1_17partition_subalgoE9EllbEEZZNS1_14partition_implILS5_9ELb0ES3_jPlS8_PNS0_10empty_typeENS0_5tupleIJS8_S9_EEENSB_IJS8_SA_EEENS0_18inequality_wrapperIZN2at6native12_GLOBAL__N_124unique_dim_cuda_templateIlEESt5tupleIJNSF_6TensorESK_SK_EERKSK_lbbbEUlllE0_EEPmJS9_EEE10hipError_tPvRmT3_T4_T5_T6_T7_T9_mT8_P12ihipStream_tbDpT10_ENKUlT_T0_E_clISt17integral_constantIbLb1EES19_IbLb0EEEEDaS15_S16_EUlS15_E_NS1_11comp_targetILNS1_3genE4ELNS1_11target_archE910ELNS1_3gpuE8ELNS1_3repE0EEENS1_30default_config_static_selectorELNS0_4arch9wavefront6targetE0EEEvT1_
    .private_segment_fixed_size: 0
    .sgpr_count:     0
    .sgpr_spill_count: 0
    .symbol:         _ZN7rocprim17ROCPRIM_400000_NS6detail17trampoline_kernelINS0_14default_configENS1_25partition_config_selectorILNS1_17partition_subalgoE9EllbEEZZNS1_14partition_implILS5_9ELb0ES3_jPlS8_PNS0_10empty_typeENS0_5tupleIJS8_S9_EEENSB_IJS8_SA_EEENS0_18inequality_wrapperIZN2at6native12_GLOBAL__N_124unique_dim_cuda_templateIlEESt5tupleIJNSF_6TensorESK_SK_EERKSK_lbbbEUlllE0_EEPmJS9_EEE10hipError_tPvRmT3_T4_T5_T6_T7_T9_mT8_P12ihipStream_tbDpT10_ENKUlT_T0_E_clISt17integral_constantIbLb1EES19_IbLb0EEEEDaS15_S16_EUlS15_E_NS1_11comp_targetILNS1_3genE4ELNS1_11target_archE910ELNS1_3gpuE8ELNS1_3repE0EEENS1_30default_config_static_selectorELNS0_4arch9wavefront6targetE0EEEvT1_.kd
    .uniform_work_group_size: 1
    .uses_dynamic_stack: false
    .vgpr_count:     0
    .vgpr_spill_count: 0
    .wavefront_size: 32
  - .args:
      - .offset:         0
        .size:           120
        .value_kind:     by_value
    .group_segment_fixed_size: 0
    .kernarg_segment_align: 8
    .kernarg_segment_size: 120
    .language:       OpenCL C
    .language_version:
      - 2
      - 0
    .max_flat_workgroup_size: 128
    .name:           _ZN7rocprim17ROCPRIM_400000_NS6detail17trampoline_kernelINS0_14default_configENS1_25partition_config_selectorILNS1_17partition_subalgoE9EllbEEZZNS1_14partition_implILS5_9ELb0ES3_jPlS8_PNS0_10empty_typeENS0_5tupleIJS8_S9_EEENSB_IJS8_SA_EEENS0_18inequality_wrapperIZN2at6native12_GLOBAL__N_124unique_dim_cuda_templateIlEESt5tupleIJNSF_6TensorESK_SK_EERKSK_lbbbEUlllE0_EEPmJS9_EEE10hipError_tPvRmT3_T4_T5_T6_T7_T9_mT8_P12ihipStream_tbDpT10_ENKUlT_T0_E_clISt17integral_constantIbLb1EES19_IbLb0EEEEDaS15_S16_EUlS15_E_NS1_11comp_targetILNS1_3genE3ELNS1_11target_archE908ELNS1_3gpuE7ELNS1_3repE0EEENS1_30default_config_static_selectorELNS0_4arch9wavefront6targetE0EEEvT1_
    .private_segment_fixed_size: 0
    .sgpr_count:     0
    .sgpr_spill_count: 0
    .symbol:         _ZN7rocprim17ROCPRIM_400000_NS6detail17trampoline_kernelINS0_14default_configENS1_25partition_config_selectorILNS1_17partition_subalgoE9EllbEEZZNS1_14partition_implILS5_9ELb0ES3_jPlS8_PNS0_10empty_typeENS0_5tupleIJS8_S9_EEENSB_IJS8_SA_EEENS0_18inequality_wrapperIZN2at6native12_GLOBAL__N_124unique_dim_cuda_templateIlEESt5tupleIJNSF_6TensorESK_SK_EERKSK_lbbbEUlllE0_EEPmJS9_EEE10hipError_tPvRmT3_T4_T5_T6_T7_T9_mT8_P12ihipStream_tbDpT10_ENKUlT_T0_E_clISt17integral_constantIbLb1EES19_IbLb0EEEEDaS15_S16_EUlS15_E_NS1_11comp_targetILNS1_3genE3ELNS1_11target_archE908ELNS1_3gpuE7ELNS1_3repE0EEENS1_30default_config_static_selectorELNS0_4arch9wavefront6targetE0EEEvT1_.kd
    .uniform_work_group_size: 1
    .uses_dynamic_stack: false
    .vgpr_count:     0
    .vgpr_spill_count: 0
    .wavefront_size: 32
  - .args:
      - .offset:         0
        .size:           120
        .value_kind:     by_value
    .group_segment_fixed_size: 0
    .kernarg_segment_align: 8
    .kernarg_segment_size: 120
    .language:       OpenCL C
    .language_version:
      - 2
      - 0
    .max_flat_workgroup_size: 192
    .name:           _ZN7rocprim17ROCPRIM_400000_NS6detail17trampoline_kernelINS0_14default_configENS1_25partition_config_selectorILNS1_17partition_subalgoE9EllbEEZZNS1_14partition_implILS5_9ELb0ES3_jPlS8_PNS0_10empty_typeENS0_5tupleIJS8_S9_EEENSB_IJS8_SA_EEENS0_18inequality_wrapperIZN2at6native12_GLOBAL__N_124unique_dim_cuda_templateIlEESt5tupleIJNSF_6TensorESK_SK_EERKSK_lbbbEUlllE0_EEPmJS9_EEE10hipError_tPvRmT3_T4_T5_T6_T7_T9_mT8_P12ihipStream_tbDpT10_ENKUlT_T0_E_clISt17integral_constantIbLb1EES19_IbLb0EEEEDaS15_S16_EUlS15_E_NS1_11comp_targetILNS1_3genE2ELNS1_11target_archE906ELNS1_3gpuE6ELNS1_3repE0EEENS1_30default_config_static_selectorELNS0_4arch9wavefront6targetE0EEEvT1_
    .private_segment_fixed_size: 0
    .sgpr_count:     0
    .sgpr_spill_count: 0
    .symbol:         _ZN7rocprim17ROCPRIM_400000_NS6detail17trampoline_kernelINS0_14default_configENS1_25partition_config_selectorILNS1_17partition_subalgoE9EllbEEZZNS1_14partition_implILS5_9ELb0ES3_jPlS8_PNS0_10empty_typeENS0_5tupleIJS8_S9_EEENSB_IJS8_SA_EEENS0_18inequality_wrapperIZN2at6native12_GLOBAL__N_124unique_dim_cuda_templateIlEESt5tupleIJNSF_6TensorESK_SK_EERKSK_lbbbEUlllE0_EEPmJS9_EEE10hipError_tPvRmT3_T4_T5_T6_T7_T9_mT8_P12ihipStream_tbDpT10_ENKUlT_T0_E_clISt17integral_constantIbLb1EES19_IbLb0EEEEDaS15_S16_EUlS15_E_NS1_11comp_targetILNS1_3genE2ELNS1_11target_archE906ELNS1_3gpuE6ELNS1_3repE0EEENS1_30default_config_static_selectorELNS0_4arch9wavefront6targetE0EEEvT1_.kd
    .uniform_work_group_size: 1
    .uses_dynamic_stack: false
    .vgpr_count:     0
    .vgpr_spill_count: 0
    .wavefront_size: 32
  - .args:
      - .offset:         0
        .size:           120
        .value_kind:     by_value
    .group_segment_fixed_size: 0
    .kernarg_segment_align: 8
    .kernarg_segment_size: 120
    .language:       OpenCL C
    .language_version:
      - 2
      - 0
    .max_flat_workgroup_size: 384
    .name:           _ZN7rocprim17ROCPRIM_400000_NS6detail17trampoline_kernelINS0_14default_configENS1_25partition_config_selectorILNS1_17partition_subalgoE9EllbEEZZNS1_14partition_implILS5_9ELb0ES3_jPlS8_PNS0_10empty_typeENS0_5tupleIJS8_S9_EEENSB_IJS8_SA_EEENS0_18inequality_wrapperIZN2at6native12_GLOBAL__N_124unique_dim_cuda_templateIlEESt5tupleIJNSF_6TensorESK_SK_EERKSK_lbbbEUlllE0_EEPmJS9_EEE10hipError_tPvRmT3_T4_T5_T6_T7_T9_mT8_P12ihipStream_tbDpT10_ENKUlT_T0_E_clISt17integral_constantIbLb1EES19_IbLb0EEEEDaS15_S16_EUlS15_E_NS1_11comp_targetILNS1_3genE10ELNS1_11target_archE1200ELNS1_3gpuE4ELNS1_3repE0EEENS1_30default_config_static_selectorELNS0_4arch9wavefront6targetE0EEEvT1_
    .private_segment_fixed_size: 0
    .sgpr_count:     0
    .sgpr_spill_count: 0
    .symbol:         _ZN7rocprim17ROCPRIM_400000_NS6detail17trampoline_kernelINS0_14default_configENS1_25partition_config_selectorILNS1_17partition_subalgoE9EllbEEZZNS1_14partition_implILS5_9ELb0ES3_jPlS8_PNS0_10empty_typeENS0_5tupleIJS8_S9_EEENSB_IJS8_SA_EEENS0_18inequality_wrapperIZN2at6native12_GLOBAL__N_124unique_dim_cuda_templateIlEESt5tupleIJNSF_6TensorESK_SK_EERKSK_lbbbEUlllE0_EEPmJS9_EEE10hipError_tPvRmT3_T4_T5_T6_T7_T9_mT8_P12ihipStream_tbDpT10_ENKUlT_T0_E_clISt17integral_constantIbLb1EES19_IbLb0EEEEDaS15_S16_EUlS15_E_NS1_11comp_targetILNS1_3genE10ELNS1_11target_archE1200ELNS1_3gpuE4ELNS1_3repE0EEENS1_30default_config_static_selectorELNS0_4arch9wavefront6targetE0EEEvT1_.kd
    .uniform_work_group_size: 1
    .uses_dynamic_stack: false
    .vgpr_count:     0
    .vgpr_spill_count: 0
    .wavefront_size: 32
  - .args:
      - .offset:         0
        .size:           120
        .value_kind:     by_value
    .group_segment_fixed_size: 0
    .kernarg_segment_align: 8
    .kernarg_segment_size: 120
    .language:       OpenCL C
    .language_version:
      - 2
      - 0
    .max_flat_workgroup_size: 512
    .name:           _ZN7rocprim17ROCPRIM_400000_NS6detail17trampoline_kernelINS0_14default_configENS1_25partition_config_selectorILNS1_17partition_subalgoE9EllbEEZZNS1_14partition_implILS5_9ELb0ES3_jPlS8_PNS0_10empty_typeENS0_5tupleIJS8_S9_EEENSB_IJS8_SA_EEENS0_18inequality_wrapperIZN2at6native12_GLOBAL__N_124unique_dim_cuda_templateIlEESt5tupleIJNSF_6TensorESK_SK_EERKSK_lbbbEUlllE0_EEPmJS9_EEE10hipError_tPvRmT3_T4_T5_T6_T7_T9_mT8_P12ihipStream_tbDpT10_ENKUlT_T0_E_clISt17integral_constantIbLb1EES19_IbLb0EEEEDaS15_S16_EUlS15_E_NS1_11comp_targetILNS1_3genE9ELNS1_11target_archE1100ELNS1_3gpuE3ELNS1_3repE0EEENS1_30default_config_static_selectorELNS0_4arch9wavefront6targetE0EEEvT1_
    .private_segment_fixed_size: 0
    .sgpr_count:     0
    .sgpr_spill_count: 0
    .symbol:         _ZN7rocprim17ROCPRIM_400000_NS6detail17trampoline_kernelINS0_14default_configENS1_25partition_config_selectorILNS1_17partition_subalgoE9EllbEEZZNS1_14partition_implILS5_9ELb0ES3_jPlS8_PNS0_10empty_typeENS0_5tupleIJS8_S9_EEENSB_IJS8_SA_EEENS0_18inequality_wrapperIZN2at6native12_GLOBAL__N_124unique_dim_cuda_templateIlEESt5tupleIJNSF_6TensorESK_SK_EERKSK_lbbbEUlllE0_EEPmJS9_EEE10hipError_tPvRmT3_T4_T5_T6_T7_T9_mT8_P12ihipStream_tbDpT10_ENKUlT_T0_E_clISt17integral_constantIbLb1EES19_IbLb0EEEEDaS15_S16_EUlS15_E_NS1_11comp_targetILNS1_3genE9ELNS1_11target_archE1100ELNS1_3gpuE3ELNS1_3repE0EEENS1_30default_config_static_selectorELNS0_4arch9wavefront6targetE0EEEvT1_.kd
    .uniform_work_group_size: 1
    .uses_dynamic_stack: false
    .vgpr_count:     0
    .vgpr_spill_count: 0
    .wavefront_size: 32
  - .args:
      - .offset:         0
        .size:           120
        .value_kind:     by_value
    .group_segment_fixed_size: 0
    .kernarg_segment_align: 8
    .kernarg_segment_size: 120
    .language:       OpenCL C
    .language_version:
      - 2
      - 0
    .max_flat_workgroup_size: 512
    .name:           _ZN7rocprim17ROCPRIM_400000_NS6detail17trampoline_kernelINS0_14default_configENS1_25partition_config_selectorILNS1_17partition_subalgoE9EllbEEZZNS1_14partition_implILS5_9ELb0ES3_jPlS8_PNS0_10empty_typeENS0_5tupleIJS8_S9_EEENSB_IJS8_SA_EEENS0_18inequality_wrapperIZN2at6native12_GLOBAL__N_124unique_dim_cuda_templateIlEESt5tupleIJNSF_6TensorESK_SK_EERKSK_lbbbEUlllE0_EEPmJS9_EEE10hipError_tPvRmT3_T4_T5_T6_T7_T9_mT8_P12ihipStream_tbDpT10_ENKUlT_T0_E_clISt17integral_constantIbLb1EES19_IbLb0EEEEDaS15_S16_EUlS15_E_NS1_11comp_targetILNS1_3genE8ELNS1_11target_archE1030ELNS1_3gpuE2ELNS1_3repE0EEENS1_30default_config_static_selectorELNS0_4arch9wavefront6targetE0EEEvT1_
    .private_segment_fixed_size: 0
    .sgpr_count:     0
    .sgpr_spill_count: 0
    .symbol:         _ZN7rocprim17ROCPRIM_400000_NS6detail17trampoline_kernelINS0_14default_configENS1_25partition_config_selectorILNS1_17partition_subalgoE9EllbEEZZNS1_14partition_implILS5_9ELb0ES3_jPlS8_PNS0_10empty_typeENS0_5tupleIJS8_S9_EEENSB_IJS8_SA_EEENS0_18inequality_wrapperIZN2at6native12_GLOBAL__N_124unique_dim_cuda_templateIlEESt5tupleIJNSF_6TensorESK_SK_EERKSK_lbbbEUlllE0_EEPmJS9_EEE10hipError_tPvRmT3_T4_T5_T6_T7_T9_mT8_P12ihipStream_tbDpT10_ENKUlT_T0_E_clISt17integral_constantIbLb1EES19_IbLb0EEEEDaS15_S16_EUlS15_E_NS1_11comp_targetILNS1_3genE8ELNS1_11target_archE1030ELNS1_3gpuE2ELNS1_3repE0EEENS1_30default_config_static_selectorELNS0_4arch9wavefront6targetE0EEEvT1_.kd
    .uniform_work_group_size: 1
    .uses_dynamic_stack: false
    .vgpr_count:     0
    .vgpr_spill_count: 0
    .wavefront_size: 32
  - .args:
      - .offset:         0
        .size:           136
        .value_kind:     by_value
    .group_segment_fixed_size: 5128
    .kernarg_segment_align: 8
    .kernarg_segment_size: 136
    .language:       OpenCL C
    .language_version:
      - 2
      - 0
    .max_flat_workgroup_size: 128
    .name:           _ZN7rocprim17ROCPRIM_400000_NS6detail17trampoline_kernelINS0_14default_configENS1_25partition_config_selectorILNS1_17partition_subalgoE9EllbEEZZNS1_14partition_implILS5_9ELb0ES3_jPlS8_PNS0_10empty_typeENS0_5tupleIJS8_S9_EEENSB_IJS8_SA_EEENS0_18inequality_wrapperIZN2at6native12_GLOBAL__N_124unique_dim_cuda_templateIlEESt5tupleIJNSF_6TensorESK_SK_EERKSK_lbbbEUlllE0_EEPmJS9_EEE10hipError_tPvRmT3_T4_T5_T6_T7_T9_mT8_P12ihipStream_tbDpT10_ENKUlT_T0_E_clISt17integral_constantIbLb0EES19_IbLb1EEEEDaS15_S16_EUlS15_E_NS1_11comp_targetILNS1_3genE0ELNS1_11target_archE4294967295ELNS1_3gpuE0ELNS1_3repE0EEENS1_30default_config_static_selectorELNS0_4arch9wavefront6targetE0EEEvT1_
    .private_segment_fixed_size: 0
    .sgpr_count:     38
    .sgpr_spill_count: 0
    .symbol:         _ZN7rocprim17ROCPRIM_400000_NS6detail17trampoline_kernelINS0_14default_configENS1_25partition_config_selectorILNS1_17partition_subalgoE9EllbEEZZNS1_14partition_implILS5_9ELb0ES3_jPlS8_PNS0_10empty_typeENS0_5tupleIJS8_S9_EEENSB_IJS8_SA_EEENS0_18inequality_wrapperIZN2at6native12_GLOBAL__N_124unique_dim_cuda_templateIlEESt5tupleIJNSF_6TensorESK_SK_EERKSK_lbbbEUlllE0_EEPmJS9_EEE10hipError_tPvRmT3_T4_T5_T6_T7_T9_mT8_P12ihipStream_tbDpT10_ENKUlT_T0_E_clISt17integral_constantIbLb0EES19_IbLb1EEEEDaS15_S16_EUlS15_E_NS1_11comp_targetILNS1_3genE0ELNS1_11target_archE4294967295ELNS1_3gpuE0ELNS1_3repE0EEENS1_30default_config_static_selectorELNS0_4arch9wavefront6targetE0EEEvT1_.kd
    .uniform_work_group_size: 1
    .uses_dynamic_stack: false
    .vgpr_count:     55
    .vgpr_spill_count: 0
    .wavefront_size: 32
  - .args:
      - .offset:         0
        .size:           136
        .value_kind:     by_value
    .group_segment_fixed_size: 0
    .kernarg_segment_align: 8
    .kernarg_segment_size: 136
    .language:       OpenCL C
    .language_version:
      - 2
      - 0
    .max_flat_workgroup_size: 512
    .name:           _ZN7rocprim17ROCPRIM_400000_NS6detail17trampoline_kernelINS0_14default_configENS1_25partition_config_selectorILNS1_17partition_subalgoE9EllbEEZZNS1_14partition_implILS5_9ELb0ES3_jPlS8_PNS0_10empty_typeENS0_5tupleIJS8_S9_EEENSB_IJS8_SA_EEENS0_18inequality_wrapperIZN2at6native12_GLOBAL__N_124unique_dim_cuda_templateIlEESt5tupleIJNSF_6TensorESK_SK_EERKSK_lbbbEUlllE0_EEPmJS9_EEE10hipError_tPvRmT3_T4_T5_T6_T7_T9_mT8_P12ihipStream_tbDpT10_ENKUlT_T0_E_clISt17integral_constantIbLb0EES19_IbLb1EEEEDaS15_S16_EUlS15_E_NS1_11comp_targetILNS1_3genE5ELNS1_11target_archE942ELNS1_3gpuE9ELNS1_3repE0EEENS1_30default_config_static_selectorELNS0_4arch9wavefront6targetE0EEEvT1_
    .private_segment_fixed_size: 0
    .sgpr_count:     0
    .sgpr_spill_count: 0
    .symbol:         _ZN7rocprim17ROCPRIM_400000_NS6detail17trampoline_kernelINS0_14default_configENS1_25partition_config_selectorILNS1_17partition_subalgoE9EllbEEZZNS1_14partition_implILS5_9ELb0ES3_jPlS8_PNS0_10empty_typeENS0_5tupleIJS8_S9_EEENSB_IJS8_SA_EEENS0_18inequality_wrapperIZN2at6native12_GLOBAL__N_124unique_dim_cuda_templateIlEESt5tupleIJNSF_6TensorESK_SK_EERKSK_lbbbEUlllE0_EEPmJS9_EEE10hipError_tPvRmT3_T4_T5_T6_T7_T9_mT8_P12ihipStream_tbDpT10_ENKUlT_T0_E_clISt17integral_constantIbLb0EES19_IbLb1EEEEDaS15_S16_EUlS15_E_NS1_11comp_targetILNS1_3genE5ELNS1_11target_archE942ELNS1_3gpuE9ELNS1_3repE0EEENS1_30default_config_static_selectorELNS0_4arch9wavefront6targetE0EEEvT1_.kd
    .uniform_work_group_size: 1
    .uses_dynamic_stack: false
    .vgpr_count:     0
    .vgpr_spill_count: 0
    .wavefront_size: 32
  - .args:
      - .offset:         0
        .size:           136
        .value_kind:     by_value
    .group_segment_fixed_size: 0
    .kernarg_segment_align: 8
    .kernarg_segment_size: 136
    .language:       OpenCL C
    .language_version:
      - 2
      - 0
    .max_flat_workgroup_size: 128
    .name:           _ZN7rocprim17ROCPRIM_400000_NS6detail17trampoline_kernelINS0_14default_configENS1_25partition_config_selectorILNS1_17partition_subalgoE9EllbEEZZNS1_14partition_implILS5_9ELb0ES3_jPlS8_PNS0_10empty_typeENS0_5tupleIJS8_S9_EEENSB_IJS8_SA_EEENS0_18inequality_wrapperIZN2at6native12_GLOBAL__N_124unique_dim_cuda_templateIlEESt5tupleIJNSF_6TensorESK_SK_EERKSK_lbbbEUlllE0_EEPmJS9_EEE10hipError_tPvRmT3_T4_T5_T6_T7_T9_mT8_P12ihipStream_tbDpT10_ENKUlT_T0_E_clISt17integral_constantIbLb0EES19_IbLb1EEEEDaS15_S16_EUlS15_E_NS1_11comp_targetILNS1_3genE4ELNS1_11target_archE910ELNS1_3gpuE8ELNS1_3repE0EEENS1_30default_config_static_selectorELNS0_4arch9wavefront6targetE0EEEvT1_
    .private_segment_fixed_size: 0
    .sgpr_count:     0
    .sgpr_spill_count: 0
    .symbol:         _ZN7rocprim17ROCPRIM_400000_NS6detail17trampoline_kernelINS0_14default_configENS1_25partition_config_selectorILNS1_17partition_subalgoE9EllbEEZZNS1_14partition_implILS5_9ELb0ES3_jPlS8_PNS0_10empty_typeENS0_5tupleIJS8_S9_EEENSB_IJS8_SA_EEENS0_18inequality_wrapperIZN2at6native12_GLOBAL__N_124unique_dim_cuda_templateIlEESt5tupleIJNSF_6TensorESK_SK_EERKSK_lbbbEUlllE0_EEPmJS9_EEE10hipError_tPvRmT3_T4_T5_T6_T7_T9_mT8_P12ihipStream_tbDpT10_ENKUlT_T0_E_clISt17integral_constantIbLb0EES19_IbLb1EEEEDaS15_S16_EUlS15_E_NS1_11comp_targetILNS1_3genE4ELNS1_11target_archE910ELNS1_3gpuE8ELNS1_3repE0EEENS1_30default_config_static_selectorELNS0_4arch9wavefront6targetE0EEEvT1_.kd
    .uniform_work_group_size: 1
    .uses_dynamic_stack: false
    .vgpr_count:     0
    .vgpr_spill_count: 0
    .wavefront_size: 32
  - .args:
      - .offset:         0
        .size:           136
        .value_kind:     by_value
    .group_segment_fixed_size: 0
    .kernarg_segment_align: 8
    .kernarg_segment_size: 136
    .language:       OpenCL C
    .language_version:
      - 2
      - 0
    .max_flat_workgroup_size: 128
    .name:           _ZN7rocprim17ROCPRIM_400000_NS6detail17trampoline_kernelINS0_14default_configENS1_25partition_config_selectorILNS1_17partition_subalgoE9EllbEEZZNS1_14partition_implILS5_9ELb0ES3_jPlS8_PNS0_10empty_typeENS0_5tupleIJS8_S9_EEENSB_IJS8_SA_EEENS0_18inequality_wrapperIZN2at6native12_GLOBAL__N_124unique_dim_cuda_templateIlEESt5tupleIJNSF_6TensorESK_SK_EERKSK_lbbbEUlllE0_EEPmJS9_EEE10hipError_tPvRmT3_T4_T5_T6_T7_T9_mT8_P12ihipStream_tbDpT10_ENKUlT_T0_E_clISt17integral_constantIbLb0EES19_IbLb1EEEEDaS15_S16_EUlS15_E_NS1_11comp_targetILNS1_3genE3ELNS1_11target_archE908ELNS1_3gpuE7ELNS1_3repE0EEENS1_30default_config_static_selectorELNS0_4arch9wavefront6targetE0EEEvT1_
    .private_segment_fixed_size: 0
    .sgpr_count:     0
    .sgpr_spill_count: 0
    .symbol:         _ZN7rocprim17ROCPRIM_400000_NS6detail17trampoline_kernelINS0_14default_configENS1_25partition_config_selectorILNS1_17partition_subalgoE9EllbEEZZNS1_14partition_implILS5_9ELb0ES3_jPlS8_PNS0_10empty_typeENS0_5tupleIJS8_S9_EEENSB_IJS8_SA_EEENS0_18inequality_wrapperIZN2at6native12_GLOBAL__N_124unique_dim_cuda_templateIlEESt5tupleIJNSF_6TensorESK_SK_EERKSK_lbbbEUlllE0_EEPmJS9_EEE10hipError_tPvRmT3_T4_T5_T6_T7_T9_mT8_P12ihipStream_tbDpT10_ENKUlT_T0_E_clISt17integral_constantIbLb0EES19_IbLb1EEEEDaS15_S16_EUlS15_E_NS1_11comp_targetILNS1_3genE3ELNS1_11target_archE908ELNS1_3gpuE7ELNS1_3repE0EEENS1_30default_config_static_selectorELNS0_4arch9wavefront6targetE0EEEvT1_.kd
    .uniform_work_group_size: 1
    .uses_dynamic_stack: false
    .vgpr_count:     0
    .vgpr_spill_count: 0
    .wavefront_size: 32
  - .args:
      - .offset:         0
        .size:           136
        .value_kind:     by_value
    .group_segment_fixed_size: 0
    .kernarg_segment_align: 8
    .kernarg_segment_size: 136
    .language:       OpenCL C
    .language_version:
      - 2
      - 0
    .max_flat_workgroup_size: 192
    .name:           _ZN7rocprim17ROCPRIM_400000_NS6detail17trampoline_kernelINS0_14default_configENS1_25partition_config_selectorILNS1_17partition_subalgoE9EllbEEZZNS1_14partition_implILS5_9ELb0ES3_jPlS8_PNS0_10empty_typeENS0_5tupleIJS8_S9_EEENSB_IJS8_SA_EEENS0_18inequality_wrapperIZN2at6native12_GLOBAL__N_124unique_dim_cuda_templateIlEESt5tupleIJNSF_6TensorESK_SK_EERKSK_lbbbEUlllE0_EEPmJS9_EEE10hipError_tPvRmT3_T4_T5_T6_T7_T9_mT8_P12ihipStream_tbDpT10_ENKUlT_T0_E_clISt17integral_constantIbLb0EES19_IbLb1EEEEDaS15_S16_EUlS15_E_NS1_11comp_targetILNS1_3genE2ELNS1_11target_archE906ELNS1_3gpuE6ELNS1_3repE0EEENS1_30default_config_static_selectorELNS0_4arch9wavefront6targetE0EEEvT1_
    .private_segment_fixed_size: 0
    .sgpr_count:     0
    .sgpr_spill_count: 0
    .symbol:         _ZN7rocprim17ROCPRIM_400000_NS6detail17trampoline_kernelINS0_14default_configENS1_25partition_config_selectorILNS1_17partition_subalgoE9EllbEEZZNS1_14partition_implILS5_9ELb0ES3_jPlS8_PNS0_10empty_typeENS0_5tupleIJS8_S9_EEENSB_IJS8_SA_EEENS0_18inequality_wrapperIZN2at6native12_GLOBAL__N_124unique_dim_cuda_templateIlEESt5tupleIJNSF_6TensorESK_SK_EERKSK_lbbbEUlllE0_EEPmJS9_EEE10hipError_tPvRmT3_T4_T5_T6_T7_T9_mT8_P12ihipStream_tbDpT10_ENKUlT_T0_E_clISt17integral_constantIbLb0EES19_IbLb1EEEEDaS15_S16_EUlS15_E_NS1_11comp_targetILNS1_3genE2ELNS1_11target_archE906ELNS1_3gpuE6ELNS1_3repE0EEENS1_30default_config_static_selectorELNS0_4arch9wavefront6targetE0EEEvT1_.kd
    .uniform_work_group_size: 1
    .uses_dynamic_stack: false
    .vgpr_count:     0
    .vgpr_spill_count: 0
    .wavefront_size: 32
  - .args:
      - .offset:         0
        .size:           136
        .value_kind:     by_value
    .group_segment_fixed_size: 0
    .kernarg_segment_align: 8
    .kernarg_segment_size: 136
    .language:       OpenCL C
    .language_version:
      - 2
      - 0
    .max_flat_workgroup_size: 384
    .name:           _ZN7rocprim17ROCPRIM_400000_NS6detail17trampoline_kernelINS0_14default_configENS1_25partition_config_selectorILNS1_17partition_subalgoE9EllbEEZZNS1_14partition_implILS5_9ELb0ES3_jPlS8_PNS0_10empty_typeENS0_5tupleIJS8_S9_EEENSB_IJS8_SA_EEENS0_18inequality_wrapperIZN2at6native12_GLOBAL__N_124unique_dim_cuda_templateIlEESt5tupleIJNSF_6TensorESK_SK_EERKSK_lbbbEUlllE0_EEPmJS9_EEE10hipError_tPvRmT3_T4_T5_T6_T7_T9_mT8_P12ihipStream_tbDpT10_ENKUlT_T0_E_clISt17integral_constantIbLb0EES19_IbLb1EEEEDaS15_S16_EUlS15_E_NS1_11comp_targetILNS1_3genE10ELNS1_11target_archE1200ELNS1_3gpuE4ELNS1_3repE0EEENS1_30default_config_static_selectorELNS0_4arch9wavefront6targetE0EEEvT1_
    .private_segment_fixed_size: 0
    .sgpr_count:     0
    .sgpr_spill_count: 0
    .symbol:         _ZN7rocprim17ROCPRIM_400000_NS6detail17trampoline_kernelINS0_14default_configENS1_25partition_config_selectorILNS1_17partition_subalgoE9EllbEEZZNS1_14partition_implILS5_9ELb0ES3_jPlS8_PNS0_10empty_typeENS0_5tupleIJS8_S9_EEENSB_IJS8_SA_EEENS0_18inequality_wrapperIZN2at6native12_GLOBAL__N_124unique_dim_cuda_templateIlEESt5tupleIJNSF_6TensorESK_SK_EERKSK_lbbbEUlllE0_EEPmJS9_EEE10hipError_tPvRmT3_T4_T5_T6_T7_T9_mT8_P12ihipStream_tbDpT10_ENKUlT_T0_E_clISt17integral_constantIbLb0EES19_IbLb1EEEEDaS15_S16_EUlS15_E_NS1_11comp_targetILNS1_3genE10ELNS1_11target_archE1200ELNS1_3gpuE4ELNS1_3repE0EEENS1_30default_config_static_selectorELNS0_4arch9wavefront6targetE0EEEvT1_.kd
    .uniform_work_group_size: 1
    .uses_dynamic_stack: false
    .vgpr_count:     0
    .vgpr_spill_count: 0
    .wavefront_size: 32
  - .args:
      - .offset:         0
        .size:           136
        .value_kind:     by_value
    .group_segment_fixed_size: 0
    .kernarg_segment_align: 8
    .kernarg_segment_size: 136
    .language:       OpenCL C
    .language_version:
      - 2
      - 0
    .max_flat_workgroup_size: 512
    .name:           _ZN7rocprim17ROCPRIM_400000_NS6detail17trampoline_kernelINS0_14default_configENS1_25partition_config_selectorILNS1_17partition_subalgoE9EllbEEZZNS1_14partition_implILS5_9ELb0ES3_jPlS8_PNS0_10empty_typeENS0_5tupleIJS8_S9_EEENSB_IJS8_SA_EEENS0_18inequality_wrapperIZN2at6native12_GLOBAL__N_124unique_dim_cuda_templateIlEESt5tupleIJNSF_6TensorESK_SK_EERKSK_lbbbEUlllE0_EEPmJS9_EEE10hipError_tPvRmT3_T4_T5_T6_T7_T9_mT8_P12ihipStream_tbDpT10_ENKUlT_T0_E_clISt17integral_constantIbLb0EES19_IbLb1EEEEDaS15_S16_EUlS15_E_NS1_11comp_targetILNS1_3genE9ELNS1_11target_archE1100ELNS1_3gpuE3ELNS1_3repE0EEENS1_30default_config_static_selectorELNS0_4arch9wavefront6targetE0EEEvT1_
    .private_segment_fixed_size: 0
    .sgpr_count:     0
    .sgpr_spill_count: 0
    .symbol:         _ZN7rocprim17ROCPRIM_400000_NS6detail17trampoline_kernelINS0_14default_configENS1_25partition_config_selectorILNS1_17partition_subalgoE9EllbEEZZNS1_14partition_implILS5_9ELb0ES3_jPlS8_PNS0_10empty_typeENS0_5tupleIJS8_S9_EEENSB_IJS8_SA_EEENS0_18inequality_wrapperIZN2at6native12_GLOBAL__N_124unique_dim_cuda_templateIlEESt5tupleIJNSF_6TensorESK_SK_EERKSK_lbbbEUlllE0_EEPmJS9_EEE10hipError_tPvRmT3_T4_T5_T6_T7_T9_mT8_P12ihipStream_tbDpT10_ENKUlT_T0_E_clISt17integral_constantIbLb0EES19_IbLb1EEEEDaS15_S16_EUlS15_E_NS1_11comp_targetILNS1_3genE9ELNS1_11target_archE1100ELNS1_3gpuE3ELNS1_3repE0EEENS1_30default_config_static_selectorELNS0_4arch9wavefront6targetE0EEEvT1_.kd
    .uniform_work_group_size: 1
    .uses_dynamic_stack: false
    .vgpr_count:     0
    .vgpr_spill_count: 0
    .wavefront_size: 32
  - .args:
      - .offset:         0
        .size:           136
        .value_kind:     by_value
    .group_segment_fixed_size: 0
    .kernarg_segment_align: 8
    .kernarg_segment_size: 136
    .language:       OpenCL C
    .language_version:
      - 2
      - 0
    .max_flat_workgroup_size: 512
    .name:           _ZN7rocprim17ROCPRIM_400000_NS6detail17trampoline_kernelINS0_14default_configENS1_25partition_config_selectorILNS1_17partition_subalgoE9EllbEEZZNS1_14partition_implILS5_9ELb0ES3_jPlS8_PNS0_10empty_typeENS0_5tupleIJS8_S9_EEENSB_IJS8_SA_EEENS0_18inequality_wrapperIZN2at6native12_GLOBAL__N_124unique_dim_cuda_templateIlEESt5tupleIJNSF_6TensorESK_SK_EERKSK_lbbbEUlllE0_EEPmJS9_EEE10hipError_tPvRmT3_T4_T5_T6_T7_T9_mT8_P12ihipStream_tbDpT10_ENKUlT_T0_E_clISt17integral_constantIbLb0EES19_IbLb1EEEEDaS15_S16_EUlS15_E_NS1_11comp_targetILNS1_3genE8ELNS1_11target_archE1030ELNS1_3gpuE2ELNS1_3repE0EEENS1_30default_config_static_selectorELNS0_4arch9wavefront6targetE0EEEvT1_
    .private_segment_fixed_size: 0
    .sgpr_count:     0
    .sgpr_spill_count: 0
    .symbol:         _ZN7rocprim17ROCPRIM_400000_NS6detail17trampoline_kernelINS0_14default_configENS1_25partition_config_selectorILNS1_17partition_subalgoE9EllbEEZZNS1_14partition_implILS5_9ELb0ES3_jPlS8_PNS0_10empty_typeENS0_5tupleIJS8_S9_EEENSB_IJS8_SA_EEENS0_18inequality_wrapperIZN2at6native12_GLOBAL__N_124unique_dim_cuda_templateIlEESt5tupleIJNSF_6TensorESK_SK_EERKSK_lbbbEUlllE0_EEPmJS9_EEE10hipError_tPvRmT3_T4_T5_T6_T7_T9_mT8_P12ihipStream_tbDpT10_ENKUlT_T0_E_clISt17integral_constantIbLb0EES19_IbLb1EEEEDaS15_S16_EUlS15_E_NS1_11comp_targetILNS1_3genE8ELNS1_11target_archE1030ELNS1_3gpuE2ELNS1_3repE0EEENS1_30default_config_static_selectorELNS0_4arch9wavefront6targetE0EEEvT1_.kd
    .uniform_work_group_size: 1
    .uses_dynamic_stack: false
    .vgpr_count:     0
    .vgpr_spill_count: 0
    .wavefront_size: 32
  - .args:
      - .offset:         0
        .size:           72
        .value_kind:     by_value
      - .offset:         72
        .size:           4
        .value_kind:     hidden_block_count_x
      - .offset:         76
        .size:           4
        .value_kind:     hidden_block_count_y
      - .offset:         80
        .size:           4
        .value_kind:     hidden_block_count_z
      - .offset:         84
        .size:           2
        .value_kind:     hidden_group_size_x
      - .offset:         86
        .size:           2
        .value_kind:     hidden_group_size_y
      - .offset:         88
        .size:           2
        .value_kind:     hidden_group_size_z
      - .offset:         90
        .size:           2
        .value_kind:     hidden_remainder_x
      - .offset:         92
        .size:           2
        .value_kind:     hidden_remainder_y
      - .offset:         94
        .size:           2
        .value_kind:     hidden_remainder_z
      - .offset:         112
        .size:           8
        .value_kind:     hidden_global_offset_x
      - .offset:         120
        .size:           8
        .value_kind:     hidden_global_offset_y
      - .offset:         128
        .size:           8
        .value_kind:     hidden_global_offset_z
      - .offset:         136
        .size:           2
        .value_kind:     hidden_grid_dims
    .group_segment_fixed_size: 16896
    .kernarg_segment_align: 8
    .kernarg_segment_size: 328
    .language:       OpenCL C
    .language_version:
      - 2
      - 0
    .max_flat_workgroup_size: 256
    .name:           _ZN7rocprim17ROCPRIM_400000_NS6detail17trampoline_kernelINS0_14default_configENS1_37merge_sort_block_sort_config_selectorIlNS0_10empty_typeEEEZNS1_21merge_sort_block_sortIS3_PlS8_PS5_S9_ZN2at6native12_GLOBAL__N_124unique_dim_cuda_templateIsEESt5tupleIJNSA_6TensorESF_SF_EERKSF_lbbbEUlllE_EE10hipError_tT0_T1_T2_T3_mRjT4_P12ihipStream_tbNS1_7vsmem_tEEUlT_E_NS1_11comp_targetILNS1_3genE0ELNS1_11target_archE4294967295ELNS1_3gpuE0ELNS1_3repE0EEENS1_30default_config_static_selectorELNS0_4arch9wavefront6targetE0EEEvSM_
    .private_segment_fixed_size: 0
    .sgpr_count:     41
    .sgpr_spill_count: 0
    .symbol:         _ZN7rocprim17ROCPRIM_400000_NS6detail17trampoline_kernelINS0_14default_configENS1_37merge_sort_block_sort_config_selectorIlNS0_10empty_typeEEEZNS1_21merge_sort_block_sortIS3_PlS8_PS5_S9_ZN2at6native12_GLOBAL__N_124unique_dim_cuda_templateIsEESt5tupleIJNSA_6TensorESF_SF_EERKSF_lbbbEUlllE_EE10hipError_tT0_T1_T2_T3_mRjT4_P12ihipStream_tbNS1_7vsmem_tEEUlT_E_NS1_11comp_targetILNS1_3genE0ELNS1_11target_archE4294967295ELNS1_3gpuE0ELNS1_3repE0EEENS1_30default_config_static_selectorELNS0_4arch9wavefront6targetE0EEEvSM_.kd
    .uniform_work_group_size: 1
    .uses_dynamic_stack: false
    .vgpr_count:     56
    .vgpr_spill_count: 0
    .wavefront_size: 32
  - .args:
      - .offset:         0
        .size:           72
        .value_kind:     by_value
    .group_segment_fixed_size: 0
    .kernarg_segment_align: 8
    .kernarg_segment_size: 72
    .language:       OpenCL C
    .language_version:
      - 2
      - 0
    .max_flat_workgroup_size: 256
    .name:           _ZN7rocprim17ROCPRIM_400000_NS6detail17trampoline_kernelINS0_14default_configENS1_37merge_sort_block_sort_config_selectorIlNS0_10empty_typeEEEZNS1_21merge_sort_block_sortIS3_PlS8_PS5_S9_ZN2at6native12_GLOBAL__N_124unique_dim_cuda_templateIsEESt5tupleIJNSA_6TensorESF_SF_EERKSF_lbbbEUlllE_EE10hipError_tT0_T1_T2_T3_mRjT4_P12ihipStream_tbNS1_7vsmem_tEEUlT_E_NS1_11comp_targetILNS1_3genE5ELNS1_11target_archE942ELNS1_3gpuE9ELNS1_3repE0EEENS1_30default_config_static_selectorELNS0_4arch9wavefront6targetE0EEEvSM_
    .private_segment_fixed_size: 0
    .sgpr_count:     0
    .sgpr_spill_count: 0
    .symbol:         _ZN7rocprim17ROCPRIM_400000_NS6detail17trampoline_kernelINS0_14default_configENS1_37merge_sort_block_sort_config_selectorIlNS0_10empty_typeEEEZNS1_21merge_sort_block_sortIS3_PlS8_PS5_S9_ZN2at6native12_GLOBAL__N_124unique_dim_cuda_templateIsEESt5tupleIJNSA_6TensorESF_SF_EERKSF_lbbbEUlllE_EE10hipError_tT0_T1_T2_T3_mRjT4_P12ihipStream_tbNS1_7vsmem_tEEUlT_E_NS1_11comp_targetILNS1_3genE5ELNS1_11target_archE942ELNS1_3gpuE9ELNS1_3repE0EEENS1_30default_config_static_selectorELNS0_4arch9wavefront6targetE0EEEvSM_.kd
    .uniform_work_group_size: 1
    .uses_dynamic_stack: false
    .vgpr_count:     0
    .vgpr_spill_count: 0
    .wavefront_size: 32
  - .args:
      - .offset:         0
        .size:           72
        .value_kind:     by_value
    .group_segment_fixed_size: 0
    .kernarg_segment_align: 8
    .kernarg_segment_size: 72
    .language:       OpenCL C
    .language_version:
      - 2
      - 0
    .max_flat_workgroup_size: 256
    .name:           _ZN7rocprim17ROCPRIM_400000_NS6detail17trampoline_kernelINS0_14default_configENS1_37merge_sort_block_sort_config_selectorIlNS0_10empty_typeEEEZNS1_21merge_sort_block_sortIS3_PlS8_PS5_S9_ZN2at6native12_GLOBAL__N_124unique_dim_cuda_templateIsEESt5tupleIJNSA_6TensorESF_SF_EERKSF_lbbbEUlllE_EE10hipError_tT0_T1_T2_T3_mRjT4_P12ihipStream_tbNS1_7vsmem_tEEUlT_E_NS1_11comp_targetILNS1_3genE4ELNS1_11target_archE910ELNS1_3gpuE8ELNS1_3repE0EEENS1_30default_config_static_selectorELNS0_4arch9wavefront6targetE0EEEvSM_
    .private_segment_fixed_size: 0
    .sgpr_count:     0
    .sgpr_spill_count: 0
    .symbol:         _ZN7rocprim17ROCPRIM_400000_NS6detail17trampoline_kernelINS0_14default_configENS1_37merge_sort_block_sort_config_selectorIlNS0_10empty_typeEEEZNS1_21merge_sort_block_sortIS3_PlS8_PS5_S9_ZN2at6native12_GLOBAL__N_124unique_dim_cuda_templateIsEESt5tupleIJNSA_6TensorESF_SF_EERKSF_lbbbEUlllE_EE10hipError_tT0_T1_T2_T3_mRjT4_P12ihipStream_tbNS1_7vsmem_tEEUlT_E_NS1_11comp_targetILNS1_3genE4ELNS1_11target_archE910ELNS1_3gpuE8ELNS1_3repE0EEENS1_30default_config_static_selectorELNS0_4arch9wavefront6targetE0EEEvSM_.kd
    .uniform_work_group_size: 1
    .uses_dynamic_stack: false
    .vgpr_count:     0
    .vgpr_spill_count: 0
    .wavefront_size: 32
  - .args:
      - .offset:         0
        .size:           72
        .value_kind:     by_value
    .group_segment_fixed_size: 0
    .kernarg_segment_align: 8
    .kernarg_segment_size: 72
    .language:       OpenCL C
    .language_version:
      - 2
      - 0
    .max_flat_workgroup_size: 256
    .name:           _ZN7rocprim17ROCPRIM_400000_NS6detail17trampoline_kernelINS0_14default_configENS1_37merge_sort_block_sort_config_selectorIlNS0_10empty_typeEEEZNS1_21merge_sort_block_sortIS3_PlS8_PS5_S9_ZN2at6native12_GLOBAL__N_124unique_dim_cuda_templateIsEESt5tupleIJNSA_6TensorESF_SF_EERKSF_lbbbEUlllE_EE10hipError_tT0_T1_T2_T3_mRjT4_P12ihipStream_tbNS1_7vsmem_tEEUlT_E_NS1_11comp_targetILNS1_3genE3ELNS1_11target_archE908ELNS1_3gpuE7ELNS1_3repE0EEENS1_30default_config_static_selectorELNS0_4arch9wavefront6targetE0EEEvSM_
    .private_segment_fixed_size: 0
    .sgpr_count:     0
    .sgpr_spill_count: 0
    .symbol:         _ZN7rocprim17ROCPRIM_400000_NS6detail17trampoline_kernelINS0_14default_configENS1_37merge_sort_block_sort_config_selectorIlNS0_10empty_typeEEEZNS1_21merge_sort_block_sortIS3_PlS8_PS5_S9_ZN2at6native12_GLOBAL__N_124unique_dim_cuda_templateIsEESt5tupleIJNSA_6TensorESF_SF_EERKSF_lbbbEUlllE_EE10hipError_tT0_T1_T2_T3_mRjT4_P12ihipStream_tbNS1_7vsmem_tEEUlT_E_NS1_11comp_targetILNS1_3genE3ELNS1_11target_archE908ELNS1_3gpuE7ELNS1_3repE0EEENS1_30default_config_static_selectorELNS0_4arch9wavefront6targetE0EEEvSM_.kd
    .uniform_work_group_size: 1
    .uses_dynamic_stack: false
    .vgpr_count:     0
    .vgpr_spill_count: 0
    .wavefront_size: 32
  - .args:
      - .offset:         0
        .size:           72
        .value_kind:     by_value
    .group_segment_fixed_size: 0
    .kernarg_segment_align: 8
    .kernarg_segment_size: 72
    .language:       OpenCL C
    .language_version:
      - 2
      - 0
    .max_flat_workgroup_size: 256
    .name:           _ZN7rocprim17ROCPRIM_400000_NS6detail17trampoline_kernelINS0_14default_configENS1_37merge_sort_block_sort_config_selectorIlNS0_10empty_typeEEEZNS1_21merge_sort_block_sortIS3_PlS8_PS5_S9_ZN2at6native12_GLOBAL__N_124unique_dim_cuda_templateIsEESt5tupleIJNSA_6TensorESF_SF_EERKSF_lbbbEUlllE_EE10hipError_tT0_T1_T2_T3_mRjT4_P12ihipStream_tbNS1_7vsmem_tEEUlT_E_NS1_11comp_targetILNS1_3genE2ELNS1_11target_archE906ELNS1_3gpuE6ELNS1_3repE0EEENS1_30default_config_static_selectorELNS0_4arch9wavefront6targetE0EEEvSM_
    .private_segment_fixed_size: 0
    .sgpr_count:     0
    .sgpr_spill_count: 0
    .symbol:         _ZN7rocprim17ROCPRIM_400000_NS6detail17trampoline_kernelINS0_14default_configENS1_37merge_sort_block_sort_config_selectorIlNS0_10empty_typeEEEZNS1_21merge_sort_block_sortIS3_PlS8_PS5_S9_ZN2at6native12_GLOBAL__N_124unique_dim_cuda_templateIsEESt5tupleIJNSA_6TensorESF_SF_EERKSF_lbbbEUlllE_EE10hipError_tT0_T1_T2_T3_mRjT4_P12ihipStream_tbNS1_7vsmem_tEEUlT_E_NS1_11comp_targetILNS1_3genE2ELNS1_11target_archE906ELNS1_3gpuE6ELNS1_3repE0EEENS1_30default_config_static_selectorELNS0_4arch9wavefront6targetE0EEEvSM_.kd
    .uniform_work_group_size: 1
    .uses_dynamic_stack: false
    .vgpr_count:     0
    .vgpr_spill_count: 0
    .wavefront_size: 32
  - .args:
      - .offset:         0
        .size:           72
        .value_kind:     by_value
    .group_segment_fixed_size: 0
    .kernarg_segment_align: 8
    .kernarg_segment_size: 72
    .language:       OpenCL C
    .language_version:
      - 2
      - 0
    .max_flat_workgroup_size: 256
    .name:           _ZN7rocprim17ROCPRIM_400000_NS6detail17trampoline_kernelINS0_14default_configENS1_37merge_sort_block_sort_config_selectorIlNS0_10empty_typeEEEZNS1_21merge_sort_block_sortIS3_PlS8_PS5_S9_ZN2at6native12_GLOBAL__N_124unique_dim_cuda_templateIsEESt5tupleIJNSA_6TensorESF_SF_EERKSF_lbbbEUlllE_EE10hipError_tT0_T1_T2_T3_mRjT4_P12ihipStream_tbNS1_7vsmem_tEEUlT_E_NS1_11comp_targetILNS1_3genE10ELNS1_11target_archE1201ELNS1_3gpuE5ELNS1_3repE0EEENS1_30default_config_static_selectorELNS0_4arch9wavefront6targetE0EEEvSM_
    .private_segment_fixed_size: 0
    .sgpr_count:     0
    .sgpr_spill_count: 0
    .symbol:         _ZN7rocprim17ROCPRIM_400000_NS6detail17trampoline_kernelINS0_14default_configENS1_37merge_sort_block_sort_config_selectorIlNS0_10empty_typeEEEZNS1_21merge_sort_block_sortIS3_PlS8_PS5_S9_ZN2at6native12_GLOBAL__N_124unique_dim_cuda_templateIsEESt5tupleIJNSA_6TensorESF_SF_EERKSF_lbbbEUlllE_EE10hipError_tT0_T1_T2_T3_mRjT4_P12ihipStream_tbNS1_7vsmem_tEEUlT_E_NS1_11comp_targetILNS1_3genE10ELNS1_11target_archE1201ELNS1_3gpuE5ELNS1_3repE0EEENS1_30default_config_static_selectorELNS0_4arch9wavefront6targetE0EEEvSM_.kd
    .uniform_work_group_size: 1
    .uses_dynamic_stack: false
    .vgpr_count:     0
    .vgpr_spill_count: 0
    .wavefront_size: 32
  - .args:
      - .offset:         0
        .size:           72
        .value_kind:     by_value
    .group_segment_fixed_size: 0
    .kernarg_segment_align: 8
    .kernarg_segment_size: 72
    .language:       OpenCL C
    .language_version:
      - 2
      - 0
    .max_flat_workgroup_size: 512
    .name:           _ZN7rocprim17ROCPRIM_400000_NS6detail17trampoline_kernelINS0_14default_configENS1_37merge_sort_block_sort_config_selectorIlNS0_10empty_typeEEEZNS1_21merge_sort_block_sortIS3_PlS8_PS5_S9_ZN2at6native12_GLOBAL__N_124unique_dim_cuda_templateIsEESt5tupleIJNSA_6TensorESF_SF_EERKSF_lbbbEUlllE_EE10hipError_tT0_T1_T2_T3_mRjT4_P12ihipStream_tbNS1_7vsmem_tEEUlT_E_NS1_11comp_targetILNS1_3genE10ELNS1_11target_archE1200ELNS1_3gpuE4ELNS1_3repE0EEENS1_30default_config_static_selectorELNS0_4arch9wavefront6targetE0EEEvSM_
    .private_segment_fixed_size: 0
    .sgpr_count:     0
    .sgpr_spill_count: 0
    .symbol:         _ZN7rocprim17ROCPRIM_400000_NS6detail17trampoline_kernelINS0_14default_configENS1_37merge_sort_block_sort_config_selectorIlNS0_10empty_typeEEEZNS1_21merge_sort_block_sortIS3_PlS8_PS5_S9_ZN2at6native12_GLOBAL__N_124unique_dim_cuda_templateIsEESt5tupleIJNSA_6TensorESF_SF_EERKSF_lbbbEUlllE_EE10hipError_tT0_T1_T2_T3_mRjT4_P12ihipStream_tbNS1_7vsmem_tEEUlT_E_NS1_11comp_targetILNS1_3genE10ELNS1_11target_archE1200ELNS1_3gpuE4ELNS1_3repE0EEENS1_30default_config_static_selectorELNS0_4arch9wavefront6targetE0EEEvSM_.kd
    .uniform_work_group_size: 1
    .uses_dynamic_stack: false
    .vgpr_count:     0
    .vgpr_spill_count: 0
    .wavefront_size: 32
  - .args:
      - .offset:         0
        .size:           72
        .value_kind:     by_value
    .group_segment_fixed_size: 0
    .kernarg_segment_align: 8
    .kernarg_segment_size: 72
    .language:       OpenCL C
    .language_version:
      - 2
      - 0
    .max_flat_workgroup_size: 256
    .name:           _ZN7rocprim17ROCPRIM_400000_NS6detail17trampoline_kernelINS0_14default_configENS1_37merge_sort_block_sort_config_selectorIlNS0_10empty_typeEEEZNS1_21merge_sort_block_sortIS3_PlS8_PS5_S9_ZN2at6native12_GLOBAL__N_124unique_dim_cuda_templateIsEESt5tupleIJNSA_6TensorESF_SF_EERKSF_lbbbEUlllE_EE10hipError_tT0_T1_T2_T3_mRjT4_P12ihipStream_tbNS1_7vsmem_tEEUlT_E_NS1_11comp_targetILNS1_3genE9ELNS1_11target_archE1100ELNS1_3gpuE3ELNS1_3repE0EEENS1_30default_config_static_selectorELNS0_4arch9wavefront6targetE0EEEvSM_
    .private_segment_fixed_size: 0
    .sgpr_count:     0
    .sgpr_spill_count: 0
    .symbol:         _ZN7rocprim17ROCPRIM_400000_NS6detail17trampoline_kernelINS0_14default_configENS1_37merge_sort_block_sort_config_selectorIlNS0_10empty_typeEEEZNS1_21merge_sort_block_sortIS3_PlS8_PS5_S9_ZN2at6native12_GLOBAL__N_124unique_dim_cuda_templateIsEESt5tupleIJNSA_6TensorESF_SF_EERKSF_lbbbEUlllE_EE10hipError_tT0_T1_T2_T3_mRjT4_P12ihipStream_tbNS1_7vsmem_tEEUlT_E_NS1_11comp_targetILNS1_3genE9ELNS1_11target_archE1100ELNS1_3gpuE3ELNS1_3repE0EEENS1_30default_config_static_selectorELNS0_4arch9wavefront6targetE0EEEvSM_.kd
    .uniform_work_group_size: 1
    .uses_dynamic_stack: false
    .vgpr_count:     0
    .vgpr_spill_count: 0
    .wavefront_size: 32
  - .args:
      - .offset:         0
        .size:           72
        .value_kind:     by_value
    .group_segment_fixed_size: 0
    .kernarg_segment_align: 8
    .kernarg_segment_size: 72
    .language:       OpenCL C
    .language_version:
      - 2
      - 0
    .max_flat_workgroup_size: 256
    .name:           _ZN7rocprim17ROCPRIM_400000_NS6detail17trampoline_kernelINS0_14default_configENS1_37merge_sort_block_sort_config_selectorIlNS0_10empty_typeEEEZNS1_21merge_sort_block_sortIS3_PlS8_PS5_S9_ZN2at6native12_GLOBAL__N_124unique_dim_cuda_templateIsEESt5tupleIJNSA_6TensorESF_SF_EERKSF_lbbbEUlllE_EE10hipError_tT0_T1_T2_T3_mRjT4_P12ihipStream_tbNS1_7vsmem_tEEUlT_E_NS1_11comp_targetILNS1_3genE8ELNS1_11target_archE1030ELNS1_3gpuE2ELNS1_3repE0EEENS1_30default_config_static_selectorELNS0_4arch9wavefront6targetE0EEEvSM_
    .private_segment_fixed_size: 0
    .sgpr_count:     0
    .sgpr_spill_count: 0
    .symbol:         _ZN7rocprim17ROCPRIM_400000_NS6detail17trampoline_kernelINS0_14default_configENS1_37merge_sort_block_sort_config_selectorIlNS0_10empty_typeEEEZNS1_21merge_sort_block_sortIS3_PlS8_PS5_S9_ZN2at6native12_GLOBAL__N_124unique_dim_cuda_templateIsEESt5tupleIJNSA_6TensorESF_SF_EERKSF_lbbbEUlllE_EE10hipError_tT0_T1_T2_T3_mRjT4_P12ihipStream_tbNS1_7vsmem_tEEUlT_E_NS1_11comp_targetILNS1_3genE8ELNS1_11target_archE1030ELNS1_3gpuE2ELNS1_3repE0EEENS1_30default_config_static_selectorELNS0_4arch9wavefront6targetE0EEEvSM_.kd
    .uniform_work_group_size: 1
    .uses_dynamic_stack: false
    .vgpr_count:     0
    .vgpr_spill_count: 0
    .wavefront_size: 32
  - .args:
      - .offset:         0
        .size:           56
        .value_kind:     by_value
    .group_segment_fixed_size: 0
    .kernarg_segment_align: 8
    .kernarg_segment_size: 56
    .language:       OpenCL C
    .language_version:
      - 2
      - 0
    .max_flat_workgroup_size: 128
    .name:           _ZN7rocprim17ROCPRIM_400000_NS6detail17trampoline_kernelINS0_14default_configENS1_38merge_sort_block_merge_config_selectorIlNS0_10empty_typeEEEZZNS1_27merge_sort_block_merge_implIS3_PlPS5_mZN2at6native12_GLOBAL__N_124unique_dim_cuda_templateIsEESt5tupleIJNSA_6TensorESF_SF_EERKSF_lbbbEUlllE_EE10hipError_tT0_T1_T2_jT3_P12ihipStream_tbPNSt15iterator_traitsISL_E10value_typeEPNSR_ISM_E10value_typeEPSN_NS1_7vsmem_tEENKUlT_SL_SM_SN_E_clIS8_S8_S9_S9_EESK_S10_SL_SM_SN_EUlS10_E_NS1_11comp_targetILNS1_3genE0ELNS1_11target_archE4294967295ELNS1_3gpuE0ELNS1_3repE0EEENS1_48merge_mergepath_partition_config_static_selectorELNS0_4arch9wavefront6targetE0EEEvSM_
    .private_segment_fixed_size: 0
    .sgpr_count:     22
    .sgpr_spill_count: 0
    .symbol:         _ZN7rocprim17ROCPRIM_400000_NS6detail17trampoline_kernelINS0_14default_configENS1_38merge_sort_block_merge_config_selectorIlNS0_10empty_typeEEEZZNS1_27merge_sort_block_merge_implIS3_PlPS5_mZN2at6native12_GLOBAL__N_124unique_dim_cuda_templateIsEESt5tupleIJNSA_6TensorESF_SF_EERKSF_lbbbEUlllE_EE10hipError_tT0_T1_T2_jT3_P12ihipStream_tbPNSt15iterator_traitsISL_E10value_typeEPNSR_ISM_E10value_typeEPSN_NS1_7vsmem_tEENKUlT_SL_SM_SN_E_clIS8_S8_S9_S9_EESK_S10_SL_SM_SN_EUlS10_E_NS1_11comp_targetILNS1_3genE0ELNS1_11target_archE4294967295ELNS1_3gpuE0ELNS1_3repE0EEENS1_48merge_mergepath_partition_config_static_selectorELNS0_4arch9wavefront6targetE0EEEvSM_.kd
    .uniform_work_group_size: 1
    .uses_dynamic_stack: false
    .vgpr_count:     22
    .vgpr_spill_count: 0
    .wavefront_size: 32
  - .args:
      - .offset:         0
        .size:           56
        .value_kind:     by_value
    .group_segment_fixed_size: 0
    .kernarg_segment_align: 8
    .kernarg_segment_size: 56
    .language:       OpenCL C
    .language_version:
      - 2
      - 0
    .max_flat_workgroup_size: 128
    .name:           _ZN7rocprim17ROCPRIM_400000_NS6detail17trampoline_kernelINS0_14default_configENS1_38merge_sort_block_merge_config_selectorIlNS0_10empty_typeEEEZZNS1_27merge_sort_block_merge_implIS3_PlPS5_mZN2at6native12_GLOBAL__N_124unique_dim_cuda_templateIsEESt5tupleIJNSA_6TensorESF_SF_EERKSF_lbbbEUlllE_EE10hipError_tT0_T1_T2_jT3_P12ihipStream_tbPNSt15iterator_traitsISL_E10value_typeEPNSR_ISM_E10value_typeEPSN_NS1_7vsmem_tEENKUlT_SL_SM_SN_E_clIS8_S8_S9_S9_EESK_S10_SL_SM_SN_EUlS10_E_NS1_11comp_targetILNS1_3genE10ELNS1_11target_archE1201ELNS1_3gpuE5ELNS1_3repE0EEENS1_48merge_mergepath_partition_config_static_selectorELNS0_4arch9wavefront6targetE0EEEvSM_
    .private_segment_fixed_size: 0
    .sgpr_count:     0
    .sgpr_spill_count: 0
    .symbol:         _ZN7rocprim17ROCPRIM_400000_NS6detail17trampoline_kernelINS0_14default_configENS1_38merge_sort_block_merge_config_selectorIlNS0_10empty_typeEEEZZNS1_27merge_sort_block_merge_implIS3_PlPS5_mZN2at6native12_GLOBAL__N_124unique_dim_cuda_templateIsEESt5tupleIJNSA_6TensorESF_SF_EERKSF_lbbbEUlllE_EE10hipError_tT0_T1_T2_jT3_P12ihipStream_tbPNSt15iterator_traitsISL_E10value_typeEPNSR_ISM_E10value_typeEPSN_NS1_7vsmem_tEENKUlT_SL_SM_SN_E_clIS8_S8_S9_S9_EESK_S10_SL_SM_SN_EUlS10_E_NS1_11comp_targetILNS1_3genE10ELNS1_11target_archE1201ELNS1_3gpuE5ELNS1_3repE0EEENS1_48merge_mergepath_partition_config_static_selectorELNS0_4arch9wavefront6targetE0EEEvSM_.kd
    .uniform_work_group_size: 1
    .uses_dynamic_stack: false
    .vgpr_count:     0
    .vgpr_spill_count: 0
    .wavefront_size: 32
  - .args:
      - .offset:         0
        .size:           56
        .value_kind:     by_value
    .group_segment_fixed_size: 0
    .kernarg_segment_align: 8
    .kernarg_segment_size: 56
    .language:       OpenCL C
    .language_version:
      - 2
      - 0
    .max_flat_workgroup_size: 128
    .name:           _ZN7rocprim17ROCPRIM_400000_NS6detail17trampoline_kernelINS0_14default_configENS1_38merge_sort_block_merge_config_selectorIlNS0_10empty_typeEEEZZNS1_27merge_sort_block_merge_implIS3_PlPS5_mZN2at6native12_GLOBAL__N_124unique_dim_cuda_templateIsEESt5tupleIJNSA_6TensorESF_SF_EERKSF_lbbbEUlllE_EE10hipError_tT0_T1_T2_jT3_P12ihipStream_tbPNSt15iterator_traitsISL_E10value_typeEPNSR_ISM_E10value_typeEPSN_NS1_7vsmem_tEENKUlT_SL_SM_SN_E_clIS8_S8_S9_S9_EESK_S10_SL_SM_SN_EUlS10_E_NS1_11comp_targetILNS1_3genE5ELNS1_11target_archE942ELNS1_3gpuE9ELNS1_3repE0EEENS1_48merge_mergepath_partition_config_static_selectorELNS0_4arch9wavefront6targetE0EEEvSM_
    .private_segment_fixed_size: 0
    .sgpr_count:     0
    .sgpr_spill_count: 0
    .symbol:         _ZN7rocprim17ROCPRIM_400000_NS6detail17trampoline_kernelINS0_14default_configENS1_38merge_sort_block_merge_config_selectorIlNS0_10empty_typeEEEZZNS1_27merge_sort_block_merge_implIS3_PlPS5_mZN2at6native12_GLOBAL__N_124unique_dim_cuda_templateIsEESt5tupleIJNSA_6TensorESF_SF_EERKSF_lbbbEUlllE_EE10hipError_tT0_T1_T2_jT3_P12ihipStream_tbPNSt15iterator_traitsISL_E10value_typeEPNSR_ISM_E10value_typeEPSN_NS1_7vsmem_tEENKUlT_SL_SM_SN_E_clIS8_S8_S9_S9_EESK_S10_SL_SM_SN_EUlS10_E_NS1_11comp_targetILNS1_3genE5ELNS1_11target_archE942ELNS1_3gpuE9ELNS1_3repE0EEENS1_48merge_mergepath_partition_config_static_selectorELNS0_4arch9wavefront6targetE0EEEvSM_.kd
    .uniform_work_group_size: 1
    .uses_dynamic_stack: false
    .vgpr_count:     0
    .vgpr_spill_count: 0
    .wavefront_size: 32
  - .args:
      - .offset:         0
        .size:           56
        .value_kind:     by_value
    .group_segment_fixed_size: 0
    .kernarg_segment_align: 8
    .kernarg_segment_size: 56
    .language:       OpenCL C
    .language_version:
      - 2
      - 0
    .max_flat_workgroup_size: 128
    .name:           _ZN7rocprim17ROCPRIM_400000_NS6detail17trampoline_kernelINS0_14default_configENS1_38merge_sort_block_merge_config_selectorIlNS0_10empty_typeEEEZZNS1_27merge_sort_block_merge_implIS3_PlPS5_mZN2at6native12_GLOBAL__N_124unique_dim_cuda_templateIsEESt5tupleIJNSA_6TensorESF_SF_EERKSF_lbbbEUlllE_EE10hipError_tT0_T1_T2_jT3_P12ihipStream_tbPNSt15iterator_traitsISL_E10value_typeEPNSR_ISM_E10value_typeEPSN_NS1_7vsmem_tEENKUlT_SL_SM_SN_E_clIS8_S8_S9_S9_EESK_S10_SL_SM_SN_EUlS10_E_NS1_11comp_targetILNS1_3genE4ELNS1_11target_archE910ELNS1_3gpuE8ELNS1_3repE0EEENS1_48merge_mergepath_partition_config_static_selectorELNS0_4arch9wavefront6targetE0EEEvSM_
    .private_segment_fixed_size: 0
    .sgpr_count:     0
    .sgpr_spill_count: 0
    .symbol:         _ZN7rocprim17ROCPRIM_400000_NS6detail17trampoline_kernelINS0_14default_configENS1_38merge_sort_block_merge_config_selectorIlNS0_10empty_typeEEEZZNS1_27merge_sort_block_merge_implIS3_PlPS5_mZN2at6native12_GLOBAL__N_124unique_dim_cuda_templateIsEESt5tupleIJNSA_6TensorESF_SF_EERKSF_lbbbEUlllE_EE10hipError_tT0_T1_T2_jT3_P12ihipStream_tbPNSt15iterator_traitsISL_E10value_typeEPNSR_ISM_E10value_typeEPSN_NS1_7vsmem_tEENKUlT_SL_SM_SN_E_clIS8_S8_S9_S9_EESK_S10_SL_SM_SN_EUlS10_E_NS1_11comp_targetILNS1_3genE4ELNS1_11target_archE910ELNS1_3gpuE8ELNS1_3repE0EEENS1_48merge_mergepath_partition_config_static_selectorELNS0_4arch9wavefront6targetE0EEEvSM_.kd
    .uniform_work_group_size: 1
    .uses_dynamic_stack: false
    .vgpr_count:     0
    .vgpr_spill_count: 0
    .wavefront_size: 32
  - .args:
      - .offset:         0
        .size:           56
        .value_kind:     by_value
    .group_segment_fixed_size: 0
    .kernarg_segment_align: 8
    .kernarg_segment_size: 56
    .language:       OpenCL C
    .language_version:
      - 2
      - 0
    .max_flat_workgroup_size: 128
    .name:           _ZN7rocprim17ROCPRIM_400000_NS6detail17trampoline_kernelINS0_14default_configENS1_38merge_sort_block_merge_config_selectorIlNS0_10empty_typeEEEZZNS1_27merge_sort_block_merge_implIS3_PlPS5_mZN2at6native12_GLOBAL__N_124unique_dim_cuda_templateIsEESt5tupleIJNSA_6TensorESF_SF_EERKSF_lbbbEUlllE_EE10hipError_tT0_T1_T2_jT3_P12ihipStream_tbPNSt15iterator_traitsISL_E10value_typeEPNSR_ISM_E10value_typeEPSN_NS1_7vsmem_tEENKUlT_SL_SM_SN_E_clIS8_S8_S9_S9_EESK_S10_SL_SM_SN_EUlS10_E_NS1_11comp_targetILNS1_3genE3ELNS1_11target_archE908ELNS1_3gpuE7ELNS1_3repE0EEENS1_48merge_mergepath_partition_config_static_selectorELNS0_4arch9wavefront6targetE0EEEvSM_
    .private_segment_fixed_size: 0
    .sgpr_count:     0
    .sgpr_spill_count: 0
    .symbol:         _ZN7rocprim17ROCPRIM_400000_NS6detail17trampoline_kernelINS0_14default_configENS1_38merge_sort_block_merge_config_selectorIlNS0_10empty_typeEEEZZNS1_27merge_sort_block_merge_implIS3_PlPS5_mZN2at6native12_GLOBAL__N_124unique_dim_cuda_templateIsEESt5tupleIJNSA_6TensorESF_SF_EERKSF_lbbbEUlllE_EE10hipError_tT0_T1_T2_jT3_P12ihipStream_tbPNSt15iterator_traitsISL_E10value_typeEPNSR_ISM_E10value_typeEPSN_NS1_7vsmem_tEENKUlT_SL_SM_SN_E_clIS8_S8_S9_S9_EESK_S10_SL_SM_SN_EUlS10_E_NS1_11comp_targetILNS1_3genE3ELNS1_11target_archE908ELNS1_3gpuE7ELNS1_3repE0EEENS1_48merge_mergepath_partition_config_static_selectorELNS0_4arch9wavefront6targetE0EEEvSM_.kd
    .uniform_work_group_size: 1
    .uses_dynamic_stack: false
    .vgpr_count:     0
    .vgpr_spill_count: 0
    .wavefront_size: 32
  - .args:
      - .offset:         0
        .size:           56
        .value_kind:     by_value
    .group_segment_fixed_size: 0
    .kernarg_segment_align: 8
    .kernarg_segment_size: 56
    .language:       OpenCL C
    .language_version:
      - 2
      - 0
    .max_flat_workgroup_size: 128
    .name:           _ZN7rocprim17ROCPRIM_400000_NS6detail17trampoline_kernelINS0_14default_configENS1_38merge_sort_block_merge_config_selectorIlNS0_10empty_typeEEEZZNS1_27merge_sort_block_merge_implIS3_PlPS5_mZN2at6native12_GLOBAL__N_124unique_dim_cuda_templateIsEESt5tupleIJNSA_6TensorESF_SF_EERKSF_lbbbEUlllE_EE10hipError_tT0_T1_T2_jT3_P12ihipStream_tbPNSt15iterator_traitsISL_E10value_typeEPNSR_ISM_E10value_typeEPSN_NS1_7vsmem_tEENKUlT_SL_SM_SN_E_clIS8_S8_S9_S9_EESK_S10_SL_SM_SN_EUlS10_E_NS1_11comp_targetILNS1_3genE2ELNS1_11target_archE906ELNS1_3gpuE6ELNS1_3repE0EEENS1_48merge_mergepath_partition_config_static_selectorELNS0_4arch9wavefront6targetE0EEEvSM_
    .private_segment_fixed_size: 0
    .sgpr_count:     0
    .sgpr_spill_count: 0
    .symbol:         _ZN7rocprim17ROCPRIM_400000_NS6detail17trampoline_kernelINS0_14default_configENS1_38merge_sort_block_merge_config_selectorIlNS0_10empty_typeEEEZZNS1_27merge_sort_block_merge_implIS3_PlPS5_mZN2at6native12_GLOBAL__N_124unique_dim_cuda_templateIsEESt5tupleIJNSA_6TensorESF_SF_EERKSF_lbbbEUlllE_EE10hipError_tT0_T1_T2_jT3_P12ihipStream_tbPNSt15iterator_traitsISL_E10value_typeEPNSR_ISM_E10value_typeEPSN_NS1_7vsmem_tEENKUlT_SL_SM_SN_E_clIS8_S8_S9_S9_EESK_S10_SL_SM_SN_EUlS10_E_NS1_11comp_targetILNS1_3genE2ELNS1_11target_archE906ELNS1_3gpuE6ELNS1_3repE0EEENS1_48merge_mergepath_partition_config_static_selectorELNS0_4arch9wavefront6targetE0EEEvSM_.kd
    .uniform_work_group_size: 1
    .uses_dynamic_stack: false
    .vgpr_count:     0
    .vgpr_spill_count: 0
    .wavefront_size: 32
  - .args:
      - .offset:         0
        .size:           56
        .value_kind:     by_value
    .group_segment_fixed_size: 0
    .kernarg_segment_align: 8
    .kernarg_segment_size: 56
    .language:       OpenCL C
    .language_version:
      - 2
      - 0
    .max_flat_workgroup_size: 128
    .name:           _ZN7rocprim17ROCPRIM_400000_NS6detail17trampoline_kernelINS0_14default_configENS1_38merge_sort_block_merge_config_selectorIlNS0_10empty_typeEEEZZNS1_27merge_sort_block_merge_implIS3_PlPS5_mZN2at6native12_GLOBAL__N_124unique_dim_cuda_templateIsEESt5tupleIJNSA_6TensorESF_SF_EERKSF_lbbbEUlllE_EE10hipError_tT0_T1_T2_jT3_P12ihipStream_tbPNSt15iterator_traitsISL_E10value_typeEPNSR_ISM_E10value_typeEPSN_NS1_7vsmem_tEENKUlT_SL_SM_SN_E_clIS8_S8_S9_S9_EESK_S10_SL_SM_SN_EUlS10_E_NS1_11comp_targetILNS1_3genE9ELNS1_11target_archE1100ELNS1_3gpuE3ELNS1_3repE0EEENS1_48merge_mergepath_partition_config_static_selectorELNS0_4arch9wavefront6targetE0EEEvSM_
    .private_segment_fixed_size: 0
    .sgpr_count:     0
    .sgpr_spill_count: 0
    .symbol:         _ZN7rocprim17ROCPRIM_400000_NS6detail17trampoline_kernelINS0_14default_configENS1_38merge_sort_block_merge_config_selectorIlNS0_10empty_typeEEEZZNS1_27merge_sort_block_merge_implIS3_PlPS5_mZN2at6native12_GLOBAL__N_124unique_dim_cuda_templateIsEESt5tupleIJNSA_6TensorESF_SF_EERKSF_lbbbEUlllE_EE10hipError_tT0_T1_T2_jT3_P12ihipStream_tbPNSt15iterator_traitsISL_E10value_typeEPNSR_ISM_E10value_typeEPSN_NS1_7vsmem_tEENKUlT_SL_SM_SN_E_clIS8_S8_S9_S9_EESK_S10_SL_SM_SN_EUlS10_E_NS1_11comp_targetILNS1_3genE9ELNS1_11target_archE1100ELNS1_3gpuE3ELNS1_3repE0EEENS1_48merge_mergepath_partition_config_static_selectorELNS0_4arch9wavefront6targetE0EEEvSM_.kd
    .uniform_work_group_size: 1
    .uses_dynamic_stack: false
    .vgpr_count:     0
    .vgpr_spill_count: 0
    .wavefront_size: 32
  - .args:
      - .offset:         0
        .size:           56
        .value_kind:     by_value
    .group_segment_fixed_size: 0
    .kernarg_segment_align: 8
    .kernarg_segment_size: 56
    .language:       OpenCL C
    .language_version:
      - 2
      - 0
    .max_flat_workgroup_size: 128
    .name:           _ZN7rocprim17ROCPRIM_400000_NS6detail17trampoline_kernelINS0_14default_configENS1_38merge_sort_block_merge_config_selectorIlNS0_10empty_typeEEEZZNS1_27merge_sort_block_merge_implIS3_PlPS5_mZN2at6native12_GLOBAL__N_124unique_dim_cuda_templateIsEESt5tupleIJNSA_6TensorESF_SF_EERKSF_lbbbEUlllE_EE10hipError_tT0_T1_T2_jT3_P12ihipStream_tbPNSt15iterator_traitsISL_E10value_typeEPNSR_ISM_E10value_typeEPSN_NS1_7vsmem_tEENKUlT_SL_SM_SN_E_clIS8_S8_S9_S9_EESK_S10_SL_SM_SN_EUlS10_E_NS1_11comp_targetILNS1_3genE8ELNS1_11target_archE1030ELNS1_3gpuE2ELNS1_3repE0EEENS1_48merge_mergepath_partition_config_static_selectorELNS0_4arch9wavefront6targetE0EEEvSM_
    .private_segment_fixed_size: 0
    .sgpr_count:     0
    .sgpr_spill_count: 0
    .symbol:         _ZN7rocprim17ROCPRIM_400000_NS6detail17trampoline_kernelINS0_14default_configENS1_38merge_sort_block_merge_config_selectorIlNS0_10empty_typeEEEZZNS1_27merge_sort_block_merge_implIS3_PlPS5_mZN2at6native12_GLOBAL__N_124unique_dim_cuda_templateIsEESt5tupleIJNSA_6TensorESF_SF_EERKSF_lbbbEUlllE_EE10hipError_tT0_T1_T2_jT3_P12ihipStream_tbPNSt15iterator_traitsISL_E10value_typeEPNSR_ISM_E10value_typeEPSN_NS1_7vsmem_tEENKUlT_SL_SM_SN_E_clIS8_S8_S9_S9_EESK_S10_SL_SM_SN_EUlS10_E_NS1_11comp_targetILNS1_3genE8ELNS1_11target_archE1030ELNS1_3gpuE2ELNS1_3repE0EEENS1_48merge_mergepath_partition_config_static_selectorELNS0_4arch9wavefront6targetE0EEEvSM_.kd
    .uniform_work_group_size: 1
    .uses_dynamic_stack: false
    .vgpr_count:     0
    .vgpr_spill_count: 0
    .wavefront_size: 32
  - .args:
      - .offset:         0
        .size:           88
        .value_kind:     by_value
      - .offset:         88
        .size:           4
        .value_kind:     hidden_block_count_x
      - .offset:         92
        .size:           4
        .value_kind:     hidden_block_count_y
      - .offset:         96
        .size:           4
        .value_kind:     hidden_block_count_z
      - .offset:         100
        .size:           2
        .value_kind:     hidden_group_size_x
      - .offset:         102
        .size:           2
        .value_kind:     hidden_group_size_y
      - .offset:         104
        .size:           2
        .value_kind:     hidden_group_size_z
      - .offset:         106
        .size:           2
        .value_kind:     hidden_remainder_x
      - .offset:         108
        .size:           2
        .value_kind:     hidden_remainder_y
      - .offset:         110
        .size:           2
        .value_kind:     hidden_remainder_z
      - .offset:         128
        .size:           8
        .value_kind:     hidden_global_offset_x
      - .offset:         136
        .size:           8
        .value_kind:     hidden_global_offset_y
      - .offset:         144
        .size:           8
        .value_kind:     hidden_global_offset_z
      - .offset:         152
        .size:           2
        .value_kind:     hidden_grid_dims
    .group_segment_fixed_size: 8448
    .kernarg_segment_align: 8
    .kernarg_segment_size: 344
    .language:       OpenCL C
    .language_version:
      - 2
      - 0
    .max_flat_workgroup_size: 128
    .name:           _ZN7rocprim17ROCPRIM_400000_NS6detail17trampoline_kernelINS0_14default_configENS1_38merge_sort_block_merge_config_selectorIlNS0_10empty_typeEEEZZNS1_27merge_sort_block_merge_implIS3_PlPS5_mZN2at6native12_GLOBAL__N_124unique_dim_cuda_templateIsEESt5tupleIJNSA_6TensorESF_SF_EERKSF_lbbbEUlllE_EE10hipError_tT0_T1_T2_jT3_P12ihipStream_tbPNSt15iterator_traitsISL_E10value_typeEPNSR_ISM_E10value_typeEPSN_NS1_7vsmem_tEENKUlT_SL_SM_SN_E_clIS8_S8_S9_S9_EESK_S10_SL_SM_SN_EUlS10_E0_NS1_11comp_targetILNS1_3genE0ELNS1_11target_archE4294967295ELNS1_3gpuE0ELNS1_3repE0EEENS1_38merge_mergepath_config_static_selectorELNS0_4arch9wavefront6targetE0EEEvSM_
    .private_segment_fixed_size: 0
    .sgpr_count:     33
    .sgpr_spill_count: 0
    .symbol:         _ZN7rocprim17ROCPRIM_400000_NS6detail17trampoline_kernelINS0_14default_configENS1_38merge_sort_block_merge_config_selectorIlNS0_10empty_typeEEEZZNS1_27merge_sort_block_merge_implIS3_PlPS5_mZN2at6native12_GLOBAL__N_124unique_dim_cuda_templateIsEESt5tupleIJNSA_6TensorESF_SF_EERKSF_lbbbEUlllE_EE10hipError_tT0_T1_T2_jT3_P12ihipStream_tbPNSt15iterator_traitsISL_E10value_typeEPNSR_ISM_E10value_typeEPSN_NS1_7vsmem_tEENKUlT_SL_SM_SN_E_clIS8_S8_S9_S9_EESK_S10_SL_SM_SN_EUlS10_E0_NS1_11comp_targetILNS1_3genE0ELNS1_11target_archE4294967295ELNS1_3gpuE0ELNS1_3repE0EEENS1_38merge_mergepath_config_static_selectorELNS0_4arch9wavefront6targetE0EEEvSM_.kd
    .uniform_work_group_size: 1
    .uses_dynamic_stack: false
    .vgpr_count:     40
    .vgpr_spill_count: 0
    .wavefront_size: 32
  - .args:
      - .offset:         0
        .size:           88
        .value_kind:     by_value
    .group_segment_fixed_size: 0
    .kernarg_segment_align: 8
    .kernarg_segment_size: 88
    .language:       OpenCL C
    .language_version:
      - 2
      - 0
    .max_flat_workgroup_size: 512
    .name:           _ZN7rocprim17ROCPRIM_400000_NS6detail17trampoline_kernelINS0_14default_configENS1_38merge_sort_block_merge_config_selectorIlNS0_10empty_typeEEEZZNS1_27merge_sort_block_merge_implIS3_PlPS5_mZN2at6native12_GLOBAL__N_124unique_dim_cuda_templateIsEESt5tupleIJNSA_6TensorESF_SF_EERKSF_lbbbEUlllE_EE10hipError_tT0_T1_T2_jT3_P12ihipStream_tbPNSt15iterator_traitsISL_E10value_typeEPNSR_ISM_E10value_typeEPSN_NS1_7vsmem_tEENKUlT_SL_SM_SN_E_clIS8_S8_S9_S9_EESK_S10_SL_SM_SN_EUlS10_E0_NS1_11comp_targetILNS1_3genE10ELNS1_11target_archE1201ELNS1_3gpuE5ELNS1_3repE0EEENS1_38merge_mergepath_config_static_selectorELNS0_4arch9wavefront6targetE0EEEvSM_
    .private_segment_fixed_size: 0
    .sgpr_count:     0
    .sgpr_spill_count: 0
    .symbol:         _ZN7rocprim17ROCPRIM_400000_NS6detail17trampoline_kernelINS0_14default_configENS1_38merge_sort_block_merge_config_selectorIlNS0_10empty_typeEEEZZNS1_27merge_sort_block_merge_implIS3_PlPS5_mZN2at6native12_GLOBAL__N_124unique_dim_cuda_templateIsEESt5tupleIJNSA_6TensorESF_SF_EERKSF_lbbbEUlllE_EE10hipError_tT0_T1_T2_jT3_P12ihipStream_tbPNSt15iterator_traitsISL_E10value_typeEPNSR_ISM_E10value_typeEPSN_NS1_7vsmem_tEENKUlT_SL_SM_SN_E_clIS8_S8_S9_S9_EESK_S10_SL_SM_SN_EUlS10_E0_NS1_11comp_targetILNS1_3genE10ELNS1_11target_archE1201ELNS1_3gpuE5ELNS1_3repE0EEENS1_38merge_mergepath_config_static_selectorELNS0_4arch9wavefront6targetE0EEEvSM_.kd
    .uniform_work_group_size: 1
    .uses_dynamic_stack: false
    .vgpr_count:     0
    .vgpr_spill_count: 0
    .wavefront_size: 32
  - .args:
      - .offset:         0
        .size:           88
        .value_kind:     by_value
    .group_segment_fixed_size: 0
    .kernarg_segment_align: 8
    .kernarg_segment_size: 88
    .language:       OpenCL C
    .language_version:
      - 2
      - 0
    .max_flat_workgroup_size: 128
    .name:           _ZN7rocprim17ROCPRIM_400000_NS6detail17trampoline_kernelINS0_14default_configENS1_38merge_sort_block_merge_config_selectorIlNS0_10empty_typeEEEZZNS1_27merge_sort_block_merge_implIS3_PlPS5_mZN2at6native12_GLOBAL__N_124unique_dim_cuda_templateIsEESt5tupleIJNSA_6TensorESF_SF_EERKSF_lbbbEUlllE_EE10hipError_tT0_T1_T2_jT3_P12ihipStream_tbPNSt15iterator_traitsISL_E10value_typeEPNSR_ISM_E10value_typeEPSN_NS1_7vsmem_tEENKUlT_SL_SM_SN_E_clIS8_S8_S9_S9_EESK_S10_SL_SM_SN_EUlS10_E0_NS1_11comp_targetILNS1_3genE5ELNS1_11target_archE942ELNS1_3gpuE9ELNS1_3repE0EEENS1_38merge_mergepath_config_static_selectorELNS0_4arch9wavefront6targetE0EEEvSM_
    .private_segment_fixed_size: 0
    .sgpr_count:     0
    .sgpr_spill_count: 0
    .symbol:         _ZN7rocprim17ROCPRIM_400000_NS6detail17trampoline_kernelINS0_14default_configENS1_38merge_sort_block_merge_config_selectorIlNS0_10empty_typeEEEZZNS1_27merge_sort_block_merge_implIS3_PlPS5_mZN2at6native12_GLOBAL__N_124unique_dim_cuda_templateIsEESt5tupleIJNSA_6TensorESF_SF_EERKSF_lbbbEUlllE_EE10hipError_tT0_T1_T2_jT3_P12ihipStream_tbPNSt15iterator_traitsISL_E10value_typeEPNSR_ISM_E10value_typeEPSN_NS1_7vsmem_tEENKUlT_SL_SM_SN_E_clIS8_S8_S9_S9_EESK_S10_SL_SM_SN_EUlS10_E0_NS1_11comp_targetILNS1_3genE5ELNS1_11target_archE942ELNS1_3gpuE9ELNS1_3repE0EEENS1_38merge_mergepath_config_static_selectorELNS0_4arch9wavefront6targetE0EEEvSM_.kd
    .uniform_work_group_size: 1
    .uses_dynamic_stack: false
    .vgpr_count:     0
    .vgpr_spill_count: 0
    .wavefront_size: 32
  - .args:
      - .offset:         0
        .size:           88
        .value_kind:     by_value
    .group_segment_fixed_size: 0
    .kernarg_segment_align: 8
    .kernarg_segment_size: 88
    .language:       OpenCL C
    .language_version:
      - 2
      - 0
    .max_flat_workgroup_size: 256
    .name:           _ZN7rocprim17ROCPRIM_400000_NS6detail17trampoline_kernelINS0_14default_configENS1_38merge_sort_block_merge_config_selectorIlNS0_10empty_typeEEEZZNS1_27merge_sort_block_merge_implIS3_PlPS5_mZN2at6native12_GLOBAL__N_124unique_dim_cuda_templateIsEESt5tupleIJNSA_6TensorESF_SF_EERKSF_lbbbEUlllE_EE10hipError_tT0_T1_T2_jT3_P12ihipStream_tbPNSt15iterator_traitsISL_E10value_typeEPNSR_ISM_E10value_typeEPSN_NS1_7vsmem_tEENKUlT_SL_SM_SN_E_clIS8_S8_S9_S9_EESK_S10_SL_SM_SN_EUlS10_E0_NS1_11comp_targetILNS1_3genE4ELNS1_11target_archE910ELNS1_3gpuE8ELNS1_3repE0EEENS1_38merge_mergepath_config_static_selectorELNS0_4arch9wavefront6targetE0EEEvSM_
    .private_segment_fixed_size: 0
    .sgpr_count:     0
    .sgpr_spill_count: 0
    .symbol:         _ZN7rocprim17ROCPRIM_400000_NS6detail17trampoline_kernelINS0_14default_configENS1_38merge_sort_block_merge_config_selectorIlNS0_10empty_typeEEEZZNS1_27merge_sort_block_merge_implIS3_PlPS5_mZN2at6native12_GLOBAL__N_124unique_dim_cuda_templateIsEESt5tupleIJNSA_6TensorESF_SF_EERKSF_lbbbEUlllE_EE10hipError_tT0_T1_T2_jT3_P12ihipStream_tbPNSt15iterator_traitsISL_E10value_typeEPNSR_ISM_E10value_typeEPSN_NS1_7vsmem_tEENKUlT_SL_SM_SN_E_clIS8_S8_S9_S9_EESK_S10_SL_SM_SN_EUlS10_E0_NS1_11comp_targetILNS1_3genE4ELNS1_11target_archE910ELNS1_3gpuE8ELNS1_3repE0EEENS1_38merge_mergepath_config_static_selectorELNS0_4arch9wavefront6targetE0EEEvSM_.kd
    .uniform_work_group_size: 1
    .uses_dynamic_stack: false
    .vgpr_count:     0
    .vgpr_spill_count: 0
    .wavefront_size: 32
  - .args:
      - .offset:         0
        .size:           88
        .value_kind:     by_value
    .group_segment_fixed_size: 0
    .kernarg_segment_align: 8
    .kernarg_segment_size: 88
    .language:       OpenCL C
    .language_version:
      - 2
      - 0
    .max_flat_workgroup_size: 128
    .name:           _ZN7rocprim17ROCPRIM_400000_NS6detail17trampoline_kernelINS0_14default_configENS1_38merge_sort_block_merge_config_selectorIlNS0_10empty_typeEEEZZNS1_27merge_sort_block_merge_implIS3_PlPS5_mZN2at6native12_GLOBAL__N_124unique_dim_cuda_templateIsEESt5tupleIJNSA_6TensorESF_SF_EERKSF_lbbbEUlllE_EE10hipError_tT0_T1_T2_jT3_P12ihipStream_tbPNSt15iterator_traitsISL_E10value_typeEPNSR_ISM_E10value_typeEPSN_NS1_7vsmem_tEENKUlT_SL_SM_SN_E_clIS8_S8_S9_S9_EESK_S10_SL_SM_SN_EUlS10_E0_NS1_11comp_targetILNS1_3genE3ELNS1_11target_archE908ELNS1_3gpuE7ELNS1_3repE0EEENS1_38merge_mergepath_config_static_selectorELNS0_4arch9wavefront6targetE0EEEvSM_
    .private_segment_fixed_size: 0
    .sgpr_count:     0
    .sgpr_spill_count: 0
    .symbol:         _ZN7rocprim17ROCPRIM_400000_NS6detail17trampoline_kernelINS0_14default_configENS1_38merge_sort_block_merge_config_selectorIlNS0_10empty_typeEEEZZNS1_27merge_sort_block_merge_implIS3_PlPS5_mZN2at6native12_GLOBAL__N_124unique_dim_cuda_templateIsEESt5tupleIJNSA_6TensorESF_SF_EERKSF_lbbbEUlllE_EE10hipError_tT0_T1_T2_jT3_P12ihipStream_tbPNSt15iterator_traitsISL_E10value_typeEPNSR_ISM_E10value_typeEPSN_NS1_7vsmem_tEENKUlT_SL_SM_SN_E_clIS8_S8_S9_S9_EESK_S10_SL_SM_SN_EUlS10_E0_NS1_11comp_targetILNS1_3genE3ELNS1_11target_archE908ELNS1_3gpuE7ELNS1_3repE0EEENS1_38merge_mergepath_config_static_selectorELNS0_4arch9wavefront6targetE0EEEvSM_.kd
    .uniform_work_group_size: 1
    .uses_dynamic_stack: false
    .vgpr_count:     0
    .vgpr_spill_count: 0
    .wavefront_size: 32
  - .args:
      - .offset:         0
        .size:           88
        .value_kind:     by_value
    .group_segment_fixed_size: 0
    .kernarg_segment_align: 8
    .kernarg_segment_size: 88
    .language:       OpenCL C
    .language_version:
      - 2
      - 0
    .max_flat_workgroup_size: 256
    .name:           _ZN7rocprim17ROCPRIM_400000_NS6detail17trampoline_kernelINS0_14default_configENS1_38merge_sort_block_merge_config_selectorIlNS0_10empty_typeEEEZZNS1_27merge_sort_block_merge_implIS3_PlPS5_mZN2at6native12_GLOBAL__N_124unique_dim_cuda_templateIsEESt5tupleIJNSA_6TensorESF_SF_EERKSF_lbbbEUlllE_EE10hipError_tT0_T1_T2_jT3_P12ihipStream_tbPNSt15iterator_traitsISL_E10value_typeEPNSR_ISM_E10value_typeEPSN_NS1_7vsmem_tEENKUlT_SL_SM_SN_E_clIS8_S8_S9_S9_EESK_S10_SL_SM_SN_EUlS10_E0_NS1_11comp_targetILNS1_3genE2ELNS1_11target_archE906ELNS1_3gpuE6ELNS1_3repE0EEENS1_38merge_mergepath_config_static_selectorELNS0_4arch9wavefront6targetE0EEEvSM_
    .private_segment_fixed_size: 0
    .sgpr_count:     0
    .sgpr_spill_count: 0
    .symbol:         _ZN7rocprim17ROCPRIM_400000_NS6detail17trampoline_kernelINS0_14default_configENS1_38merge_sort_block_merge_config_selectorIlNS0_10empty_typeEEEZZNS1_27merge_sort_block_merge_implIS3_PlPS5_mZN2at6native12_GLOBAL__N_124unique_dim_cuda_templateIsEESt5tupleIJNSA_6TensorESF_SF_EERKSF_lbbbEUlllE_EE10hipError_tT0_T1_T2_jT3_P12ihipStream_tbPNSt15iterator_traitsISL_E10value_typeEPNSR_ISM_E10value_typeEPSN_NS1_7vsmem_tEENKUlT_SL_SM_SN_E_clIS8_S8_S9_S9_EESK_S10_SL_SM_SN_EUlS10_E0_NS1_11comp_targetILNS1_3genE2ELNS1_11target_archE906ELNS1_3gpuE6ELNS1_3repE0EEENS1_38merge_mergepath_config_static_selectorELNS0_4arch9wavefront6targetE0EEEvSM_.kd
    .uniform_work_group_size: 1
    .uses_dynamic_stack: false
    .vgpr_count:     0
    .vgpr_spill_count: 0
    .wavefront_size: 32
  - .args:
      - .offset:         0
        .size:           88
        .value_kind:     by_value
    .group_segment_fixed_size: 0
    .kernarg_segment_align: 8
    .kernarg_segment_size: 88
    .language:       OpenCL C
    .language_version:
      - 2
      - 0
    .max_flat_workgroup_size: 512
    .name:           _ZN7rocprim17ROCPRIM_400000_NS6detail17trampoline_kernelINS0_14default_configENS1_38merge_sort_block_merge_config_selectorIlNS0_10empty_typeEEEZZNS1_27merge_sort_block_merge_implIS3_PlPS5_mZN2at6native12_GLOBAL__N_124unique_dim_cuda_templateIsEESt5tupleIJNSA_6TensorESF_SF_EERKSF_lbbbEUlllE_EE10hipError_tT0_T1_T2_jT3_P12ihipStream_tbPNSt15iterator_traitsISL_E10value_typeEPNSR_ISM_E10value_typeEPSN_NS1_7vsmem_tEENKUlT_SL_SM_SN_E_clIS8_S8_S9_S9_EESK_S10_SL_SM_SN_EUlS10_E0_NS1_11comp_targetILNS1_3genE9ELNS1_11target_archE1100ELNS1_3gpuE3ELNS1_3repE0EEENS1_38merge_mergepath_config_static_selectorELNS0_4arch9wavefront6targetE0EEEvSM_
    .private_segment_fixed_size: 0
    .sgpr_count:     0
    .sgpr_spill_count: 0
    .symbol:         _ZN7rocprim17ROCPRIM_400000_NS6detail17trampoline_kernelINS0_14default_configENS1_38merge_sort_block_merge_config_selectorIlNS0_10empty_typeEEEZZNS1_27merge_sort_block_merge_implIS3_PlPS5_mZN2at6native12_GLOBAL__N_124unique_dim_cuda_templateIsEESt5tupleIJNSA_6TensorESF_SF_EERKSF_lbbbEUlllE_EE10hipError_tT0_T1_T2_jT3_P12ihipStream_tbPNSt15iterator_traitsISL_E10value_typeEPNSR_ISM_E10value_typeEPSN_NS1_7vsmem_tEENKUlT_SL_SM_SN_E_clIS8_S8_S9_S9_EESK_S10_SL_SM_SN_EUlS10_E0_NS1_11comp_targetILNS1_3genE9ELNS1_11target_archE1100ELNS1_3gpuE3ELNS1_3repE0EEENS1_38merge_mergepath_config_static_selectorELNS0_4arch9wavefront6targetE0EEEvSM_.kd
    .uniform_work_group_size: 1
    .uses_dynamic_stack: false
    .vgpr_count:     0
    .vgpr_spill_count: 0
    .wavefront_size: 32
  - .args:
      - .offset:         0
        .size:           88
        .value_kind:     by_value
    .group_segment_fixed_size: 0
    .kernarg_segment_align: 8
    .kernarg_segment_size: 88
    .language:       OpenCL C
    .language_version:
      - 2
      - 0
    .max_flat_workgroup_size: 1024
    .name:           _ZN7rocprim17ROCPRIM_400000_NS6detail17trampoline_kernelINS0_14default_configENS1_38merge_sort_block_merge_config_selectorIlNS0_10empty_typeEEEZZNS1_27merge_sort_block_merge_implIS3_PlPS5_mZN2at6native12_GLOBAL__N_124unique_dim_cuda_templateIsEESt5tupleIJNSA_6TensorESF_SF_EERKSF_lbbbEUlllE_EE10hipError_tT0_T1_T2_jT3_P12ihipStream_tbPNSt15iterator_traitsISL_E10value_typeEPNSR_ISM_E10value_typeEPSN_NS1_7vsmem_tEENKUlT_SL_SM_SN_E_clIS8_S8_S9_S9_EESK_S10_SL_SM_SN_EUlS10_E0_NS1_11comp_targetILNS1_3genE8ELNS1_11target_archE1030ELNS1_3gpuE2ELNS1_3repE0EEENS1_38merge_mergepath_config_static_selectorELNS0_4arch9wavefront6targetE0EEEvSM_
    .private_segment_fixed_size: 0
    .sgpr_count:     0
    .sgpr_spill_count: 0
    .symbol:         _ZN7rocprim17ROCPRIM_400000_NS6detail17trampoline_kernelINS0_14default_configENS1_38merge_sort_block_merge_config_selectorIlNS0_10empty_typeEEEZZNS1_27merge_sort_block_merge_implIS3_PlPS5_mZN2at6native12_GLOBAL__N_124unique_dim_cuda_templateIsEESt5tupleIJNSA_6TensorESF_SF_EERKSF_lbbbEUlllE_EE10hipError_tT0_T1_T2_jT3_P12ihipStream_tbPNSt15iterator_traitsISL_E10value_typeEPNSR_ISM_E10value_typeEPSN_NS1_7vsmem_tEENKUlT_SL_SM_SN_E_clIS8_S8_S9_S9_EESK_S10_SL_SM_SN_EUlS10_E0_NS1_11comp_targetILNS1_3genE8ELNS1_11target_archE1030ELNS1_3gpuE2ELNS1_3repE0EEENS1_38merge_mergepath_config_static_selectorELNS0_4arch9wavefront6targetE0EEEvSM_.kd
    .uniform_work_group_size: 1
    .uses_dynamic_stack: false
    .vgpr_count:     0
    .vgpr_spill_count: 0
    .wavefront_size: 32
  - .args:
      - .offset:         0
        .size:           64
        .value_kind:     by_value
    .group_segment_fixed_size: 0
    .kernarg_segment_align: 8
    .kernarg_segment_size: 64
    .language:       OpenCL C
    .language_version:
      - 2
      - 0
    .max_flat_workgroup_size: 256
    .name:           _ZN7rocprim17ROCPRIM_400000_NS6detail17trampoline_kernelINS0_14default_configENS1_38merge_sort_block_merge_config_selectorIlNS0_10empty_typeEEEZZNS1_27merge_sort_block_merge_implIS3_PlPS5_mZN2at6native12_GLOBAL__N_124unique_dim_cuda_templateIsEESt5tupleIJNSA_6TensorESF_SF_EERKSF_lbbbEUlllE_EE10hipError_tT0_T1_T2_jT3_P12ihipStream_tbPNSt15iterator_traitsISL_E10value_typeEPNSR_ISM_E10value_typeEPSN_NS1_7vsmem_tEENKUlT_SL_SM_SN_E_clIS8_S8_S9_S9_EESK_S10_SL_SM_SN_EUlS10_E1_NS1_11comp_targetILNS1_3genE0ELNS1_11target_archE4294967295ELNS1_3gpuE0ELNS1_3repE0EEENS1_36merge_oddeven_config_static_selectorELNS0_4arch9wavefront6targetE0EEEvSM_
    .private_segment_fixed_size: 0
    .sgpr_count:     29
    .sgpr_spill_count: 0
    .symbol:         _ZN7rocprim17ROCPRIM_400000_NS6detail17trampoline_kernelINS0_14default_configENS1_38merge_sort_block_merge_config_selectorIlNS0_10empty_typeEEEZZNS1_27merge_sort_block_merge_implIS3_PlPS5_mZN2at6native12_GLOBAL__N_124unique_dim_cuda_templateIsEESt5tupleIJNSA_6TensorESF_SF_EERKSF_lbbbEUlllE_EE10hipError_tT0_T1_T2_jT3_P12ihipStream_tbPNSt15iterator_traitsISL_E10value_typeEPNSR_ISM_E10value_typeEPSN_NS1_7vsmem_tEENKUlT_SL_SM_SN_E_clIS8_S8_S9_S9_EESK_S10_SL_SM_SN_EUlS10_E1_NS1_11comp_targetILNS1_3genE0ELNS1_11target_archE4294967295ELNS1_3gpuE0ELNS1_3repE0EEENS1_36merge_oddeven_config_static_selectorELNS0_4arch9wavefront6targetE0EEEvSM_.kd
    .uniform_work_group_size: 1
    .uses_dynamic_stack: false
    .vgpr_count:     17
    .vgpr_spill_count: 0
    .wavefront_size: 32
  - .args:
      - .offset:         0
        .size:           64
        .value_kind:     by_value
    .group_segment_fixed_size: 0
    .kernarg_segment_align: 8
    .kernarg_segment_size: 64
    .language:       OpenCL C
    .language_version:
      - 2
      - 0
    .max_flat_workgroup_size: 256
    .name:           _ZN7rocprim17ROCPRIM_400000_NS6detail17trampoline_kernelINS0_14default_configENS1_38merge_sort_block_merge_config_selectorIlNS0_10empty_typeEEEZZNS1_27merge_sort_block_merge_implIS3_PlPS5_mZN2at6native12_GLOBAL__N_124unique_dim_cuda_templateIsEESt5tupleIJNSA_6TensorESF_SF_EERKSF_lbbbEUlllE_EE10hipError_tT0_T1_T2_jT3_P12ihipStream_tbPNSt15iterator_traitsISL_E10value_typeEPNSR_ISM_E10value_typeEPSN_NS1_7vsmem_tEENKUlT_SL_SM_SN_E_clIS8_S8_S9_S9_EESK_S10_SL_SM_SN_EUlS10_E1_NS1_11comp_targetILNS1_3genE10ELNS1_11target_archE1201ELNS1_3gpuE5ELNS1_3repE0EEENS1_36merge_oddeven_config_static_selectorELNS0_4arch9wavefront6targetE0EEEvSM_
    .private_segment_fixed_size: 0
    .sgpr_count:     0
    .sgpr_spill_count: 0
    .symbol:         _ZN7rocprim17ROCPRIM_400000_NS6detail17trampoline_kernelINS0_14default_configENS1_38merge_sort_block_merge_config_selectorIlNS0_10empty_typeEEEZZNS1_27merge_sort_block_merge_implIS3_PlPS5_mZN2at6native12_GLOBAL__N_124unique_dim_cuda_templateIsEESt5tupleIJNSA_6TensorESF_SF_EERKSF_lbbbEUlllE_EE10hipError_tT0_T1_T2_jT3_P12ihipStream_tbPNSt15iterator_traitsISL_E10value_typeEPNSR_ISM_E10value_typeEPSN_NS1_7vsmem_tEENKUlT_SL_SM_SN_E_clIS8_S8_S9_S9_EESK_S10_SL_SM_SN_EUlS10_E1_NS1_11comp_targetILNS1_3genE10ELNS1_11target_archE1201ELNS1_3gpuE5ELNS1_3repE0EEENS1_36merge_oddeven_config_static_selectorELNS0_4arch9wavefront6targetE0EEEvSM_.kd
    .uniform_work_group_size: 1
    .uses_dynamic_stack: false
    .vgpr_count:     0
    .vgpr_spill_count: 0
    .wavefront_size: 32
  - .args:
      - .offset:         0
        .size:           64
        .value_kind:     by_value
    .group_segment_fixed_size: 0
    .kernarg_segment_align: 8
    .kernarg_segment_size: 64
    .language:       OpenCL C
    .language_version:
      - 2
      - 0
    .max_flat_workgroup_size: 256
    .name:           _ZN7rocprim17ROCPRIM_400000_NS6detail17trampoline_kernelINS0_14default_configENS1_38merge_sort_block_merge_config_selectorIlNS0_10empty_typeEEEZZNS1_27merge_sort_block_merge_implIS3_PlPS5_mZN2at6native12_GLOBAL__N_124unique_dim_cuda_templateIsEESt5tupleIJNSA_6TensorESF_SF_EERKSF_lbbbEUlllE_EE10hipError_tT0_T1_T2_jT3_P12ihipStream_tbPNSt15iterator_traitsISL_E10value_typeEPNSR_ISM_E10value_typeEPSN_NS1_7vsmem_tEENKUlT_SL_SM_SN_E_clIS8_S8_S9_S9_EESK_S10_SL_SM_SN_EUlS10_E1_NS1_11comp_targetILNS1_3genE5ELNS1_11target_archE942ELNS1_3gpuE9ELNS1_3repE0EEENS1_36merge_oddeven_config_static_selectorELNS0_4arch9wavefront6targetE0EEEvSM_
    .private_segment_fixed_size: 0
    .sgpr_count:     0
    .sgpr_spill_count: 0
    .symbol:         _ZN7rocprim17ROCPRIM_400000_NS6detail17trampoline_kernelINS0_14default_configENS1_38merge_sort_block_merge_config_selectorIlNS0_10empty_typeEEEZZNS1_27merge_sort_block_merge_implIS3_PlPS5_mZN2at6native12_GLOBAL__N_124unique_dim_cuda_templateIsEESt5tupleIJNSA_6TensorESF_SF_EERKSF_lbbbEUlllE_EE10hipError_tT0_T1_T2_jT3_P12ihipStream_tbPNSt15iterator_traitsISL_E10value_typeEPNSR_ISM_E10value_typeEPSN_NS1_7vsmem_tEENKUlT_SL_SM_SN_E_clIS8_S8_S9_S9_EESK_S10_SL_SM_SN_EUlS10_E1_NS1_11comp_targetILNS1_3genE5ELNS1_11target_archE942ELNS1_3gpuE9ELNS1_3repE0EEENS1_36merge_oddeven_config_static_selectorELNS0_4arch9wavefront6targetE0EEEvSM_.kd
    .uniform_work_group_size: 1
    .uses_dynamic_stack: false
    .vgpr_count:     0
    .vgpr_spill_count: 0
    .wavefront_size: 32
  - .args:
      - .offset:         0
        .size:           64
        .value_kind:     by_value
    .group_segment_fixed_size: 0
    .kernarg_segment_align: 8
    .kernarg_segment_size: 64
    .language:       OpenCL C
    .language_version:
      - 2
      - 0
    .max_flat_workgroup_size: 256
    .name:           _ZN7rocprim17ROCPRIM_400000_NS6detail17trampoline_kernelINS0_14default_configENS1_38merge_sort_block_merge_config_selectorIlNS0_10empty_typeEEEZZNS1_27merge_sort_block_merge_implIS3_PlPS5_mZN2at6native12_GLOBAL__N_124unique_dim_cuda_templateIsEESt5tupleIJNSA_6TensorESF_SF_EERKSF_lbbbEUlllE_EE10hipError_tT0_T1_T2_jT3_P12ihipStream_tbPNSt15iterator_traitsISL_E10value_typeEPNSR_ISM_E10value_typeEPSN_NS1_7vsmem_tEENKUlT_SL_SM_SN_E_clIS8_S8_S9_S9_EESK_S10_SL_SM_SN_EUlS10_E1_NS1_11comp_targetILNS1_3genE4ELNS1_11target_archE910ELNS1_3gpuE8ELNS1_3repE0EEENS1_36merge_oddeven_config_static_selectorELNS0_4arch9wavefront6targetE0EEEvSM_
    .private_segment_fixed_size: 0
    .sgpr_count:     0
    .sgpr_spill_count: 0
    .symbol:         _ZN7rocprim17ROCPRIM_400000_NS6detail17trampoline_kernelINS0_14default_configENS1_38merge_sort_block_merge_config_selectorIlNS0_10empty_typeEEEZZNS1_27merge_sort_block_merge_implIS3_PlPS5_mZN2at6native12_GLOBAL__N_124unique_dim_cuda_templateIsEESt5tupleIJNSA_6TensorESF_SF_EERKSF_lbbbEUlllE_EE10hipError_tT0_T1_T2_jT3_P12ihipStream_tbPNSt15iterator_traitsISL_E10value_typeEPNSR_ISM_E10value_typeEPSN_NS1_7vsmem_tEENKUlT_SL_SM_SN_E_clIS8_S8_S9_S9_EESK_S10_SL_SM_SN_EUlS10_E1_NS1_11comp_targetILNS1_3genE4ELNS1_11target_archE910ELNS1_3gpuE8ELNS1_3repE0EEENS1_36merge_oddeven_config_static_selectorELNS0_4arch9wavefront6targetE0EEEvSM_.kd
    .uniform_work_group_size: 1
    .uses_dynamic_stack: false
    .vgpr_count:     0
    .vgpr_spill_count: 0
    .wavefront_size: 32
  - .args:
      - .offset:         0
        .size:           64
        .value_kind:     by_value
    .group_segment_fixed_size: 0
    .kernarg_segment_align: 8
    .kernarg_segment_size: 64
    .language:       OpenCL C
    .language_version:
      - 2
      - 0
    .max_flat_workgroup_size: 256
    .name:           _ZN7rocprim17ROCPRIM_400000_NS6detail17trampoline_kernelINS0_14default_configENS1_38merge_sort_block_merge_config_selectorIlNS0_10empty_typeEEEZZNS1_27merge_sort_block_merge_implIS3_PlPS5_mZN2at6native12_GLOBAL__N_124unique_dim_cuda_templateIsEESt5tupleIJNSA_6TensorESF_SF_EERKSF_lbbbEUlllE_EE10hipError_tT0_T1_T2_jT3_P12ihipStream_tbPNSt15iterator_traitsISL_E10value_typeEPNSR_ISM_E10value_typeEPSN_NS1_7vsmem_tEENKUlT_SL_SM_SN_E_clIS8_S8_S9_S9_EESK_S10_SL_SM_SN_EUlS10_E1_NS1_11comp_targetILNS1_3genE3ELNS1_11target_archE908ELNS1_3gpuE7ELNS1_3repE0EEENS1_36merge_oddeven_config_static_selectorELNS0_4arch9wavefront6targetE0EEEvSM_
    .private_segment_fixed_size: 0
    .sgpr_count:     0
    .sgpr_spill_count: 0
    .symbol:         _ZN7rocprim17ROCPRIM_400000_NS6detail17trampoline_kernelINS0_14default_configENS1_38merge_sort_block_merge_config_selectorIlNS0_10empty_typeEEEZZNS1_27merge_sort_block_merge_implIS3_PlPS5_mZN2at6native12_GLOBAL__N_124unique_dim_cuda_templateIsEESt5tupleIJNSA_6TensorESF_SF_EERKSF_lbbbEUlllE_EE10hipError_tT0_T1_T2_jT3_P12ihipStream_tbPNSt15iterator_traitsISL_E10value_typeEPNSR_ISM_E10value_typeEPSN_NS1_7vsmem_tEENKUlT_SL_SM_SN_E_clIS8_S8_S9_S9_EESK_S10_SL_SM_SN_EUlS10_E1_NS1_11comp_targetILNS1_3genE3ELNS1_11target_archE908ELNS1_3gpuE7ELNS1_3repE0EEENS1_36merge_oddeven_config_static_selectorELNS0_4arch9wavefront6targetE0EEEvSM_.kd
    .uniform_work_group_size: 1
    .uses_dynamic_stack: false
    .vgpr_count:     0
    .vgpr_spill_count: 0
    .wavefront_size: 32
  - .args:
      - .offset:         0
        .size:           64
        .value_kind:     by_value
    .group_segment_fixed_size: 0
    .kernarg_segment_align: 8
    .kernarg_segment_size: 64
    .language:       OpenCL C
    .language_version:
      - 2
      - 0
    .max_flat_workgroup_size: 256
    .name:           _ZN7rocprim17ROCPRIM_400000_NS6detail17trampoline_kernelINS0_14default_configENS1_38merge_sort_block_merge_config_selectorIlNS0_10empty_typeEEEZZNS1_27merge_sort_block_merge_implIS3_PlPS5_mZN2at6native12_GLOBAL__N_124unique_dim_cuda_templateIsEESt5tupleIJNSA_6TensorESF_SF_EERKSF_lbbbEUlllE_EE10hipError_tT0_T1_T2_jT3_P12ihipStream_tbPNSt15iterator_traitsISL_E10value_typeEPNSR_ISM_E10value_typeEPSN_NS1_7vsmem_tEENKUlT_SL_SM_SN_E_clIS8_S8_S9_S9_EESK_S10_SL_SM_SN_EUlS10_E1_NS1_11comp_targetILNS1_3genE2ELNS1_11target_archE906ELNS1_3gpuE6ELNS1_3repE0EEENS1_36merge_oddeven_config_static_selectorELNS0_4arch9wavefront6targetE0EEEvSM_
    .private_segment_fixed_size: 0
    .sgpr_count:     0
    .sgpr_spill_count: 0
    .symbol:         _ZN7rocprim17ROCPRIM_400000_NS6detail17trampoline_kernelINS0_14default_configENS1_38merge_sort_block_merge_config_selectorIlNS0_10empty_typeEEEZZNS1_27merge_sort_block_merge_implIS3_PlPS5_mZN2at6native12_GLOBAL__N_124unique_dim_cuda_templateIsEESt5tupleIJNSA_6TensorESF_SF_EERKSF_lbbbEUlllE_EE10hipError_tT0_T1_T2_jT3_P12ihipStream_tbPNSt15iterator_traitsISL_E10value_typeEPNSR_ISM_E10value_typeEPSN_NS1_7vsmem_tEENKUlT_SL_SM_SN_E_clIS8_S8_S9_S9_EESK_S10_SL_SM_SN_EUlS10_E1_NS1_11comp_targetILNS1_3genE2ELNS1_11target_archE906ELNS1_3gpuE6ELNS1_3repE0EEENS1_36merge_oddeven_config_static_selectorELNS0_4arch9wavefront6targetE0EEEvSM_.kd
    .uniform_work_group_size: 1
    .uses_dynamic_stack: false
    .vgpr_count:     0
    .vgpr_spill_count: 0
    .wavefront_size: 32
  - .args:
      - .offset:         0
        .size:           64
        .value_kind:     by_value
    .group_segment_fixed_size: 0
    .kernarg_segment_align: 8
    .kernarg_segment_size: 64
    .language:       OpenCL C
    .language_version:
      - 2
      - 0
    .max_flat_workgroup_size: 256
    .name:           _ZN7rocprim17ROCPRIM_400000_NS6detail17trampoline_kernelINS0_14default_configENS1_38merge_sort_block_merge_config_selectorIlNS0_10empty_typeEEEZZNS1_27merge_sort_block_merge_implIS3_PlPS5_mZN2at6native12_GLOBAL__N_124unique_dim_cuda_templateIsEESt5tupleIJNSA_6TensorESF_SF_EERKSF_lbbbEUlllE_EE10hipError_tT0_T1_T2_jT3_P12ihipStream_tbPNSt15iterator_traitsISL_E10value_typeEPNSR_ISM_E10value_typeEPSN_NS1_7vsmem_tEENKUlT_SL_SM_SN_E_clIS8_S8_S9_S9_EESK_S10_SL_SM_SN_EUlS10_E1_NS1_11comp_targetILNS1_3genE9ELNS1_11target_archE1100ELNS1_3gpuE3ELNS1_3repE0EEENS1_36merge_oddeven_config_static_selectorELNS0_4arch9wavefront6targetE0EEEvSM_
    .private_segment_fixed_size: 0
    .sgpr_count:     0
    .sgpr_spill_count: 0
    .symbol:         _ZN7rocprim17ROCPRIM_400000_NS6detail17trampoline_kernelINS0_14default_configENS1_38merge_sort_block_merge_config_selectorIlNS0_10empty_typeEEEZZNS1_27merge_sort_block_merge_implIS3_PlPS5_mZN2at6native12_GLOBAL__N_124unique_dim_cuda_templateIsEESt5tupleIJNSA_6TensorESF_SF_EERKSF_lbbbEUlllE_EE10hipError_tT0_T1_T2_jT3_P12ihipStream_tbPNSt15iterator_traitsISL_E10value_typeEPNSR_ISM_E10value_typeEPSN_NS1_7vsmem_tEENKUlT_SL_SM_SN_E_clIS8_S8_S9_S9_EESK_S10_SL_SM_SN_EUlS10_E1_NS1_11comp_targetILNS1_3genE9ELNS1_11target_archE1100ELNS1_3gpuE3ELNS1_3repE0EEENS1_36merge_oddeven_config_static_selectorELNS0_4arch9wavefront6targetE0EEEvSM_.kd
    .uniform_work_group_size: 1
    .uses_dynamic_stack: false
    .vgpr_count:     0
    .vgpr_spill_count: 0
    .wavefront_size: 32
  - .args:
      - .offset:         0
        .size:           64
        .value_kind:     by_value
    .group_segment_fixed_size: 0
    .kernarg_segment_align: 8
    .kernarg_segment_size: 64
    .language:       OpenCL C
    .language_version:
      - 2
      - 0
    .max_flat_workgroup_size: 256
    .name:           _ZN7rocprim17ROCPRIM_400000_NS6detail17trampoline_kernelINS0_14default_configENS1_38merge_sort_block_merge_config_selectorIlNS0_10empty_typeEEEZZNS1_27merge_sort_block_merge_implIS3_PlPS5_mZN2at6native12_GLOBAL__N_124unique_dim_cuda_templateIsEESt5tupleIJNSA_6TensorESF_SF_EERKSF_lbbbEUlllE_EE10hipError_tT0_T1_T2_jT3_P12ihipStream_tbPNSt15iterator_traitsISL_E10value_typeEPNSR_ISM_E10value_typeEPSN_NS1_7vsmem_tEENKUlT_SL_SM_SN_E_clIS8_S8_S9_S9_EESK_S10_SL_SM_SN_EUlS10_E1_NS1_11comp_targetILNS1_3genE8ELNS1_11target_archE1030ELNS1_3gpuE2ELNS1_3repE0EEENS1_36merge_oddeven_config_static_selectorELNS0_4arch9wavefront6targetE0EEEvSM_
    .private_segment_fixed_size: 0
    .sgpr_count:     0
    .sgpr_spill_count: 0
    .symbol:         _ZN7rocprim17ROCPRIM_400000_NS6detail17trampoline_kernelINS0_14default_configENS1_38merge_sort_block_merge_config_selectorIlNS0_10empty_typeEEEZZNS1_27merge_sort_block_merge_implIS3_PlPS5_mZN2at6native12_GLOBAL__N_124unique_dim_cuda_templateIsEESt5tupleIJNSA_6TensorESF_SF_EERKSF_lbbbEUlllE_EE10hipError_tT0_T1_T2_jT3_P12ihipStream_tbPNSt15iterator_traitsISL_E10value_typeEPNSR_ISM_E10value_typeEPSN_NS1_7vsmem_tEENKUlT_SL_SM_SN_E_clIS8_S8_S9_S9_EESK_S10_SL_SM_SN_EUlS10_E1_NS1_11comp_targetILNS1_3genE8ELNS1_11target_archE1030ELNS1_3gpuE2ELNS1_3repE0EEENS1_36merge_oddeven_config_static_selectorELNS0_4arch9wavefront6targetE0EEEvSM_.kd
    .uniform_work_group_size: 1
    .uses_dynamic_stack: false
    .vgpr_count:     0
    .vgpr_spill_count: 0
    .wavefront_size: 32
  - .args:
      - .offset:         0
        .size:           64
        .value_kind:     by_value
    .group_segment_fixed_size: 2048
    .kernarg_segment_align: 8
    .kernarg_segment_size: 64
    .language:       OpenCL C
    .language_version:
      - 2
      - 0
    .max_flat_workgroup_size: 128
    .name:           _ZN7rocprim17ROCPRIM_400000_NS6detail17trampoline_kernelINS0_14default_configENS1_35adjacent_difference_config_selectorILb0ElEEZNS1_24adjacent_difference_implIS3_Lb0ELb0EPlS7_ZN2at6native12_GLOBAL__N_124unique_dim_cuda_templateIsEESt5tupleIJNS8_6TensorESD_SD_EERKSD_lbbbEUlllE1_EE10hipError_tPvRmT2_T3_mT4_P12ihipStream_tbEUlT_E_NS1_11comp_targetILNS1_3genE0ELNS1_11target_archE4294967295ELNS1_3gpuE0ELNS1_3repE0EEENS1_30default_config_static_selectorELNS0_4arch9wavefront6targetE0EEEvT1_
    .private_segment_fixed_size: 0
    .sgpr_count:     26
    .sgpr_spill_count: 0
    .symbol:         _ZN7rocprim17ROCPRIM_400000_NS6detail17trampoline_kernelINS0_14default_configENS1_35adjacent_difference_config_selectorILb0ElEEZNS1_24adjacent_difference_implIS3_Lb0ELb0EPlS7_ZN2at6native12_GLOBAL__N_124unique_dim_cuda_templateIsEESt5tupleIJNS8_6TensorESD_SD_EERKSD_lbbbEUlllE1_EE10hipError_tPvRmT2_T3_mT4_P12ihipStream_tbEUlT_E_NS1_11comp_targetILNS1_3genE0ELNS1_11target_archE4294967295ELNS1_3gpuE0ELNS1_3repE0EEENS1_30default_config_static_selectorELNS0_4arch9wavefront6targetE0EEEvT1_.kd
    .uniform_work_group_size: 1
    .uses_dynamic_stack: false
    .vgpr_count:     11
    .vgpr_spill_count: 0
    .wavefront_size: 32
  - .args:
      - .offset:         0
        .size:           64
        .value_kind:     by_value
    .group_segment_fixed_size: 0
    .kernarg_segment_align: 8
    .kernarg_segment_size: 64
    .language:       OpenCL C
    .language_version:
      - 2
      - 0
    .max_flat_workgroup_size: 128
    .name:           _ZN7rocprim17ROCPRIM_400000_NS6detail17trampoline_kernelINS0_14default_configENS1_35adjacent_difference_config_selectorILb0ElEEZNS1_24adjacent_difference_implIS3_Lb0ELb0EPlS7_ZN2at6native12_GLOBAL__N_124unique_dim_cuda_templateIsEESt5tupleIJNS8_6TensorESD_SD_EERKSD_lbbbEUlllE1_EE10hipError_tPvRmT2_T3_mT4_P12ihipStream_tbEUlT_E_NS1_11comp_targetILNS1_3genE10ELNS1_11target_archE1201ELNS1_3gpuE5ELNS1_3repE0EEENS1_30default_config_static_selectorELNS0_4arch9wavefront6targetE0EEEvT1_
    .private_segment_fixed_size: 0
    .sgpr_count:     0
    .sgpr_spill_count: 0
    .symbol:         _ZN7rocprim17ROCPRIM_400000_NS6detail17trampoline_kernelINS0_14default_configENS1_35adjacent_difference_config_selectorILb0ElEEZNS1_24adjacent_difference_implIS3_Lb0ELb0EPlS7_ZN2at6native12_GLOBAL__N_124unique_dim_cuda_templateIsEESt5tupleIJNS8_6TensorESD_SD_EERKSD_lbbbEUlllE1_EE10hipError_tPvRmT2_T3_mT4_P12ihipStream_tbEUlT_E_NS1_11comp_targetILNS1_3genE10ELNS1_11target_archE1201ELNS1_3gpuE5ELNS1_3repE0EEENS1_30default_config_static_selectorELNS0_4arch9wavefront6targetE0EEEvT1_.kd
    .uniform_work_group_size: 1
    .uses_dynamic_stack: false
    .vgpr_count:     0
    .vgpr_spill_count: 0
    .wavefront_size: 32
  - .args:
      - .offset:         0
        .size:           64
        .value_kind:     by_value
    .group_segment_fixed_size: 0
    .kernarg_segment_align: 8
    .kernarg_segment_size: 64
    .language:       OpenCL C
    .language_version:
      - 2
      - 0
    .max_flat_workgroup_size: 64
    .name:           _ZN7rocprim17ROCPRIM_400000_NS6detail17trampoline_kernelINS0_14default_configENS1_35adjacent_difference_config_selectorILb0ElEEZNS1_24adjacent_difference_implIS3_Lb0ELb0EPlS7_ZN2at6native12_GLOBAL__N_124unique_dim_cuda_templateIsEESt5tupleIJNS8_6TensorESD_SD_EERKSD_lbbbEUlllE1_EE10hipError_tPvRmT2_T3_mT4_P12ihipStream_tbEUlT_E_NS1_11comp_targetILNS1_3genE5ELNS1_11target_archE942ELNS1_3gpuE9ELNS1_3repE0EEENS1_30default_config_static_selectorELNS0_4arch9wavefront6targetE0EEEvT1_
    .private_segment_fixed_size: 0
    .sgpr_count:     0
    .sgpr_spill_count: 0
    .symbol:         _ZN7rocprim17ROCPRIM_400000_NS6detail17trampoline_kernelINS0_14default_configENS1_35adjacent_difference_config_selectorILb0ElEEZNS1_24adjacent_difference_implIS3_Lb0ELb0EPlS7_ZN2at6native12_GLOBAL__N_124unique_dim_cuda_templateIsEESt5tupleIJNS8_6TensorESD_SD_EERKSD_lbbbEUlllE1_EE10hipError_tPvRmT2_T3_mT4_P12ihipStream_tbEUlT_E_NS1_11comp_targetILNS1_3genE5ELNS1_11target_archE942ELNS1_3gpuE9ELNS1_3repE0EEENS1_30default_config_static_selectorELNS0_4arch9wavefront6targetE0EEEvT1_.kd
    .uniform_work_group_size: 1
    .uses_dynamic_stack: false
    .vgpr_count:     0
    .vgpr_spill_count: 0
    .wavefront_size: 32
  - .args:
      - .offset:         0
        .size:           64
        .value_kind:     by_value
    .group_segment_fixed_size: 0
    .kernarg_segment_align: 8
    .kernarg_segment_size: 64
    .language:       OpenCL C
    .language_version:
      - 2
      - 0
    .max_flat_workgroup_size: 256
    .name:           _ZN7rocprim17ROCPRIM_400000_NS6detail17trampoline_kernelINS0_14default_configENS1_35adjacent_difference_config_selectorILb0ElEEZNS1_24adjacent_difference_implIS3_Lb0ELb0EPlS7_ZN2at6native12_GLOBAL__N_124unique_dim_cuda_templateIsEESt5tupleIJNS8_6TensorESD_SD_EERKSD_lbbbEUlllE1_EE10hipError_tPvRmT2_T3_mT4_P12ihipStream_tbEUlT_E_NS1_11comp_targetILNS1_3genE4ELNS1_11target_archE910ELNS1_3gpuE8ELNS1_3repE0EEENS1_30default_config_static_selectorELNS0_4arch9wavefront6targetE0EEEvT1_
    .private_segment_fixed_size: 0
    .sgpr_count:     0
    .sgpr_spill_count: 0
    .symbol:         _ZN7rocprim17ROCPRIM_400000_NS6detail17trampoline_kernelINS0_14default_configENS1_35adjacent_difference_config_selectorILb0ElEEZNS1_24adjacent_difference_implIS3_Lb0ELb0EPlS7_ZN2at6native12_GLOBAL__N_124unique_dim_cuda_templateIsEESt5tupleIJNS8_6TensorESD_SD_EERKSD_lbbbEUlllE1_EE10hipError_tPvRmT2_T3_mT4_P12ihipStream_tbEUlT_E_NS1_11comp_targetILNS1_3genE4ELNS1_11target_archE910ELNS1_3gpuE8ELNS1_3repE0EEENS1_30default_config_static_selectorELNS0_4arch9wavefront6targetE0EEEvT1_.kd
    .uniform_work_group_size: 1
    .uses_dynamic_stack: false
    .vgpr_count:     0
    .vgpr_spill_count: 0
    .wavefront_size: 32
  - .args:
      - .offset:         0
        .size:           64
        .value_kind:     by_value
    .group_segment_fixed_size: 0
    .kernarg_segment_align: 8
    .kernarg_segment_size: 64
    .language:       OpenCL C
    .language_version:
      - 2
      - 0
    .max_flat_workgroup_size: 128
    .name:           _ZN7rocprim17ROCPRIM_400000_NS6detail17trampoline_kernelINS0_14default_configENS1_35adjacent_difference_config_selectorILb0ElEEZNS1_24adjacent_difference_implIS3_Lb0ELb0EPlS7_ZN2at6native12_GLOBAL__N_124unique_dim_cuda_templateIsEESt5tupleIJNS8_6TensorESD_SD_EERKSD_lbbbEUlllE1_EE10hipError_tPvRmT2_T3_mT4_P12ihipStream_tbEUlT_E_NS1_11comp_targetILNS1_3genE3ELNS1_11target_archE908ELNS1_3gpuE7ELNS1_3repE0EEENS1_30default_config_static_selectorELNS0_4arch9wavefront6targetE0EEEvT1_
    .private_segment_fixed_size: 0
    .sgpr_count:     0
    .sgpr_spill_count: 0
    .symbol:         _ZN7rocprim17ROCPRIM_400000_NS6detail17trampoline_kernelINS0_14default_configENS1_35adjacent_difference_config_selectorILb0ElEEZNS1_24adjacent_difference_implIS3_Lb0ELb0EPlS7_ZN2at6native12_GLOBAL__N_124unique_dim_cuda_templateIsEESt5tupleIJNS8_6TensorESD_SD_EERKSD_lbbbEUlllE1_EE10hipError_tPvRmT2_T3_mT4_P12ihipStream_tbEUlT_E_NS1_11comp_targetILNS1_3genE3ELNS1_11target_archE908ELNS1_3gpuE7ELNS1_3repE0EEENS1_30default_config_static_selectorELNS0_4arch9wavefront6targetE0EEEvT1_.kd
    .uniform_work_group_size: 1
    .uses_dynamic_stack: false
    .vgpr_count:     0
    .vgpr_spill_count: 0
    .wavefront_size: 32
  - .args:
      - .offset:         0
        .size:           64
        .value_kind:     by_value
    .group_segment_fixed_size: 0
    .kernarg_segment_align: 8
    .kernarg_segment_size: 64
    .language:       OpenCL C
    .language_version:
      - 2
      - 0
    .max_flat_workgroup_size: 128
    .name:           _ZN7rocprim17ROCPRIM_400000_NS6detail17trampoline_kernelINS0_14default_configENS1_35adjacent_difference_config_selectorILb0ElEEZNS1_24adjacent_difference_implIS3_Lb0ELb0EPlS7_ZN2at6native12_GLOBAL__N_124unique_dim_cuda_templateIsEESt5tupleIJNS8_6TensorESD_SD_EERKSD_lbbbEUlllE1_EE10hipError_tPvRmT2_T3_mT4_P12ihipStream_tbEUlT_E_NS1_11comp_targetILNS1_3genE2ELNS1_11target_archE906ELNS1_3gpuE6ELNS1_3repE0EEENS1_30default_config_static_selectorELNS0_4arch9wavefront6targetE0EEEvT1_
    .private_segment_fixed_size: 0
    .sgpr_count:     0
    .sgpr_spill_count: 0
    .symbol:         _ZN7rocprim17ROCPRIM_400000_NS6detail17trampoline_kernelINS0_14default_configENS1_35adjacent_difference_config_selectorILb0ElEEZNS1_24adjacent_difference_implIS3_Lb0ELb0EPlS7_ZN2at6native12_GLOBAL__N_124unique_dim_cuda_templateIsEESt5tupleIJNS8_6TensorESD_SD_EERKSD_lbbbEUlllE1_EE10hipError_tPvRmT2_T3_mT4_P12ihipStream_tbEUlT_E_NS1_11comp_targetILNS1_3genE2ELNS1_11target_archE906ELNS1_3gpuE6ELNS1_3repE0EEENS1_30default_config_static_selectorELNS0_4arch9wavefront6targetE0EEEvT1_.kd
    .uniform_work_group_size: 1
    .uses_dynamic_stack: false
    .vgpr_count:     0
    .vgpr_spill_count: 0
    .wavefront_size: 32
  - .args:
      - .offset:         0
        .size:           64
        .value_kind:     by_value
    .group_segment_fixed_size: 0
    .kernarg_segment_align: 8
    .kernarg_segment_size: 64
    .language:       OpenCL C
    .language_version:
      - 2
      - 0
    .max_flat_workgroup_size: 512
    .name:           _ZN7rocprim17ROCPRIM_400000_NS6detail17trampoline_kernelINS0_14default_configENS1_35adjacent_difference_config_selectorILb0ElEEZNS1_24adjacent_difference_implIS3_Lb0ELb0EPlS7_ZN2at6native12_GLOBAL__N_124unique_dim_cuda_templateIsEESt5tupleIJNS8_6TensorESD_SD_EERKSD_lbbbEUlllE1_EE10hipError_tPvRmT2_T3_mT4_P12ihipStream_tbEUlT_E_NS1_11comp_targetILNS1_3genE9ELNS1_11target_archE1100ELNS1_3gpuE3ELNS1_3repE0EEENS1_30default_config_static_selectorELNS0_4arch9wavefront6targetE0EEEvT1_
    .private_segment_fixed_size: 0
    .sgpr_count:     0
    .sgpr_spill_count: 0
    .symbol:         _ZN7rocprim17ROCPRIM_400000_NS6detail17trampoline_kernelINS0_14default_configENS1_35adjacent_difference_config_selectorILb0ElEEZNS1_24adjacent_difference_implIS3_Lb0ELb0EPlS7_ZN2at6native12_GLOBAL__N_124unique_dim_cuda_templateIsEESt5tupleIJNS8_6TensorESD_SD_EERKSD_lbbbEUlllE1_EE10hipError_tPvRmT2_T3_mT4_P12ihipStream_tbEUlT_E_NS1_11comp_targetILNS1_3genE9ELNS1_11target_archE1100ELNS1_3gpuE3ELNS1_3repE0EEENS1_30default_config_static_selectorELNS0_4arch9wavefront6targetE0EEEvT1_.kd
    .uniform_work_group_size: 1
    .uses_dynamic_stack: false
    .vgpr_count:     0
    .vgpr_spill_count: 0
    .wavefront_size: 32
  - .args:
      - .offset:         0
        .size:           64
        .value_kind:     by_value
    .group_segment_fixed_size: 0
    .kernarg_segment_align: 8
    .kernarg_segment_size: 64
    .language:       OpenCL C
    .language_version:
      - 2
      - 0
    .max_flat_workgroup_size: 1024
    .name:           _ZN7rocprim17ROCPRIM_400000_NS6detail17trampoline_kernelINS0_14default_configENS1_35adjacent_difference_config_selectorILb0ElEEZNS1_24adjacent_difference_implIS3_Lb0ELb0EPlS7_ZN2at6native12_GLOBAL__N_124unique_dim_cuda_templateIsEESt5tupleIJNS8_6TensorESD_SD_EERKSD_lbbbEUlllE1_EE10hipError_tPvRmT2_T3_mT4_P12ihipStream_tbEUlT_E_NS1_11comp_targetILNS1_3genE8ELNS1_11target_archE1030ELNS1_3gpuE2ELNS1_3repE0EEENS1_30default_config_static_selectorELNS0_4arch9wavefront6targetE0EEEvT1_
    .private_segment_fixed_size: 0
    .sgpr_count:     0
    .sgpr_spill_count: 0
    .symbol:         _ZN7rocprim17ROCPRIM_400000_NS6detail17trampoline_kernelINS0_14default_configENS1_35adjacent_difference_config_selectorILb0ElEEZNS1_24adjacent_difference_implIS3_Lb0ELb0EPlS7_ZN2at6native12_GLOBAL__N_124unique_dim_cuda_templateIsEESt5tupleIJNS8_6TensorESD_SD_EERKSD_lbbbEUlllE1_EE10hipError_tPvRmT2_T3_mT4_P12ihipStream_tbEUlT_E_NS1_11comp_targetILNS1_3genE8ELNS1_11target_archE1030ELNS1_3gpuE2ELNS1_3repE0EEENS1_30default_config_static_selectorELNS0_4arch9wavefront6targetE0EEEvT1_.kd
    .uniform_work_group_size: 1
    .uses_dynamic_stack: false
    .vgpr_count:     0
    .vgpr_spill_count: 0
    .wavefront_size: 32
  - .args:
      - .offset:         0
        .size:           56
        .value_kind:     by_value
      - .offset:         56
        .size:           4
        .value_kind:     hidden_block_count_x
      - .offset:         60
        .size:           4
        .value_kind:     hidden_block_count_y
      - .offset:         64
        .size:           4
        .value_kind:     hidden_block_count_z
      - .offset:         68
        .size:           2
        .value_kind:     hidden_group_size_x
      - .offset:         70
        .size:           2
        .value_kind:     hidden_group_size_y
      - .offset:         72
        .size:           2
        .value_kind:     hidden_group_size_z
      - .offset:         74
        .size:           2
        .value_kind:     hidden_remainder_x
      - .offset:         76
        .size:           2
        .value_kind:     hidden_remainder_y
      - .offset:         78
        .size:           2
        .value_kind:     hidden_remainder_z
      - .offset:         96
        .size:           8
        .value_kind:     hidden_global_offset_x
      - .offset:         104
        .size:           8
        .value_kind:     hidden_global_offset_y
      - .offset:         112
        .size:           8
        .value_kind:     hidden_global_offset_z
      - .offset:         120
        .size:           2
        .value_kind:     hidden_grid_dims
    .group_segment_fixed_size: 0
    .kernarg_segment_align: 8
    .kernarg_segment_size: 312
    .language:       OpenCL C
    .language_version:
      - 2
      - 0
    .max_flat_workgroup_size: 128
    .name:           _ZN7rocprim17ROCPRIM_400000_NS6detail17trampoline_kernelINS0_14default_configENS1_25transform_config_selectorIlLb0EEEZNS1_14transform_implILb0ES3_S5_NS0_18transform_iteratorINS0_17counting_iteratorImlEEZNS1_24adjacent_difference_implIS3_Lb1ELb0EPlSB_ZN2at6native12_GLOBAL__N_124unique_dim_cuda_templateIsEESt5tupleIJNSC_6TensorESH_SH_EERKSH_lbbbEUlllE1_EE10hipError_tPvRmT2_T3_mT4_P12ihipStream_tbEUlmE_lEESB_NS0_8identityIvEEEESM_SP_SQ_mSR_ST_bEUlT_E_NS1_11comp_targetILNS1_3genE0ELNS1_11target_archE4294967295ELNS1_3gpuE0ELNS1_3repE0EEENS1_30default_config_static_selectorELNS0_4arch9wavefront6targetE0EEEvT1_
    .private_segment_fixed_size: 0
    .sgpr_count:     16
    .sgpr_spill_count: 0
    .symbol:         _ZN7rocprim17ROCPRIM_400000_NS6detail17trampoline_kernelINS0_14default_configENS1_25transform_config_selectorIlLb0EEEZNS1_14transform_implILb0ES3_S5_NS0_18transform_iteratorINS0_17counting_iteratorImlEEZNS1_24adjacent_difference_implIS3_Lb1ELb0EPlSB_ZN2at6native12_GLOBAL__N_124unique_dim_cuda_templateIsEESt5tupleIJNSC_6TensorESH_SH_EERKSH_lbbbEUlllE1_EE10hipError_tPvRmT2_T3_mT4_P12ihipStream_tbEUlmE_lEESB_NS0_8identityIvEEEESM_SP_SQ_mSR_ST_bEUlT_E_NS1_11comp_targetILNS1_3genE0ELNS1_11target_archE4294967295ELNS1_3gpuE0ELNS1_3repE0EEENS1_30default_config_static_selectorELNS0_4arch9wavefront6targetE0EEEvT1_.kd
    .uniform_work_group_size: 1
    .uses_dynamic_stack: false
    .vgpr_count:     4
    .vgpr_spill_count: 0
    .wavefront_size: 32
  - .args:
      - .offset:         0
        .size:           56
        .value_kind:     by_value
    .group_segment_fixed_size: 0
    .kernarg_segment_align: 8
    .kernarg_segment_size: 56
    .language:       OpenCL C
    .language_version:
      - 2
      - 0
    .max_flat_workgroup_size: 512
    .name:           _ZN7rocprim17ROCPRIM_400000_NS6detail17trampoline_kernelINS0_14default_configENS1_25transform_config_selectorIlLb0EEEZNS1_14transform_implILb0ES3_S5_NS0_18transform_iteratorINS0_17counting_iteratorImlEEZNS1_24adjacent_difference_implIS3_Lb1ELb0EPlSB_ZN2at6native12_GLOBAL__N_124unique_dim_cuda_templateIsEESt5tupleIJNSC_6TensorESH_SH_EERKSH_lbbbEUlllE1_EE10hipError_tPvRmT2_T3_mT4_P12ihipStream_tbEUlmE_lEESB_NS0_8identityIvEEEESM_SP_SQ_mSR_ST_bEUlT_E_NS1_11comp_targetILNS1_3genE5ELNS1_11target_archE942ELNS1_3gpuE9ELNS1_3repE0EEENS1_30default_config_static_selectorELNS0_4arch9wavefront6targetE0EEEvT1_
    .private_segment_fixed_size: 0
    .sgpr_count:     0
    .sgpr_spill_count: 0
    .symbol:         _ZN7rocprim17ROCPRIM_400000_NS6detail17trampoline_kernelINS0_14default_configENS1_25transform_config_selectorIlLb0EEEZNS1_14transform_implILb0ES3_S5_NS0_18transform_iteratorINS0_17counting_iteratorImlEEZNS1_24adjacent_difference_implIS3_Lb1ELb0EPlSB_ZN2at6native12_GLOBAL__N_124unique_dim_cuda_templateIsEESt5tupleIJNSC_6TensorESH_SH_EERKSH_lbbbEUlllE1_EE10hipError_tPvRmT2_T3_mT4_P12ihipStream_tbEUlmE_lEESB_NS0_8identityIvEEEESM_SP_SQ_mSR_ST_bEUlT_E_NS1_11comp_targetILNS1_3genE5ELNS1_11target_archE942ELNS1_3gpuE9ELNS1_3repE0EEENS1_30default_config_static_selectorELNS0_4arch9wavefront6targetE0EEEvT1_.kd
    .uniform_work_group_size: 1
    .uses_dynamic_stack: false
    .vgpr_count:     0
    .vgpr_spill_count: 0
    .wavefront_size: 32
  - .args:
      - .offset:         0
        .size:           56
        .value_kind:     by_value
    .group_segment_fixed_size: 0
    .kernarg_segment_align: 8
    .kernarg_segment_size: 56
    .language:       OpenCL C
    .language_version:
      - 2
      - 0
    .max_flat_workgroup_size: 256
    .name:           _ZN7rocprim17ROCPRIM_400000_NS6detail17trampoline_kernelINS0_14default_configENS1_25transform_config_selectorIlLb0EEEZNS1_14transform_implILb0ES3_S5_NS0_18transform_iteratorINS0_17counting_iteratorImlEEZNS1_24adjacent_difference_implIS3_Lb1ELb0EPlSB_ZN2at6native12_GLOBAL__N_124unique_dim_cuda_templateIsEESt5tupleIJNSC_6TensorESH_SH_EERKSH_lbbbEUlllE1_EE10hipError_tPvRmT2_T3_mT4_P12ihipStream_tbEUlmE_lEESB_NS0_8identityIvEEEESM_SP_SQ_mSR_ST_bEUlT_E_NS1_11comp_targetILNS1_3genE4ELNS1_11target_archE910ELNS1_3gpuE8ELNS1_3repE0EEENS1_30default_config_static_selectorELNS0_4arch9wavefront6targetE0EEEvT1_
    .private_segment_fixed_size: 0
    .sgpr_count:     0
    .sgpr_spill_count: 0
    .symbol:         _ZN7rocprim17ROCPRIM_400000_NS6detail17trampoline_kernelINS0_14default_configENS1_25transform_config_selectorIlLb0EEEZNS1_14transform_implILb0ES3_S5_NS0_18transform_iteratorINS0_17counting_iteratorImlEEZNS1_24adjacent_difference_implIS3_Lb1ELb0EPlSB_ZN2at6native12_GLOBAL__N_124unique_dim_cuda_templateIsEESt5tupleIJNSC_6TensorESH_SH_EERKSH_lbbbEUlllE1_EE10hipError_tPvRmT2_T3_mT4_P12ihipStream_tbEUlmE_lEESB_NS0_8identityIvEEEESM_SP_SQ_mSR_ST_bEUlT_E_NS1_11comp_targetILNS1_3genE4ELNS1_11target_archE910ELNS1_3gpuE8ELNS1_3repE0EEENS1_30default_config_static_selectorELNS0_4arch9wavefront6targetE0EEEvT1_.kd
    .uniform_work_group_size: 1
    .uses_dynamic_stack: false
    .vgpr_count:     0
    .vgpr_spill_count: 0
    .wavefront_size: 32
  - .args:
      - .offset:         0
        .size:           56
        .value_kind:     by_value
    .group_segment_fixed_size: 0
    .kernarg_segment_align: 8
    .kernarg_segment_size: 56
    .language:       OpenCL C
    .language_version:
      - 2
      - 0
    .max_flat_workgroup_size: 128
    .name:           _ZN7rocprim17ROCPRIM_400000_NS6detail17trampoline_kernelINS0_14default_configENS1_25transform_config_selectorIlLb0EEEZNS1_14transform_implILb0ES3_S5_NS0_18transform_iteratorINS0_17counting_iteratorImlEEZNS1_24adjacent_difference_implIS3_Lb1ELb0EPlSB_ZN2at6native12_GLOBAL__N_124unique_dim_cuda_templateIsEESt5tupleIJNSC_6TensorESH_SH_EERKSH_lbbbEUlllE1_EE10hipError_tPvRmT2_T3_mT4_P12ihipStream_tbEUlmE_lEESB_NS0_8identityIvEEEESM_SP_SQ_mSR_ST_bEUlT_E_NS1_11comp_targetILNS1_3genE3ELNS1_11target_archE908ELNS1_3gpuE7ELNS1_3repE0EEENS1_30default_config_static_selectorELNS0_4arch9wavefront6targetE0EEEvT1_
    .private_segment_fixed_size: 0
    .sgpr_count:     0
    .sgpr_spill_count: 0
    .symbol:         _ZN7rocprim17ROCPRIM_400000_NS6detail17trampoline_kernelINS0_14default_configENS1_25transform_config_selectorIlLb0EEEZNS1_14transform_implILb0ES3_S5_NS0_18transform_iteratorINS0_17counting_iteratorImlEEZNS1_24adjacent_difference_implIS3_Lb1ELb0EPlSB_ZN2at6native12_GLOBAL__N_124unique_dim_cuda_templateIsEESt5tupleIJNSC_6TensorESH_SH_EERKSH_lbbbEUlllE1_EE10hipError_tPvRmT2_T3_mT4_P12ihipStream_tbEUlmE_lEESB_NS0_8identityIvEEEESM_SP_SQ_mSR_ST_bEUlT_E_NS1_11comp_targetILNS1_3genE3ELNS1_11target_archE908ELNS1_3gpuE7ELNS1_3repE0EEENS1_30default_config_static_selectorELNS0_4arch9wavefront6targetE0EEEvT1_.kd
    .uniform_work_group_size: 1
    .uses_dynamic_stack: false
    .vgpr_count:     0
    .vgpr_spill_count: 0
    .wavefront_size: 32
  - .args:
      - .offset:         0
        .size:           56
        .value_kind:     by_value
    .group_segment_fixed_size: 0
    .kernarg_segment_align: 8
    .kernarg_segment_size: 56
    .language:       OpenCL C
    .language_version:
      - 2
      - 0
    .max_flat_workgroup_size: 512
    .name:           _ZN7rocprim17ROCPRIM_400000_NS6detail17trampoline_kernelINS0_14default_configENS1_25transform_config_selectorIlLb0EEEZNS1_14transform_implILb0ES3_S5_NS0_18transform_iteratorINS0_17counting_iteratorImlEEZNS1_24adjacent_difference_implIS3_Lb1ELb0EPlSB_ZN2at6native12_GLOBAL__N_124unique_dim_cuda_templateIsEESt5tupleIJNSC_6TensorESH_SH_EERKSH_lbbbEUlllE1_EE10hipError_tPvRmT2_T3_mT4_P12ihipStream_tbEUlmE_lEESB_NS0_8identityIvEEEESM_SP_SQ_mSR_ST_bEUlT_E_NS1_11comp_targetILNS1_3genE2ELNS1_11target_archE906ELNS1_3gpuE6ELNS1_3repE0EEENS1_30default_config_static_selectorELNS0_4arch9wavefront6targetE0EEEvT1_
    .private_segment_fixed_size: 0
    .sgpr_count:     0
    .sgpr_spill_count: 0
    .symbol:         _ZN7rocprim17ROCPRIM_400000_NS6detail17trampoline_kernelINS0_14default_configENS1_25transform_config_selectorIlLb0EEEZNS1_14transform_implILb0ES3_S5_NS0_18transform_iteratorINS0_17counting_iteratorImlEEZNS1_24adjacent_difference_implIS3_Lb1ELb0EPlSB_ZN2at6native12_GLOBAL__N_124unique_dim_cuda_templateIsEESt5tupleIJNSC_6TensorESH_SH_EERKSH_lbbbEUlllE1_EE10hipError_tPvRmT2_T3_mT4_P12ihipStream_tbEUlmE_lEESB_NS0_8identityIvEEEESM_SP_SQ_mSR_ST_bEUlT_E_NS1_11comp_targetILNS1_3genE2ELNS1_11target_archE906ELNS1_3gpuE6ELNS1_3repE0EEENS1_30default_config_static_selectorELNS0_4arch9wavefront6targetE0EEEvT1_.kd
    .uniform_work_group_size: 1
    .uses_dynamic_stack: false
    .vgpr_count:     0
    .vgpr_spill_count: 0
    .wavefront_size: 32
  - .args:
      - .offset:         0
        .size:           56
        .value_kind:     by_value
    .group_segment_fixed_size: 0
    .kernarg_segment_align: 8
    .kernarg_segment_size: 56
    .language:       OpenCL C
    .language_version:
      - 2
      - 0
    .max_flat_workgroup_size: 1024
    .name:           _ZN7rocprim17ROCPRIM_400000_NS6detail17trampoline_kernelINS0_14default_configENS1_25transform_config_selectorIlLb0EEEZNS1_14transform_implILb0ES3_S5_NS0_18transform_iteratorINS0_17counting_iteratorImlEEZNS1_24adjacent_difference_implIS3_Lb1ELb0EPlSB_ZN2at6native12_GLOBAL__N_124unique_dim_cuda_templateIsEESt5tupleIJNSC_6TensorESH_SH_EERKSH_lbbbEUlllE1_EE10hipError_tPvRmT2_T3_mT4_P12ihipStream_tbEUlmE_lEESB_NS0_8identityIvEEEESM_SP_SQ_mSR_ST_bEUlT_E_NS1_11comp_targetILNS1_3genE10ELNS1_11target_archE1201ELNS1_3gpuE5ELNS1_3repE0EEENS1_30default_config_static_selectorELNS0_4arch9wavefront6targetE0EEEvT1_
    .private_segment_fixed_size: 0
    .sgpr_count:     0
    .sgpr_spill_count: 0
    .symbol:         _ZN7rocprim17ROCPRIM_400000_NS6detail17trampoline_kernelINS0_14default_configENS1_25transform_config_selectorIlLb0EEEZNS1_14transform_implILb0ES3_S5_NS0_18transform_iteratorINS0_17counting_iteratorImlEEZNS1_24adjacent_difference_implIS3_Lb1ELb0EPlSB_ZN2at6native12_GLOBAL__N_124unique_dim_cuda_templateIsEESt5tupleIJNSC_6TensorESH_SH_EERKSH_lbbbEUlllE1_EE10hipError_tPvRmT2_T3_mT4_P12ihipStream_tbEUlmE_lEESB_NS0_8identityIvEEEESM_SP_SQ_mSR_ST_bEUlT_E_NS1_11comp_targetILNS1_3genE10ELNS1_11target_archE1201ELNS1_3gpuE5ELNS1_3repE0EEENS1_30default_config_static_selectorELNS0_4arch9wavefront6targetE0EEEvT1_.kd
    .uniform_work_group_size: 1
    .uses_dynamic_stack: false
    .vgpr_count:     0
    .vgpr_spill_count: 0
    .wavefront_size: 32
  - .args:
      - .offset:         0
        .size:           56
        .value_kind:     by_value
    .group_segment_fixed_size: 0
    .kernarg_segment_align: 8
    .kernarg_segment_size: 56
    .language:       OpenCL C
    .language_version:
      - 2
      - 0
    .max_flat_workgroup_size: 512
    .name:           _ZN7rocprim17ROCPRIM_400000_NS6detail17trampoline_kernelINS0_14default_configENS1_25transform_config_selectorIlLb0EEEZNS1_14transform_implILb0ES3_S5_NS0_18transform_iteratorINS0_17counting_iteratorImlEEZNS1_24adjacent_difference_implIS3_Lb1ELb0EPlSB_ZN2at6native12_GLOBAL__N_124unique_dim_cuda_templateIsEESt5tupleIJNSC_6TensorESH_SH_EERKSH_lbbbEUlllE1_EE10hipError_tPvRmT2_T3_mT4_P12ihipStream_tbEUlmE_lEESB_NS0_8identityIvEEEESM_SP_SQ_mSR_ST_bEUlT_E_NS1_11comp_targetILNS1_3genE10ELNS1_11target_archE1200ELNS1_3gpuE4ELNS1_3repE0EEENS1_30default_config_static_selectorELNS0_4arch9wavefront6targetE0EEEvT1_
    .private_segment_fixed_size: 0
    .sgpr_count:     0
    .sgpr_spill_count: 0
    .symbol:         _ZN7rocprim17ROCPRIM_400000_NS6detail17trampoline_kernelINS0_14default_configENS1_25transform_config_selectorIlLb0EEEZNS1_14transform_implILb0ES3_S5_NS0_18transform_iteratorINS0_17counting_iteratorImlEEZNS1_24adjacent_difference_implIS3_Lb1ELb0EPlSB_ZN2at6native12_GLOBAL__N_124unique_dim_cuda_templateIsEESt5tupleIJNSC_6TensorESH_SH_EERKSH_lbbbEUlllE1_EE10hipError_tPvRmT2_T3_mT4_P12ihipStream_tbEUlmE_lEESB_NS0_8identityIvEEEESM_SP_SQ_mSR_ST_bEUlT_E_NS1_11comp_targetILNS1_3genE10ELNS1_11target_archE1200ELNS1_3gpuE4ELNS1_3repE0EEENS1_30default_config_static_selectorELNS0_4arch9wavefront6targetE0EEEvT1_.kd
    .uniform_work_group_size: 1
    .uses_dynamic_stack: false
    .vgpr_count:     0
    .vgpr_spill_count: 0
    .wavefront_size: 32
  - .args:
      - .offset:         0
        .size:           56
        .value_kind:     by_value
    .group_segment_fixed_size: 0
    .kernarg_segment_align: 8
    .kernarg_segment_size: 56
    .language:       OpenCL C
    .language_version:
      - 2
      - 0
    .max_flat_workgroup_size: 512
    .name:           _ZN7rocprim17ROCPRIM_400000_NS6detail17trampoline_kernelINS0_14default_configENS1_25transform_config_selectorIlLb0EEEZNS1_14transform_implILb0ES3_S5_NS0_18transform_iteratorINS0_17counting_iteratorImlEEZNS1_24adjacent_difference_implIS3_Lb1ELb0EPlSB_ZN2at6native12_GLOBAL__N_124unique_dim_cuda_templateIsEESt5tupleIJNSC_6TensorESH_SH_EERKSH_lbbbEUlllE1_EE10hipError_tPvRmT2_T3_mT4_P12ihipStream_tbEUlmE_lEESB_NS0_8identityIvEEEESM_SP_SQ_mSR_ST_bEUlT_E_NS1_11comp_targetILNS1_3genE9ELNS1_11target_archE1100ELNS1_3gpuE3ELNS1_3repE0EEENS1_30default_config_static_selectorELNS0_4arch9wavefront6targetE0EEEvT1_
    .private_segment_fixed_size: 0
    .sgpr_count:     0
    .sgpr_spill_count: 0
    .symbol:         _ZN7rocprim17ROCPRIM_400000_NS6detail17trampoline_kernelINS0_14default_configENS1_25transform_config_selectorIlLb0EEEZNS1_14transform_implILb0ES3_S5_NS0_18transform_iteratorINS0_17counting_iteratorImlEEZNS1_24adjacent_difference_implIS3_Lb1ELb0EPlSB_ZN2at6native12_GLOBAL__N_124unique_dim_cuda_templateIsEESt5tupleIJNSC_6TensorESH_SH_EERKSH_lbbbEUlllE1_EE10hipError_tPvRmT2_T3_mT4_P12ihipStream_tbEUlmE_lEESB_NS0_8identityIvEEEESM_SP_SQ_mSR_ST_bEUlT_E_NS1_11comp_targetILNS1_3genE9ELNS1_11target_archE1100ELNS1_3gpuE3ELNS1_3repE0EEENS1_30default_config_static_selectorELNS0_4arch9wavefront6targetE0EEEvT1_.kd
    .uniform_work_group_size: 1
    .uses_dynamic_stack: false
    .vgpr_count:     0
    .vgpr_spill_count: 0
    .wavefront_size: 32
  - .args:
      - .offset:         0
        .size:           56
        .value_kind:     by_value
    .group_segment_fixed_size: 0
    .kernarg_segment_align: 8
    .kernarg_segment_size: 56
    .language:       OpenCL C
    .language_version:
      - 2
      - 0
    .max_flat_workgroup_size: 512
    .name:           _ZN7rocprim17ROCPRIM_400000_NS6detail17trampoline_kernelINS0_14default_configENS1_25transform_config_selectorIlLb0EEEZNS1_14transform_implILb0ES3_S5_NS0_18transform_iteratorINS0_17counting_iteratorImlEEZNS1_24adjacent_difference_implIS3_Lb1ELb0EPlSB_ZN2at6native12_GLOBAL__N_124unique_dim_cuda_templateIsEESt5tupleIJNSC_6TensorESH_SH_EERKSH_lbbbEUlllE1_EE10hipError_tPvRmT2_T3_mT4_P12ihipStream_tbEUlmE_lEESB_NS0_8identityIvEEEESM_SP_SQ_mSR_ST_bEUlT_E_NS1_11comp_targetILNS1_3genE8ELNS1_11target_archE1030ELNS1_3gpuE2ELNS1_3repE0EEENS1_30default_config_static_selectorELNS0_4arch9wavefront6targetE0EEEvT1_
    .private_segment_fixed_size: 0
    .sgpr_count:     0
    .sgpr_spill_count: 0
    .symbol:         _ZN7rocprim17ROCPRIM_400000_NS6detail17trampoline_kernelINS0_14default_configENS1_25transform_config_selectorIlLb0EEEZNS1_14transform_implILb0ES3_S5_NS0_18transform_iteratorINS0_17counting_iteratorImlEEZNS1_24adjacent_difference_implIS3_Lb1ELb0EPlSB_ZN2at6native12_GLOBAL__N_124unique_dim_cuda_templateIsEESt5tupleIJNSC_6TensorESH_SH_EERKSH_lbbbEUlllE1_EE10hipError_tPvRmT2_T3_mT4_P12ihipStream_tbEUlmE_lEESB_NS0_8identityIvEEEESM_SP_SQ_mSR_ST_bEUlT_E_NS1_11comp_targetILNS1_3genE8ELNS1_11target_archE1030ELNS1_3gpuE2ELNS1_3repE0EEENS1_30default_config_static_selectorELNS0_4arch9wavefront6targetE0EEEvT1_.kd
    .uniform_work_group_size: 1
    .uses_dynamic_stack: false
    .vgpr_count:     0
    .vgpr_spill_count: 0
    .wavefront_size: 32
  - .args:
      - .offset:         0
        .size:           64
        .value_kind:     by_value
    .group_segment_fixed_size: 8448
    .kernarg_segment_align: 8
    .kernarg_segment_size: 64
    .language:       OpenCL C
    .language_version:
      - 2
      - 0
    .max_flat_workgroup_size: 512
    .name:           _ZN7rocprim17ROCPRIM_400000_NS6detail17trampoline_kernelINS0_14default_configENS1_35adjacent_difference_config_selectorILb1ElEEZNS1_24adjacent_difference_implIS3_Lb1ELb0EPlS7_ZN2at6native12_GLOBAL__N_124unique_dim_cuda_templateIsEESt5tupleIJNS8_6TensorESD_SD_EERKSD_lbbbEUlllE1_EE10hipError_tPvRmT2_T3_mT4_P12ihipStream_tbEUlT_E_NS1_11comp_targetILNS1_3genE0ELNS1_11target_archE4294967295ELNS1_3gpuE0ELNS1_3repE0EEENS1_30default_config_static_selectorELNS0_4arch9wavefront6targetE0EEEvT1_
    .private_segment_fixed_size: 0
    .sgpr_count:     31
    .sgpr_spill_count: 0
    .symbol:         _ZN7rocprim17ROCPRIM_400000_NS6detail17trampoline_kernelINS0_14default_configENS1_35adjacent_difference_config_selectorILb1ElEEZNS1_24adjacent_difference_implIS3_Lb1ELb0EPlS7_ZN2at6native12_GLOBAL__N_124unique_dim_cuda_templateIsEESt5tupleIJNS8_6TensorESD_SD_EERKSD_lbbbEUlllE1_EE10hipError_tPvRmT2_T3_mT4_P12ihipStream_tbEUlT_E_NS1_11comp_targetILNS1_3genE0ELNS1_11target_archE4294967295ELNS1_3gpuE0ELNS1_3repE0EEENS1_30default_config_static_selectorELNS0_4arch9wavefront6targetE0EEEvT1_.kd
    .uniform_work_group_size: 1
    .uses_dynamic_stack: false
    .vgpr_count:     16
    .vgpr_spill_count: 0
    .wavefront_size: 32
  - .args:
      - .offset:         0
        .size:           64
        .value_kind:     by_value
    .group_segment_fixed_size: 0
    .kernarg_segment_align: 8
    .kernarg_segment_size: 64
    .language:       OpenCL C
    .language_version:
      - 2
      - 0
    .max_flat_workgroup_size: 32
    .name:           _ZN7rocprim17ROCPRIM_400000_NS6detail17trampoline_kernelINS0_14default_configENS1_35adjacent_difference_config_selectorILb1ElEEZNS1_24adjacent_difference_implIS3_Lb1ELb0EPlS7_ZN2at6native12_GLOBAL__N_124unique_dim_cuda_templateIsEESt5tupleIJNS8_6TensorESD_SD_EERKSD_lbbbEUlllE1_EE10hipError_tPvRmT2_T3_mT4_P12ihipStream_tbEUlT_E_NS1_11comp_targetILNS1_3genE10ELNS1_11target_archE1201ELNS1_3gpuE5ELNS1_3repE0EEENS1_30default_config_static_selectorELNS0_4arch9wavefront6targetE0EEEvT1_
    .private_segment_fixed_size: 0
    .sgpr_count:     0
    .sgpr_spill_count: 0
    .symbol:         _ZN7rocprim17ROCPRIM_400000_NS6detail17trampoline_kernelINS0_14default_configENS1_35adjacent_difference_config_selectorILb1ElEEZNS1_24adjacent_difference_implIS3_Lb1ELb0EPlS7_ZN2at6native12_GLOBAL__N_124unique_dim_cuda_templateIsEESt5tupleIJNS8_6TensorESD_SD_EERKSD_lbbbEUlllE1_EE10hipError_tPvRmT2_T3_mT4_P12ihipStream_tbEUlT_E_NS1_11comp_targetILNS1_3genE10ELNS1_11target_archE1201ELNS1_3gpuE5ELNS1_3repE0EEENS1_30default_config_static_selectorELNS0_4arch9wavefront6targetE0EEEvT1_.kd
    .uniform_work_group_size: 1
    .uses_dynamic_stack: false
    .vgpr_count:     0
    .vgpr_spill_count: 0
    .wavefront_size: 32
  - .args:
      - .offset:         0
        .size:           64
        .value_kind:     by_value
    .group_segment_fixed_size: 0
    .kernarg_segment_align: 8
    .kernarg_segment_size: 64
    .language:       OpenCL C
    .language_version:
      - 2
      - 0
    .max_flat_workgroup_size: 256
    .name:           _ZN7rocprim17ROCPRIM_400000_NS6detail17trampoline_kernelINS0_14default_configENS1_35adjacent_difference_config_selectorILb1ElEEZNS1_24adjacent_difference_implIS3_Lb1ELb0EPlS7_ZN2at6native12_GLOBAL__N_124unique_dim_cuda_templateIsEESt5tupleIJNS8_6TensorESD_SD_EERKSD_lbbbEUlllE1_EE10hipError_tPvRmT2_T3_mT4_P12ihipStream_tbEUlT_E_NS1_11comp_targetILNS1_3genE5ELNS1_11target_archE942ELNS1_3gpuE9ELNS1_3repE0EEENS1_30default_config_static_selectorELNS0_4arch9wavefront6targetE0EEEvT1_
    .private_segment_fixed_size: 0
    .sgpr_count:     0
    .sgpr_spill_count: 0
    .symbol:         _ZN7rocprim17ROCPRIM_400000_NS6detail17trampoline_kernelINS0_14default_configENS1_35adjacent_difference_config_selectorILb1ElEEZNS1_24adjacent_difference_implIS3_Lb1ELb0EPlS7_ZN2at6native12_GLOBAL__N_124unique_dim_cuda_templateIsEESt5tupleIJNS8_6TensorESD_SD_EERKSD_lbbbEUlllE1_EE10hipError_tPvRmT2_T3_mT4_P12ihipStream_tbEUlT_E_NS1_11comp_targetILNS1_3genE5ELNS1_11target_archE942ELNS1_3gpuE9ELNS1_3repE0EEENS1_30default_config_static_selectorELNS0_4arch9wavefront6targetE0EEEvT1_.kd
    .uniform_work_group_size: 1
    .uses_dynamic_stack: false
    .vgpr_count:     0
    .vgpr_spill_count: 0
    .wavefront_size: 32
  - .args:
      - .offset:         0
        .size:           64
        .value_kind:     by_value
    .group_segment_fixed_size: 0
    .kernarg_segment_align: 8
    .kernarg_segment_size: 64
    .language:       OpenCL C
    .language_version:
      - 2
      - 0
    .max_flat_workgroup_size: 512
    .name:           _ZN7rocprim17ROCPRIM_400000_NS6detail17trampoline_kernelINS0_14default_configENS1_35adjacent_difference_config_selectorILb1ElEEZNS1_24adjacent_difference_implIS3_Lb1ELb0EPlS7_ZN2at6native12_GLOBAL__N_124unique_dim_cuda_templateIsEESt5tupleIJNS8_6TensorESD_SD_EERKSD_lbbbEUlllE1_EE10hipError_tPvRmT2_T3_mT4_P12ihipStream_tbEUlT_E_NS1_11comp_targetILNS1_3genE4ELNS1_11target_archE910ELNS1_3gpuE8ELNS1_3repE0EEENS1_30default_config_static_selectorELNS0_4arch9wavefront6targetE0EEEvT1_
    .private_segment_fixed_size: 0
    .sgpr_count:     0
    .sgpr_spill_count: 0
    .symbol:         _ZN7rocprim17ROCPRIM_400000_NS6detail17trampoline_kernelINS0_14default_configENS1_35adjacent_difference_config_selectorILb1ElEEZNS1_24adjacent_difference_implIS3_Lb1ELb0EPlS7_ZN2at6native12_GLOBAL__N_124unique_dim_cuda_templateIsEESt5tupleIJNS8_6TensorESD_SD_EERKSD_lbbbEUlllE1_EE10hipError_tPvRmT2_T3_mT4_P12ihipStream_tbEUlT_E_NS1_11comp_targetILNS1_3genE4ELNS1_11target_archE910ELNS1_3gpuE8ELNS1_3repE0EEENS1_30default_config_static_selectorELNS0_4arch9wavefront6targetE0EEEvT1_.kd
    .uniform_work_group_size: 1
    .uses_dynamic_stack: false
    .vgpr_count:     0
    .vgpr_spill_count: 0
    .wavefront_size: 32
  - .args:
      - .offset:         0
        .size:           64
        .value_kind:     by_value
    .group_segment_fixed_size: 0
    .kernarg_segment_align: 8
    .kernarg_segment_size: 64
    .language:       OpenCL C
    .language_version:
      - 2
      - 0
    .max_flat_workgroup_size: 512
    .name:           _ZN7rocprim17ROCPRIM_400000_NS6detail17trampoline_kernelINS0_14default_configENS1_35adjacent_difference_config_selectorILb1ElEEZNS1_24adjacent_difference_implIS3_Lb1ELb0EPlS7_ZN2at6native12_GLOBAL__N_124unique_dim_cuda_templateIsEESt5tupleIJNS8_6TensorESD_SD_EERKSD_lbbbEUlllE1_EE10hipError_tPvRmT2_T3_mT4_P12ihipStream_tbEUlT_E_NS1_11comp_targetILNS1_3genE3ELNS1_11target_archE908ELNS1_3gpuE7ELNS1_3repE0EEENS1_30default_config_static_selectorELNS0_4arch9wavefront6targetE0EEEvT1_
    .private_segment_fixed_size: 0
    .sgpr_count:     0
    .sgpr_spill_count: 0
    .symbol:         _ZN7rocprim17ROCPRIM_400000_NS6detail17trampoline_kernelINS0_14default_configENS1_35adjacent_difference_config_selectorILb1ElEEZNS1_24adjacent_difference_implIS3_Lb1ELb0EPlS7_ZN2at6native12_GLOBAL__N_124unique_dim_cuda_templateIsEESt5tupleIJNS8_6TensorESD_SD_EERKSD_lbbbEUlllE1_EE10hipError_tPvRmT2_T3_mT4_P12ihipStream_tbEUlT_E_NS1_11comp_targetILNS1_3genE3ELNS1_11target_archE908ELNS1_3gpuE7ELNS1_3repE0EEENS1_30default_config_static_selectorELNS0_4arch9wavefront6targetE0EEEvT1_.kd
    .uniform_work_group_size: 1
    .uses_dynamic_stack: false
    .vgpr_count:     0
    .vgpr_spill_count: 0
    .wavefront_size: 32
  - .args:
      - .offset:         0
        .size:           64
        .value_kind:     by_value
    .group_segment_fixed_size: 0
    .kernarg_segment_align: 8
    .kernarg_segment_size: 64
    .language:       OpenCL C
    .language_version:
      - 2
      - 0
    .max_flat_workgroup_size: 128
    .name:           _ZN7rocprim17ROCPRIM_400000_NS6detail17trampoline_kernelINS0_14default_configENS1_35adjacent_difference_config_selectorILb1ElEEZNS1_24adjacent_difference_implIS3_Lb1ELb0EPlS7_ZN2at6native12_GLOBAL__N_124unique_dim_cuda_templateIsEESt5tupleIJNS8_6TensorESD_SD_EERKSD_lbbbEUlllE1_EE10hipError_tPvRmT2_T3_mT4_P12ihipStream_tbEUlT_E_NS1_11comp_targetILNS1_3genE2ELNS1_11target_archE906ELNS1_3gpuE6ELNS1_3repE0EEENS1_30default_config_static_selectorELNS0_4arch9wavefront6targetE0EEEvT1_
    .private_segment_fixed_size: 0
    .sgpr_count:     0
    .sgpr_spill_count: 0
    .symbol:         _ZN7rocprim17ROCPRIM_400000_NS6detail17trampoline_kernelINS0_14default_configENS1_35adjacent_difference_config_selectorILb1ElEEZNS1_24adjacent_difference_implIS3_Lb1ELb0EPlS7_ZN2at6native12_GLOBAL__N_124unique_dim_cuda_templateIsEESt5tupleIJNS8_6TensorESD_SD_EERKSD_lbbbEUlllE1_EE10hipError_tPvRmT2_T3_mT4_P12ihipStream_tbEUlT_E_NS1_11comp_targetILNS1_3genE2ELNS1_11target_archE906ELNS1_3gpuE6ELNS1_3repE0EEENS1_30default_config_static_selectorELNS0_4arch9wavefront6targetE0EEEvT1_.kd
    .uniform_work_group_size: 1
    .uses_dynamic_stack: false
    .vgpr_count:     0
    .vgpr_spill_count: 0
    .wavefront_size: 32
  - .args:
      - .offset:         0
        .size:           64
        .value_kind:     by_value
    .group_segment_fixed_size: 0
    .kernarg_segment_align: 8
    .kernarg_segment_size: 64
    .language:       OpenCL C
    .language_version:
      - 2
      - 0
    .max_flat_workgroup_size: 128
    .name:           _ZN7rocprim17ROCPRIM_400000_NS6detail17trampoline_kernelINS0_14default_configENS1_35adjacent_difference_config_selectorILb1ElEEZNS1_24adjacent_difference_implIS3_Lb1ELb0EPlS7_ZN2at6native12_GLOBAL__N_124unique_dim_cuda_templateIsEESt5tupleIJNS8_6TensorESD_SD_EERKSD_lbbbEUlllE1_EE10hipError_tPvRmT2_T3_mT4_P12ihipStream_tbEUlT_E_NS1_11comp_targetILNS1_3genE9ELNS1_11target_archE1100ELNS1_3gpuE3ELNS1_3repE0EEENS1_30default_config_static_selectorELNS0_4arch9wavefront6targetE0EEEvT1_
    .private_segment_fixed_size: 0
    .sgpr_count:     0
    .sgpr_spill_count: 0
    .symbol:         _ZN7rocprim17ROCPRIM_400000_NS6detail17trampoline_kernelINS0_14default_configENS1_35adjacent_difference_config_selectorILb1ElEEZNS1_24adjacent_difference_implIS3_Lb1ELb0EPlS7_ZN2at6native12_GLOBAL__N_124unique_dim_cuda_templateIsEESt5tupleIJNS8_6TensorESD_SD_EERKSD_lbbbEUlllE1_EE10hipError_tPvRmT2_T3_mT4_P12ihipStream_tbEUlT_E_NS1_11comp_targetILNS1_3genE9ELNS1_11target_archE1100ELNS1_3gpuE3ELNS1_3repE0EEENS1_30default_config_static_selectorELNS0_4arch9wavefront6targetE0EEEvT1_.kd
    .uniform_work_group_size: 1
    .uses_dynamic_stack: false
    .vgpr_count:     0
    .vgpr_spill_count: 0
    .wavefront_size: 32
  - .args:
      - .offset:         0
        .size:           64
        .value_kind:     by_value
    .group_segment_fixed_size: 0
    .kernarg_segment_align: 8
    .kernarg_segment_size: 64
    .language:       OpenCL C
    .language_version:
      - 2
      - 0
    .max_flat_workgroup_size: 32
    .name:           _ZN7rocprim17ROCPRIM_400000_NS6detail17trampoline_kernelINS0_14default_configENS1_35adjacent_difference_config_selectorILb1ElEEZNS1_24adjacent_difference_implIS3_Lb1ELb0EPlS7_ZN2at6native12_GLOBAL__N_124unique_dim_cuda_templateIsEESt5tupleIJNS8_6TensorESD_SD_EERKSD_lbbbEUlllE1_EE10hipError_tPvRmT2_T3_mT4_P12ihipStream_tbEUlT_E_NS1_11comp_targetILNS1_3genE8ELNS1_11target_archE1030ELNS1_3gpuE2ELNS1_3repE0EEENS1_30default_config_static_selectorELNS0_4arch9wavefront6targetE0EEEvT1_
    .private_segment_fixed_size: 0
    .sgpr_count:     0
    .sgpr_spill_count: 0
    .symbol:         _ZN7rocprim17ROCPRIM_400000_NS6detail17trampoline_kernelINS0_14default_configENS1_35adjacent_difference_config_selectorILb1ElEEZNS1_24adjacent_difference_implIS3_Lb1ELb0EPlS7_ZN2at6native12_GLOBAL__N_124unique_dim_cuda_templateIsEESt5tupleIJNS8_6TensorESD_SD_EERKSD_lbbbEUlllE1_EE10hipError_tPvRmT2_T3_mT4_P12ihipStream_tbEUlT_E_NS1_11comp_targetILNS1_3genE8ELNS1_11target_archE1030ELNS1_3gpuE2ELNS1_3repE0EEENS1_30default_config_static_selectorELNS0_4arch9wavefront6targetE0EEEvT1_.kd
    .uniform_work_group_size: 1
    .uses_dynamic_stack: false
    .vgpr_count:     0
    .vgpr_spill_count: 0
    .wavefront_size: 32
  - .args:
      - .offset:         0
        .size:           120
        .value_kind:     by_value
    .group_segment_fixed_size: 28680
    .kernarg_segment_align: 8
    .kernarg_segment_size: 120
    .language:       OpenCL C
    .language_version:
      - 2
      - 0
    .max_flat_workgroup_size: 512
    .name:           _ZN7rocprim17ROCPRIM_400000_NS6detail17trampoline_kernelINS0_14default_configENS1_25partition_config_selectorILNS1_17partition_subalgoE8ElNS0_10empty_typeEbEEZZNS1_14partition_implILS5_8ELb0ES3_jPlPS6_PKS6_NS0_5tupleIJS9_S6_EEENSD_IJSA_SA_EEENS0_18inequality_wrapperIZN2at6native12_GLOBAL__N_124unique_dim_cuda_templateIsEESt5tupleIJNSH_6TensorESM_SM_EERKSM_lbbbEUlllE0_EEPmJS6_EEE10hipError_tPvRmT3_T4_T5_T6_T7_T9_mT8_P12ihipStream_tbDpT10_ENKUlT_T0_E_clISt17integral_constantIbLb0EES1C_EEDaS17_S18_EUlS17_E_NS1_11comp_targetILNS1_3genE0ELNS1_11target_archE4294967295ELNS1_3gpuE0ELNS1_3repE0EEENS1_30default_config_static_selectorELNS0_4arch9wavefront6targetE0EEEvT1_
    .private_segment_fixed_size: 0
    .sgpr_count:     38
    .sgpr_spill_count: 0
    .symbol:         _ZN7rocprim17ROCPRIM_400000_NS6detail17trampoline_kernelINS0_14default_configENS1_25partition_config_selectorILNS1_17partition_subalgoE8ElNS0_10empty_typeEbEEZZNS1_14partition_implILS5_8ELb0ES3_jPlPS6_PKS6_NS0_5tupleIJS9_S6_EEENSD_IJSA_SA_EEENS0_18inequality_wrapperIZN2at6native12_GLOBAL__N_124unique_dim_cuda_templateIsEESt5tupleIJNSH_6TensorESM_SM_EERKSM_lbbbEUlllE0_EEPmJS6_EEE10hipError_tPvRmT3_T4_T5_T6_T7_T9_mT8_P12ihipStream_tbDpT10_ENKUlT_T0_E_clISt17integral_constantIbLb0EES1C_EEDaS17_S18_EUlS17_E_NS1_11comp_targetILNS1_3genE0ELNS1_11target_archE4294967295ELNS1_3gpuE0ELNS1_3repE0EEENS1_30default_config_static_selectorELNS0_4arch9wavefront6targetE0EEEvT1_.kd
    .uniform_work_group_size: 1
    .uses_dynamic_stack: false
    .vgpr_count:     54
    .vgpr_spill_count: 0
    .wavefront_size: 32
  - .args:
      - .offset:         0
        .size:           120
        .value_kind:     by_value
    .group_segment_fixed_size: 0
    .kernarg_segment_align: 8
    .kernarg_segment_size: 120
    .language:       OpenCL C
    .language_version:
      - 2
      - 0
    .max_flat_workgroup_size: 512
    .name:           _ZN7rocprim17ROCPRIM_400000_NS6detail17trampoline_kernelINS0_14default_configENS1_25partition_config_selectorILNS1_17partition_subalgoE8ElNS0_10empty_typeEbEEZZNS1_14partition_implILS5_8ELb0ES3_jPlPS6_PKS6_NS0_5tupleIJS9_S6_EEENSD_IJSA_SA_EEENS0_18inequality_wrapperIZN2at6native12_GLOBAL__N_124unique_dim_cuda_templateIsEESt5tupleIJNSH_6TensorESM_SM_EERKSM_lbbbEUlllE0_EEPmJS6_EEE10hipError_tPvRmT3_T4_T5_T6_T7_T9_mT8_P12ihipStream_tbDpT10_ENKUlT_T0_E_clISt17integral_constantIbLb0EES1C_EEDaS17_S18_EUlS17_E_NS1_11comp_targetILNS1_3genE5ELNS1_11target_archE942ELNS1_3gpuE9ELNS1_3repE0EEENS1_30default_config_static_selectorELNS0_4arch9wavefront6targetE0EEEvT1_
    .private_segment_fixed_size: 0
    .sgpr_count:     0
    .sgpr_spill_count: 0
    .symbol:         _ZN7rocprim17ROCPRIM_400000_NS6detail17trampoline_kernelINS0_14default_configENS1_25partition_config_selectorILNS1_17partition_subalgoE8ElNS0_10empty_typeEbEEZZNS1_14partition_implILS5_8ELb0ES3_jPlPS6_PKS6_NS0_5tupleIJS9_S6_EEENSD_IJSA_SA_EEENS0_18inequality_wrapperIZN2at6native12_GLOBAL__N_124unique_dim_cuda_templateIsEESt5tupleIJNSH_6TensorESM_SM_EERKSM_lbbbEUlllE0_EEPmJS6_EEE10hipError_tPvRmT3_T4_T5_T6_T7_T9_mT8_P12ihipStream_tbDpT10_ENKUlT_T0_E_clISt17integral_constantIbLb0EES1C_EEDaS17_S18_EUlS17_E_NS1_11comp_targetILNS1_3genE5ELNS1_11target_archE942ELNS1_3gpuE9ELNS1_3repE0EEENS1_30default_config_static_selectorELNS0_4arch9wavefront6targetE0EEEvT1_.kd
    .uniform_work_group_size: 1
    .uses_dynamic_stack: false
    .vgpr_count:     0
    .vgpr_spill_count: 0
    .wavefront_size: 32
  - .args:
      - .offset:         0
        .size:           120
        .value_kind:     by_value
    .group_segment_fixed_size: 0
    .kernarg_segment_align: 8
    .kernarg_segment_size: 120
    .language:       OpenCL C
    .language_version:
      - 2
      - 0
    .max_flat_workgroup_size: 256
    .name:           _ZN7rocprim17ROCPRIM_400000_NS6detail17trampoline_kernelINS0_14default_configENS1_25partition_config_selectorILNS1_17partition_subalgoE8ElNS0_10empty_typeEbEEZZNS1_14partition_implILS5_8ELb0ES3_jPlPS6_PKS6_NS0_5tupleIJS9_S6_EEENSD_IJSA_SA_EEENS0_18inequality_wrapperIZN2at6native12_GLOBAL__N_124unique_dim_cuda_templateIsEESt5tupleIJNSH_6TensorESM_SM_EERKSM_lbbbEUlllE0_EEPmJS6_EEE10hipError_tPvRmT3_T4_T5_T6_T7_T9_mT8_P12ihipStream_tbDpT10_ENKUlT_T0_E_clISt17integral_constantIbLb0EES1C_EEDaS17_S18_EUlS17_E_NS1_11comp_targetILNS1_3genE4ELNS1_11target_archE910ELNS1_3gpuE8ELNS1_3repE0EEENS1_30default_config_static_selectorELNS0_4arch9wavefront6targetE0EEEvT1_
    .private_segment_fixed_size: 0
    .sgpr_count:     0
    .sgpr_spill_count: 0
    .symbol:         _ZN7rocprim17ROCPRIM_400000_NS6detail17trampoline_kernelINS0_14default_configENS1_25partition_config_selectorILNS1_17partition_subalgoE8ElNS0_10empty_typeEbEEZZNS1_14partition_implILS5_8ELb0ES3_jPlPS6_PKS6_NS0_5tupleIJS9_S6_EEENSD_IJSA_SA_EEENS0_18inequality_wrapperIZN2at6native12_GLOBAL__N_124unique_dim_cuda_templateIsEESt5tupleIJNSH_6TensorESM_SM_EERKSM_lbbbEUlllE0_EEPmJS6_EEE10hipError_tPvRmT3_T4_T5_T6_T7_T9_mT8_P12ihipStream_tbDpT10_ENKUlT_T0_E_clISt17integral_constantIbLb0EES1C_EEDaS17_S18_EUlS17_E_NS1_11comp_targetILNS1_3genE4ELNS1_11target_archE910ELNS1_3gpuE8ELNS1_3repE0EEENS1_30default_config_static_selectorELNS0_4arch9wavefront6targetE0EEEvT1_.kd
    .uniform_work_group_size: 1
    .uses_dynamic_stack: false
    .vgpr_count:     0
    .vgpr_spill_count: 0
    .wavefront_size: 32
  - .args:
      - .offset:         0
        .size:           120
        .value_kind:     by_value
    .group_segment_fixed_size: 0
    .kernarg_segment_align: 8
    .kernarg_segment_size: 120
    .language:       OpenCL C
    .language_version:
      - 2
      - 0
    .max_flat_workgroup_size: 512
    .name:           _ZN7rocprim17ROCPRIM_400000_NS6detail17trampoline_kernelINS0_14default_configENS1_25partition_config_selectorILNS1_17partition_subalgoE8ElNS0_10empty_typeEbEEZZNS1_14partition_implILS5_8ELb0ES3_jPlPS6_PKS6_NS0_5tupleIJS9_S6_EEENSD_IJSA_SA_EEENS0_18inequality_wrapperIZN2at6native12_GLOBAL__N_124unique_dim_cuda_templateIsEESt5tupleIJNSH_6TensorESM_SM_EERKSM_lbbbEUlllE0_EEPmJS6_EEE10hipError_tPvRmT3_T4_T5_T6_T7_T9_mT8_P12ihipStream_tbDpT10_ENKUlT_T0_E_clISt17integral_constantIbLb0EES1C_EEDaS17_S18_EUlS17_E_NS1_11comp_targetILNS1_3genE3ELNS1_11target_archE908ELNS1_3gpuE7ELNS1_3repE0EEENS1_30default_config_static_selectorELNS0_4arch9wavefront6targetE0EEEvT1_
    .private_segment_fixed_size: 0
    .sgpr_count:     0
    .sgpr_spill_count: 0
    .symbol:         _ZN7rocprim17ROCPRIM_400000_NS6detail17trampoline_kernelINS0_14default_configENS1_25partition_config_selectorILNS1_17partition_subalgoE8ElNS0_10empty_typeEbEEZZNS1_14partition_implILS5_8ELb0ES3_jPlPS6_PKS6_NS0_5tupleIJS9_S6_EEENSD_IJSA_SA_EEENS0_18inequality_wrapperIZN2at6native12_GLOBAL__N_124unique_dim_cuda_templateIsEESt5tupleIJNSH_6TensorESM_SM_EERKSM_lbbbEUlllE0_EEPmJS6_EEE10hipError_tPvRmT3_T4_T5_T6_T7_T9_mT8_P12ihipStream_tbDpT10_ENKUlT_T0_E_clISt17integral_constantIbLb0EES1C_EEDaS17_S18_EUlS17_E_NS1_11comp_targetILNS1_3genE3ELNS1_11target_archE908ELNS1_3gpuE7ELNS1_3repE0EEENS1_30default_config_static_selectorELNS0_4arch9wavefront6targetE0EEEvT1_.kd
    .uniform_work_group_size: 1
    .uses_dynamic_stack: false
    .vgpr_count:     0
    .vgpr_spill_count: 0
    .wavefront_size: 32
  - .args:
      - .offset:         0
        .size:           120
        .value_kind:     by_value
    .group_segment_fixed_size: 0
    .kernarg_segment_align: 8
    .kernarg_segment_size: 120
    .language:       OpenCL C
    .language_version:
      - 2
      - 0
    .max_flat_workgroup_size: 256
    .name:           _ZN7rocprim17ROCPRIM_400000_NS6detail17trampoline_kernelINS0_14default_configENS1_25partition_config_selectorILNS1_17partition_subalgoE8ElNS0_10empty_typeEbEEZZNS1_14partition_implILS5_8ELb0ES3_jPlPS6_PKS6_NS0_5tupleIJS9_S6_EEENSD_IJSA_SA_EEENS0_18inequality_wrapperIZN2at6native12_GLOBAL__N_124unique_dim_cuda_templateIsEESt5tupleIJNSH_6TensorESM_SM_EERKSM_lbbbEUlllE0_EEPmJS6_EEE10hipError_tPvRmT3_T4_T5_T6_T7_T9_mT8_P12ihipStream_tbDpT10_ENKUlT_T0_E_clISt17integral_constantIbLb0EES1C_EEDaS17_S18_EUlS17_E_NS1_11comp_targetILNS1_3genE2ELNS1_11target_archE906ELNS1_3gpuE6ELNS1_3repE0EEENS1_30default_config_static_selectorELNS0_4arch9wavefront6targetE0EEEvT1_
    .private_segment_fixed_size: 0
    .sgpr_count:     0
    .sgpr_spill_count: 0
    .symbol:         _ZN7rocprim17ROCPRIM_400000_NS6detail17trampoline_kernelINS0_14default_configENS1_25partition_config_selectorILNS1_17partition_subalgoE8ElNS0_10empty_typeEbEEZZNS1_14partition_implILS5_8ELb0ES3_jPlPS6_PKS6_NS0_5tupleIJS9_S6_EEENSD_IJSA_SA_EEENS0_18inequality_wrapperIZN2at6native12_GLOBAL__N_124unique_dim_cuda_templateIsEESt5tupleIJNSH_6TensorESM_SM_EERKSM_lbbbEUlllE0_EEPmJS6_EEE10hipError_tPvRmT3_T4_T5_T6_T7_T9_mT8_P12ihipStream_tbDpT10_ENKUlT_T0_E_clISt17integral_constantIbLb0EES1C_EEDaS17_S18_EUlS17_E_NS1_11comp_targetILNS1_3genE2ELNS1_11target_archE906ELNS1_3gpuE6ELNS1_3repE0EEENS1_30default_config_static_selectorELNS0_4arch9wavefront6targetE0EEEvT1_.kd
    .uniform_work_group_size: 1
    .uses_dynamic_stack: false
    .vgpr_count:     0
    .vgpr_spill_count: 0
    .wavefront_size: 32
  - .args:
      - .offset:         0
        .size:           120
        .value_kind:     by_value
    .group_segment_fixed_size: 0
    .kernarg_segment_align: 8
    .kernarg_segment_size: 120
    .language:       OpenCL C
    .language_version:
      - 2
      - 0
    .max_flat_workgroup_size: 384
    .name:           _ZN7rocprim17ROCPRIM_400000_NS6detail17trampoline_kernelINS0_14default_configENS1_25partition_config_selectorILNS1_17partition_subalgoE8ElNS0_10empty_typeEbEEZZNS1_14partition_implILS5_8ELb0ES3_jPlPS6_PKS6_NS0_5tupleIJS9_S6_EEENSD_IJSA_SA_EEENS0_18inequality_wrapperIZN2at6native12_GLOBAL__N_124unique_dim_cuda_templateIsEESt5tupleIJNSH_6TensorESM_SM_EERKSM_lbbbEUlllE0_EEPmJS6_EEE10hipError_tPvRmT3_T4_T5_T6_T7_T9_mT8_P12ihipStream_tbDpT10_ENKUlT_T0_E_clISt17integral_constantIbLb0EES1C_EEDaS17_S18_EUlS17_E_NS1_11comp_targetILNS1_3genE10ELNS1_11target_archE1200ELNS1_3gpuE4ELNS1_3repE0EEENS1_30default_config_static_selectorELNS0_4arch9wavefront6targetE0EEEvT1_
    .private_segment_fixed_size: 0
    .sgpr_count:     0
    .sgpr_spill_count: 0
    .symbol:         _ZN7rocprim17ROCPRIM_400000_NS6detail17trampoline_kernelINS0_14default_configENS1_25partition_config_selectorILNS1_17partition_subalgoE8ElNS0_10empty_typeEbEEZZNS1_14partition_implILS5_8ELb0ES3_jPlPS6_PKS6_NS0_5tupleIJS9_S6_EEENSD_IJSA_SA_EEENS0_18inequality_wrapperIZN2at6native12_GLOBAL__N_124unique_dim_cuda_templateIsEESt5tupleIJNSH_6TensorESM_SM_EERKSM_lbbbEUlllE0_EEPmJS6_EEE10hipError_tPvRmT3_T4_T5_T6_T7_T9_mT8_P12ihipStream_tbDpT10_ENKUlT_T0_E_clISt17integral_constantIbLb0EES1C_EEDaS17_S18_EUlS17_E_NS1_11comp_targetILNS1_3genE10ELNS1_11target_archE1200ELNS1_3gpuE4ELNS1_3repE0EEENS1_30default_config_static_selectorELNS0_4arch9wavefront6targetE0EEEvT1_.kd
    .uniform_work_group_size: 1
    .uses_dynamic_stack: false
    .vgpr_count:     0
    .vgpr_spill_count: 0
    .wavefront_size: 32
  - .args:
      - .offset:         0
        .size:           120
        .value_kind:     by_value
    .group_segment_fixed_size: 0
    .kernarg_segment_align: 8
    .kernarg_segment_size: 120
    .language:       OpenCL C
    .language_version:
      - 2
      - 0
    .max_flat_workgroup_size: 512
    .name:           _ZN7rocprim17ROCPRIM_400000_NS6detail17trampoline_kernelINS0_14default_configENS1_25partition_config_selectorILNS1_17partition_subalgoE8ElNS0_10empty_typeEbEEZZNS1_14partition_implILS5_8ELb0ES3_jPlPS6_PKS6_NS0_5tupleIJS9_S6_EEENSD_IJSA_SA_EEENS0_18inequality_wrapperIZN2at6native12_GLOBAL__N_124unique_dim_cuda_templateIsEESt5tupleIJNSH_6TensorESM_SM_EERKSM_lbbbEUlllE0_EEPmJS6_EEE10hipError_tPvRmT3_T4_T5_T6_T7_T9_mT8_P12ihipStream_tbDpT10_ENKUlT_T0_E_clISt17integral_constantIbLb0EES1C_EEDaS17_S18_EUlS17_E_NS1_11comp_targetILNS1_3genE9ELNS1_11target_archE1100ELNS1_3gpuE3ELNS1_3repE0EEENS1_30default_config_static_selectorELNS0_4arch9wavefront6targetE0EEEvT1_
    .private_segment_fixed_size: 0
    .sgpr_count:     0
    .sgpr_spill_count: 0
    .symbol:         _ZN7rocprim17ROCPRIM_400000_NS6detail17trampoline_kernelINS0_14default_configENS1_25partition_config_selectorILNS1_17partition_subalgoE8ElNS0_10empty_typeEbEEZZNS1_14partition_implILS5_8ELb0ES3_jPlPS6_PKS6_NS0_5tupleIJS9_S6_EEENSD_IJSA_SA_EEENS0_18inequality_wrapperIZN2at6native12_GLOBAL__N_124unique_dim_cuda_templateIsEESt5tupleIJNSH_6TensorESM_SM_EERKSM_lbbbEUlllE0_EEPmJS6_EEE10hipError_tPvRmT3_T4_T5_T6_T7_T9_mT8_P12ihipStream_tbDpT10_ENKUlT_T0_E_clISt17integral_constantIbLb0EES1C_EEDaS17_S18_EUlS17_E_NS1_11comp_targetILNS1_3genE9ELNS1_11target_archE1100ELNS1_3gpuE3ELNS1_3repE0EEENS1_30default_config_static_selectorELNS0_4arch9wavefront6targetE0EEEvT1_.kd
    .uniform_work_group_size: 1
    .uses_dynamic_stack: false
    .vgpr_count:     0
    .vgpr_spill_count: 0
    .wavefront_size: 32
  - .args:
      - .offset:         0
        .size:           120
        .value_kind:     by_value
    .group_segment_fixed_size: 0
    .kernarg_segment_align: 8
    .kernarg_segment_size: 120
    .language:       OpenCL C
    .language_version:
      - 2
      - 0
    .max_flat_workgroup_size: 512
    .name:           _ZN7rocprim17ROCPRIM_400000_NS6detail17trampoline_kernelINS0_14default_configENS1_25partition_config_selectorILNS1_17partition_subalgoE8ElNS0_10empty_typeEbEEZZNS1_14partition_implILS5_8ELb0ES3_jPlPS6_PKS6_NS0_5tupleIJS9_S6_EEENSD_IJSA_SA_EEENS0_18inequality_wrapperIZN2at6native12_GLOBAL__N_124unique_dim_cuda_templateIsEESt5tupleIJNSH_6TensorESM_SM_EERKSM_lbbbEUlllE0_EEPmJS6_EEE10hipError_tPvRmT3_T4_T5_T6_T7_T9_mT8_P12ihipStream_tbDpT10_ENKUlT_T0_E_clISt17integral_constantIbLb0EES1C_EEDaS17_S18_EUlS17_E_NS1_11comp_targetILNS1_3genE8ELNS1_11target_archE1030ELNS1_3gpuE2ELNS1_3repE0EEENS1_30default_config_static_selectorELNS0_4arch9wavefront6targetE0EEEvT1_
    .private_segment_fixed_size: 0
    .sgpr_count:     0
    .sgpr_spill_count: 0
    .symbol:         _ZN7rocprim17ROCPRIM_400000_NS6detail17trampoline_kernelINS0_14default_configENS1_25partition_config_selectorILNS1_17partition_subalgoE8ElNS0_10empty_typeEbEEZZNS1_14partition_implILS5_8ELb0ES3_jPlPS6_PKS6_NS0_5tupleIJS9_S6_EEENSD_IJSA_SA_EEENS0_18inequality_wrapperIZN2at6native12_GLOBAL__N_124unique_dim_cuda_templateIsEESt5tupleIJNSH_6TensorESM_SM_EERKSM_lbbbEUlllE0_EEPmJS6_EEE10hipError_tPvRmT3_T4_T5_T6_T7_T9_mT8_P12ihipStream_tbDpT10_ENKUlT_T0_E_clISt17integral_constantIbLb0EES1C_EEDaS17_S18_EUlS17_E_NS1_11comp_targetILNS1_3genE8ELNS1_11target_archE1030ELNS1_3gpuE2ELNS1_3repE0EEENS1_30default_config_static_selectorELNS0_4arch9wavefront6targetE0EEEvT1_.kd
    .uniform_work_group_size: 1
    .uses_dynamic_stack: false
    .vgpr_count:     0
    .vgpr_spill_count: 0
    .wavefront_size: 32
  - .args:
      - .offset:         0
        .size:           136
        .value_kind:     by_value
    .group_segment_fixed_size: 0
    .kernarg_segment_align: 8
    .kernarg_segment_size: 136
    .language:       OpenCL C
    .language_version:
      - 2
      - 0
    .max_flat_workgroup_size: 512
    .name:           _ZN7rocprim17ROCPRIM_400000_NS6detail17trampoline_kernelINS0_14default_configENS1_25partition_config_selectorILNS1_17partition_subalgoE8ElNS0_10empty_typeEbEEZZNS1_14partition_implILS5_8ELb0ES3_jPlPS6_PKS6_NS0_5tupleIJS9_S6_EEENSD_IJSA_SA_EEENS0_18inequality_wrapperIZN2at6native12_GLOBAL__N_124unique_dim_cuda_templateIsEESt5tupleIJNSH_6TensorESM_SM_EERKSM_lbbbEUlllE0_EEPmJS6_EEE10hipError_tPvRmT3_T4_T5_T6_T7_T9_mT8_P12ihipStream_tbDpT10_ENKUlT_T0_E_clISt17integral_constantIbLb1EES1C_EEDaS17_S18_EUlS17_E_NS1_11comp_targetILNS1_3genE0ELNS1_11target_archE4294967295ELNS1_3gpuE0ELNS1_3repE0EEENS1_30default_config_static_selectorELNS0_4arch9wavefront6targetE0EEEvT1_
    .private_segment_fixed_size: 0
    .sgpr_count:     0
    .sgpr_spill_count: 0
    .symbol:         _ZN7rocprim17ROCPRIM_400000_NS6detail17trampoline_kernelINS0_14default_configENS1_25partition_config_selectorILNS1_17partition_subalgoE8ElNS0_10empty_typeEbEEZZNS1_14partition_implILS5_8ELb0ES3_jPlPS6_PKS6_NS0_5tupleIJS9_S6_EEENSD_IJSA_SA_EEENS0_18inequality_wrapperIZN2at6native12_GLOBAL__N_124unique_dim_cuda_templateIsEESt5tupleIJNSH_6TensorESM_SM_EERKSM_lbbbEUlllE0_EEPmJS6_EEE10hipError_tPvRmT3_T4_T5_T6_T7_T9_mT8_P12ihipStream_tbDpT10_ENKUlT_T0_E_clISt17integral_constantIbLb1EES1C_EEDaS17_S18_EUlS17_E_NS1_11comp_targetILNS1_3genE0ELNS1_11target_archE4294967295ELNS1_3gpuE0ELNS1_3repE0EEENS1_30default_config_static_selectorELNS0_4arch9wavefront6targetE0EEEvT1_.kd
    .uniform_work_group_size: 1
    .uses_dynamic_stack: false
    .vgpr_count:     0
    .vgpr_spill_count: 0
    .wavefront_size: 32
  - .args:
      - .offset:         0
        .size:           136
        .value_kind:     by_value
    .group_segment_fixed_size: 0
    .kernarg_segment_align: 8
    .kernarg_segment_size: 136
    .language:       OpenCL C
    .language_version:
      - 2
      - 0
    .max_flat_workgroup_size: 512
    .name:           _ZN7rocprim17ROCPRIM_400000_NS6detail17trampoline_kernelINS0_14default_configENS1_25partition_config_selectorILNS1_17partition_subalgoE8ElNS0_10empty_typeEbEEZZNS1_14partition_implILS5_8ELb0ES3_jPlPS6_PKS6_NS0_5tupleIJS9_S6_EEENSD_IJSA_SA_EEENS0_18inequality_wrapperIZN2at6native12_GLOBAL__N_124unique_dim_cuda_templateIsEESt5tupleIJNSH_6TensorESM_SM_EERKSM_lbbbEUlllE0_EEPmJS6_EEE10hipError_tPvRmT3_T4_T5_T6_T7_T9_mT8_P12ihipStream_tbDpT10_ENKUlT_T0_E_clISt17integral_constantIbLb1EES1C_EEDaS17_S18_EUlS17_E_NS1_11comp_targetILNS1_3genE5ELNS1_11target_archE942ELNS1_3gpuE9ELNS1_3repE0EEENS1_30default_config_static_selectorELNS0_4arch9wavefront6targetE0EEEvT1_
    .private_segment_fixed_size: 0
    .sgpr_count:     0
    .sgpr_spill_count: 0
    .symbol:         _ZN7rocprim17ROCPRIM_400000_NS6detail17trampoline_kernelINS0_14default_configENS1_25partition_config_selectorILNS1_17partition_subalgoE8ElNS0_10empty_typeEbEEZZNS1_14partition_implILS5_8ELb0ES3_jPlPS6_PKS6_NS0_5tupleIJS9_S6_EEENSD_IJSA_SA_EEENS0_18inequality_wrapperIZN2at6native12_GLOBAL__N_124unique_dim_cuda_templateIsEESt5tupleIJNSH_6TensorESM_SM_EERKSM_lbbbEUlllE0_EEPmJS6_EEE10hipError_tPvRmT3_T4_T5_T6_T7_T9_mT8_P12ihipStream_tbDpT10_ENKUlT_T0_E_clISt17integral_constantIbLb1EES1C_EEDaS17_S18_EUlS17_E_NS1_11comp_targetILNS1_3genE5ELNS1_11target_archE942ELNS1_3gpuE9ELNS1_3repE0EEENS1_30default_config_static_selectorELNS0_4arch9wavefront6targetE0EEEvT1_.kd
    .uniform_work_group_size: 1
    .uses_dynamic_stack: false
    .vgpr_count:     0
    .vgpr_spill_count: 0
    .wavefront_size: 32
  - .args:
      - .offset:         0
        .size:           136
        .value_kind:     by_value
    .group_segment_fixed_size: 0
    .kernarg_segment_align: 8
    .kernarg_segment_size: 136
    .language:       OpenCL C
    .language_version:
      - 2
      - 0
    .max_flat_workgroup_size: 256
    .name:           _ZN7rocprim17ROCPRIM_400000_NS6detail17trampoline_kernelINS0_14default_configENS1_25partition_config_selectorILNS1_17partition_subalgoE8ElNS0_10empty_typeEbEEZZNS1_14partition_implILS5_8ELb0ES3_jPlPS6_PKS6_NS0_5tupleIJS9_S6_EEENSD_IJSA_SA_EEENS0_18inequality_wrapperIZN2at6native12_GLOBAL__N_124unique_dim_cuda_templateIsEESt5tupleIJNSH_6TensorESM_SM_EERKSM_lbbbEUlllE0_EEPmJS6_EEE10hipError_tPvRmT3_T4_T5_T6_T7_T9_mT8_P12ihipStream_tbDpT10_ENKUlT_T0_E_clISt17integral_constantIbLb1EES1C_EEDaS17_S18_EUlS17_E_NS1_11comp_targetILNS1_3genE4ELNS1_11target_archE910ELNS1_3gpuE8ELNS1_3repE0EEENS1_30default_config_static_selectorELNS0_4arch9wavefront6targetE0EEEvT1_
    .private_segment_fixed_size: 0
    .sgpr_count:     0
    .sgpr_spill_count: 0
    .symbol:         _ZN7rocprim17ROCPRIM_400000_NS6detail17trampoline_kernelINS0_14default_configENS1_25partition_config_selectorILNS1_17partition_subalgoE8ElNS0_10empty_typeEbEEZZNS1_14partition_implILS5_8ELb0ES3_jPlPS6_PKS6_NS0_5tupleIJS9_S6_EEENSD_IJSA_SA_EEENS0_18inequality_wrapperIZN2at6native12_GLOBAL__N_124unique_dim_cuda_templateIsEESt5tupleIJNSH_6TensorESM_SM_EERKSM_lbbbEUlllE0_EEPmJS6_EEE10hipError_tPvRmT3_T4_T5_T6_T7_T9_mT8_P12ihipStream_tbDpT10_ENKUlT_T0_E_clISt17integral_constantIbLb1EES1C_EEDaS17_S18_EUlS17_E_NS1_11comp_targetILNS1_3genE4ELNS1_11target_archE910ELNS1_3gpuE8ELNS1_3repE0EEENS1_30default_config_static_selectorELNS0_4arch9wavefront6targetE0EEEvT1_.kd
    .uniform_work_group_size: 1
    .uses_dynamic_stack: false
    .vgpr_count:     0
    .vgpr_spill_count: 0
    .wavefront_size: 32
  - .args:
      - .offset:         0
        .size:           136
        .value_kind:     by_value
    .group_segment_fixed_size: 0
    .kernarg_segment_align: 8
    .kernarg_segment_size: 136
    .language:       OpenCL C
    .language_version:
      - 2
      - 0
    .max_flat_workgroup_size: 512
    .name:           _ZN7rocprim17ROCPRIM_400000_NS6detail17trampoline_kernelINS0_14default_configENS1_25partition_config_selectorILNS1_17partition_subalgoE8ElNS0_10empty_typeEbEEZZNS1_14partition_implILS5_8ELb0ES3_jPlPS6_PKS6_NS0_5tupleIJS9_S6_EEENSD_IJSA_SA_EEENS0_18inequality_wrapperIZN2at6native12_GLOBAL__N_124unique_dim_cuda_templateIsEESt5tupleIJNSH_6TensorESM_SM_EERKSM_lbbbEUlllE0_EEPmJS6_EEE10hipError_tPvRmT3_T4_T5_T6_T7_T9_mT8_P12ihipStream_tbDpT10_ENKUlT_T0_E_clISt17integral_constantIbLb1EES1C_EEDaS17_S18_EUlS17_E_NS1_11comp_targetILNS1_3genE3ELNS1_11target_archE908ELNS1_3gpuE7ELNS1_3repE0EEENS1_30default_config_static_selectorELNS0_4arch9wavefront6targetE0EEEvT1_
    .private_segment_fixed_size: 0
    .sgpr_count:     0
    .sgpr_spill_count: 0
    .symbol:         _ZN7rocprim17ROCPRIM_400000_NS6detail17trampoline_kernelINS0_14default_configENS1_25partition_config_selectorILNS1_17partition_subalgoE8ElNS0_10empty_typeEbEEZZNS1_14partition_implILS5_8ELb0ES3_jPlPS6_PKS6_NS0_5tupleIJS9_S6_EEENSD_IJSA_SA_EEENS0_18inequality_wrapperIZN2at6native12_GLOBAL__N_124unique_dim_cuda_templateIsEESt5tupleIJNSH_6TensorESM_SM_EERKSM_lbbbEUlllE0_EEPmJS6_EEE10hipError_tPvRmT3_T4_T5_T6_T7_T9_mT8_P12ihipStream_tbDpT10_ENKUlT_T0_E_clISt17integral_constantIbLb1EES1C_EEDaS17_S18_EUlS17_E_NS1_11comp_targetILNS1_3genE3ELNS1_11target_archE908ELNS1_3gpuE7ELNS1_3repE0EEENS1_30default_config_static_selectorELNS0_4arch9wavefront6targetE0EEEvT1_.kd
    .uniform_work_group_size: 1
    .uses_dynamic_stack: false
    .vgpr_count:     0
    .vgpr_spill_count: 0
    .wavefront_size: 32
  - .args:
      - .offset:         0
        .size:           136
        .value_kind:     by_value
    .group_segment_fixed_size: 0
    .kernarg_segment_align: 8
    .kernarg_segment_size: 136
    .language:       OpenCL C
    .language_version:
      - 2
      - 0
    .max_flat_workgroup_size: 256
    .name:           _ZN7rocprim17ROCPRIM_400000_NS6detail17trampoline_kernelINS0_14default_configENS1_25partition_config_selectorILNS1_17partition_subalgoE8ElNS0_10empty_typeEbEEZZNS1_14partition_implILS5_8ELb0ES3_jPlPS6_PKS6_NS0_5tupleIJS9_S6_EEENSD_IJSA_SA_EEENS0_18inequality_wrapperIZN2at6native12_GLOBAL__N_124unique_dim_cuda_templateIsEESt5tupleIJNSH_6TensorESM_SM_EERKSM_lbbbEUlllE0_EEPmJS6_EEE10hipError_tPvRmT3_T4_T5_T6_T7_T9_mT8_P12ihipStream_tbDpT10_ENKUlT_T0_E_clISt17integral_constantIbLb1EES1C_EEDaS17_S18_EUlS17_E_NS1_11comp_targetILNS1_3genE2ELNS1_11target_archE906ELNS1_3gpuE6ELNS1_3repE0EEENS1_30default_config_static_selectorELNS0_4arch9wavefront6targetE0EEEvT1_
    .private_segment_fixed_size: 0
    .sgpr_count:     0
    .sgpr_spill_count: 0
    .symbol:         _ZN7rocprim17ROCPRIM_400000_NS6detail17trampoline_kernelINS0_14default_configENS1_25partition_config_selectorILNS1_17partition_subalgoE8ElNS0_10empty_typeEbEEZZNS1_14partition_implILS5_8ELb0ES3_jPlPS6_PKS6_NS0_5tupleIJS9_S6_EEENSD_IJSA_SA_EEENS0_18inequality_wrapperIZN2at6native12_GLOBAL__N_124unique_dim_cuda_templateIsEESt5tupleIJNSH_6TensorESM_SM_EERKSM_lbbbEUlllE0_EEPmJS6_EEE10hipError_tPvRmT3_T4_T5_T6_T7_T9_mT8_P12ihipStream_tbDpT10_ENKUlT_T0_E_clISt17integral_constantIbLb1EES1C_EEDaS17_S18_EUlS17_E_NS1_11comp_targetILNS1_3genE2ELNS1_11target_archE906ELNS1_3gpuE6ELNS1_3repE0EEENS1_30default_config_static_selectorELNS0_4arch9wavefront6targetE0EEEvT1_.kd
    .uniform_work_group_size: 1
    .uses_dynamic_stack: false
    .vgpr_count:     0
    .vgpr_spill_count: 0
    .wavefront_size: 32
  - .args:
      - .offset:         0
        .size:           136
        .value_kind:     by_value
    .group_segment_fixed_size: 0
    .kernarg_segment_align: 8
    .kernarg_segment_size: 136
    .language:       OpenCL C
    .language_version:
      - 2
      - 0
    .max_flat_workgroup_size: 384
    .name:           _ZN7rocprim17ROCPRIM_400000_NS6detail17trampoline_kernelINS0_14default_configENS1_25partition_config_selectorILNS1_17partition_subalgoE8ElNS0_10empty_typeEbEEZZNS1_14partition_implILS5_8ELb0ES3_jPlPS6_PKS6_NS0_5tupleIJS9_S6_EEENSD_IJSA_SA_EEENS0_18inequality_wrapperIZN2at6native12_GLOBAL__N_124unique_dim_cuda_templateIsEESt5tupleIJNSH_6TensorESM_SM_EERKSM_lbbbEUlllE0_EEPmJS6_EEE10hipError_tPvRmT3_T4_T5_T6_T7_T9_mT8_P12ihipStream_tbDpT10_ENKUlT_T0_E_clISt17integral_constantIbLb1EES1C_EEDaS17_S18_EUlS17_E_NS1_11comp_targetILNS1_3genE10ELNS1_11target_archE1200ELNS1_3gpuE4ELNS1_3repE0EEENS1_30default_config_static_selectorELNS0_4arch9wavefront6targetE0EEEvT1_
    .private_segment_fixed_size: 0
    .sgpr_count:     0
    .sgpr_spill_count: 0
    .symbol:         _ZN7rocprim17ROCPRIM_400000_NS6detail17trampoline_kernelINS0_14default_configENS1_25partition_config_selectorILNS1_17partition_subalgoE8ElNS0_10empty_typeEbEEZZNS1_14partition_implILS5_8ELb0ES3_jPlPS6_PKS6_NS0_5tupleIJS9_S6_EEENSD_IJSA_SA_EEENS0_18inequality_wrapperIZN2at6native12_GLOBAL__N_124unique_dim_cuda_templateIsEESt5tupleIJNSH_6TensorESM_SM_EERKSM_lbbbEUlllE0_EEPmJS6_EEE10hipError_tPvRmT3_T4_T5_T6_T7_T9_mT8_P12ihipStream_tbDpT10_ENKUlT_T0_E_clISt17integral_constantIbLb1EES1C_EEDaS17_S18_EUlS17_E_NS1_11comp_targetILNS1_3genE10ELNS1_11target_archE1200ELNS1_3gpuE4ELNS1_3repE0EEENS1_30default_config_static_selectorELNS0_4arch9wavefront6targetE0EEEvT1_.kd
    .uniform_work_group_size: 1
    .uses_dynamic_stack: false
    .vgpr_count:     0
    .vgpr_spill_count: 0
    .wavefront_size: 32
  - .args:
      - .offset:         0
        .size:           136
        .value_kind:     by_value
    .group_segment_fixed_size: 0
    .kernarg_segment_align: 8
    .kernarg_segment_size: 136
    .language:       OpenCL C
    .language_version:
      - 2
      - 0
    .max_flat_workgroup_size: 512
    .name:           _ZN7rocprim17ROCPRIM_400000_NS6detail17trampoline_kernelINS0_14default_configENS1_25partition_config_selectorILNS1_17partition_subalgoE8ElNS0_10empty_typeEbEEZZNS1_14partition_implILS5_8ELb0ES3_jPlPS6_PKS6_NS0_5tupleIJS9_S6_EEENSD_IJSA_SA_EEENS0_18inequality_wrapperIZN2at6native12_GLOBAL__N_124unique_dim_cuda_templateIsEESt5tupleIJNSH_6TensorESM_SM_EERKSM_lbbbEUlllE0_EEPmJS6_EEE10hipError_tPvRmT3_T4_T5_T6_T7_T9_mT8_P12ihipStream_tbDpT10_ENKUlT_T0_E_clISt17integral_constantIbLb1EES1C_EEDaS17_S18_EUlS17_E_NS1_11comp_targetILNS1_3genE9ELNS1_11target_archE1100ELNS1_3gpuE3ELNS1_3repE0EEENS1_30default_config_static_selectorELNS0_4arch9wavefront6targetE0EEEvT1_
    .private_segment_fixed_size: 0
    .sgpr_count:     0
    .sgpr_spill_count: 0
    .symbol:         _ZN7rocprim17ROCPRIM_400000_NS6detail17trampoline_kernelINS0_14default_configENS1_25partition_config_selectorILNS1_17partition_subalgoE8ElNS0_10empty_typeEbEEZZNS1_14partition_implILS5_8ELb0ES3_jPlPS6_PKS6_NS0_5tupleIJS9_S6_EEENSD_IJSA_SA_EEENS0_18inequality_wrapperIZN2at6native12_GLOBAL__N_124unique_dim_cuda_templateIsEESt5tupleIJNSH_6TensorESM_SM_EERKSM_lbbbEUlllE0_EEPmJS6_EEE10hipError_tPvRmT3_T4_T5_T6_T7_T9_mT8_P12ihipStream_tbDpT10_ENKUlT_T0_E_clISt17integral_constantIbLb1EES1C_EEDaS17_S18_EUlS17_E_NS1_11comp_targetILNS1_3genE9ELNS1_11target_archE1100ELNS1_3gpuE3ELNS1_3repE0EEENS1_30default_config_static_selectorELNS0_4arch9wavefront6targetE0EEEvT1_.kd
    .uniform_work_group_size: 1
    .uses_dynamic_stack: false
    .vgpr_count:     0
    .vgpr_spill_count: 0
    .wavefront_size: 32
  - .args:
      - .offset:         0
        .size:           136
        .value_kind:     by_value
    .group_segment_fixed_size: 0
    .kernarg_segment_align: 8
    .kernarg_segment_size: 136
    .language:       OpenCL C
    .language_version:
      - 2
      - 0
    .max_flat_workgroup_size: 512
    .name:           _ZN7rocprim17ROCPRIM_400000_NS6detail17trampoline_kernelINS0_14default_configENS1_25partition_config_selectorILNS1_17partition_subalgoE8ElNS0_10empty_typeEbEEZZNS1_14partition_implILS5_8ELb0ES3_jPlPS6_PKS6_NS0_5tupleIJS9_S6_EEENSD_IJSA_SA_EEENS0_18inequality_wrapperIZN2at6native12_GLOBAL__N_124unique_dim_cuda_templateIsEESt5tupleIJNSH_6TensorESM_SM_EERKSM_lbbbEUlllE0_EEPmJS6_EEE10hipError_tPvRmT3_T4_T5_T6_T7_T9_mT8_P12ihipStream_tbDpT10_ENKUlT_T0_E_clISt17integral_constantIbLb1EES1C_EEDaS17_S18_EUlS17_E_NS1_11comp_targetILNS1_3genE8ELNS1_11target_archE1030ELNS1_3gpuE2ELNS1_3repE0EEENS1_30default_config_static_selectorELNS0_4arch9wavefront6targetE0EEEvT1_
    .private_segment_fixed_size: 0
    .sgpr_count:     0
    .sgpr_spill_count: 0
    .symbol:         _ZN7rocprim17ROCPRIM_400000_NS6detail17trampoline_kernelINS0_14default_configENS1_25partition_config_selectorILNS1_17partition_subalgoE8ElNS0_10empty_typeEbEEZZNS1_14partition_implILS5_8ELb0ES3_jPlPS6_PKS6_NS0_5tupleIJS9_S6_EEENSD_IJSA_SA_EEENS0_18inequality_wrapperIZN2at6native12_GLOBAL__N_124unique_dim_cuda_templateIsEESt5tupleIJNSH_6TensorESM_SM_EERKSM_lbbbEUlllE0_EEPmJS6_EEE10hipError_tPvRmT3_T4_T5_T6_T7_T9_mT8_P12ihipStream_tbDpT10_ENKUlT_T0_E_clISt17integral_constantIbLb1EES1C_EEDaS17_S18_EUlS17_E_NS1_11comp_targetILNS1_3genE8ELNS1_11target_archE1030ELNS1_3gpuE2ELNS1_3repE0EEENS1_30default_config_static_selectorELNS0_4arch9wavefront6targetE0EEEvT1_.kd
    .uniform_work_group_size: 1
    .uses_dynamic_stack: false
    .vgpr_count:     0
    .vgpr_spill_count: 0
    .wavefront_size: 32
  - .args:
      - .offset:         0
        .size:           120
        .value_kind:     by_value
    .group_segment_fixed_size: 0
    .kernarg_segment_align: 8
    .kernarg_segment_size: 120
    .language:       OpenCL C
    .language_version:
      - 2
      - 0
    .max_flat_workgroup_size: 512
    .name:           _ZN7rocprim17ROCPRIM_400000_NS6detail17trampoline_kernelINS0_14default_configENS1_25partition_config_selectorILNS1_17partition_subalgoE8ElNS0_10empty_typeEbEEZZNS1_14partition_implILS5_8ELb0ES3_jPlPS6_PKS6_NS0_5tupleIJS9_S6_EEENSD_IJSA_SA_EEENS0_18inequality_wrapperIZN2at6native12_GLOBAL__N_124unique_dim_cuda_templateIsEESt5tupleIJNSH_6TensorESM_SM_EERKSM_lbbbEUlllE0_EEPmJS6_EEE10hipError_tPvRmT3_T4_T5_T6_T7_T9_mT8_P12ihipStream_tbDpT10_ENKUlT_T0_E_clISt17integral_constantIbLb1EES1B_IbLb0EEEEDaS17_S18_EUlS17_E_NS1_11comp_targetILNS1_3genE0ELNS1_11target_archE4294967295ELNS1_3gpuE0ELNS1_3repE0EEENS1_30default_config_static_selectorELNS0_4arch9wavefront6targetE0EEEvT1_
    .private_segment_fixed_size: 0
    .sgpr_count:     0
    .sgpr_spill_count: 0
    .symbol:         _ZN7rocprim17ROCPRIM_400000_NS6detail17trampoline_kernelINS0_14default_configENS1_25partition_config_selectorILNS1_17partition_subalgoE8ElNS0_10empty_typeEbEEZZNS1_14partition_implILS5_8ELb0ES3_jPlPS6_PKS6_NS0_5tupleIJS9_S6_EEENSD_IJSA_SA_EEENS0_18inequality_wrapperIZN2at6native12_GLOBAL__N_124unique_dim_cuda_templateIsEESt5tupleIJNSH_6TensorESM_SM_EERKSM_lbbbEUlllE0_EEPmJS6_EEE10hipError_tPvRmT3_T4_T5_T6_T7_T9_mT8_P12ihipStream_tbDpT10_ENKUlT_T0_E_clISt17integral_constantIbLb1EES1B_IbLb0EEEEDaS17_S18_EUlS17_E_NS1_11comp_targetILNS1_3genE0ELNS1_11target_archE4294967295ELNS1_3gpuE0ELNS1_3repE0EEENS1_30default_config_static_selectorELNS0_4arch9wavefront6targetE0EEEvT1_.kd
    .uniform_work_group_size: 1
    .uses_dynamic_stack: false
    .vgpr_count:     0
    .vgpr_spill_count: 0
    .wavefront_size: 32
  - .args:
      - .offset:         0
        .size:           120
        .value_kind:     by_value
    .group_segment_fixed_size: 0
    .kernarg_segment_align: 8
    .kernarg_segment_size: 120
    .language:       OpenCL C
    .language_version:
      - 2
      - 0
    .max_flat_workgroup_size: 512
    .name:           _ZN7rocprim17ROCPRIM_400000_NS6detail17trampoline_kernelINS0_14default_configENS1_25partition_config_selectorILNS1_17partition_subalgoE8ElNS0_10empty_typeEbEEZZNS1_14partition_implILS5_8ELb0ES3_jPlPS6_PKS6_NS0_5tupleIJS9_S6_EEENSD_IJSA_SA_EEENS0_18inequality_wrapperIZN2at6native12_GLOBAL__N_124unique_dim_cuda_templateIsEESt5tupleIJNSH_6TensorESM_SM_EERKSM_lbbbEUlllE0_EEPmJS6_EEE10hipError_tPvRmT3_T4_T5_T6_T7_T9_mT8_P12ihipStream_tbDpT10_ENKUlT_T0_E_clISt17integral_constantIbLb1EES1B_IbLb0EEEEDaS17_S18_EUlS17_E_NS1_11comp_targetILNS1_3genE5ELNS1_11target_archE942ELNS1_3gpuE9ELNS1_3repE0EEENS1_30default_config_static_selectorELNS0_4arch9wavefront6targetE0EEEvT1_
    .private_segment_fixed_size: 0
    .sgpr_count:     0
    .sgpr_spill_count: 0
    .symbol:         _ZN7rocprim17ROCPRIM_400000_NS6detail17trampoline_kernelINS0_14default_configENS1_25partition_config_selectorILNS1_17partition_subalgoE8ElNS0_10empty_typeEbEEZZNS1_14partition_implILS5_8ELb0ES3_jPlPS6_PKS6_NS0_5tupleIJS9_S6_EEENSD_IJSA_SA_EEENS0_18inequality_wrapperIZN2at6native12_GLOBAL__N_124unique_dim_cuda_templateIsEESt5tupleIJNSH_6TensorESM_SM_EERKSM_lbbbEUlllE0_EEPmJS6_EEE10hipError_tPvRmT3_T4_T5_T6_T7_T9_mT8_P12ihipStream_tbDpT10_ENKUlT_T0_E_clISt17integral_constantIbLb1EES1B_IbLb0EEEEDaS17_S18_EUlS17_E_NS1_11comp_targetILNS1_3genE5ELNS1_11target_archE942ELNS1_3gpuE9ELNS1_3repE0EEENS1_30default_config_static_selectorELNS0_4arch9wavefront6targetE0EEEvT1_.kd
    .uniform_work_group_size: 1
    .uses_dynamic_stack: false
    .vgpr_count:     0
    .vgpr_spill_count: 0
    .wavefront_size: 32
  - .args:
      - .offset:         0
        .size:           120
        .value_kind:     by_value
    .group_segment_fixed_size: 0
    .kernarg_segment_align: 8
    .kernarg_segment_size: 120
    .language:       OpenCL C
    .language_version:
      - 2
      - 0
    .max_flat_workgroup_size: 256
    .name:           _ZN7rocprim17ROCPRIM_400000_NS6detail17trampoline_kernelINS0_14default_configENS1_25partition_config_selectorILNS1_17partition_subalgoE8ElNS0_10empty_typeEbEEZZNS1_14partition_implILS5_8ELb0ES3_jPlPS6_PKS6_NS0_5tupleIJS9_S6_EEENSD_IJSA_SA_EEENS0_18inequality_wrapperIZN2at6native12_GLOBAL__N_124unique_dim_cuda_templateIsEESt5tupleIJNSH_6TensorESM_SM_EERKSM_lbbbEUlllE0_EEPmJS6_EEE10hipError_tPvRmT3_T4_T5_T6_T7_T9_mT8_P12ihipStream_tbDpT10_ENKUlT_T0_E_clISt17integral_constantIbLb1EES1B_IbLb0EEEEDaS17_S18_EUlS17_E_NS1_11comp_targetILNS1_3genE4ELNS1_11target_archE910ELNS1_3gpuE8ELNS1_3repE0EEENS1_30default_config_static_selectorELNS0_4arch9wavefront6targetE0EEEvT1_
    .private_segment_fixed_size: 0
    .sgpr_count:     0
    .sgpr_spill_count: 0
    .symbol:         _ZN7rocprim17ROCPRIM_400000_NS6detail17trampoline_kernelINS0_14default_configENS1_25partition_config_selectorILNS1_17partition_subalgoE8ElNS0_10empty_typeEbEEZZNS1_14partition_implILS5_8ELb0ES3_jPlPS6_PKS6_NS0_5tupleIJS9_S6_EEENSD_IJSA_SA_EEENS0_18inequality_wrapperIZN2at6native12_GLOBAL__N_124unique_dim_cuda_templateIsEESt5tupleIJNSH_6TensorESM_SM_EERKSM_lbbbEUlllE0_EEPmJS6_EEE10hipError_tPvRmT3_T4_T5_T6_T7_T9_mT8_P12ihipStream_tbDpT10_ENKUlT_T0_E_clISt17integral_constantIbLb1EES1B_IbLb0EEEEDaS17_S18_EUlS17_E_NS1_11comp_targetILNS1_3genE4ELNS1_11target_archE910ELNS1_3gpuE8ELNS1_3repE0EEENS1_30default_config_static_selectorELNS0_4arch9wavefront6targetE0EEEvT1_.kd
    .uniform_work_group_size: 1
    .uses_dynamic_stack: false
    .vgpr_count:     0
    .vgpr_spill_count: 0
    .wavefront_size: 32
  - .args:
      - .offset:         0
        .size:           120
        .value_kind:     by_value
    .group_segment_fixed_size: 0
    .kernarg_segment_align: 8
    .kernarg_segment_size: 120
    .language:       OpenCL C
    .language_version:
      - 2
      - 0
    .max_flat_workgroup_size: 512
    .name:           _ZN7rocprim17ROCPRIM_400000_NS6detail17trampoline_kernelINS0_14default_configENS1_25partition_config_selectorILNS1_17partition_subalgoE8ElNS0_10empty_typeEbEEZZNS1_14partition_implILS5_8ELb0ES3_jPlPS6_PKS6_NS0_5tupleIJS9_S6_EEENSD_IJSA_SA_EEENS0_18inequality_wrapperIZN2at6native12_GLOBAL__N_124unique_dim_cuda_templateIsEESt5tupleIJNSH_6TensorESM_SM_EERKSM_lbbbEUlllE0_EEPmJS6_EEE10hipError_tPvRmT3_T4_T5_T6_T7_T9_mT8_P12ihipStream_tbDpT10_ENKUlT_T0_E_clISt17integral_constantIbLb1EES1B_IbLb0EEEEDaS17_S18_EUlS17_E_NS1_11comp_targetILNS1_3genE3ELNS1_11target_archE908ELNS1_3gpuE7ELNS1_3repE0EEENS1_30default_config_static_selectorELNS0_4arch9wavefront6targetE0EEEvT1_
    .private_segment_fixed_size: 0
    .sgpr_count:     0
    .sgpr_spill_count: 0
    .symbol:         _ZN7rocprim17ROCPRIM_400000_NS6detail17trampoline_kernelINS0_14default_configENS1_25partition_config_selectorILNS1_17partition_subalgoE8ElNS0_10empty_typeEbEEZZNS1_14partition_implILS5_8ELb0ES3_jPlPS6_PKS6_NS0_5tupleIJS9_S6_EEENSD_IJSA_SA_EEENS0_18inequality_wrapperIZN2at6native12_GLOBAL__N_124unique_dim_cuda_templateIsEESt5tupleIJNSH_6TensorESM_SM_EERKSM_lbbbEUlllE0_EEPmJS6_EEE10hipError_tPvRmT3_T4_T5_T6_T7_T9_mT8_P12ihipStream_tbDpT10_ENKUlT_T0_E_clISt17integral_constantIbLb1EES1B_IbLb0EEEEDaS17_S18_EUlS17_E_NS1_11comp_targetILNS1_3genE3ELNS1_11target_archE908ELNS1_3gpuE7ELNS1_3repE0EEENS1_30default_config_static_selectorELNS0_4arch9wavefront6targetE0EEEvT1_.kd
    .uniform_work_group_size: 1
    .uses_dynamic_stack: false
    .vgpr_count:     0
    .vgpr_spill_count: 0
    .wavefront_size: 32
  - .args:
      - .offset:         0
        .size:           120
        .value_kind:     by_value
    .group_segment_fixed_size: 0
    .kernarg_segment_align: 8
    .kernarg_segment_size: 120
    .language:       OpenCL C
    .language_version:
      - 2
      - 0
    .max_flat_workgroup_size: 256
    .name:           _ZN7rocprim17ROCPRIM_400000_NS6detail17trampoline_kernelINS0_14default_configENS1_25partition_config_selectorILNS1_17partition_subalgoE8ElNS0_10empty_typeEbEEZZNS1_14partition_implILS5_8ELb0ES3_jPlPS6_PKS6_NS0_5tupleIJS9_S6_EEENSD_IJSA_SA_EEENS0_18inequality_wrapperIZN2at6native12_GLOBAL__N_124unique_dim_cuda_templateIsEESt5tupleIJNSH_6TensorESM_SM_EERKSM_lbbbEUlllE0_EEPmJS6_EEE10hipError_tPvRmT3_T4_T5_T6_T7_T9_mT8_P12ihipStream_tbDpT10_ENKUlT_T0_E_clISt17integral_constantIbLb1EES1B_IbLb0EEEEDaS17_S18_EUlS17_E_NS1_11comp_targetILNS1_3genE2ELNS1_11target_archE906ELNS1_3gpuE6ELNS1_3repE0EEENS1_30default_config_static_selectorELNS0_4arch9wavefront6targetE0EEEvT1_
    .private_segment_fixed_size: 0
    .sgpr_count:     0
    .sgpr_spill_count: 0
    .symbol:         _ZN7rocprim17ROCPRIM_400000_NS6detail17trampoline_kernelINS0_14default_configENS1_25partition_config_selectorILNS1_17partition_subalgoE8ElNS0_10empty_typeEbEEZZNS1_14partition_implILS5_8ELb0ES3_jPlPS6_PKS6_NS0_5tupleIJS9_S6_EEENSD_IJSA_SA_EEENS0_18inequality_wrapperIZN2at6native12_GLOBAL__N_124unique_dim_cuda_templateIsEESt5tupleIJNSH_6TensorESM_SM_EERKSM_lbbbEUlllE0_EEPmJS6_EEE10hipError_tPvRmT3_T4_T5_T6_T7_T9_mT8_P12ihipStream_tbDpT10_ENKUlT_T0_E_clISt17integral_constantIbLb1EES1B_IbLb0EEEEDaS17_S18_EUlS17_E_NS1_11comp_targetILNS1_3genE2ELNS1_11target_archE906ELNS1_3gpuE6ELNS1_3repE0EEENS1_30default_config_static_selectorELNS0_4arch9wavefront6targetE0EEEvT1_.kd
    .uniform_work_group_size: 1
    .uses_dynamic_stack: false
    .vgpr_count:     0
    .vgpr_spill_count: 0
    .wavefront_size: 32
  - .args:
      - .offset:         0
        .size:           120
        .value_kind:     by_value
    .group_segment_fixed_size: 0
    .kernarg_segment_align: 8
    .kernarg_segment_size: 120
    .language:       OpenCL C
    .language_version:
      - 2
      - 0
    .max_flat_workgroup_size: 384
    .name:           _ZN7rocprim17ROCPRIM_400000_NS6detail17trampoline_kernelINS0_14default_configENS1_25partition_config_selectorILNS1_17partition_subalgoE8ElNS0_10empty_typeEbEEZZNS1_14partition_implILS5_8ELb0ES3_jPlPS6_PKS6_NS0_5tupleIJS9_S6_EEENSD_IJSA_SA_EEENS0_18inequality_wrapperIZN2at6native12_GLOBAL__N_124unique_dim_cuda_templateIsEESt5tupleIJNSH_6TensorESM_SM_EERKSM_lbbbEUlllE0_EEPmJS6_EEE10hipError_tPvRmT3_T4_T5_T6_T7_T9_mT8_P12ihipStream_tbDpT10_ENKUlT_T0_E_clISt17integral_constantIbLb1EES1B_IbLb0EEEEDaS17_S18_EUlS17_E_NS1_11comp_targetILNS1_3genE10ELNS1_11target_archE1200ELNS1_3gpuE4ELNS1_3repE0EEENS1_30default_config_static_selectorELNS0_4arch9wavefront6targetE0EEEvT1_
    .private_segment_fixed_size: 0
    .sgpr_count:     0
    .sgpr_spill_count: 0
    .symbol:         _ZN7rocprim17ROCPRIM_400000_NS6detail17trampoline_kernelINS0_14default_configENS1_25partition_config_selectorILNS1_17partition_subalgoE8ElNS0_10empty_typeEbEEZZNS1_14partition_implILS5_8ELb0ES3_jPlPS6_PKS6_NS0_5tupleIJS9_S6_EEENSD_IJSA_SA_EEENS0_18inequality_wrapperIZN2at6native12_GLOBAL__N_124unique_dim_cuda_templateIsEESt5tupleIJNSH_6TensorESM_SM_EERKSM_lbbbEUlllE0_EEPmJS6_EEE10hipError_tPvRmT3_T4_T5_T6_T7_T9_mT8_P12ihipStream_tbDpT10_ENKUlT_T0_E_clISt17integral_constantIbLb1EES1B_IbLb0EEEEDaS17_S18_EUlS17_E_NS1_11comp_targetILNS1_3genE10ELNS1_11target_archE1200ELNS1_3gpuE4ELNS1_3repE0EEENS1_30default_config_static_selectorELNS0_4arch9wavefront6targetE0EEEvT1_.kd
    .uniform_work_group_size: 1
    .uses_dynamic_stack: false
    .vgpr_count:     0
    .vgpr_spill_count: 0
    .wavefront_size: 32
  - .args:
      - .offset:         0
        .size:           120
        .value_kind:     by_value
    .group_segment_fixed_size: 0
    .kernarg_segment_align: 8
    .kernarg_segment_size: 120
    .language:       OpenCL C
    .language_version:
      - 2
      - 0
    .max_flat_workgroup_size: 512
    .name:           _ZN7rocprim17ROCPRIM_400000_NS6detail17trampoline_kernelINS0_14default_configENS1_25partition_config_selectorILNS1_17partition_subalgoE8ElNS0_10empty_typeEbEEZZNS1_14partition_implILS5_8ELb0ES3_jPlPS6_PKS6_NS0_5tupleIJS9_S6_EEENSD_IJSA_SA_EEENS0_18inequality_wrapperIZN2at6native12_GLOBAL__N_124unique_dim_cuda_templateIsEESt5tupleIJNSH_6TensorESM_SM_EERKSM_lbbbEUlllE0_EEPmJS6_EEE10hipError_tPvRmT3_T4_T5_T6_T7_T9_mT8_P12ihipStream_tbDpT10_ENKUlT_T0_E_clISt17integral_constantIbLb1EES1B_IbLb0EEEEDaS17_S18_EUlS17_E_NS1_11comp_targetILNS1_3genE9ELNS1_11target_archE1100ELNS1_3gpuE3ELNS1_3repE0EEENS1_30default_config_static_selectorELNS0_4arch9wavefront6targetE0EEEvT1_
    .private_segment_fixed_size: 0
    .sgpr_count:     0
    .sgpr_spill_count: 0
    .symbol:         _ZN7rocprim17ROCPRIM_400000_NS6detail17trampoline_kernelINS0_14default_configENS1_25partition_config_selectorILNS1_17partition_subalgoE8ElNS0_10empty_typeEbEEZZNS1_14partition_implILS5_8ELb0ES3_jPlPS6_PKS6_NS0_5tupleIJS9_S6_EEENSD_IJSA_SA_EEENS0_18inequality_wrapperIZN2at6native12_GLOBAL__N_124unique_dim_cuda_templateIsEESt5tupleIJNSH_6TensorESM_SM_EERKSM_lbbbEUlllE0_EEPmJS6_EEE10hipError_tPvRmT3_T4_T5_T6_T7_T9_mT8_P12ihipStream_tbDpT10_ENKUlT_T0_E_clISt17integral_constantIbLb1EES1B_IbLb0EEEEDaS17_S18_EUlS17_E_NS1_11comp_targetILNS1_3genE9ELNS1_11target_archE1100ELNS1_3gpuE3ELNS1_3repE0EEENS1_30default_config_static_selectorELNS0_4arch9wavefront6targetE0EEEvT1_.kd
    .uniform_work_group_size: 1
    .uses_dynamic_stack: false
    .vgpr_count:     0
    .vgpr_spill_count: 0
    .wavefront_size: 32
  - .args:
      - .offset:         0
        .size:           120
        .value_kind:     by_value
    .group_segment_fixed_size: 0
    .kernarg_segment_align: 8
    .kernarg_segment_size: 120
    .language:       OpenCL C
    .language_version:
      - 2
      - 0
    .max_flat_workgroup_size: 512
    .name:           _ZN7rocprim17ROCPRIM_400000_NS6detail17trampoline_kernelINS0_14default_configENS1_25partition_config_selectorILNS1_17partition_subalgoE8ElNS0_10empty_typeEbEEZZNS1_14partition_implILS5_8ELb0ES3_jPlPS6_PKS6_NS0_5tupleIJS9_S6_EEENSD_IJSA_SA_EEENS0_18inequality_wrapperIZN2at6native12_GLOBAL__N_124unique_dim_cuda_templateIsEESt5tupleIJNSH_6TensorESM_SM_EERKSM_lbbbEUlllE0_EEPmJS6_EEE10hipError_tPvRmT3_T4_T5_T6_T7_T9_mT8_P12ihipStream_tbDpT10_ENKUlT_T0_E_clISt17integral_constantIbLb1EES1B_IbLb0EEEEDaS17_S18_EUlS17_E_NS1_11comp_targetILNS1_3genE8ELNS1_11target_archE1030ELNS1_3gpuE2ELNS1_3repE0EEENS1_30default_config_static_selectorELNS0_4arch9wavefront6targetE0EEEvT1_
    .private_segment_fixed_size: 0
    .sgpr_count:     0
    .sgpr_spill_count: 0
    .symbol:         _ZN7rocprim17ROCPRIM_400000_NS6detail17trampoline_kernelINS0_14default_configENS1_25partition_config_selectorILNS1_17partition_subalgoE8ElNS0_10empty_typeEbEEZZNS1_14partition_implILS5_8ELb0ES3_jPlPS6_PKS6_NS0_5tupleIJS9_S6_EEENSD_IJSA_SA_EEENS0_18inequality_wrapperIZN2at6native12_GLOBAL__N_124unique_dim_cuda_templateIsEESt5tupleIJNSH_6TensorESM_SM_EERKSM_lbbbEUlllE0_EEPmJS6_EEE10hipError_tPvRmT3_T4_T5_T6_T7_T9_mT8_P12ihipStream_tbDpT10_ENKUlT_T0_E_clISt17integral_constantIbLb1EES1B_IbLb0EEEEDaS17_S18_EUlS17_E_NS1_11comp_targetILNS1_3genE8ELNS1_11target_archE1030ELNS1_3gpuE2ELNS1_3repE0EEENS1_30default_config_static_selectorELNS0_4arch9wavefront6targetE0EEEvT1_.kd
    .uniform_work_group_size: 1
    .uses_dynamic_stack: false
    .vgpr_count:     0
    .vgpr_spill_count: 0
    .wavefront_size: 32
  - .args:
      - .offset:         0
        .size:           136
        .value_kind:     by_value
    .group_segment_fixed_size: 28680
    .kernarg_segment_align: 8
    .kernarg_segment_size: 136
    .language:       OpenCL C
    .language_version:
      - 2
      - 0
    .max_flat_workgroup_size: 512
    .name:           _ZN7rocprim17ROCPRIM_400000_NS6detail17trampoline_kernelINS0_14default_configENS1_25partition_config_selectorILNS1_17partition_subalgoE8ElNS0_10empty_typeEbEEZZNS1_14partition_implILS5_8ELb0ES3_jPlPS6_PKS6_NS0_5tupleIJS9_S6_EEENSD_IJSA_SA_EEENS0_18inequality_wrapperIZN2at6native12_GLOBAL__N_124unique_dim_cuda_templateIsEESt5tupleIJNSH_6TensorESM_SM_EERKSM_lbbbEUlllE0_EEPmJS6_EEE10hipError_tPvRmT3_T4_T5_T6_T7_T9_mT8_P12ihipStream_tbDpT10_ENKUlT_T0_E_clISt17integral_constantIbLb0EES1B_IbLb1EEEEDaS17_S18_EUlS17_E_NS1_11comp_targetILNS1_3genE0ELNS1_11target_archE4294967295ELNS1_3gpuE0ELNS1_3repE0EEENS1_30default_config_static_selectorELNS0_4arch9wavefront6targetE0EEEvT1_
    .private_segment_fixed_size: 0
    .sgpr_count:     38
    .sgpr_spill_count: 0
    .symbol:         _ZN7rocprim17ROCPRIM_400000_NS6detail17trampoline_kernelINS0_14default_configENS1_25partition_config_selectorILNS1_17partition_subalgoE8ElNS0_10empty_typeEbEEZZNS1_14partition_implILS5_8ELb0ES3_jPlPS6_PKS6_NS0_5tupleIJS9_S6_EEENSD_IJSA_SA_EEENS0_18inequality_wrapperIZN2at6native12_GLOBAL__N_124unique_dim_cuda_templateIsEESt5tupleIJNSH_6TensorESM_SM_EERKSM_lbbbEUlllE0_EEPmJS6_EEE10hipError_tPvRmT3_T4_T5_T6_T7_T9_mT8_P12ihipStream_tbDpT10_ENKUlT_T0_E_clISt17integral_constantIbLb0EES1B_IbLb1EEEEDaS17_S18_EUlS17_E_NS1_11comp_targetILNS1_3genE0ELNS1_11target_archE4294967295ELNS1_3gpuE0ELNS1_3repE0EEENS1_30default_config_static_selectorELNS0_4arch9wavefront6targetE0EEEvT1_.kd
    .uniform_work_group_size: 1
    .uses_dynamic_stack: false
    .vgpr_count:     53
    .vgpr_spill_count: 0
    .wavefront_size: 32
  - .args:
      - .offset:         0
        .size:           136
        .value_kind:     by_value
    .group_segment_fixed_size: 0
    .kernarg_segment_align: 8
    .kernarg_segment_size: 136
    .language:       OpenCL C
    .language_version:
      - 2
      - 0
    .max_flat_workgroup_size: 512
    .name:           _ZN7rocprim17ROCPRIM_400000_NS6detail17trampoline_kernelINS0_14default_configENS1_25partition_config_selectorILNS1_17partition_subalgoE8ElNS0_10empty_typeEbEEZZNS1_14partition_implILS5_8ELb0ES3_jPlPS6_PKS6_NS0_5tupleIJS9_S6_EEENSD_IJSA_SA_EEENS0_18inequality_wrapperIZN2at6native12_GLOBAL__N_124unique_dim_cuda_templateIsEESt5tupleIJNSH_6TensorESM_SM_EERKSM_lbbbEUlllE0_EEPmJS6_EEE10hipError_tPvRmT3_T4_T5_T6_T7_T9_mT8_P12ihipStream_tbDpT10_ENKUlT_T0_E_clISt17integral_constantIbLb0EES1B_IbLb1EEEEDaS17_S18_EUlS17_E_NS1_11comp_targetILNS1_3genE5ELNS1_11target_archE942ELNS1_3gpuE9ELNS1_3repE0EEENS1_30default_config_static_selectorELNS0_4arch9wavefront6targetE0EEEvT1_
    .private_segment_fixed_size: 0
    .sgpr_count:     0
    .sgpr_spill_count: 0
    .symbol:         _ZN7rocprim17ROCPRIM_400000_NS6detail17trampoline_kernelINS0_14default_configENS1_25partition_config_selectorILNS1_17partition_subalgoE8ElNS0_10empty_typeEbEEZZNS1_14partition_implILS5_8ELb0ES3_jPlPS6_PKS6_NS0_5tupleIJS9_S6_EEENSD_IJSA_SA_EEENS0_18inequality_wrapperIZN2at6native12_GLOBAL__N_124unique_dim_cuda_templateIsEESt5tupleIJNSH_6TensorESM_SM_EERKSM_lbbbEUlllE0_EEPmJS6_EEE10hipError_tPvRmT3_T4_T5_T6_T7_T9_mT8_P12ihipStream_tbDpT10_ENKUlT_T0_E_clISt17integral_constantIbLb0EES1B_IbLb1EEEEDaS17_S18_EUlS17_E_NS1_11comp_targetILNS1_3genE5ELNS1_11target_archE942ELNS1_3gpuE9ELNS1_3repE0EEENS1_30default_config_static_selectorELNS0_4arch9wavefront6targetE0EEEvT1_.kd
    .uniform_work_group_size: 1
    .uses_dynamic_stack: false
    .vgpr_count:     0
    .vgpr_spill_count: 0
    .wavefront_size: 32
  - .args:
      - .offset:         0
        .size:           136
        .value_kind:     by_value
    .group_segment_fixed_size: 0
    .kernarg_segment_align: 8
    .kernarg_segment_size: 136
    .language:       OpenCL C
    .language_version:
      - 2
      - 0
    .max_flat_workgroup_size: 256
    .name:           _ZN7rocprim17ROCPRIM_400000_NS6detail17trampoline_kernelINS0_14default_configENS1_25partition_config_selectorILNS1_17partition_subalgoE8ElNS0_10empty_typeEbEEZZNS1_14partition_implILS5_8ELb0ES3_jPlPS6_PKS6_NS0_5tupleIJS9_S6_EEENSD_IJSA_SA_EEENS0_18inequality_wrapperIZN2at6native12_GLOBAL__N_124unique_dim_cuda_templateIsEESt5tupleIJNSH_6TensorESM_SM_EERKSM_lbbbEUlllE0_EEPmJS6_EEE10hipError_tPvRmT3_T4_T5_T6_T7_T9_mT8_P12ihipStream_tbDpT10_ENKUlT_T0_E_clISt17integral_constantIbLb0EES1B_IbLb1EEEEDaS17_S18_EUlS17_E_NS1_11comp_targetILNS1_3genE4ELNS1_11target_archE910ELNS1_3gpuE8ELNS1_3repE0EEENS1_30default_config_static_selectorELNS0_4arch9wavefront6targetE0EEEvT1_
    .private_segment_fixed_size: 0
    .sgpr_count:     0
    .sgpr_spill_count: 0
    .symbol:         _ZN7rocprim17ROCPRIM_400000_NS6detail17trampoline_kernelINS0_14default_configENS1_25partition_config_selectorILNS1_17partition_subalgoE8ElNS0_10empty_typeEbEEZZNS1_14partition_implILS5_8ELb0ES3_jPlPS6_PKS6_NS0_5tupleIJS9_S6_EEENSD_IJSA_SA_EEENS0_18inequality_wrapperIZN2at6native12_GLOBAL__N_124unique_dim_cuda_templateIsEESt5tupleIJNSH_6TensorESM_SM_EERKSM_lbbbEUlllE0_EEPmJS6_EEE10hipError_tPvRmT3_T4_T5_T6_T7_T9_mT8_P12ihipStream_tbDpT10_ENKUlT_T0_E_clISt17integral_constantIbLb0EES1B_IbLb1EEEEDaS17_S18_EUlS17_E_NS1_11comp_targetILNS1_3genE4ELNS1_11target_archE910ELNS1_3gpuE8ELNS1_3repE0EEENS1_30default_config_static_selectorELNS0_4arch9wavefront6targetE0EEEvT1_.kd
    .uniform_work_group_size: 1
    .uses_dynamic_stack: false
    .vgpr_count:     0
    .vgpr_spill_count: 0
    .wavefront_size: 32
  - .args:
      - .offset:         0
        .size:           136
        .value_kind:     by_value
    .group_segment_fixed_size: 0
    .kernarg_segment_align: 8
    .kernarg_segment_size: 136
    .language:       OpenCL C
    .language_version:
      - 2
      - 0
    .max_flat_workgroup_size: 512
    .name:           _ZN7rocprim17ROCPRIM_400000_NS6detail17trampoline_kernelINS0_14default_configENS1_25partition_config_selectorILNS1_17partition_subalgoE8ElNS0_10empty_typeEbEEZZNS1_14partition_implILS5_8ELb0ES3_jPlPS6_PKS6_NS0_5tupleIJS9_S6_EEENSD_IJSA_SA_EEENS0_18inequality_wrapperIZN2at6native12_GLOBAL__N_124unique_dim_cuda_templateIsEESt5tupleIJNSH_6TensorESM_SM_EERKSM_lbbbEUlllE0_EEPmJS6_EEE10hipError_tPvRmT3_T4_T5_T6_T7_T9_mT8_P12ihipStream_tbDpT10_ENKUlT_T0_E_clISt17integral_constantIbLb0EES1B_IbLb1EEEEDaS17_S18_EUlS17_E_NS1_11comp_targetILNS1_3genE3ELNS1_11target_archE908ELNS1_3gpuE7ELNS1_3repE0EEENS1_30default_config_static_selectorELNS0_4arch9wavefront6targetE0EEEvT1_
    .private_segment_fixed_size: 0
    .sgpr_count:     0
    .sgpr_spill_count: 0
    .symbol:         _ZN7rocprim17ROCPRIM_400000_NS6detail17trampoline_kernelINS0_14default_configENS1_25partition_config_selectorILNS1_17partition_subalgoE8ElNS0_10empty_typeEbEEZZNS1_14partition_implILS5_8ELb0ES3_jPlPS6_PKS6_NS0_5tupleIJS9_S6_EEENSD_IJSA_SA_EEENS0_18inequality_wrapperIZN2at6native12_GLOBAL__N_124unique_dim_cuda_templateIsEESt5tupleIJNSH_6TensorESM_SM_EERKSM_lbbbEUlllE0_EEPmJS6_EEE10hipError_tPvRmT3_T4_T5_T6_T7_T9_mT8_P12ihipStream_tbDpT10_ENKUlT_T0_E_clISt17integral_constantIbLb0EES1B_IbLb1EEEEDaS17_S18_EUlS17_E_NS1_11comp_targetILNS1_3genE3ELNS1_11target_archE908ELNS1_3gpuE7ELNS1_3repE0EEENS1_30default_config_static_selectorELNS0_4arch9wavefront6targetE0EEEvT1_.kd
    .uniform_work_group_size: 1
    .uses_dynamic_stack: false
    .vgpr_count:     0
    .vgpr_spill_count: 0
    .wavefront_size: 32
  - .args:
      - .offset:         0
        .size:           136
        .value_kind:     by_value
    .group_segment_fixed_size: 0
    .kernarg_segment_align: 8
    .kernarg_segment_size: 136
    .language:       OpenCL C
    .language_version:
      - 2
      - 0
    .max_flat_workgroup_size: 256
    .name:           _ZN7rocprim17ROCPRIM_400000_NS6detail17trampoline_kernelINS0_14default_configENS1_25partition_config_selectorILNS1_17partition_subalgoE8ElNS0_10empty_typeEbEEZZNS1_14partition_implILS5_8ELb0ES3_jPlPS6_PKS6_NS0_5tupleIJS9_S6_EEENSD_IJSA_SA_EEENS0_18inequality_wrapperIZN2at6native12_GLOBAL__N_124unique_dim_cuda_templateIsEESt5tupleIJNSH_6TensorESM_SM_EERKSM_lbbbEUlllE0_EEPmJS6_EEE10hipError_tPvRmT3_T4_T5_T6_T7_T9_mT8_P12ihipStream_tbDpT10_ENKUlT_T0_E_clISt17integral_constantIbLb0EES1B_IbLb1EEEEDaS17_S18_EUlS17_E_NS1_11comp_targetILNS1_3genE2ELNS1_11target_archE906ELNS1_3gpuE6ELNS1_3repE0EEENS1_30default_config_static_selectorELNS0_4arch9wavefront6targetE0EEEvT1_
    .private_segment_fixed_size: 0
    .sgpr_count:     0
    .sgpr_spill_count: 0
    .symbol:         _ZN7rocprim17ROCPRIM_400000_NS6detail17trampoline_kernelINS0_14default_configENS1_25partition_config_selectorILNS1_17partition_subalgoE8ElNS0_10empty_typeEbEEZZNS1_14partition_implILS5_8ELb0ES3_jPlPS6_PKS6_NS0_5tupleIJS9_S6_EEENSD_IJSA_SA_EEENS0_18inequality_wrapperIZN2at6native12_GLOBAL__N_124unique_dim_cuda_templateIsEESt5tupleIJNSH_6TensorESM_SM_EERKSM_lbbbEUlllE0_EEPmJS6_EEE10hipError_tPvRmT3_T4_T5_T6_T7_T9_mT8_P12ihipStream_tbDpT10_ENKUlT_T0_E_clISt17integral_constantIbLb0EES1B_IbLb1EEEEDaS17_S18_EUlS17_E_NS1_11comp_targetILNS1_3genE2ELNS1_11target_archE906ELNS1_3gpuE6ELNS1_3repE0EEENS1_30default_config_static_selectorELNS0_4arch9wavefront6targetE0EEEvT1_.kd
    .uniform_work_group_size: 1
    .uses_dynamic_stack: false
    .vgpr_count:     0
    .vgpr_spill_count: 0
    .wavefront_size: 32
  - .args:
      - .offset:         0
        .size:           136
        .value_kind:     by_value
    .group_segment_fixed_size: 0
    .kernarg_segment_align: 8
    .kernarg_segment_size: 136
    .language:       OpenCL C
    .language_version:
      - 2
      - 0
    .max_flat_workgroup_size: 384
    .name:           _ZN7rocprim17ROCPRIM_400000_NS6detail17trampoline_kernelINS0_14default_configENS1_25partition_config_selectorILNS1_17partition_subalgoE8ElNS0_10empty_typeEbEEZZNS1_14partition_implILS5_8ELb0ES3_jPlPS6_PKS6_NS0_5tupleIJS9_S6_EEENSD_IJSA_SA_EEENS0_18inequality_wrapperIZN2at6native12_GLOBAL__N_124unique_dim_cuda_templateIsEESt5tupleIJNSH_6TensorESM_SM_EERKSM_lbbbEUlllE0_EEPmJS6_EEE10hipError_tPvRmT3_T4_T5_T6_T7_T9_mT8_P12ihipStream_tbDpT10_ENKUlT_T0_E_clISt17integral_constantIbLb0EES1B_IbLb1EEEEDaS17_S18_EUlS17_E_NS1_11comp_targetILNS1_3genE10ELNS1_11target_archE1200ELNS1_3gpuE4ELNS1_3repE0EEENS1_30default_config_static_selectorELNS0_4arch9wavefront6targetE0EEEvT1_
    .private_segment_fixed_size: 0
    .sgpr_count:     0
    .sgpr_spill_count: 0
    .symbol:         _ZN7rocprim17ROCPRIM_400000_NS6detail17trampoline_kernelINS0_14default_configENS1_25partition_config_selectorILNS1_17partition_subalgoE8ElNS0_10empty_typeEbEEZZNS1_14partition_implILS5_8ELb0ES3_jPlPS6_PKS6_NS0_5tupleIJS9_S6_EEENSD_IJSA_SA_EEENS0_18inequality_wrapperIZN2at6native12_GLOBAL__N_124unique_dim_cuda_templateIsEESt5tupleIJNSH_6TensorESM_SM_EERKSM_lbbbEUlllE0_EEPmJS6_EEE10hipError_tPvRmT3_T4_T5_T6_T7_T9_mT8_P12ihipStream_tbDpT10_ENKUlT_T0_E_clISt17integral_constantIbLb0EES1B_IbLb1EEEEDaS17_S18_EUlS17_E_NS1_11comp_targetILNS1_3genE10ELNS1_11target_archE1200ELNS1_3gpuE4ELNS1_3repE0EEENS1_30default_config_static_selectorELNS0_4arch9wavefront6targetE0EEEvT1_.kd
    .uniform_work_group_size: 1
    .uses_dynamic_stack: false
    .vgpr_count:     0
    .vgpr_spill_count: 0
    .wavefront_size: 32
  - .args:
      - .offset:         0
        .size:           136
        .value_kind:     by_value
    .group_segment_fixed_size: 0
    .kernarg_segment_align: 8
    .kernarg_segment_size: 136
    .language:       OpenCL C
    .language_version:
      - 2
      - 0
    .max_flat_workgroup_size: 512
    .name:           _ZN7rocprim17ROCPRIM_400000_NS6detail17trampoline_kernelINS0_14default_configENS1_25partition_config_selectorILNS1_17partition_subalgoE8ElNS0_10empty_typeEbEEZZNS1_14partition_implILS5_8ELb0ES3_jPlPS6_PKS6_NS0_5tupleIJS9_S6_EEENSD_IJSA_SA_EEENS0_18inequality_wrapperIZN2at6native12_GLOBAL__N_124unique_dim_cuda_templateIsEESt5tupleIJNSH_6TensorESM_SM_EERKSM_lbbbEUlllE0_EEPmJS6_EEE10hipError_tPvRmT3_T4_T5_T6_T7_T9_mT8_P12ihipStream_tbDpT10_ENKUlT_T0_E_clISt17integral_constantIbLb0EES1B_IbLb1EEEEDaS17_S18_EUlS17_E_NS1_11comp_targetILNS1_3genE9ELNS1_11target_archE1100ELNS1_3gpuE3ELNS1_3repE0EEENS1_30default_config_static_selectorELNS0_4arch9wavefront6targetE0EEEvT1_
    .private_segment_fixed_size: 0
    .sgpr_count:     0
    .sgpr_spill_count: 0
    .symbol:         _ZN7rocprim17ROCPRIM_400000_NS6detail17trampoline_kernelINS0_14default_configENS1_25partition_config_selectorILNS1_17partition_subalgoE8ElNS0_10empty_typeEbEEZZNS1_14partition_implILS5_8ELb0ES3_jPlPS6_PKS6_NS0_5tupleIJS9_S6_EEENSD_IJSA_SA_EEENS0_18inequality_wrapperIZN2at6native12_GLOBAL__N_124unique_dim_cuda_templateIsEESt5tupleIJNSH_6TensorESM_SM_EERKSM_lbbbEUlllE0_EEPmJS6_EEE10hipError_tPvRmT3_T4_T5_T6_T7_T9_mT8_P12ihipStream_tbDpT10_ENKUlT_T0_E_clISt17integral_constantIbLb0EES1B_IbLb1EEEEDaS17_S18_EUlS17_E_NS1_11comp_targetILNS1_3genE9ELNS1_11target_archE1100ELNS1_3gpuE3ELNS1_3repE0EEENS1_30default_config_static_selectorELNS0_4arch9wavefront6targetE0EEEvT1_.kd
    .uniform_work_group_size: 1
    .uses_dynamic_stack: false
    .vgpr_count:     0
    .vgpr_spill_count: 0
    .wavefront_size: 32
  - .args:
      - .offset:         0
        .size:           136
        .value_kind:     by_value
    .group_segment_fixed_size: 0
    .kernarg_segment_align: 8
    .kernarg_segment_size: 136
    .language:       OpenCL C
    .language_version:
      - 2
      - 0
    .max_flat_workgroup_size: 512
    .name:           _ZN7rocprim17ROCPRIM_400000_NS6detail17trampoline_kernelINS0_14default_configENS1_25partition_config_selectorILNS1_17partition_subalgoE8ElNS0_10empty_typeEbEEZZNS1_14partition_implILS5_8ELb0ES3_jPlPS6_PKS6_NS0_5tupleIJS9_S6_EEENSD_IJSA_SA_EEENS0_18inequality_wrapperIZN2at6native12_GLOBAL__N_124unique_dim_cuda_templateIsEESt5tupleIJNSH_6TensorESM_SM_EERKSM_lbbbEUlllE0_EEPmJS6_EEE10hipError_tPvRmT3_T4_T5_T6_T7_T9_mT8_P12ihipStream_tbDpT10_ENKUlT_T0_E_clISt17integral_constantIbLb0EES1B_IbLb1EEEEDaS17_S18_EUlS17_E_NS1_11comp_targetILNS1_3genE8ELNS1_11target_archE1030ELNS1_3gpuE2ELNS1_3repE0EEENS1_30default_config_static_selectorELNS0_4arch9wavefront6targetE0EEEvT1_
    .private_segment_fixed_size: 0
    .sgpr_count:     0
    .sgpr_spill_count: 0
    .symbol:         _ZN7rocprim17ROCPRIM_400000_NS6detail17trampoline_kernelINS0_14default_configENS1_25partition_config_selectorILNS1_17partition_subalgoE8ElNS0_10empty_typeEbEEZZNS1_14partition_implILS5_8ELb0ES3_jPlPS6_PKS6_NS0_5tupleIJS9_S6_EEENSD_IJSA_SA_EEENS0_18inequality_wrapperIZN2at6native12_GLOBAL__N_124unique_dim_cuda_templateIsEESt5tupleIJNSH_6TensorESM_SM_EERKSM_lbbbEUlllE0_EEPmJS6_EEE10hipError_tPvRmT3_T4_T5_T6_T7_T9_mT8_P12ihipStream_tbDpT10_ENKUlT_T0_E_clISt17integral_constantIbLb0EES1B_IbLb1EEEEDaS17_S18_EUlS17_E_NS1_11comp_targetILNS1_3genE8ELNS1_11target_archE1030ELNS1_3gpuE2ELNS1_3repE0EEENS1_30default_config_static_selectorELNS0_4arch9wavefront6targetE0EEEvT1_.kd
    .uniform_work_group_size: 1
    .uses_dynamic_stack: false
    .vgpr_count:     0
    .vgpr_spill_count: 0
    .wavefront_size: 32
  - .args:
      - .offset:         0
        .size:           120
        .value_kind:     by_value
    .group_segment_fixed_size: 5128
    .kernarg_segment_align: 8
    .kernarg_segment_size: 120
    .language:       OpenCL C
    .language_version:
      - 2
      - 0
    .max_flat_workgroup_size: 128
    .name:           _ZN7rocprim17ROCPRIM_400000_NS6detail17trampoline_kernelINS0_14default_configENS1_25partition_config_selectorILNS1_17partition_subalgoE9EllbEEZZNS1_14partition_implILS5_9ELb0ES3_jPlS8_PNS0_10empty_typeENS0_5tupleIJS8_S9_EEENSB_IJS8_SA_EEENS0_18inequality_wrapperIZN2at6native12_GLOBAL__N_124unique_dim_cuda_templateIsEESt5tupleIJNSF_6TensorESK_SK_EERKSK_lbbbEUlllE0_EEPmJS9_EEE10hipError_tPvRmT3_T4_T5_T6_T7_T9_mT8_P12ihipStream_tbDpT10_ENKUlT_T0_E_clISt17integral_constantIbLb0EES1A_EEDaS15_S16_EUlS15_E_NS1_11comp_targetILNS1_3genE0ELNS1_11target_archE4294967295ELNS1_3gpuE0ELNS1_3repE0EEENS1_30default_config_static_selectorELNS0_4arch9wavefront6targetE0EEEvT1_
    .private_segment_fixed_size: 0
    .sgpr_count:     34
    .sgpr_spill_count: 0
    .symbol:         _ZN7rocprim17ROCPRIM_400000_NS6detail17trampoline_kernelINS0_14default_configENS1_25partition_config_selectorILNS1_17partition_subalgoE9EllbEEZZNS1_14partition_implILS5_9ELb0ES3_jPlS8_PNS0_10empty_typeENS0_5tupleIJS8_S9_EEENSB_IJS8_SA_EEENS0_18inequality_wrapperIZN2at6native12_GLOBAL__N_124unique_dim_cuda_templateIsEESt5tupleIJNSF_6TensorESK_SK_EERKSK_lbbbEUlllE0_EEPmJS9_EEE10hipError_tPvRmT3_T4_T5_T6_T7_T9_mT8_P12ihipStream_tbDpT10_ENKUlT_T0_E_clISt17integral_constantIbLb0EES1A_EEDaS15_S16_EUlS15_E_NS1_11comp_targetILNS1_3genE0ELNS1_11target_archE4294967295ELNS1_3gpuE0ELNS1_3repE0EEENS1_30default_config_static_selectorELNS0_4arch9wavefront6targetE0EEEvT1_.kd
    .uniform_work_group_size: 1
    .uses_dynamic_stack: false
    .vgpr_count:     56
    .vgpr_spill_count: 0
    .wavefront_size: 32
  - .args:
      - .offset:         0
        .size:           120
        .value_kind:     by_value
    .group_segment_fixed_size: 0
    .kernarg_segment_align: 8
    .kernarg_segment_size: 120
    .language:       OpenCL C
    .language_version:
      - 2
      - 0
    .max_flat_workgroup_size: 512
    .name:           _ZN7rocprim17ROCPRIM_400000_NS6detail17trampoline_kernelINS0_14default_configENS1_25partition_config_selectorILNS1_17partition_subalgoE9EllbEEZZNS1_14partition_implILS5_9ELb0ES3_jPlS8_PNS0_10empty_typeENS0_5tupleIJS8_S9_EEENSB_IJS8_SA_EEENS0_18inequality_wrapperIZN2at6native12_GLOBAL__N_124unique_dim_cuda_templateIsEESt5tupleIJNSF_6TensorESK_SK_EERKSK_lbbbEUlllE0_EEPmJS9_EEE10hipError_tPvRmT3_T4_T5_T6_T7_T9_mT8_P12ihipStream_tbDpT10_ENKUlT_T0_E_clISt17integral_constantIbLb0EES1A_EEDaS15_S16_EUlS15_E_NS1_11comp_targetILNS1_3genE5ELNS1_11target_archE942ELNS1_3gpuE9ELNS1_3repE0EEENS1_30default_config_static_selectorELNS0_4arch9wavefront6targetE0EEEvT1_
    .private_segment_fixed_size: 0
    .sgpr_count:     0
    .sgpr_spill_count: 0
    .symbol:         _ZN7rocprim17ROCPRIM_400000_NS6detail17trampoline_kernelINS0_14default_configENS1_25partition_config_selectorILNS1_17partition_subalgoE9EllbEEZZNS1_14partition_implILS5_9ELb0ES3_jPlS8_PNS0_10empty_typeENS0_5tupleIJS8_S9_EEENSB_IJS8_SA_EEENS0_18inequality_wrapperIZN2at6native12_GLOBAL__N_124unique_dim_cuda_templateIsEESt5tupleIJNSF_6TensorESK_SK_EERKSK_lbbbEUlllE0_EEPmJS9_EEE10hipError_tPvRmT3_T4_T5_T6_T7_T9_mT8_P12ihipStream_tbDpT10_ENKUlT_T0_E_clISt17integral_constantIbLb0EES1A_EEDaS15_S16_EUlS15_E_NS1_11comp_targetILNS1_3genE5ELNS1_11target_archE942ELNS1_3gpuE9ELNS1_3repE0EEENS1_30default_config_static_selectorELNS0_4arch9wavefront6targetE0EEEvT1_.kd
    .uniform_work_group_size: 1
    .uses_dynamic_stack: false
    .vgpr_count:     0
    .vgpr_spill_count: 0
    .wavefront_size: 32
  - .args:
      - .offset:         0
        .size:           120
        .value_kind:     by_value
    .group_segment_fixed_size: 0
    .kernarg_segment_align: 8
    .kernarg_segment_size: 120
    .language:       OpenCL C
    .language_version:
      - 2
      - 0
    .max_flat_workgroup_size: 128
    .name:           _ZN7rocprim17ROCPRIM_400000_NS6detail17trampoline_kernelINS0_14default_configENS1_25partition_config_selectorILNS1_17partition_subalgoE9EllbEEZZNS1_14partition_implILS5_9ELb0ES3_jPlS8_PNS0_10empty_typeENS0_5tupleIJS8_S9_EEENSB_IJS8_SA_EEENS0_18inequality_wrapperIZN2at6native12_GLOBAL__N_124unique_dim_cuda_templateIsEESt5tupleIJNSF_6TensorESK_SK_EERKSK_lbbbEUlllE0_EEPmJS9_EEE10hipError_tPvRmT3_T4_T5_T6_T7_T9_mT8_P12ihipStream_tbDpT10_ENKUlT_T0_E_clISt17integral_constantIbLb0EES1A_EEDaS15_S16_EUlS15_E_NS1_11comp_targetILNS1_3genE4ELNS1_11target_archE910ELNS1_3gpuE8ELNS1_3repE0EEENS1_30default_config_static_selectorELNS0_4arch9wavefront6targetE0EEEvT1_
    .private_segment_fixed_size: 0
    .sgpr_count:     0
    .sgpr_spill_count: 0
    .symbol:         _ZN7rocprim17ROCPRIM_400000_NS6detail17trampoline_kernelINS0_14default_configENS1_25partition_config_selectorILNS1_17partition_subalgoE9EllbEEZZNS1_14partition_implILS5_9ELb0ES3_jPlS8_PNS0_10empty_typeENS0_5tupleIJS8_S9_EEENSB_IJS8_SA_EEENS0_18inequality_wrapperIZN2at6native12_GLOBAL__N_124unique_dim_cuda_templateIsEESt5tupleIJNSF_6TensorESK_SK_EERKSK_lbbbEUlllE0_EEPmJS9_EEE10hipError_tPvRmT3_T4_T5_T6_T7_T9_mT8_P12ihipStream_tbDpT10_ENKUlT_T0_E_clISt17integral_constantIbLb0EES1A_EEDaS15_S16_EUlS15_E_NS1_11comp_targetILNS1_3genE4ELNS1_11target_archE910ELNS1_3gpuE8ELNS1_3repE0EEENS1_30default_config_static_selectorELNS0_4arch9wavefront6targetE0EEEvT1_.kd
    .uniform_work_group_size: 1
    .uses_dynamic_stack: false
    .vgpr_count:     0
    .vgpr_spill_count: 0
    .wavefront_size: 32
  - .args:
      - .offset:         0
        .size:           120
        .value_kind:     by_value
    .group_segment_fixed_size: 0
    .kernarg_segment_align: 8
    .kernarg_segment_size: 120
    .language:       OpenCL C
    .language_version:
      - 2
      - 0
    .max_flat_workgroup_size: 128
    .name:           _ZN7rocprim17ROCPRIM_400000_NS6detail17trampoline_kernelINS0_14default_configENS1_25partition_config_selectorILNS1_17partition_subalgoE9EllbEEZZNS1_14partition_implILS5_9ELb0ES3_jPlS8_PNS0_10empty_typeENS0_5tupleIJS8_S9_EEENSB_IJS8_SA_EEENS0_18inequality_wrapperIZN2at6native12_GLOBAL__N_124unique_dim_cuda_templateIsEESt5tupleIJNSF_6TensorESK_SK_EERKSK_lbbbEUlllE0_EEPmJS9_EEE10hipError_tPvRmT3_T4_T5_T6_T7_T9_mT8_P12ihipStream_tbDpT10_ENKUlT_T0_E_clISt17integral_constantIbLb0EES1A_EEDaS15_S16_EUlS15_E_NS1_11comp_targetILNS1_3genE3ELNS1_11target_archE908ELNS1_3gpuE7ELNS1_3repE0EEENS1_30default_config_static_selectorELNS0_4arch9wavefront6targetE0EEEvT1_
    .private_segment_fixed_size: 0
    .sgpr_count:     0
    .sgpr_spill_count: 0
    .symbol:         _ZN7rocprim17ROCPRIM_400000_NS6detail17trampoline_kernelINS0_14default_configENS1_25partition_config_selectorILNS1_17partition_subalgoE9EllbEEZZNS1_14partition_implILS5_9ELb0ES3_jPlS8_PNS0_10empty_typeENS0_5tupleIJS8_S9_EEENSB_IJS8_SA_EEENS0_18inequality_wrapperIZN2at6native12_GLOBAL__N_124unique_dim_cuda_templateIsEESt5tupleIJNSF_6TensorESK_SK_EERKSK_lbbbEUlllE0_EEPmJS9_EEE10hipError_tPvRmT3_T4_T5_T6_T7_T9_mT8_P12ihipStream_tbDpT10_ENKUlT_T0_E_clISt17integral_constantIbLb0EES1A_EEDaS15_S16_EUlS15_E_NS1_11comp_targetILNS1_3genE3ELNS1_11target_archE908ELNS1_3gpuE7ELNS1_3repE0EEENS1_30default_config_static_selectorELNS0_4arch9wavefront6targetE0EEEvT1_.kd
    .uniform_work_group_size: 1
    .uses_dynamic_stack: false
    .vgpr_count:     0
    .vgpr_spill_count: 0
    .wavefront_size: 32
  - .args:
      - .offset:         0
        .size:           120
        .value_kind:     by_value
    .group_segment_fixed_size: 0
    .kernarg_segment_align: 8
    .kernarg_segment_size: 120
    .language:       OpenCL C
    .language_version:
      - 2
      - 0
    .max_flat_workgroup_size: 192
    .name:           _ZN7rocprim17ROCPRIM_400000_NS6detail17trampoline_kernelINS0_14default_configENS1_25partition_config_selectorILNS1_17partition_subalgoE9EllbEEZZNS1_14partition_implILS5_9ELb0ES3_jPlS8_PNS0_10empty_typeENS0_5tupleIJS8_S9_EEENSB_IJS8_SA_EEENS0_18inequality_wrapperIZN2at6native12_GLOBAL__N_124unique_dim_cuda_templateIsEESt5tupleIJNSF_6TensorESK_SK_EERKSK_lbbbEUlllE0_EEPmJS9_EEE10hipError_tPvRmT3_T4_T5_T6_T7_T9_mT8_P12ihipStream_tbDpT10_ENKUlT_T0_E_clISt17integral_constantIbLb0EES1A_EEDaS15_S16_EUlS15_E_NS1_11comp_targetILNS1_3genE2ELNS1_11target_archE906ELNS1_3gpuE6ELNS1_3repE0EEENS1_30default_config_static_selectorELNS0_4arch9wavefront6targetE0EEEvT1_
    .private_segment_fixed_size: 0
    .sgpr_count:     0
    .sgpr_spill_count: 0
    .symbol:         _ZN7rocprim17ROCPRIM_400000_NS6detail17trampoline_kernelINS0_14default_configENS1_25partition_config_selectorILNS1_17partition_subalgoE9EllbEEZZNS1_14partition_implILS5_9ELb0ES3_jPlS8_PNS0_10empty_typeENS0_5tupleIJS8_S9_EEENSB_IJS8_SA_EEENS0_18inequality_wrapperIZN2at6native12_GLOBAL__N_124unique_dim_cuda_templateIsEESt5tupleIJNSF_6TensorESK_SK_EERKSK_lbbbEUlllE0_EEPmJS9_EEE10hipError_tPvRmT3_T4_T5_T6_T7_T9_mT8_P12ihipStream_tbDpT10_ENKUlT_T0_E_clISt17integral_constantIbLb0EES1A_EEDaS15_S16_EUlS15_E_NS1_11comp_targetILNS1_3genE2ELNS1_11target_archE906ELNS1_3gpuE6ELNS1_3repE0EEENS1_30default_config_static_selectorELNS0_4arch9wavefront6targetE0EEEvT1_.kd
    .uniform_work_group_size: 1
    .uses_dynamic_stack: false
    .vgpr_count:     0
    .vgpr_spill_count: 0
    .wavefront_size: 32
  - .args:
      - .offset:         0
        .size:           120
        .value_kind:     by_value
    .group_segment_fixed_size: 0
    .kernarg_segment_align: 8
    .kernarg_segment_size: 120
    .language:       OpenCL C
    .language_version:
      - 2
      - 0
    .max_flat_workgroup_size: 384
    .name:           _ZN7rocprim17ROCPRIM_400000_NS6detail17trampoline_kernelINS0_14default_configENS1_25partition_config_selectorILNS1_17partition_subalgoE9EllbEEZZNS1_14partition_implILS5_9ELb0ES3_jPlS8_PNS0_10empty_typeENS0_5tupleIJS8_S9_EEENSB_IJS8_SA_EEENS0_18inequality_wrapperIZN2at6native12_GLOBAL__N_124unique_dim_cuda_templateIsEESt5tupleIJNSF_6TensorESK_SK_EERKSK_lbbbEUlllE0_EEPmJS9_EEE10hipError_tPvRmT3_T4_T5_T6_T7_T9_mT8_P12ihipStream_tbDpT10_ENKUlT_T0_E_clISt17integral_constantIbLb0EES1A_EEDaS15_S16_EUlS15_E_NS1_11comp_targetILNS1_3genE10ELNS1_11target_archE1200ELNS1_3gpuE4ELNS1_3repE0EEENS1_30default_config_static_selectorELNS0_4arch9wavefront6targetE0EEEvT1_
    .private_segment_fixed_size: 0
    .sgpr_count:     0
    .sgpr_spill_count: 0
    .symbol:         _ZN7rocprim17ROCPRIM_400000_NS6detail17trampoline_kernelINS0_14default_configENS1_25partition_config_selectorILNS1_17partition_subalgoE9EllbEEZZNS1_14partition_implILS5_9ELb0ES3_jPlS8_PNS0_10empty_typeENS0_5tupleIJS8_S9_EEENSB_IJS8_SA_EEENS0_18inequality_wrapperIZN2at6native12_GLOBAL__N_124unique_dim_cuda_templateIsEESt5tupleIJNSF_6TensorESK_SK_EERKSK_lbbbEUlllE0_EEPmJS9_EEE10hipError_tPvRmT3_T4_T5_T6_T7_T9_mT8_P12ihipStream_tbDpT10_ENKUlT_T0_E_clISt17integral_constantIbLb0EES1A_EEDaS15_S16_EUlS15_E_NS1_11comp_targetILNS1_3genE10ELNS1_11target_archE1200ELNS1_3gpuE4ELNS1_3repE0EEENS1_30default_config_static_selectorELNS0_4arch9wavefront6targetE0EEEvT1_.kd
    .uniform_work_group_size: 1
    .uses_dynamic_stack: false
    .vgpr_count:     0
    .vgpr_spill_count: 0
    .wavefront_size: 32
  - .args:
      - .offset:         0
        .size:           120
        .value_kind:     by_value
    .group_segment_fixed_size: 0
    .kernarg_segment_align: 8
    .kernarg_segment_size: 120
    .language:       OpenCL C
    .language_version:
      - 2
      - 0
    .max_flat_workgroup_size: 512
    .name:           _ZN7rocprim17ROCPRIM_400000_NS6detail17trampoline_kernelINS0_14default_configENS1_25partition_config_selectorILNS1_17partition_subalgoE9EllbEEZZNS1_14partition_implILS5_9ELb0ES3_jPlS8_PNS0_10empty_typeENS0_5tupleIJS8_S9_EEENSB_IJS8_SA_EEENS0_18inequality_wrapperIZN2at6native12_GLOBAL__N_124unique_dim_cuda_templateIsEESt5tupleIJNSF_6TensorESK_SK_EERKSK_lbbbEUlllE0_EEPmJS9_EEE10hipError_tPvRmT3_T4_T5_T6_T7_T9_mT8_P12ihipStream_tbDpT10_ENKUlT_T0_E_clISt17integral_constantIbLb0EES1A_EEDaS15_S16_EUlS15_E_NS1_11comp_targetILNS1_3genE9ELNS1_11target_archE1100ELNS1_3gpuE3ELNS1_3repE0EEENS1_30default_config_static_selectorELNS0_4arch9wavefront6targetE0EEEvT1_
    .private_segment_fixed_size: 0
    .sgpr_count:     0
    .sgpr_spill_count: 0
    .symbol:         _ZN7rocprim17ROCPRIM_400000_NS6detail17trampoline_kernelINS0_14default_configENS1_25partition_config_selectorILNS1_17partition_subalgoE9EllbEEZZNS1_14partition_implILS5_9ELb0ES3_jPlS8_PNS0_10empty_typeENS0_5tupleIJS8_S9_EEENSB_IJS8_SA_EEENS0_18inequality_wrapperIZN2at6native12_GLOBAL__N_124unique_dim_cuda_templateIsEESt5tupleIJNSF_6TensorESK_SK_EERKSK_lbbbEUlllE0_EEPmJS9_EEE10hipError_tPvRmT3_T4_T5_T6_T7_T9_mT8_P12ihipStream_tbDpT10_ENKUlT_T0_E_clISt17integral_constantIbLb0EES1A_EEDaS15_S16_EUlS15_E_NS1_11comp_targetILNS1_3genE9ELNS1_11target_archE1100ELNS1_3gpuE3ELNS1_3repE0EEENS1_30default_config_static_selectorELNS0_4arch9wavefront6targetE0EEEvT1_.kd
    .uniform_work_group_size: 1
    .uses_dynamic_stack: false
    .vgpr_count:     0
    .vgpr_spill_count: 0
    .wavefront_size: 32
  - .args:
      - .offset:         0
        .size:           120
        .value_kind:     by_value
    .group_segment_fixed_size: 0
    .kernarg_segment_align: 8
    .kernarg_segment_size: 120
    .language:       OpenCL C
    .language_version:
      - 2
      - 0
    .max_flat_workgroup_size: 512
    .name:           _ZN7rocprim17ROCPRIM_400000_NS6detail17trampoline_kernelINS0_14default_configENS1_25partition_config_selectorILNS1_17partition_subalgoE9EllbEEZZNS1_14partition_implILS5_9ELb0ES3_jPlS8_PNS0_10empty_typeENS0_5tupleIJS8_S9_EEENSB_IJS8_SA_EEENS0_18inequality_wrapperIZN2at6native12_GLOBAL__N_124unique_dim_cuda_templateIsEESt5tupleIJNSF_6TensorESK_SK_EERKSK_lbbbEUlllE0_EEPmJS9_EEE10hipError_tPvRmT3_T4_T5_T6_T7_T9_mT8_P12ihipStream_tbDpT10_ENKUlT_T0_E_clISt17integral_constantIbLb0EES1A_EEDaS15_S16_EUlS15_E_NS1_11comp_targetILNS1_3genE8ELNS1_11target_archE1030ELNS1_3gpuE2ELNS1_3repE0EEENS1_30default_config_static_selectorELNS0_4arch9wavefront6targetE0EEEvT1_
    .private_segment_fixed_size: 0
    .sgpr_count:     0
    .sgpr_spill_count: 0
    .symbol:         _ZN7rocprim17ROCPRIM_400000_NS6detail17trampoline_kernelINS0_14default_configENS1_25partition_config_selectorILNS1_17partition_subalgoE9EllbEEZZNS1_14partition_implILS5_9ELb0ES3_jPlS8_PNS0_10empty_typeENS0_5tupleIJS8_S9_EEENSB_IJS8_SA_EEENS0_18inequality_wrapperIZN2at6native12_GLOBAL__N_124unique_dim_cuda_templateIsEESt5tupleIJNSF_6TensorESK_SK_EERKSK_lbbbEUlllE0_EEPmJS9_EEE10hipError_tPvRmT3_T4_T5_T6_T7_T9_mT8_P12ihipStream_tbDpT10_ENKUlT_T0_E_clISt17integral_constantIbLb0EES1A_EEDaS15_S16_EUlS15_E_NS1_11comp_targetILNS1_3genE8ELNS1_11target_archE1030ELNS1_3gpuE2ELNS1_3repE0EEENS1_30default_config_static_selectorELNS0_4arch9wavefront6targetE0EEEvT1_.kd
    .uniform_work_group_size: 1
    .uses_dynamic_stack: false
    .vgpr_count:     0
    .vgpr_spill_count: 0
    .wavefront_size: 32
  - .args:
      - .offset:         0
        .size:           136
        .value_kind:     by_value
    .group_segment_fixed_size: 0
    .kernarg_segment_align: 8
    .kernarg_segment_size: 136
    .language:       OpenCL C
    .language_version:
      - 2
      - 0
    .max_flat_workgroup_size: 128
    .name:           _ZN7rocprim17ROCPRIM_400000_NS6detail17trampoline_kernelINS0_14default_configENS1_25partition_config_selectorILNS1_17partition_subalgoE9EllbEEZZNS1_14partition_implILS5_9ELb0ES3_jPlS8_PNS0_10empty_typeENS0_5tupleIJS8_S9_EEENSB_IJS8_SA_EEENS0_18inequality_wrapperIZN2at6native12_GLOBAL__N_124unique_dim_cuda_templateIsEESt5tupleIJNSF_6TensorESK_SK_EERKSK_lbbbEUlllE0_EEPmJS9_EEE10hipError_tPvRmT3_T4_T5_T6_T7_T9_mT8_P12ihipStream_tbDpT10_ENKUlT_T0_E_clISt17integral_constantIbLb1EES1A_EEDaS15_S16_EUlS15_E_NS1_11comp_targetILNS1_3genE0ELNS1_11target_archE4294967295ELNS1_3gpuE0ELNS1_3repE0EEENS1_30default_config_static_selectorELNS0_4arch9wavefront6targetE0EEEvT1_
    .private_segment_fixed_size: 0
    .sgpr_count:     0
    .sgpr_spill_count: 0
    .symbol:         _ZN7rocprim17ROCPRIM_400000_NS6detail17trampoline_kernelINS0_14default_configENS1_25partition_config_selectorILNS1_17partition_subalgoE9EllbEEZZNS1_14partition_implILS5_9ELb0ES3_jPlS8_PNS0_10empty_typeENS0_5tupleIJS8_S9_EEENSB_IJS8_SA_EEENS0_18inequality_wrapperIZN2at6native12_GLOBAL__N_124unique_dim_cuda_templateIsEESt5tupleIJNSF_6TensorESK_SK_EERKSK_lbbbEUlllE0_EEPmJS9_EEE10hipError_tPvRmT3_T4_T5_T6_T7_T9_mT8_P12ihipStream_tbDpT10_ENKUlT_T0_E_clISt17integral_constantIbLb1EES1A_EEDaS15_S16_EUlS15_E_NS1_11comp_targetILNS1_3genE0ELNS1_11target_archE4294967295ELNS1_3gpuE0ELNS1_3repE0EEENS1_30default_config_static_selectorELNS0_4arch9wavefront6targetE0EEEvT1_.kd
    .uniform_work_group_size: 1
    .uses_dynamic_stack: false
    .vgpr_count:     0
    .vgpr_spill_count: 0
    .wavefront_size: 32
  - .args:
      - .offset:         0
        .size:           136
        .value_kind:     by_value
    .group_segment_fixed_size: 0
    .kernarg_segment_align: 8
    .kernarg_segment_size: 136
    .language:       OpenCL C
    .language_version:
      - 2
      - 0
    .max_flat_workgroup_size: 512
    .name:           _ZN7rocprim17ROCPRIM_400000_NS6detail17trampoline_kernelINS0_14default_configENS1_25partition_config_selectorILNS1_17partition_subalgoE9EllbEEZZNS1_14partition_implILS5_9ELb0ES3_jPlS8_PNS0_10empty_typeENS0_5tupleIJS8_S9_EEENSB_IJS8_SA_EEENS0_18inequality_wrapperIZN2at6native12_GLOBAL__N_124unique_dim_cuda_templateIsEESt5tupleIJNSF_6TensorESK_SK_EERKSK_lbbbEUlllE0_EEPmJS9_EEE10hipError_tPvRmT3_T4_T5_T6_T7_T9_mT8_P12ihipStream_tbDpT10_ENKUlT_T0_E_clISt17integral_constantIbLb1EES1A_EEDaS15_S16_EUlS15_E_NS1_11comp_targetILNS1_3genE5ELNS1_11target_archE942ELNS1_3gpuE9ELNS1_3repE0EEENS1_30default_config_static_selectorELNS0_4arch9wavefront6targetE0EEEvT1_
    .private_segment_fixed_size: 0
    .sgpr_count:     0
    .sgpr_spill_count: 0
    .symbol:         _ZN7rocprim17ROCPRIM_400000_NS6detail17trampoline_kernelINS0_14default_configENS1_25partition_config_selectorILNS1_17partition_subalgoE9EllbEEZZNS1_14partition_implILS5_9ELb0ES3_jPlS8_PNS0_10empty_typeENS0_5tupleIJS8_S9_EEENSB_IJS8_SA_EEENS0_18inequality_wrapperIZN2at6native12_GLOBAL__N_124unique_dim_cuda_templateIsEESt5tupleIJNSF_6TensorESK_SK_EERKSK_lbbbEUlllE0_EEPmJS9_EEE10hipError_tPvRmT3_T4_T5_T6_T7_T9_mT8_P12ihipStream_tbDpT10_ENKUlT_T0_E_clISt17integral_constantIbLb1EES1A_EEDaS15_S16_EUlS15_E_NS1_11comp_targetILNS1_3genE5ELNS1_11target_archE942ELNS1_3gpuE9ELNS1_3repE0EEENS1_30default_config_static_selectorELNS0_4arch9wavefront6targetE0EEEvT1_.kd
    .uniform_work_group_size: 1
    .uses_dynamic_stack: false
    .vgpr_count:     0
    .vgpr_spill_count: 0
    .wavefront_size: 32
  - .args:
      - .offset:         0
        .size:           136
        .value_kind:     by_value
    .group_segment_fixed_size: 0
    .kernarg_segment_align: 8
    .kernarg_segment_size: 136
    .language:       OpenCL C
    .language_version:
      - 2
      - 0
    .max_flat_workgroup_size: 128
    .name:           _ZN7rocprim17ROCPRIM_400000_NS6detail17trampoline_kernelINS0_14default_configENS1_25partition_config_selectorILNS1_17partition_subalgoE9EllbEEZZNS1_14partition_implILS5_9ELb0ES3_jPlS8_PNS0_10empty_typeENS0_5tupleIJS8_S9_EEENSB_IJS8_SA_EEENS0_18inequality_wrapperIZN2at6native12_GLOBAL__N_124unique_dim_cuda_templateIsEESt5tupleIJNSF_6TensorESK_SK_EERKSK_lbbbEUlllE0_EEPmJS9_EEE10hipError_tPvRmT3_T4_T5_T6_T7_T9_mT8_P12ihipStream_tbDpT10_ENKUlT_T0_E_clISt17integral_constantIbLb1EES1A_EEDaS15_S16_EUlS15_E_NS1_11comp_targetILNS1_3genE4ELNS1_11target_archE910ELNS1_3gpuE8ELNS1_3repE0EEENS1_30default_config_static_selectorELNS0_4arch9wavefront6targetE0EEEvT1_
    .private_segment_fixed_size: 0
    .sgpr_count:     0
    .sgpr_spill_count: 0
    .symbol:         _ZN7rocprim17ROCPRIM_400000_NS6detail17trampoline_kernelINS0_14default_configENS1_25partition_config_selectorILNS1_17partition_subalgoE9EllbEEZZNS1_14partition_implILS5_9ELb0ES3_jPlS8_PNS0_10empty_typeENS0_5tupleIJS8_S9_EEENSB_IJS8_SA_EEENS0_18inequality_wrapperIZN2at6native12_GLOBAL__N_124unique_dim_cuda_templateIsEESt5tupleIJNSF_6TensorESK_SK_EERKSK_lbbbEUlllE0_EEPmJS9_EEE10hipError_tPvRmT3_T4_T5_T6_T7_T9_mT8_P12ihipStream_tbDpT10_ENKUlT_T0_E_clISt17integral_constantIbLb1EES1A_EEDaS15_S16_EUlS15_E_NS1_11comp_targetILNS1_3genE4ELNS1_11target_archE910ELNS1_3gpuE8ELNS1_3repE0EEENS1_30default_config_static_selectorELNS0_4arch9wavefront6targetE0EEEvT1_.kd
    .uniform_work_group_size: 1
    .uses_dynamic_stack: false
    .vgpr_count:     0
    .vgpr_spill_count: 0
    .wavefront_size: 32
  - .args:
      - .offset:         0
        .size:           136
        .value_kind:     by_value
    .group_segment_fixed_size: 0
    .kernarg_segment_align: 8
    .kernarg_segment_size: 136
    .language:       OpenCL C
    .language_version:
      - 2
      - 0
    .max_flat_workgroup_size: 128
    .name:           _ZN7rocprim17ROCPRIM_400000_NS6detail17trampoline_kernelINS0_14default_configENS1_25partition_config_selectorILNS1_17partition_subalgoE9EllbEEZZNS1_14partition_implILS5_9ELb0ES3_jPlS8_PNS0_10empty_typeENS0_5tupleIJS8_S9_EEENSB_IJS8_SA_EEENS0_18inequality_wrapperIZN2at6native12_GLOBAL__N_124unique_dim_cuda_templateIsEESt5tupleIJNSF_6TensorESK_SK_EERKSK_lbbbEUlllE0_EEPmJS9_EEE10hipError_tPvRmT3_T4_T5_T6_T7_T9_mT8_P12ihipStream_tbDpT10_ENKUlT_T0_E_clISt17integral_constantIbLb1EES1A_EEDaS15_S16_EUlS15_E_NS1_11comp_targetILNS1_3genE3ELNS1_11target_archE908ELNS1_3gpuE7ELNS1_3repE0EEENS1_30default_config_static_selectorELNS0_4arch9wavefront6targetE0EEEvT1_
    .private_segment_fixed_size: 0
    .sgpr_count:     0
    .sgpr_spill_count: 0
    .symbol:         _ZN7rocprim17ROCPRIM_400000_NS6detail17trampoline_kernelINS0_14default_configENS1_25partition_config_selectorILNS1_17partition_subalgoE9EllbEEZZNS1_14partition_implILS5_9ELb0ES3_jPlS8_PNS0_10empty_typeENS0_5tupleIJS8_S9_EEENSB_IJS8_SA_EEENS0_18inequality_wrapperIZN2at6native12_GLOBAL__N_124unique_dim_cuda_templateIsEESt5tupleIJNSF_6TensorESK_SK_EERKSK_lbbbEUlllE0_EEPmJS9_EEE10hipError_tPvRmT3_T4_T5_T6_T7_T9_mT8_P12ihipStream_tbDpT10_ENKUlT_T0_E_clISt17integral_constantIbLb1EES1A_EEDaS15_S16_EUlS15_E_NS1_11comp_targetILNS1_3genE3ELNS1_11target_archE908ELNS1_3gpuE7ELNS1_3repE0EEENS1_30default_config_static_selectorELNS0_4arch9wavefront6targetE0EEEvT1_.kd
    .uniform_work_group_size: 1
    .uses_dynamic_stack: false
    .vgpr_count:     0
    .vgpr_spill_count: 0
    .wavefront_size: 32
  - .args:
      - .offset:         0
        .size:           136
        .value_kind:     by_value
    .group_segment_fixed_size: 0
    .kernarg_segment_align: 8
    .kernarg_segment_size: 136
    .language:       OpenCL C
    .language_version:
      - 2
      - 0
    .max_flat_workgroup_size: 192
    .name:           _ZN7rocprim17ROCPRIM_400000_NS6detail17trampoline_kernelINS0_14default_configENS1_25partition_config_selectorILNS1_17partition_subalgoE9EllbEEZZNS1_14partition_implILS5_9ELb0ES3_jPlS8_PNS0_10empty_typeENS0_5tupleIJS8_S9_EEENSB_IJS8_SA_EEENS0_18inequality_wrapperIZN2at6native12_GLOBAL__N_124unique_dim_cuda_templateIsEESt5tupleIJNSF_6TensorESK_SK_EERKSK_lbbbEUlllE0_EEPmJS9_EEE10hipError_tPvRmT3_T4_T5_T6_T7_T9_mT8_P12ihipStream_tbDpT10_ENKUlT_T0_E_clISt17integral_constantIbLb1EES1A_EEDaS15_S16_EUlS15_E_NS1_11comp_targetILNS1_3genE2ELNS1_11target_archE906ELNS1_3gpuE6ELNS1_3repE0EEENS1_30default_config_static_selectorELNS0_4arch9wavefront6targetE0EEEvT1_
    .private_segment_fixed_size: 0
    .sgpr_count:     0
    .sgpr_spill_count: 0
    .symbol:         _ZN7rocprim17ROCPRIM_400000_NS6detail17trampoline_kernelINS0_14default_configENS1_25partition_config_selectorILNS1_17partition_subalgoE9EllbEEZZNS1_14partition_implILS5_9ELb0ES3_jPlS8_PNS0_10empty_typeENS0_5tupleIJS8_S9_EEENSB_IJS8_SA_EEENS0_18inequality_wrapperIZN2at6native12_GLOBAL__N_124unique_dim_cuda_templateIsEESt5tupleIJNSF_6TensorESK_SK_EERKSK_lbbbEUlllE0_EEPmJS9_EEE10hipError_tPvRmT3_T4_T5_T6_T7_T9_mT8_P12ihipStream_tbDpT10_ENKUlT_T0_E_clISt17integral_constantIbLb1EES1A_EEDaS15_S16_EUlS15_E_NS1_11comp_targetILNS1_3genE2ELNS1_11target_archE906ELNS1_3gpuE6ELNS1_3repE0EEENS1_30default_config_static_selectorELNS0_4arch9wavefront6targetE0EEEvT1_.kd
    .uniform_work_group_size: 1
    .uses_dynamic_stack: false
    .vgpr_count:     0
    .vgpr_spill_count: 0
    .wavefront_size: 32
  - .args:
      - .offset:         0
        .size:           136
        .value_kind:     by_value
    .group_segment_fixed_size: 0
    .kernarg_segment_align: 8
    .kernarg_segment_size: 136
    .language:       OpenCL C
    .language_version:
      - 2
      - 0
    .max_flat_workgroup_size: 384
    .name:           _ZN7rocprim17ROCPRIM_400000_NS6detail17trampoline_kernelINS0_14default_configENS1_25partition_config_selectorILNS1_17partition_subalgoE9EllbEEZZNS1_14partition_implILS5_9ELb0ES3_jPlS8_PNS0_10empty_typeENS0_5tupleIJS8_S9_EEENSB_IJS8_SA_EEENS0_18inequality_wrapperIZN2at6native12_GLOBAL__N_124unique_dim_cuda_templateIsEESt5tupleIJNSF_6TensorESK_SK_EERKSK_lbbbEUlllE0_EEPmJS9_EEE10hipError_tPvRmT3_T4_T5_T6_T7_T9_mT8_P12ihipStream_tbDpT10_ENKUlT_T0_E_clISt17integral_constantIbLb1EES1A_EEDaS15_S16_EUlS15_E_NS1_11comp_targetILNS1_3genE10ELNS1_11target_archE1200ELNS1_3gpuE4ELNS1_3repE0EEENS1_30default_config_static_selectorELNS0_4arch9wavefront6targetE0EEEvT1_
    .private_segment_fixed_size: 0
    .sgpr_count:     0
    .sgpr_spill_count: 0
    .symbol:         _ZN7rocprim17ROCPRIM_400000_NS6detail17trampoline_kernelINS0_14default_configENS1_25partition_config_selectorILNS1_17partition_subalgoE9EllbEEZZNS1_14partition_implILS5_9ELb0ES3_jPlS8_PNS0_10empty_typeENS0_5tupleIJS8_S9_EEENSB_IJS8_SA_EEENS0_18inequality_wrapperIZN2at6native12_GLOBAL__N_124unique_dim_cuda_templateIsEESt5tupleIJNSF_6TensorESK_SK_EERKSK_lbbbEUlllE0_EEPmJS9_EEE10hipError_tPvRmT3_T4_T5_T6_T7_T9_mT8_P12ihipStream_tbDpT10_ENKUlT_T0_E_clISt17integral_constantIbLb1EES1A_EEDaS15_S16_EUlS15_E_NS1_11comp_targetILNS1_3genE10ELNS1_11target_archE1200ELNS1_3gpuE4ELNS1_3repE0EEENS1_30default_config_static_selectorELNS0_4arch9wavefront6targetE0EEEvT1_.kd
    .uniform_work_group_size: 1
    .uses_dynamic_stack: false
    .vgpr_count:     0
    .vgpr_spill_count: 0
    .wavefront_size: 32
  - .args:
      - .offset:         0
        .size:           136
        .value_kind:     by_value
    .group_segment_fixed_size: 0
    .kernarg_segment_align: 8
    .kernarg_segment_size: 136
    .language:       OpenCL C
    .language_version:
      - 2
      - 0
    .max_flat_workgroup_size: 512
    .name:           _ZN7rocprim17ROCPRIM_400000_NS6detail17trampoline_kernelINS0_14default_configENS1_25partition_config_selectorILNS1_17partition_subalgoE9EllbEEZZNS1_14partition_implILS5_9ELb0ES3_jPlS8_PNS0_10empty_typeENS0_5tupleIJS8_S9_EEENSB_IJS8_SA_EEENS0_18inequality_wrapperIZN2at6native12_GLOBAL__N_124unique_dim_cuda_templateIsEESt5tupleIJNSF_6TensorESK_SK_EERKSK_lbbbEUlllE0_EEPmJS9_EEE10hipError_tPvRmT3_T4_T5_T6_T7_T9_mT8_P12ihipStream_tbDpT10_ENKUlT_T0_E_clISt17integral_constantIbLb1EES1A_EEDaS15_S16_EUlS15_E_NS1_11comp_targetILNS1_3genE9ELNS1_11target_archE1100ELNS1_3gpuE3ELNS1_3repE0EEENS1_30default_config_static_selectorELNS0_4arch9wavefront6targetE0EEEvT1_
    .private_segment_fixed_size: 0
    .sgpr_count:     0
    .sgpr_spill_count: 0
    .symbol:         _ZN7rocprim17ROCPRIM_400000_NS6detail17trampoline_kernelINS0_14default_configENS1_25partition_config_selectorILNS1_17partition_subalgoE9EllbEEZZNS1_14partition_implILS5_9ELb0ES3_jPlS8_PNS0_10empty_typeENS0_5tupleIJS8_S9_EEENSB_IJS8_SA_EEENS0_18inequality_wrapperIZN2at6native12_GLOBAL__N_124unique_dim_cuda_templateIsEESt5tupleIJNSF_6TensorESK_SK_EERKSK_lbbbEUlllE0_EEPmJS9_EEE10hipError_tPvRmT3_T4_T5_T6_T7_T9_mT8_P12ihipStream_tbDpT10_ENKUlT_T0_E_clISt17integral_constantIbLb1EES1A_EEDaS15_S16_EUlS15_E_NS1_11comp_targetILNS1_3genE9ELNS1_11target_archE1100ELNS1_3gpuE3ELNS1_3repE0EEENS1_30default_config_static_selectorELNS0_4arch9wavefront6targetE0EEEvT1_.kd
    .uniform_work_group_size: 1
    .uses_dynamic_stack: false
    .vgpr_count:     0
    .vgpr_spill_count: 0
    .wavefront_size: 32
  - .args:
      - .offset:         0
        .size:           136
        .value_kind:     by_value
    .group_segment_fixed_size: 0
    .kernarg_segment_align: 8
    .kernarg_segment_size: 136
    .language:       OpenCL C
    .language_version:
      - 2
      - 0
    .max_flat_workgroup_size: 512
    .name:           _ZN7rocprim17ROCPRIM_400000_NS6detail17trampoline_kernelINS0_14default_configENS1_25partition_config_selectorILNS1_17partition_subalgoE9EllbEEZZNS1_14partition_implILS5_9ELb0ES3_jPlS8_PNS0_10empty_typeENS0_5tupleIJS8_S9_EEENSB_IJS8_SA_EEENS0_18inequality_wrapperIZN2at6native12_GLOBAL__N_124unique_dim_cuda_templateIsEESt5tupleIJNSF_6TensorESK_SK_EERKSK_lbbbEUlllE0_EEPmJS9_EEE10hipError_tPvRmT3_T4_T5_T6_T7_T9_mT8_P12ihipStream_tbDpT10_ENKUlT_T0_E_clISt17integral_constantIbLb1EES1A_EEDaS15_S16_EUlS15_E_NS1_11comp_targetILNS1_3genE8ELNS1_11target_archE1030ELNS1_3gpuE2ELNS1_3repE0EEENS1_30default_config_static_selectorELNS0_4arch9wavefront6targetE0EEEvT1_
    .private_segment_fixed_size: 0
    .sgpr_count:     0
    .sgpr_spill_count: 0
    .symbol:         _ZN7rocprim17ROCPRIM_400000_NS6detail17trampoline_kernelINS0_14default_configENS1_25partition_config_selectorILNS1_17partition_subalgoE9EllbEEZZNS1_14partition_implILS5_9ELb0ES3_jPlS8_PNS0_10empty_typeENS0_5tupleIJS8_S9_EEENSB_IJS8_SA_EEENS0_18inequality_wrapperIZN2at6native12_GLOBAL__N_124unique_dim_cuda_templateIsEESt5tupleIJNSF_6TensorESK_SK_EERKSK_lbbbEUlllE0_EEPmJS9_EEE10hipError_tPvRmT3_T4_T5_T6_T7_T9_mT8_P12ihipStream_tbDpT10_ENKUlT_T0_E_clISt17integral_constantIbLb1EES1A_EEDaS15_S16_EUlS15_E_NS1_11comp_targetILNS1_3genE8ELNS1_11target_archE1030ELNS1_3gpuE2ELNS1_3repE0EEENS1_30default_config_static_selectorELNS0_4arch9wavefront6targetE0EEEvT1_.kd
    .uniform_work_group_size: 1
    .uses_dynamic_stack: false
    .vgpr_count:     0
    .vgpr_spill_count: 0
    .wavefront_size: 32
  - .args:
      - .offset:         0
        .size:           120
        .value_kind:     by_value
    .group_segment_fixed_size: 0
    .kernarg_segment_align: 8
    .kernarg_segment_size: 120
    .language:       OpenCL C
    .language_version:
      - 2
      - 0
    .max_flat_workgroup_size: 128
    .name:           _ZN7rocprim17ROCPRIM_400000_NS6detail17trampoline_kernelINS0_14default_configENS1_25partition_config_selectorILNS1_17partition_subalgoE9EllbEEZZNS1_14partition_implILS5_9ELb0ES3_jPlS8_PNS0_10empty_typeENS0_5tupleIJS8_S9_EEENSB_IJS8_SA_EEENS0_18inequality_wrapperIZN2at6native12_GLOBAL__N_124unique_dim_cuda_templateIsEESt5tupleIJNSF_6TensorESK_SK_EERKSK_lbbbEUlllE0_EEPmJS9_EEE10hipError_tPvRmT3_T4_T5_T6_T7_T9_mT8_P12ihipStream_tbDpT10_ENKUlT_T0_E_clISt17integral_constantIbLb1EES19_IbLb0EEEEDaS15_S16_EUlS15_E_NS1_11comp_targetILNS1_3genE0ELNS1_11target_archE4294967295ELNS1_3gpuE0ELNS1_3repE0EEENS1_30default_config_static_selectorELNS0_4arch9wavefront6targetE0EEEvT1_
    .private_segment_fixed_size: 0
    .sgpr_count:     0
    .sgpr_spill_count: 0
    .symbol:         _ZN7rocprim17ROCPRIM_400000_NS6detail17trampoline_kernelINS0_14default_configENS1_25partition_config_selectorILNS1_17partition_subalgoE9EllbEEZZNS1_14partition_implILS5_9ELb0ES3_jPlS8_PNS0_10empty_typeENS0_5tupleIJS8_S9_EEENSB_IJS8_SA_EEENS0_18inequality_wrapperIZN2at6native12_GLOBAL__N_124unique_dim_cuda_templateIsEESt5tupleIJNSF_6TensorESK_SK_EERKSK_lbbbEUlllE0_EEPmJS9_EEE10hipError_tPvRmT3_T4_T5_T6_T7_T9_mT8_P12ihipStream_tbDpT10_ENKUlT_T0_E_clISt17integral_constantIbLb1EES19_IbLb0EEEEDaS15_S16_EUlS15_E_NS1_11comp_targetILNS1_3genE0ELNS1_11target_archE4294967295ELNS1_3gpuE0ELNS1_3repE0EEENS1_30default_config_static_selectorELNS0_4arch9wavefront6targetE0EEEvT1_.kd
    .uniform_work_group_size: 1
    .uses_dynamic_stack: false
    .vgpr_count:     0
    .vgpr_spill_count: 0
    .wavefront_size: 32
  - .args:
      - .offset:         0
        .size:           120
        .value_kind:     by_value
    .group_segment_fixed_size: 0
    .kernarg_segment_align: 8
    .kernarg_segment_size: 120
    .language:       OpenCL C
    .language_version:
      - 2
      - 0
    .max_flat_workgroup_size: 512
    .name:           _ZN7rocprim17ROCPRIM_400000_NS6detail17trampoline_kernelINS0_14default_configENS1_25partition_config_selectorILNS1_17partition_subalgoE9EllbEEZZNS1_14partition_implILS5_9ELb0ES3_jPlS8_PNS0_10empty_typeENS0_5tupleIJS8_S9_EEENSB_IJS8_SA_EEENS0_18inequality_wrapperIZN2at6native12_GLOBAL__N_124unique_dim_cuda_templateIsEESt5tupleIJNSF_6TensorESK_SK_EERKSK_lbbbEUlllE0_EEPmJS9_EEE10hipError_tPvRmT3_T4_T5_T6_T7_T9_mT8_P12ihipStream_tbDpT10_ENKUlT_T0_E_clISt17integral_constantIbLb1EES19_IbLb0EEEEDaS15_S16_EUlS15_E_NS1_11comp_targetILNS1_3genE5ELNS1_11target_archE942ELNS1_3gpuE9ELNS1_3repE0EEENS1_30default_config_static_selectorELNS0_4arch9wavefront6targetE0EEEvT1_
    .private_segment_fixed_size: 0
    .sgpr_count:     0
    .sgpr_spill_count: 0
    .symbol:         _ZN7rocprim17ROCPRIM_400000_NS6detail17trampoline_kernelINS0_14default_configENS1_25partition_config_selectorILNS1_17partition_subalgoE9EllbEEZZNS1_14partition_implILS5_9ELb0ES3_jPlS8_PNS0_10empty_typeENS0_5tupleIJS8_S9_EEENSB_IJS8_SA_EEENS0_18inequality_wrapperIZN2at6native12_GLOBAL__N_124unique_dim_cuda_templateIsEESt5tupleIJNSF_6TensorESK_SK_EERKSK_lbbbEUlllE0_EEPmJS9_EEE10hipError_tPvRmT3_T4_T5_T6_T7_T9_mT8_P12ihipStream_tbDpT10_ENKUlT_T0_E_clISt17integral_constantIbLb1EES19_IbLb0EEEEDaS15_S16_EUlS15_E_NS1_11comp_targetILNS1_3genE5ELNS1_11target_archE942ELNS1_3gpuE9ELNS1_3repE0EEENS1_30default_config_static_selectorELNS0_4arch9wavefront6targetE0EEEvT1_.kd
    .uniform_work_group_size: 1
    .uses_dynamic_stack: false
    .vgpr_count:     0
    .vgpr_spill_count: 0
    .wavefront_size: 32
  - .args:
      - .offset:         0
        .size:           120
        .value_kind:     by_value
    .group_segment_fixed_size: 0
    .kernarg_segment_align: 8
    .kernarg_segment_size: 120
    .language:       OpenCL C
    .language_version:
      - 2
      - 0
    .max_flat_workgroup_size: 128
    .name:           _ZN7rocprim17ROCPRIM_400000_NS6detail17trampoline_kernelINS0_14default_configENS1_25partition_config_selectorILNS1_17partition_subalgoE9EllbEEZZNS1_14partition_implILS5_9ELb0ES3_jPlS8_PNS0_10empty_typeENS0_5tupleIJS8_S9_EEENSB_IJS8_SA_EEENS0_18inequality_wrapperIZN2at6native12_GLOBAL__N_124unique_dim_cuda_templateIsEESt5tupleIJNSF_6TensorESK_SK_EERKSK_lbbbEUlllE0_EEPmJS9_EEE10hipError_tPvRmT3_T4_T5_T6_T7_T9_mT8_P12ihipStream_tbDpT10_ENKUlT_T0_E_clISt17integral_constantIbLb1EES19_IbLb0EEEEDaS15_S16_EUlS15_E_NS1_11comp_targetILNS1_3genE4ELNS1_11target_archE910ELNS1_3gpuE8ELNS1_3repE0EEENS1_30default_config_static_selectorELNS0_4arch9wavefront6targetE0EEEvT1_
    .private_segment_fixed_size: 0
    .sgpr_count:     0
    .sgpr_spill_count: 0
    .symbol:         _ZN7rocprim17ROCPRIM_400000_NS6detail17trampoline_kernelINS0_14default_configENS1_25partition_config_selectorILNS1_17partition_subalgoE9EllbEEZZNS1_14partition_implILS5_9ELb0ES3_jPlS8_PNS0_10empty_typeENS0_5tupleIJS8_S9_EEENSB_IJS8_SA_EEENS0_18inequality_wrapperIZN2at6native12_GLOBAL__N_124unique_dim_cuda_templateIsEESt5tupleIJNSF_6TensorESK_SK_EERKSK_lbbbEUlllE0_EEPmJS9_EEE10hipError_tPvRmT3_T4_T5_T6_T7_T9_mT8_P12ihipStream_tbDpT10_ENKUlT_T0_E_clISt17integral_constantIbLb1EES19_IbLb0EEEEDaS15_S16_EUlS15_E_NS1_11comp_targetILNS1_3genE4ELNS1_11target_archE910ELNS1_3gpuE8ELNS1_3repE0EEENS1_30default_config_static_selectorELNS0_4arch9wavefront6targetE0EEEvT1_.kd
    .uniform_work_group_size: 1
    .uses_dynamic_stack: false
    .vgpr_count:     0
    .vgpr_spill_count: 0
    .wavefront_size: 32
  - .args:
      - .offset:         0
        .size:           120
        .value_kind:     by_value
    .group_segment_fixed_size: 0
    .kernarg_segment_align: 8
    .kernarg_segment_size: 120
    .language:       OpenCL C
    .language_version:
      - 2
      - 0
    .max_flat_workgroup_size: 128
    .name:           _ZN7rocprim17ROCPRIM_400000_NS6detail17trampoline_kernelINS0_14default_configENS1_25partition_config_selectorILNS1_17partition_subalgoE9EllbEEZZNS1_14partition_implILS5_9ELb0ES3_jPlS8_PNS0_10empty_typeENS0_5tupleIJS8_S9_EEENSB_IJS8_SA_EEENS0_18inequality_wrapperIZN2at6native12_GLOBAL__N_124unique_dim_cuda_templateIsEESt5tupleIJNSF_6TensorESK_SK_EERKSK_lbbbEUlllE0_EEPmJS9_EEE10hipError_tPvRmT3_T4_T5_T6_T7_T9_mT8_P12ihipStream_tbDpT10_ENKUlT_T0_E_clISt17integral_constantIbLb1EES19_IbLb0EEEEDaS15_S16_EUlS15_E_NS1_11comp_targetILNS1_3genE3ELNS1_11target_archE908ELNS1_3gpuE7ELNS1_3repE0EEENS1_30default_config_static_selectorELNS0_4arch9wavefront6targetE0EEEvT1_
    .private_segment_fixed_size: 0
    .sgpr_count:     0
    .sgpr_spill_count: 0
    .symbol:         _ZN7rocprim17ROCPRIM_400000_NS6detail17trampoline_kernelINS0_14default_configENS1_25partition_config_selectorILNS1_17partition_subalgoE9EllbEEZZNS1_14partition_implILS5_9ELb0ES3_jPlS8_PNS0_10empty_typeENS0_5tupleIJS8_S9_EEENSB_IJS8_SA_EEENS0_18inequality_wrapperIZN2at6native12_GLOBAL__N_124unique_dim_cuda_templateIsEESt5tupleIJNSF_6TensorESK_SK_EERKSK_lbbbEUlllE0_EEPmJS9_EEE10hipError_tPvRmT3_T4_T5_T6_T7_T9_mT8_P12ihipStream_tbDpT10_ENKUlT_T0_E_clISt17integral_constantIbLb1EES19_IbLb0EEEEDaS15_S16_EUlS15_E_NS1_11comp_targetILNS1_3genE3ELNS1_11target_archE908ELNS1_3gpuE7ELNS1_3repE0EEENS1_30default_config_static_selectorELNS0_4arch9wavefront6targetE0EEEvT1_.kd
    .uniform_work_group_size: 1
    .uses_dynamic_stack: false
    .vgpr_count:     0
    .vgpr_spill_count: 0
    .wavefront_size: 32
  - .args:
      - .offset:         0
        .size:           120
        .value_kind:     by_value
    .group_segment_fixed_size: 0
    .kernarg_segment_align: 8
    .kernarg_segment_size: 120
    .language:       OpenCL C
    .language_version:
      - 2
      - 0
    .max_flat_workgroup_size: 192
    .name:           _ZN7rocprim17ROCPRIM_400000_NS6detail17trampoline_kernelINS0_14default_configENS1_25partition_config_selectorILNS1_17partition_subalgoE9EllbEEZZNS1_14partition_implILS5_9ELb0ES3_jPlS8_PNS0_10empty_typeENS0_5tupleIJS8_S9_EEENSB_IJS8_SA_EEENS0_18inequality_wrapperIZN2at6native12_GLOBAL__N_124unique_dim_cuda_templateIsEESt5tupleIJNSF_6TensorESK_SK_EERKSK_lbbbEUlllE0_EEPmJS9_EEE10hipError_tPvRmT3_T4_T5_T6_T7_T9_mT8_P12ihipStream_tbDpT10_ENKUlT_T0_E_clISt17integral_constantIbLb1EES19_IbLb0EEEEDaS15_S16_EUlS15_E_NS1_11comp_targetILNS1_3genE2ELNS1_11target_archE906ELNS1_3gpuE6ELNS1_3repE0EEENS1_30default_config_static_selectorELNS0_4arch9wavefront6targetE0EEEvT1_
    .private_segment_fixed_size: 0
    .sgpr_count:     0
    .sgpr_spill_count: 0
    .symbol:         _ZN7rocprim17ROCPRIM_400000_NS6detail17trampoline_kernelINS0_14default_configENS1_25partition_config_selectorILNS1_17partition_subalgoE9EllbEEZZNS1_14partition_implILS5_9ELb0ES3_jPlS8_PNS0_10empty_typeENS0_5tupleIJS8_S9_EEENSB_IJS8_SA_EEENS0_18inequality_wrapperIZN2at6native12_GLOBAL__N_124unique_dim_cuda_templateIsEESt5tupleIJNSF_6TensorESK_SK_EERKSK_lbbbEUlllE0_EEPmJS9_EEE10hipError_tPvRmT3_T4_T5_T6_T7_T9_mT8_P12ihipStream_tbDpT10_ENKUlT_T0_E_clISt17integral_constantIbLb1EES19_IbLb0EEEEDaS15_S16_EUlS15_E_NS1_11comp_targetILNS1_3genE2ELNS1_11target_archE906ELNS1_3gpuE6ELNS1_3repE0EEENS1_30default_config_static_selectorELNS0_4arch9wavefront6targetE0EEEvT1_.kd
    .uniform_work_group_size: 1
    .uses_dynamic_stack: false
    .vgpr_count:     0
    .vgpr_spill_count: 0
    .wavefront_size: 32
  - .args:
      - .offset:         0
        .size:           120
        .value_kind:     by_value
    .group_segment_fixed_size: 0
    .kernarg_segment_align: 8
    .kernarg_segment_size: 120
    .language:       OpenCL C
    .language_version:
      - 2
      - 0
    .max_flat_workgroup_size: 384
    .name:           _ZN7rocprim17ROCPRIM_400000_NS6detail17trampoline_kernelINS0_14default_configENS1_25partition_config_selectorILNS1_17partition_subalgoE9EllbEEZZNS1_14partition_implILS5_9ELb0ES3_jPlS8_PNS0_10empty_typeENS0_5tupleIJS8_S9_EEENSB_IJS8_SA_EEENS0_18inequality_wrapperIZN2at6native12_GLOBAL__N_124unique_dim_cuda_templateIsEESt5tupleIJNSF_6TensorESK_SK_EERKSK_lbbbEUlllE0_EEPmJS9_EEE10hipError_tPvRmT3_T4_T5_T6_T7_T9_mT8_P12ihipStream_tbDpT10_ENKUlT_T0_E_clISt17integral_constantIbLb1EES19_IbLb0EEEEDaS15_S16_EUlS15_E_NS1_11comp_targetILNS1_3genE10ELNS1_11target_archE1200ELNS1_3gpuE4ELNS1_3repE0EEENS1_30default_config_static_selectorELNS0_4arch9wavefront6targetE0EEEvT1_
    .private_segment_fixed_size: 0
    .sgpr_count:     0
    .sgpr_spill_count: 0
    .symbol:         _ZN7rocprim17ROCPRIM_400000_NS6detail17trampoline_kernelINS0_14default_configENS1_25partition_config_selectorILNS1_17partition_subalgoE9EllbEEZZNS1_14partition_implILS5_9ELb0ES3_jPlS8_PNS0_10empty_typeENS0_5tupleIJS8_S9_EEENSB_IJS8_SA_EEENS0_18inequality_wrapperIZN2at6native12_GLOBAL__N_124unique_dim_cuda_templateIsEESt5tupleIJNSF_6TensorESK_SK_EERKSK_lbbbEUlllE0_EEPmJS9_EEE10hipError_tPvRmT3_T4_T5_T6_T7_T9_mT8_P12ihipStream_tbDpT10_ENKUlT_T0_E_clISt17integral_constantIbLb1EES19_IbLb0EEEEDaS15_S16_EUlS15_E_NS1_11comp_targetILNS1_3genE10ELNS1_11target_archE1200ELNS1_3gpuE4ELNS1_3repE0EEENS1_30default_config_static_selectorELNS0_4arch9wavefront6targetE0EEEvT1_.kd
    .uniform_work_group_size: 1
    .uses_dynamic_stack: false
    .vgpr_count:     0
    .vgpr_spill_count: 0
    .wavefront_size: 32
  - .args:
      - .offset:         0
        .size:           120
        .value_kind:     by_value
    .group_segment_fixed_size: 0
    .kernarg_segment_align: 8
    .kernarg_segment_size: 120
    .language:       OpenCL C
    .language_version:
      - 2
      - 0
    .max_flat_workgroup_size: 512
    .name:           _ZN7rocprim17ROCPRIM_400000_NS6detail17trampoline_kernelINS0_14default_configENS1_25partition_config_selectorILNS1_17partition_subalgoE9EllbEEZZNS1_14partition_implILS5_9ELb0ES3_jPlS8_PNS0_10empty_typeENS0_5tupleIJS8_S9_EEENSB_IJS8_SA_EEENS0_18inequality_wrapperIZN2at6native12_GLOBAL__N_124unique_dim_cuda_templateIsEESt5tupleIJNSF_6TensorESK_SK_EERKSK_lbbbEUlllE0_EEPmJS9_EEE10hipError_tPvRmT3_T4_T5_T6_T7_T9_mT8_P12ihipStream_tbDpT10_ENKUlT_T0_E_clISt17integral_constantIbLb1EES19_IbLb0EEEEDaS15_S16_EUlS15_E_NS1_11comp_targetILNS1_3genE9ELNS1_11target_archE1100ELNS1_3gpuE3ELNS1_3repE0EEENS1_30default_config_static_selectorELNS0_4arch9wavefront6targetE0EEEvT1_
    .private_segment_fixed_size: 0
    .sgpr_count:     0
    .sgpr_spill_count: 0
    .symbol:         _ZN7rocprim17ROCPRIM_400000_NS6detail17trampoline_kernelINS0_14default_configENS1_25partition_config_selectorILNS1_17partition_subalgoE9EllbEEZZNS1_14partition_implILS5_9ELb0ES3_jPlS8_PNS0_10empty_typeENS0_5tupleIJS8_S9_EEENSB_IJS8_SA_EEENS0_18inequality_wrapperIZN2at6native12_GLOBAL__N_124unique_dim_cuda_templateIsEESt5tupleIJNSF_6TensorESK_SK_EERKSK_lbbbEUlllE0_EEPmJS9_EEE10hipError_tPvRmT3_T4_T5_T6_T7_T9_mT8_P12ihipStream_tbDpT10_ENKUlT_T0_E_clISt17integral_constantIbLb1EES19_IbLb0EEEEDaS15_S16_EUlS15_E_NS1_11comp_targetILNS1_3genE9ELNS1_11target_archE1100ELNS1_3gpuE3ELNS1_3repE0EEENS1_30default_config_static_selectorELNS0_4arch9wavefront6targetE0EEEvT1_.kd
    .uniform_work_group_size: 1
    .uses_dynamic_stack: false
    .vgpr_count:     0
    .vgpr_spill_count: 0
    .wavefront_size: 32
  - .args:
      - .offset:         0
        .size:           120
        .value_kind:     by_value
    .group_segment_fixed_size: 0
    .kernarg_segment_align: 8
    .kernarg_segment_size: 120
    .language:       OpenCL C
    .language_version:
      - 2
      - 0
    .max_flat_workgroup_size: 512
    .name:           _ZN7rocprim17ROCPRIM_400000_NS6detail17trampoline_kernelINS0_14default_configENS1_25partition_config_selectorILNS1_17partition_subalgoE9EllbEEZZNS1_14partition_implILS5_9ELb0ES3_jPlS8_PNS0_10empty_typeENS0_5tupleIJS8_S9_EEENSB_IJS8_SA_EEENS0_18inequality_wrapperIZN2at6native12_GLOBAL__N_124unique_dim_cuda_templateIsEESt5tupleIJNSF_6TensorESK_SK_EERKSK_lbbbEUlllE0_EEPmJS9_EEE10hipError_tPvRmT3_T4_T5_T6_T7_T9_mT8_P12ihipStream_tbDpT10_ENKUlT_T0_E_clISt17integral_constantIbLb1EES19_IbLb0EEEEDaS15_S16_EUlS15_E_NS1_11comp_targetILNS1_3genE8ELNS1_11target_archE1030ELNS1_3gpuE2ELNS1_3repE0EEENS1_30default_config_static_selectorELNS0_4arch9wavefront6targetE0EEEvT1_
    .private_segment_fixed_size: 0
    .sgpr_count:     0
    .sgpr_spill_count: 0
    .symbol:         _ZN7rocprim17ROCPRIM_400000_NS6detail17trampoline_kernelINS0_14default_configENS1_25partition_config_selectorILNS1_17partition_subalgoE9EllbEEZZNS1_14partition_implILS5_9ELb0ES3_jPlS8_PNS0_10empty_typeENS0_5tupleIJS8_S9_EEENSB_IJS8_SA_EEENS0_18inequality_wrapperIZN2at6native12_GLOBAL__N_124unique_dim_cuda_templateIsEESt5tupleIJNSF_6TensorESK_SK_EERKSK_lbbbEUlllE0_EEPmJS9_EEE10hipError_tPvRmT3_T4_T5_T6_T7_T9_mT8_P12ihipStream_tbDpT10_ENKUlT_T0_E_clISt17integral_constantIbLb1EES19_IbLb0EEEEDaS15_S16_EUlS15_E_NS1_11comp_targetILNS1_3genE8ELNS1_11target_archE1030ELNS1_3gpuE2ELNS1_3repE0EEENS1_30default_config_static_selectorELNS0_4arch9wavefront6targetE0EEEvT1_.kd
    .uniform_work_group_size: 1
    .uses_dynamic_stack: false
    .vgpr_count:     0
    .vgpr_spill_count: 0
    .wavefront_size: 32
  - .args:
      - .offset:         0
        .size:           136
        .value_kind:     by_value
    .group_segment_fixed_size: 5128
    .kernarg_segment_align: 8
    .kernarg_segment_size: 136
    .language:       OpenCL C
    .language_version:
      - 2
      - 0
    .max_flat_workgroup_size: 128
    .name:           _ZN7rocprim17ROCPRIM_400000_NS6detail17trampoline_kernelINS0_14default_configENS1_25partition_config_selectorILNS1_17partition_subalgoE9EllbEEZZNS1_14partition_implILS5_9ELb0ES3_jPlS8_PNS0_10empty_typeENS0_5tupleIJS8_S9_EEENSB_IJS8_SA_EEENS0_18inequality_wrapperIZN2at6native12_GLOBAL__N_124unique_dim_cuda_templateIsEESt5tupleIJNSF_6TensorESK_SK_EERKSK_lbbbEUlllE0_EEPmJS9_EEE10hipError_tPvRmT3_T4_T5_T6_T7_T9_mT8_P12ihipStream_tbDpT10_ENKUlT_T0_E_clISt17integral_constantIbLb0EES19_IbLb1EEEEDaS15_S16_EUlS15_E_NS1_11comp_targetILNS1_3genE0ELNS1_11target_archE4294967295ELNS1_3gpuE0ELNS1_3repE0EEENS1_30default_config_static_selectorELNS0_4arch9wavefront6targetE0EEEvT1_
    .private_segment_fixed_size: 0
    .sgpr_count:     38
    .sgpr_spill_count: 0
    .symbol:         _ZN7rocprim17ROCPRIM_400000_NS6detail17trampoline_kernelINS0_14default_configENS1_25partition_config_selectorILNS1_17partition_subalgoE9EllbEEZZNS1_14partition_implILS5_9ELb0ES3_jPlS8_PNS0_10empty_typeENS0_5tupleIJS8_S9_EEENSB_IJS8_SA_EEENS0_18inequality_wrapperIZN2at6native12_GLOBAL__N_124unique_dim_cuda_templateIsEESt5tupleIJNSF_6TensorESK_SK_EERKSK_lbbbEUlllE0_EEPmJS9_EEE10hipError_tPvRmT3_T4_T5_T6_T7_T9_mT8_P12ihipStream_tbDpT10_ENKUlT_T0_E_clISt17integral_constantIbLb0EES19_IbLb1EEEEDaS15_S16_EUlS15_E_NS1_11comp_targetILNS1_3genE0ELNS1_11target_archE4294967295ELNS1_3gpuE0ELNS1_3repE0EEENS1_30default_config_static_selectorELNS0_4arch9wavefront6targetE0EEEvT1_.kd
    .uniform_work_group_size: 1
    .uses_dynamic_stack: false
    .vgpr_count:     55
    .vgpr_spill_count: 0
    .wavefront_size: 32
  - .args:
      - .offset:         0
        .size:           136
        .value_kind:     by_value
    .group_segment_fixed_size: 0
    .kernarg_segment_align: 8
    .kernarg_segment_size: 136
    .language:       OpenCL C
    .language_version:
      - 2
      - 0
    .max_flat_workgroup_size: 512
    .name:           _ZN7rocprim17ROCPRIM_400000_NS6detail17trampoline_kernelINS0_14default_configENS1_25partition_config_selectorILNS1_17partition_subalgoE9EllbEEZZNS1_14partition_implILS5_9ELb0ES3_jPlS8_PNS0_10empty_typeENS0_5tupleIJS8_S9_EEENSB_IJS8_SA_EEENS0_18inequality_wrapperIZN2at6native12_GLOBAL__N_124unique_dim_cuda_templateIsEESt5tupleIJNSF_6TensorESK_SK_EERKSK_lbbbEUlllE0_EEPmJS9_EEE10hipError_tPvRmT3_T4_T5_T6_T7_T9_mT8_P12ihipStream_tbDpT10_ENKUlT_T0_E_clISt17integral_constantIbLb0EES19_IbLb1EEEEDaS15_S16_EUlS15_E_NS1_11comp_targetILNS1_3genE5ELNS1_11target_archE942ELNS1_3gpuE9ELNS1_3repE0EEENS1_30default_config_static_selectorELNS0_4arch9wavefront6targetE0EEEvT1_
    .private_segment_fixed_size: 0
    .sgpr_count:     0
    .sgpr_spill_count: 0
    .symbol:         _ZN7rocprim17ROCPRIM_400000_NS6detail17trampoline_kernelINS0_14default_configENS1_25partition_config_selectorILNS1_17partition_subalgoE9EllbEEZZNS1_14partition_implILS5_9ELb0ES3_jPlS8_PNS0_10empty_typeENS0_5tupleIJS8_S9_EEENSB_IJS8_SA_EEENS0_18inequality_wrapperIZN2at6native12_GLOBAL__N_124unique_dim_cuda_templateIsEESt5tupleIJNSF_6TensorESK_SK_EERKSK_lbbbEUlllE0_EEPmJS9_EEE10hipError_tPvRmT3_T4_T5_T6_T7_T9_mT8_P12ihipStream_tbDpT10_ENKUlT_T0_E_clISt17integral_constantIbLb0EES19_IbLb1EEEEDaS15_S16_EUlS15_E_NS1_11comp_targetILNS1_3genE5ELNS1_11target_archE942ELNS1_3gpuE9ELNS1_3repE0EEENS1_30default_config_static_selectorELNS0_4arch9wavefront6targetE0EEEvT1_.kd
    .uniform_work_group_size: 1
    .uses_dynamic_stack: false
    .vgpr_count:     0
    .vgpr_spill_count: 0
    .wavefront_size: 32
  - .args:
      - .offset:         0
        .size:           136
        .value_kind:     by_value
    .group_segment_fixed_size: 0
    .kernarg_segment_align: 8
    .kernarg_segment_size: 136
    .language:       OpenCL C
    .language_version:
      - 2
      - 0
    .max_flat_workgroup_size: 128
    .name:           _ZN7rocprim17ROCPRIM_400000_NS6detail17trampoline_kernelINS0_14default_configENS1_25partition_config_selectorILNS1_17partition_subalgoE9EllbEEZZNS1_14partition_implILS5_9ELb0ES3_jPlS8_PNS0_10empty_typeENS0_5tupleIJS8_S9_EEENSB_IJS8_SA_EEENS0_18inequality_wrapperIZN2at6native12_GLOBAL__N_124unique_dim_cuda_templateIsEESt5tupleIJNSF_6TensorESK_SK_EERKSK_lbbbEUlllE0_EEPmJS9_EEE10hipError_tPvRmT3_T4_T5_T6_T7_T9_mT8_P12ihipStream_tbDpT10_ENKUlT_T0_E_clISt17integral_constantIbLb0EES19_IbLb1EEEEDaS15_S16_EUlS15_E_NS1_11comp_targetILNS1_3genE4ELNS1_11target_archE910ELNS1_3gpuE8ELNS1_3repE0EEENS1_30default_config_static_selectorELNS0_4arch9wavefront6targetE0EEEvT1_
    .private_segment_fixed_size: 0
    .sgpr_count:     0
    .sgpr_spill_count: 0
    .symbol:         _ZN7rocprim17ROCPRIM_400000_NS6detail17trampoline_kernelINS0_14default_configENS1_25partition_config_selectorILNS1_17partition_subalgoE9EllbEEZZNS1_14partition_implILS5_9ELb0ES3_jPlS8_PNS0_10empty_typeENS0_5tupleIJS8_S9_EEENSB_IJS8_SA_EEENS0_18inequality_wrapperIZN2at6native12_GLOBAL__N_124unique_dim_cuda_templateIsEESt5tupleIJNSF_6TensorESK_SK_EERKSK_lbbbEUlllE0_EEPmJS9_EEE10hipError_tPvRmT3_T4_T5_T6_T7_T9_mT8_P12ihipStream_tbDpT10_ENKUlT_T0_E_clISt17integral_constantIbLb0EES19_IbLb1EEEEDaS15_S16_EUlS15_E_NS1_11comp_targetILNS1_3genE4ELNS1_11target_archE910ELNS1_3gpuE8ELNS1_3repE0EEENS1_30default_config_static_selectorELNS0_4arch9wavefront6targetE0EEEvT1_.kd
    .uniform_work_group_size: 1
    .uses_dynamic_stack: false
    .vgpr_count:     0
    .vgpr_spill_count: 0
    .wavefront_size: 32
  - .args:
      - .offset:         0
        .size:           136
        .value_kind:     by_value
    .group_segment_fixed_size: 0
    .kernarg_segment_align: 8
    .kernarg_segment_size: 136
    .language:       OpenCL C
    .language_version:
      - 2
      - 0
    .max_flat_workgroup_size: 128
    .name:           _ZN7rocprim17ROCPRIM_400000_NS6detail17trampoline_kernelINS0_14default_configENS1_25partition_config_selectorILNS1_17partition_subalgoE9EllbEEZZNS1_14partition_implILS5_9ELb0ES3_jPlS8_PNS0_10empty_typeENS0_5tupleIJS8_S9_EEENSB_IJS8_SA_EEENS0_18inequality_wrapperIZN2at6native12_GLOBAL__N_124unique_dim_cuda_templateIsEESt5tupleIJNSF_6TensorESK_SK_EERKSK_lbbbEUlllE0_EEPmJS9_EEE10hipError_tPvRmT3_T4_T5_T6_T7_T9_mT8_P12ihipStream_tbDpT10_ENKUlT_T0_E_clISt17integral_constantIbLb0EES19_IbLb1EEEEDaS15_S16_EUlS15_E_NS1_11comp_targetILNS1_3genE3ELNS1_11target_archE908ELNS1_3gpuE7ELNS1_3repE0EEENS1_30default_config_static_selectorELNS0_4arch9wavefront6targetE0EEEvT1_
    .private_segment_fixed_size: 0
    .sgpr_count:     0
    .sgpr_spill_count: 0
    .symbol:         _ZN7rocprim17ROCPRIM_400000_NS6detail17trampoline_kernelINS0_14default_configENS1_25partition_config_selectorILNS1_17partition_subalgoE9EllbEEZZNS1_14partition_implILS5_9ELb0ES3_jPlS8_PNS0_10empty_typeENS0_5tupleIJS8_S9_EEENSB_IJS8_SA_EEENS0_18inequality_wrapperIZN2at6native12_GLOBAL__N_124unique_dim_cuda_templateIsEESt5tupleIJNSF_6TensorESK_SK_EERKSK_lbbbEUlllE0_EEPmJS9_EEE10hipError_tPvRmT3_T4_T5_T6_T7_T9_mT8_P12ihipStream_tbDpT10_ENKUlT_T0_E_clISt17integral_constantIbLb0EES19_IbLb1EEEEDaS15_S16_EUlS15_E_NS1_11comp_targetILNS1_3genE3ELNS1_11target_archE908ELNS1_3gpuE7ELNS1_3repE0EEENS1_30default_config_static_selectorELNS0_4arch9wavefront6targetE0EEEvT1_.kd
    .uniform_work_group_size: 1
    .uses_dynamic_stack: false
    .vgpr_count:     0
    .vgpr_spill_count: 0
    .wavefront_size: 32
  - .args:
      - .offset:         0
        .size:           136
        .value_kind:     by_value
    .group_segment_fixed_size: 0
    .kernarg_segment_align: 8
    .kernarg_segment_size: 136
    .language:       OpenCL C
    .language_version:
      - 2
      - 0
    .max_flat_workgroup_size: 192
    .name:           _ZN7rocprim17ROCPRIM_400000_NS6detail17trampoline_kernelINS0_14default_configENS1_25partition_config_selectorILNS1_17partition_subalgoE9EllbEEZZNS1_14partition_implILS5_9ELb0ES3_jPlS8_PNS0_10empty_typeENS0_5tupleIJS8_S9_EEENSB_IJS8_SA_EEENS0_18inequality_wrapperIZN2at6native12_GLOBAL__N_124unique_dim_cuda_templateIsEESt5tupleIJNSF_6TensorESK_SK_EERKSK_lbbbEUlllE0_EEPmJS9_EEE10hipError_tPvRmT3_T4_T5_T6_T7_T9_mT8_P12ihipStream_tbDpT10_ENKUlT_T0_E_clISt17integral_constantIbLb0EES19_IbLb1EEEEDaS15_S16_EUlS15_E_NS1_11comp_targetILNS1_3genE2ELNS1_11target_archE906ELNS1_3gpuE6ELNS1_3repE0EEENS1_30default_config_static_selectorELNS0_4arch9wavefront6targetE0EEEvT1_
    .private_segment_fixed_size: 0
    .sgpr_count:     0
    .sgpr_spill_count: 0
    .symbol:         _ZN7rocprim17ROCPRIM_400000_NS6detail17trampoline_kernelINS0_14default_configENS1_25partition_config_selectorILNS1_17partition_subalgoE9EllbEEZZNS1_14partition_implILS5_9ELb0ES3_jPlS8_PNS0_10empty_typeENS0_5tupleIJS8_S9_EEENSB_IJS8_SA_EEENS0_18inequality_wrapperIZN2at6native12_GLOBAL__N_124unique_dim_cuda_templateIsEESt5tupleIJNSF_6TensorESK_SK_EERKSK_lbbbEUlllE0_EEPmJS9_EEE10hipError_tPvRmT3_T4_T5_T6_T7_T9_mT8_P12ihipStream_tbDpT10_ENKUlT_T0_E_clISt17integral_constantIbLb0EES19_IbLb1EEEEDaS15_S16_EUlS15_E_NS1_11comp_targetILNS1_3genE2ELNS1_11target_archE906ELNS1_3gpuE6ELNS1_3repE0EEENS1_30default_config_static_selectorELNS0_4arch9wavefront6targetE0EEEvT1_.kd
    .uniform_work_group_size: 1
    .uses_dynamic_stack: false
    .vgpr_count:     0
    .vgpr_spill_count: 0
    .wavefront_size: 32
  - .args:
      - .offset:         0
        .size:           136
        .value_kind:     by_value
    .group_segment_fixed_size: 0
    .kernarg_segment_align: 8
    .kernarg_segment_size: 136
    .language:       OpenCL C
    .language_version:
      - 2
      - 0
    .max_flat_workgroup_size: 384
    .name:           _ZN7rocprim17ROCPRIM_400000_NS6detail17trampoline_kernelINS0_14default_configENS1_25partition_config_selectorILNS1_17partition_subalgoE9EllbEEZZNS1_14partition_implILS5_9ELb0ES3_jPlS8_PNS0_10empty_typeENS0_5tupleIJS8_S9_EEENSB_IJS8_SA_EEENS0_18inequality_wrapperIZN2at6native12_GLOBAL__N_124unique_dim_cuda_templateIsEESt5tupleIJNSF_6TensorESK_SK_EERKSK_lbbbEUlllE0_EEPmJS9_EEE10hipError_tPvRmT3_T4_T5_T6_T7_T9_mT8_P12ihipStream_tbDpT10_ENKUlT_T0_E_clISt17integral_constantIbLb0EES19_IbLb1EEEEDaS15_S16_EUlS15_E_NS1_11comp_targetILNS1_3genE10ELNS1_11target_archE1200ELNS1_3gpuE4ELNS1_3repE0EEENS1_30default_config_static_selectorELNS0_4arch9wavefront6targetE0EEEvT1_
    .private_segment_fixed_size: 0
    .sgpr_count:     0
    .sgpr_spill_count: 0
    .symbol:         _ZN7rocprim17ROCPRIM_400000_NS6detail17trampoline_kernelINS0_14default_configENS1_25partition_config_selectorILNS1_17partition_subalgoE9EllbEEZZNS1_14partition_implILS5_9ELb0ES3_jPlS8_PNS0_10empty_typeENS0_5tupleIJS8_S9_EEENSB_IJS8_SA_EEENS0_18inequality_wrapperIZN2at6native12_GLOBAL__N_124unique_dim_cuda_templateIsEESt5tupleIJNSF_6TensorESK_SK_EERKSK_lbbbEUlllE0_EEPmJS9_EEE10hipError_tPvRmT3_T4_T5_T6_T7_T9_mT8_P12ihipStream_tbDpT10_ENKUlT_T0_E_clISt17integral_constantIbLb0EES19_IbLb1EEEEDaS15_S16_EUlS15_E_NS1_11comp_targetILNS1_3genE10ELNS1_11target_archE1200ELNS1_3gpuE4ELNS1_3repE0EEENS1_30default_config_static_selectorELNS0_4arch9wavefront6targetE0EEEvT1_.kd
    .uniform_work_group_size: 1
    .uses_dynamic_stack: false
    .vgpr_count:     0
    .vgpr_spill_count: 0
    .wavefront_size: 32
  - .args:
      - .offset:         0
        .size:           136
        .value_kind:     by_value
    .group_segment_fixed_size: 0
    .kernarg_segment_align: 8
    .kernarg_segment_size: 136
    .language:       OpenCL C
    .language_version:
      - 2
      - 0
    .max_flat_workgroup_size: 512
    .name:           _ZN7rocprim17ROCPRIM_400000_NS6detail17trampoline_kernelINS0_14default_configENS1_25partition_config_selectorILNS1_17partition_subalgoE9EllbEEZZNS1_14partition_implILS5_9ELb0ES3_jPlS8_PNS0_10empty_typeENS0_5tupleIJS8_S9_EEENSB_IJS8_SA_EEENS0_18inequality_wrapperIZN2at6native12_GLOBAL__N_124unique_dim_cuda_templateIsEESt5tupleIJNSF_6TensorESK_SK_EERKSK_lbbbEUlllE0_EEPmJS9_EEE10hipError_tPvRmT3_T4_T5_T6_T7_T9_mT8_P12ihipStream_tbDpT10_ENKUlT_T0_E_clISt17integral_constantIbLb0EES19_IbLb1EEEEDaS15_S16_EUlS15_E_NS1_11comp_targetILNS1_3genE9ELNS1_11target_archE1100ELNS1_3gpuE3ELNS1_3repE0EEENS1_30default_config_static_selectorELNS0_4arch9wavefront6targetE0EEEvT1_
    .private_segment_fixed_size: 0
    .sgpr_count:     0
    .sgpr_spill_count: 0
    .symbol:         _ZN7rocprim17ROCPRIM_400000_NS6detail17trampoline_kernelINS0_14default_configENS1_25partition_config_selectorILNS1_17partition_subalgoE9EllbEEZZNS1_14partition_implILS5_9ELb0ES3_jPlS8_PNS0_10empty_typeENS0_5tupleIJS8_S9_EEENSB_IJS8_SA_EEENS0_18inequality_wrapperIZN2at6native12_GLOBAL__N_124unique_dim_cuda_templateIsEESt5tupleIJNSF_6TensorESK_SK_EERKSK_lbbbEUlllE0_EEPmJS9_EEE10hipError_tPvRmT3_T4_T5_T6_T7_T9_mT8_P12ihipStream_tbDpT10_ENKUlT_T0_E_clISt17integral_constantIbLb0EES19_IbLb1EEEEDaS15_S16_EUlS15_E_NS1_11comp_targetILNS1_3genE9ELNS1_11target_archE1100ELNS1_3gpuE3ELNS1_3repE0EEENS1_30default_config_static_selectorELNS0_4arch9wavefront6targetE0EEEvT1_.kd
    .uniform_work_group_size: 1
    .uses_dynamic_stack: false
    .vgpr_count:     0
    .vgpr_spill_count: 0
    .wavefront_size: 32
  - .args:
      - .offset:         0
        .size:           136
        .value_kind:     by_value
    .group_segment_fixed_size: 0
    .kernarg_segment_align: 8
    .kernarg_segment_size: 136
    .language:       OpenCL C
    .language_version:
      - 2
      - 0
    .max_flat_workgroup_size: 512
    .name:           _ZN7rocprim17ROCPRIM_400000_NS6detail17trampoline_kernelINS0_14default_configENS1_25partition_config_selectorILNS1_17partition_subalgoE9EllbEEZZNS1_14partition_implILS5_9ELb0ES3_jPlS8_PNS0_10empty_typeENS0_5tupleIJS8_S9_EEENSB_IJS8_SA_EEENS0_18inequality_wrapperIZN2at6native12_GLOBAL__N_124unique_dim_cuda_templateIsEESt5tupleIJNSF_6TensorESK_SK_EERKSK_lbbbEUlllE0_EEPmJS9_EEE10hipError_tPvRmT3_T4_T5_T6_T7_T9_mT8_P12ihipStream_tbDpT10_ENKUlT_T0_E_clISt17integral_constantIbLb0EES19_IbLb1EEEEDaS15_S16_EUlS15_E_NS1_11comp_targetILNS1_3genE8ELNS1_11target_archE1030ELNS1_3gpuE2ELNS1_3repE0EEENS1_30default_config_static_selectorELNS0_4arch9wavefront6targetE0EEEvT1_
    .private_segment_fixed_size: 0
    .sgpr_count:     0
    .sgpr_spill_count: 0
    .symbol:         _ZN7rocprim17ROCPRIM_400000_NS6detail17trampoline_kernelINS0_14default_configENS1_25partition_config_selectorILNS1_17partition_subalgoE9EllbEEZZNS1_14partition_implILS5_9ELb0ES3_jPlS8_PNS0_10empty_typeENS0_5tupleIJS8_S9_EEENSB_IJS8_SA_EEENS0_18inequality_wrapperIZN2at6native12_GLOBAL__N_124unique_dim_cuda_templateIsEESt5tupleIJNSF_6TensorESK_SK_EERKSK_lbbbEUlllE0_EEPmJS9_EEE10hipError_tPvRmT3_T4_T5_T6_T7_T9_mT8_P12ihipStream_tbDpT10_ENKUlT_T0_E_clISt17integral_constantIbLb0EES19_IbLb1EEEEDaS15_S16_EUlS15_E_NS1_11comp_targetILNS1_3genE8ELNS1_11target_archE1030ELNS1_3gpuE2ELNS1_3repE0EEENS1_30default_config_static_selectorELNS0_4arch9wavefront6targetE0EEEvT1_.kd
    .uniform_work_group_size: 1
    .uses_dynamic_stack: false
    .vgpr_count:     0
    .vgpr_spill_count: 0
    .wavefront_size: 32
  - .args:
      - .offset:         0
        .size:           72
        .value_kind:     by_value
      - .offset:         72
        .size:           4
        .value_kind:     hidden_block_count_x
      - .offset:         76
        .size:           4
        .value_kind:     hidden_block_count_y
      - .offset:         80
        .size:           4
        .value_kind:     hidden_block_count_z
      - .offset:         84
        .size:           2
        .value_kind:     hidden_group_size_x
      - .offset:         86
        .size:           2
        .value_kind:     hidden_group_size_y
      - .offset:         88
        .size:           2
        .value_kind:     hidden_group_size_z
      - .offset:         90
        .size:           2
        .value_kind:     hidden_remainder_x
      - .offset:         92
        .size:           2
        .value_kind:     hidden_remainder_y
      - .offset:         94
        .size:           2
        .value_kind:     hidden_remainder_z
      - .offset:         112
        .size:           8
        .value_kind:     hidden_global_offset_x
      - .offset:         120
        .size:           8
        .value_kind:     hidden_global_offset_y
      - .offset:         128
        .size:           8
        .value_kind:     hidden_global_offset_z
      - .offset:         136
        .size:           2
        .value_kind:     hidden_grid_dims
    .group_segment_fixed_size: 16896
    .kernarg_segment_align: 8
    .kernarg_segment_size: 328
    .language:       OpenCL C
    .language_version:
      - 2
      - 0
    .max_flat_workgroup_size: 256
    .name:           _ZN7rocprim17ROCPRIM_400000_NS6detail17trampoline_kernelINS0_14default_configENS1_37merge_sort_block_sort_config_selectorIlNS0_10empty_typeEEEZNS1_21merge_sort_block_sortIS3_PlS8_PS5_S9_ZN2at6native12_GLOBAL__N_124unique_dim_cuda_templateIdEESt5tupleIJNSA_6TensorESF_SF_EERKSF_lbbbEUlllE_EE10hipError_tT0_T1_T2_T3_mRjT4_P12ihipStream_tbNS1_7vsmem_tEEUlT_E_NS1_11comp_targetILNS1_3genE0ELNS1_11target_archE4294967295ELNS1_3gpuE0ELNS1_3repE0EEENS1_30default_config_static_selectorELNS0_4arch9wavefront6targetE0EEEvSM_
    .private_segment_fixed_size: 0
    .sgpr_count:     45
    .sgpr_spill_count: 0
    .symbol:         _ZN7rocprim17ROCPRIM_400000_NS6detail17trampoline_kernelINS0_14default_configENS1_37merge_sort_block_sort_config_selectorIlNS0_10empty_typeEEEZNS1_21merge_sort_block_sortIS3_PlS8_PS5_S9_ZN2at6native12_GLOBAL__N_124unique_dim_cuda_templateIdEESt5tupleIJNSA_6TensorESF_SF_EERKSF_lbbbEUlllE_EE10hipError_tT0_T1_T2_T3_mRjT4_P12ihipStream_tbNS1_7vsmem_tEEUlT_E_NS1_11comp_targetILNS1_3genE0ELNS1_11target_archE4294967295ELNS1_3gpuE0ELNS1_3repE0EEENS1_30default_config_static_selectorELNS0_4arch9wavefront6targetE0EEEvSM_.kd
    .uniform_work_group_size: 1
    .uses_dynamic_stack: false
    .vgpr_count:     58
    .vgpr_spill_count: 0
    .wavefront_size: 32
  - .args:
      - .offset:         0
        .size:           72
        .value_kind:     by_value
    .group_segment_fixed_size: 0
    .kernarg_segment_align: 8
    .kernarg_segment_size: 72
    .language:       OpenCL C
    .language_version:
      - 2
      - 0
    .max_flat_workgroup_size: 256
    .name:           _ZN7rocprim17ROCPRIM_400000_NS6detail17trampoline_kernelINS0_14default_configENS1_37merge_sort_block_sort_config_selectorIlNS0_10empty_typeEEEZNS1_21merge_sort_block_sortIS3_PlS8_PS5_S9_ZN2at6native12_GLOBAL__N_124unique_dim_cuda_templateIdEESt5tupleIJNSA_6TensorESF_SF_EERKSF_lbbbEUlllE_EE10hipError_tT0_T1_T2_T3_mRjT4_P12ihipStream_tbNS1_7vsmem_tEEUlT_E_NS1_11comp_targetILNS1_3genE5ELNS1_11target_archE942ELNS1_3gpuE9ELNS1_3repE0EEENS1_30default_config_static_selectorELNS0_4arch9wavefront6targetE0EEEvSM_
    .private_segment_fixed_size: 0
    .sgpr_count:     0
    .sgpr_spill_count: 0
    .symbol:         _ZN7rocprim17ROCPRIM_400000_NS6detail17trampoline_kernelINS0_14default_configENS1_37merge_sort_block_sort_config_selectorIlNS0_10empty_typeEEEZNS1_21merge_sort_block_sortIS3_PlS8_PS5_S9_ZN2at6native12_GLOBAL__N_124unique_dim_cuda_templateIdEESt5tupleIJNSA_6TensorESF_SF_EERKSF_lbbbEUlllE_EE10hipError_tT0_T1_T2_T3_mRjT4_P12ihipStream_tbNS1_7vsmem_tEEUlT_E_NS1_11comp_targetILNS1_3genE5ELNS1_11target_archE942ELNS1_3gpuE9ELNS1_3repE0EEENS1_30default_config_static_selectorELNS0_4arch9wavefront6targetE0EEEvSM_.kd
    .uniform_work_group_size: 1
    .uses_dynamic_stack: false
    .vgpr_count:     0
    .vgpr_spill_count: 0
    .wavefront_size: 32
  - .args:
      - .offset:         0
        .size:           72
        .value_kind:     by_value
    .group_segment_fixed_size: 0
    .kernarg_segment_align: 8
    .kernarg_segment_size: 72
    .language:       OpenCL C
    .language_version:
      - 2
      - 0
    .max_flat_workgroup_size: 256
    .name:           _ZN7rocprim17ROCPRIM_400000_NS6detail17trampoline_kernelINS0_14default_configENS1_37merge_sort_block_sort_config_selectorIlNS0_10empty_typeEEEZNS1_21merge_sort_block_sortIS3_PlS8_PS5_S9_ZN2at6native12_GLOBAL__N_124unique_dim_cuda_templateIdEESt5tupleIJNSA_6TensorESF_SF_EERKSF_lbbbEUlllE_EE10hipError_tT0_T1_T2_T3_mRjT4_P12ihipStream_tbNS1_7vsmem_tEEUlT_E_NS1_11comp_targetILNS1_3genE4ELNS1_11target_archE910ELNS1_3gpuE8ELNS1_3repE0EEENS1_30default_config_static_selectorELNS0_4arch9wavefront6targetE0EEEvSM_
    .private_segment_fixed_size: 0
    .sgpr_count:     0
    .sgpr_spill_count: 0
    .symbol:         _ZN7rocprim17ROCPRIM_400000_NS6detail17trampoline_kernelINS0_14default_configENS1_37merge_sort_block_sort_config_selectorIlNS0_10empty_typeEEEZNS1_21merge_sort_block_sortIS3_PlS8_PS5_S9_ZN2at6native12_GLOBAL__N_124unique_dim_cuda_templateIdEESt5tupleIJNSA_6TensorESF_SF_EERKSF_lbbbEUlllE_EE10hipError_tT0_T1_T2_T3_mRjT4_P12ihipStream_tbNS1_7vsmem_tEEUlT_E_NS1_11comp_targetILNS1_3genE4ELNS1_11target_archE910ELNS1_3gpuE8ELNS1_3repE0EEENS1_30default_config_static_selectorELNS0_4arch9wavefront6targetE0EEEvSM_.kd
    .uniform_work_group_size: 1
    .uses_dynamic_stack: false
    .vgpr_count:     0
    .vgpr_spill_count: 0
    .wavefront_size: 32
  - .args:
      - .offset:         0
        .size:           72
        .value_kind:     by_value
    .group_segment_fixed_size: 0
    .kernarg_segment_align: 8
    .kernarg_segment_size: 72
    .language:       OpenCL C
    .language_version:
      - 2
      - 0
    .max_flat_workgroup_size: 256
    .name:           _ZN7rocprim17ROCPRIM_400000_NS6detail17trampoline_kernelINS0_14default_configENS1_37merge_sort_block_sort_config_selectorIlNS0_10empty_typeEEEZNS1_21merge_sort_block_sortIS3_PlS8_PS5_S9_ZN2at6native12_GLOBAL__N_124unique_dim_cuda_templateIdEESt5tupleIJNSA_6TensorESF_SF_EERKSF_lbbbEUlllE_EE10hipError_tT0_T1_T2_T3_mRjT4_P12ihipStream_tbNS1_7vsmem_tEEUlT_E_NS1_11comp_targetILNS1_3genE3ELNS1_11target_archE908ELNS1_3gpuE7ELNS1_3repE0EEENS1_30default_config_static_selectorELNS0_4arch9wavefront6targetE0EEEvSM_
    .private_segment_fixed_size: 0
    .sgpr_count:     0
    .sgpr_spill_count: 0
    .symbol:         _ZN7rocprim17ROCPRIM_400000_NS6detail17trampoline_kernelINS0_14default_configENS1_37merge_sort_block_sort_config_selectorIlNS0_10empty_typeEEEZNS1_21merge_sort_block_sortIS3_PlS8_PS5_S9_ZN2at6native12_GLOBAL__N_124unique_dim_cuda_templateIdEESt5tupleIJNSA_6TensorESF_SF_EERKSF_lbbbEUlllE_EE10hipError_tT0_T1_T2_T3_mRjT4_P12ihipStream_tbNS1_7vsmem_tEEUlT_E_NS1_11comp_targetILNS1_3genE3ELNS1_11target_archE908ELNS1_3gpuE7ELNS1_3repE0EEENS1_30default_config_static_selectorELNS0_4arch9wavefront6targetE0EEEvSM_.kd
    .uniform_work_group_size: 1
    .uses_dynamic_stack: false
    .vgpr_count:     0
    .vgpr_spill_count: 0
    .wavefront_size: 32
  - .args:
      - .offset:         0
        .size:           72
        .value_kind:     by_value
    .group_segment_fixed_size: 0
    .kernarg_segment_align: 8
    .kernarg_segment_size: 72
    .language:       OpenCL C
    .language_version:
      - 2
      - 0
    .max_flat_workgroup_size: 256
    .name:           _ZN7rocprim17ROCPRIM_400000_NS6detail17trampoline_kernelINS0_14default_configENS1_37merge_sort_block_sort_config_selectorIlNS0_10empty_typeEEEZNS1_21merge_sort_block_sortIS3_PlS8_PS5_S9_ZN2at6native12_GLOBAL__N_124unique_dim_cuda_templateIdEESt5tupleIJNSA_6TensorESF_SF_EERKSF_lbbbEUlllE_EE10hipError_tT0_T1_T2_T3_mRjT4_P12ihipStream_tbNS1_7vsmem_tEEUlT_E_NS1_11comp_targetILNS1_3genE2ELNS1_11target_archE906ELNS1_3gpuE6ELNS1_3repE0EEENS1_30default_config_static_selectorELNS0_4arch9wavefront6targetE0EEEvSM_
    .private_segment_fixed_size: 0
    .sgpr_count:     0
    .sgpr_spill_count: 0
    .symbol:         _ZN7rocprim17ROCPRIM_400000_NS6detail17trampoline_kernelINS0_14default_configENS1_37merge_sort_block_sort_config_selectorIlNS0_10empty_typeEEEZNS1_21merge_sort_block_sortIS3_PlS8_PS5_S9_ZN2at6native12_GLOBAL__N_124unique_dim_cuda_templateIdEESt5tupleIJNSA_6TensorESF_SF_EERKSF_lbbbEUlllE_EE10hipError_tT0_T1_T2_T3_mRjT4_P12ihipStream_tbNS1_7vsmem_tEEUlT_E_NS1_11comp_targetILNS1_3genE2ELNS1_11target_archE906ELNS1_3gpuE6ELNS1_3repE0EEENS1_30default_config_static_selectorELNS0_4arch9wavefront6targetE0EEEvSM_.kd
    .uniform_work_group_size: 1
    .uses_dynamic_stack: false
    .vgpr_count:     0
    .vgpr_spill_count: 0
    .wavefront_size: 32
  - .args:
      - .offset:         0
        .size:           72
        .value_kind:     by_value
    .group_segment_fixed_size: 0
    .kernarg_segment_align: 8
    .kernarg_segment_size: 72
    .language:       OpenCL C
    .language_version:
      - 2
      - 0
    .max_flat_workgroup_size: 256
    .name:           _ZN7rocprim17ROCPRIM_400000_NS6detail17trampoline_kernelINS0_14default_configENS1_37merge_sort_block_sort_config_selectorIlNS0_10empty_typeEEEZNS1_21merge_sort_block_sortIS3_PlS8_PS5_S9_ZN2at6native12_GLOBAL__N_124unique_dim_cuda_templateIdEESt5tupleIJNSA_6TensorESF_SF_EERKSF_lbbbEUlllE_EE10hipError_tT0_T1_T2_T3_mRjT4_P12ihipStream_tbNS1_7vsmem_tEEUlT_E_NS1_11comp_targetILNS1_3genE10ELNS1_11target_archE1201ELNS1_3gpuE5ELNS1_3repE0EEENS1_30default_config_static_selectorELNS0_4arch9wavefront6targetE0EEEvSM_
    .private_segment_fixed_size: 0
    .sgpr_count:     0
    .sgpr_spill_count: 0
    .symbol:         _ZN7rocprim17ROCPRIM_400000_NS6detail17trampoline_kernelINS0_14default_configENS1_37merge_sort_block_sort_config_selectorIlNS0_10empty_typeEEEZNS1_21merge_sort_block_sortIS3_PlS8_PS5_S9_ZN2at6native12_GLOBAL__N_124unique_dim_cuda_templateIdEESt5tupleIJNSA_6TensorESF_SF_EERKSF_lbbbEUlllE_EE10hipError_tT0_T1_T2_T3_mRjT4_P12ihipStream_tbNS1_7vsmem_tEEUlT_E_NS1_11comp_targetILNS1_3genE10ELNS1_11target_archE1201ELNS1_3gpuE5ELNS1_3repE0EEENS1_30default_config_static_selectorELNS0_4arch9wavefront6targetE0EEEvSM_.kd
    .uniform_work_group_size: 1
    .uses_dynamic_stack: false
    .vgpr_count:     0
    .vgpr_spill_count: 0
    .wavefront_size: 32
  - .args:
      - .offset:         0
        .size:           72
        .value_kind:     by_value
    .group_segment_fixed_size: 0
    .kernarg_segment_align: 8
    .kernarg_segment_size: 72
    .language:       OpenCL C
    .language_version:
      - 2
      - 0
    .max_flat_workgroup_size: 512
    .name:           _ZN7rocprim17ROCPRIM_400000_NS6detail17trampoline_kernelINS0_14default_configENS1_37merge_sort_block_sort_config_selectorIlNS0_10empty_typeEEEZNS1_21merge_sort_block_sortIS3_PlS8_PS5_S9_ZN2at6native12_GLOBAL__N_124unique_dim_cuda_templateIdEESt5tupleIJNSA_6TensorESF_SF_EERKSF_lbbbEUlllE_EE10hipError_tT0_T1_T2_T3_mRjT4_P12ihipStream_tbNS1_7vsmem_tEEUlT_E_NS1_11comp_targetILNS1_3genE10ELNS1_11target_archE1200ELNS1_3gpuE4ELNS1_3repE0EEENS1_30default_config_static_selectorELNS0_4arch9wavefront6targetE0EEEvSM_
    .private_segment_fixed_size: 0
    .sgpr_count:     0
    .sgpr_spill_count: 0
    .symbol:         _ZN7rocprim17ROCPRIM_400000_NS6detail17trampoline_kernelINS0_14default_configENS1_37merge_sort_block_sort_config_selectorIlNS0_10empty_typeEEEZNS1_21merge_sort_block_sortIS3_PlS8_PS5_S9_ZN2at6native12_GLOBAL__N_124unique_dim_cuda_templateIdEESt5tupleIJNSA_6TensorESF_SF_EERKSF_lbbbEUlllE_EE10hipError_tT0_T1_T2_T3_mRjT4_P12ihipStream_tbNS1_7vsmem_tEEUlT_E_NS1_11comp_targetILNS1_3genE10ELNS1_11target_archE1200ELNS1_3gpuE4ELNS1_3repE0EEENS1_30default_config_static_selectorELNS0_4arch9wavefront6targetE0EEEvSM_.kd
    .uniform_work_group_size: 1
    .uses_dynamic_stack: false
    .vgpr_count:     0
    .vgpr_spill_count: 0
    .wavefront_size: 32
  - .args:
      - .offset:         0
        .size:           72
        .value_kind:     by_value
    .group_segment_fixed_size: 0
    .kernarg_segment_align: 8
    .kernarg_segment_size: 72
    .language:       OpenCL C
    .language_version:
      - 2
      - 0
    .max_flat_workgroup_size: 256
    .name:           _ZN7rocprim17ROCPRIM_400000_NS6detail17trampoline_kernelINS0_14default_configENS1_37merge_sort_block_sort_config_selectorIlNS0_10empty_typeEEEZNS1_21merge_sort_block_sortIS3_PlS8_PS5_S9_ZN2at6native12_GLOBAL__N_124unique_dim_cuda_templateIdEESt5tupleIJNSA_6TensorESF_SF_EERKSF_lbbbEUlllE_EE10hipError_tT0_T1_T2_T3_mRjT4_P12ihipStream_tbNS1_7vsmem_tEEUlT_E_NS1_11comp_targetILNS1_3genE9ELNS1_11target_archE1100ELNS1_3gpuE3ELNS1_3repE0EEENS1_30default_config_static_selectorELNS0_4arch9wavefront6targetE0EEEvSM_
    .private_segment_fixed_size: 0
    .sgpr_count:     0
    .sgpr_spill_count: 0
    .symbol:         _ZN7rocprim17ROCPRIM_400000_NS6detail17trampoline_kernelINS0_14default_configENS1_37merge_sort_block_sort_config_selectorIlNS0_10empty_typeEEEZNS1_21merge_sort_block_sortIS3_PlS8_PS5_S9_ZN2at6native12_GLOBAL__N_124unique_dim_cuda_templateIdEESt5tupleIJNSA_6TensorESF_SF_EERKSF_lbbbEUlllE_EE10hipError_tT0_T1_T2_T3_mRjT4_P12ihipStream_tbNS1_7vsmem_tEEUlT_E_NS1_11comp_targetILNS1_3genE9ELNS1_11target_archE1100ELNS1_3gpuE3ELNS1_3repE0EEENS1_30default_config_static_selectorELNS0_4arch9wavefront6targetE0EEEvSM_.kd
    .uniform_work_group_size: 1
    .uses_dynamic_stack: false
    .vgpr_count:     0
    .vgpr_spill_count: 0
    .wavefront_size: 32
  - .args:
      - .offset:         0
        .size:           72
        .value_kind:     by_value
    .group_segment_fixed_size: 0
    .kernarg_segment_align: 8
    .kernarg_segment_size: 72
    .language:       OpenCL C
    .language_version:
      - 2
      - 0
    .max_flat_workgroup_size: 256
    .name:           _ZN7rocprim17ROCPRIM_400000_NS6detail17trampoline_kernelINS0_14default_configENS1_37merge_sort_block_sort_config_selectorIlNS0_10empty_typeEEEZNS1_21merge_sort_block_sortIS3_PlS8_PS5_S9_ZN2at6native12_GLOBAL__N_124unique_dim_cuda_templateIdEESt5tupleIJNSA_6TensorESF_SF_EERKSF_lbbbEUlllE_EE10hipError_tT0_T1_T2_T3_mRjT4_P12ihipStream_tbNS1_7vsmem_tEEUlT_E_NS1_11comp_targetILNS1_3genE8ELNS1_11target_archE1030ELNS1_3gpuE2ELNS1_3repE0EEENS1_30default_config_static_selectorELNS0_4arch9wavefront6targetE0EEEvSM_
    .private_segment_fixed_size: 0
    .sgpr_count:     0
    .sgpr_spill_count: 0
    .symbol:         _ZN7rocprim17ROCPRIM_400000_NS6detail17trampoline_kernelINS0_14default_configENS1_37merge_sort_block_sort_config_selectorIlNS0_10empty_typeEEEZNS1_21merge_sort_block_sortIS3_PlS8_PS5_S9_ZN2at6native12_GLOBAL__N_124unique_dim_cuda_templateIdEESt5tupleIJNSA_6TensorESF_SF_EERKSF_lbbbEUlllE_EE10hipError_tT0_T1_T2_T3_mRjT4_P12ihipStream_tbNS1_7vsmem_tEEUlT_E_NS1_11comp_targetILNS1_3genE8ELNS1_11target_archE1030ELNS1_3gpuE2ELNS1_3repE0EEENS1_30default_config_static_selectorELNS0_4arch9wavefront6targetE0EEEvSM_.kd
    .uniform_work_group_size: 1
    .uses_dynamic_stack: false
    .vgpr_count:     0
    .vgpr_spill_count: 0
    .wavefront_size: 32
  - .args:
      - .offset:         0
        .size:           56
        .value_kind:     by_value
    .group_segment_fixed_size: 0
    .kernarg_segment_align: 8
    .kernarg_segment_size: 56
    .language:       OpenCL C
    .language_version:
      - 2
      - 0
    .max_flat_workgroup_size: 128
    .name:           _ZN7rocprim17ROCPRIM_400000_NS6detail17trampoline_kernelINS0_14default_configENS1_38merge_sort_block_merge_config_selectorIlNS0_10empty_typeEEEZZNS1_27merge_sort_block_merge_implIS3_PlPS5_mZN2at6native12_GLOBAL__N_124unique_dim_cuda_templateIdEESt5tupleIJNSA_6TensorESF_SF_EERKSF_lbbbEUlllE_EE10hipError_tT0_T1_T2_jT3_P12ihipStream_tbPNSt15iterator_traitsISL_E10value_typeEPNSR_ISM_E10value_typeEPSN_NS1_7vsmem_tEENKUlT_SL_SM_SN_E_clIS8_S8_S9_S9_EESK_S10_SL_SM_SN_EUlS10_E_NS1_11comp_targetILNS1_3genE0ELNS1_11target_archE4294967295ELNS1_3gpuE0ELNS1_3repE0EEENS1_48merge_mergepath_partition_config_static_selectorELNS0_4arch9wavefront6targetE0EEEvSM_
    .private_segment_fixed_size: 0
    .sgpr_count:     24
    .sgpr_spill_count: 0
    .symbol:         _ZN7rocprim17ROCPRIM_400000_NS6detail17trampoline_kernelINS0_14default_configENS1_38merge_sort_block_merge_config_selectorIlNS0_10empty_typeEEEZZNS1_27merge_sort_block_merge_implIS3_PlPS5_mZN2at6native12_GLOBAL__N_124unique_dim_cuda_templateIdEESt5tupleIJNSA_6TensorESF_SF_EERKSF_lbbbEUlllE_EE10hipError_tT0_T1_T2_jT3_P12ihipStream_tbPNSt15iterator_traitsISL_E10value_typeEPNSR_ISM_E10value_typeEPSN_NS1_7vsmem_tEENKUlT_SL_SM_SN_E_clIS8_S8_S9_S9_EESK_S10_SL_SM_SN_EUlS10_E_NS1_11comp_targetILNS1_3genE0ELNS1_11target_archE4294967295ELNS1_3gpuE0ELNS1_3repE0EEENS1_48merge_mergepath_partition_config_static_selectorELNS0_4arch9wavefront6targetE0EEEvSM_.kd
    .uniform_work_group_size: 1
    .uses_dynamic_stack: false
    .vgpr_count:     22
    .vgpr_spill_count: 0
    .wavefront_size: 32
  - .args:
      - .offset:         0
        .size:           56
        .value_kind:     by_value
    .group_segment_fixed_size: 0
    .kernarg_segment_align: 8
    .kernarg_segment_size: 56
    .language:       OpenCL C
    .language_version:
      - 2
      - 0
    .max_flat_workgroup_size: 128
    .name:           _ZN7rocprim17ROCPRIM_400000_NS6detail17trampoline_kernelINS0_14default_configENS1_38merge_sort_block_merge_config_selectorIlNS0_10empty_typeEEEZZNS1_27merge_sort_block_merge_implIS3_PlPS5_mZN2at6native12_GLOBAL__N_124unique_dim_cuda_templateIdEESt5tupleIJNSA_6TensorESF_SF_EERKSF_lbbbEUlllE_EE10hipError_tT0_T1_T2_jT3_P12ihipStream_tbPNSt15iterator_traitsISL_E10value_typeEPNSR_ISM_E10value_typeEPSN_NS1_7vsmem_tEENKUlT_SL_SM_SN_E_clIS8_S8_S9_S9_EESK_S10_SL_SM_SN_EUlS10_E_NS1_11comp_targetILNS1_3genE10ELNS1_11target_archE1201ELNS1_3gpuE5ELNS1_3repE0EEENS1_48merge_mergepath_partition_config_static_selectorELNS0_4arch9wavefront6targetE0EEEvSM_
    .private_segment_fixed_size: 0
    .sgpr_count:     0
    .sgpr_spill_count: 0
    .symbol:         _ZN7rocprim17ROCPRIM_400000_NS6detail17trampoline_kernelINS0_14default_configENS1_38merge_sort_block_merge_config_selectorIlNS0_10empty_typeEEEZZNS1_27merge_sort_block_merge_implIS3_PlPS5_mZN2at6native12_GLOBAL__N_124unique_dim_cuda_templateIdEESt5tupleIJNSA_6TensorESF_SF_EERKSF_lbbbEUlllE_EE10hipError_tT0_T1_T2_jT3_P12ihipStream_tbPNSt15iterator_traitsISL_E10value_typeEPNSR_ISM_E10value_typeEPSN_NS1_7vsmem_tEENKUlT_SL_SM_SN_E_clIS8_S8_S9_S9_EESK_S10_SL_SM_SN_EUlS10_E_NS1_11comp_targetILNS1_3genE10ELNS1_11target_archE1201ELNS1_3gpuE5ELNS1_3repE0EEENS1_48merge_mergepath_partition_config_static_selectorELNS0_4arch9wavefront6targetE0EEEvSM_.kd
    .uniform_work_group_size: 1
    .uses_dynamic_stack: false
    .vgpr_count:     0
    .vgpr_spill_count: 0
    .wavefront_size: 32
  - .args:
      - .offset:         0
        .size:           56
        .value_kind:     by_value
    .group_segment_fixed_size: 0
    .kernarg_segment_align: 8
    .kernarg_segment_size: 56
    .language:       OpenCL C
    .language_version:
      - 2
      - 0
    .max_flat_workgroup_size: 128
    .name:           _ZN7rocprim17ROCPRIM_400000_NS6detail17trampoline_kernelINS0_14default_configENS1_38merge_sort_block_merge_config_selectorIlNS0_10empty_typeEEEZZNS1_27merge_sort_block_merge_implIS3_PlPS5_mZN2at6native12_GLOBAL__N_124unique_dim_cuda_templateIdEESt5tupleIJNSA_6TensorESF_SF_EERKSF_lbbbEUlllE_EE10hipError_tT0_T1_T2_jT3_P12ihipStream_tbPNSt15iterator_traitsISL_E10value_typeEPNSR_ISM_E10value_typeEPSN_NS1_7vsmem_tEENKUlT_SL_SM_SN_E_clIS8_S8_S9_S9_EESK_S10_SL_SM_SN_EUlS10_E_NS1_11comp_targetILNS1_3genE5ELNS1_11target_archE942ELNS1_3gpuE9ELNS1_3repE0EEENS1_48merge_mergepath_partition_config_static_selectorELNS0_4arch9wavefront6targetE0EEEvSM_
    .private_segment_fixed_size: 0
    .sgpr_count:     0
    .sgpr_spill_count: 0
    .symbol:         _ZN7rocprim17ROCPRIM_400000_NS6detail17trampoline_kernelINS0_14default_configENS1_38merge_sort_block_merge_config_selectorIlNS0_10empty_typeEEEZZNS1_27merge_sort_block_merge_implIS3_PlPS5_mZN2at6native12_GLOBAL__N_124unique_dim_cuda_templateIdEESt5tupleIJNSA_6TensorESF_SF_EERKSF_lbbbEUlllE_EE10hipError_tT0_T1_T2_jT3_P12ihipStream_tbPNSt15iterator_traitsISL_E10value_typeEPNSR_ISM_E10value_typeEPSN_NS1_7vsmem_tEENKUlT_SL_SM_SN_E_clIS8_S8_S9_S9_EESK_S10_SL_SM_SN_EUlS10_E_NS1_11comp_targetILNS1_3genE5ELNS1_11target_archE942ELNS1_3gpuE9ELNS1_3repE0EEENS1_48merge_mergepath_partition_config_static_selectorELNS0_4arch9wavefront6targetE0EEEvSM_.kd
    .uniform_work_group_size: 1
    .uses_dynamic_stack: false
    .vgpr_count:     0
    .vgpr_spill_count: 0
    .wavefront_size: 32
  - .args:
      - .offset:         0
        .size:           56
        .value_kind:     by_value
    .group_segment_fixed_size: 0
    .kernarg_segment_align: 8
    .kernarg_segment_size: 56
    .language:       OpenCL C
    .language_version:
      - 2
      - 0
    .max_flat_workgroup_size: 128
    .name:           _ZN7rocprim17ROCPRIM_400000_NS6detail17trampoline_kernelINS0_14default_configENS1_38merge_sort_block_merge_config_selectorIlNS0_10empty_typeEEEZZNS1_27merge_sort_block_merge_implIS3_PlPS5_mZN2at6native12_GLOBAL__N_124unique_dim_cuda_templateIdEESt5tupleIJNSA_6TensorESF_SF_EERKSF_lbbbEUlllE_EE10hipError_tT0_T1_T2_jT3_P12ihipStream_tbPNSt15iterator_traitsISL_E10value_typeEPNSR_ISM_E10value_typeEPSN_NS1_7vsmem_tEENKUlT_SL_SM_SN_E_clIS8_S8_S9_S9_EESK_S10_SL_SM_SN_EUlS10_E_NS1_11comp_targetILNS1_3genE4ELNS1_11target_archE910ELNS1_3gpuE8ELNS1_3repE0EEENS1_48merge_mergepath_partition_config_static_selectorELNS0_4arch9wavefront6targetE0EEEvSM_
    .private_segment_fixed_size: 0
    .sgpr_count:     0
    .sgpr_spill_count: 0
    .symbol:         _ZN7rocprim17ROCPRIM_400000_NS6detail17trampoline_kernelINS0_14default_configENS1_38merge_sort_block_merge_config_selectorIlNS0_10empty_typeEEEZZNS1_27merge_sort_block_merge_implIS3_PlPS5_mZN2at6native12_GLOBAL__N_124unique_dim_cuda_templateIdEESt5tupleIJNSA_6TensorESF_SF_EERKSF_lbbbEUlllE_EE10hipError_tT0_T1_T2_jT3_P12ihipStream_tbPNSt15iterator_traitsISL_E10value_typeEPNSR_ISM_E10value_typeEPSN_NS1_7vsmem_tEENKUlT_SL_SM_SN_E_clIS8_S8_S9_S9_EESK_S10_SL_SM_SN_EUlS10_E_NS1_11comp_targetILNS1_3genE4ELNS1_11target_archE910ELNS1_3gpuE8ELNS1_3repE0EEENS1_48merge_mergepath_partition_config_static_selectorELNS0_4arch9wavefront6targetE0EEEvSM_.kd
    .uniform_work_group_size: 1
    .uses_dynamic_stack: false
    .vgpr_count:     0
    .vgpr_spill_count: 0
    .wavefront_size: 32
  - .args:
      - .offset:         0
        .size:           56
        .value_kind:     by_value
    .group_segment_fixed_size: 0
    .kernarg_segment_align: 8
    .kernarg_segment_size: 56
    .language:       OpenCL C
    .language_version:
      - 2
      - 0
    .max_flat_workgroup_size: 128
    .name:           _ZN7rocprim17ROCPRIM_400000_NS6detail17trampoline_kernelINS0_14default_configENS1_38merge_sort_block_merge_config_selectorIlNS0_10empty_typeEEEZZNS1_27merge_sort_block_merge_implIS3_PlPS5_mZN2at6native12_GLOBAL__N_124unique_dim_cuda_templateIdEESt5tupleIJNSA_6TensorESF_SF_EERKSF_lbbbEUlllE_EE10hipError_tT0_T1_T2_jT3_P12ihipStream_tbPNSt15iterator_traitsISL_E10value_typeEPNSR_ISM_E10value_typeEPSN_NS1_7vsmem_tEENKUlT_SL_SM_SN_E_clIS8_S8_S9_S9_EESK_S10_SL_SM_SN_EUlS10_E_NS1_11comp_targetILNS1_3genE3ELNS1_11target_archE908ELNS1_3gpuE7ELNS1_3repE0EEENS1_48merge_mergepath_partition_config_static_selectorELNS0_4arch9wavefront6targetE0EEEvSM_
    .private_segment_fixed_size: 0
    .sgpr_count:     0
    .sgpr_spill_count: 0
    .symbol:         _ZN7rocprim17ROCPRIM_400000_NS6detail17trampoline_kernelINS0_14default_configENS1_38merge_sort_block_merge_config_selectorIlNS0_10empty_typeEEEZZNS1_27merge_sort_block_merge_implIS3_PlPS5_mZN2at6native12_GLOBAL__N_124unique_dim_cuda_templateIdEESt5tupleIJNSA_6TensorESF_SF_EERKSF_lbbbEUlllE_EE10hipError_tT0_T1_T2_jT3_P12ihipStream_tbPNSt15iterator_traitsISL_E10value_typeEPNSR_ISM_E10value_typeEPSN_NS1_7vsmem_tEENKUlT_SL_SM_SN_E_clIS8_S8_S9_S9_EESK_S10_SL_SM_SN_EUlS10_E_NS1_11comp_targetILNS1_3genE3ELNS1_11target_archE908ELNS1_3gpuE7ELNS1_3repE0EEENS1_48merge_mergepath_partition_config_static_selectorELNS0_4arch9wavefront6targetE0EEEvSM_.kd
    .uniform_work_group_size: 1
    .uses_dynamic_stack: false
    .vgpr_count:     0
    .vgpr_spill_count: 0
    .wavefront_size: 32
  - .args:
      - .offset:         0
        .size:           56
        .value_kind:     by_value
    .group_segment_fixed_size: 0
    .kernarg_segment_align: 8
    .kernarg_segment_size: 56
    .language:       OpenCL C
    .language_version:
      - 2
      - 0
    .max_flat_workgroup_size: 128
    .name:           _ZN7rocprim17ROCPRIM_400000_NS6detail17trampoline_kernelINS0_14default_configENS1_38merge_sort_block_merge_config_selectorIlNS0_10empty_typeEEEZZNS1_27merge_sort_block_merge_implIS3_PlPS5_mZN2at6native12_GLOBAL__N_124unique_dim_cuda_templateIdEESt5tupleIJNSA_6TensorESF_SF_EERKSF_lbbbEUlllE_EE10hipError_tT0_T1_T2_jT3_P12ihipStream_tbPNSt15iterator_traitsISL_E10value_typeEPNSR_ISM_E10value_typeEPSN_NS1_7vsmem_tEENKUlT_SL_SM_SN_E_clIS8_S8_S9_S9_EESK_S10_SL_SM_SN_EUlS10_E_NS1_11comp_targetILNS1_3genE2ELNS1_11target_archE906ELNS1_3gpuE6ELNS1_3repE0EEENS1_48merge_mergepath_partition_config_static_selectorELNS0_4arch9wavefront6targetE0EEEvSM_
    .private_segment_fixed_size: 0
    .sgpr_count:     0
    .sgpr_spill_count: 0
    .symbol:         _ZN7rocprim17ROCPRIM_400000_NS6detail17trampoline_kernelINS0_14default_configENS1_38merge_sort_block_merge_config_selectorIlNS0_10empty_typeEEEZZNS1_27merge_sort_block_merge_implIS3_PlPS5_mZN2at6native12_GLOBAL__N_124unique_dim_cuda_templateIdEESt5tupleIJNSA_6TensorESF_SF_EERKSF_lbbbEUlllE_EE10hipError_tT0_T1_T2_jT3_P12ihipStream_tbPNSt15iterator_traitsISL_E10value_typeEPNSR_ISM_E10value_typeEPSN_NS1_7vsmem_tEENKUlT_SL_SM_SN_E_clIS8_S8_S9_S9_EESK_S10_SL_SM_SN_EUlS10_E_NS1_11comp_targetILNS1_3genE2ELNS1_11target_archE906ELNS1_3gpuE6ELNS1_3repE0EEENS1_48merge_mergepath_partition_config_static_selectorELNS0_4arch9wavefront6targetE0EEEvSM_.kd
    .uniform_work_group_size: 1
    .uses_dynamic_stack: false
    .vgpr_count:     0
    .vgpr_spill_count: 0
    .wavefront_size: 32
  - .args:
      - .offset:         0
        .size:           56
        .value_kind:     by_value
    .group_segment_fixed_size: 0
    .kernarg_segment_align: 8
    .kernarg_segment_size: 56
    .language:       OpenCL C
    .language_version:
      - 2
      - 0
    .max_flat_workgroup_size: 128
    .name:           _ZN7rocprim17ROCPRIM_400000_NS6detail17trampoline_kernelINS0_14default_configENS1_38merge_sort_block_merge_config_selectorIlNS0_10empty_typeEEEZZNS1_27merge_sort_block_merge_implIS3_PlPS5_mZN2at6native12_GLOBAL__N_124unique_dim_cuda_templateIdEESt5tupleIJNSA_6TensorESF_SF_EERKSF_lbbbEUlllE_EE10hipError_tT0_T1_T2_jT3_P12ihipStream_tbPNSt15iterator_traitsISL_E10value_typeEPNSR_ISM_E10value_typeEPSN_NS1_7vsmem_tEENKUlT_SL_SM_SN_E_clIS8_S8_S9_S9_EESK_S10_SL_SM_SN_EUlS10_E_NS1_11comp_targetILNS1_3genE9ELNS1_11target_archE1100ELNS1_3gpuE3ELNS1_3repE0EEENS1_48merge_mergepath_partition_config_static_selectorELNS0_4arch9wavefront6targetE0EEEvSM_
    .private_segment_fixed_size: 0
    .sgpr_count:     0
    .sgpr_spill_count: 0
    .symbol:         _ZN7rocprim17ROCPRIM_400000_NS6detail17trampoline_kernelINS0_14default_configENS1_38merge_sort_block_merge_config_selectorIlNS0_10empty_typeEEEZZNS1_27merge_sort_block_merge_implIS3_PlPS5_mZN2at6native12_GLOBAL__N_124unique_dim_cuda_templateIdEESt5tupleIJNSA_6TensorESF_SF_EERKSF_lbbbEUlllE_EE10hipError_tT0_T1_T2_jT3_P12ihipStream_tbPNSt15iterator_traitsISL_E10value_typeEPNSR_ISM_E10value_typeEPSN_NS1_7vsmem_tEENKUlT_SL_SM_SN_E_clIS8_S8_S9_S9_EESK_S10_SL_SM_SN_EUlS10_E_NS1_11comp_targetILNS1_3genE9ELNS1_11target_archE1100ELNS1_3gpuE3ELNS1_3repE0EEENS1_48merge_mergepath_partition_config_static_selectorELNS0_4arch9wavefront6targetE0EEEvSM_.kd
    .uniform_work_group_size: 1
    .uses_dynamic_stack: false
    .vgpr_count:     0
    .vgpr_spill_count: 0
    .wavefront_size: 32
  - .args:
      - .offset:         0
        .size:           56
        .value_kind:     by_value
    .group_segment_fixed_size: 0
    .kernarg_segment_align: 8
    .kernarg_segment_size: 56
    .language:       OpenCL C
    .language_version:
      - 2
      - 0
    .max_flat_workgroup_size: 128
    .name:           _ZN7rocprim17ROCPRIM_400000_NS6detail17trampoline_kernelINS0_14default_configENS1_38merge_sort_block_merge_config_selectorIlNS0_10empty_typeEEEZZNS1_27merge_sort_block_merge_implIS3_PlPS5_mZN2at6native12_GLOBAL__N_124unique_dim_cuda_templateIdEESt5tupleIJNSA_6TensorESF_SF_EERKSF_lbbbEUlllE_EE10hipError_tT0_T1_T2_jT3_P12ihipStream_tbPNSt15iterator_traitsISL_E10value_typeEPNSR_ISM_E10value_typeEPSN_NS1_7vsmem_tEENKUlT_SL_SM_SN_E_clIS8_S8_S9_S9_EESK_S10_SL_SM_SN_EUlS10_E_NS1_11comp_targetILNS1_3genE8ELNS1_11target_archE1030ELNS1_3gpuE2ELNS1_3repE0EEENS1_48merge_mergepath_partition_config_static_selectorELNS0_4arch9wavefront6targetE0EEEvSM_
    .private_segment_fixed_size: 0
    .sgpr_count:     0
    .sgpr_spill_count: 0
    .symbol:         _ZN7rocprim17ROCPRIM_400000_NS6detail17trampoline_kernelINS0_14default_configENS1_38merge_sort_block_merge_config_selectorIlNS0_10empty_typeEEEZZNS1_27merge_sort_block_merge_implIS3_PlPS5_mZN2at6native12_GLOBAL__N_124unique_dim_cuda_templateIdEESt5tupleIJNSA_6TensorESF_SF_EERKSF_lbbbEUlllE_EE10hipError_tT0_T1_T2_jT3_P12ihipStream_tbPNSt15iterator_traitsISL_E10value_typeEPNSR_ISM_E10value_typeEPSN_NS1_7vsmem_tEENKUlT_SL_SM_SN_E_clIS8_S8_S9_S9_EESK_S10_SL_SM_SN_EUlS10_E_NS1_11comp_targetILNS1_3genE8ELNS1_11target_archE1030ELNS1_3gpuE2ELNS1_3repE0EEENS1_48merge_mergepath_partition_config_static_selectorELNS0_4arch9wavefront6targetE0EEEvSM_.kd
    .uniform_work_group_size: 1
    .uses_dynamic_stack: false
    .vgpr_count:     0
    .vgpr_spill_count: 0
    .wavefront_size: 32
  - .args:
      - .offset:         0
        .size:           88
        .value_kind:     by_value
      - .offset:         88
        .size:           4
        .value_kind:     hidden_block_count_x
      - .offset:         92
        .size:           4
        .value_kind:     hidden_block_count_y
      - .offset:         96
        .size:           4
        .value_kind:     hidden_block_count_z
      - .offset:         100
        .size:           2
        .value_kind:     hidden_group_size_x
      - .offset:         102
        .size:           2
        .value_kind:     hidden_group_size_y
      - .offset:         104
        .size:           2
        .value_kind:     hidden_group_size_z
      - .offset:         106
        .size:           2
        .value_kind:     hidden_remainder_x
      - .offset:         108
        .size:           2
        .value_kind:     hidden_remainder_y
      - .offset:         110
        .size:           2
        .value_kind:     hidden_remainder_z
      - .offset:         128
        .size:           8
        .value_kind:     hidden_global_offset_x
      - .offset:         136
        .size:           8
        .value_kind:     hidden_global_offset_y
      - .offset:         144
        .size:           8
        .value_kind:     hidden_global_offset_z
      - .offset:         152
        .size:           2
        .value_kind:     hidden_grid_dims
    .group_segment_fixed_size: 8448
    .kernarg_segment_align: 8
    .kernarg_segment_size: 344
    .language:       OpenCL C
    .language_version:
      - 2
      - 0
    .max_flat_workgroup_size: 128
    .name:           _ZN7rocprim17ROCPRIM_400000_NS6detail17trampoline_kernelINS0_14default_configENS1_38merge_sort_block_merge_config_selectorIlNS0_10empty_typeEEEZZNS1_27merge_sort_block_merge_implIS3_PlPS5_mZN2at6native12_GLOBAL__N_124unique_dim_cuda_templateIdEESt5tupleIJNSA_6TensorESF_SF_EERKSF_lbbbEUlllE_EE10hipError_tT0_T1_T2_jT3_P12ihipStream_tbPNSt15iterator_traitsISL_E10value_typeEPNSR_ISM_E10value_typeEPSN_NS1_7vsmem_tEENKUlT_SL_SM_SN_E_clIS8_S8_S9_S9_EESK_S10_SL_SM_SN_EUlS10_E0_NS1_11comp_targetILNS1_3genE0ELNS1_11target_archE4294967295ELNS1_3gpuE0ELNS1_3repE0EEENS1_38merge_mergepath_config_static_selectorELNS0_4arch9wavefront6targetE0EEEvSM_
    .private_segment_fixed_size: 0
    .sgpr_count:     34
    .sgpr_spill_count: 0
    .symbol:         _ZN7rocprim17ROCPRIM_400000_NS6detail17trampoline_kernelINS0_14default_configENS1_38merge_sort_block_merge_config_selectorIlNS0_10empty_typeEEEZZNS1_27merge_sort_block_merge_implIS3_PlPS5_mZN2at6native12_GLOBAL__N_124unique_dim_cuda_templateIdEESt5tupleIJNSA_6TensorESF_SF_EERKSF_lbbbEUlllE_EE10hipError_tT0_T1_T2_jT3_P12ihipStream_tbPNSt15iterator_traitsISL_E10value_typeEPNSR_ISM_E10value_typeEPSN_NS1_7vsmem_tEENKUlT_SL_SM_SN_E_clIS8_S8_S9_S9_EESK_S10_SL_SM_SN_EUlS10_E0_NS1_11comp_targetILNS1_3genE0ELNS1_11target_archE4294967295ELNS1_3gpuE0ELNS1_3repE0EEENS1_38merge_mergepath_config_static_selectorELNS0_4arch9wavefront6targetE0EEEvSM_.kd
    .uniform_work_group_size: 1
    .uses_dynamic_stack: false
    .vgpr_count:     44
    .vgpr_spill_count: 0
    .wavefront_size: 32
  - .args:
      - .offset:         0
        .size:           88
        .value_kind:     by_value
    .group_segment_fixed_size: 0
    .kernarg_segment_align: 8
    .kernarg_segment_size: 88
    .language:       OpenCL C
    .language_version:
      - 2
      - 0
    .max_flat_workgroup_size: 512
    .name:           _ZN7rocprim17ROCPRIM_400000_NS6detail17trampoline_kernelINS0_14default_configENS1_38merge_sort_block_merge_config_selectorIlNS0_10empty_typeEEEZZNS1_27merge_sort_block_merge_implIS3_PlPS5_mZN2at6native12_GLOBAL__N_124unique_dim_cuda_templateIdEESt5tupleIJNSA_6TensorESF_SF_EERKSF_lbbbEUlllE_EE10hipError_tT0_T1_T2_jT3_P12ihipStream_tbPNSt15iterator_traitsISL_E10value_typeEPNSR_ISM_E10value_typeEPSN_NS1_7vsmem_tEENKUlT_SL_SM_SN_E_clIS8_S8_S9_S9_EESK_S10_SL_SM_SN_EUlS10_E0_NS1_11comp_targetILNS1_3genE10ELNS1_11target_archE1201ELNS1_3gpuE5ELNS1_3repE0EEENS1_38merge_mergepath_config_static_selectorELNS0_4arch9wavefront6targetE0EEEvSM_
    .private_segment_fixed_size: 0
    .sgpr_count:     0
    .sgpr_spill_count: 0
    .symbol:         _ZN7rocprim17ROCPRIM_400000_NS6detail17trampoline_kernelINS0_14default_configENS1_38merge_sort_block_merge_config_selectorIlNS0_10empty_typeEEEZZNS1_27merge_sort_block_merge_implIS3_PlPS5_mZN2at6native12_GLOBAL__N_124unique_dim_cuda_templateIdEESt5tupleIJNSA_6TensorESF_SF_EERKSF_lbbbEUlllE_EE10hipError_tT0_T1_T2_jT3_P12ihipStream_tbPNSt15iterator_traitsISL_E10value_typeEPNSR_ISM_E10value_typeEPSN_NS1_7vsmem_tEENKUlT_SL_SM_SN_E_clIS8_S8_S9_S9_EESK_S10_SL_SM_SN_EUlS10_E0_NS1_11comp_targetILNS1_3genE10ELNS1_11target_archE1201ELNS1_3gpuE5ELNS1_3repE0EEENS1_38merge_mergepath_config_static_selectorELNS0_4arch9wavefront6targetE0EEEvSM_.kd
    .uniform_work_group_size: 1
    .uses_dynamic_stack: false
    .vgpr_count:     0
    .vgpr_spill_count: 0
    .wavefront_size: 32
  - .args:
      - .offset:         0
        .size:           88
        .value_kind:     by_value
    .group_segment_fixed_size: 0
    .kernarg_segment_align: 8
    .kernarg_segment_size: 88
    .language:       OpenCL C
    .language_version:
      - 2
      - 0
    .max_flat_workgroup_size: 128
    .name:           _ZN7rocprim17ROCPRIM_400000_NS6detail17trampoline_kernelINS0_14default_configENS1_38merge_sort_block_merge_config_selectorIlNS0_10empty_typeEEEZZNS1_27merge_sort_block_merge_implIS3_PlPS5_mZN2at6native12_GLOBAL__N_124unique_dim_cuda_templateIdEESt5tupleIJNSA_6TensorESF_SF_EERKSF_lbbbEUlllE_EE10hipError_tT0_T1_T2_jT3_P12ihipStream_tbPNSt15iterator_traitsISL_E10value_typeEPNSR_ISM_E10value_typeEPSN_NS1_7vsmem_tEENKUlT_SL_SM_SN_E_clIS8_S8_S9_S9_EESK_S10_SL_SM_SN_EUlS10_E0_NS1_11comp_targetILNS1_3genE5ELNS1_11target_archE942ELNS1_3gpuE9ELNS1_3repE0EEENS1_38merge_mergepath_config_static_selectorELNS0_4arch9wavefront6targetE0EEEvSM_
    .private_segment_fixed_size: 0
    .sgpr_count:     0
    .sgpr_spill_count: 0
    .symbol:         _ZN7rocprim17ROCPRIM_400000_NS6detail17trampoline_kernelINS0_14default_configENS1_38merge_sort_block_merge_config_selectorIlNS0_10empty_typeEEEZZNS1_27merge_sort_block_merge_implIS3_PlPS5_mZN2at6native12_GLOBAL__N_124unique_dim_cuda_templateIdEESt5tupleIJNSA_6TensorESF_SF_EERKSF_lbbbEUlllE_EE10hipError_tT0_T1_T2_jT3_P12ihipStream_tbPNSt15iterator_traitsISL_E10value_typeEPNSR_ISM_E10value_typeEPSN_NS1_7vsmem_tEENKUlT_SL_SM_SN_E_clIS8_S8_S9_S9_EESK_S10_SL_SM_SN_EUlS10_E0_NS1_11comp_targetILNS1_3genE5ELNS1_11target_archE942ELNS1_3gpuE9ELNS1_3repE0EEENS1_38merge_mergepath_config_static_selectorELNS0_4arch9wavefront6targetE0EEEvSM_.kd
    .uniform_work_group_size: 1
    .uses_dynamic_stack: false
    .vgpr_count:     0
    .vgpr_spill_count: 0
    .wavefront_size: 32
  - .args:
      - .offset:         0
        .size:           88
        .value_kind:     by_value
    .group_segment_fixed_size: 0
    .kernarg_segment_align: 8
    .kernarg_segment_size: 88
    .language:       OpenCL C
    .language_version:
      - 2
      - 0
    .max_flat_workgroup_size: 256
    .name:           _ZN7rocprim17ROCPRIM_400000_NS6detail17trampoline_kernelINS0_14default_configENS1_38merge_sort_block_merge_config_selectorIlNS0_10empty_typeEEEZZNS1_27merge_sort_block_merge_implIS3_PlPS5_mZN2at6native12_GLOBAL__N_124unique_dim_cuda_templateIdEESt5tupleIJNSA_6TensorESF_SF_EERKSF_lbbbEUlllE_EE10hipError_tT0_T1_T2_jT3_P12ihipStream_tbPNSt15iterator_traitsISL_E10value_typeEPNSR_ISM_E10value_typeEPSN_NS1_7vsmem_tEENKUlT_SL_SM_SN_E_clIS8_S8_S9_S9_EESK_S10_SL_SM_SN_EUlS10_E0_NS1_11comp_targetILNS1_3genE4ELNS1_11target_archE910ELNS1_3gpuE8ELNS1_3repE0EEENS1_38merge_mergepath_config_static_selectorELNS0_4arch9wavefront6targetE0EEEvSM_
    .private_segment_fixed_size: 0
    .sgpr_count:     0
    .sgpr_spill_count: 0
    .symbol:         _ZN7rocprim17ROCPRIM_400000_NS6detail17trampoline_kernelINS0_14default_configENS1_38merge_sort_block_merge_config_selectorIlNS0_10empty_typeEEEZZNS1_27merge_sort_block_merge_implIS3_PlPS5_mZN2at6native12_GLOBAL__N_124unique_dim_cuda_templateIdEESt5tupleIJNSA_6TensorESF_SF_EERKSF_lbbbEUlllE_EE10hipError_tT0_T1_T2_jT3_P12ihipStream_tbPNSt15iterator_traitsISL_E10value_typeEPNSR_ISM_E10value_typeEPSN_NS1_7vsmem_tEENKUlT_SL_SM_SN_E_clIS8_S8_S9_S9_EESK_S10_SL_SM_SN_EUlS10_E0_NS1_11comp_targetILNS1_3genE4ELNS1_11target_archE910ELNS1_3gpuE8ELNS1_3repE0EEENS1_38merge_mergepath_config_static_selectorELNS0_4arch9wavefront6targetE0EEEvSM_.kd
    .uniform_work_group_size: 1
    .uses_dynamic_stack: false
    .vgpr_count:     0
    .vgpr_spill_count: 0
    .wavefront_size: 32
  - .args:
      - .offset:         0
        .size:           88
        .value_kind:     by_value
    .group_segment_fixed_size: 0
    .kernarg_segment_align: 8
    .kernarg_segment_size: 88
    .language:       OpenCL C
    .language_version:
      - 2
      - 0
    .max_flat_workgroup_size: 128
    .name:           _ZN7rocprim17ROCPRIM_400000_NS6detail17trampoline_kernelINS0_14default_configENS1_38merge_sort_block_merge_config_selectorIlNS0_10empty_typeEEEZZNS1_27merge_sort_block_merge_implIS3_PlPS5_mZN2at6native12_GLOBAL__N_124unique_dim_cuda_templateIdEESt5tupleIJNSA_6TensorESF_SF_EERKSF_lbbbEUlllE_EE10hipError_tT0_T1_T2_jT3_P12ihipStream_tbPNSt15iterator_traitsISL_E10value_typeEPNSR_ISM_E10value_typeEPSN_NS1_7vsmem_tEENKUlT_SL_SM_SN_E_clIS8_S8_S9_S9_EESK_S10_SL_SM_SN_EUlS10_E0_NS1_11comp_targetILNS1_3genE3ELNS1_11target_archE908ELNS1_3gpuE7ELNS1_3repE0EEENS1_38merge_mergepath_config_static_selectorELNS0_4arch9wavefront6targetE0EEEvSM_
    .private_segment_fixed_size: 0
    .sgpr_count:     0
    .sgpr_spill_count: 0
    .symbol:         _ZN7rocprim17ROCPRIM_400000_NS6detail17trampoline_kernelINS0_14default_configENS1_38merge_sort_block_merge_config_selectorIlNS0_10empty_typeEEEZZNS1_27merge_sort_block_merge_implIS3_PlPS5_mZN2at6native12_GLOBAL__N_124unique_dim_cuda_templateIdEESt5tupleIJNSA_6TensorESF_SF_EERKSF_lbbbEUlllE_EE10hipError_tT0_T1_T2_jT3_P12ihipStream_tbPNSt15iterator_traitsISL_E10value_typeEPNSR_ISM_E10value_typeEPSN_NS1_7vsmem_tEENKUlT_SL_SM_SN_E_clIS8_S8_S9_S9_EESK_S10_SL_SM_SN_EUlS10_E0_NS1_11comp_targetILNS1_3genE3ELNS1_11target_archE908ELNS1_3gpuE7ELNS1_3repE0EEENS1_38merge_mergepath_config_static_selectorELNS0_4arch9wavefront6targetE0EEEvSM_.kd
    .uniform_work_group_size: 1
    .uses_dynamic_stack: false
    .vgpr_count:     0
    .vgpr_spill_count: 0
    .wavefront_size: 32
  - .args:
      - .offset:         0
        .size:           88
        .value_kind:     by_value
    .group_segment_fixed_size: 0
    .kernarg_segment_align: 8
    .kernarg_segment_size: 88
    .language:       OpenCL C
    .language_version:
      - 2
      - 0
    .max_flat_workgroup_size: 256
    .name:           _ZN7rocprim17ROCPRIM_400000_NS6detail17trampoline_kernelINS0_14default_configENS1_38merge_sort_block_merge_config_selectorIlNS0_10empty_typeEEEZZNS1_27merge_sort_block_merge_implIS3_PlPS5_mZN2at6native12_GLOBAL__N_124unique_dim_cuda_templateIdEESt5tupleIJNSA_6TensorESF_SF_EERKSF_lbbbEUlllE_EE10hipError_tT0_T1_T2_jT3_P12ihipStream_tbPNSt15iterator_traitsISL_E10value_typeEPNSR_ISM_E10value_typeEPSN_NS1_7vsmem_tEENKUlT_SL_SM_SN_E_clIS8_S8_S9_S9_EESK_S10_SL_SM_SN_EUlS10_E0_NS1_11comp_targetILNS1_3genE2ELNS1_11target_archE906ELNS1_3gpuE6ELNS1_3repE0EEENS1_38merge_mergepath_config_static_selectorELNS0_4arch9wavefront6targetE0EEEvSM_
    .private_segment_fixed_size: 0
    .sgpr_count:     0
    .sgpr_spill_count: 0
    .symbol:         _ZN7rocprim17ROCPRIM_400000_NS6detail17trampoline_kernelINS0_14default_configENS1_38merge_sort_block_merge_config_selectorIlNS0_10empty_typeEEEZZNS1_27merge_sort_block_merge_implIS3_PlPS5_mZN2at6native12_GLOBAL__N_124unique_dim_cuda_templateIdEESt5tupleIJNSA_6TensorESF_SF_EERKSF_lbbbEUlllE_EE10hipError_tT0_T1_T2_jT3_P12ihipStream_tbPNSt15iterator_traitsISL_E10value_typeEPNSR_ISM_E10value_typeEPSN_NS1_7vsmem_tEENKUlT_SL_SM_SN_E_clIS8_S8_S9_S9_EESK_S10_SL_SM_SN_EUlS10_E0_NS1_11comp_targetILNS1_3genE2ELNS1_11target_archE906ELNS1_3gpuE6ELNS1_3repE0EEENS1_38merge_mergepath_config_static_selectorELNS0_4arch9wavefront6targetE0EEEvSM_.kd
    .uniform_work_group_size: 1
    .uses_dynamic_stack: false
    .vgpr_count:     0
    .vgpr_spill_count: 0
    .wavefront_size: 32
  - .args:
      - .offset:         0
        .size:           88
        .value_kind:     by_value
    .group_segment_fixed_size: 0
    .kernarg_segment_align: 8
    .kernarg_segment_size: 88
    .language:       OpenCL C
    .language_version:
      - 2
      - 0
    .max_flat_workgroup_size: 512
    .name:           _ZN7rocprim17ROCPRIM_400000_NS6detail17trampoline_kernelINS0_14default_configENS1_38merge_sort_block_merge_config_selectorIlNS0_10empty_typeEEEZZNS1_27merge_sort_block_merge_implIS3_PlPS5_mZN2at6native12_GLOBAL__N_124unique_dim_cuda_templateIdEESt5tupleIJNSA_6TensorESF_SF_EERKSF_lbbbEUlllE_EE10hipError_tT0_T1_T2_jT3_P12ihipStream_tbPNSt15iterator_traitsISL_E10value_typeEPNSR_ISM_E10value_typeEPSN_NS1_7vsmem_tEENKUlT_SL_SM_SN_E_clIS8_S8_S9_S9_EESK_S10_SL_SM_SN_EUlS10_E0_NS1_11comp_targetILNS1_3genE9ELNS1_11target_archE1100ELNS1_3gpuE3ELNS1_3repE0EEENS1_38merge_mergepath_config_static_selectorELNS0_4arch9wavefront6targetE0EEEvSM_
    .private_segment_fixed_size: 0
    .sgpr_count:     0
    .sgpr_spill_count: 0
    .symbol:         _ZN7rocprim17ROCPRIM_400000_NS6detail17trampoline_kernelINS0_14default_configENS1_38merge_sort_block_merge_config_selectorIlNS0_10empty_typeEEEZZNS1_27merge_sort_block_merge_implIS3_PlPS5_mZN2at6native12_GLOBAL__N_124unique_dim_cuda_templateIdEESt5tupleIJNSA_6TensorESF_SF_EERKSF_lbbbEUlllE_EE10hipError_tT0_T1_T2_jT3_P12ihipStream_tbPNSt15iterator_traitsISL_E10value_typeEPNSR_ISM_E10value_typeEPSN_NS1_7vsmem_tEENKUlT_SL_SM_SN_E_clIS8_S8_S9_S9_EESK_S10_SL_SM_SN_EUlS10_E0_NS1_11comp_targetILNS1_3genE9ELNS1_11target_archE1100ELNS1_3gpuE3ELNS1_3repE0EEENS1_38merge_mergepath_config_static_selectorELNS0_4arch9wavefront6targetE0EEEvSM_.kd
    .uniform_work_group_size: 1
    .uses_dynamic_stack: false
    .vgpr_count:     0
    .vgpr_spill_count: 0
    .wavefront_size: 32
  - .args:
      - .offset:         0
        .size:           88
        .value_kind:     by_value
    .group_segment_fixed_size: 0
    .kernarg_segment_align: 8
    .kernarg_segment_size: 88
    .language:       OpenCL C
    .language_version:
      - 2
      - 0
    .max_flat_workgroup_size: 1024
    .name:           _ZN7rocprim17ROCPRIM_400000_NS6detail17trampoline_kernelINS0_14default_configENS1_38merge_sort_block_merge_config_selectorIlNS0_10empty_typeEEEZZNS1_27merge_sort_block_merge_implIS3_PlPS5_mZN2at6native12_GLOBAL__N_124unique_dim_cuda_templateIdEESt5tupleIJNSA_6TensorESF_SF_EERKSF_lbbbEUlllE_EE10hipError_tT0_T1_T2_jT3_P12ihipStream_tbPNSt15iterator_traitsISL_E10value_typeEPNSR_ISM_E10value_typeEPSN_NS1_7vsmem_tEENKUlT_SL_SM_SN_E_clIS8_S8_S9_S9_EESK_S10_SL_SM_SN_EUlS10_E0_NS1_11comp_targetILNS1_3genE8ELNS1_11target_archE1030ELNS1_3gpuE2ELNS1_3repE0EEENS1_38merge_mergepath_config_static_selectorELNS0_4arch9wavefront6targetE0EEEvSM_
    .private_segment_fixed_size: 0
    .sgpr_count:     0
    .sgpr_spill_count: 0
    .symbol:         _ZN7rocprim17ROCPRIM_400000_NS6detail17trampoline_kernelINS0_14default_configENS1_38merge_sort_block_merge_config_selectorIlNS0_10empty_typeEEEZZNS1_27merge_sort_block_merge_implIS3_PlPS5_mZN2at6native12_GLOBAL__N_124unique_dim_cuda_templateIdEESt5tupleIJNSA_6TensorESF_SF_EERKSF_lbbbEUlllE_EE10hipError_tT0_T1_T2_jT3_P12ihipStream_tbPNSt15iterator_traitsISL_E10value_typeEPNSR_ISM_E10value_typeEPSN_NS1_7vsmem_tEENKUlT_SL_SM_SN_E_clIS8_S8_S9_S9_EESK_S10_SL_SM_SN_EUlS10_E0_NS1_11comp_targetILNS1_3genE8ELNS1_11target_archE1030ELNS1_3gpuE2ELNS1_3repE0EEENS1_38merge_mergepath_config_static_selectorELNS0_4arch9wavefront6targetE0EEEvSM_.kd
    .uniform_work_group_size: 1
    .uses_dynamic_stack: false
    .vgpr_count:     0
    .vgpr_spill_count: 0
    .wavefront_size: 32
  - .args:
      - .offset:         0
        .size:           64
        .value_kind:     by_value
    .group_segment_fixed_size: 0
    .kernarg_segment_align: 8
    .kernarg_segment_size: 64
    .language:       OpenCL C
    .language_version:
      - 2
      - 0
    .max_flat_workgroup_size: 256
    .name:           _ZN7rocprim17ROCPRIM_400000_NS6detail17trampoline_kernelINS0_14default_configENS1_38merge_sort_block_merge_config_selectorIlNS0_10empty_typeEEEZZNS1_27merge_sort_block_merge_implIS3_PlPS5_mZN2at6native12_GLOBAL__N_124unique_dim_cuda_templateIdEESt5tupleIJNSA_6TensorESF_SF_EERKSF_lbbbEUlllE_EE10hipError_tT0_T1_T2_jT3_P12ihipStream_tbPNSt15iterator_traitsISL_E10value_typeEPNSR_ISM_E10value_typeEPSN_NS1_7vsmem_tEENKUlT_SL_SM_SN_E_clIS8_S8_S9_S9_EESK_S10_SL_SM_SN_EUlS10_E1_NS1_11comp_targetILNS1_3genE0ELNS1_11target_archE4294967295ELNS1_3gpuE0ELNS1_3repE0EEENS1_36merge_oddeven_config_static_selectorELNS0_4arch9wavefront6targetE0EEEvSM_
    .private_segment_fixed_size: 0
    .sgpr_count:     31
    .sgpr_spill_count: 0
    .symbol:         _ZN7rocprim17ROCPRIM_400000_NS6detail17trampoline_kernelINS0_14default_configENS1_38merge_sort_block_merge_config_selectorIlNS0_10empty_typeEEEZZNS1_27merge_sort_block_merge_implIS3_PlPS5_mZN2at6native12_GLOBAL__N_124unique_dim_cuda_templateIdEESt5tupleIJNSA_6TensorESF_SF_EERKSF_lbbbEUlllE_EE10hipError_tT0_T1_T2_jT3_P12ihipStream_tbPNSt15iterator_traitsISL_E10value_typeEPNSR_ISM_E10value_typeEPSN_NS1_7vsmem_tEENKUlT_SL_SM_SN_E_clIS8_S8_S9_S9_EESK_S10_SL_SM_SN_EUlS10_E1_NS1_11comp_targetILNS1_3genE0ELNS1_11target_archE4294967295ELNS1_3gpuE0ELNS1_3repE0EEENS1_36merge_oddeven_config_static_selectorELNS0_4arch9wavefront6targetE0EEEvSM_.kd
    .uniform_work_group_size: 1
    .uses_dynamic_stack: false
    .vgpr_count:     20
    .vgpr_spill_count: 0
    .wavefront_size: 32
  - .args:
      - .offset:         0
        .size:           64
        .value_kind:     by_value
    .group_segment_fixed_size: 0
    .kernarg_segment_align: 8
    .kernarg_segment_size: 64
    .language:       OpenCL C
    .language_version:
      - 2
      - 0
    .max_flat_workgroup_size: 256
    .name:           _ZN7rocprim17ROCPRIM_400000_NS6detail17trampoline_kernelINS0_14default_configENS1_38merge_sort_block_merge_config_selectorIlNS0_10empty_typeEEEZZNS1_27merge_sort_block_merge_implIS3_PlPS5_mZN2at6native12_GLOBAL__N_124unique_dim_cuda_templateIdEESt5tupleIJNSA_6TensorESF_SF_EERKSF_lbbbEUlllE_EE10hipError_tT0_T1_T2_jT3_P12ihipStream_tbPNSt15iterator_traitsISL_E10value_typeEPNSR_ISM_E10value_typeEPSN_NS1_7vsmem_tEENKUlT_SL_SM_SN_E_clIS8_S8_S9_S9_EESK_S10_SL_SM_SN_EUlS10_E1_NS1_11comp_targetILNS1_3genE10ELNS1_11target_archE1201ELNS1_3gpuE5ELNS1_3repE0EEENS1_36merge_oddeven_config_static_selectorELNS0_4arch9wavefront6targetE0EEEvSM_
    .private_segment_fixed_size: 0
    .sgpr_count:     0
    .sgpr_spill_count: 0
    .symbol:         _ZN7rocprim17ROCPRIM_400000_NS6detail17trampoline_kernelINS0_14default_configENS1_38merge_sort_block_merge_config_selectorIlNS0_10empty_typeEEEZZNS1_27merge_sort_block_merge_implIS3_PlPS5_mZN2at6native12_GLOBAL__N_124unique_dim_cuda_templateIdEESt5tupleIJNSA_6TensorESF_SF_EERKSF_lbbbEUlllE_EE10hipError_tT0_T1_T2_jT3_P12ihipStream_tbPNSt15iterator_traitsISL_E10value_typeEPNSR_ISM_E10value_typeEPSN_NS1_7vsmem_tEENKUlT_SL_SM_SN_E_clIS8_S8_S9_S9_EESK_S10_SL_SM_SN_EUlS10_E1_NS1_11comp_targetILNS1_3genE10ELNS1_11target_archE1201ELNS1_3gpuE5ELNS1_3repE0EEENS1_36merge_oddeven_config_static_selectorELNS0_4arch9wavefront6targetE0EEEvSM_.kd
    .uniform_work_group_size: 1
    .uses_dynamic_stack: false
    .vgpr_count:     0
    .vgpr_spill_count: 0
    .wavefront_size: 32
  - .args:
      - .offset:         0
        .size:           64
        .value_kind:     by_value
    .group_segment_fixed_size: 0
    .kernarg_segment_align: 8
    .kernarg_segment_size: 64
    .language:       OpenCL C
    .language_version:
      - 2
      - 0
    .max_flat_workgroup_size: 256
    .name:           _ZN7rocprim17ROCPRIM_400000_NS6detail17trampoline_kernelINS0_14default_configENS1_38merge_sort_block_merge_config_selectorIlNS0_10empty_typeEEEZZNS1_27merge_sort_block_merge_implIS3_PlPS5_mZN2at6native12_GLOBAL__N_124unique_dim_cuda_templateIdEESt5tupleIJNSA_6TensorESF_SF_EERKSF_lbbbEUlllE_EE10hipError_tT0_T1_T2_jT3_P12ihipStream_tbPNSt15iterator_traitsISL_E10value_typeEPNSR_ISM_E10value_typeEPSN_NS1_7vsmem_tEENKUlT_SL_SM_SN_E_clIS8_S8_S9_S9_EESK_S10_SL_SM_SN_EUlS10_E1_NS1_11comp_targetILNS1_3genE5ELNS1_11target_archE942ELNS1_3gpuE9ELNS1_3repE0EEENS1_36merge_oddeven_config_static_selectorELNS0_4arch9wavefront6targetE0EEEvSM_
    .private_segment_fixed_size: 0
    .sgpr_count:     0
    .sgpr_spill_count: 0
    .symbol:         _ZN7rocprim17ROCPRIM_400000_NS6detail17trampoline_kernelINS0_14default_configENS1_38merge_sort_block_merge_config_selectorIlNS0_10empty_typeEEEZZNS1_27merge_sort_block_merge_implIS3_PlPS5_mZN2at6native12_GLOBAL__N_124unique_dim_cuda_templateIdEESt5tupleIJNSA_6TensorESF_SF_EERKSF_lbbbEUlllE_EE10hipError_tT0_T1_T2_jT3_P12ihipStream_tbPNSt15iterator_traitsISL_E10value_typeEPNSR_ISM_E10value_typeEPSN_NS1_7vsmem_tEENKUlT_SL_SM_SN_E_clIS8_S8_S9_S9_EESK_S10_SL_SM_SN_EUlS10_E1_NS1_11comp_targetILNS1_3genE5ELNS1_11target_archE942ELNS1_3gpuE9ELNS1_3repE0EEENS1_36merge_oddeven_config_static_selectorELNS0_4arch9wavefront6targetE0EEEvSM_.kd
    .uniform_work_group_size: 1
    .uses_dynamic_stack: false
    .vgpr_count:     0
    .vgpr_spill_count: 0
    .wavefront_size: 32
  - .args:
      - .offset:         0
        .size:           64
        .value_kind:     by_value
    .group_segment_fixed_size: 0
    .kernarg_segment_align: 8
    .kernarg_segment_size: 64
    .language:       OpenCL C
    .language_version:
      - 2
      - 0
    .max_flat_workgroup_size: 256
    .name:           _ZN7rocprim17ROCPRIM_400000_NS6detail17trampoline_kernelINS0_14default_configENS1_38merge_sort_block_merge_config_selectorIlNS0_10empty_typeEEEZZNS1_27merge_sort_block_merge_implIS3_PlPS5_mZN2at6native12_GLOBAL__N_124unique_dim_cuda_templateIdEESt5tupleIJNSA_6TensorESF_SF_EERKSF_lbbbEUlllE_EE10hipError_tT0_T1_T2_jT3_P12ihipStream_tbPNSt15iterator_traitsISL_E10value_typeEPNSR_ISM_E10value_typeEPSN_NS1_7vsmem_tEENKUlT_SL_SM_SN_E_clIS8_S8_S9_S9_EESK_S10_SL_SM_SN_EUlS10_E1_NS1_11comp_targetILNS1_3genE4ELNS1_11target_archE910ELNS1_3gpuE8ELNS1_3repE0EEENS1_36merge_oddeven_config_static_selectorELNS0_4arch9wavefront6targetE0EEEvSM_
    .private_segment_fixed_size: 0
    .sgpr_count:     0
    .sgpr_spill_count: 0
    .symbol:         _ZN7rocprim17ROCPRIM_400000_NS6detail17trampoline_kernelINS0_14default_configENS1_38merge_sort_block_merge_config_selectorIlNS0_10empty_typeEEEZZNS1_27merge_sort_block_merge_implIS3_PlPS5_mZN2at6native12_GLOBAL__N_124unique_dim_cuda_templateIdEESt5tupleIJNSA_6TensorESF_SF_EERKSF_lbbbEUlllE_EE10hipError_tT0_T1_T2_jT3_P12ihipStream_tbPNSt15iterator_traitsISL_E10value_typeEPNSR_ISM_E10value_typeEPSN_NS1_7vsmem_tEENKUlT_SL_SM_SN_E_clIS8_S8_S9_S9_EESK_S10_SL_SM_SN_EUlS10_E1_NS1_11comp_targetILNS1_3genE4ELNS1_11target_archE910ELNS1_3gpuE8ELNS1_3repE0EEENS1_36merge_oddeven_config_static_selectorELNS0_4arch9wavefront6targetE0EEEvSM_.kd
    .uniform_work_group_size: 1
    .uses_dynamic_stack: false
    .vgpr_count:     0
    .vgpr_spill_count: 0
    .wavefront_size: 32
  - .args:
      - .offset:         0
        .size:           64
        .value_kind:     by_value
    .group_segment_fixed_size: 0
    .kernarg_segment_align: 8
    .kernarg_segment_size: 64
    .language:       OpenCL C
    .language_version:
      - 2
      - 0
    .max_flat_workgroup_size: 256
    .name:           _ZN7rocprim17ROCPRIM_400000_NS6detail17trampoline_kernelINS0_14default_configENS1_38merge_sort_block_merge_config_selectorIlNS0_10empty_typeEEEZZNS1_27merge_sort_block_merge_implIS3_PlPS5_mZN2at6native12_GLOBAL__N_124unique_dim_cuda_templateIdEESt5tupleIJNSA_6TensorESF_SF_EERKSF_lbbbEUlllE_EE10hipError_tT0_T1_T2_jT3_P12ihipStream_tbPNSt15iterator_traitsISL_E10value_typeEPNSR_ISM_E10value_typeEPSN_NS1_7vsmem_tEENKUlT_SL_SM_SN_E_clIS8_S8_S9_S9_EESK_S10_SL_SM_SN_EUlS10_E1_NS1_11comp_targetILNS1_3genE3ELNS1_11target_archE908ELNS1_3gpuE7ELNS1_3repE0EEENS1_36merge_oddeven_config_static_selectorELNS0_4arch9wavefront6targetE0EEEvSM_
    .private_segment_fixed_size: 0
    .sgpr_count:     0
    .sgpr_spill_count: 0
    .symbol:         _ZN7rocprim17ROCPRIM_400000_NS6detail17trampoline_kernelINS0_14default_configENS1_38merge_sort_block_merge_config_selectorIlNS0_10empty_typeEEEZZNS1_27merge_sort_block_merge_implIS3_PlPS5_mZN2at6native12_GLOBAL__N_124unique_dim_cuda_templateIdEESt5tupleIJNSA_6TensorESF_SF_EERKSF_lbbbEUlllE_EE10hipError_tT0_T1_T2_jT3_P12ihipStream_tbPNSt15iterator_traitsISL_E10value_typeEPNSR_ISM_E10value_typeEPSN_NS1_7vsmem_tEENKUlT_SL_SM_SN_E_clIS8_S8_S9_S9_EESK_S10_SL_SM_SN_EUlS10_E1_NS1_11comp_targetILNS1_3genE3ELNS1_11target_archE908ELNS1_3gpuE7ELNS1_3repE0EEENS1_36merge_oddeven_config_static_selectorELNS0_4arch9wavefront6targetE0EEEvSM_.kd
    .uniform_work_group_size: 1
    .uses_dynamic_stack: false
    .vgpr_count:     0
    .vgpr_spill_count: 0
    .wavefront_size: 32
  - .args:
      - .offset:         0
        .size:           64
        .value_kind:     by_value
    .group_segment_fixed_size: 0
    .kernarg_segment_align: 8
    .kernarg_segment_size: 64
    .language:       OpenCL C
    .language_version:
      - 2
      - 0
    .max_flat_workgroup_size: 256
    .name:           _ZN7rocprim17ROCPRIM_400000_NS6detail17trampoline_kernelINS0_14default_configENS1_38merge_sort_block_merge_config_selectorIlNS0_10empty_typeEEEZZNS1_27merge_sort_block_merge_implIS3_PlPS5_mZN2at6native12_GLOBAL__N_124unique_dim_cuda_templateIdEESt5tupleIJNSA_6TensorESF_SF_EERKSF_lbbbEUlllE_EE10hipError_tT0_T1_T2_jT3_P12ihipStream_tbPNSt15iterator_traitsISL_E10value_typeEPNSR_ISM_E10value_typeEPSN_NS1_7vsmem_tEENKUlT_SL_SM_SN_E_clIS8_S8_S9_S9_EESK_S10_SL_SM_SN_EUlS10_E1_NS1_11comp_targetILNS1_3genE2ELNS1_11target_archE906ELNS1_3gpuE6ELNS1_3repE0EEENS1_36merge_oddeven_config_static_selectorELNS0_4arch9wavefront6targetE0EEEvSM_
    .private_segment_fixed_size: 0
    .sgpr_count:     0
    .sgpr_spill_count: 0
    .symbol:         _ZN7rocprim17ROCPRIM_400000_NS6detail17trampoline_kernelINS0_14default_configENS1_38merge_sort_block_merge_config_selectorIlNS0_10empty_typeEEEZZNS1_27merge_sort_block_merge_implIS3_PlPS5_mZN2at6native12_GLOBAL__N_124unique_dim_cuda_templateIdEESt5tupleIJNSA_6TensorESF_SF_EERKSF_lbbbEUlllE_EE10hipError_tT0_T1_T2_jT3_P12ihipStream_tbPNSt15iterator_traitsISL_E10value_typeEPNSR_ISM_E10value_typeEPSN_NS1_7vsmem_tEENKUlT_SL_SM_SN_E_clIS8_S8_S9_S9_EESK_S10_SL_SM_SN_EUlS10_E1_NS1_11comp_targetILNS1_3genE2ELNS1_11target_archE906ELNS1_3gpuE6ELNS1_3repE0EEENS1_36merge_oddeven_config_static_selectorELNS0_4arch9wavefront6targetE0EEEvSM_.kd
    .uniform_work_group_size: 1
    .uses_dynamic_stack: false
    .vgpr_count:     0
    .vgpr_spill_count: 0
    .wavefront_size: 32
  - .args:
      - .offset:         0
        .size:           64
        .value_kind:     by_value
    .group_segment_fixed_size: 0
    .kernarg_segment_align: 8
    .kernarg_segment_size: 64
    .language:       OpenCL C
    .language_version:
      - 2
      - 0
    .max_flat_workgroup_size: 256
    .name:           _ZN7rocprim17ROCPRIM_400000_NS6detail17trampoline_kernelINS0_14default_configENS1_38merge_sort_block_merge_config_selectorIlNS0_10empty_typeEEEZZNS1_27merge_sort_block_merge_implIS3_PlPS5_mZN2at6native12_GLOBAL__N_124unique_dim_cuda_templateIdEESt5tupleIJNSA_6TensorESF_SF_EERKSF_lbbbEUlllE_EE10hipError_tT0_T1_T2_jT3_P12ihipStream_tbPNSt15iterator_traitsISL_E10value_typeEPNSR_ISM_E10value_typeEPSN_NS1_7vsmem_tEENKUlT_SL_SM_SN_E_clIS8_S8_S9_S9_EESK_S10_SL_SM_SN_EUlS10_E1_NS1_11comp_targetILNS1_3genE9ELNS1_11target_archE1100ELNS1_3gpuE3ELNS1_3repE0EEENS1_36merge_oddeven_config_static_selectorELNS0_4arch9wavefront6targetE0EEEvSM_
    .private_segment_fixed_size: 0
    .sgpr_count:     0
    .sgpr_spill_count: 0
    .symbol:         _ZN7rocprim17ROCPRIM_400000_NS6detail17trampoline_kernelINS0_14default_configENS1_38merge_sort_block_merge_config_selectorIlNS0_10empty_typeEEEZZNS1_27merge_sort_block_merge_implIS3_PlPS5_mZN2at6native12_GLOBAL__N_124unique_dim_cuda_templateIdEESt5tupleIJNSA_6TensorESF_SF_EERKSF_lbbbEUlllE_EE10hipError_tT0_T1_T2_jT3_P12ihipStream_tbPNSt15iterator_traitsISL_E10value_typeEPNSR_ISM_E10value_typeEPSN_NS1_7vsmem_tEENKUlT_SL_SM_SN_E_clIS8_S8_S9_S9_EESK_S10_SL_SM_SN_EUlS10_E1_NS1_11comp_targetILNS1_3genE9ELNS1_11target_archE1100ELNS1_3gpuE3ELNS1_3repE0EEENS1_36merge_oddeven_config_static_selectorELNS0_4arch9wavefront6targetE0EEEvSM_.kd
    .uniform_work_group_size: 1
    .uses_dynamic_stack: false
    .vgpr_count:     0
    .vgpr_spill_count: 0
    .wavefront_size: 32
  - .args:
      - .offset:         0
        .size:           64
        .value_kind:     by_value
    .group_segment_fixed_size: 0
    .kernarg_segment_align: 8
    .kernarg_segment_size: 64
    .language:       OpenCL C
    .language_version:
      - 2
      - 0
    .max_flat_workgroup_size: 256
    .name:           _ZN7rocprim17ROCPRIM_400000_NS6detail17trampoline_kernelINS0_14default_configENS1_38merge_sort_block_merge_config_selectorIlNS0_10empty_typeEEEZZNS1_27merge_sort_block_merge_implIS3_PlPS5_mZN2at6native12_GLOBAL__N_124unique_dim_cuda_templateIdEESt5tupleIJNSA_6TensorESF_SF_EERKSF_lbbbEUlllE_EE10hipError_tT0_T1_T2_jT3_P12ihipStream_tbPNSt15iterator_traitsISL_E10value_typeEPNSR_ISM_E10value_typeEPSN_NS1_7vsmem_tEENKUlT_SL_SM_SN_E_clIS8_S8_S9_S9_EESK_S10_SL_SM_SN_EUlS10_E1_NS1_11comp_targetILNS1_3genE8ELNS1_11target_archE1030ELNS1_3gpuE2ELNS1_3repE0EEENS1_36merge_oddeven_config_static_selectorELNS0_4arch9wavefront6targetE0EEEvSM_
    .private_segment_fixed_size: 0
    .sgpr_count:     0
    .sgpr_spill_count: 0
    .symbol:         _ZN7rocprim17ROCPRIM_400000_NS6detail17trampoline_kernelINS0_14default_configENS1_38merge_sort_block_merge_config_selectorIlNS0_10empty_typeEEEZZNS1_27merge_sort_block_merge_implIS3_PlPS5_mZN2at6native12_GLOBAL__N_124unique_dim_cuda_templateIdEESt5tupleIJNSA_6TensorESF_SF_EERKSF_lbbbEUlllE_EE10hipError_tT0_T1_T2_jT3_P12ihipStream_tbPNSt15iterator_traitsISL_E10value_typeEPNSR_ISM_E10value_typeEPSN_NS1_7vsmem_tEENKUlT_SL_SM_SN_E_clIS8_S8_S9_S9_EESK_S10_SL_SM_SN_EUlS10_E1_NS1_11comp_targetILNS1_3genE8ELNS1_11target_archE1030ELNS1_3gpuE2ELNS1_3repE0EEENS1_36merge_oddeven_config_static_selectorELNS0_4arch9wavefront6targetE0EEEvSM_.kd
    .uniform_work_group_size: 1
    .uses_dynamic_stack: false
    .vgpr_count:     0
    .vgpr_spill_count: 0
    .wavefront_size: 32
  - .args:
      - .offset:         0
        .size:           64
        .value_kind:     by_value
    .group_segment_fixed_size: 2048
    .kernarg_segment_align: 8
    .kernarg_segment_size: 64
    .language:       OpenCL C
    .language_version:
      - 2
      - 0
    .max_flat_workgroup_size: 128
    .name:           _ZN7rocprim17ROCPRIM_400000_NS6detail17trampoline_kernelINS0_14default_configENS1_35adjacent_difference_config_selectorILb0ElEEZNS1_24adjacent_difference_implIS3_Lb0ELb0EPlS7_ZN2at6native12_GLOBAL__N_124unique_dim_cuda_templateIdEESt5tupleIJNS8_6TensorESD_SD_EERKSD_lbbbEUlllE1_EE10hipError_tPvRmT2_T3_mT4_P12ihipStream_tbEUlT_E_NS1_11comp_targetILNS1_3genE0ELNS1_11target_archE4294967295ELNS1_3gpuE0ELNS1_3repE0EEENS1_30default_config_static_selectorELNS0_4arch9wavefront6targetE0EEEvT1_
    .private_segment_fixed_size: 0
    .sgpr_count:     26
    .sgpr_spill_count: 0
    .symbol:         _ZN7rocprim17ROCPRIM_400000_NS6detail17trampoline_kernelINS0_14default_configENS1_35adjacent_difference_config_selectorILb0ElEEZNS1_24adjacent_difference_implIS3_Lb0ELb0EPlS7_ZN2at6native12_GLOBAL__N_124unique_dim_cuda_templateIdEESt5tupleIJNS8_6TensorESD_SD_EERKSD_lbbbEUlllE1_EE10hipError_tPvRmT2_T3_mT4_P12ihipStream_tbEUlT_E_NS1_11comp_targetILNS1_3genE0ELNS1_11target_archE4294967295ELNS1_3gpuE0ELNS1_3repE0EEENS1_30default_config_static_selectorELNS0_4arch9wavefront6targetE0EEEvT1_.kd
    .uniform_work_group_size: 1
    .uses_dynamic_stack: false
    .vgpr_count:     12
    .vgpr_spill_count: 0
    .wavefront_size: 32
  - .args:
      - .offset:         0
        .size:           64
        .value_kind:     by_value
    .group_segment_fixed_size: 0
    .kernarg_segment_align: 8
    .kernarg_segment_size: 64
    .language:       OpenCL C
    .language_version:
      - 2
      - 0
    .max_flat_workgroup_size: 128
    .name:           _ZN7rocprim17ROCPRIM_400000_NS6detail17trampoline_kernelINS0_14default_configENS1_35adjacent_difference_config_selectorILb0ElEEZNS1_24adjacent_difference_implIS3_Lb0ELb0EPlS7_ZN2at6native12_GLOBAL__N_124unique_dim_cuda_templateIdEESt5tupleIJNS8_6TensorESD_SD_EERKSD_lbbbEUlllE1_EE10hipError_tPvRmT2_T3_mT4_P12ihipStream_tbEUlT_E_NS1_11comp_targetILNS1_3genE10ELNS1_11target_archE1201ELNS1_3gpuE5ELNS1_3repE0EEENS1_30default_config_static_selectorELNS0_4arch9wavefront6targetE0EEEvT1_
    .private_segment_fixed_size: 0
    .sgpr_count:     0
    .sgpr_spill_count: 0
    .symbol:         _ZN7rocprim17ROCPRIM_400000_NS6detail17trampoline_kernelINS0_14default_configENS1_35adjacent_difference_config_selectorILb0ElEEZNS1_24adjacent_difference_implIS3_Lb0ELb0EPlS7_ZN2at6native12_GLOBAL__N_124unique_dim_cuda_templateIdEESt5tupleIJNS8_6TensorESD_SD_EERKSD_lbbbEUlllE1_EE10hipError_tPvRmT2_T3_mT4_P12ihipStream_tbEUlT_E_NS1_11comp_targetILNS1_3genE10ELNS1_11target_archE1201ELNS1_3gpuE5ELNS1_3repE0EEENS1_30default_config_static_selectorELNS0_4arch9wavefront6targetE0EEEvT1_.kd
    .uniform_work_group_size: 1
    .uses_dynamic_stack: false
    .vgpr_count:     0
    .vgpr_spill_count: 0
    .wavefront_size: 32
  - .args:
      - .offset:         0
        .size:           64
        .value_kind:     by_value
    .group_segment_fixed_size: 0
    .kernarg_segment_align: 8
    .kernarg_segment_size: 64
    .language:       OpenCL C
    .language_version:
      - 2
      - 0
    .max_flat_workgroup_size: 64
    .name:           _ZN7rocprim17ROCPRIM_400000_NS6detail17trampoline_kernelINS0_14default_configENS1_35adjacent_difference_config_selectorILb0ElEEZNS1_24adjacent_difference_implIS3_Lb0ELb0EPlS7_ZN2at6native12_GLOBAL__N_124unique_dim_cuda_templateIdEESt5tupleIJNS8_6TensorESD_SD_EERKSD_lbbbEUlllE1_EE10hipError_tPvRmT2_T3_mT4_P12ihipStream_tbEUlT_E_NS1_11comp_targetILNS1_3genE5ELNS1_11target_archE942ELNS1_3gpuE9ELNS1_3repE0EEENS1_30default_config_static_selectorELNS0_4arch9wavefront6targetE0EEEvT1_
    .private_segment_fixed_size: 0
    .sgpr_count:     0
    .sgpr_spill_count: 0
    .symbol:         _ZN7rocprim17ROCPRIM_400000_NS6detail17trampoline_kernelINS0_14default_configENS1_35adjacent_difference_config_selectorILb0ElEEZNS1_24adjacent_difference_implIS3_Lb0ELb0EPlS7_ZN2at6native12_GLOBAL__N_124unique_dim_cuda_templateIdEESt5tupleIJNS8_6TensorESD_SD_EERKSD_lbbbEUlllE1_EE10hipError_tPvRmT2_T3_mT4_P12ihipStream_tbEUlT_E_NS1_11comp_targetILNS1_3genE5ELNS1_11target_archE942ELNS1_3gpuE9ELNS1_3repE0EEENS1_30default_config_static_selectorELNS0_4arch9wavefront6targetE0EEEvT1_.kd
    .uniform_work_group_size: 1
    .uses_dynamic_stack: false
    .vgpr_count:     0
    .vgpr_spill_count: 0
    .wavefront_size: 32
  - .args:
      - .offset:         0
        .size:           64
        .value_kind:     by_value
    .group_segment_fixed_size: 0
    .kernarg_segment_align: 8
    .kernarg_segment_size: 64
    .language:       OpenCL C
    .language_version:
      - 2
      - 0
    .max_flat_workgroup_size: 256
    .name:           _ZN7rocprim17ROCPRIM_400000_NS6detail17trampoline_kernelINS0_14default_configENS1_35adjacent_difference_config_selectorILb0ElEEZNS1_24adjacent_difference_implIS3_Lb0ELb0EPlS7_ZN2at6native12_GLOBAL__N_124unique_dim_cuda_templateIdEESt5tupleIJNS8_6TensorESD_SD_EERKSD_lbbbEUlllE1_EE10hipError_tPvRmT2_T3_mT4_P12ihipStream_tbEUlT_E_NS1_11comp_targetILNS1_3genE4ELNS1_11target_archE910ELNS1_3gpuE8ELNS1_3repE0EEENS1_30default_config_static_selectorELNS0_4arch9wavefront6targetE0EEEvT1_
    .private_segment_fixed_size: 0
    .sgpr_count:     0
    .sgpr_spill_count: 0
    .symbol:         _ZN7rocprim17ROCPRIM_400000_NS6detail17trampoline_kernelINS0_14default_configENS1_35adjacent_difference_config_selectorILb0ElEEZNS1_24adjacent_difference_implIS3_Lb0ELb0EPlS7_ZN2at6native12_GLOBAL__N_124unique_dim_cuda_templateIdEESt5tupleIJNS8_6TensorESD_SD_EERKSD_lbbbEUlllE1_EE10hipError_tPvRmT2_T3_mT4_P12ihipStream_tbEUlT_E_NS1_11comp_targetILNS1_3genE4ELNS1_11target_archE910ELNS1_3gpuE8ELNS1_3repE0EEENS1_30default_config_static_selectorELNS0_4arch9wavefront6targetE0EEEvT1_.kd
    .uniform_work_group_size: 1
    .uses_dynamic_stack: false
    .vgpr_count:     0
    .vgpr_spill_count: 0
    .wavefront_size: 32
  - .args:
      - .offset:         0
        .size:           64
        .value_kind:     by_value
    .group_segment_fixed_size: 0
    .kernarg_segment_align: 8
    .kernarg_segment_size: 64
    .language:       OpenCL C
    .language_version:
      - 2
      - 0
    .max_flat_workgroup_size: 128
    .name:           _ZN7rocprim17ROCPRIM_400000_NS6detail17trampoline_kernelINS0_14default_configENS1_35adjacent_difference_config_selectorILb0ElEEZNS1_24adjacent_difference_implIS3_Lb0ELb0EPlS7_ZN2at6native12_GLOBAL__N_124unique_dim_cuda_templateIdEESt5tupleIJNS8_6TensorESD_SD_EERKSD_lbbbEUlllE1_EE10hipError_tPvRmT2_T3_mT4_P12ihipStream_tbEUlT_E_NS1_11comp_targetILNS1_3genE3ELNS1_11target_archE908ELNS1_3gpuE7ELNS1_3repE0EEENS1_30default_config_static_selectorELNS0_4arch9wavefront6targetE0EEEvT1_
    .private_segment_fixed_size: 0
    .sgpr_count:     0
    .sgpr_spill_count: 0
    .symbol:         _ZN7rocprim17ROCPRIM_400000_NS6detail17trampoline_kernelINS0_14default_configENS1_35adjacent_difference_config_selectorILb0ElEEZNS1_24adjacent_difference_implIS3_Lb0ELb0EPlS7_ZN2at6native12_GLOBAL__N_124unique_dim_cuda_templateIdEESt5tupleIJNS8_6TensorESD_SD_EERKSD_lbbbEUlllE1_EE10hipError_tPvRmT2_T3_mT4_P12ihipStream_tbEUlT_E_NS1_11comp_targetILNS1_3genE3ELNS1_11target_archE908ELNS1_3gpuE7ELNS1_3repE0EEENS1_30default_config_static_selectorELNS0_4arch9wavefront6targetE0EEEvT1_.kd
    .uniform_work_group_size: 1
    .uses_dynamic_stack: false
    .vgpr_count:     0
    .vgpr_spill_count: 0
    .wavefront_size: 32
  - .args:
      - .offset:         0
        .size:           64
        .value_kind:     by_value
    .group_segment_fixed_size: 0
    .kernarg_segment_align: 8
    .kernarg_segment_size: 64
    .language:       OpenCL C
    .language_version:
      - 2
      - 0
    .max_flat_workgroup_size: 128
    .name:           _ZN7rocprim17ROCPRIM_400000_NS6detail17trampoline_kernelINS0_14default_configENS1_35adjacent_difference_config_selectorILb0ElEEZNS1_24adjacent_difference_implIS3_Lb0ELb0EPlS7_ZN2at6native12_GLOBAL__N_124unique_dim_cuda_templateIdEESt5tupleIJNS8_6TensorESD_SD_EERKSD_lbbbEUlllE1_EE10hipError_tPvRmT2_T3_mT4_P12ihipStream_tbEUlT_E_NS1_11comp_targetILNS1_3genE2ELNS1_11target_archE906ELNS1_3gpuE6ELNS1_3repE0EEENS1_30default_config_static_selectorELNS0_4arch9wavefront6targetE0EEEvT1_
    .private_segment_fixed_size: 0
    .sgpr_count:     0
    .sgpr_spill_count: 0
    .symbol:         _ZN7rocprim17ROCPRIM_400000_NS6detail17trampoline_kernelINS0_14default_configENS1_35adjacent_difference_config_selectorILb0ElEEZNS1_24adjacent_difference_implIS3_Lb0ELb0EPlS7_ZN2at6native12_GLOBAL__N_124unique_dim_cuda_templateIdEESt5tupleIJNS8_6TensorESD_SD_EERKSD_lbbbEUlllE1_EE10hipError_tPvRmT2_T3_mT4_P12ihipStream_tbEUlT_E_NS1_11comp_targetILNS1_3genE2ELNS1_11target_archE906ELNS1_3gpuE6ELNS1_3repE0EEENS1_30default_config_static_selectorELNS0_4arch9wavefront6targetE0EEEvT1_.kd
    .uniform_work_group_size: 1
    .uses_dynamic_stack: false
    .vgpr_count:     0
    .vgpr_spill_count: 0
    .wavefront_size: 32
  - .args:
      - .offset:         0
        .size:           64
        .value_kind:     by_value
    .group_segment_fixed_size: 0
    .kernarg_segment_align: 8
    .kernarg_segment_size: 64
    .language:       OpenCL C
    .language_version:
      - 2
      - 0
    .max_flat_workgroup_size: 512
    .name:           _ZN7rocprim17ROCPRIM_400000_NS6detail17trampoline_kernelINS0_14default_configENS1_35adjacent_difference_config_selectorILb0ElEEZNS1_24adjacent_difference_implIS3_Lb0ELb0EPlS7_ZN2at6native12_GLOBAL__N_124unique_dim_cuda_templateIdEESt5tupleIJNS8_6TensorESD_SD_EERKSD_lbbbEUlllE1_EE10hipError_tPvRmT2_T3_mT4_P12ihipStream_tbEUlT_E_NS1_11comp_targetILNS1_3genE9ELNS1_11target_archE1100ELNS1_3gpuE3ELNS1_3repE0EEENS1_30default_config_static_selectorELNS0_4arch9wavefront6targetE0EEEvT1_
    .private_segment_fixed_size: 0
    .sgpr_count:     0
    .sgpr_spill_count: 0
    .symbol:         _ZN7rocprim17ROCPRIM_400000_NS6detail17trampoline_kernelINS0_14default_configENS1_35adjacent_difference_config_selectorILb0ElEEZNS1_24adjacent_difference_implIS3_Lb0ELb0EPlS7_ZN2at6native12_GLOBAL__N_124unique_dim_cuda_templateIdEESt5tupleIJNS8_6TensorESD_SD_EERKSD_lbbbEUlllE1_EE10hipError_tPvRmT2_T3_mT4_P12ihipStream_tbEUlT_E_NS1_11comp_targetILNS1_3genE9ELNS1_11target_archE1100ELNS1_3gpuE3ELNS1_3repE0EEENS1_30default_config_static_selectorELNS0_4arch9wavefront6targetE0EEEvT1_.kd
    .uniform_work_group_size: 1
    .uses_dynamic_stack: false
    .vgpr_count:     0
    .vgpr_spill_count: 0
    .wavefront_size: 32
  - .args:
      - .offset:         0
        .size:           64
        .value_kind:     by_value
    .group_segment_fixed_size: 0
    .kernarg_segment_align: 8
    .kernarg_segment_size: 64
    .language:       OpenCL C
    .language_version:
      - 2
      - 0
    .max_flat_workgroup_size: 1024
    .name:           _ZN7rocprim17ROCPRIM_400000_NS6detail17trampoline_kernelINS0_14default_configENS1_35adjacent_difference_config_selectorILb0ElEEZNS1_24adjacent_difference_implIS3_Lb0ELb0EPlS7_ZN2at6native12_GLOBAL__N_124unique_dim_cuda_templateIdEESt5tupleIJNS8_6TensorESD_SD_EERKSD_lbbbEUlllE1_EE10hipError_tPvRmT2_T3_mT4_P12ihipStream_tbEUlT_E_NS1_11comp_targetILNS1_3genE8ELNS1_11target_archE1030ELNS1_3gpuE2ELNS1_3repE0EEENS1_30default_config_static_selectorELNS0_4arch9wavefront6targetE0EEEvT1_
    .private_segment_fixed_size: 0
    .sgpr_count:     0
    .sgpr_spill_count: 0
    .symbol:         _ZN7rocprim17ROCPRIM_400000_NS6detail17trampoline_kernelINS0_14default_configENS1_35adjacent_difference_config_selectorILb0ElEEZNS1_24adjacent_difference_implIS3_Lb0ELb0EPlS7_ZN2at6native12_GLOBAL__N_124unique_dim_cuda_templateIdEESt5tupleIJNS8_6TensorESD_SD_EERKSD_lbbbEUlllE1_EE10hipError_tPvRmT2_T3_mT4_P12ihipStream_tbEUlT_E_NS1_11comp_targetILNS1_3genE8ELNS1_11target_archE1030ELNS1_3gpuE2ELNS1_3repE0EEENS1_30default_config_static_selectorELNS0_4arch9wavefront6targetE0EEEvT1_.kd
    .uniform_work_group_size: 1
    .uses_dynamic_stack: false
    .vgpr_count:     0
    .vgpr_spill_count: 0
    .wavefront_size: 32
  - .args:
      - .offset:         0
        .size:           56
        .value_kind:     by_value
      - .offset:         56
        .size:           4
        .value_kind:     hidden_block_count_x
      - .offset:         60
        .size:           4
        .value_kind:     hidden_block_count_y
      - .offset:         64
        .size:           4
        .value_kind:     hidden_block_count_z
      - .offset:         68
        .size:           2
        .value_kind:     hidden_group_size_x
      - .offset:         70
        .size:           2
        .value_kind:     hidden_group_size_y
      - .offset:         72
        .size:           2
        .value_kind:     hidden_group_size_z
      - .offset:         74
        .size:           2
        .value_kind:     hidden_remainder_x
      - .offset:         76
        .size:           2
        .value_kind:     hidden_remainder_y
      - .offset:         78
        .size:           2
        .value_kind:     hidden_remainder_z
      - .offset:         96
        .size:           8
        .value_kind:     hidden_global_offset_x
      - .offset:         104
        .size:           8
        .value_kind:     hidden_global_offset_y
      - .offset:         112
        .size:           8
        .value_kind:     hidden_global_offset_z
      - .offset:         120
        .size:           2
        .value_kind:     hidden_grid_dims
    .group_segment_fixed_size: 0
    .kernarg_segment_align: 8
    .kernarg_segment_size: 312
    .language:       OpenCL C
    .language_version:
      - 2
      - 0
    .max_flat_workgroup_size: 128
    .name:           _ZN7rocprim17ROCPRIM_400000_NS6detail17trampoline_kernelINS0_14default_configENS1_25transform_config_selectorIlLb0EEEZNS1_14transform_implILb0ES3_S5_NS0_18transform_iteratorINS0_17counting_iteratorImlEEZNS1_24adjacent_difference_implIS3_Lb1ELb0EPlSB_ZN2at6native12_GLOBAL__N_124unique_dim_cuda_templateIdEESt5tupleIJNSC_6TensorESH_SH_EERKSH_lbbbEUlllE1_EE10hipError_tPvRmT2_T3_mT4_P12ihipStream_tbEUlmE_lEESB_NS0_8identityIvEEEESM_SP_SQ_mSR_ST_bEUlT_E_NS1_11comp_targetILNS1_3genE0ELNS1_11target_archE4294967295ELNS1_3gpuE0ELNS1_3repE0EEENS1_30default_config_static_selectorELNS0_4arch9wavefront6targetE0EEEvT1_
    .private_segment_fixed_size: 0
    .sgpr_count:     16
    .sgpr_spill_count: 0
    .symbol:         _ZN7rocprim17ROCPRIM_400000_NS6detail17trampoline_kernelINS0_14default_configENS1_25transform_config_selectorIlLb0EEEZNS1_14transform_implILb0ES3_S5_NS0_18transform_iteratorINS0_17counting_iteratorImlEEZNS1_24adjacent_difference_implIS3_Lb1ELb0EPlSB_ZN2at6native12_GLOBAL__N_124unique_dim_cuda_templateIdEESt5tupleIJNSC_6TensorESH_SH_EERKSH_lbbbEUlllE1_EE10hipError_tPvRmT2_T3_mT4_P12ihipStream_tbEUlmE_lEESB_NS0_8identityIvEEEESM_SP_SQ_mSR_ST_bEUlT_E_NS1_11comp_targetILNS1_3genE0ELNS1_11target_archE4294967295ELNS1_3gpuE0ELNS1_3repE0EEENS1_30default_config_static_selectorELNS0_4arch9wavefront6targetE0EEEvT1_.kd
    .uniform_work_group_size: 1
    .uses_dynamic_stack: false
    .vgpr_count:     4
    .vgpr_spill_count: 0
    .wavefront_size: 32
  - .args:
      - .offset:         0
        .size:           56
        .value_kind:     by_value
    .group_segment_fixed_size: 0
    .kernarg_segment_align: 8
    .kernarg_segment_size: 56
    .language:       OpenCL C
    .language_version:
      - 2
      - 0
    .max_flat_workgroup_size: 512
    .name:           _ZN7rocprim17ROCPRIM_400000_NS6detail17trampoline_kernelINS0_14default_configENS1_25transform_config_selectorIlLb0EEEZNS1_14transform_implILb0ES3_S5_NS0_18transform_iteratorINS0_17counting_iteratorImlEEZNS1_24adjacent_difference_implIS3_Lb1ELb0EPlSB_ZN2at6native12_GLOBAL__N_124unique_dim_cuda_templateIdEESt5tupleIJNSC_6TensorESH_SH_EERKSH_lbbbEUlllE1_EE10hipError_tPvRmT2_T3_mT4_P12ihipStream_tbEUlmE_lEESB_NS0_8identityIvEEEESM_SP_SQ_mSR_ST_bEUlT_E_NS1_11comp_targetILNS1_3genE5ELNS1_11target_archE942ELNS1_3gpuE9ELNS1_3repE0EEENS1_30default_config_static_selectorELNS0_4arch9wavefront6targetE0EEEvT1_
    .private_segment_fixed_size: 0
    .sgpr_count:     0
    .sgpr_spill_count: 0
    .symbol:         _ZN7rocprim17ROCPRIM_400000_NS6detail17trampoline_kernelINS0_14default_configENS1_25transform_config_selectorIlLb0EEEZNS1_14transform_implILb0ES3_S5_NS0_18transform_iteratorINS0_17counting_iteratorImlEEZNS1_24adjacent_difference_implIS3_Lb1ELb0EPlSB_ZN2at6native12_GLOBAL__N_124unique_dim_cuda_templateIdEESt5tupleIJNSC_6TensorESH_SH_EERKSH_lbbbEUlllE1_EE10hipError_tPvRmT2_T3_mT4_P12ihipStream_tbEUlmE_lEESB_NS0_8identityIvEEEESM_SP_SQ_mSR_ST_bEUlT_E_NS1_11comp_targetILNS1_3genE5ELNS1_11target_archE942ELNS1_3gpuE9ELNS1_3repE0EEENS1_30default_config_static_selectorELNS0_4arch9wavefront6targetE0EEEvT1_.kd
    .uniform_work_group_size: 1
    .uses_dynamic_stack: false
    .vgpr_count:     0
    .vgpr_spill_count: 0
    .wavefront_size: 32
  - .args:
      - .offset:         0
        .size:           56
        .value_kind:     by_value
    .group_segment_fixed_size: 0
    .kernarg_segment_align: 8
    .kernarg_segment_size: 56
    .language:       OpenCL C
    .language_version:
      - 2
      - 0
    .max_flat_workgroup_size: 256
    .name:           _ZN7rocprim17ROCPRIM_400000_NS6detail17trampoline_kernelINS0_14default_configENS1_25transform_config_selectorIlLb0EEEZNS1_14transform_implILb0ES3_S5_NS0_18transform_iteratorINS0_17counting_iteratorImlEEZNS1_24adjacent_difference_implIS3_Lb1ELb0EPlSB_ZN2at6native12_GLOBAL__N_124unique_dim_cuda_templateIdEESt5tupleIJNSC_6TensorESH_SH_EERKSH_lbbbEUlllE1_EE10hipError_tPvRmT2_T3_mT4_P12ihipStream_tbEUlmE_lEESB_NS0_8identityIvEEEESM_SP_SQ_mSR_ST_bEUlT_E_NS1_11comp_targetILNS1_3genE4ELNS1_11target_archE910ELNS1_3gpuE8ELNS1_3repE0EEENS1_30default_config_static_selectorELNS0_4arch9wavefront6targetE0EEEvT1_
    .private_segment_fixed_size: 0
    .sgpr_count:     0
    .sgpr_spill_count: 0
    .symbol:         _ZN7rocprim17ROCPRIM_400000_NS6detail17trampoline_kernelINS0_14default_configENS1_25transform_config_selectorIlLb0EEEZNS1_14transform_implILb0ES3_S5_NS0_18transform_iteratorINS0_17counting_iteratorImlEEZNS1_24adjacent_difference_implIS3_Lb1ELb0EPlSB_ZN2at6native12_GLOBAL__N_124unique_dim_cuda_templateIdEESt5tupleIJNSC_6TensorESH_SH_EERKSH_lbbbEUlllE1_EE10hipError_tPvRmT2_T3_mT4_P12ihipStream_tbEUlmE_lEESB_NS0_8identityIvEEEESM_SP_SQ_mSR_ST_bEUlT_E_NS1_11comp_targetILNS1_3genE4ELNS1_11target_archE910ELNS1_3gpuE8ELNS1_3repE0EEENS1_30default_config_static_selectorELNS0_4arch9wavefront6targetE0EEEvT1_.kd
    .uniform_work_group_size: 1
    .uses_dynamic_stack: false
    .vgpr_count:     0
    .vgpr_spill_count: 0
    .wavefront_size: 32
  - .args:
      - .offset:         0
        .size:           56
        .value_kind:     by_value
    .group_segment_fixed_size: 0
    .kernarg_segment_align: 8
    .kernarg_segment_size: 56
    .language:       OpenCL C
    .language_version:
      - 2
      - 0
    .max_flat_workgroup_size: 128
    .name:           _ZN7rocprim17ROCPRIM_400000_NS6detail17trampoline_kernelINS0_14default_configENS1_25transform_config_selectorIlLb0EEEZNS1_14transform_implILb0ES3_S5_NS0_18transform_iteratorINS0_17counting_iteratorImlEEZNS1_24adjacent_difference_implIS3_Lb1ELb0EPlSB_ZN2at6native12_GLOBAL__N_124unique_dim_cuda_templateIdEESt5tupleIJNSC_6TensorESH_SH_EERKSH_lbbbEUlllE1_EE10hipError_tPvRmT2_T3_mT4_P12ihipStream_tbEUlmE_lEESB_NS0_8identityIvEEEESM_SP_SQ_mSR_ST_bEUlT_E_NS1_11comp_targetILNS1_3genE3ELNS1_11target_archE908ELNS1_3gpuE7ELNS1_3repE0EEENS1_30default_config_static_selectorELNS0_4arch9wavefront6targetE0EEEvT1_
    .private_segment_fixed_size: 0
    .sgpr_count:     0
    .sgpr_spill_count: 0
    .symbol:         _ZN7rocprim17ROCPRIM_400000_NS6detail17trampoline_kernelINS0_14default_configENS1_25transform_config_selectorIlLb0EEEZNS1_14transform_implILb0ES3_S5_NS0_18transform_iteratorINS0_17counting_iteratorImlEEZNS1_24adjacent_difference_implIS3_Lb1ELb0EPlSB_ZN2at6native12_GLOBAL__N_124unique_dim_cuda_templateIdEESt5tupleIJNSC_6TensorESH_SH_EERKSH_lbbbEUlllE1_EE10hipError_tPvRmT2_T3_mT4_P12ihipStream_tbEUlmE_lEESB_NS0_8identityIvEEEESM_SP_SQ_mSR_ST_bEUlT_E_NS1_11comp_targetILNS1_3genE3ELNS1_11target_archE908ELNS1_3gpuE7ELNS1_3repE0EEENS1_30default_config_static_selectorELNS0_4arch9wavefront6targetE0EEEvT1_.kd
    .uniform_work_group_size: 1
    .uses_dynamic_stack: false
    .vgpr_count:     0
    .vgpr_spill_count: 0
    .wavefront_size: 32
  - .args:
      - .offset:         0
        .size:           56
        .value_kind:     by_value
    .group_segment_fixed_size: 0
    .kernarg_segment_align: 8
    .kernarg_segment_size: 56
    .language:       OpenCL C
    .language_version:
      - 2
      - 0
    .max_flat_workgroup_size: 512
    .name:           _ZN7rocprim17ROCPRIM_400000_NS6detail17trampoline_kernelINS0_14default_configENS1_25transform_config_selectorIlLb0EEEZNS1_14transform_implILb0ES3_S5_NS0_18transform_iteratorINS0_17counting_iteratorImlEEZNS1_24adjacent_difference_implIS3_Lb1ELb0EPlSB_ZN2at6native12_GLOBAL__N_124unique_dim_cuda_templateIdEESt5tupleIJNSC_6TensorESH_SH_EERKSH_lbbbEUlllE1_EE10hipError_tPvRmT2_T3_mT4_P12ihipStream_tbEUlmE_lEESB_NS0_8identityIvEEEESM_SP_SQ_mSR_ST_bEUlT_E_NS1_11comp_targetILNS1_3genE2ELNS1_11target_archE906ELNS1_3gpuE6ELNS1_3repE0EEENS1_30default_config_static_selectorELNS0_4arch9wavefront6targetE0EEEvT1_
    .private_segment_fixed_size: 0
    .sgpr_count:     0
    .sgpr_spill_count: 0
    .symbol:         _ZN7rocprim17ROCPRIM_400000_NS6detail17trampoline_kernelINS0_14default_configENS1_25transform_config_selectorIlLb0EEEZNS1_14transform_implILb0ES3_S5_NS0_18transform_iteratorINS0_17counting_iteratorImlEEZNS1_24adjacent_difference_implIS3_Lb1ELb0EPlSB_ZN2at6native12_GLOBAL__N_124unique_dim_cuda_templateIdEESt5tupleIJNSC_6TensorESH_SH_EERKSH_lbbbEUlllE1_EE10hipError_tPvRmT2_T3_mT4_P12ihipStream_tbEUlmE_lEESB_NS0_8identityIvEEEESM_SP_SQ_mSR_ST_bEUlT_E_NS1_11comp_targetILNS1_3genE2ELNS1_11target_archE906ELNS1_3gpuE6ELNS1_3repE0EEENS1_30default_config_static_selectorELNS0_4arch9wavefront6targetE0EEEvT1_.kd
    .uniform_work_group_size: 1
    .uses_dynamic_stack: false
    .vgpr_count:     0
    .vgpr_spill_count: 0
    .wavefront_size: 32
  - .args:
      - .offset:         0
        .size:           56
        .value_kind:     by_value
    .group_segment_fixed_size: 0
    .kernarg_segment_align: 8
    .kernarg_segment_size: 56
    .language:       OpenCL C
    .language_version:
      - 2
      - 0
    .max_flat_workgroup_size: 1024
    .name:           _ZN7rocprim17ROCPRIM_400000_NS6detail17trampoline_kernelINS0_14default_configENS1_25transform_config_selectorIlLb0EEEZNS1_14transform_implILb0ES3_S5_NS0_18transform_iteratorINS0_17counting_iteratorImlEEZNS1_24adjacent_difference_implIS3_Lb1ELb0EPlSB_ZN2at6native12_GLOBAL__N_124unique_dim_cuda_templateIdEESt5tupleIJNSC_6TensorESH_SH_EERKSH_lbbbEUlllE1_EE10hipError_tPvRmT2_T3_mT4_P12ihipStream_tbEUlmE_lEESB_NS0_8identityIvEEEESM_SP_SQ_mSR_ST_bEUlT_E_NS1_11comp_targetILNS1_3genE10ELNS1_11target_archE1201ELNS1_3gpuE5ELNS1_3repE0EEENS1_30default_config_static_selectorELNS0_4arch9wavefront6targetE0EEEvT1_
    .private_segment_fixed_size: 0
    .sgpr_count:     0
    .sgpr_spill_count: 0
    .symbol:         _ZN7rocprim17ROCPRIM_400000_NS6detail17trampoline_kernelINS0_14default_configENS1_25transform_config_selectorIlLb0EEEZNS1_14transform_implILb0ES3_S5_NS0_18transform_iteratorINS0_17counting_iteratorImlEEZNS1_24adjacent_difference_implIS3_Lb1ELb0EPlSB_ZN2at6native12_GLOBAL__N_124unique_dim_cuda_templateIdEESt5tupleIJNSC_6TensorESH_SH_EERKSH_lbbbEUlllE1_EE10hipError_tPvRmT2_T3_mT4_P12ihipStream_tbEUlmE_lEESB_NS0_8identityIvEEEESM_SP_SQ_mSR_ST_bEUlT_E_NS1_11comp_targetILNS1_3genE10ELNS1_11target_archE1201ELNS1_3gpuE5ELNS1_3repE0EEENS1_30default_config_static_selectorELNS0_4arch9wavefront6targetE0EEEvT1_.kd
    .uniform_work_group_size: 1
    .uses_dynamic_stack: false
    .vgpr_count:     0
    .vgpr_spill_count: 0
    .wavefront_size: 32
  - .args:
      - .offset:         0
        .size:           56
        .value_kind:     by_value
    .group_segment_fixed_size: 0
    .kernarg_segment_align: 8
    .kernarg_segment_size: 56
    .language:       OpenCL C
    .language_version:
      - 2
      - 0
    .max_flat_workgroup_size: 512
    .name:           _ZN7rocprim17ROCPRIM_400000_NS6detail17trampoline_kernelINS0_14default_configENS1_25transform_config_selectorIlLb0EEEZNS1_14transform_implILb0ES3_S5_NS0_18transform_iteratorINS0_17counting_iteratorImlEEZNS1_24adjacent_difference_implIS3_Lb1ELb0EPlSB_ZN2at6native12_GLOBAL__N_124unique_dim_cuda_templateIdEESt5tupleIJNSC_6TensorESH_SH_EERKSH_lbbbEUlllE1_EE10hipError_tPvRmT2_T3_mT4_P12ihipStream_tbEUlmE_lEESB_NS0_8identityIvEEEESM_SP_SQ_mSR_ST_bEUlT_E_NS1_11comp_targetILNS1_3genE10ELNS1_11target_archE1200ELNS1_3gpuE4ELNS1_3repE0EEENS1_30default_config_static_selectorELNS0_4arch9wavefront6targetE0EEEvT1_
    .private_segment_fixed_size: 0
    .sgpr_count:     0
    .sgpr_spill_count: 0
    .symbol:         _ZN7rocprim17ROCPRIM_400000_NS6detail17trampoline_kernelINS0_14default_configENS1_25transform_config_selectorIlLb0EEEZNS1_14transform_implILb0ES3_S5_NS0_18transform_iteratorINS0_17counting_iteratorImlEEZNS1_24adjacent_difference_implIS3_Lb1ELb0EPlSB_ZN2at6native12_GLOBAL__N_124unique_dim_cuda_templateIdEESt5tupleIJNSC_6TensorESH_SH_EERKSH_lbbbEUlllE1_EE10hipError_tPvRmT2_T3_mT4_P12ihipStream_tbEUlmE_lEESB_NS0_8identityIvEEEESM_SP_SQ_mSR_ST_bEUlT_E_NS1_11comp_targetILNS1_3genE10ELNS1_11target_archE1200ELNS1_3gpuE4ELNS1_3repE0EEENS1_30default_config_static_selectorELNS0_4arch9wavefront6targetE0EEEvT1_.kd
    .uniform_work_group_size: 1
    .uses_dynamic_stack: false
    .vgpr_count:     0
    .vgpr_spill_count: 0
    .wavefront_size: 32
  - .args:
      - .offset:         0
        .size:           56
        .value_kind:     by_value
    .group_segment_fixed_size: 0
    .kernarg_segment_align: 8
    .kernarg_segment_size: 56
    .language:       OpenCL C
    .language_version:
      - 2
      - 0
    .max_flat_workgroup_size: 512
    .name:           _ZN7rocprim17ROCPRIM_400000_NS6detail17trampoline_kernelINS0_14default_configENS1_25transform_config_selectorIlLb0EEEZNS1_14transform_implILb0ES3_S5_NS0_18transform_iteratorINS0_17counting_iteratorImlEEZNS1_24adjacent_difference_implIS3_Lb1ELb0EPlSB_ZN2at6native12_GLOBAL__N_124unique_dim_cuda_templateIdEESt5tupleIJNSC_6TensorESH_SH_EERKSH_lbbbEUlllE1_EE10hipError_tPvRmT2_T3_mT4_P12ihipStream_tbEUlmE_lEESB_NS0_8identityIvEEEESM_SP_SQ_mSR_ST_bEUlT_E_NS1_11comp_targetILNS1_3genE9ELNS1_11target_archE1100ELNS1_3gpuE3ELNS1_3repE0EEENS1_30default_config_static_selectorELNS0_4arch9wavefront6targetE0EEEvT1_
    .private_segment_fixed_size: 0
    .sgpr_count:     0
    .sgpr_spill_count: 0
    .symbol:         _ZN7rocprim17ROCPRIM_400000_NS6detail17trampoline_kernelINS0_14default_configENS1_25transform_config_selectorIlLb0EEEZNS1_14transform_implILb0ES3_S5_NS0_18transform_iteratorINS0_17counting_iteratorImlEEZNS1_24adjacent_difference_implIS3_Lb1ELb0EPlSB_ZN2at6native12_GLOBAL__N_124unique_dim_cuda_templateIdEESt5tupleIJNSC_6TensorESH_SH_EERKSH_lbbbEUlllE1_EE10hipError_tPvRmT2_T3_mT4_P12ihipStream_tbEUlmE_lEESB_NS0_8identityIvEEEESM_SP_SQ_mSR_ST_bEUlT_E_NS1_11comp_targetILNS1_3genE9ELNS1_11target_archE1100ELNS1_3gpuE3ELNS1_3repE0EEENS1_30default_config_static_selectorELNS0_4arch9wavefront6targetE0EEEvT1_.kd
    .uniform_work_group_size: 1
    .uses_dynamic_stack: false
    .vgpr_count:     0
    .vgpr_spill_count: 0
    .wavefront_size: 32
  - .args:
      - .offset:         0
        .size:           56
        .value_kind:     by_value
    .group_segment_fixed_size: 0
    .kernarg_segment_align: 8
    .kernarg_segment_size: 56
    .language:       OpenCL C
    .language_version:
      - 2
      - 0
    .max_flat_workgroup_size: 512
    .name:           _ZN7rocprim17ROCPRIM_400000_NS6detail17trampoline_kernelINS0_14default_configENS1_25transform_config_selectorIlLb0EEEZNS1_14transform_implILb0ES3_S5_NS0_18transform_iteratorINS0_17counting_iteratorImlEEZNS1_24adjacent_difference_implIS3_Lb1ELb0EPlSB_ZN2at6native12_GLOBAL__N_124unique_dim_cuda_templateIdEESt5tupleIJNSC_6TensorESH_SH_EERKSH_lbbbEUlllE1_EE10hipError_tPvRmT2_T3_mT4_P12ihipStream_tbEUlmE_lEESB_NS0_8identityIvEEEESM_SP_SQ_mSR_ST_bEUlT_E_NS1_11comp_targetILNS1_3genE8ELNS1_11target_archE1030ELNS1_3gpuE2ELNS1_3repE0EEENS1_30default_config_static_selectorELNS0_4arch9wavefront6targetE0EEEvT1_
    .private_segment_fixed_size: 0
    .sgpr_count:     0
    .sgpr_spill_count: 0
    .symbol:         _ZN7rocprim17ROCPRIM_400000_NS6detail17trampoline_kernelINS0_14default_configENS1_25transform_config_selectorIlLb0EEEZNS1_14transform_implILb0ES3_S5_NS0_18transform_iteratorINS0_17counting_iteratorImlEEZNS1_24adjacent_difference_implIS3_Lb1ELb0EPlSB_ZN2at6native12_GLOBAL__N_124unique_dim_cuda_templateIdEESt5tupleIJNSC_6TensorESH_SH_EERKSH_lbbbEUlllE1_EE10hipError_tPvRmT2_T3_mT4_P12ihipStream_tbEUlmE_lEESB_NS0_8identityIvEEEESM_SP_SQ_mSR_ST_bEUlT_E_NS1_11comp_targetILNS1_3genE8ELNS1_11target_archE1030ELNS1_3gpuE2ELNS1_3repE0EEENS1_30default_config_static_selectorELNS0_4arch9wavefront6targetE0EEEvT1_.kd
    .uniform_work_group_size: 1
    .uses_dynamic_stack: false
    .vgpr_count:     0
    .vgpr_spill_count: 0
    .wavefront_size: 32
  - .args:
      - .offset:         0
        .size:           64
        .value_kind:     by_value
    .group_segment_fixed_size: 8448
    .kernarg_segment_align: 8
    .kernarg_segment_size: 64
    .language:       OpenCL C
    .language_version:
      - 2
      - 0
    .max_flat_workgroup_size: 512
    .name:           _ZN7rocprim17ROCPRIM_400000_NS6detail17trampoline_kernelINS0_14default_configENS1_35adjacent_difference_config_selectorILb1ElEEZNS1_24adjacent_difference_implIS3_Lb1ELb0EPlS7_ZN2at6native12_GLOBAL__N_124unique_dim_cuda_templateIdEESt5tupleIJNS8_6TensorESD_SD_EERKSD_lbbbEUlllE1_EE10hipError_tPvRmT2_T3_mT4_P12ihipStream_tbEUlT_E_NS1_11comp_targetILNS1_3genE0ELNS1_11target_archE4294967295ELNS1_3gpuE0ELNS1_3repE0EEENS1_30default_config_static_selectorELNS0_4arch9wavefront6targetE0EEEvT1_
    .private_segment_fixed_size: 0
    .sgpr_count:     31
    .sgpr_spill_count: 0
    .symbol:         _ZN7rocprim17ROCPRIM_400000_NS6detail17trampoline_kernelINS0_14default_configENS1_35adjacent_difference_config_selectorILb1ElEEZNS1_24adjacent_difference_implIS3_Lb1ELb0EPlS7_ZN2at6native12_GLOBAL__N_124unique_dim_cuda_templateIdEESt5tupleIJNS8_6TensorESD_SD_EERKSD_lbbbEUlllE1_EE10hipError_tPvRmT2_T3_mT4_P12ihipStream_tbEUlT_E_NS1_11comp_targetILNS1_3genE0ELNS1_11target_archE4294967295ELNS1_3gpuE0ELNS1_3repE0EEENS1_30default_config_static_selectorELNS0_4arch9wavefront6targetE0EEEvT1_.kd
    .uniform_work_group_size: 1
    .uses_dynamic_stack: false
    .vgpr_count:     16
    .vgpr_spill_count: 0
    .wavefront_size: 32
  - .args:
      - .offset:         0
        .size:           64
        .value_kind:     by_value
    .group_segment_fixed_size: 0
    .kernarg_segment_align: 8
    .kernarg_segment_size: 64
    .language:       OpenCL C
    .language_version:
      - 2
      - 0
    .max_flat_workgroup_size: 32
    .name:           _ZN7rocprim17ROCPRIM_400000_NS6detail17trampoline_kernelINS0_14default_configENS1_35adjacent_difference_config_selectorILb1ElEEZNS1_24adjacent_difference_implIS3_Lb1ELb0EPlS7_ZN2at6native12_GLOBAL__N_124unique_dim_cuda_templateIdEESt5tupleIJNS8_6TensorESD_SD_EERKSD_lbbbEUlllE1_EE10hipError_tPvRmT2_T3_mT4_P12ihipStream_tbEUlT_E_NS1_11comp_targetILNS1_3genE10ELNS1_11target_archE1201ELNS1_3gpuE5ELNS1_3repE0EEENS1_30default_config_static_selectorELNS0_4arch9wavefront6targetE0EEEvT1_
    .private_segment_fixed_size: 0
    .sgpr_count:     0
    .sgpr_spill_count: 0
    .symbol:         _ZN7rocprim17ROCPRIM_400000_NS6detail17trampoline_kernelINS0_14default_configENS1_35adjacent_difference_config_selectorILb1ElEEZNS1_24adjacent_difference_implIS3_Lb1ELb0EPlS7_ZN2at6native12_GLOBAL__N_124unique_dim_cuda_templateIdEESt5tupleIJNS8_6TensorESD_SD_EERKSD_lbbbEUlllE1_EE10hipError_tPvRmT2_T3_mT4_P12ihipStream_tbEUlT_E_NS1_11comp_targetILNS1_3genE10ELNS1_11target_archE1201ELNS1_3gpuE5ELNS1_3repE0EEENS1_30default_config_static_selectorELNS0_4arch9wavefront6targetE0EEEvT1_.kd
    .uniform_work_group_size: 1
    .uses_dynamic_stack: false
    .vgpr_count:     0
    .vgpr_spill_count: 0
    .wavefront_size: 32
  - .args:
      - .offset:         0
        .size:           64
        .value_kind:     by_value
    .group_segment_fixed_size: 0
    .kernarg_segment_align: 8
    .kernarg_segment_size: 64
    .language:       OpenCL C
    .language_version:
      - 2
      - 0
    .max_flat_workgroup_size: 256
    .name:           _ZN7rocprim17ROCPRIM_400000_NS6detail17trampoline_kernelINS0_14default_configENS1_35adjacent_difference_config_selectorILb1ElEEZNS1_24adjacent_difference_implIS3_Lb1ELb0EPlS7_ZN2at6native12_GLOBAL__N_124unique_dim_cuda_templateIdEESt5tupleIJNS8_6TensorESD_SD_EERKSD_lbbbEUlllE1_EE10hipError_tPvRmT2_T3_mT4_P12ihipStream_tbEUlT_E_NS1_11comp_targetILNS1_3genE5ELNS1_11target_archE942ELNS1_3gpuE9ELNS1_3repE0EEENS1_30default_config_static_selectorELNS0_4arch9wavefront6targetE0EEEvT1_
    .private_segment_fixed_size: 0
    .sgpr_count:     0
    .sgpr_spill_count: 0
    .symbol:         _ZN7rocprim17ROCPRIM_400000_NS6detail17trampoline_kernelINS0_14default_configENS1_35adjacent_difference_config_selectorILb1ElEEZNS1_24adjacent_difference_implIS3_Lb1ELb0EPlS7_ZN2at6native12_GLOBAL__N_124unique_dim_cuda_templateIdEESt5tupleIJNS8_6TensorESD_SD_EERKSD_lbbbEUlllE1_EE10hipError_tPvRmT2_T3_mT4_P12ihipStream_tbEUlT_E_NS1_11comp_targetILNS1_3genE5ELNS1_11target_archE942ELNS1_3gpuE9ELNS1_3repE0EEENS1_30default_config_static_selectorELNS0_4arch9wavefront6targetE0EEEvT1_.kd
    .uniform_work_group_size: 1
    .uses_dynamic_stack: false
    .vgpr_count:     0
    .vgpr_spill_count: 0
    .wavefront_size: 32
  - .args:
      - .offset:         0
        .size:           64
        .value_kind:     by_value
    .group_segment_fixed_size: 0
    .kernarg_segment_align: 8
    .kernarg_segment_size: 64
    .language:       OpenCL C
    .language_version:
      - 2
      - 0
    .max_flat_workgroup_size: 512
    .name:           _ZN7rocprim17ROCPRIM_400000_NS6detail17trampoline_kernelINS0_14default_configENS1_35adjacent_difference_config_selectorILb1ElEEZNS1_24adjacent_difference_implIS3_Lb1ELb0EPlS7_ZN2at6native12_GLOBAL__N_124unique_dim_cuda_templateIdEESt5tupleIJNS8_6TensorESD_SD_EERKSD_lbbbEUlllE1_EE10hipError_tPvRmT2_T3_mT4_P12ihipStream_tbEUlT_E_NS1_11comp_targetILNS1_3genE4ELNS1_11target_archE910ELNS1_3gpuE8ELNS1_3repE0EEENS1_30default_config_static_selectorELNS0_4arch9wavefront6targetE0EEEvT1_
    .private_segment_fixed_size: 0
    .sgpr_count:     0
    .sgpr_spill_count: 0
    .symbol:         _ZN7rocprim17ROCPRIM_400000_NS6detail17trampoline_kernelINS0_14default_configENS1_35adjacent_difference_config_selectorILb1ElEEZNS1_24adjacent_difference_implIS3_Lb1ELb0EPlS7_ZN2at6native12_GLOBAL__N_124unique_dim_cuda_templateIdEESt5tupleIJNS8_6TensorESD_SD_EERKSD_lbbbEUlllE1_EE10hipError_tPvRmT2_T3_mT4_P12ihipStream_tbEUlT_E_NS1_11comp_targetILNS1_3genE4ELNS1_11target_archE910ELNS1_3gpuE8ELNS1_3repE0EEENS1_30default_config_static_selectorELNS0_4arch9wavefront6targetE0EEEvT1_.kd
    .uniform_work_group_size: 1
    .uses_dynamic_stack: false
    .vgpr_count:     0
    .vgpr_spill_count: 0
    .wavefront_size: 32
  - .args:
      - .offset:         0
        .size:           64
        .value_kind:     by_value
    .group_segment_fixed_size: 0
    .kernarg_segment_align: 8
    .kernarg_segment_size: 64
    .language:       OpenCL C
    .language_version:
      - 2
      - 0
    .max_flat_workgroup_size: 512
    .name:           _ZN7rocprim17ROCPRIM_400000_NS6detail17trampoline_kernelINS0_14default_configENS1_35adjacent_difference_config_selectorILb1ElEEZNS1_24adjacent_difference_implIS3_Lb1ELb0EPlS7_ZN2at6native12_GLOBAL__N_124unique_dim_cuda_templateIdEESt5tupleIJNS8_6TensorESD_SD_EERKSD_lbbbEUlllE1_EE10hipError_tPvRmT2_T3_mT4_P12ihipStream_tbEUlT_E_NS1_11comp_targetILNS1_3genE3ELNS1_11target_archE908ELNS1_3gpuE7ELNS1_3repE0EEENS1_30default_config_static_selectorELNS0_4arch9wavefront6targetE0EEEvT1_
    .private_segment_fixed_size: 0
    .sgpr_count:     0
    .sgpr_spill_count: 0
    .symbol:         _ZN7rocprim17ROCPRIM_400000_NS6detail17trampoline_kernelINS0_14default_configENS1_35adjacent_difference_config_selectorILb1ElEEZNS1_24adjacent_difference_implIS3_Lb1ELb0EPlS7_ZN2at6native12_GLOBAL__N_124unique_dim_cuda_templateIdEESt5tupleIJNS8_6TensorESD_SD_EERKSD_lbbbEUlllE1_EE10hipError_tPvRmT2_T3_mT4_P12ihipStream_tbEUlT_E_NS1_11comp_targetILNS1_3genE3ELNS1_11target_archE908ELNS1_3gpuE7ELNS1_3repE0EEENS1_30default_config_static_selectorELNS0_4arch9wavefront6targetE0EEEvT1_.kd
    .uniform_work_group_size: 1
    .uses_dynamic_stack: false
    .vgpr_count:     0
    .vgpr_spill_count: 0
    .wavefront_size: 32
  - .args:
      - .offset:         0
        .size:           64
        .value_kind:     by_value
    .group_segment_fixed_size: 0
    .kernarg_segment_align: 8
    .kernarg_segment_size: 64
    .language:       OpenCL C
    .language_version:
      - 2
      - 0
    .max_flat_workgroup_size: 128
    .name:           _ZN7rocprim17ROCPRIM_400000_NS6detail17trampoline_kernelINS0_14default_configENS1_35adjacent_difference_config_selectorILb1ElEEZNS1_24adjacent_difference_implIS3_Lb1ELb0EPlS7_ZN2at6native12_GLOBAL__N_124unique_dim_cuda_templateIdEESt5tupleIJNS8_6TensorESD_SD_EERKSD_lbbbEUlllE1_EE10hipError_tPvRmT2_T3_mT4_P12ihipStream_tbEUlT_E_NS1_11comp_targetILNS1_3genE2ELNS1_11target_archE906ELNS1_3gpuE6ELNS1_3repE0EEENS1_30default_config_static_selectorELNS0_4arch9wavefront6targetE0EEEvT1_
    .private_segment_fixed_size: 0
    .sgpr_count:     0
    .sgpr_spill_count: 0
    .symbol:         _ZN7rocprim17ROCPRIM_400000_NS6detail17trampoline_kernelINS0_14default_configENS1_35adjacent_difference_config_selectorILb1ElEEZNS1_24adjacent_difference_implIS3_Lb1ELb0EPlS7_ZN2at6native12_GLOBAL__N_124unique_dim_cuda_templateIdEESt5tupleIJNS8_6TensorESD_SD_EERKSD_lbbbEUlllE1_EE10hipError_tPvRmT2_T3_mT4_P12ihipStream_tbEUlT_E_NS1_11comp_targetILNS1_3genE2ELNS1_11target_archE906ELNS1_3gpuE6ELNS1_3repE0EEENS1_30default_config_static_selectorELNS0_4arch9wavefront6targetE0EEEvT1_.kd
    .uniform_work_group_size: 1
    .uses_dynamic_stack: false
    .vgpr_count:     0
    .vgpr_spill_count: 0
    .wavefront_size: 32
  - .args:
      - .offset:         0
        .size:           64
        .value_kind:     by_value
    .group_segment_fixed_size: 0
    .kernarg_segment_align: 8
    .kernarg_segment_size: 64
    .language:       OpenCL C
    .language_version:
      - 2
      - 0
    .max_flat_workgroup_size: 128
    .name:           _ZN7rocprim17ROCPRIM_400000_NS6detail17trampoline_kernelINS0_14default_configENS1_35adjacent_difference_config_selectorILb1ElEEZNS1_24adjacent_difference_implIS3_Lb1ELb0EPlS7_ZN2at6native12_GLOBAL__N_124unique_dim_cuda_templateIdEESt5tupleIJNS8_6TensorESD_SD_EERKSD_lbbbEUlllE1_EE10hipError_tPvRmT2_T3_mT4_P12ihipStream_tbEUlT_E_NS1_11comp_targetILNS1_3genE9ELNS1_11target_archE1100ELNS1_3gpuE3ELNS1_3repE0EEENS1_30default_config_static_selectorELNS0_4arch9wavefront6targetE0EEEvT1_
    .private_segment_fixed_size: 0
    .sgpr_count:     0
    .sgpr_spill_count: 0
    .symbol:         _ZN7rocprim17ROCPRIM_400000_NS6detail17trampoline_kernelINS0_14default_configENS1_35adjacent_difference_config_selectorILb1ElEEZNS1_24adjacent_difference_implIS3_Lb1ELb0EPlS7_ZN2at6native12_GLOBAL__N_124unique_dim_cuda_templateIdEESt5tupleIJNS8_6TensorESD_SD_EERKSD_lbbbEUlllE1_EE10hipError_tPvRmT2_T3_mT4_P12ihipStream_tbEUlT_E_NS1_11comp_targetILNS1_3genE9ELNS1_11target_archE1100ELNS1_3gpuE3ELNS1_3repE0EEENS1_30default_config_static_selectorELNS0_4arch9wavefront6targetE0EEEvT1_.kd
    .uniform_work_group_size: 1
    .uses_dynamic_stack: false
    .vgpr_count:     0
    .vgpr_spill_count: 0
    .wavefront_size: 32
  - .args:
      - .offset:         0
        .size:           64
        .value_kind:     by_value
    .group_segment_fixed_size: 0
    .kernarg_segment_align: 8
    .kernarg_segment_size: 64
    .language:       OpenCL C
    .language_version:
      - 2
      - 0
    .max_flat_workgroup_size: 32
    .name:           _ZN7rocprim17ROCPRIM_400000_NS6detail17trampoline_kernelINS0_14default_configENS1_35adjacent_difference_config_selectorILb1ElEEZNS1_24adjacent_difference_implIS3_Lb1ELb0EPlS7_ZN2at6native12_GLOBAL__N_124unique_dim_cuda_templateIdEESt5tupleIJNS8_6TensorESD_SD_EERKSD_lbbbEUlllE1_EE10hipError_tPvRmT2_T3_mT4_P12ihipStream_tbEUlT_E_NS1_11comp_targetILNS1_3genE8ELNS1_11target_archE1030ELNS1_3gpuE2ELNS1_3repE0EEENS1_30default_config_static_selectorELNS0_4arch9wavefront6targetE0EEEvT1_
    .private_segment_fixed_size: 0
    .sgpr_count:     0
    .sgpr_spill_count: 0
    .symbol:         _ZN7rocprim17ROCPRIM_400000_NS6detail17trampoline_kernelINS0_14default_configENS1_35adjacent_difference_config_selectorILb1ElEEZNS1_24adjacent_difference_implIS3_Lb1ELb0EPlS7_ZN2at6native12_GLOBAL__N_124unique_dim_cuda_templateIdEESt5tupleIJNS8_6TensorESD_SD_EERKSD_lbbbEUlllE1_EE10hipError_tPvRmT2_T3_mT4_P12ihipStream_tbEUlT_E_NS1_11comp_targetILNS1_3genE8ELNS1_11target_archE1030ELNS1_3gpuE2ELNS1_3repE0EEENS1_30default_config_static_selectorELNS0_4arch9wavefront6targetE0EEEvT1_.kd
    .uniform_work_group_size: 1
    .uses_dynamic_stack: false
    .vgpr_count:     0
    .vgpr_spill_count: 0
    .wavefront_size: 32
  - .args:
      - .offset:         0
        .size:           120
        .value_kind:     by_value
    .group_segment_fixed_size: 28680
    .kernarg_segment_align: 8
    .kernarg_segment_size: 120
    .language:       OpenCL C
    .language_version:
      - 2
      - 0
    .max_flat_workgroup_size: 512
    .name:           _ZN7rocprim17ROCPRIM_400000_NS6detail17trampoline_kernelINS0_14default_configENS1_25partition_config_selectorILNS1_17partition_subalgoE8ElNS0_10empty_typeEbEEZZNS1_14partition_implILS5_8ELb0ES3_jPlPS6_PKS6_NS0_5tupleIJS9_S6_EEENSD_IJSA_SA_EEENS0_18inequality_wrapperIZN2at6native12_GLOBAL__N_124unique_dim_cuda_templateIdEESt5tupleIJNSH_6TensorESM_SM_EERKSM_lbbbEUlllE0_EEPmJS6_EEE10hipError_tPvRmT3_T4_T5_T6_T7_T9_mT8_P12ihipStream_tbDpT10_ENKUlT_T0_E_clISt17integral_constantIbLb0EES1C_EEDaS17_S18_EUlS17_E_NS1_11comp_targetILNS1_3genE0ELNS1_11target_archE4294967295ELNS1_3gpuE0ELNS1_3repE0EEENS1_30default_config_static_selectorELNS0_4arch9wavefront6targetE0EEEvT1_
    .private_segment_fixed_size: 0
    .sgpr_count:     38
    .sgpr_spill_count: 0
    .symbol:         _ZN7rocprim17ROCPRIM_400000_NS6detail17trampoline_kernelINS0_14default_configENS1_25partition_config_selectorILNS1_17partition_subalgoE8ElNS0_10empty_typeEbEEZZNS1_14partition_implILS5_8ELb0ES3_jPlPS6_PKS6_NS0_5tupleIJS9_S6_EEENSD_IJSA_SA_EEENS0_18inequality_wrapperIZN2at6native12_GLOBAL__N_124unique_dim_cuda_templateIdEESt5tupleIJNSH_6TensorESM_SM_EERKSM_lbbbEUlllE0_EEPmJS6_EEE10hipError_tPvRmT3_T4_T5_T6_T7_T9_mT8_P12ihipStream_tbDpT10_ENKUlT_T0_E_clISt17integral_constantIbLb0EES1C_EEDaS17_S18_EUlS17_E_NS1_11comp_targetILNS1_3genE0ELNS1_11target_archE4294967295ELNS1_3gpuE0ELNS1_3repE0EEENS1_30default_config_static_selectorELNS0_4arch9wavefront6targetE0EEEvT1_.kd
    .uniform_work_group_size: 1
    .uses_dynamic_stack: false
    .vgpr_count:     54
    .vgpr_spill_count: 0
    .wavefront_size: 32
  - .args:
      - .offset:         0
        .size:           120
        .value_kind:     by_value
    .group_segment_fixed_size: 0
    .kernarg_segment_align: 8
    .kernarg_segment_size: 120
    .language:       OpenCL C
    .language_version:
      - 2
      - 0
    .max_flat_workgroup_size: 512
    .name:           _ZN7rocprim17ROCPRIM_400000_NS6detail17trampoline_kernelINS0_14default_configENS1_25partition_config_selectorILNS1_17partition_subalgoE8ElNS0_10empty_typeEbEEZZNS1_14partition_implILS5_8ELb0ES3_jPlPS6_PKS6_NS0_5tupleIJS9_S6_EEENSD_IJSA_SA_EEENS0_18inequality_wrapperIZN2at6native12_GLOBAL__N_124unique_dim_cuda_templateIdEESt5tupleIJNSH_6TensorESM_SM_EERKSM_lbbbEUlllE0_EEPmJS6_EEE10hipError_tPvRmT3_T4_T5_T6_T7_T9_mT8_P12ihipStream_tbDpT10_ENKUlT_T0_E_clISt17integral_constantIbLb0EES1C_EEDaS17_S18_EUlS17_E_NS1_11comp_targetILNS1_3genE5ELNS1_11target_archE942ELNS1_3gpuE9ELNS1_3repE0EEENS1_30default_config_static_selectorELNS0_4arch9wavefront6targetE0EEEvT1_
    .private_segment_fixed_size: 0
    .sgpr_count:     0
    .sgpr_spill_count: 0
    .symbol:         _ZN7rocprim17ROCPRIM_400000_NS6detail17trampoline_kernelINS0_14default_configENS1_25partition_config_selectorILNS1_17partition_subalgoE8ElNS0_10empty_typeEbEEZZNS1_14partition_implILS5_8ELb0ES3_jPlPS6_PKS6_NS0_5tupleIJS9_S6_EEENSD_IJSA_SA_EEENS0_18inequality_wrapperIZN2at6native12_GLOBAL__N_124unique_dim_cuda_templateIdEESt5tupleIJNSH_6TensorESM_SM_EERKSM_lbbbEUlllE0_EEPmJS6_EEE10hipError_tPvRmT3_T4_T5_T6_T7_T9_mT8_P12ihipStream_tbDpT10_ENKUlT_T0_E_clISt17integral_constantIbLb0EES1C_EEDaS17_S18_EUlS17_E_NS1_11comp_targetILNS1_3genE5ELNS1_11target_archE942ELNS1_3gpuE9ELNS1_3repE0EEENS1_30default_config_static_selectorELNS0_4arch9wavefront6targetE0EEEvT1_.kd
    .uniform_work_group_size: 1
    .uses_dynamic_stack: false
    .vgpr_count:     0
    .vgpr_spill_count: 0
    .wavefront_size: 32
  - .args:
      - .offset:         0
        .size:           120
        .value_kind:     by_value
    .group_segment_fixed_size: 0
    .kernarg_segment_align: 8
    .kernarg_segment_size: 120
    .language:       OpenCL C
    .language_version:
      - 2
      - 0
    .max_flat_workgroup_size: 256
    .name:           _ZN7rocprim17ROCPRIM_400000_NS6detail17trampoline_kernelINS0_14default_configENS1_25partition_config_selectorILNS1_17partition_subalgoE8ElNS0_10empty_typeEbEEZZNS1_14partition_implILS5_8ELb0ES3_jPlPS6_PKS6_NS0_5tupleIJS9_S6_EEENSD_IJSA_SA_EEENS0_18inequality_wrapperIZN2at6native12_GLOBAL__N_124unique_dim_cuda_templateIdEESt5tupleIJNSH_6TensorESM_SM_EERKSM_lbbbEUlllE0_EEPmJS6_EEE10hipError_tPvRmT3_T4_T5_T6_T7_T9_mT8_P12ihipStream_tbDpT10_ENKUlT_T0_E_clISt17integral_constantIbLb0EES1C_EEDaS17_S18_EUlS17_E_NS1_11comp_targetILNS1_3genE4ELNS1_11target_archE910ELNS1_3gpuE8ELNS1_3repE0EEENS1_30default_config_static_selectorELNS0_4arch9wavefront6targetE0EEEvT1_
    .private_segment_fixed_size: 0
    .sgpr_count:     0
    .sgpr_spill_count: 0
    .symbol:         _ZN7rocprim17ROCPRIM_400000_NS6detail17trampoline_kernelINS0_14default_configENS1_25partition_config_selectorILNS1_17partition_subalgoE8ElNS0_10empty_typeEbEEZZNS1_14partition_implILS5_8ELb0ES3_jPlPS6_PKS6_NS0_5tupleIJS9_S6_EEENSD_IJSA_SA_EEENS0_18inequality_wrapperIZN2at6native12_GLOBAL__N_124unique_dim_cuda_templateIdEESt5tupleIJNSH_6TensorESM_SM_EERKSM_lbbbEUlllE0_EEPmJS6_EEE10hipError_tPvRmT3_T4_T5_T6_T7_T9_mT8_P12ihipStream_tbDpT10_ENKUlT_T0_E_clISt17integral_constantIbLb0EES1C_EEDaS17_S18_EUlS17_E_NS1_11comp_targetILNS1_3genE4ELNS1_11target_archE910ELNS1_3gpuE8ELNS1_3repE0EEENS1_30default_config_static_selectorELNS0_4arch9wavefront6targetE0EEEvT1_.kd
    .uniform_work_group_size: 1
    .uses_dynamic_stack: false
    .vgpr_count:     0
    .vgpr_spill_count: 0
    .wavefront_size: 32
  - .args:
      - .offset:         0
        .size:           120
        .value_kind:     by_value
    .group_segment_fixed_size: 0
    .kernarg_segment_align: 8
    .kernarg_segment_size: 120
    .language:       OpenCL C
    .language_version:
      - 2
      - 0
    .max_flat_workgroup_size: 512
    .name:           _ZN7rocprim17ROCPRIM_400000_NS6detail17trampoline_kernelINS0_14default_configENS1_25partition_config_selectorILNS1_17partition_subalgoE8ElNS0_10empty_typeEbEEZZNS1_14partition_implILS5_8ELb0ES3_jPlPS6_PKS6_NS0_5tupleIJS9_S6_EEENSD_IJSA_SA_EEENS0_18inequality_wrapperIZN2at6native12_GLOBAL__N_124unique_dim_cuda_templateIdEESt5tupleIJNSH_6TensorESM_SM_EERKSM_lbbbEUlllE0_EEPmJS6_EEE10hipError_tPvRmT3_T4_T5_T6_T7_T9_mT8_P12ihipStream_tbDpT10_ENKUlT_T0_E_clISt17integral_constantIbLb0EES1C_EEDaS17_S18_EUlS17_E_NS1_11comp_targetILNS1_3genE3ELNS1_11target_archE908ELNS1_3gpuE7ELNS1_3repE0EEENS1_30default_config_static_selectorELNS0_4arch9wavefront6targetE0EEEvT1_
    .private_segment_fixed_size: 0
    .sgpr_count:     0
    .sgpr_spill_count: 0
    .symbol:         _ZN7rocprim17ROCPRIM_400000_NS6detail17trampoline_kernelINS0_14default_configENS1_25partition_config_selectorILNS1_17partition_subalgoE8ElNS0_10empty_typeEbEEZZNS1_14partition_implILS5_8ELb0ES3_jPlPS6_PKS6_NS0_5tupleIJS9_S6_EEENSD_IJSA_SA_EEENS0_18inequality_wrapperIZN2at6native12_GLOBAL__N_124unique_dim_cuda_templateIdEESt5tupleIJNSH_6TensorESM_SM_EERKSM_lbbbEUlllE0_EEPmJS6_EEE10hipError_tPvRmT3_T4_T5_T6_T7_T9_mT8_P12ihipStream_tbDpT10_ENKUlT_T0_E_clISt17integral_constantIbLb0EES1C_EEDaS17_S18_EUlS17_E_NS1_11comp_targetILNS1_3genE3ELNS1_11target_archE908ELNS1_3gpuE7ELNS1_3repE0EEENS1_30default_config_static_selectorELNS0_4arch9wavefront6targetE0EEEvT1_.kd
    .uniform_work_group_size: 1
    .uses_dynamic_stack: false
    .vgpr_count:     0
    .vgpr_spill_count: 0
    .wavefront_size: 32
  - .args:
      - .offset:         0
        .size:           120
        .value_kind:     by_value
    .group_segment_fixed_size: 0
    .kernarg_segment_align: 8
    .kernarg_segment_size: 120
    .language:       OpenCL C
    .language_version:
      - 2
      - 0
    .max_flat_workgroup_size: 256
    .name:           _ZN7rocprim17ROCPRIM_400000_NS6detail17trampoline_kernelINS0_14default_configENS1_25partition_config_selectorILNS1_17partition_subalgoE8ElNS0_10empty_typeEbEEZZNS1_14partition_implILS5_8ELb0ES3_jPlPS6_PKS6_NS0_5tupleIJS9_S6_EEENSD_IJSA_SA_EEENS0_18inequality_wrapperIZN2at6native12_GLOBAL__N_124unique_dim_cuda_templateIdEESt5tupleIJNSH_6TensorESM_SM_EERKSM_lbbbEUlllE0_EEPmJS6_EEE10hipError_tPvRmT3_T4_T5_T6_T7_T9_mT8_P12ihipStream_tbDpT10_ENKUlT_T0_E_clISt17integral_constantIbLb0EES1C_EEDaS17_S18_EUlS17_E_NS1_11comp_targetILNS1_3genE2ELNS1_11target_archE906ELNS1_3gpuE6ELNS1_3repE0EEENS1_30default_config_static_selectorELNS0_4arch9wavefront6targetE0EEEvT1_
    .private_segment_fixed_size: 0
    .sgpr_count:     0
    .sgpr_spill_count: 0
    .symbol:         _ZN7rocprim17ROCPRIM_400000_NS6detail17trampoline_kernelINS0_14default_configENS1_25partition_config_selectorILNS1_17partition_subalgoE8ElNS0_10empty_typeEbEEZZNS1_14partition_implILS5_8ELb0ES3_jPlPS6_PKS6_NS0_5tupleIJS9_S6_EEENSD_IJSA_SA_EEENS0_18inequality_wrapperIZN2at6native12_GLOBAL__N_124unique_dim_cuda_templateIdEESt5tupleIJNSH_6TensorESM_SM_EERKSM_lbbbEUlllE0_EEPmJS6_EEE10hipError_tPvRmT3_T4_T5_T6_T7_T9_mT8_P12ihipStream_tbDpT10_ENKUlT_T0_E_clISt17integral_constantIbLb0EES1C_EEDaS17_S18_EUlS17_E_NS1_11comp_targetILNS1_3genE2ELNS1_11target_archE906ELNS1_3gpuE6ELNS1_3repE0EEENS1_30default_config_static_selectorELNS0_4arch9wavefront6targetE0EEEvT1_.kd
    .uniform_work_group_size: 1
    .uses_dynamic_stack: false
    .vgpr_count:     0
    .vgpr_spill_count: 0
    .wavefront_size: 32
  - .args:
      - .offset:         0
        .size:           120
        .value_kind:     by_value
    .group_segment_fixed_size: 0
    .kernarg_segment_align: 8
    .kernarg_segment_size: 120
    .language:       OpenCL C
    .language_version:
      - 2
      - 0
    .max_flat_workgroup_size: 384
    .name:           _ZN7rocprim17ROCPRIM_400000_NS6detail17trampoline_kernelINS0_14default_configENS1_25partition_config_selectorILNS1_17partition_subalgoE8ElNS0_10empty_typeEbEEZZNS1_14partition_implILS5_8ELb0ES3_jPlPS6_PKS6_NS0_5tupleIJS9_S6_EEENSD_IJSA_SA_EEENS0_18inequality_wrapperIZN2at6native12_GLOBAL__N_124unique_dim_cuda_templateIdEESt5tupleIJNSH_6TensorESM_SM_EERKSM_lbbbEUlllE0_EEPmJS6_EEE10hipError_tPvRmT3_T4_T5_T6_T7_T9_mT8_P12ihipStream_tbDpT10_ENKUlT_T0_E_clISt17integral_constantIbLb0EES1C_EEDaS17_S18_EUlS17_E_NS1_11comp_targetILNS1_3genE10ELNS1_11target_archE1200ELNS1_3gpuE4ELNS1_3repE0EEENS1_30default_config_static_selectorELNS0_4arch9wavefront6targetE0EEEvT1_
    .private_segment_fixed_size: 0
    .sgpr_count:     0
    .sgpr_spill_count: 0
    .symbol:         _ZN7rocprim17ROCPRIM_400000_NS6detail17trampoline_kernelINS0_14default_configENS1_25partition_config_selectorILNS1_17partition_subalgoE8ElNS0_10empty_typeEbEEZZNS1_14partition_implILS5_8ELb0ES3_jPlPS6_PKS6_NS0_5tupleIJS9_S6_EEENSD_IJSA_SA_EEENS0_18inequality_wrapperIZN2at6native12_GLOBAL__N_124unique_dim_cuda_templateIdEESt5tupleIJNSH_6TensorESM_SM_EERKSM_lbbbEUlllE0_EEPmJS6_EEE10hipError_tPvRmT3_T4_T5_T6_T7_T9_mT8_P12ihipStream_tbDpT10_ENKUlT_T0_E_clISt17integral_constantIbLb0EES1C_EEDaS17_S18_EUlS17_E_NS1_11comp_targetILNS1_3genE10ELNS1_11target_archE1200ELNS1_3gpuE4ELNS1_3repE0EEENS1_30default_config_static_selectorELNS0_4arch9wavefront6targetE0EEEvT1_.kd
    .uniform_work_group_size: 1
    .uses_dynamic_stack: false
    .vgpr_count:     0
    .vgpr_spill_count: 0
    .wavefront_size: 32
  - .args:
      - .offset:         0
        .size:           120
        .value_kind:     by_value
    .group_segment_fixed_size: 0
    .kernarg_segment_align: 8
    .kernarg_segment_size: 120
    .language:       OpenCL C
    .language_version:
      - 2
      - 0
    .max_flat_workgroup_size: 512
    .name:           _ZN7rocprim17ROCPRIM_400000_NS6detail17trampoline_kernelINS0_14default_configENS1_25partition_config_selectorILNS1_17partition_subalgoE8ElNS0_10empty_typeEbEEZZNS1_14partition_implILS5_8ELb0ES3_jPlPS6_PKS6_NS0_5tupleIJS9_S6_EEENSD_IJSA_SA_EEENS0_18inequality_wrapperIZN2at6native12_GLOBAL__N_124unique_dim_cuda_templateIdEESt5tupleIJNSH_6TensorESM_SM_EERKSM_lbbbEUlllE0_EEPmJS6_EEE10hipError_tPvRmT3_T4_T5_T6_T7_T9_mT8_P12ihipStream_tbDpT10_ENKUlT_T0_E_clISt17integral_constantIbLb0EES1C_EEDaS17_S18_EUlS17_E_NS1_11comp_targetILNS1_3genE9ELNS1_11target_archE1100ELNS1_3gpuE3ELNS1_3repE0EEENS1_30default_config_static_selectorELNS0_4arch9wavefront6targetE0EEEvT1_
    .private_segment_fixed_size: 0
    .sgpr_count:     0
    .sgpr_spill_count: 0
    .symbol:         _ZN7rocprim17ROCPRIM_400000_NS6detail17trampoline_kernelINS0_14default_configENS1_25partition_config_selectorILNS1_17partition_subalgoE8ElNS0_10empty_typeEbEEZZNS1_14partition_implILS5_8ELb0ES3_jPlPS6_PKS6_NS0_5tupleIJS9_S6_EEENSD_IJSA_SA_EEENS0_18inequality_wrapperIZN2at6native12_GLOBAL__N_124unique_dim_cuda_templateIdEESt5tupleIJNSH_6TensorESM_SM_EERKSM_lbbbEUlllE0_EEPmJS6_EEE10hipError_tPvRmT3_T4_T5_T6_T7_T9_mT8_P12ihipStream_tbDpT10_ENKUlT_T0_E_clISt17integral_constantIbLb0EES1C_EEDaS17_S18_EUlS17_E_NS1_11comp_targetILNS1_3genE9ELNS1_11target_archE1100ELNS1_3gpuE3ELNS1_3repE0EEENS1_30default_config_static_selectorELNS0_4arch9wavefront6targetE0EEEvT1_.kd
    .uniform_work_group_size: 1
    .uses_dynamic_stack: false
    .vgpr_count:     0
    .vgpr_spill_count: 0
    .wavefront_size: 32
  - .args:
      - .offset:         0
        .size:           120
        .value_kind:     by_value
    .group_segment_fixed_size: 0
    .kernarg_segment_align: 8
    .kernarg_segment_size: 120
    .language:       OpenCL C
    .language_version:
      - 2
      - 0
    .max_flat_workgroup_size: 512
    .name:           _ZN7rocprim17ROCPRIM_400000_NS6detail17trampoline_kernelINS0_14default_configENS1_25partition_config_selectorILNS1_17partition_subalgoE8ElNS0_10empty_typeEbEEZZNS1_14partition_implILS5_8ELb0ES3_jPlPS6_PKS6_NS0_5tupleIJS9_S6_EEENSD_IJSA_SA_EEENS0_18inequality_wrapperIZN2at6native12_GLOBAL__N_124unique_dim_cuda_templateIdEESt5tupleIJNSH_6TensorESM_SM_EERKSM_lbbbEUlllE0_EEPmJS6_EEE10hipError_tPvRmT3_T4_T5_T6_T7_T9_mT8_P12ihipStream_tbDpT10_ENKUlT_T0_E_clISt17integral_constantIbLb0EES1C_EEDaS17_S18_EUlS17_E_NS1_11comp_targetILNS1_3genE8ELNS1_11target_archE1030ELNS1_3gpuE2ELNS1_3repE0EEENS1_30default_config_static_selectorELNS0_4arch9wavefront6targetE0EEEvT1_
    .private_segment_fixed_size: 0
    .sgpr_count:     0
    .sgpr_spill_count: 0
    .symbol:         _ZN7rocprim17ROCPRIM_400000_NS6detail17trampoline_kernelINS0_14default_configENS1_25partition_config_selectorILNS1_17partition_subalgoE8ElNS0_10empty_typeEbEEZZNS1_14partition_implILS5_8ELb0ES3_jPlPS6_PKS6_NS0_5tupleIJS9_S6_EEENSD_IJSA_SA_EEENS0_18inequality_wrapperIZN2at6native12_GLOBAL__N_124unique_dim_cuda_templateIdEESt5tupleIJNSH_6TensorESM_SM_EERKSM_lbbbEUlllE0_EEPmJS6_EEE10hipError_tPvRmT3_T4_T5_T6_T7_T9_mT8_P12ihipStream_tbDpT10_ENKUlT_T0_E_clISt17integral_constantIbLb0EES1C_EEDaS17_S18_EUlS17_E_NS1_11comp_targetILNS1_3genE8ELNS1_11target_archE1030ELNS1_3gpuE2ELNS1_3repE0EEENS1_30default_config_static_selectorELNS0_4arch9wavefront6targetE0EEEvT1_.kd
    .uniform_work_group_size: 1
    .uses_dynamic_stack: false
    .vgpr_count:     0
    .vgpr_spill_count: 0
    .wavefront_size: 32
  - .args:
      - .offset:         0
        .size:           136
        .value_kind:     by_value
    .group_segment_fixed_size: 0
    .kernarg_segment_align: 8
    .kernarg_segment_size: 136
    .language:       OpenCL C
    .language_version:
      - 2
      - 0
    .max_flat_workgroup_size: 512
    .name:           _ZN7rocprim17ROCPRIM_400000_NS6detail17trampoline_kernelINS0_14default_configENS1_25partition_config_selectorILNS1_17partition_subalgoE8ElNS0_10empty_typeEbEEZZNS1_14partition_implILS5_8ELb0ES3_jPlPS6_PKS6_NS0_5tupleIJS9_S6_EEENSD_IJSA_SA_EEENS0_18inequality_wrapperIZN2at6native12_GLOBAL__N_124unique_dim_cuda_templateIdEESt5tupleIJNSH_6TensorESM_SM_EERKSM_lbbbEUlllE0_EEPmJS6_EEE10hipError_tPvRmT3_T4_T5_T6_T7_T9_mT8_P12ihipStream_tbDpT10_ENKUlT_T0_E_clISt17integral_constantIbLb1EES1C_EEDaS17_S18_EUlS17_E_NS1_11comp_targetILNS1_3genE0ELNS1_11target_archE4294967295ELNS1_3gpuE0ELNS1_3repE0EEENS1_30default_config_static_selectorELNS0_4arch9wavefront6targetE0EEEvT1_
    .private_segment_fixed_size: 0
    .sgpr_count:     0
    .sgpr_spill_count: 0
    .symbol:         _ZN7rocprim17ROCPRIM_400000_NS6detail17trampoline_kernelINS0_14default_configENS1_25partition_config_selectorILNS1_17partition_subalgoE8ElNS0_10empty_typeEbEEZZNS1_14partition_implILS5_8ELb0ES3_jPlPS6_PKS6_NS0_5tupleIJS9_S6_EEENSD_IJSA_SA_EEENS0_18inequality_wrapperIZN2at6native12_GLOBAL__N_124unique_dim_cuda_templateIdEESt5tupleIJNSH_6TensorESM_SM_EERKSM_lbbbEUlllE0_EEPmJS6_EEE10hipError_tPvRmT3_T4_T5_T6_T7_T9_mT8_P12ihipStream_tbDpT10_ENKUlT_T0_E_clISt17integral_constantIbLb1EES1C_EEDaS17_S18_EUlS17_E_NS1_11comp_targetILNS1_3genE0ELNS1_11target_archE4294967295ELNS1_3gpuE0ELNS1_3repE0EEENS1_30default_config_static_selectorELNS0_4arch9wavefront6targetE0EEEvT1_.kd
    .uniform_work_group_size: 1
    .uses_dynamic_stack: false
    .vgpr_count:     0
    .vgpr_spill_count: 0
    .wavefront_size: 32
  - .args:
      - .offset:         0
        .size:           136
        .value_kind:     by_value
    .group_segment_fixed_size: 0
    .kernarg_segment_align: 8
    .kernarg_segment_size: 136
    .language:       OpenCL C
    .language_version:
      - 2
      - 0
    .max_flat_workgroup_size: 512
    .name:           _ZN7rocprim17ROCPRIM_400000_NS6detail17trampoline_kernelINS0_14default_configENS1_25partition_config_selectorILNS1_17partition_subalgoE8ElNS0_10empty_typeEbEEZZNS1_14partition_implILS5_8ELb0ES3_jPlPS6_PKS6_NS0_5tupleIJS9_S6_EEENSD_IJSA_SA_EEENS0_18inequality_wrapperIZN2at6native12_GLOBAL__N_124unique_dim_cuda_templateIdEESt5tupleIJNSH_6TensorESM_SM_EERKSM_lbbbEUlllE0_EEPmJS6_EEE10hipError_tPvRmT3_T4_T5_T6_T7_T9_mT8_P12ihipStream_tbDpT10_ENKUlT_T0_E_clISt17integral_constantIbLb1EES1C_EEDaS17_S18_EUlS17_E_NS1_11comp_targetILNS1_3genE5ELNS1_11target_archE942ELNS1_3gpuE9ELNS1_3repE0EEENS1_30default_config_static_selectorELNS0_4arch9wavefront6targetE0EEEvT1_
    .private_segment_fixed_size: 0
    .sgpr_count:     0
    .sgpr_spill_count: 0
    .symbol:         _ZN7rocprim17ROCPRIM_400000_NS6detail17trampoline_kernelINS0_14default_configENS1_25partition_config_selectorILNS1_17partition_subalgoE8ElNS0_10empty_typeEbEEZZNS1_14partition_implILS5_8ELb0ES3_jPlPS6_PKS6_NS0_5tupleIJS9_S6_EEENSD_IJSA_SA_EEENS0_18inequality_wrapperIZN2at6native12_GLOBAL__N_124unique_dim_cuda_templateIdEESt5tupleIJNSH_6TensorESM_SM_EERKSM_lbbbEUlllE0_EEPmJS6_EEE10hipError_tPvRmT3_T4_T5_T6_T7_T9_mT8_P12ihipStream_tbDpT10_ENKUlT_T0_E_clISt17integral_constantIbLb1EES1C_EEDaS17_S18_EUlS17_E_NS1_11comp_targetILNS1_3genE5ELNS1_11target_archE942ELNS1_3gpuE9ELNS1_3repE0EEENS1_30default_config_static_selectorELNS0_4arch9wavefront6targetE0EEEvT1_.kd
    .uniform_work_group_size: 1
    .uses_dynamic_stack: false
    .vgpr_count:     0
    .vgpr_spill_count: 0
    .wavefront_size: 32
  - .args:
      - .offset:         0
        .size:           136
        .value_kind:     by_value
    .group_segment_fixed_size: 0
    .kernarg_segment_align: 8
    .kernarg_segment_size: 136
    .language:       OpenCL C
    .language_version:
      - 2
      - 0
    .max_flat_workgroup_size: 256
    .name:           _ZN7rocprim17ROCPRIM_400000_NS6detail17trampoline_kernelINS0_14default_configENS1_25partition_config_selectorILNS1_17partition_subalgoE8ElNS0_10empty_typeEbEEZZNS1_14partition_implILS5_8ELb0ES3_jPlPS6_PKS6_NS0_5tupleIJS9_S6_EEENSD_IJSA_SA_EEENS0_18inequality_wrapperIZN2at6native12_GLOBAL__N_124unique_dim_cuda_templateIdEESt5tupleIJNSH_6TensorESM_SM_EERKSM_lbbbEUlllE0_EEPmJS6_EEE10hipError_tPvRmT3_T4_T5_T6_T7_T9_mT8_P12ihipStream_tbDpT10_ENKUlT_T0_E_clISt17integral_constantIbLb1EES1C_EEDaS17_S18_EUlS17_E_NS1_11comp_targetILNS1_3genE4ELNS1_11target_archE910ELNS1_3gpuE8ELNS1_3repE0EEENS1_30default_config_static_selectorELNS0_4arch9wavefront6targetE0EEEvT1_
    .private_segment_fixed_size: 0
    .sgpr_count:     0
    .sgpr_spill_count: 0
    .symbol:         _ZN7rocprim17ROCPRIM_400000_NS6detail17trampoline_kernelINS0_14default_configENS1_25partition_config_selectorILNS1_17partition_subalgoE8ElNS0_10empty_typeEbEEZZNS1_14partition_implILS5_8ELb0ES3_jPlPS6_PKS6_NS0_5tupleIJS9_S6_EEENSD_IJSA_SA_EEENS0_18inequality_wrapperIZN2at6native12_GLOBAL__N_124unique_dim_cuda_templateIdEESt5tupleIJNSH_6TensorESM_SM_EERKSM_lbbbEUlllE0_EEPmJS6_EEE10hipError_tPvRmT3_T4_T5_T6_T7_T9_mT8_P12ihipStream_tbDpT10_ENKUlT_T0_E_clISt17integral_constantIbLb1EES1C_EEDaS17_S18_EUlS17_E_NS1_11comp_targetILNS1_3genE4ELNS1_11target_archE910ELNS1_3gpuE8ELNS1_3repE0EEENS1_30default_config_static_selectorELNS0_4arch9wavefront6targetE0EEEvT1_.kd
    .uniform_work_group_size: 1
    .uses_dynamic_stack: false
    .vgpr_count:     0
    .vgpr_spill_count: 0
    .wavefront_size: 32
  - .args:
      - .offset:         0
        .size:           136
        .value_kind:     by_value
    .group_segment_fixed_size: 0
    .kernarg_segment_align: 8
    .kernarg_segment_size: 136
    .language:       OpenCL C
    .language_version:
      - 2
      - 0
    .max_flat_workgroup_size: 512
    .name:           _ZN7rocprim17ROCPRIM_400000_NS6detail17trampoline_kernelINS0_14default_configENS1_25partition_config_selectorILNS1_17partition_subalgoE8ElNS0_10empty_typeEbEEZZNS1_14partition_implILS5_8ELb0ES3_jPlPS6_PKS6_NS0_5tupleIJS9_S6_EEENSD_IJSA_SA_EEENS0_18inequality_wrapperIZN2at6native12_GLOBAL__N_124unique_dim_cuda_templateIdEESt5tupleIJNSH_6TensorESM_SM_EERKSM_lbbbEUlllE0_EEPmJS6_EEE10hipError_tPvRmT3_T4_T5_T6_T7_T9_mT8_P12ihipStream_tbDpT10_ENKUlT_T0_E_clISt17integral_constantIbLb1EES1C_EEDaS17_S18_EUlS17_E_NS1_11comp_targetILNS1_3genE3ELNS1_11target_archE908ELNS1_3gpuE7ELNS1_3repE0EEENS1_30default_config_static_selectorELNS0_4arch9wavefront6targetE0EEEvT1_
    .private_segment_fixed_size: 0
    .sgpr_count:     0
    .sgpr_spill_count: 0
    .symbol:         _ZN7rocprim17ROCPRIM_400000_NS6detail17trampoline_kernelINS0_14default_configENS1_25partition_config_selectorILNS1_17partition_subalgoE8ElNS0_10empty_typeEbEEZZNS1_14partition_implILS5_8ELb0ES3_jPlPS6_PKS6_NS0_5tupleIJS9_S6_EEENSD_IJSA_SA_EEENS0_18inequality_wrapperIZN2at6native12_GLOBAL__N_124unique_dim_cuda_templateIdEESt5tupleIJNSH_6TensorESM_SM_EERKSM_lbbbEUlllE0_EEPmJS6_EEE10hipError_tPvRmT3_T4_T5_T6_T7_T9_mT8_P12ihipStream_tbDpT10_ENKUlT_T0_E_clISt17integral_constantIbLb1EES1C_EEDaS17_S18_EUlS17_E_NS1_11comp_targetILNS1_3genE3ELNS1_11target_archE908ELNS1_3gpuE7ELNS1_3repE0EEENS1_30default_config_static_selectorELNS0_4arch9wavefront6targetE0EEEvT1_.kd
    .uniform_work_group_size: 1
    .uses_dynamic_stack: false
    .vgpr_count:     0
    .vgpr_spill_count: 0
    .wavefront_size: 32
  - .args:
      - .offset:         0
        .size:           136
        .value_kind:     by_value
    .group_segment_fixed_size: 0
    .kernarg_segment_align: 8
    .kernarg_segment_size: 136
    .language:       OpenCL C
    .language_version:
      - 2
      - 0
    .max_flat_workgroup_size: 256
    .name:           _ZN7rocprim17ROCPRIM_400000_NS6detail17trampoline_kernelINS0_14default_configENS1_25partition_config_selectorILNS1_17partition_subalgoE8ElNS0_10empty_typeEbEEZZNS1_14partition_implILS5_8ELb0ES3_jPlPS6_PKS6_NS0_5tupleIJS9_S6_EEENSD_IJSA_SA_EEENS0_18inequality_wrapperIZN2at6native12_GLOBAL__N_124unique_dim_cuda_templateIdEESt5tupleIJNSH_6TensorESM_SM_EERKSM_lbbbEUlllE0_EEPmJS6_EEE10hipError_tPvRmT3_T4_T5_T6_T7_T9_mT8_P12ihipStream_tbDpT10_ENKUlT_T0_E_clISt17integral_constantIbLb1EES1C_EEDaS17_S18_EUlS17_E_NS1_11comp_targetILNS1_3genE2ELNS1_11target_archE906ELNS1_3gpuE6ELNS1_3repE0EEENS1_30default_config_static_selectorELNS0_4arch9wavefront6targetE0EEEvT1_
    .private_segment_fixed_size: 0
    .sgpr_count:     0
    .sgpr_spill_count: 0
    .symbol:         _ZN7rocprim17ROCPRIM_400000_NS6detail17trampoline_kernelINS0_14default_configENS1_25partition_config_selectorILNS1_17partition_subalgoE8ElNS0_10empty_typeEbEEZZNS1_14partition_implILS5_8ELb0ES3_jPlPS6_PKS6_NS0_5tupleIJS9_S6_EEENSD_IJSA_SA_EEENS0_18inequality_wrapperIZN2at6native12_GLOBAL__N_124unique_dim_cuda_templateIdEESt5tupleIJNSH_6TensorESM_SM_EERKSM_lbbbEUlllE0_EEPmJS6_EEE10hipError_tPvRmT3_T4_T5_T6_T7_T9_mT8_P12ihipStream_tbDpT10_ENKUlT_T0_E_clISt17integral_constantIbLb1EES1C_EEDaS17_S18_EUlS17_E_NS1_11comp_targetILNS1_3genE2ELNS1_11target_archE906ELNS1_3gpuE6ELNS1_3repE0EEENS1_30default_config_static_selectorELNS0_4arch9wavefront6targetE0EEEvT1_.kd
    .uniform_work_group_size: 1
    .uses_dynamic_stack: false
    .vgpr_count:     0
    .vgpr_spill_count: 0
    .wavefront_size: 32
  - .args:
      - .offset:         0
        .size:           136
        .value_kind:     by_value
    .group_segment_fixed_size: 0
    .kernarg_segment_align: 8
    .kernarg_segment_size: 136
    .language:       OpenCL C
    .language_version:
      - 2
      - 0
    .max_flat_workgroup_size: 384
    .name:           _ZN7rocprim17ROCPRIM_400000_NS6detail17trampoline_kernelINS0_14default_configENS1_25partition_config_selectorILNS1_17partition_subalgoE8ElNS0_10empty_typeEbEEZZNS1_14partition_implILS5_8ELb0ES3_jPlPS6_PKS6_NS0_5tupleIJS9_S6_EEENSD_IJSA_SA_EEENS0_18inequality_wrapperIZN2at6native12_GLOBAL__N_124unique_dim_cuda_templateIdEESt5tupleIJNSH_6TensorESM_SM_EERKSM_lbbbEUlllE0_EEPmJS6_EEE10hipError_tPvRmT3_T4_T5_T6_T7_T9_mT8_P12ihipStream_tbDpT10_ENKUlT_T0_E_clISt17integral_constantIbLb1EES1C_EEDaS17_S18_EUlS17_E_NS1_11comp_targetILNS1_3genE10ELNS1_11target_archE1200ELNS1_3gpuE4ELNS1_3repE0EEENS1_30default_config_static_selectorELNS0_4arch9wavefront6targetE0EEEvT1_
    .private_segment_fixed_size: 0
    .sgpr_count:     0
    .sgpr_spill_count: 0
    .symbol:         _ZN7rocprim17ROCPRIM_400000_NS6detail17trampoline_kernelINS0_14default_configENS1_25partition_config_selectorILNS1_17partition_subalgoE8ElNS0_10empty_typeEbEEZZNS1_14partition_implILS5_8ELb0ES3_jPlPS6_PKS6_NS0_5tupleIJS9_S6_EEENSD_IJSA_SA_EEENS0_18inequality_wrapperIZN2at6native12_GLOBAL__N_124unique_dim_cuda_templateIdEESt5tupleIJNSH_6TensorESM_SM_EERKSM_lbbbEUlllE0_EEPmJS6_EEE10hipError_tPvRmT3_T4_T5_T6_T7_T9_mT8_P12ihipStream_tbDpT10_ENKUlT_T0_E_clISt17integral_constantIbLb1EES1C_EEDaS17_S18_EUlS17_E_NS1_11comp_targetILNS1_3genE10ELNS1_11target_archE1200ELNS1_3gpuE4ELNS1_3repE0EEENS1_30default_config_static_selectorELNS0_4arch9wavefront6targetE0EEEvT1_.kd
    .uniform_work_group_size: 1
    .uses_dynamic_stack: false
    .vgpr_count:     0
    .vgpr_spill_count: 0
    .wavefront_size: 32
  - .args:
      - .offset:         0
        .size:           136
        .value_kind:     by_value
    .group_segment_fixed_size: 0
    .kernarg_segment_align: 8
    .kernarg_segment_size: 136
    .language:       OpenCL C
    .language_version:
      - 2
      - 0
    .max_flat_workgroup_size: 512
    .name:           _ZN7rocprim17ROCPRIM_400000_NS6detail17trampoline_kernelINS0_14default_configENS1_25partition_config_selectorILNS1_17partition_subalgoE8ElNS0_10empty_typeEbEEZZNS1_14partition_implILS5_8ELb0ES3_jPlPS6_PKS6_NS0_5tupleIJS9_S6_EEENSD_IJSA_SA_EEENS0_18inequality_wrapperIZN2at6native12_GLOBAL__N_124unique_dim_cuda_templateIdEESt5tupleIJNSH_6TensorESM_SM_EERKSM_lbbbEUlllE0_EEPmJS6_EEE10hipError_tPvRmT3_T4_T5_T6_T7_T9_mT8_P12ihipStream_tbDpT10_ENKUlT_T0_E_clISt17integral_constantIbLb1EES1C_EEDaS17_S18_EUlS17_E_NS1_11comp_targetILNS1_3genE9ELNS1_11target_archE1100ELNS1_3gpuE3ELNS1_3repE0EEENS1_30default_config_static_selectorELNS0_4arch9wavefront6targetE0EEEvT1_
    .private_segment_fixed_size: 0
    .sgpr_count:     0
    .sgpr_spill_count: 0
    .symbol:         _ZN7rocprim17ROCPRIM_400000_NS6detail17trampoline_kernelINS0_14default_configENS1_25partition_config_selectorILNS1_17partition_subalgoE8ElNS0_10empty_typeEbEEZZNS1_14partition_implILS5_8ELb0ES3_jPlPS6_PKS6_NS0_5tupleIJS9_S6_EEENSD_IJSA_SA_EEENS0_18inequality_wrapperIZN2at6native12_GLOBAL__N_124unique_dim_cuda_templateIdEESt5tupleIJNSH_6TensorESM_SM_EERKSM_lbbbEUlllE0_EEPmJS6_EEE10hipError_tPvRmT3_T4_T5_T6_T7_T9_mT8_P12ihipStream_tbDpT10_ENKUlT_T0_E_clISt17integral_constantIbLb1EES1C_EEDaS17_S18_EUlS17_E_NS1_11comp_targetILNS1_3genE9ELNS1_11target_archE1100ELNS1_3gpuE3ELNS1_3repE0EEENS1_30default_config_static_selectorELNS0_4arch9wavefront6targetE0EEEvT1_.kd
    .uniform_work_group_size: 1
    .uses_dynamic_stack: false
    .vgpr_count:     0
    .vgpr_spill_count: 0
    .wavefront_size: 32
  - .args:
      - .offset:         0
        .size:           136
        .value_kind:     by_value
    .group_segment_fixed_size: 0
    .kernarg_segment_align: 8
    .kernarg_segment_size: 136
    .language:       OpenCL C
    .language_version:
      - 2
      - 0
    .max_flat_workgroup_size: 512
    .name:           _ZN7rocprim17ROCPRIM_400000_NS6detail17trampoline_kernelINS0_14default_configENS1_25partition_config_selectorILNS1_17partition_subalgoE8ElNS0_10empty_typeEbEEZZNS1_14partition_implILS5_8ELb0ES3_jPlPS6_PKS6_NS0_5tupleIJS9_S6_EEENSD_IJSA_SA_EEENS0_18inequality_wrapperIZN2at6native12_GLOBAL__N_124unique_dim_cuda_templateIdEESt5tupleIJNSH_6TensorESM_SM_EERKSM_lbbbEUlllE0_EEPmJS6_EEE10hipError_tPvRmT3_T4_T5_T6_T7_T9_mT8_P12ihipStream_tbDpT10_ENKUlT_T0_E_clISt17integral_constantIbLb1EES1C_EEDaS17_S18_EUlS17_E_NS1_11comp_targetILNS1_3genE8ELNS1_11target_archE1030ELNS1_3gpuE2ELNS1_3repE0EEENS1_30default_config_static_selectorELNS0_4arch9wavefront6targetE0EEEvT1_
    .private_segment_fixed_size: 0
    .sgpr_count:     0
    .sgpr_spill_count: 0
    .symbol:         _ZN7rocprim17ROCPRIM_400000_NS6detail17trampoline_kernelINS0_14default_configENS1_25partition_config_selectorILNS1_17partition_subalgoE8ElNS0_10empty_typeEbEEZZNS1_14partition_implILS5_8ELb0ES3_jPlPS6_PKS6_NS0_5tupleIJS9_S6_EEENSD_IJSA_SA_EEENS0_18inequality_wrapperIZN2at6native12_GLOBAL__N_124unique_dim_cuda_templateIdEESt5tupleIJNSH_6TensorESM_SM_EERKSM_lbbbEUlllE0_EEPmJS6_EEE10hipError_tPvRmT3_T4_T5_T6_T7_T9_mT8_P12ihipStream_tbDpT10_ENKUlT_T0_E_clISt17integral_constantIbLb1EES1C_EEDaS17_S18_EUlS17_E_NS1_11comp_targetILNS1_3genE8ELNS1_11target_archE1030ELNS1_3gpuE2ELNS1_3repE0EEENS1_30default_config_static_selectorELNS0_4arch9wavefront6targetE0EEEvT1_.kd
    .uniform_work_group_size: 1
    .uses_dynamic_stack: false
    .vgpr_count:     0
    .vgpr_spill_count: 0
    .wavefront_size: 32
  - .args:
      - .offset:         0
        .size:           120
        .value_kind:     by_value
    .group_segment_fixed_size: 0
    .kernarg_segment_align: 8
    .kernarg_segment_size: 120
    .language:       OpenCL C
    .language_version:
      - 2
      - 0
    .max_flat_workgroup_size: 512
    .name:           _ZN7rocprim17ROCPRIM_400000_NS6detail17trampoline_kernelINS0_14default_configENS1_25partition_config_selectorILNS1_17partition_subalgoE8ElNS0_10empty_typeEbEEZZNS1_14partition_implILS5_8ELb0ES3_jPlPS6_PKS6_NS0_5tupleIJS9_S6_EEENSD_IJSA_SA_EEENS0_18inequality_wrapperIZN2at6native12_GLOBAL__N_124unique_dim_cuda_templateIdEESt5tupleIJNSH_6TensorESM_SM_EERKSM_lbbbEUlllE0_EEPmJS6_EEE10hipError_tPvRmT3_T4_T5_T6_T7_T9_mT8_P12ihipStream_tbDpT10_ENKUlT_T0_E_clISt17integral_constantIbLb1EES1B_IbLb0EEEEDaS17_S18_EUlS17_E_NS1_11comp_targetILNS1_3genE0ELNS1_11target_archE4294967295ELNS1_3gpuE0ELNS1_3repE0EEENS1_30default_config_static_selectorELNS0_4arch9wavefront6targetE0EEEvT1_
    .private_segment_fixed_size: 0
    .sgpr_count:     0
    .sgpr_spill_count: 0
    .symbol:         _ZN7rocprim17ROCPRIM_400000_NS6detail17trampoline_kernelINS0_14default_configENS1_25partition_config_selectorILNS1_17partition_subalgoE8ElNS0_10empty_typeEbEEZZNS1_14partition_implILS5_8ELb0ES3_jPlPS6_PKS6_NS0_5tupleIJS9_S6_EEENSD_IJSA_SA_EEENS0_18inequality_wrapperIZN2at6native12_GLOBAL__N_124unique_dim_cuda_templateIdEESt5tupleIJNSH_6TensorESM_SM_EERKSM_lbbbEUlllE0_EEPmJS6_EEE10hipError_tPvRmT3_T4_T5_T6_T7_T9_mT8_P12ihipStream_tbDpT10_ENKUlT_T0_E_clISt17integral_constantIbLb1EES1B_IbLb0EEEEDaS17_S18_EUlS17_E_NS1_11comp_targetILNS1_3genE0ELNS1_11target_archE4294967295ELNS1_3gpuE0ELNS1_3repE0EEENS1_30default_config_static_selectorELNS0_4arch9wavefront6targetE0EEEvT1_.kd
    .uniform_work_group_size: 1
    .uses_dynamic_stack: false
    .vgpr_count:     0
    .vgpr_spill_count: 0
    .wavefront_size: 32
  - .args:
      - .offset:         0
        .size:           120
        .value_kind:     by_value
    .group_segment_fixed_size: 0
    .kernarg_segment_align: 8
    .kernarg_segment_size: 120
    .language:       OpenCL C
    .language_version:
      - 2
      - 0
    .max_flat_workgroup_size: 512
    .name:           _ZN7rocprim17ROCPRIM_400000_NS6detail17trampoline_kernelINS0_14default_configENS1_25partition_config_selectorILNS1_17partition_subalgoE8ElNS0_10empty_typeEbEEZZNS1_14partition_implILS5_8ELb0ES3_jPlPS6_PKS6_NS0_5tupleIJS9_S6_EEENSD_IJSA_SA_EEENS0_18inequality_wrapperIZN2at6native12_GLOBAL__N_124unique_dim_cuda_templateIdEESt5tupleIJNSH_6TensorESM_SM_EERKSM_lbbbEUlllE0_EEPmJS6_EEE10hipError_tPvRmT3_T4_T5_T6_T7_T9_mT8_P12ihipStream_tbDpT10_ENKUlT_T0_E_clISt17integral_constantIbLb1EES1B_IbLb0EEEEDaS17_S18_EUlS17_E_NS1_11comp_targetILNS1_3genE5ELNS1_11target_archE942ELNS1_3gpuE9ELNS1_3repE0EEENS1_30default_config_static_selectorELNS0_4arch9wavefront6targetE0EEEvT1_
    .private_segment_fixed_size: 0
    .sgpr_count:     0
    .sgpr_spill_count: 0
    .symbol:         _ZN7rocprim17ROCPRIM_400000_NS6detail17trampoline_kernelINS0_14default_configENS1_25partition_config_selectorILNS1_17partition_subalgoE8ElNS0_10empty_typeEbEEZZNS1_14partition_implILS5_8ELb0ES3_jPlPS6_PKS6_NS0_5tupleIJS9_S6_EEENSD_IJSA_SA_EEENS0_18inequality_wrapperIZN2at6native12_GLOBAL__N_124unique_dim_cuda_templateIdEESt5tupleIJNSH_6TensorESM_SM_EERKSM_lbbbEUlllE0_EEPmJS6_EEE10hipError_tPvRmT3_T4_T5_T6_T7_T9_mT8_P12ihipStream_tbDpT10_ENKUlT_T0_E_clISt17integral_constantIbLb1EES1B_IbLb0EEEEDaS17_S18_EUlS17_E_NS1_11comp_targetILNS1_3genE5ELNS1_11target_archE942ELNS1_3gpuE9ELNS1_3repE0EEENS1_30default_config_static_selectorELNS0_4arch9wavefront6targetE0EEEvT1_.kd
    .uniform_work_group_size: 1
    .uses_dynamic_stack: false
    .vgpr_count:     0
    .vgpr_spill_count: 0
    .wavefront_size: 32
  - .args:
      - .offset:         0
        .size:           120
        .value_kind:     by_value
    .group_segment_fixed_size: 0
    .kernarg_segment_align: 8
    .kernarg_segment_size: 120
    .language:       OpenCL C
    .language_version:
      - 2
      - 0
    .max_flat_workgroup_size: 256
    .name:           _ZN7rocprim17ROCPRIM_400000_NS6detail17trampoline_kernelINS0_14default_configENS1_25partition_config_selectorILNS1_17partition_subalgoE8ElNS0_10empty_typeEbEEZZNS1_14partition_implILS5_8ELb0ES3_jPlPS6_PKS6_NS0_5tupleIJS9_S6_EEENSD_IJSA_SA_EEENS0_18inequality_wrapperIZN2at6native12_GLOBAL__N_124unique_dim_cuda_templateIdEESt5tupleIJNSH_6TensorESM_SM_EERKSM_lbbbEUlllE0_EEPmJS6_EEE10hipError_tPvRmT3_T4_T5_T6_T7_T9_mT8_P12ihipStream_tbDpT10_ENKUlT_T0_E_clISt17integral_constantIbLb1EES1B_IbLb0EEEEDaS17_S18_EUlS17_E_NS1_11comp_targetILNS1_3genE4ELNS1_11target_archE910ELNS1_3gpuE8ELNS1_3repE0EEENS1_30default_config_static_selectorELNS0_4arch9wavefront6targetE0EEEvT1_
    .private_segment_fixed_size: 0
    .sgpr_count:     0
    .sgpr_spill_count: 0
    .symbol:         _ZN7rocprim17ROCPRIM_400000_NS6detail17trampoline_kernelINS0_14default_configENS1_25partition_config_selectorILNS1_17partition_subalgoE8ElNS0_10empty_typeEbEEZZNS1_14partition_implILS5_8ELb0ES3_jPlPS6_PKS6_NS0_5tupleIJS9_S6_EEENSD_IJSA_SA_EEENS0_18inequality_wrapperIZN2at6native12_GLOBAL__N_124unique_dim_cuda_templateIdEESt5tupleIJNSH_6TensorESM_SM_EERKSM_lbbbEUlllE0_EEPmJS6_EEE10hipError_tPvRmT3_T4_T5_T6_T7_T9_mT8_P12ihipStream_tbDpT10_ENKUlT_T0_E_clISt17integral_constantIbLb1EES1B_IbLb0EEEEDaS17_S18_EUlS17_E_NS1_11comp_targetILNS1_3genE4ELNS1_11target_archE910ELNS1_3gpuE8ELNS1_3repE0EEENS1_30default_config_static_selectorELNS0_4arch9wavefront6targetE0EEEvT1_.kd
    .uniform_work_group_size: 1
    .uses_dynamic_stack: false
    .vgpr_count:     0
    .vgpr_spill_count: 0
    .wavefront_size: 32
  - .args:
      - .offset:         0
        .size:           120
        .value_kind:     by_value
    .group_segment_fixed_size: 0
    .kernarg_segment_align: 8
    .kernarg_segment_size: 120
    .language:       OpenCL C
    .language_version:
      - 2
      - 0
    .max_flat_workgroup_size: 512
    .name:           _ZN7rocprim17ROCPRIM_400000_NS6detail17trampoline_kernelINS0_14default_configENS1_25partition_config_selectorILNS1_17partition_subalgoE8ElNS0_10empty_typeEbEEZZNS1_14partition_implILS5_8ELb0ES3_jPlPS6_PKS6_NS0_5tupleIJS9_S6_EEENSD_IJSA_SA_EEENS0_18inequality_wrapperIZN2at6native12_GLOBAL__N_124unique_dim_cuda_templateIdEESt5tupleIJNSH_6TensorESM_SM_EERKSM_lbbbEUlllE0_EEPmJS6_EEE10hipError_tPvRmT3_T4_T5_T6_T7_T9_mT8_P12ihipStream_tbDpT10_ENKUlT_T0_E_clISt17integral_constantIbLb1EES1B_IbLb0EEEEDaS17_S18_EUlS17_E_NS1_11comp_targetILNS1_3genE3ELNS1_11target_archE908ELNS1_3gpuE7ELNS1_3repE0EEENS1_30default_config_static_selectorELNS0_4arch9wavefront6targetE0EEEvT1_
    .private_segment_fixed_size: 0
    .sgpr_count:     0
    .sgpr_spill_count: 0
    .symbol:         _ZN7rocprim17ROCPRIM_400000_NS6detail17trampoline_kernelINS0_14default_configENS1_25partition_config_selectorILNS1_17partition_subalgoE8ElNS0_10empty_typeEbEEZZNS1_14partition_implILS5_8ELb0ES3_jPlPS6_PKS6_NS0_5tupleIJS9_S6_EEENSD_IJSA_SA_EEENS0_18inequality_wrapperIZN2at6native12_GLOBAL__N_124unique_dim_cuda_templateIdEESt5tupleIJNSH_6TensorESM_SM_EERKSM_lbbbEUlllE0_EEPmJS6_EEE10hipError_tPvRmT3_T4_T5_T6_T7_T9_mT8_P12ihipStream_tbDpT10_ENKUlT_T0_E_clISt17integral_constantIbLb1EES1B_IbLb0EEEEDaS17_S18_EUlS17_E_NS1_11comp_targetILNS1_3genE3ELNS1_11target_archE908ELNS1_3gpuE7ELNS1_3repE0EEENS1_30default_config_static_selectorELNS0_4arch9wavefront6targetE0EEEvT1_.kd
    .uniform_work_group_size: 1
    .uses_dynamic_stack: false
    .vgpr_count:     0
    .vgpr_spill_count: 0
    .wavefront_size: 32
  - .args:
      - .offset:         0
        .size:           120
        .value_kind:     by_value
    .group_segment_fixed_size: 0
    .kernarg_segment_align: 8
    .kernarg_segment_size: 120
    .language:       OpenCL C
    .language_version:
      - 2
      - 0
    .max_flat_workgroup_size: 256
    .name:           _ZN7rocprim17ROCPRIM_400000_NS6detail17trampoline_kernelINS0_14default_configENS1_25partition_config_selectorILNS1_17partition_subalgoE8ElNS0_10empty_typeEbEEZZNS1_14partition_implILS5_8ELb0ES3_jPlPS6_PKS6_NS0_5tupleIJS9_S6_EEENSD_IJSA_SA_EEENS0_18inequality_wrapperIZN2at6native12_GLOBAL__N_124unique_dim_cuda_templateIdEESt5tupleIJNSH_6TensorESM_SM_EERKSM_lbbbEUlllE0_EEPmJS6_EEE10hipError_tPvRmT3_T4_T5_T6_T7_T9_mT8_P12ihipStream_tbDpT10_ENKUlT_T0_E_clISt17integral_constantIbLb1EES1B_IbLb0EEEEDaS17_S18_EUlS17_E_NS1_11comp_targetILNS1_3genE2ELNS1_11target_archE906ELNS1_3gpuE6ELNS1_3repE0EEENS1_30default_config_static_selectorELNS0_4arch9wavefront6targetE0EEEvT1_
    .private_segment_fixed_size: 0
    .sgpr_count:     0
    .sgpr_spill_count: 0
    .symbol:         _ZN7rocprim17ROCPRIM_400000_NS6detail17trampoline_kernelINS0_14default_configENS1_25partition_config_selectorILNS1_17partition_subalgoE8ElNS0_10empty_typeEbEEZZNS1_14partition_implILS5_8ELb0ES3_jPlPS6_PKS6_NS0_5tupleIJS9_S6_EEENSD_IJSA_SA_EEENS0_18inequality_wrapperIZN2at6native12_GLOBAL__N_124unique_dim_cuda_templateIdEESt5tupleIJNSH_6TensorESM_SM_EERKSM_lbbbEUlllE0_EEPmJS6_EEE10hipError_tPvRmT3_T4_T5_T6_T7_T9_mT8_P12ihipStream_tbDpT10_ENKUlT_T0_E_clISt17integral_constantIbLb1EES1B_IbLb0EEEEDaS17_S18_EUlS17_E_NS1_11comp_targetILNS1_3genE2ELNS1_11target_archE906ELNS1_3gpuE6ELNS1_3repE0EEENS1_30default_config_static_selectorELNS0_4arch9wavefront6targetE0EEEvT1_.kd
    .uniform_work_group_size: 1
    .uses_dynamic_stack: false
    .vgpr_count:     0
    .vgpr_spill_count: 0
    .wavefront_size: 32
  - .args:
      - .offset:         0
        .size:           120
        .value_kind:     by_value
    .group_segment_fixed_size: 0
    .kernarg_segment_align: 8
    .kernarg_segment_size: 120
    .language:       OpenCL C
    .language_version:
      - 2
      - 0
    .max_flat_workgroup_size: 384
    .name:           _ZN7rocprim17ROCPRIM_400000_NS6detail17trampoline_kernelINS0_14default_configENS1_25partition_config_selectorILNS1_17partition_subalgoE8ElNS0_10empty_typeEbEEZZNS1_14partition_implILS5_8ELb0ES3_jPlPS6_PKS6_NS0_5tupleIJS9_S6_EEENSD_IJSA_SA_EEENS0_18inequality_wrapperIZN2at6native12_GLOBAL__N_124unique_dim_cuda_templateIdEESt5tupleIJNSH_6TensorESM_SM_EERKSM_lbbbEUlllE0_EEPmJS6_EEE10hipError_tPvRmT3_T4_T5_T6_T7_T9_mT8_P12ihipStream_tbDpT10_ENKUlT_T0_E_clISt17integral_constantIbLb1EES1B_IbLb0EEEEDaS17_S18_EUlS17_E_NS1_11comp_targetILNS1_3genE10ELNS1_11target_archE1200ELNS1_3gpuE4ELNS1_3repE0EEENS1_30default_config_static_selectorELNS0_4arch9wavefront6targetE0EEEvT1_
    .private_segment_fixed_size: 0
    .sgpr_count:     0
    .sgpr_spill_count: 0
    .symbol:         _ZN7rocprim17ROCPRIM_400000_NS6detail17trampoline_kernelINS0_14default_configENS1_25partition_config_selectorILNS1_17partition_subalgoE8ElNS0_10empty_typeEbEEZZNS1_14partition_implILS5_8ELb0ES3_jPlPS6_PKS6_NS0_5tupleIJS9_S6_EEENSD_IJSA_SA_EEENS0_18inequality_wrapperIZN2at6native12_GLOBAL__N_124unique_dim_cuda_templateIdEESt5tupleIJNSH_6TensorESM_SM_EERKSM_lbbbEUlllE0_EEPmJS6_EEE10hipError_tPvRmT3_T4_T5_T6_T7_T9_mT8_P12ihipStream_tbDpT10_ENKUlT_T0_E_clISt17integral_constantIbLb1EES1B_IbLb0EEEEDaS17_S18_EUlS17_E_NS1_11comp_targetILNS1_3genE10ELNS1_11target_archE1200ELNS1_3gpuE4ELNS1_3repE0EEENS1_30default_config_static_selectorELNS0_4arch9wavefront6targetE0EEEvT1_.kd
    .uniform_work_group_size: 1
    .uses_dynamic_stack: false
    .vgpr_count:     0
    .vgpr_spill_count: 0
    .wavefront_size: 32
  - .args:
      - .offset:         0
        .size:           120
        .value_kind:     by_value
    .group_segment_fixed_size: 0
    .kernarg_segment_align: 8
    .kernarg_segment_size: 120
    .language:       OpenCL C
    .language_version:
      - 2
      - 0
    .max_flat_workgroup_size: 512
    .name:           _ZN7rocprim17ROCPRIM_400000_NS6detail17trampoline_kernelINS0_14default_configENS1_25partition_config_selectorILNS1_17partition_subalgoE8ElNS0_10empty_typeEbEEZZNS1_14partition_implILS5_8ELb0ES3_jPlPS6_PKS6_NS0_5tupleIJS9_S6_EEENSD_IJSA_SA_EEENS0_18inequality_wrapperIZN2at6native12_GLOBAL__N_124unique_dim_cuda_templateIdEESt5tupleIJNSH_6TensorESM_SM_EERKSM_lbbbEUlllE0_EEPmJS6_EEE10hipError_tPvRmT3_T4_T5_T6_T7_T9_mT8_P12ihipStream_tbDpT10_ENKUlT_T0_E_clISt17integral_constantIbLb1EES1B_IbLb0EEEEDaS17_S18_EUlS17_E_NS1_11comp_targetILNS1_3genE9ELNS1_11target_archE1100ELNS1_3gpuE3ELNS1_3repE0EEENS1_30default_config_static_selectorELNS0_4arch9wavefront6targetE0EEEvT1_
    .private_segment_fixed_size: 0
    .sgpr_count:     0
    .sgpr_spill_count: 0
    .symbol:         _ZN7rocprim17ROCPRIM_400000_NS6detail17trampoline_kernelINS0_14default_configENS1_25partition_config_selectorILNS1_17partition_subalgoE8ElNS0_10empty_typeEbEEZZNS1_14partition_implILS5_8ELb0ES3_jPlPS6_PKS6_NS0_5tupleIJS9_S6_EEENSD_IJSA_SA_EEENS0_18inequality_wrapperIZN2at6native12_GLOBAL__N_124unique_dim_cuda_templateIdEESt5tupleIJNSH_6TensorESM_SM_EERKSM_lbbbEUlllE0_EEPmJS6_EEE10hipError_tPvRmT3_T4_T5_T6_T7_T9_mT8_P12ihipStream_tbDpT10_ENKUlT_T0_E_clISt17integral_constantIbLb1EES1B_IbLb0EEEEDaS17_S18_EUlS17_E_NS1_11comp_targetILNS1_3genE9ELNS1_11target_archE1100ELNS1_3gpuE3ELNS1_3repE0EEENS1_30default_config_static_selectorELNS0_4arch9wavefront6targetE0EEEvT1_.kd
    .uniform_work_group_size: 1
    .uses_dynamic_stack: false
    .vgpr_count:     0
    .vgpr_spill_count: 0
    .wavefront_size: 32
  - .args:
      - .offset:         0
        .size:           120
        .value_kind:     by_value
    .group_segment_fixed_size: 0
    .kernarg_segment_align: 8
    .kernarg_segment_size: 120
    .language:       OpenCL C
    .language_version:
      - 2
      - 0
    .max_flat_workgroup_size: 512
    .name:           _ZN7rocprim17ROCPRIM_400000_NS6detail17trampoline_kernelINS0_14default_configENS1_25partition_config_selectorILNS1_17partition_subalgoE8ElNS0_10empty_typeEbEEZZNS1_14partition_implILS5_8ELb0ES3_jPlPS6_PKS6_NS0_5tupleIJS9_S6_EEENSD_IJSA_SA_EEENS0_18inequality_wrapperIZN2at6native12_GLOBAL__N_124unique_dim_cuda_templateIdEESt5tupleIJNSH_6TensorESM_SM_EERKSM_lbbbEUlllE0_EEPmJS6_EEE10hipError_tPvRmT3_T4_T5_T6_T7_T9_mT8_P12ihipStream_tbDpT10_ENKUlT_T0_E_clISt17integral_constantIbLb1EES1B_IbLb0EEEEDaS17_S18_EUlS17_E_NS1_11comp_targetILNS1_3genE8ELNS1_11target_archE1030ELNS1_3gpuE2ELNS1_3repE0EEENS1_30default_config_static_selectorELNS0_4arch9wavefront6targetE0EEEvT1_
    .private_segment_fixed_size: 0
    .sgpr_count:     0
    .sgpr_spill_count: 0
    .symbol:         _ZN7rocprim17ROCPRIM_400000_NS6detail17trampoline_kernelINS0_14default_configENS1_25partition_config_selectorILNS1_17partition_subalgoE8ElNS0_10empty_typeEbEEZZNS1_14partition_implILS5_8ELb0ES3_jPlPS6_PKS6_NS0_5tupleIJS9_S6_EEENSD_IJSA_SA_EEENS0_18inequality_wrapperIZN2at6native12_GLOBAL__N_124unique_dim_cuda_templateIdEESt5tupleIJNSH_6TensorESM_SM_EERKSM_lbbbEUlllE0_EEPmJS6_EEE10hipError_tPvRmT3_T4_T5_T6_T7_T9_mT8_P12ihipStream_tbDpT10_ENKUlT_T0_E_clISt17integral_constantIbLb1EES1B_IbLb0EEEEDaS17_S18_EUlS17_E_NS1_11comp_targetILNS1_3genE8ELNS1_11target_archE1030ELNS1_3gpuE2ELNS1_3repE0EEENS1_30default_config_static_selectorELNS0_4arch9wavefront6targetE0EEEvT1_.kd
    .uniform_work_group_size: 1
    .uses_dynamic_stack: false
    .vgpr_count:     0
    .vgpr_spill_count: 0
    .wavefront_size: 32
  - .args:
      - .offset:         0
        .size:           136
        .value_kind:     by_value
    .group_segment_fixed_size: 28680
    .kernarg_segment_align: 8
    .kernarg_segment_size: 136
    .language:       OpenCL C
    .language_version:
      - 2
      - 0
    .max_flat_workgroup_size: 512
    .name:           _ZN7rocprim17ROCPRIM_400000_NS6detail17trampoline_kernelINS0_14default_configENS1_25partition_config_selectorILNS1_17partition_subalgoE8ElNS0_10empty_typeEbEEZZNS1_14partition_implILS5_8ELb0ES3_jPlPS6_PKS6_NS0_5tupleIJS9_S6_EEENSD_IJSA_SA_EEENS0_18inequality_wrapperIZN2at6native12_GLOBAL__N_124unique_dim_cuda_templateIdEESt5tupleIJNSH_6TensorESM_SM_EERKSM_lbbbEUlllE0_EEPmJS6_EEE10hipError_tPvRmT3_T4_T5_T6_T7_T9_mT8_P12ihipStream_tbDpT10_ENKUlT_T0_E_clISt17integral_constantIbLb0EES1B_IbLb1EEEEDaS17_S18_EUlS17_E_NS1_11comp_targetILNS1_3genE0ELNS1_11target_archE4294967295ELNS1_3gpuE0ELNS1_3repE0EEENS1_30default_config_static_selectorELNS0_4arch9wavefront6targetE0EEEvT1_
    .private_segment_fixed_size: 0
    .sgpr_count:     38
    .sgpr_spill_count: 0
    .symbol:         _ZN7rocprim17ROCPRIM_400000_NS6detail17trampoline_kernelINS0_14default_configENS1_25partition_config_selectorILNS1_17partition_subalgoE8ElNS0_10empty_typeEbEEZZNS1_14partition_implILS5_8ELb0ES3_jPlPS6_PKS6_NS0_5tupleIJS9_S6_EEENSD_IJSA_SA_EEENS0_18inequality_wrapperIZN2at6native12_GLOBAL__N_124unique_dim_cuda_templateIdEESt5tupleIJNSH_6TensorESM_SM_EERKSM_lbbbEUlllE0_EEPmJS6_EEE10hipError_tPvRmT3_T4_T5_T6_T7_T9_mT8_P12ihipStream_tbDpT10_ENKUlT_T0_E_clISt17integral_constantIbLb0EES1B_IbLb1EEEEDaS17_S18_EUlS17_E_NS1_11comp_targetILNS1_3genE0ELNS1_11target_archE4294967295ELNS1_3gpuE0ELNS1_3repE0EEENS1_30default_config_static_selectorELNS0_4arch9wavefront6targetE0EEEvT1_.kd
    .uniform_work_group_size: 1
    .uses_dynamic_stack: false
    .vgpr_count:     53
    .vgpr_spill_count: 0
    .wavefront_size: 32
  - .args:
      - .offset:         0
        .size:           136
        .value_kind:     by_value
    .group_segment_fixed_size: 0
    .kernarg_segment_align: 8
    .kernarg_segment_size: 136
    .language:       OpenCL C
    .language_version:
      - 2
      - 0
    .max_flat_workgroup_size: 512
    .name:           _ZN7rocprim17ROCPRIM_400000_NS6detail17trampoline_kernelINS0_14default_configENS1_25partition_config_selectorILNS1_17partition_subalgoE8ElNS0_10empty_typeEbEEZZNS1_14partition_implILS5_8ELb0ES3_jPlPS6_PKS6_NS0_5tupleIJS9_S6_EEENSD_IJSA_SA_EEENS0_18inequality_wrapperIZN2at6native12_GLOBAL__N_124unique_dim_cuda_templateIdEESt5tupleIJNSH_6TensorESM_SM_EERKSM_lbbbEUlllE0_EEPmJS6_EEE10hipError_tPvRmT3_T4_T5_T6_T7_T9_mT8_P12ihipStream_tbDpT10_ENKUlT_T0_E_clISt17integral_constantIbLb0EES1B_IbLb1EEEEDaS17_S18_EUlS17_E_NS1_11comp_targetILNS1_3genE5ELNS1_11target_archE942ELNS1_3gpuE9ELNS1_3repE0EEENS1_30default_config_static_selectorELNS0_4arch9wavefront6targetE0EEEvT1_
    .private_segment_fixed_size: 0
    .sgpr_count:     0
    .sgpr_spill_count: 0
    .symbol:         _ZN7rocprim17ROCPRIM_400000_NS6detail17trampoline_kernelINS0_14default_configENS1_25partition_config_selectorILNS1_17partition_subalgoE8ElNS0_10empty_typeEbEEZZNS1_14partition_implILS5_8ELb0ES3_jPlPS6_PKS6_NS0_5tupleIJS9_S6_EEENSD_IJSA_SA_EEENS0_18inequality_wrapperIZN2at6native12_GLOBAL__N_124unique_dim_cuda_templateIdEESt5tupleIJNSH_6TensorESM_SM_EERKSM_lbbbEUlllE0_EEPmJS6_EEE10hipError_tPvRmT3_T4_T5_T6_T7_T9_mT8_P12ihipStream_tbDpT10_ENKUlT_T0_E_clISt17integral_constantIbLb0EES1B_IbLb1EEEEDaS17_S18_EUlS17_E_NS1_11comp_targetILNS1_3genE5ELNS1_11target_archE942ELNS1_3gpuE9ELNS1_3repE0EEENS1_30default_config_static_selectorELNS0_4arch9wavefront6targetE0EEEvT1_.kd
    .uniform_work_group_size: 1
    .uses_dynamic_stack: false
    .vgpr_count:     0
    .vgpr_spill_count: 0
    .wavefront_size: 32
  - .args:
      - .offset:         0
        .size:           136
        .value_kind:     by_value
    .group_segment_fixed_size: 0
    .kernarg_segment_align: 8
    .kernarg_segment_size: 136
    .language:       OpenCL C
    .language_version:
      - 2
      - 0
    .max_flat_workgroup_size: 256
    .name:           _ZN7rocprim17ROCPRIM_400000_NS6detail17trampoline_kernelINS0_14default_configENS1_25partition_config_selectorILNS1_17partition_subalgoE8ElNS0_10empty_typeEbEEZZNS1_14partition_implILS5_8ELb0ES3_jPlPS6_PKS6_NS0_5tupleIJS9_S6_EEENSD_IJSA_SA_EEENS0_18inequality_wrapperIZN2at6native12_GLOBAL__N_124unique_dim_cuda_templateIdEESt5tupleIJNSH_6TensorESM_SM_EERKSM_lbbbEUlllE0_EEPmJS6_EEE10hipError_tPvRmT3_T4_T5_T6_T7_T9_mT8_P12ihipStream_tbDpT10_ENKUlT_T0_E_clISt17integral_constantIbLb0EES1B_IbLb1EEEEDaS17_S18_EUlS17_E_NS1_11comp_targetILNS1_3genE4ELNS1_11target_archE910ELNS1_3gpuE8ELNS1_3repE0EEENS1_30default_config_static_selectorELNS0_4arch9wavefront6targetE0EEEvT1_
    .private_segment_fixed_size: 0
    .sgpr_count:     0
    .sgpr_spill_count: 0
    .symbol:         _ZN7rocprim17ROCPRIM_400000_NS6detail17trampoline_kernelINS0_14default_configENS1_25partition_config_selectorILNS1_17partition_subalgoE8ElNS0_10empty_typeEbEEZZNS1_14partition_implILS5_8ELb0ES3_jPlPS6_PKS6_NS0_5tupleIJS9_S6_EEENSD_IJSA_SA_EEENS0_18inequality_wrapperIZN2at6native12_GLOBAL__N_124unique_dim_cuda_templateIdEESt5tupleIJNSH_6TensorESM_SM_EERKSM_lbbbEUlllE0_EEPmJS6_EEE10hipError_tPvRmT3_T4_T5_T6_T7_T9_mT8_P12ihipStream_tbDpT10_ENKUlT_T0_E_clISt17integral_constantIbLb0EES1B_IbLb1EEEEDaS17_S18_EUlS17_E_NS1_11comp_targetILNS1_3genE4ELNS1_11target_archE910ELNS1_3gpuE8ELNS1_3repE0EEENS1_30default_config_static_selectorELNS0_4arch9wavefront6targetE0EEEvT1_.kd
    .uniform_work_group_size: 1
    .uses_dynamic_stack: false
    .vgpr_count:     0
    .vgpr_spill_count: 0
    .wavefront_size: 32
  - .args:
      - .offset:         0
        .size:           136
        .value_kind:     by_value
    .group_segment_fixed_size: 0
    .kernarg_segment_align: 8
    .kernarg_segment_size: 136
    .language:       OpenCL C
    .language_version:
      - 2
      - 0
    .max_flat_workgroup_size: 512
    .name:           _ZN7rocprim17ROCPRIM_400000_NS6detail17trampoline_kernelINS0_14default_configENS1_25partition_config_selectorILNS1_17partition_subalgoE8ElNS0_10empty_typeEbEEZZNS1_14partition_implILS5_8ELb0ES3_jPlPS6_PKS6_NS0_5tupleIJS9_S6_EEENSD_IJSA_SA_EEENS0_18inequality_wrapperIZN2at6native12_GLOBAL__N_124unique_dim_cuda_templateIdEESt5tupleIJNSH_6TensorESM_SM_EERKSM_lbbbEUlllE0_EEPmJS6_EEE10hipError_tPvRmT3_T4_T5_T6_T7_T9_mT8_P12ihipStream_tbDpT10_ENKUlT_T0_E_clISt17integral_constantIbLb0EES1B_IbLb1EEEEDaS17_S18_EUlS17_E_NS1_11comp_targetILNS1_3genE3ELNS1_11target_archE908ELNS1_3gpuE7ELNS1_3repE0EEENS1_30default_config_static_selectorELNS0_4arch9wavefront6targetE0EEEvT1_
    .private_segment_fixed_size: 0
    .sgpr_count:     0
    .sgpr_spill_count: 0
    .symbol:         _ZN7rocprim17ROCPRIM_400000_NS6detail17trampoline_kernelINS0_14default_configENS1_25partition_config_selectorILNS1_17partition_subalgoE8ElNS0_10empty_typeEbEEZZNS1_14partition_implILS5_8ELb0ES3_jPlPS6_PKS6_NS0_5tupleIJS9_S6_EEENSD_IJSA_SA_EEENS0_18inequality_wrapperIZN2at6native12_GLOBAL__N_124unique_dim_cuda_templateIdEESt5tupleIJNSH_6TensorESM_SM_EERKSM_lbbbEUlllE0_EEPmJS6_EEE10hipError_tPvRmT3_T4_T5_T6_T7_T9_mT8_P12ihipStream_tbDpT10_ENKUlT_T0_E_clISt17integral_constantIbLb0EES1B_IbLb1EEEEDaS17_S18_EUlS17_E_NS1_11comp_targetILNS1_3genE3ELNS1_11target_archE908ELNS1_3gpuE7ELNS1_3repE0EEENS1_30default_config_static_selectorELNS0_4arch9wavefront6targetE0EEEvT1_.kd
    .uniform_work_group_size: 1
    .uses_dynamic_stack: false
    .vgpr_count:     0
    .vgpr_spill_count: 0
    .wavefront_size: 32
  - .args:
      - .offset:         0
        .size:           136
        .value_kind:     by_value
    .group_segment_fixed_size: 0
    .kernarg_segment_align: 8
    .kernarg_segment_size: 136
    .language:       OpenCL C
    .language_version:
      - 2
      - 0
    .max_flat_workgroup_size: 256
    .name:           _ZN7rocprim17ROCPRIM_400000_NS6detail17trampoline_kernelINS0_14default_configENS1_25partition_config_selectorILNS1_17partition_subalgoE8ElNS0_10empty_typeEbEEZZNS1_14partition_implILS5_8ELb0ES3_jPlPS6_PKS6_NS0_5tupleIJS9_S6_EEENSD_IJSA_SA_EEENS0_18inequality_wrapperIZN2at6native12_GLOBAL__N_124unique_dim_cuda_templateIdEESt5tupleIJNSH_6TensorESM_SM_EERKSM_lbbbEUlllE0_EEPmJS6_EEE10hipError_tPvRmT3_T4_T5_T6_T7_T9_mT8_P12ihipStream_tbDpT10_ENKUlT_T0_E_clISt17integral_constantIbLb0EES1B_IbLb1EEEEDaS17_S18_EUlS17_E_NS1_11comp_targetILNS1_3genE2ELNS1_11target_archE906ELNS1_3gpuE6ELNS1_3repE0EEENS1_30default_config_static_selectorELNS0_4arch9wavefront6targetE0EEEvT1_
    .private_segment_fixed_size: 0
    .sgpr_count:     0
    .sgpr_spill_count: 0
    .symbol:         _ZN7rocprim17ROCPRIM_400000_NS6detail17trampoline_kernelINS0_14default_configENS1_25partition_config_selectorILNS1_17partition_subalgoE8ElNS0_10empty_typeEbEEZZNS1_14partition_implILS5_8ELb0ES3_jPlPS6_PKS6_NS0_5tupleIJS9_S6_EEENSD_IJSA_SA_EEENS0_18inequality_wrapperIZN2at6native12_GLOBAL__N_124unique_dim_cuda_templateIdEESt5tupleIJNSH_6TensorESM_SM_EERKSM_lbbbEUlllE0_EEPmJS6_EEE10hipError_tPvRmT3_T4_T5_T6_T7_T9_mT8_P12ihipStream_tbDpT10_ENKUlT_T0_E_clISt17integral_constantIbLb0EES1B_IbLb1EEEEDaS17_S18_EUlS17_E_NS1_11comp_targetILNS1_3genE2ELNS1_11target_archE906ELNS1_3gpuE6ELNS1_3repE0EEENS1_30default_config_static_selectorELNS0_4arch9wavefront6targetE0EEEvT1_.kd
    .uniform_work_group_size: 1
    .uses_dynamic_stack: false
    .vgpr_count:     0
    .vgpr_spill_count: 0
    .wavefront_size: 32
  - .args:
      - .offset:         0
        .size:           136
        .value_kind:     by_value
    .group_segment_fixed_size: 0
    .kernarg_segment_align: 8
    .kernarg_segment_size: 136
    .language:       OpenCL C
    .language_version:
      - 2
      - 0
    .max_flat_workgroup_size: 384
    .name:           _ZN7rocprim17ROCPRIM_400000_NS6detail17trampoline_kernelINS0_14default_configENS1_25partition_config_selectorILNS1_17partition_subalgoE8ElNS0_10empty_typeEbEEZZNS1_14partition_implILS5_8ELb0ES3_jPlPS6_PKS6_NS0_5tupleIJS9_S6_EEENSD_IJSA_SA_EEENS0_18inequality_wrapperIZN2at6native12_GLOBAL__N_124unique_dim_cuda_templateIdEESt5tupleIJNSH_6TensorESM_SM_EERKSM_lbbbEUlllE0_EEPmJS6_EEE10hipError_tPvRmT3_T4_T5_T6_T7_T9_mT8_P12ihipStream_tbDpT10_ENKUlT_T0_E_clISt17integral_constantIbLb0EES1B_IbLb1EEEEDaS17_S18_EUlS17_E_NS1_11comp_targetILNS1_3genE10ELNS1_11target_archE1200ELNS1_3gpuE4ELNS1_3repE0EEENS1_30default_config_static_selectorELNS0_4arch9wavefront6targetE0EEEvT1_
    .private_segment_fixed_size: 0
    .sgpr_count:     0
    .sgpr_spill_count: 0
    .symbol:         _ZN7rocprim17ROCPRIM_400000_NS6detail17trampoline_kernelINS0_14default_configENS1_25partition_config_selectorILNS1_17partition_subalgoE8ElNS0_10empty_typeEbEEZZNS1_14partition_implILS5_8ELb0ES3_jPlPS6_PKS6_NS0_5tupleIJS9_S6_EEENSD_IJSA_SA_EEENS0_18inequality_wrapperIZN2at6native12_GLOBAL__N_124unique_dim_cuda_templateIdEESt5tupleIJNSH_6TensorESM_SM_EERKSM_lbbbEUlllE0_EEPmJS6_EEE10hipError_tPvRmT3_T4_T5_T6_T7_T9_mT8_P12ihipStream_tbDpT10_ENKUlT_T0_E_clISt17integral_constantIbLb0EES1B_IbLb1EEEEDaS17_S18_EUlS17_E_NS1_11comp_targetILNS1_3genE10ELNS1_11target_archE1200ELNS1_3gpuE4ELNS1_3repE0EEENS1_30default_config_static_selectorELNS0_4arch9wavefront6targetE0EEEvT1_.kd
    .uniform_work_group_size: 1
    .uses_dynamic_stack: false
    .vgpr_count:     0
    .vgpr_spill_count: 0
    .wavefront_size: 32
  - .args:
      - .offset:         0
        .size:           136
        .value_kind:     by_value
    .group_segment_fixed_size: 0
    .kernarg_segment_align: 8
    .kernarg_segment_size: 136
    .language:       OpenCL C
    .language_version:
      - 2
      - 0
    .max_flat_workgroup_size: 512
    .name:           _ZN7rocprim17ROCPRIM_400000_NS6detail17trampoline_kernelINS0_14default_configENS1_25partition_config_selectorILNS1_17partition_subalgoE8ElNS0_10empty_typeEbEEZZNS1_14partition_implILS5_8ELb0ES3_jPlPS6_PKS6_NS0_5tupleIJS9_S6_EEENSD_IJSA_SA_EEENS0_18inequality_wrapperIZN2at6native12_GLOBAL__N_124unique_dim_cuda_templateIdEESt5tupleIJNSH_6TensorESM_SM_EERKSM_lbbbEUlllE0_EEPmJS6_EEE10hipError_tPvRmT3_T4_T5_T6_T7_T9_mT8_P12ihipStream_tbDpT10_ENKUlT_T0_E_clISt17integral_constantIbLb0EES1B_IbLb1EEEEDaS17_S18_EUlS17_E_NS1_11comp_targetILNS1_3genE9ELNS1_11target_archE1100ELNS1_3gpuE3ELNS1_3repE0EEENS1_30default_config_static_selectorELNS0_4arch9wavefront6targetE0EEEvT1_
    .private_segment_fixed_size: 0
    .sgpr_count:     0
    .sgpr_spill_count: 0
    .symbol:         _ZN7rocprim17ROCPRIM_400000_NS6detail17trampoline_kernelINS0_14default_configENS1_25partition_config_selectorILNS1_17partition_subalgoE8ElNS0_10empty_typeEbEEZZNS1_14partition_implILS5_8ELb0ES3_jPlPS6_PKS6_NS0_5tupleIJS9_S6_EEENSD_IJSA_SA_EEENS0_18inequality_wrapperIZN2at6native12_GLOBAL__N_124unique_dim_cuda_templateIdEESt5tupleIJNSH_6TensorESM_SM_EERKSM_lbbbEUlllE0_EEPmJS6_EEE10hipError_tPvRmT3_T4_T5_T6_T7_T9_mT8_P12ihipStream_tbDpT10_ENKUlT_T0_E_clISt17integral_constantIbLb0EES1B_IbLb1EEEEDaS17_S18_EUlS17_E_NS1_11comp_targetILNS1_3genE9ELNS1_11target_archE1100ELNS1_3gpuE3ELNS1_3repE0EEENS1_30default_config_static_selectorELNS0_4arch9wavefront6targetE0EEEvT1_.kd
    .uniform_work_group_size: 1
    .uses_dynamic_stack: false
    .vgpr_count:     0
    .vgpr_spill_count: 0
    .wavefront_size: 32
  - .args:
      - .offset:         0
        .size:           136
        .value_kind:     by_value
    .group_segment_fixed_size: 0
    .kernarg_segment_align: 8
    .kernarg_segment_size: 136
    .language:       OpenCL C
    .language_version:
      - 2
      - 0
    .max_flat_workgroup_size: 512
    .name:           _ZN7rocprim17ROCPRIM_400000_NS6detail17trampoline_kernelINS0_14default_configENS1_25partition_config_selectorILNS1_17partition_subalgoE8ElNS0_10empty_typeEbEEZZNS1_14partition_implILS5_8ELb0ES3_jPlPS6_PKS6_NS0_5tupleIJS9_S6_EEENSD_IJSA_SA_EEENS0_18inequality_wrapperIZN2at6native12_GLOBAL__N_124unique_dim_cuda_templateIdEESt5tupleIJNSH_6TensorESM_SM_EERKSM_lbbbEUlllE0_EEPmJS6_EEE10hipError_tPvRmT3_T4_T5_T6_T7_T9_mT8_P12ihipStream_tbDpT10_ENKUlT_T0_E_clISt17integral_constantIbLb0EES1B_IbLb1EEEEDaS17_S18_EUlS17_E_NS1_11comp_targetILNS1_3genE8ELNS1_11target_archE1030ELNS1_3gpuE2ELNS1_3repE0EEENS1_30default_config_static_selectorELNS0_4arch9wavefront6targetE0EEEvT1_
    .private_segment_fixed_size: 0
    .sgpr_count:     0
    .sgpr_spill_count: 0
    .symbol:         _ZN7rocprim17ROCPRIM_400000_NS6detail17trampoline_kernelINS0_14default_configENS1_25partition_config_selectorILNS1_17partition_subalgoE8ElNS0_10empty_typeEbEEZZNS1_14partition_implILS5_8ELb0ES3_jPlPS6_PKS6_NS0_5tupleIJS9_S6_EEENSD_IJSA_SA_EEENS0_18inequality_wrapperIZN2at6native12_GLOBAL__N_124unique_dim_cuda_templateIdEESt5tupleIJNSH_6TensorESM_SM_EERKSM_lbbbEUlllE0_EEPmJS6_EEE10hipError_tPvRmT3_T4_T5_T6_T7_T9_mT8_P12ihipStream_tbDpT10_ENKUlT_T0_E_clISt17integral_constantIbLb0EES1B_IbLb1EEEEDaS17_S18_EUlS17_E_NS1_11comp_targetILNS1_3genE8ELNS1_11target_archE1030ELNS1_3gpuE2ELNS1_3repE0EEENS1_30default_config_static_selectorELNS0_4arch9wavefront6targetE0EEEvT1_.kd
    .uniform_work_group_size: 1
    .uses_dynamic_stack: false
    .vgpr_count:     0
    .vgpr_spill_count: 0
    .wavefront_size: 32
  - .args:
      - .offset:         0
        .size:           120
        .value_kind:     by_value
    .group_segment_fixed_size: 5128
    .kernarg_segment_align: 8
    .kernarg_segment_size: 120
    .language:       OpenCL C
    .language_version:
      - 2
      - 0
    .max_flat_workgroup_size: 128
    .name:           _ZN7rocprim17ROCPRIM_400000_NS6detail17trampoline_kernelINS0_14default_configENS1_25partition_config_selectorILNS1_17partition_subalgoE9EllbEEZZNS1_14partition_implILS5_9ELb0ES3_jPlS8_PNS0_10empty_typeENS0_5tupleIJS8_S9_EEENSB_IJS8_SA_EEENS0_18inequality_wrapperIZN2at6native12_GLOBAL__N_124unique_dim_cuda_templateIdEESt5tupleIJNSF_6TensorESK_SK_EERKSK_lbbbEUlllE0_EEPmJS9_EEE10hipError_tPvRmT3_T4_T5_T6_T7_T9_mT8_P12ihipStream_tbDpT10_ENKUlT_T0_E_clISt17integral_constantIbLb0EES1A_EEDaS15_S16_EUlS15_E_NS1_11comp_targetILNS1_3genE0ELNS1_11target_archE4294967295ELNS1_3gpuE0ELNS1_3repE0EEENS1_30default_config_static_selectorELNS0_4arch9wavefront6targetE0EEEvT1_
    .private_segment_fixed_size: 0
    .sgpr_count:     34
    .sgpr_spill_count: 0
    .symbol:         _ZN7rocprim17ROCPRIM_400000_NS6detail17trampoline_kernelINS0_14default_configENS1_25partition_config_selectorILNS1_17partition_subalgoE9EllbEEZZNS1_14partition_implILS5_9ELb0ES3_jPlS8_PNS0_10empty_typeENS0_5tupleIJS8_S9_EEENSB_IJS8_SA_EEENS0_18inequality_wrapperIZN2at6native12_GLOBAL__N_124unique_dim_cuda_templateIdEESt5tupleIJNSF_6TensorESK_SK_EERKSK_lbbbEUlllE0_EEPmJS9_EEE10hipError_tPvRmT3_T4_T5_T6_T7_T9_mT8_P12ihipStream_tbDpT10_ENKUlT_T0_E_clISt17integral_constantIbLb0EES1A_EEDaS15_S16_EUlS15_E_NS1_11comp_targetILNS1_3genE0ELNS1_11target_archE4294967295ELNS1_3gpuE0ELNS1_3repE0EEENS1_30default_config_static_selectorELNS0_4arch9wavefront6targetE0EEEvT1_.kd
    .uniform_work_group_size: 1
    .uses_dynamic_stack: false
    .vgpr_count:     56
    .vgpr_spill_count: 0
    .wavefront_size: 32
  - .args:
      - .offset:         0
        .size:           120
        .value_kind:     by_value
    .group_segment_fixed_size: 0
    .kernarg_segment_align: 8
    .kernarg_segment_size: 120
    .language:       OpenCL C
    .language_version:
      - 2
      - 0
    .max_flat_workgroup_size: 512
    .name:           _ZN7rocprim17ROCPRIM_400000_NS6detail17trampoline_kernelINS0_14default_configENS1_25partition_config_selectorILNS1_17partition_subalgoE9EllbEEZZNS1_14partition_implILS5_9ELb0ES3_jPlS8_PNS0_10empty_typeENS0_5tupleIJS8_S9_EEENSB_IJS8_SA_EEENS0_18inequality_wrapperIZN2at6native12_GLOBAL__N_124unique_dim_cuda_templateIdEESt5tupleIJNSF_6TensorESK_SK_EERKSK_lbbbEUlllE0_EEPmJS9_EEE10hipError_tPvRmT3_T4_T5_T6_T7_T9_mT8_P12ihipStream_tbDpT10_ENKUlT_T0_E_clISt17integral_constantIbLb0EES1A_EEDaS15_S16_EUlS15_E_NS1_11comp_targetILNS1_3genE5ELNS1_11target_archE942ELNS1_3gpuE9ELNS1_3repE0EEENS1_30default_config_static_selectorELNS0_4arch9wavefront6targetE0EEEvT1_
    .private_segment_fixed_size: 0
    .sgpr_count:     0
    .sgpr_spill_count: 0
    .symbol:         _ZN7rocprim17ROCPRIM_400000_NS6detail17trampoline_kernelINS0_14default_configENS1_25partition_config_selectorILNS1_17partition_subalgoE9EllbEEZZNS1_14partition_implILS5_9ELb0ES3_jPlS8_PNS0_10empty_typeENS0_5tupleIJS8_S9_EEENSB_IJS8_SA_EEENS0_18inequality_wrapperIZN2at6native12_GLOBAL__N_124unique_dim_cuda_templateIdEESt5tupleIJNSF_6TensorESK_SK_EERKSK_lbbbEUlllE0_EEPmJS9_EEE10hipError_tPvRmT3_T4_T5_T6_T7_T9_mT8_P12ihipStream_tbDpT10_ENKUlT_T0_E_clISt17integral_constantIbLb0EES1A_EEDaS15_S16_EUlS15_E_NS1_11comp_targetILNS1_3genE5ELNS1_11target_archE942ELNS1_3gpuE9ELNS1_3repE0EEENS1_30default_config_static_selectorELNS0_4arch9wavefront6targetE0EEEvT1_.kd
    .uniform_work_group_size: 1
    .uses_dynamic_stack: false
    .vgpr_count:     0
    .vgpr_spill_count: 0
    .wavefront_size: 32
  - .args:
      - .offset:         0
        .size:           120
        .value_kind:     by_value
    .group_segment_fixed_size: 0
    .kernarg_segment_align: 8
    .kernarg_segment_size: 120
    .language:       OpenCL C
    .language_version:
      - 2
      - 0
    .max_flat_workgroup_size: 128
    .name:           _ZN7rocprim17ROCPRIM_400000_NS6detail17trampoline_kernelINS0_14default_configENS1_25partition_config_selectorILNS1_17partition_subalgoE9EllbEEZZNS1_14partition_implILS5_9ELb0ES3_jPlS8_PNS0_10empty_typeENS0_5tupleIJS8_S9_EEENSB_IJS8_SA_EEENS0_18inequality_wrapperIZN2at6native12_GLOBAL__N_124unique_dim_cuda_templateIdEESt5tupleIJNSF_6TensorESK_SK_EERKSK_lbbbEUlllE0_EEPmJS9_EEE10hipError_tPvRmT3_T4_T5_T6_T7_T9_mT8_P12ihipStream_tbDpT10_ENKUlT_T0_E_clISt17integral_constantIbLb0EES1A_EEDaS15_S16_EUlS15_E_NS1_11comp_targetILNS1_3genE4ELNS1_11target_archE910ELNS1_3gpuE8ELNS1_3repE0EEENS1_30default_config_static_selectorELNS0_4arch9wavefront6targetE0EEEvT1_
    .private_segment_fixed_size: 0
    .sgpr_count:     0
    .sgpr_spill_count: 0
    .symbol:         _ZN7rocprim17ROCPRIM_400000_NS6detail17trampoline_kernelINS0_14default_configENS1_25partition_config_selectorILNS1_17partition_subalgoE9EllbEEZZNS1_14partition_implILS5_9ELb0ES3_jPlS8_PNS0_10empty_typeENS0_5tupleIJS8_S9_EEENSB_IJS8_SA_EEENS0_18inequality_wrapperIZN2at6native12_GLOBAL__N_124unique_dim_cuda_templateIdEESt5tupleIJNSF_6TensorESK_SK_EERKSK_lbbbEUlllE0_EEPmJS9_EEE10hipError_tPvRmT3_T4_T5_T6_T7_T9_mT8_P12ihipStream_tbDpT10_ENKUlT_T0_E_clISt17integral_constantIbLb0EES1A_EEDaS15_S16_EUlS15_E_NS1_11comp_targetILNS1_3genE4ELNS1_11target_archE910ELNS1_3gpuE8ELNS1_3repE0EEENS1_30default_config_static_selectorELNS0_4arch9wavefront6targetE0EEEvT1_.kd
    .uniform_work_group_size: 1
    .uses_dynamic_stack: false
    .vgpr_count:     0
    .vgpr_spill_count: 0
    .wavefront_size: 32
  - .args:
      - .offset:         0
        .size:           120
        .value_kind:     by_value
    .group_segment_fixed_size: 0
    .kernarg_segment_align: 8
    .kernarg_segment_size: 120
    .language:       OpenCL C
    .language_version:
      - 2
      - 0
    .max_flat_workgroup_size: 128
    .name:           _ZN7rocprim17ROCPRIM_400000_NS6detail17trampoline_kernelINS0_14default_configENS1_25partition_config_selectorILNS1_17partition_subalgoE9EllbEEZZNS1_14partition_implILS5_9ELb0ES3_jPlS8_PNS0_10empty_typeENS0_5tupleIJS8_S9_EEENSB_IJS8_SA_EEENS0_18inequality_wrapperIZN2at6native12_GLOBAL__N_124unique_dim_cuda_templateIdEESt5tupleIJNSF_6TensorESK_SK_EERKSK_lbbbEUlllE0_EEPmJS9_EEE10hipError_tPvRmT3_T4_T5_T6_T7_T9_mT8_P12ihipStream_tbDpT10_ENKUlT_T0_E_clISt17integral_constantIbLb0EES1A_EEDaS15_S16_EUlS15_E_NS1_11comp_targetILNS1_3genE3ELNS1_11target_archE908ELNS1_3gpuE7ELNS1_3repE0EEENS1_30default_config_static_selectorELNS0_4arch9wavefront6targetE0EEEvT1_
    .private_segment_fixed_size: 0
    .sgpr_count:     0
    .sgpr_spill_count: 0
    .symbol:         _ZN7rocprim17ROCPRIM_400000_NS6detail17trampoline_kernelINS0_14default_configENS1_25partition_config_selectorILNS1_17partition_subalgoE9EllbEEZZNS1_14partition_implILS5_9ELb0ES3_jPlS8_PNS0_10empty_typeENS0_5tupleIJS8_S9_EEENSB_IJS8_SA_EEENS0_18inequality_wrapperIZN2at6native12_GLOBAL__N_124unique_dim_cuda_templateIdEESt5tupleIJNSF_6TensorESK_SK_EERKSK_lbbbEUlllE0_EEPmJS9_EEE10hipError_tPvRmT3_T4_T5_T6_T7_T9_mT8_P12ihipStream_tbDpT10_ENKUlT_T0_E_clISt17integral_constantIbLb0EES1A_EEDaS15_S16_EUlS15_E_NS1_11comp_targetILNS1_3genE3ELNS1_11target_archE908ELNS1_3gpuE7ELNS1_3repE0EEENS1_30default_config_static_selectorELNS0_4arch9wavefront6targetE0EEEvT1_.kd
    .uniform_work_group_size: 1
    .uses_dynamic_stack: false
    .vgpr_count:     0
    .vgpr_spill_count: 0
    .wavefront_size: 32
  - .args:
      - .offset:         0
        .size:           120
        .value_kind:     by_value
    .group_segment_fixed_size: 0
    .kernarg_segment_align: 8
    .kernarg_segment_size: 120
    .language:       OpenCL C
    .language_version:
      - 2
      - 0
    .max_flat_workgroup_size: 192
    .name:           _ZN7rocprim17ROCPRIM_400000_NS6detail17trampoline_kernelINS0_14default_configENS1_25partition_config_selectorILNS1_17partition_subalgoE9EllbEEZZNS1_14partition_implILS5_9ELb0ES3_jPlS8_PNS0_10empty_typeENS0_5tupleIJS8_S9_EEENSB_IJS8_SA_EEENS0_18inequality_wrapperIZN2at6native12_GLOBAL__N_124unique_dim_cuda_templateIdEESt5tupleIJNSF_6TensorESK_SK_EERKSK_lbbbEUlllE0_EEPmJS9_EEE10hipError_tPvRmT3_T4_T5_T6_T7_T9_mT8_P12ihipStream_tbDpT10_ENKUlT_T0_E_clISt17integral_constantIbLb0EES1A_EEDaS15_S16_EUlS15_E_NS1_11comp_targetILNS1_3genE2ELNS1_11target_archE906ELNS1_3gpuE6ELNS1_3repE0EEENS1_30default_config_static_selectorELNS0_4arch9wavefront6targetE0EEEvT1_
    .private_segment_fixed_size: 0
    .sgpr_count:     0
    .sgpr_spill_count: 0
    .symbol:         _ZN7rocprim17ROCPRIM_400000_NS6detail17trampoline_kernelINS0_14default_configENS1_25partition_config_selectorILNS1_17partition_subalgoE9EllbEEZZNS1_14partition_implILS5_9ELb0ES3_jPlS8_PNS0_10empty_typeENS0_5tupleIJS8_S9_EEENSB_IJS8_SA_EEENS0_18inequality_wrapperIZN2at6native12_GLOBAL__N_124unique_dim_cuda_templateIdEESt5tupleIJNSF_6TensorESK_SK_EERKSK_lbbbEUlllE0_EEPmJS9_EEE10hipError_tPvRmT3_T4_T5_T6_T7_T9_mT8_P12ihipStream_tbDpT10_ENKUlT_T0_E_clISt17integral_constantIbLb0EES1A_EEDaS15_S16_EUlS15_E_NS1_11comp_targetILNS1_3genE2ELNS1_11target_archE906ELNS1_3gpuE6ELNS1_3repE0EEENS1_30default_config_static_selectorELNS0_4arch9wavefront6targetE0EEEvT1_.kd
    .uniform_work_group_size: 1
    .uses_dynamic_stack: false
    .vgpr_count:     0
    .vgpr_spill_count: 0
    .wavefront_size: 32
  - .args:
      - .offset:         0
        .size:           120
        .value_kind:     by_value
    .group_segment_fixed_size: 0
    .kernarg_segment_align: 8
    .kernarg_segment_size: 120
    .language:       OpenCL C
    .language_version:
      - 2
      - 0
    .max_flat_workgroup_size: 384
    .name:           _ZN7rocprim17ROCPRIM_400000_NS6detail17trampoline_kernelINS0_14default_configENS1_25partition_config_selectorILNS1_17partition_subalgoE9EllbEEZZNS1_14partition_implILS5_9ELb0ES3_jPlS8_PNS0_10empty_typeENS0_5tupleIJS8_S9_EEENSB_IJS8_SA_EEENS0_18inequality_wrapperIZN2at6native12_GLOBAL__N_124unique_dim_cuda_templateIdEESt5tupleIJNSF_6TensorESK_SK_EERKSK_lbbbEUlllE0_EEPmJS9_EEE10hipError_tPvRmT3_T4_T5_T6_T7_T9_mT8_P12ihipStream_tbDpT10_ENKUlT_T0_E_clISt17integral_constantIbLb0EES1A_EEDaS15_S16_EUlS15_E_NS1_11comp_targetILNS1_3genE10ELNS1_11target_archE1200ELNS1_3gpuE4ELNS1_3repE0EEENS1_30default_config_static_selectorELNS0_4arch9wavefront6targetE0EEEvT1_
    .private_segment_fixed_size: 0
    .sgpr_count:     0
    .sgpr_spill_count: 0
    .symbol:         _ZN7rocprim17ROCPRIM_400000_NS6detail17trampoline_kernelINS0_14default_configENS1_25partition_config_selectorILNS1_17partition_subalgoE9EllbEEZZNS1_14partition_implILS5_9ELb0ES3_jPlS8_PNS0_10empty_typeENS0_5tupleIJS8_S9_EEENSB_IJS8_SA_EEENS0_18inequality_wrapperIZN2at6native12_GLOBAL__N_124unique_dim_cuda_templateIdEESt5tupleIJNSF_6TensorESK_SK_EERKSK_lbbbEUlllE0_EEPmJS9_EEE10hipError_tPvRmT3_T4_T5_T6_T7_T9_mT8_P12ihipStream_tbDpT10_ENKUlT_T0_E_clISt17integral_constantIbLb0EES1A_EEDaS15_S16_EUlS15_E_NS1_11comp_targetILNS1_3genE10ELNS1_11target_archE1200ELNS1_3gpuE4ELNS1_3repE0EEENS1_30default_config_static_selectorELNS0_4arch9wavefront6targetE0EEEvT1_.kd
    .uniform_work_group_size: 1
    .uses_dynamic_stack: false
    .vgpr_count:     0
    .vgpr_spill_count: 0
    .wavefront_size: 32
  - .args:
      - .offset:         0
        .size:           120
        .value_kind:     by_value
    .group_segment_fixed_size: 0
    .kernarg_segment_align: 8
    .kernarg_segment_size: 120
    .language:       OpenCL C
    .language_version:
      - 2
      - 0
    .max_flat_workgroup_size: 512
    .name:           _ZN7rocprim17ROCPRIM_400000_NS6detail17trampoline_kernelINS0_14default_configENS1_25partition_config_selectorILNS1_17partition_subalgoE9EllbEEZZNS1_14partition_implILS5_9ELb0ES3_jPlS8_PNS0_10empty_typeENS0_5tupleIJS8_S9_EEENSB_IJS8_SA_EEENS0_18inequality_wrapperIZN2at6native12_GLOBAL__N_124unique_dim_cuda_templateIdEESt5tupleIJNSF_6TensorESK_SK_EERKSK_lbbbEUlllE0_EEPmJS9_EEE10hipError_tPvRmT3_T4_T5_T6_T7_T9_mT8_P12ihipStream_tbDpT10_ENKUlT_T0_E_clISt17integral_constantIbLb0EES1A_EEDaS15_S16_EUlS15_E_NS1_11comp_targetILNS1_3genE9ELNS1_11target_archE1100ELNS1_3gpuE3ELNS1_3repE0EEENS1_30default_config_static_selectorELNS0_4arch9wavefront6targetE0EEEvT1_
    .private_segment_fixed_size: 0
    .sgpr_count:     0
    .sgpr_spill_count: 0
    .symbol:         _ZN7rocprim17ROCPRIM_400000_NS6detail17trampoline_kernelINS0_14default_configENS1_25partition_config_selectorILNS1_17partition_subalgoE9EllbEEZZNS1_14partition_implILS5_9ELb0ES3_jPlS8_PNS0_10empty_typeENS0_5tupleIJS8_S9_EEENSB_IJS8_SA_EEENS0_18inequality_wrapperIZN2at6native12_GLOBAL__N_124unique_dim_cuda_templateIdEESt5tupleIJNSF_6TensorESK_SK_EERKSK_lbbbEUlllE0_EEPmJS9_EEE10hipError_tPvRmT3_T4_T5_T6_T7_T9_mT8_P12ihipStream_tbDpT10_ENKUlT_T0_E_clISt17integral_constantIbLb0EES1A_EEDaS15_S16_EUlS15_E_NS1_11comp_targetILNS1_3genE9ELNS1_11target_archE1100ELNS1_3gpuE3ELNS1_3repE0EEENS1_30default_config_static_selectorELNS0_4arch9wavefront6targetE0EEEvT1_.kd
    .uniform_work_group_size: 1
    .uses_dynamic_stack: false
    .vgpr_count:     0
    .vgpr_spill_count: 0
    .wavefront_size: 32
  - .args:
      - .offset:         0
        .size:           120
        .value_kind:     by_value
    .group_segment_fixed_size: 0
    .kernarg_segment_align: 8
    .kernarg_segment_size: 120
    .language:       OpenCL C
    .language_version:
      - 2
      - 0
    .max_flat_workgroup_size: 512
    .name:           _ZN7rocprim17ROCPRIM_400000_NS6detail17trampoline_kernelINS0_14default_configENS1_25partition_config_selectorILNS1_17partition_subalgoE9EllbEEZZNS1_14partition_implILS5_9ELb0ES3_jPlS8_PNS0_10empty_typeENS0_5tupleIJS8_S9_EEENSB_IJS8_SA_EEENS0_18inequality_wrapperIZN2at6native12_GLOBAL__N_124unique_dim_cuda_templateIdEESt5tupleIJNSF_6TensorESK_SK_EERKSK_lbbbEUlllE0_EEPmJS9_EEE10hipError_tPvRmT3_T4_T5_T6_T7_T9_mT8_P12ihipStream_tbDpT10_ENKUlT_T0_E_clISt17integral_constantIbLb0EES1A_EEDaS15_S16_EUlS15_E_NS1_11comp_targetILNS1_3genE8ELNS1_11target_archE1030ELNS1_3gpuE2ELNS1_3repE0EEENS1_30default_config_static_selectorELNS0_4arch9wavefront6targetE0EEEvT1_
    .private_segment_fixed_size: 0
    .sgpr_count:     0
    .sgpr_spill_count: 0
    .symbol:         _ZN7rocprim17ROCPRIM_400000_NS6detail17trampoline_kernelINS0_14default_configENS1_25partition_config_selectorILNS1_17partition_subalgoE9EllbEEZZNS1_14partition_implILS5_9ELb0ES3_jPlS8_PNS0_10empty_typeENS0_5tupleIJS8_S9_EEENSB_IJS8_SA_EEENS0_18inequality_wrapperIZN2at6native12_GLOBAL__N_124unique_dim_cuda_templateIdEESt5tupleIJNSF_6TensorESK_SK_EERKSK_lbbbEUlllE0_EEPmJS9_EEE10hipError_tPvRmT3_T4_T5_T6_T7_T9_mT8_P12ihipStream_tbDpT10_ENKUlT_T0_E_clISt17integral_constantIbLb0EES1A_EEDaS15_S16_EUlS15_E_NS1_11comp_targetILNS1_3genE8ELNS1_11target_archE1030ELNS1_3gpuE2ELNS1_3repE0EEENS1_30default_config_static_selectorELNS0_4arch9wavefront6targetE0EEEvT1_.kd
    .uniform_work_group_size: 1
    .uses_dynamic_stack: false
    .vgpr_count:     0
    .vgpr_spill_count: 0
    .wavefront_size: 32
  - .args:
      - .offset:         0
        .size:           136
        .value_kind:     by_value
    .group_segment_fixed_size: 0
    .kernarg_segment_align: 8
    .kernarg_segment_size: 136
    .language:       OpenCL C
    .language_version:
      - 2
      - 0
    .max_flat_workgroup_size: 128
    .name:           _ZN7rocprim17ROCPRIM_400000_NS6detail17trampoline_kernelINS0_14default_configENS1_25partition_config_selectorILNS1_17partition_subalgoE9EllbEEZZNS1_14partition_implILS5_9ELb0ES3_jPlS8_PNS0_10empty_typeENS0_5tupleIJS8_S9_EEENSB_IJS8_SA_EEENS0_18inequality_wrapperIZN2at6native12_GLOBAL__N_124unique_dim_cuda_templateIdEESt5tupleIJNSF_6TensorESK_SK_EERKSK_lbbbEUlllE0_EEPmJS9_EEE10hipError_tPvRmT3_T4_T5_T6_T7_T9_mT8_P12ihipStream_tbDpT10_ENKUlT_T0_E_clISt17integral_constantIbLb1EES1A_EEDaS15_S16_EUlS15_E_NS1_11comp_targetILNS1_3genE0ELNS1_11target_archE4294967295ELNS1_3gpuE0ELNS1_3repE0EEENS1_30default_config_static_selectorELNS0_4arch9wavefront6targetE0EEEvT1_
    .private_segment_fixed_size: 0
    .sgpr_count:     0
    .sgpr_spill_count: 0
    .symbol:         _ZN7rocprim17ROCPRIM_400000_NS6detail17trampoline_kernelINS0_14default_configENS1_25partition_config_selectorILNS1_17partition_subalgoE9EllbEEZZNS1_14partition_implILS5_9ELb0ES3_jPlS8_PNS0_10empty_typeENS0_5tupleIJS8_S9_EEENSB_IJS8_SA_EEENS0_18inequality_wrapperIZN2at6native12_GLOBAL__N_124unique_dim_cuda_templateIdEESt5tupleIJNSF_6TensorESK_SK_EERKSK_lbbbEUlllE0_EEPmJS9_EEE10hipError_tPvRmT3_T4_T5_T6_T7_T9_mT8_P12ihipStream_tbDpT10_ENKUlT_T0_E_clISt17integral_constantIbLb1EES1A_EEDaS15_S16_EUlS15_E_NS1_11comp_targetILNS1_3genE0ELNS1_11target_archE4294967295ELNS1_3gpuE0ELNS1_3repE0EEENS1_30default_config_static_selectorELNS0_4arch9wavefront6targetE0EEEvT1_.kd
    .uniform_work_group_size: 1
    .uses_dynamic_stack: false
    .vgpr_count:     0
    .vgpr_spill_count: 0
    .wavefront_size: 32
  - .args:
      - .offset:         0
        .size:           136
        .value_kind:     by_value
    .group_segment_fixed_size: 0
    .kernarg_segment_align: 8
    .kernarg_segment_size: 136
    .language:       OpenCL C
    .language_version:
      - 2
      - 0
    .max_flat_workgroup_size: 512
    .name:           _ZN7rocprim17ROCPRIM_400000_NS6detail17trampoline_kernelINS0_14default_configENS1_25partition_config_selectorILNS1_17partition_subalgoE9EllbEEZZNS1_14partition_implILS5_9ELb0ES3_jPlS8_PNS0_10empty_typeENS0_5tupleIJS8_S9_EEENSB_IJS8_SA_EEENS0_18inequality_wrapperIZN2at6native12_GLOBAL__N_124unique_dim_cuda_templateIdEESt5tupleIJNSF_6TensorESK_SK_EERKSK_lbbbEUlllE0_EEPmJS9_EEE10hipError_tPvRmT3_T4_T5_T6_T7_T9_mT8_P12ihipStream_tbDpT10_ENKUlT_T0_E_clISt17integral_constantIbLb1EES1A_EEDaS15_S16_EUlS15_E_NS1_11comp_targetILNS1_3genE5ELNS1_11target_archE942ELNS1_3gpuE9ELNS1_3repE0EEENS1_30default_config_static_selectorELNS0_4arch9wavefront6targetE0EEEvT1_
    .private_segment_fixed_size: 0
    .sgpr_count:     0
    .sgpr_spill_count: 0
    .symbol:         _ZN7rocprim17ROCPRIM_400000_NS6detail17trampoline_kernelINS0_14default_configENS1_25partition_config_selectorILNS1_17partition_subalgoE9EllbEEZZNS1_14partition_implILS5_9ELb0ES3_jPlS8_PNS0_10empty_typeENS0_5tupleIJS8_S9_EEENSB_IJS8_SA_EEENS0_18inequality_wrapperIZN2at6native12_GLOBAL__N_124unique_dim_cuda_templateIdEESt5tupleIJNSF_6TensorESK_SK_EERKSK_lbbbEUlllE0_EEPmJS9_EEE10hipError_tPvRmT3_T4_T5_T6_T7_T9_mT8_P12ihipStream_tbDpT10_ENKUlT_T0_E_clISt17integral_constantIbLb1EES1A_EEDaS15_S16_EUlS15_E_NS1_11comp_targetILNS1_3genE5ELNS1_11target_archE942ELNS1_3gpuE9ELNS1_3repE0EEENS1_30default_config_static_selectorELNS0_4arch9wavefront6targetE0EEEvT1_.kd
    .uniform_work_group_size: 1
    .uses_dynamic_stack: false
    .vgpr_count:     0
    .vgpr_spill_count: 0
    .wavefront_size: 32
  - .args:
      - .offset:         0
        .size:           136
        .value_kind:     by_value
    .group_segment_fixed_size: 0
    .kernarg_segment_align: 8
    .kernarg_segment_size: 136
    .language:       OpenCL C
    .language_version:
      - 2
      - 0
    .max_flat_workgroup_size: 128
    .name:           _ZN7rocprim17ROCPRIM_400000_NS6detail17trampoline_kernelINS0_14default_configENS1_25partition_config_selectorILNS1_17partition_subalgoE9EllbEEZZNS1_14partition_implILS5_9ELb0ES3_jPlS8_PNS0_10empty_typeENS0_5tupleIJS8_S9_EEENSB_IJS8_SA_EEENS0_18inequality_wrapperIZN2at6native12_GLOBAL__N_124unique_dim_cuda_templateIdEESt5tupleIJNSF_6TensorESK_SK_EERKSK_lbbbEUlllE0_EEPmJS9_EEE10hipError_tPvRmT3_T4_T5_T6_T7_T9_mT8_P12ihipStream_tbDpT10_ENKUlT_T0_E_clISt17integral_constantIbLb1EES1A_EEDaS15_S16_EUlS15_E_NS1_11comp_targetILNS1_3genE4ELNS1_11target_archE910ELNS1_3gpuE8ELNS1_3repE0EEENS1_30default_config_static_selectorELNS0_4arch9wavefront6targetE0EEEvT1_
    .private_segment_fixed_size: 0
    .sgpr_count:     0
    .sgpr_spill_count: 0
    .symbol:         _ZN7rocprim17ROCPRIM_400000_NS6detail17trampoline_kernelINS0_14default_configENS1_25partition_config_selectorILNS1_17partition_subalgoE9EllbEEZZNS1_14partition_implILS5_9ELb0ES3_jPlS8_PNS0_10empty_typeENS0_5tupleIJS8_S9_EEENSB_IJS8_SA_EEENS0_18inequality_wrapperIZN2at6native12_GLOBAL__N_124unique_dim_cuda_templateIdEESt5tupleIJNSF_6TensorESK_SK_EERKSK_lbbbEUlllE0_EEPmJS9_EEE10hipError_tPvRmT3_T4_T5_T6_T7_T9_mT8_P12ihipStream_tbDpT10_ENKUlT_T0_E_clISt17integral_constantIbLb1EES1A_EEDaS15_S16_EUlS15_E_NS1_11comp_targetILNS1_3genE4ELNS1_11target_archE910ELNS1_3gpuE8ELNS1_3repE0EEENS1_30default_config_static_selectorELNS0_4arch9wavefront6targetE0EEEvT1_.kd
    .uniform_work_group_size: 1
    .uses_dynamic_stack: false
    .vgpr_count:     0
    .vgpr_spill_count: 0
    .wavefront_size: 32
  - .args:
      - .offset:         0
        .size:           136
        .value_kind:     by_value
    .group_segment_fixed_size: 0
    .kernarg_segment_align: 8
    .kernarg_segment_size: 136
    .language:       OpenCL C
    .language_version:
      - 2
      - 0
    .max_flat_workgroup_size: 128
    .name:           _ZN7rocprim17ROCPRIM_400000_NS6detail17trampoline_kernelINS0_14default_configENS1_25partition_config_selectorILNS1_17partition_subalgoE9EllbEEZZNS1_14partition_implILS5_9ELb0ES3_jPlS8_PNS0_10empty_typeENS0_5tupleIJS8_S9_EEENSB_IJS8_SA_EEENS0_18inequality_wrapperIZN2at6native12_GLOBAL__N_124unique_dim_cuda_templateIdEESt5tupleIJNSF_6TensorESK_SK_EERKSK_lbbbEUlllE0_EEPmJS9_EEE10hipError_tPvRmT3_T4_T5_T6_T7_T9_mT8_P12ihipStream_tbDpT10_ENKUlT_T0_E_clISt17integral_constantIbLb1EES1A_EEDaS15_S16_EUlS15_E_NS1_11comp_targetILNS1_3genE3ELNS1_11target_archE908ELNS1_3gpuE7ELNS1_3repE0EEENS1_30default_config_static_selectorELNS0_4arch9wavefront6targetE0EEEvT1_
    .private_segment_fixed_size: 0
    .sgpr_count:     0
    .sgpr_spill_count: 0
    .symbol:         _ZN7rocprim17ROCPRIM_400000_NS6detail17trampoline_kernelINS0_14default_configENS1_25partition_config_selectorILNS1_17partition_subalgoE9EllbEEZZNS1_14partition_implILS5_9ELb0ES3_jPlS8_PNS0_10empty_typeENS0_5tupleIJS8_S9_EEENSB_IJS8_SA_EEENS0_18inequality_wrapperIZN2at6native12_GLOBAL__N_124unique_dim_cuda_templateIdEESt5tupleIJNSF_6TensorESK_SK_EERKSK_lbbbEUlllE0_EEPmJS9_EEE10hipError_tPvRmT3_T4_T5_T6_T7_T9_mT8_P12ihipStream_tbDpT10_ENKUlT_T0_E_clISt17integral_constantIbLb1EES1A_EEDaS15_S16_EUlS15_E_NS1_11comp_targetILNS1_3genE3ELNS1_11target_archE908ELNS1_3gpuE7ELNS1_3repE0EEENS1_30default_config_static_selectorELNS0_4arch9wavefront6targetE0EEEvT1_.kd
    .uniform_work_group_size: 1
    .uses_dynamic_stack: false
    .vgpr_count:     0
    .vgpr_spill_count: 0
    .wavefront_size: 32
  - .args:
      - .offset:         0
        .size:           136
        .value_kind:     by_value
    .group_segment_fixed_size: 0
    .kernarg_segment_align: 8
    .kernarg_segment_size: 136
    .language:       OpenCL C
    .language_version:
      - 2
      - 0
    .max_flat_workgroup_size: 192
    .name:           _ZN7rocprim17ROCPRIM_400000_NS6detail17trampoline_kernelINS0_14default_configENS1_25partition_config_selectorILNS1_17partition_subalgoE9EllbEEZZNS1_14partition_implILS5_9ELb0ES3_jPlS8_PNS0_10empty_typeENS0_5tupleIJS8_S9_EEENSB_IJS8_SA_EEENS0_18inequality_wrapperIZN2at6native12_GLOBAL__N_124unique_dim_cuda_templateIdEESt5tupleIJNSF_6TensorESK_SK_EERKSK_lbbbEUlllE0_EEPmJS9_EEE10hipError_tPvRmT3_T4_T5_T6_T7_T9_mT8_P12ihipStream_tbDpT10_ENKUlT_T0_E_clISt17integral_constantIbLb1EES1A_EEDaS15_S16_EUlS15_E_NS1_11comp_targetILNS1_3genE2ELNS1_11target_archE906ELNS1_3gpuE6ELNS1_3repE0EEENS1_30default_config_static_selectorELNS0_4arch9wavefront6targetE0EEEvT1_
    .private_segment_fixed_size: 0
    .sgpr_count:     0
    .sgpr_spill_count: 0
    .symbol:         _ZN7rocprim17ROCPRIM_400000_NS6detail17trampoline_kernelINS0_14default_configENS1_25partition_config_selectorILNS1_17partition_subalgoE9EllbEEZZNS1_14partition_implILS5_9ELb0ES3_jPlS8_PNS0_10empty_typeENS0_5tupleIJS8_S9_EEENSB_IJS8_SA_EEENS0_18inequality_wrapperIZN2at6native12_GLOBAL__N_124unique_dim_cuda_templateIdEESt5tupleIJNSF_6TensorESK_SK_EERKSK_lbbbEUlllE0_EEPmJS9_EEE10hipError_tPvRmT3_T4_T5_T6_T7_T9_mT8_P12ihipStream_tbDpT10_ENKUlT_T0_E_clISt17integral_constantIbLb1EES1A_EEDaS15_S16_EUlS15_E_NS1_11comp_targetILNS1_3genE2ELNS1_11target_archE906ELNS1_3gpuE6ELNS1_3repE0EEENS1_30default_config_static_selectorELNS0_4arch9wavefront6targetE0EEEvT1_.kd
    .uniform_work_group_size: 1
    .uses_dynamic_stack: false
    .vgpr_count:     0
    .vgpr_spill_count: 0
    .wavefront_size: 32
  - .args:
      - .offset:         0
        .size:           136
        .value_kind:     by_value
    .group_segment_fixed_size: 0
    .kernarg_segment_align: 8
    .kernarg_segment_size: 136
    .language:       OpenCL C
    .language_version:
      - 2
      - 0
    .max_flat_workgroup_size: 384
    .name:           _ZN7rocprim17ROCPRIM_400000_NS6detail17trampoline_kernelINS0_14default_configENS1_25partition_config_selectorILNS1_17partition_subalgoE9EllbEEZZNS1_14partition_implILS5_9ELb0ES3_jPlS8_PNS0_10empty_typeENS0_5tupleIJS8_S9_EEENSB_IJS8_SA_EEENS0_18inequality_wrapperIZN2at6native12_GLOBAL__N_124unique_dim_cuda_templateIdEESt5tupleIJNSF_6TensorESK_SK_EERKSK_lbbbEUlllE0_EEPmJS9_EEE10hipError_tPvRmT3_T4_T5_T6_T7_T9_mT8_P12ihipStream_tbDpT10_ENKUlT_T0_E_clISt17integral_constantIbLb1EES1A_EEDaS15_S16_EUlS15_E_NS1_11comp_targetILNS1_3genE10ELNS1_11target_archE1200ELNS1_3gpuE4ELNS1_3repE0EEENS1_30default_config_static_selectorELNS0_4arch9wavefront6targetE0EEEvT1_
    .private_segment_fixed_size: 0
    .sgpr_count:     0
    .sgpr_spill_count: 0
    .symbol:         _ZN7rocprim17ROCPRIM_400000_NS6detail17trampoline_kernelINS0_14default_configENS1_25partition_config_selectorILNS1_17partition_subalgoE9EllbEEZZNS1_14partition_implILS5_9ELb0ES3_jPlS8_PNS0_10empty_typeENS0_5tupleIJS8_S9_EEENSB_IJS8_SA_EEENS0_18inequality_wrapperIZN2at6native12_GLOBAL__N_124unique_dim_cuda_templateIdEESt5tupleIJNSF_6TensorESK_SK_EERKSK_lbbbEUlllE0_EEPmJS9_EEE10hipError_tPvRmT3_T4_T5_T6_T7_T9_mT8_P12ihipStream_tbDpT10_ENKUlT_T0_E_clISt17integral_constantIbLb1EES1A_EEDaS15_S16_EUlS15_E_NS1_11comp_targetILNS1_3genE10ELNS1_11target_archE1200ELNS1_3gpuE4ELNS1_3repE0EEENS1_30default_config_static_selectorELNS0_4arch9wavefront6targetE0EEEvT1_.kd
    .uniform_work_group_size: 1
    .uses_dynamic_stack: false
    .vgpr_count:     0
    .vgpr_spill_count: 0
    .wavefront_size: 32
  - .args:
      - .offset:         0
        .size:           136
        .value_kind:     by_value
    .group_segment_fixed_size: 0
    .kernarg_segment_align: 8
    .kernarg_segment_size: 136
    .language:       OpenCL C
    .language_version:
      - 2
      - 0
    .max_flat_workgroup_size: 512
    .name:           _ZN7rocprim17ROCPRIM_400000_NS6detail17trampoline_kernelINS0_14default_configENS1_25partition_config_selectorILNS1_17partition_subalgoE9EllbEEZZNS1_14partition_implILS5_9ELb0ES3_jPlS8_PNS0_10empty_typeENS0_5tupleIJS8_S9_EEENSB_IJS8_SA_EEENS0_18inequality_wrapperIZN2at6native12_GLOBAL__N_124unique_dim_cuda_templateIdEESt5tupleIJNSF_6TensorESK_SK_EERKSK_lbbbEUlllE0_EEPmJS9_EEE10hipError_tPvRmT3_T4_T5_T6_T7_T9_mT8_P12ihipStream_tbDpT10_ENKUlT_T0_E_clISt17integral_constantIbLb1EES1A_EEDaS15_S16_EUlS15_E_NS1_11comp_targetILNS1_3genE9ELNS1_11target_archE1100ELNS1_3gpuE3ELNS1_3repE0EEENS1_30default_config_static_selectorELNS0_4arch9wavefront6targetE0EEEvT1_
    .private_segment_fixed_size: 0
    .sgpr_count:     0
    .sgpr_spill_count: 0
    .symbol:         _ZN7rocprim17ROCPRIM_400000_NS6detail17trampoline_kernelINS0_14default_configENS1_25partition_config_selectorILNS1_17partition_subalgoE9EllbEEZZNS1_14partition_implILS5_9ELb0ES3_jPlS8_PNS0_10empty_typeENS0_5tupleIJS8_S9_EEENSB_IJS8_SA_EEENS0_18inequality_wrapperIZN2at6native12_GLOBAL__N_124unique_dim_cuda_templateIdEESt5tupleIJNSF_6TensorESK_SK_EERKSK_lbbbEUlllE0_EEPmJS9_EEE10hipError_tPvRmT3_T4_T5_T6_T7_T9_mT8_P12ihipStream_tbDpT10_ENKUlT_T0_E_clISt17integral_constantIbLb1EES1A_EEDaS15_S16_EUlS15_E_NS1_11comp_targetILNS1_3genE9ELNS1_11target_archE1100ELNS1_3gpuE3ELNS1_3repE0EEENS1_30default_config_static_selectorELNS0_4arch9wavefront6targetE0EEEvT1_.kd
    .uniform_work_group_size: 1
    .uses_dynamic_stack: false
    .vgpr_count:     0
    .vgpr_spill_count: 0
    .wavefront_size: 32
  - .args:
      - .offset:         0
        .size:           136
        .value_kind:     by_value
    .group_segment_fixed_size: 0
    .kernarg_segment_align: 8
    .kernarg_segment_size: 136
    .language:       OpenCL C
    .language_version:
      - 2
      - 0
    .max_flat_workgroup_size: 512
    .name:           _ZN7rocprim17ROCPRIM_400000_NS6detail17trampoline_kernelINS0_14default_configENS1_25partition_config_selectorILNS1_17partition_subalgoE9EllbEEZZNS1_14partition_implILS5_9ELb0ES3_jPlS8_PNS0_10empty_typeENS0_5tupleIJS8_S9_EEENSB_IJS8_SA_EEENS0_18inequality_wrapperIZN2at6native12_GLOBAL__N_124unique_dim_cuda_templateIdEESt5tupleIJNSF_6TensorESK_SK_EERKSK_lbbbEUlllE0_EEPmJS9_EEE10hipError_tPvRmT3_T4_T5_T6_T7_T9_mT8_P12ihipStream_tbDpT10_ENKUlT_T0_E_clISt17integral_constantIbLb1EES1A_EEDaS15_S16_EUlS15_E_NS1_11comp_targetILNS1_3genE8ELNS1_11target_archE1030ELNS1_3gpuE2ELNS1_3repE0EEENS1_30default_config_static_selectorELNS0_4arch9wavefront6targetE0EEEvT1_
    .private_segment_fixed_size: 0
    .sgpr_count:     0
    .sgpr_spill_count: 0
    .symbol:         _ZN7rocprim17ROCPRIM_400000_NS6detail17trampoline_kernelINS0_14default_configENS1_25partition_config_selectorILNS1_17partition_subalgoE9EllbEEZZNS1_14partition_implILS5_9ELb0ES3_jPlS8_PNS0_10empty_typeENS0_5tupleIJS8_S9_EEENSB_IJS8_SA_EEENS0_18inequality_wrapperIZN2at6native12_GLOBAL__N_124unique_dim_cuda_templateIdEESt5tupleIJNSF_6TensorESK_SK_EERKSK_lbbbEUlllE0_EEPmJS9_EEE10hipError_tPvRmT3_T4_T5_T6_T7_T9_mT8_P12ihipStream_tbDpT10_ENKUlT_T0_E_clISt17integral_constantIbLb1EES1A_EEDaS15_S16_EUlS15_E_NS1_11comp_targetILNS1_3genE8ELNS1_11target_archE1030ELNS1_3gpuE2ELNS1_3repE0EEENS1_30default_config_static_selectorELNS0_4arch9wavefront6targetE0EEEvT1_.kd
    .uniform_work_group_size: 1
    .uses_dynamic_stack: false
    .vgpr_count:     0
    .vgpr_spill_count: 0
    .wavefront_size: 32
  - .args:
      - .offset:         0
        .size:           120
        .value_kind:     by_value
    .group_segment_fixed_size: 0
    .kernarg_segment_align: 8
    .kernarg_segment_size: 120
    .language:       OpenCL C
    .language_version:
      - 2
      - 0
    .max_flat_workgroup_size: 128
    .name:           _ZN7rocprim17ROCPRIM_400000_NS6detail17trampoline_kernelINS0_14default_configENS1_25partition_config_selectorILNS1_17partition_subalgoE9EllbEEZZNS1_14partition_implILS5_9ELb0ES3_jPlS8_PNS0_10empty_typeENS0_5tupleIJS8_S9_EEENSB_IJS8_SA_EEENS0_18inequality_wrapperIZN2at6native12_GLOBAL__N_124unique_dim_cuda_templateIdEESt5tupleIJNSF_6TensorESK_SK_EERKSK_lbbbEUlllE0_EEPmJS9_EEE10hipError_tPvRmT3_T4_T5_T6_T7_T9_mT8_P12ihipStream_tbDpT10_ENKUlT_T0_E_clISt17integral_constantIbLb1EES19_IbLb0EEEEDaS15_S16_EUlS15_E_NS1_11comp_targetILNS1_3genE0ELNS1_11target_archE4294967295ELNS1_3gpuE0ELNS1_3repE0EEENS1_30default_config_static_selectorELNS0_4arch9wavefront6targetE0EEEvT1_
    .private_segment_fixed_size: 0
    .sgpr_count:     0
    .sgpr_spill_count: 0
    .symbol:         _ZN7rocprim17ROCPRIM_400000_NS6detail17trampoline_kernelINS0_14default_configENS1_25partition_config_selectorILNS1_17partition_subalgoE9EllbEEZZNS1_14partition_implILS5_9ELb0ES3_jPlS8_PNS0_10empty_typeENS0_5tupleIJS8_S9_EEENSB_IJS8_SA_EEENS0_18inequality_wrapperIZN2at6native12_GLOBAL__N_124unique_dim_cuda_templateIdEESt5tupleIJNSF_6TensorESK_SK_EERKSK_lbbbEUlllE0_EEPmJS9_EEE10hipError_tPvRmT3_T4_T5_T6_T7_T9_mT8_P12ihipStream_tbDpT10_ENKUlT_T0_E_clISt17integral_constantIbLb1EES19_IbLb0EEEEDaS15_S16_EUlS15_E_NS1_11comp_targetILNS1_3genE0ELNS1_11target_archE4294967295ELNS1_3gpuE0ELNS1_3repE0EEENS1_30default_config_static_selectorELNS0_4arch9wavefront6targetE0EEEvT1_.kd
    .uniform_work_group_size: 1
    .uses_dynamic_stack: false
    .vgpr_count:     0
    .vgpr_spill_count: 0
    .wavefront_size: 32
  - .args:
      - .offset:         0
        .size:           120
        .value_kind:     by_value
    .group_segment_fixed_size: 0
    .kernarg_segment_align: 8
    .kernarg_segment_size: 120
    .language:       OpenCL C
    .language_version:
      - 2
      - 0
    .max_flat_workgroup_size: 512
    .name:           _ZN7rocprim17ROCPRIM_400000_NS6detail17trampoline_kernelINS0_14default_configENS1_25partition_config_selectorILNS1_17partition_subalgoE9EllbEEZZNS1_14partition_implILS5_9ELb0ES3_jPlS8_PNS0_10empty_typeENS0_5tupleIJS8_S9_EEENSB_IJS8_SA_EEENS0_18inequality_wrapperIZN2at6native12_GLOBAL__N_124unique_dim_cuda_templateIdEESt5tupleIJNSF_6TensorESK_SK_EERKSK_lbbbEUlllE0_EEPmJS9_EEE10hipError_tPvRmT3_T4_T5_T6_T7_T9_mT8_P12ihipStream_tbDpT10_ENKUlT_T0_E_clISt17integral_constantIbLb1EES19_IbLb0EEEEDaS15_S16_EUlS15_E_NS1_11comp_targetILNS1_3genE5ELNS1_11target_archE942ELNS1_3gpuE9ELNS1_3repE0EEENS1_30default_config_static_selectorELNS0_4arch9wavefront6targetE0EEEvT1_
    .private_segment_fixed_size: 0
    .sgpr_count:     0
    .sgpr_spill_count: 0
    .symbol:         _ZN7rocprim17ROCPRIM_400000_NS6detail17trampoline_kernelINS0_14default_configENS1_25partition_config_selectorILNS1_17partition_subalgoE9EllbEEZZNS1_14partition_implILS5_9ELb0ES3_jPlS8_PNS0_10empty_typeENS0_5tupleIJS8_S9_EEENSB_IJS8_SA_EEENS0_18inequality_wrapperIZN2at6native12_GLOBAL__N_124unique_dim_cuda_templateIdEESt5tupleIJNSF_6TensorESK_SK_EERKSK_lbbbEUlllE0_EEPmJS9_EEE10hipError_tPvRmT3_T4_T5_T6_T7_T9_mT8_P12ihipStream_tbDpT10_ENKUlT_T0_E_clISt17integral_constantIbLb1EES19_IbLb0EEEEDaS15_S16_EUlS15_E_NS1_11comp_targetILNS1_3genE5ELNS1_11target_archE942ELNS1_3gpuE9ELNS1_3repE0EEENS1_30default_config_static_selectorELNS0_4arch9wavefront6targetE0EEEvT1_.kd
    .uniform_work_group_size: 1
    .uses_dynamic_stack: false
    .vgpr_count:     0
    .vgpr_spill_count: 0
    .wavefront_size: 32
  - .args:
      - .offset:         0
        .size:           120
        .value_kind:     by_value
    .group_segment_fixed_size: 0
    .kernarg_segment_align: 8
    .kernarg_segment_size: 120
    .language:       OpenCL C
    .language_version:
      - 2
      - 0
    .max_flat_workgroup_size: 128
    .name:           _ZN7rocprim17ROCPRIM_400000_NS6detail17trampoline_kernelINS0_14default_configENS1_25partition_config_selectorILNS1_17partition_subalgoE9EllbEEZZNS1_14partition_implILS5_9ELb0ES3_jPlS8_PNS0_10empty_typeENS0_5tupleIJS8_S9_EEENSB_IJS8_SA_EEENS0_18inequality_wrapperIZN2at6native12_GLOBAL__N_124unique_dim_cuda_templateIdEESt5tupleIJNSF_6TensorESK_SK_EERKSK_lbbbEUlllE0_EEPmJS9_EEE10hipError_tPvRmT3_T4_T5_T6_T7_T9_mT8_P12ihipStream_tbDpT10_ENKUlT_T0_E_clISt17integral_constantIbLb1EES19_IbLb0EEEEDaS15_S16_EUlS15_E_NS1_11comp_targetILNS1_3genE4ELNS1_11target_archE910ELNS1_3gpuE8ELNS1_3repE0EEENS1_30default_config_static_selectorELNS0_4arch9wavefront6targetE0EEEvT1_
    .private_segment_fixed_size: 0
    .sgpr_count:     0
    .sgpr_spill_count: 0
    .symbol:         _ZN7rocprim17ROCPRIM_400000_NS6detail17trampoline_kernelINS0_14default_configENS1_25partition_config_selectorILNS1_17partition_subalgoE9EllbEEZZNS1_14partition_implILS5_9ELb0ES3_jPlS8_PNS0_10empty_typeENS0_5tupleIJS8_S9_EEENSB_IJS8_SA_EEENS0_18inequality_wrapperIZN2at6native12_GLOBAL__N_124unique_dim_cuda_templateIdEESt5tupleIJNSF_6TensorESK_SK_EERKSK_lbbbEUlllE0_EEPmJS9_EEE10hipError_tPvRmT3_T4_T5_T6_T7_T9_mT8_P12ihipStream_tbDpT10_ENKUlT_T0_E_clISt17integral_constantIbLb1EES19_IbLb0EEEEDaS15_S16_EUlS15_E_NS1_11comp_targetILNS1_3genE4ELNS1_11target_archE910ELNS1_3gpuE8ELNS1_3repE0EEENS1_30default_config_static_selectorELNS0_4arch9wavefront6targetE0EEEvT1_.kd
    .uniform_work_group_size: 1
    .uses_dynamic_stack: false
    .vgpr_count:     0
    .vgpr_spill_count: 0
    .wavefront_size: 32
  - .args:
      - .offset:         0
        .size:           120
        .value_kind:     by_value
    .group_segment_fixed_size: 0
    .kernarg_segment_align: 8
    .kernarg_segment_size: 120
    .language:       OpenCL C
    .language_version:
      - 2
      - 0
    .max_flat_workgroup_size: 128
    .name:           _ZN7rocprim17ROCPRIM_400000_NS6detail17trampoline_kernelINS0_14default_configENS1_25partition_config_selectorILNS1_17partition_subalgoE9EllbEEZZNS1_14partition_implILS5_9ELb0ES3_jPlS8_PNS0_10empty_typeENS0_5tupleIJS8_S9_EEENSB_IJS8_SA_EEENS0_18inequality_wrapperIZN2at6native12_GLOBAL__N_124unique_dim_cuda_templateIdEESt5tupleIJNSF_6TensorESK_SK_EERKSK_lbbbEUlllE0_EEPmJS9_EEE10hipError_tPvRmT3_T4_T5_T6_T7_T9_mT8_P12ihipStream_tbDpT10_ENKUlT_T0_E_clISt17integral_constantIbLb1EES19_IbLb0EEEEDaS15_S16_EUlS15_E_NS1_11comp_targetILNS1_3genE3ELNS1_11target_archE908ELNS1_3gpuE7ELNS1_3repE0EEENS1_30default_config_static_selectorELNS0_4arch9wavefront6targetE0EEEvT1_
    .private_segment_fixed_size: 0
    .sgpr_count:     0
    .sgpr_spill_count: 0
    .symbol:         _ZN7rocprim17ROCPRIM_400000_NS6detail17trampoline_kernelINS0_14default_configENS1_25partition_config_selectorILNS1_17partition_subalgoE9EllbEEZZNS1_14partition_implILS5_9ELb0ES3_jPlS8_PNS0_10empty_typeENS0_5tupleIJS8_S9_EEENSB_IJS8_SA_EEENS0_18inequality_wrapperIZN2at6native12_GLOBAL__N_124unique_dim_cuda_templateIdEESt5tupleIJNSF_6TensorESK_SK_EERKSK_lbbbEUlllE0_EEPmJS9_EEE10hipError_tPvRmT3_T4_T5_T6_T7_T9_mT8_P12ihipStream_tbDpT10_ENKUlT_T0_E_clISt17integral_constantIbLb1EES19_IbLb0EEEEDaS15_S16_EUlS15_E_NS1_11comp_targetILNS1_3genE3ELNS1_11target_archE908ELNS1_3gpuE7ELNS1_3repE0EEENS1_30default_config_static_selectorELNS0_4arch9wavefront6targetE0EEEvT1_.kd
    .uniform_work_group_size: 1
    .uses_dynamic_stack: false
    .vgpr_count:     0
    .vgpr_spill_count: 0
    .wavefront_size: 32
  - .args:
      - .offset:         0
        .size:           120
        .value_kind:     by_value
    .group_segment_fixed_size: 0
    .kernarg_segment_align: 8
    .kernarg_segment_size: 120
    .language:       OpenCL C
    .language_version:
      - 2
      - 0
    .max_flat_workgroup_size: 192
    .name:           _ZN7rocprim17ROCPRIM_400000_NS6detail17trampoline_kernelINS0_14default_configENS1_25partition_config_selectorILNS1_17partition_subalgoE9EllbEEZZNS1_14partition_implILS5_9ELb0ES3_jPlS8_PNS0_10empty_typeENS0_5tupleIJS8_S9_EEENSB_IJS8_SA_EEENS0_18inequality_wrapperIZN2at6native12_GLOBAL__N_124unique_dim_cuda_templateIdEESt5tupleIJNSF_6TensorESK_SK_EERKSK_lbbbEUlllE0_EEPmJS9_EEE10hipError_tPvRmT3_T4_T5_T6_T7_T9_mT8_P12ihipStream_tbDpT10_ENKUlT_T0_E_clISt17integral_constantIbLb1EES19_IbLb0EEEEDaS15_S16_EUlS15_E_NS1_11comp_targetILNS1_3genE2ELNS1_11target_archE906ELNS1_3gpuE6ELNS1_3repE0EEENS1_30default_config_static_selectorELNS0_4arch9wavefront6targetE0EEEvT1_
    .private_segment_fixed_size: 0
    .sgpr_count:     0
    .sgpr_spill_count: 0
    .symbol:         _ZN7rocprim17ROCPRIM_400000_NS6detail17trampoline_kernelINS0_14default_configENS1_25partition_config_selectorILNS1_17partition_subalgoE9EllbEEZZNS1_14partition_implILS5_9ELb0ES3_jPlS8_PNS0_10empty_typeENS0_5tupleIJS8_S9_EEENSB_IJS8_SA_EEENS0_18inequality_wrapperIZN2at6native12_GLOBAL__N_124unique_dim_cuda_templateIdEESt5tupleIJNSF_6TensorESK_SK_EERKSK_lbbbEUlllE0_EEPmJS9_EEE10hipError_tPvRmT3_T4_T5_T6_T7_T9_mT8_P12ihipStream_tbDpT10_ENKUlT_T0_E_clISt17integral_constantIbLb1EES19_IbLb0EEEEDaS15_S16_EUlS15_E_NS1_11comp_targetILNS1_3genE2ELNS1_11target_archE906ELNS1_3gpuE6ELNS1_3repE0EEENS1_30default_config_static_selectorELNS0_4arch9wavefront6targetE0EEEvT1_.kd
    .uniform_work_group_size: 1
    .uses_dynamic_stack: false
    .vgpr_count:     0
    .vgpr_spill_count: 0
    .wavefront_size: 32
  - .args:
      - .offset:         0
        .size:           120
        .value_kind:     by_value
    .group_segment_fixed_size: 0
    .kernarg_segment_align: 8
    .kernarg_segment_size: 120
    .language:       OpenCL C
    .language_version:
      - 2
      - 0
    .max_flat_workgroup_size: 384
    .name:           _ZN7rocprim17ROCPRIM_400000_NS6detail17trampoline_kernelINS0_14default_configENS1_25partition_config_selectorILNS1_17partition_subalgoE9EllbEEZZNS1_14partition_implILS5_9ELb0ES3_jPlS8_PNS0_10empty_typeENS0_5tupleIJS8_S9_EEENSB_IJS8_SA_EEENS0_18inequality_wrapperIZN2at6native12_GLOBAL__N_124unique_dim_cuda_templateIdEESt5tupleIJNSF_6TensorESK_SK_EERKSK_lbbbEUlllE0_EEPmJS9_EEE10hipError_tPvRmT3_T4_T5_T6_T7_T9_mT8_P12ihipStream_tbDpT10_ENKUlT_T0_E_clISt17integral_constantIbLb1EES19_IbLb0EEEEDaS15_S16_EUlS15_E_NS1_11comp_targetILNS1_3genE10ELNS1_11target_archE1200ELNS1_3gpuE4ELNS1_3repE0EEENS1_30default_config_static_selectorELNS0_4arch9wavefront6targetE0EEEvT1_
    .private_segment_fixed_size: 0
    .sgpr_count:     0
    .sgpr_spill_count: 0
    .symbol:         _ZN7rocprim17ROCPRIM_400000_NS6detail17trampoline_kernelINS0_14default_configENS1_25partition_config_selectorILNS1_17partition_subalgoE9EllbEEZZNS1_14partition_implILS5_9ELb0ES3_jPlS8_PNS0_10empty_typeENS0_5tupleIJS8_S9_EEENSB_IJS8_SA_EEENS0_18inequality_wrapperIZN2at6native12_GLOBAL__N_124unique_dim_cuda_templateIdEESt5tupleIJNSF_6TensorESK_SK_EERKSK_lbbbEUlllE0_EEPmJS9_EEE10hipError_tPvRmT3_T4_T5_T6_T7_T9_mT8_P12ihipStream_tbDpT10_ENKUlT_T0_E_clISt17integral_constantIbLb1EES19_IbLb0EEEEDaS15_S16_EUlS15_E_NS1_11comp_targetILNS1_3genE10ELNS1_11target_archE1200ELNS1_3gpuE4ELNS1_3repE0EEENS1_30default_config_static_selectorELNS0_4arch9wavefront6targetE0EEEvT1_.kd
    .uniform_work_group_size: 1
    .uses_dynamic_stack: false
    .vgpr_count:     0
    .vgpr_spill_count: 0
    .wavefront_size: 32
  - .args:
      - .offset:         0
        .size:           120
        .value_kind:     by_value
    .group_segment_fixed_size: 0
    .kernarg_segment_align: 8
    .kernarg_segment_size: 120
    .language:       OpenCL C
    .language_version:
      - 2
      - 0
    .max_flat_workgroup_size: 512
    .name:           _ZN7rocprim17ROCPRIM_400000_NS6detail17trampoline_kernelINS0_14default_configENS1_25partition_config_selectorILNS1_17partition_subalgoE9EllbEEZZNS1_14partition_implILS5_9ELb0ES3_jPlS8_PNS0_10empty_typeENS0_5tupleIJS8_S9_EEENSB_IJS8_SA_EEENS0_18inequality_wrapperIZN2at6native12_GLOBAL__N_124unique_dim_cuda_templateIdEESt5tupleIJNSF_6TensorESK_SK_EERKSK_lbbbEUlllE0_EEPmJS9_EEE10hipError_tPvRmT3_T4_T5_T6_T7_T9_mT8_P12ihipStream_tbDpT10_ENKUlT_T0_E_clISt17integral_constantIbLb1EES19_IbLb0EEEEDaS15_S16_EUlS15_E_NS1_11comp_targetILNS1_3genE9ELNS1_11target_archE1100ELNS1_3gpuE3ELNS1_3repE0EEENS1_30default_config_static_selectorELNS0_4arch9wavefront6targetE0EEEvT1_
    .private_segment_fixed_size: 0
    .sgpr_count:     0
    .sgpr_spill_count: 0
    .symbol:         _ZN7rocprim17ROCPRIM_400000_NS6detail17trampoline_kernelINS0_14default_configENS1_25partition_config_selectorILNS1_17partition_subalgoE9EllbEEZZNS1_14partition_implILS5_9ELb0ES3_jPlS8_PNS0_10empty_typeENS0_5tupleIJS8_S9_EEENSB_IJS8_SA_EEENS0_18inequality_wrapperIZN2at6native12_GLOBAL__N_124unique_dim_cuda_templateIdEESt5tupleIJNSF_6TensorESK_SK_EERKSK_lbbbEUlllE0_EEPmJS9_EEE10hipError_tPvRmT3_T4_T5_T6_T7_T9_mT8_P12ihipStream_tbDpT10_ENKUlT_T0_E_clISt17integral_constantIbLb1EES19_IbLb0EEEEDaS15_S16_EUlS15_E_NS1_11comp_targetILNS1_3genE9ELNS1_11target_archE1100ELNS1_3gpuE3ELNS1_3repE0EEENS1_30default_config_static_selectorELNS0_4arch9wavefront6targetE0EEEvT1_.kd
    .uniform_work_group_size: 1
    .uses_dynamic_stack: false
    .vgpr_count:     0
    .vgpr_spill_count: 0
    .wavefront_size: 32
  - .args:
      - .offset:         0
        .size:           120
        .value_kind:     by_value
    .group_segment_fixed_size: 0
    .kernarg_segment_align: 8
    .kernarg_segment_size: 120
    .language:       OpenCL C
    .language_version:
      - 2
      - 0
    .max_flat_workgroup_size: 512
    .name:           _ZN7rocprim17ROCPRIM_400000_NS6detail17trampoline_kernelINS0_14default_configENS1_25partition_config_selectorILNS1_17partition_subalgoE9EllbEEZZNS1_14partition_implILS5_9ELb0ES3_jPlS8_PNS0_10empty_typeENS0_5tupleIJS8_S9_EEENSB_IJS8_SA_EEENS0_18inequality_wrapperIZN2at6native12_GLOBAL__N_124unique_dim_cuda_templateIdEESt5tupleIJNSF_6TensorESK_SK_EERKSK_lbbbEUlllE0_EEPmJS9_EEE10hipError_tPvRmT3_T4_T5_T6_T7_T9_mT8_P12ihipStream_tbDpT10_ENKUlT_T0_E_clISt17integral_constantIbLb1EES19_IbLb0EEEEDaS15_S16_EUlS15_E_NS1_11comp_targetILNS1_3genE8ELNS1_11target_archE1030ELNS1_3gpuE2ELNS1_3repE0EEENS1_30default_config_static_selectorELNS0_4arch9wavefront6targetE0EEEvT1_
    .private_segment_fixed_size: 0
    .sgpr_count:     0
    .sgpr_spill_count: 0
    .symbol:         _ZN7rocprim17ROCPRIM_400000_NS6detail17trampoline_kernelINS0_14default_configENS1_25partition_config_selectorILNS1_17partition_subalgoE9EllbEEZZNS1_14partition_implILS5_9ELb0ES3_jPlS8_PNS0_10empty_typeENS0_5tupleIJS8_S9_EEENSB_IJS8_SA_EEENS0_18inequality_wrapperIZN2at6native12_GLOBAL__N_124unique_dim_cuda_templateIdEESt5tupleIJNSF_6TensorESK_SK_EERKSK_lbbbEUlllE0_EEPmJS9_EEE10hipError_tPvRmT3_T4_T5_T6_T7_T9_mT8_P12ihipStream_tbDpT10_ENKUlT_T0_E_clISt17integral_constantIbLb1EES19_IbLb0EEEEDaS15_S16_EUlS15_E_NS1_11comp_targetILNS1_3genE8ELNS1_11target_archE1030ELNS1_3gpuE2ELNS1_3repE0EEENS1_30default_config_static_selectorELNS0_4arch9wavefront6targetE0EEEvT1_.kd
    .uniform_work_group_size: 1
    .uses_dynamic_stack: false
    .vgpr_count:     0
    .vgpr_spill_count: 0
    .wavefront_size: 32
  - .args:
      - .offset:         0
        .size:           136
        .value_kind:     by_value
    .group_segment_fixed_size: 5128
    .kernarg_segment_align: 8
    .kernarg_segment_size: 136
    .language:       OpenCL C
    .language_version:
      - 2
      - 0
    .max_flat_workgroup_size: 128
    .name:           _ZN7rocprim17ROCPRIM_400000_NS6detail17trampoline_kernelINS0_14default_configENS1_25partition_config_selectorILNS1_17partition_subalgoE9EllbEEZZNS1_14partition_implILS5_9ELb0ES3_jPlS8_PNS0_10empty_typeENS0_5tupleIJS8_S9_EEENSB_IJS8_SA_EEENS0_18inequality_wrapperIZN2at6native12_GLOBAL__N_124unique_dim_cuda_templateIdEESt5tupleIJNSF_6TensorESK_SK_EERKSK_lbbbEUlllE0_EEPmJS9_EEE10hipError_tPvRmT3_T4_T5_T6_T7_T9_mT8_P12ihipStream_tbDpT10_ENKUlT_T0_E_clISt17integral_constantIbLb0EES19_IbLb1EEEEDaS15_S16_EUlS15_E_NS1_11comp_targetILNS1_3genE0ELNS1_11target_archE4294967295ELNS1_3gpuE0ELNS1_3repE0EEENS1_30default_config_static_selectorELNS0_4arch9wavefront6targetE0EEEvT1_
    .private_segment_fixed_size: 0
    .sgpr_count:     38
    .sgpr_spill_count: 0
    .symbol:         _ZN7rocprim17ROCPRIM_400000_NS6detail17trampoline_kernelINS0_14default_configENS1_25partition_config_selectorILNS1_17partition_subalgoE9EllbEEZZNS1_14partition_implILS5_9ELb0ES3_jPlS8_PNS0_10empty_typeENS0_5tupleIJS8_S9_EEENSB_IJS8_SA_EEENS0_18inequality_wrapperIZN2at6native12_GLOBAL__N_124unique_dim_cuda_templateIdEESt5tupleIJNSF_6TensorESK_SK_EERKSK_lbbbEUlllE0_EEPmJS9_EEE10hipError_tPvRmT3_T4_T5_T6_T7_T9_mT8_P12ihipStream_tbDpT10_ENKUlT_T0_E_clISt17integral_constantIbLb0EES19_IbLb1EEEEDaS15_S16_EUlS15_E_NS1_11comp_targetILNS1_3genE0ELNS1_11target_archE4294967295ELNS1_3gpuE0ELNS1_3repE0EEENS1_30default_config_static_selectorELNS0_4arch9wavefront6targetE0EEEvT1_.kd
    .uniform_work_group_size: 1
    .uses_dynamic_stack: false
    .vgpr_count:     55
    .vgpr_spill_count: 0
    .wavefront_size: 32
  - .args:
      - .offset:         0
        .size:           136
        .value_kind:     by_value
    .group_segment_fixed_size: 0
    .kernarg_segment_align: 8
    .kernarg_segment_size: 136
    .language:       OpenCL C
    .language_version:
      - 2
      - 0
    .max_flat_workgroup_size: 512
    .name:           _ZN7rocprim17ROCPRIM_400000_NS6detail17trampoline_kernelINS0_14default_configENS1_25partition_config_selectorILNS1_17partition_subalgoE9EllbEEZZNS1_14partition_implILS5_9ELb0ES3_jPlS8_PNS0_10empty_typeENS0_5tupleIJS8_S9_EEENSB_IJS8_SA_EEENS0_18inequality_wrapperIZN2at6native12_GLOBAL__N_124unique_dim_cuda_templateIdEESt5tupleIJNSF_6TensorESK_SK_EERKSK_lbbbEUlllE0_EEPmJS9_EEE10hipError_tPvRmT3_T4_T5_T6_T7_T9_mT8_P12ihipStream_tbDpT10_ENKUlT_T0_E_clISt17integral_constantIbLb0EES19_IbLb1EEEEDaS15_S16_EUlS15_E_NS1_11comp_targetILNS1_3genE5ELNS1_11target_archE942ELNS1_3gpuE9ELNS1_3repE0EEENS1_30default_config_static_selectorELNS0_4arch9wavefront6targetE0EEEvT1_
    .private_segment_fixed_size: 0
    .sgpr_count:     0
    .sgpr_spill_count: 0
    .symbol:         _ZN7rocprim17ROCPRIM_400000_NS6detail17trampoline_kernelINS0_14default_configENS1_25partition_config_selectorILNS1_17partition_subalgoE9EllbEEZZNS1_14partition_implILS5_9ELb0ES3_jPlS8_PNS0_10empty_typeENS0_5tupleIJS8_S9_EEENSB_IJS8_SA_EEENS0_18inequality_wrapperIZN2at6native12_GLOBAL__N_124unique_dim_cuda_templateIdEESt5tupleIJNSF_6TensorESK_SK_EERKSK_lbbbEUlllE0_EEPmJS9_EEE10hipError_tPvRmT3_T4_T5_T6_T7_T9_mT8_P12ihipStream_tbDpT10_ENKUlT_T0_E_clISt17integral_constantIbLb0EES19_IbLb1EEEEDaS15_S16_EUlS15_E_NS1_11comp_targetILNS1_3genE5ELNS1_11target_archE942ELNS1_3gpuE9ELNS1_3repE0EEENS1_30default_config_static_selectorELNS0_4arch9wavefront6targetE0EEEvT1_.kd
    .uniform_work_group_size: 1
    .uses_dynamic_stack: false
    .vgpr_count:     0
    .vgpr_spill_count: 0
    .wavefront_size: 32
  - .args:
      - .offset:         0
        .size:           136
        .value_kind:     by_value
    .group_segment_fixed_size: 0
    .kernarg_segment_align: 8
    .kernarg_segment_size: 136
    .language:       OpenCL C
    .language_version:
      - 2
      - 0
    .max_flat_workgroup_size: 128
    .name:           _ZN7rocprim17ROCPRIM_400000_NS6detail17trampoline_kernelINS0_14default_configENS1_25partition_config_selectorILNS1_17partition_subalgoE9EllbEEZZNS1_14partition_implILS5_9ELb0ES3_jPlS8_PNS0_10empty_typeENS0_5tupleIJS8_S9_EEENSB_IJS8_SA_EEENS0_18inequality_wrapperIZN2at6native12_GLOBAL__N_124unique_dim_cuda_templateIdEESt5tupleIJNSF_6TensorESK_SK_EERKSK_lbbbEUlllE0_EEPmJS9_EEE10hipError_tPvRmT3_T4_T5_T6_T7_T9_mT8_P12ihipStream_tbDpT10_ENKUlT_T0_E_clISt17integral_constantIbLb0EES19_IbLb1EEEEDaS15_S16_EUlS15_E_NS1_11comp_targetILNS1_3genE4ELNS1_11target_archE910ELNS1_3gpuE8ELNS1_3repE0EEENS1_30default_config_static_selectorELNS0_4arch9wavefront6targetE0EEEvT1_
    .private_segment_fixed_size: 0
    .sgpr_count:     0
    .sgpr_spill_count: 0
    .symbol:         _ZN7rocprim17ROCPRIM_400000_NS6detail17trampoline_kernelINS0_14default_configENS1_25partition_config_selectorILNS1_17partition_subalgoE9EllbEEZZNS1_14partition_implILS5_9ELb0ES3_jPlS8_PNS0_10empty_typeENS0_5tupleIJS8_S9_EEENSB_IJS8_SA_EEENS0_18inequality_wrapperIZN2at6native12_GLOBAL__N_124unique_dim_cuda_templateIdEESt5tupleIJNSF_6TensorESK_SK_EERKSK_lbbbEUlllE0_EEPmJS9_EEE10hipError_tPvRmT3_T4_T5_T6_T7_T9_mT8_P12ihipStream_tbDpT10_ENKUlT_T0_E_clISt17integral_constantIbLb0EES19_IbLb1EEEEDaS15_S16_EUlS15_E_NS1_11comp_targetILNS1_3genE4ELNS1_11target_archE910ELNS1_3gpuE8ELNS1_3repE0EEENS1_30default_config_static_selectorELNS0_4arch9wavefront6targetE0EEEvT1_.kd
    .uniform_work_group_size: 1
    .uses_dynamic_stack: false
    .vgpr_count:     0
    .vgpr_spill_count: 0
    .wavefront_size: 32
  - .args:
      - .offset:         0
        .size:           136
        .value_kind:     by_value
    .group_segment_fixed_size: 0
    .kernarg_segment_align: 8
    .kernarg_segment_size: 136
    .language:       OpenCL C
    .language_version:
      - 2
      - 0
    .max_flat_workgroup_size: 128
    .name:           _ZN7rocprim17ROCPRIM_400000_NS6detail17trampoline_kernelINS0_14default_configENS1_25partition_config_selectorILNS1_17partition_subalgoE9EllbEEZZNS1_14partition_implILS5_9ELb0ES3_jPlS8_PNS0_10empty_typeENS0_5tupleIJS8_S9_EEENSB_IJS8_SA_EEENS0_18inequality_wrapperIZN2at6native12_GLOBAL__N_124unique_dim_cuda_templateIdEESt5tupleIJNSF_6TensorESK_SK_EERKSK_lbbbEUlllE0_EEPmJS9_EEE10hipError_tPvRmT3_T4_T5_T6_T7_T9_mT8_P12ihipStream_tbDpT10_ENKUlT_T0_E_clISt17integral_constantIbLb0EES19_IbLb1EEEEDaS15_S16_EUlS15_E_NS1_11comp_targetILNS1_3genE3ELNS1_11target_archE908ELNS1_3gpuE7ELNS1_3repE0EEENS1_30default_config_static_selectorELNS0_4arch9wavefront6targetE0EEEvT1_
    .private_segment_fixed_size: 0
    .sgpr_count:     0
    .sgpr_spill_count: 0
    .symbol:         _ZN7rocprim17ROCPRIM_400000_NS6detail17trampoline_kernelINS0_14default_configENS1_25partition_config_selectorILNS1_17partition_subalgoE9EllbEEZZNS1_14partition_implILS5_9ELb0ES3_jPlS8_PNS0_10empty_typeENS0_5tupleIJS8_S9_EEENSB_IJS8_SA_EEENS0_18inequality_wrapperIZN2at6native12_GLOBAL__N_124unique_dim_cuda_templateIdEESt5tupleIJNSF_6TensorESK_SK_EERKSK_lbbbEUlllE0_EEPmJS9_EEE10hipError_tPvRmT3_T4_T5_T6_T7_T9_mT8_P12ihipStream_tbDpT10_ENKUlT_T0_E_clISt17integral_constantIbLb0EES19_IbLb1EEEEDaS15_S16_EUlS15_E_NS1_11comp_targetILNS1_3genE3ELNS1_11target_archE908ELNS1_3gpuE7ELNS1_3repE0EEENS1_30default_config_static_selectorELNS0_4arch9wavefront6targetE0EEEvT1_.kd
    .uniform_work_group_size: 1
    .uses_dynamic_stack: false
    .vgpr_count:     0
    .vgpr_spill_count: 0
    .wavefront_size: 32
  - .args:
      - .offset:         0
        .size:           136
        .value_kind:     by_value
    .group_segment_fixed_size: 0
    .kernarg_segment_align: 8
    .kernarg_segment_size: 136
    .language:       OpenCL C
    .language_version:
      - 2
      - 0
    .max_flat_workgroup_size: 192
    .name:           _ZN7rocprim17ROCPRIM_400000_NS6detail17trampoline_kernelINS0_14default_configENS1_25partition_config_selectorILNS1_17partition_subalgoE9EllbEEZZNS1_14partition_implILS5_9ELb0ES3_jPlS8_PNS0_10empty_typeENS0_5tupleIJS8_S9_EEENSB_IJS8_SA_EEENS0_18inequality_wrapperIZN2at6native12_GLOBAL__N_124unique_dim_cuda_templateIdEESt5tupleIJNSF_6TensorESK_SK_EERKSK_lbbbEUlllE0_EEPmJS9_EEE10hipError_tPvRmT3_T4_T5_T6_T7_T9_mT8_P12ihipStream_tbDpT10_ENKUlT_T0_E_clISt17integral_constantIbLb0EES19_IbLb1EEEEDaS15_S16_EUlS15_E_NS1_11comp_targetILNS1_3genE2ELNS1_11target_archE906ELNS1_3gpuE6ELNS1_3repE0EEENS1_30default_config_static_selectorELNS0_4arch9wavefront6targetE0EEEvT1_
    .private_segment_fixed_size: 0
    .sgpr_count:     0
    .sgpr_spill_count: 0
    .symbol:         _ZN7rocprim17ROCPRIM_400000_NS6detail17trampoline_kernelINS0_14default_configENS1_25partition_config_selectorILNS1_17partition_subalgoE9EllbEEZZNS1_14partition_implILS5_9ELb0ES3_jPlS8_PNS0_10empty_typeENS0_5tupleIJS8_S9_EEENSB_IJS8_SA_EEENS0_18inequality_wrapperIZN2at6native12_GLOBAL__N_124unique_dim_cuda_templateIdEESt5tupleIJNSF_6TensorESK_SK_EERKSK_lbbbEUlllE0_EEPmJS9_EEE10hipError_tPvRmT3_T4_T5_T6_T7_T9_mT8_P12ihipStream_tbDpT10_ENKUlT_T0_E_clISt17integral_constantIbLb0EES19_IbLb1EEEEDaS15_S16_EUlS15_E_NS1_11comp_targetILNS1_3genE2ELNS1_11target_archE906ELNS1_3gpuE6ELNS1_3repE0EEENS1_30default_config_static_selectorELNS0_4arch9wavefront6targetE0EEEvT1_.kd
    .uniform_work_group_size: 1
    .uses_dynamic_stack: false
    .vgpr_count:     0
    .vgpr_spill_count: 0
    .wavefront_size: 32
  - .args:
      - .offset:         0
        .size:           136
        .value_kind:     by_value
    .group_segment_fixed_size: 0
    .kernarg_segment_align: 8
    .kernarg_segment_size: 136
    .language:       OpenCL C
    .language_version:
      - 2
      - 0
    .max_flat_workgroup_size: 384
    .name:           _ZN7rocprim17ROCPRIM_400000_NS6detail17trampoline_kernelINS0_14default_configENS1_25partition_config_selectorILNS1_17partition_subalgoE9EllbEEZZNS1_14partition_implILS5_9ELb0ES3_jPlS8_PNS0_10empty_typeENS0_5tupleIJS8_S9_EEENSB_IJS8_SA_EEENS0_18inequality_wrapperIZN2at6native12_GLOBAL__N_124unique_dim_cuda_templateIdEESt5tupleIJNSF_6TensorESK_SK_EERKSK_lbbbEUlllE0_EEPmJS9_EEE10hipError_tPvRmT3_T4_T5_T6_T7_T9_mT8_P12ihipStream_tbDpT10_ENKUlT_T0_E_clISt17integral_constantIbLb0EES19_IbLb1EEEEDaS15_S16_EUlS15_E_NS1_11comp_targetILNS1_3genE10ELNS1_11target_archE1200ELNS1_3gpuE4ELNS1_3repE0EEENS1_30default_config_static_selectorELNS0_4arch9wavefront6targetE0EEEvT1_
    .private_segment_fixed_size: 0
    .sgpr_count:     0
    .sgpr_spill_count: 0
    .symbol:         _ZN7rocprim17ROCPRIM_400000_NS6detail17trampoline_kernelINS0_14default_configENS1_25partition_config_selectorILNS1_17partition_subalgoE9EllbEEZZNS1_14partition_implILS5_9ELb0ES3_jPlS8_PNS0_10empty_typeENS0_5tupleIJS8_S9_EEENSB_IJS8_SA_EEENS0_18inequality_wrapperIZN2at6native12_GLOBAL__N_124unique_dim_cuda_templateIdEESt5tupleIJNSF_6TensorESK_SK_EERKSK_lbbbEUlllE0_EEPmJS9_EEE10hipError_tPvRmT3_T4_T5_T6_T7_T9_mT8_P12ihipStream_tbDpT10_ENKUlT_T0_E_clISt17integral_constantIbLb0EES19_IbLb1EEEEDaS15_S16_EUlS15_E_NS1_11comp_targetILNS1_3genE10ELNS1_11target_archE1200ELNS1_3gpuE4ELNS1_3repE0EEENS1_30default_config_static_selectorELNS0_4arch9wavefront6targetE0EEEvT1_.kd
    .uniform_work_group_size: 1
    .uses_dynamic_stack: false
    .vgpr_count:     0
    .vgpr_spill_count: 0
    .wavefront_size: 32
  - .args:
      - .offset:         0
        .size:           136
        .value_kind:     by_value
    .group_segment_fixed_size: 0
    .kernarg_segment_align: 8
    .kernarg_segment_size: 136
    .language:       OpenCL C
    .language_version:
      - 2
      - 0
    .max_flat_workgroup_size: 512
    .name:           _ZN7rocprim17ROCPRIM_400000_NS6detail17trampoline_kernelINS0_14default_configENS1_25partition_config_selectorILNS1_17partition_subalgoE9EllbEEZZNS1_14partition_implILS5_9ELb0ES3_jPlS8_PNS0_10empty_typeENS0_5tupleIJS8_S9_EEENSB_IJS8_SA_EEENS0_18inequality_wrapperIZN2at6native12_GLOBAL__N_124unique_dim_cuda_templateIdEESt5tupleIJNSF_6TensorESK_SK_EERKSK_lbbbEUlllE0_EEPmJS9_EEE10hipError_tPvRmT3_T4_T5_T6_T7_T9_mT8_P12ihipStream_tbDpT10_ENKUlT_T0_E_clISt17integral_constantIbLb0EES19_IbLb1EEEEDaS15_S16_EUlS15_E_NS1_11comp_targetILNS1_3genE9ELNS1_11target_archE1100ELNS1_3gpuE3ELNS1_3repE0EEENS1_30default_config_static_selectorELNS0_4arch9wavefront6targetE0EEEvT1_
    .private_segment_fixed_size: 0
    .sgpr_count:     0
    .sgpr_spill_count: 0
    .symbol:         _ZN7rocprim17ROCPRIM_400000_NS6detail17trampoline_kernelINS0_14default_configENS1_25partition_config_selectorILNS1_17partition_subalgoE9EllbEEZZNS1_14partition_implILS5_9ELb0ES3_jPlS8_PNS0_10empty_typeENS0_5tupleIJS8_S9_EEENSB_IJS8_SA_EEENS0_18inequality_wrapperIZN2at6native12_GLOBAL__N_124unique_dim_cuda_templateIdEESt5tupleIJNSF_6TensorESK_SK_EERKSK_lbbbEUlllE0_EEPmJS9_EEE10hipError_tPvRmT3_T4_T5_T6_T7_T9_mT8_P12ihipStream_tbDpT10_ENKUlT_T0_E_clISt17integral_constantIbLb0EES19_IbLb1EEEEDaS15_S16_EUlS15_E_NS1_11comp_targetILNS1_3genE9ELNS1_11target_archE1100ELNS1_3gpuE3ELNS1_3repE0EEENS1_30default_config_static_selectorELNS0_4arch9wavefront6targetE0EEEvT1_.kd
    .uniform_work_group_size: 1
    .uses_dynamic_stack: false
    .vgpr_count:     0
    .vgpr_spill_count: 0
    .wavefront_size: 32
  - .args:
      - .offset:         0
        .size:           136
        .value_kind:     by_value
    .group_segment_fixed_size: 0
    .kernarg_segment_align: 8
    .kernarg_segment_size: 136
    .language:       OpenCL C
    .language_version:
      - 2
      - 0
    .max_flat_workgroup_size: 512
    .name:           _ZN7rocprim17ROCPRIM_400000_NS6detail17trampoline_kernelINS0_14default_configENS1_25partition_config_selectorILNS1_17partition_subalgoE9EllbEEZZNS1_14partition_implILS5_9ELb0ES3_jPlS8_PNS0_10empty_typeENS0_5tupleIJS8_S9_EEENSB_IJS8_SA_EEENS0_18inequality_wrapperIZN2at6native12_GLOBAL__N_124unique_dim_cuda_templateIdEESt5tupleIJNSF_6TensorESK_SK_EERKSK_lbbbEUlllE0_EEPmJS9_EEE10hipError_tPvRmT3_T4_T5_T6_T7_T9_mT8_P12ihipStream_tbDpT10_ENKUlT_T0_E_clISt17integral_constantIbLb0EES19_IbLb1EEEEDaS15_S16_EUlS15_E_NS1_11comp_targetILNS1_3genE8ELNS1_11target_archE1030ELNS1_3gpuE2ELNS1_3repE0EEENS1_30default_config_static_selectorELNS0_4arch9wavefront6targetE0EEEvT1_
    .private_segment_fixed_size: 0
    .sgpr_count:     0
    .sgpr_spill_count: 0
    .symbol:         _ZN7rocprim17ROCPRIM_400000_NS6detail17trampoline_kernelINS0_14default_configENS1_25partition_config_selectorILNS1_17partition_subalgoE9EllbEEZZNS1_14partition_implILS5_9ELb0ES3_jPlS8_PNS0_10empty_typeENS0_5tupleIJS8_S9_EEENSB_IJS8_SA_EEENS0_18inequality_wrapperIZN2at6native12_GLOBAL__N_124unique_dim_cuda_templateIdEESt5tupleIJNSF_6TensorESK_SK_EERKSK_lbbbEUlllE0_EEPmJS9_EEE10hipError_tPvRmT3_T4_T5_T6_T7_T9_mT8_P12ihipStream_tbDpT10_ENKUlT_T0_E_clISt17integral_constantIbLb0EES19_IbLb1EEEEDaS15_S16_EUlS15_E_NS1_11comp_targetILNS1_3genE8ELNS1_11target_archE1030ELNS1_3gpuE2ELNS1_3repE0EEENS1_30default_config_static_selectorELNS0_4arch9wavefront6targetE0EEEvT1_.kd
    .uniform_work_group_size: 1
    .uses_dynamic_stack: false
    .vgpr_count:     0
    .vgpr_spill_count: 0
    .wavefront_size: 32
  - .args:
      - .offset:         0
        .size:           72
        .value_kind:     by_value
      - .offset:         72
        .size:           4
        .value_kind:     hidden_block_count_x
      - .offset:         76
        .size:           4
        .value_kind:     hidden_block_count_y
      - .offset:         80
        .size:           4
        .value_kind:     hidden_block_count_z
      - .offset:         84
        .size:           2
        .value_kind:     hidden_group_size_x
      - .offset:         86
        .size:           2
        .value_kind:     hidden_group_size_y
      - .offset:         88
        .size:           2
        .value_kind:     hidden_group_size_z
      - .offset:         90
        .size:           2
        .value_kind:     hidden_remainder_x
      - .offset:         92
        .size:           2
        .value_kind:     hidden_remainder_y
      - .offset:         94
        .size:           2
        .value_kind:     hidden_remainder_z
      - .offset:         112
        .size:           8
        .value_kind:     hidden_global_offset_x
      - .offset:         120
        .size:           8
        .value_kind:     hidden_global_offset_y
      - .offset:         128
        .size:           8
        .value_kind:     hidden_global_offset_z
      - .offset:         136
        .size:           2
        .value_kind:     hidden_grid_dims
    .group_segment_fixed_size: 16896
    .kernarg_segment_align: 8
    .kernarg_segment_size: 328
    .language:       OpenCL C
    .language_version:
      - 2
      - 0
    .max_flat_workgroup_size: 256
    .name:           _ZN7rocprim17ROCPRIM_400000_NS6detail17trampoline_kernelINS0_14default_configENS1_37merge_sort_block_sort_config_selectorIlNS0_10empty_typeEEEZNS1_21merge_sort_block_sortIS3_PlS8_PS5_S9_ZN2at6native12_GLOBAL__N_124unique_dim_cuda_templateIfEESt5tupleIJNSA_6TensorESF_SF_EERKSF_lbbbEUlllE_EE10hipError_tT0_T1_T2_T3_mRjT4_P12ihipStream_tbNS1_7vsmem_tEEUlT_E_NS1_11comp_targetILNS1_3genE0ELNS1_11target_archE4294967295ELNS1_3gpuE0ELNS1_3repE0EEENS1_30default_config_static_selectorELNS0_4arch9wavefront6targetE0EEEvSM_
    .private_segment_fixed_size: 0
    .sgpr_count:     45
    .sgpr_spill_count: 0
    .symbol:         _ZN7rocprim17ROCPRIM_400000_NS6detail17trampoline_kernelINS0_14default_configENS1_37merge_sort_block_sort_config_selectorIlNS0_10empty_typeEEEZNS1_21merge_sort_block_sortIS3_PlS8_PS5_S9_ZN2at6native12_GLOBAL__N_124unique_dim_cuda_templateIfEESt5tupleIJNSA_6TensorESF_SF_EERKSF_lbbbEUlllE_EE10hipError_tT0_T1_T2_T3_mRjT4_P12ihipStream_tbNS1_7vsmem_tEEUlT_E_NS1_11comp_targetILNS1_3genE0ELNS1_11target_archE4294967295ELNS1_3gpuE0ELNS1_3repE0EEENS1_30default_config_static_selectorELNS0_4arch9wavefront6targetE0EEEvSM_.kd
    .uniform_work_group_size: 1
    .uses_dynamic_stack: false
    .vgpr_count:     56
    .vgpr_spill_count: 0
    .wavefront_size: 32
  - .args:
      - .offset:         0
        .size:           72
        .value_kind:     by_value
    .group_segment_fixed_size: 0
    .kernarg_segment_align: 8
    .kernarg_segment_size: 72
    .language:       OpenCL C
    .language_version:
      - 2
      - 0
    .max_flat_workgroup_size: 256
    .name:           _ZN7rocprim17ROCPRIM_400000_NS6detail17trampoline_kernelINS0_14default_configENS1_37merge_sort_block_sort_config_selectorIlNS0_10empty_typeEEEZNS1_21merge_sort_block_sortIS3_PlS8_PS5_S9_ZN2at6native12_GLOBAL__N_124unique_dim_cuda_templateIfEESt5tupleIJNSA_6TensorESF_SF_EERKSF_lbbbEUlllE_EE10hipError_tT0_T1_T2_T3_mRjT4_P12ihipStream_tbNS1_7vsmem_tEEUlT_E_NS1_11comp_targetILNS1_3genE5ELNS1_11target_archE942ELNS1_3gpuE9ELNS1_3repE0EEENS1_30default_config_static_selectorELNS0_4arch9wavefront6targetE0EEEvSM_
    .private_segment_fixed_size: 0
    .sgpr_count:     0
    .sgpr_spill_count: 0
    .symbol:         _ZN7rocprim17ROCPRIM_400000_NS6detail17trampoline_kernelINS0_14default_configENS1_37merge_sort_block_sort_config_selectorIlNS0_10empty_typeEEEZNS1_21merge_sort_block_sortIS3_PlS8_PS5_S9_ZN2at6native12_GLOBAL__N_124unique_dim_cuda_templateIfEESt5tupleIJNSA_6TensorESF_SF_EERKSF_lbbbEUlllE_EE10hipError_tT0_T1_T2_T3_mRjT4_P12ihipStream_tbNS1_7vsmem_tEEUlT_E_NS1_11comp_targetILNS1_3genE5ELNS1_11target_archE942ELNS1_3gpuE9ELNS1_3repE0EEENS1_30default_config_static_selectorELNS0_4arch9wavefront6targetE0EEEvSM_.kd
    .uniform_work_group_size: 1
    .uses_dynamic_stack: false
    .vgpr_count:     0
    .vgpr_spill_count: 0
    .wavefront_size: 32
  - .args:
      - .offset:         0
        .size:           72
        .value_kind:     by_value
    .group_segment_fixed_size: 0
    .kernarg_segment_align: 8
    .kernarg_segment_size: 72
    .language:       OpenCL C
    .language_version:
      - 2
      - 0
    .max_flat_workgroup_size: 256
    .name:           _ZN7rocprim17ROCPRIM_400000_NS6detail17trampoline_kernelINS0_14default_configENS1_37merge_sort_block_sort_config_selectorIlNS0_10empty_typeEEEZNS1_21merge_sort_block_sortIS3_PlS8_PS5_S9_ZN2at6native12_GLOBAL__N_124unique_dim_cuda_templateIfEESt5tupleIJNSA_6TensorESF_SF_EERKSF_lbbbEUlllE_EE10hipError_tT0_T1_T2_T3_mRjT4_P12ihipStream_tbNS1_7vsmem_tEEUlT_E_NS1_11comp_targetILNS1_3genE4ELNS1_11target_archE910ELNS1_3gpuE8ELNS1_3repE0EEENS1_30default_config_static_selectorELNS0_4arch9wavefront6targetE0EEEvSM_
    .private_segment_fixed_size: 0
    .sgpr_count:     0
    .sgpr_spill_count: 0
    .symbol:         _ZN7rocprim17ROCPRIM_400000_NS6detail17trampoline_kernelINS0_14default_configENS1_37merge_sort_block_sort_config_selectorIlNS0_10empty_typeEEEZNS1_21merge_sort_block_sortIS3_PlS8_PS5_S9_ZN2at6native12_GLOBAL__N_124unique_dim_cuda_templateIfEESt5tupleIJNSA_6TensorESF_SF_EERKSF_lbbbEUlllE_EE10hipError_tT0_T1_T2_T3_mRjT4_P12ihipStream_tbNS1_7vsmem_tEEUlT_E_NS1_11comp_targetILNS1_3genE4ELNS1_11target_archE910ELNS1_3gpuE8ELNS1_3repE0EEENS1_30default_config_static_selectorELNS0_4arch9wavefront6targetE0EEEvSM_.kd
    .uniform_work_group_size: 1
    .uses_dynamic_stack: false
    .vgpr_count:     0
    .vgpr_spill_count: 0
    .wavefront_size: 32
  - .args:
      - .offset:         0
        .size:           72
        .value_kind:     by_value
    .group_segment_fixed_size: 0
    .kernarg_segment_align: 8
    .kernarg_segment_size: 72
    .language:       OpenCL C
    .language_version:
      - 2
      - 0
    .max_flat_workgroup_size: 256
    .name:           _ZN7rocprim17ROCPRIM_400000_NS6detail17trampoline_kernelINS0_14default_configENS1_37merge_sort_block_sort_config_selectorIlNS0_10empty_typeEEEZNS1_21merge_sort_block_sortIS3_PlS8_PS5_S9_ZN2at6native12_GLOBAL__N_124unique_dim_cuda_templateIfEESt5tupleIJNSA_6TensorESF_SF_EERKSF_lbbbEUlllE_EE10hipError_tT0_T1_T2_T3_mRjT4_P12ihipStream_tbNS1_7vsmem_tEEUlT_E_NS1_11comp_targetILNS1_3genE3ELNS1_11target_archE908ELNS1_3gpuE7ELNS1_3repE0EEENS1_30default_config_static_selectorELNS0_4arch9wavefront6targetE0EEEvSM_
    .private_segment_fixed_size: 0
    .sgpr_count:     0
    .sgpr_spill_count: 0
    .symbol:         _ZN7rocprim17ROCPRIM_400000_NS6detail17trampoline_kernelINS0_14default_configENS1_37merge_sort_block_sort_config_selectorIlNS0_10empty_typeEEEZNS1_21merge_sort_block_sortIS3_PlS8_PS5_S9_ZN2at6native12_GLOBAL__N_124unique_dim_cuda_templateIfEESt5tupleIJNSA_6TensorESF_SF_EERKSF_lbbbEUlllE_EE10hipError_tT0_T1_T2_T3_mRjT4_P12ihipStream_tbNS1_7vsmem_tEEUlT_E_NS1_11comp_targetILNS1_3genE3ELNS1_11target_archE908ELNS1_3gpuE7ELNS1_3repE0EEENS1_30default_config_static_selectorELNS0_4arch9wavefront6targetE0EEEvSM_.kd
    .uniform_work_group_size: 1
    .uses_dynamic_stack: false
    .vgpr_count:     0
    .vgpr_spill_count: 0
    .wavefront_size: 32
  - .args:
      - .offset:         0
        .size:           72
        .value_kind:     by_value
    .group_segment_fixed_size: 0
    .kernarg_segment_align: 8
    .kernarg_segment_size: 72
    .language:       OpenCL C
    .language_version:
      - 2
      - 0
    .max_flat_workgroup_size: 256
    .name:           _ZN7rocprim17ROCPRIM_400000_NS6detail17trampoline_kernelINS0_14default_configENS1_37merge_sort_block_sort_config_selectorIlNS0_10empty_typeEEEZNS1_21merge_sort_block_sortIS3_PlS8_PS5_S9_ZN2at6native12_GLOBAL__N_124unique_dim_cuda_templateIfEESt5tupleIJNSA_6TensorESF_SF_EERKSF_lbbbEUlllE_EE10hipError_tT0_T1_T2_T3_mRjT4_P12ihipStream_tbNS1_7vsmem_tEEUlT_E_NS1_11comp_targetILNS1_3genE2ELNS1_11target_archE906ELNS1_3gpuE6ELNS1_3repE0EEENS1_30default_config_static_selectorELNS0_4arch9wavefront6targetE0EEEvSM_
    .private_segment_fixed_size: 0
    .sgpr_count:     0
    .sgpr_spill_count: 0
    .symbol:         _ZN7rocprim17ROCPRIM_400000_NS6detail17trampoline_kernelINS0_14default_configENS1_37merge_sort_block_sort_config_selectorIlNS0_10empty_typeEEEZNS1_21merge_sort_block_sortIS3_PlS8_PS5_S9_ZN2at6native12_GLOBAL__N_124unique_dim_cuda_templateIfEESt5tupleIJNSA_6TensorESF_SF_EERKSF_lbbbEUlllE_EE10hipError_tT0_T1_T2_T3_mRjT4_P12ihipStream_tbNS1_7vsmem_tEEUlT_E_NS1_11comp_targetILNS1_3genE2ELNS1_11target_archE906ELNS1_3gpuE6ELNS1_3repE0EEENS1_30default_config_static_selectorELNS0_4arch9wavefront6targetE0EEEvSM_.kd
    .uniform_work_group_size: 1
    .uses_dynamic_stack: false
    .vgpr_count:     0
    .vgpr_spill_count: 0
    .wavefront_size: 32
  - .args:
      - .offset:         0
        .size:           72
        .value_kind:     by_value
    .group_segment_fixed_size: 0
    .kernarg_segment_align: 8
    .kernarg_segment_size: 72
    .language:       OpenCL C
    .language_version:
      - 2
      - 0
    .max_flat_workgroup_size: 256
    .name:           _ZN7rocprim17ROCPRIM_400000_NS6detail17trampoline_kernelINS0_14default_configENS1_37merge_sort_block_sort_config_selectorIlNS0_10empty_typeEEEZNS1_21merge_sort_block_sortIS3_PlS8_PS5_S9_ZN2at6native12_GLOBAL__N_124unique_dim_cuda_templateIfEESt5tupleIJNSA_6TensorESF_SF_EERKSF_lbbbEUlllE_EE10hipError_tT0_T1_T2_T3_mRjT4_P12ihipStream_tbNS1_7vsmem_tEEUlT_E_NS1_11comp_targetILNS1_3genE10ELNS1_11target_archE1201ELNS1_3gpuE5ELNS1_3repE0EEENS1_30default_config_static_selectorELNS0_4arch9wavefront6targetE0EEEvSM_
    .private_segment_fixed_size: 0
    .sgpr_count:     0
    .sgpr_spill_count: 0
    .symbol:         _ZN7rocprim17ROCPRIM_400000_NS6detail17trampoline_kernelINS0_14default_configENS1_37merge_sort_block_sort_config_selectorIlNS0_10empty_typeEEEZNS1_21merge_sort_block_sortIS3_PlS8_PS5_S9_ZN2at6native12_GLOBAL__N_124unique_dim_cuda_templateIfEESt5tupleIJNSA_6TensorESF_SF_EERKSF_lbbbEUlllE_EE10hipError_tT0_T1_T2_T3_mRjT4_P12ihipStream_tbNS1_7vsmem_tEEUlT_E_NS1_11comp_targetILNS1_3genE10ELNS1_11target_archE1201ELNS1_3gpuE5ELNS1_3repE0EEENS1_30default_config_static_selectorELNS0_4arch9wavefront6targetE0EEEvSM_.kd
    .uniform_work_group_size: 1
    .uses_dynamic_stack: false
    .vgpr_count:     0
    .vgpr_spill_count: 0
    .wavefront_size: 32
  - .args:
      - .offset:         0
        .size:           72
        .value_kind:     by_value
    .group_segment_fixed_size: 0
    .kernarg_segment_align: 8
    .kernarg_segment_size: 72
    .language:       OpenCL C
    .language_version:
      - 2
      - 0
    .max_flat_workgroup_size: 512
    .name:           _ZN7rocprim17ROCPRIM_400000_NS6detail17trampoline_kernelINS0_14default_configENS1_37merge_sort_block_sort_config_selectorIlNS0_10empty_typeEEEZNS1_21merge_sort_block_sortIS3_PlS8_PS5_S9_ZN2at6native12_GLOBAL__N_124unique_dim_cuda_templateIfEESt5tupleIJNSA_6TensorESF_SF_EERKSF_lbbbEUlllE_EE10hipError_tT0_T1_T2_T3_mRjT4_P12ihipStream_tbNS1_7vsmem_tEEUlT_E_NS1_11comp_targetILNS1_3genE10ELNS1_11target_archE1200ELNS1_3gpuE4ELNS1_3repE0EEENS1_30default_config_static_selectorELNS0_4arch9wavefront6targetE0EEEvSM_
    .private_segment_fixed_size: 0
    .sgpr_count:     0
    .sgpr_spill_count: 0
    .symbol:         _ZN7rocprim17ROCPRIM_400000_NS6detail17trampoline_kernelINS0_14default_configENS1_37merge_sort_block_sort_config_selectorIlNS0_10empty_typeEEEZNS1_21merge_sort_block_sortIS3_PlS8_PS5_S9_ZN2at6native12_GLOBAL__N_124unique_dim_cuda_templateIfEESt5tupleIJNSA_6TensorESF_SF_EERKSF_lbbbEUlllE_EE10hipError_tT0_T1_T2_T3_mRjT4_P12ihipStream_tbNS1_7vsmem_tEEUlT_E_NS1_11comp_targetILNS1_3genE10ELNS1_11target_archE1200ELNS1_3gpuE4ELNS1_3repE0EEENS1_30default_config_static_selectorELNS0_4arch9wavefront6targetE0EEEvSM_.kd
    .uniform_work_group_size: 1
    .uses_dynamic_stack: false
    .vgpr_count:     0
    .vgpr_spill_count: 0
    .wavefront_size: 32
  - .args:
      - .offset:         0
        .size:           72
        .value_kind:     by_value
    .group_segment_fixed_size: 0
    .kernarg_segment_align: 8
    .kernarg_segment_size: 72
    .language:       OpenCL C
    .language_version:
      - 2
      - 0
    .max_flat_workgroup_size: 256
    .name:           _ZN7rocprim17ROCPRIM_400000_NS6detail17trampoline_kernelINS0_14default_configENS1_37merge_sort_block_sort_config_selectorIlNS0_10empty_typeEEEZNS1_21merge_sort_block_sortIS3_PlS8_PS5_S9_ZN2at6native12_GLOBAL__N_124unique_dim_cuda_templateIfEESt5tupleIJNSA_6TensorESF_SF_EERKSF_lbbbEUlllE_EE10hipError_tT0_T1_T2_T3_mRjT4_P12ihipStream_tbNS1_7vsmem_tEEUlT_E_NS1_11comp_targetILNS1_3genE9ELNS1_11target_archE1100ELNS1_3gpuE3ELNS1_3repE0EEENS1_30default_config_static_selectorELNS0_4arch9wavefront6targetE0EEEvSM_
    .private_segment_fixed_size: 0
    .sgpr_count:     0
    .sgpr_spill_count: 0
    .symbol:         _ZN7rocprim17ROCPRIM_400000_NS6detail17trampoline_kernelINS0_14default_configENS1_37merge_sort_block_sort_config_selectorIlNS0_10empty_typeEEEZNS1_21merge_sort_block_sortIS3_PlS8_PS5_S9_ZN2at6native12_GLOBAL__N_124unique_dim_cuda_templateIfEESt5tupleIJNSA_6TensorESF_SF_EERKSF_lbbbEUlllE_EE10hipError_tT0_T1_T2_T3_mRjT4_P12ihipStream_tbNS1_7vsmem_tEEUlT_E_NS1_11comp_targetILNS1_3genE9ELNS1_11target_archE1100ELNS1_3gpuE3ELNS1_3repE0EEENS1_30default_config_static_selectorELNS0_4arch9wavefront6targetE0EEEvSM_.kd
    .uniform_work_group_size: 1
    .uses_dynamic_stack: false
    .vgpr_count:     0
    .vgpr_spill_count: 0
    .wavefront_size: 32
  - .args:
      - .offset:         0
        .size:           72
        .value_kind:     by_value
    .group_segment_fixed_size: 0
    .kernarg_segment_align: 8
    .kernarg_segment_size: 72
    .language:       OpenCL C
    .language_version:
      - 2
      - 0
    .max_flat_workgroup_size: 256
    .name:           _ZN7rocprim17ROCPRIM_400000_NS6detail17trampoline_kernelINS0_14default_configENS1_37merge_sort_block_sort_config_selectorIlNS0_10empty_typeEEEZNS1_21merge_sort_block_sortIS3_PlS8_PS5_S9_ZN2at6native12_GLOBAL__N_124unique_dim_cuda_templateIfEESt5tupleIJNSA_6TensorESF_SF_EERKSF_lbbbEUlllE_EE10hipError_tT0_T1_T2_T3_mRjT4_P12ihipStream_tbNS1_7vsmem_tEEUlT_E_NS1_11comp_targetILNS1_3genE8ELNS1_11target_archE1030ELNS1_3gpuE2ELNS1_3repE0EEENS1_30default_config_static_selectorELNS0_4arch9wavefront6targetE0EEEvSM_
    .private_segment_fixed_size: 0
    .sgpr_count:     0
    .sgpr_spill_count: 0
    .symbol:         _ZN7rocprim17ROCPRIM_400000_NS6detail17trampoline_kernelINS0_14default_configENS1_37merge_sort_block_sort_config_selectorIlNS0_10empty_typeEEEZNS1_21merge_sort_block_sortIS3_PlS8_PS5_S9_ZN2at6native12_GLOBAL__N_124unique_dim_cuda_templateIfEESt5tupleIJNSA_6TensorESF_SF_EERKSF_lbbbEUlllE_EE10hipError_tT0_T1_T2_T3_mRjT4_P12ihipStream_tbNS1_7vsmem_tEEUlT_E_NS1_11comp_targetILNS1_3genE8ELNS1_11target_archE1030ELNS1_3gpuE2ELNS1_3repE0EEENS1_30default_config_static_selectorELNS0_4arch9wavefront6targetE0EEEvSM_.kd
    .uniform_work_group_size: 1
    .uses_dynamic_stack: false
    .vgpr_count:     0
    .vgpr_spill_count: 0
    .wavefront_size: 32
  - .args:
      - .offset:         0
        .size:           56
        .value_kind:     by_value
    .group_segment_fixed_size: 0
    .kernarg_segment_align: 8
    .kernarg_segment_size: 56
    .language:       OpenCL C
    .language_version:
      - 2
      - 0
    .max_flat_workgroup_size: 128
    .name:           _ZN7rocprim17ROCPRIM_400000_NS6detail17trampoline_kernelINS0_14default_configENS1_38merge_sort_block_merge_config_selectorIlNS0_10empty_typeEEEZZNS1_27merge_sort_block_merge_implIS3_PlPS5_mZN2at6native12_GLOBAL__N_124unique_dim_cuda_templateIfEESt5tupleIJNSA_6TensorESF_SF_EERKSF_lbbbEUlllE_EE10hipError_tT0_T1_T2_jT3_P12ihipStream_tbPNSt15iterator_traitsISL_E10value_typeEPNSR_ISM_E10value_typeEPSN_NS1_7vsmem_tEENKUlT_SL_SM_SN_E_clIS8_S8_S9_S9_EESK_S10_SL_SM_SN_EUlS10_E_NS1_11comp_targetILNS1_3genE0ELNS1_11target_archE4294967295ELNS1_3gpuE0ELNS1_3repE0EEENS1_48merge_mergepath_partition_config_static_selectorELNS0_4arch9wavefront6targetE0EEEvSM_
    .private_segment_fixed_size: 0
    .sgpr_count:     24
    .sgpr_spill_count: 0
    .symbol:         _ZN7rocprim17ROCPRIM_400000_NS6detail17trampoline_kernelINS0_14default_configENS1_38merge_sort_block_merge_config_selectorIlNS0_10empty_typeEEEZZNS1_27merge_sort_block_merge_implIS3_PlPS5_mZN2at6native12_GLOBAL__N_124unique_dim_cuda_templateIfEESt5tupleIJNSA_6TensorESF_SF_EERKSF_lbbbEUlllE_EE10hipError_tT0_T1_T2_jT3_P12ihipStream_tbPNSt15iterator_traitsISL_E10value_typeEPNSR_ISM_E10value_typeEPSN_NS1_7vsmem_tEENKUlT_SL_SM_SN_E_clIS8_S8_S9_S9_EESK_S10_SL_SM_SN_EUlS10_E_NS1_11comp_targetILNS1_3genE0ELNS1_11target_archE4294967295ELNS1_3gpuE0ELNS1_3repE0EEENS1_48merge_mergepath_partition_config_static_selectorELNS0_4arch9wavefront6targetE0EEEvSM_.kd
    .uniform_work_group_size: 1
    .uses_dynamic_stack: false
    .vgpr_count:     22
    .vgpr_spill_count: 0
    .wavefront_size: 32
  - .args:
      - .offset:         0
        .size:           56
        .value_kind:     by_value
    .group_segment_fixed_size: 0
    .kernarg_segment_align: 8
    .kernarg_segment_size: 56
    .language:       OpenCL C
    .language_version:
      - 2
      - 0
    .max_flat_workgroup_size: 128
    .name:           _ZN7rocprim17ROCPRIM_400000_NS6detail17trampoline_kernelINS0_14default_configENS1_38merge_sort_block_merge_config_selectorIlNS0_10empty_typeEEEZZNS1_27merge_sort_block_merge_implIS3_PlPS5_mZN2at6native12_GLOBAL__N_124unique_dim_cuda_templateIfEESt5tupleIJNSA_6TensorESF_SF_EERKSF_lbbbEUlllE_EE10hipError_tT0_T1_T2_jT3_P12ihipStream_tbPNSt15iterator_traitsISL_E10value_typeEPNSR_ISM_E10value_typeEPSN_NS1_7vsmem_tEENKUlT_SL_SM_SN_E_clIS8_S8_S9_S9_EESK_S10_SL_SM_SN_EUlS10_E_NS1_11comp_targetILNS1_3genE10ELNS1_11target_archE1201ELNS1_3gpuE5ELNS1_3repE0EEENS1_48merge_mergepath_partition_config_static_selectorELNS0_4arch9wavefront6targetE0EEEvSM_
    .private_segment_fixed_size: 0
    .sgpr_count:     0
    .sgpr_spill_count: 0
    .symbol:         _ZN7rocprim17ROCPRIM_400000_NS6detail17trampoline_kernelINS0_14default_configENS1_38merge_sort_block_merge_config_selectorIlNS0_10empty_typeEEEZZNS1_27merge_sort_block_merge_implIS3_PlPS5_mZN2at6native12_GLOBAL__N_124unique_dim_cuda_templateIfEESt5tupleIJNSA_6TensorESF_SF_EERKSF_lbbbEUlllE_EE10hipError_tT0_T1_T2_jT3_P12ihipStream_tbPNSt15iterator_traitsISL_E10value_typeEPNSR_ISM_E10value_typeEPSN_NS1_7vsmem_tEENKUlT_SL_SM_SN_E_clIS8_S8_S9_S9_EESK_S10_SL_SM_SN_EUlS10_E_NS1_11comp_targetILNS1_3genE10ELNS1_11target_archE1201ELNS1_3gpuE5ELNS1_3repE0EEENS1_48merge_mergepath_partition_config_static_selectorELNS0_4arch9wavefront6targetE0EEEvSM_.kd
    .uniform_work_group_size: 1
    .uses_dynamic_stack: false
    .vgpr_count:     0
    .vgpr_spill_count: 0
    .wavefront_size: 32
  - .args:
      - .offset:         0
        .size:           56
        .value_kind:     by_value
    .group_segment_fixed_size: 0
    .kernarg_segment_align: 8
    .kernarg_segment_size: 56
    .language:       OpenCL C
    .language_version:
      - 2
      - 0
    .max_flat_workgroup_size: 128
    .name:           _ZN7rocprim17ROCPRIM_400000_NS6detail17trampoline_kernelINS0_14default_configENS1_38merge_sort_block_merge_config_selectorIlNS0_10empty_typeEEEZZNS1_27merge_sort_block_merge_implIS3_PlPS5_mZN2at6native12_GLOBAL__N_124unique_dim_cuda_templateIfEESt5tupleIJNSA_6TensorESF_SF_EERKSF_lbbbEUlllE_EE10hipError_tT0_T1_T2_jT3_P12ihipStream_tbPNSt15iterator_traitsISL_E10value_typeEPNSR_ISM_E10value_typeEPSN_NS1_7vsmem_tEENKUlT_SL_SM_SN_E_clIS8_S8_S9_S9_EESK_S10_SL_SM_SN_EUlS10_E_NS1_11comp_targetILNS1_3genE5ELNS1_11target_archE942ELNS1_3gpuE9ELNS1_3repE0EEENS1_48merge_mergepath_partition_config_static_selectorELNS0_4arch9wavefront6targetE0EEEvSM_
    .private_segment_fixed_size: 0
    .sgpr_count:     0
    .sgpr_spill_count: 0
    .symbol:         _ZN7rocprim17ROCPRIM_400000_NS6detail17trampoline_kernelINS0_14default_configENS1_38merge_sort_block_merge_config_selectorIlNS0_10empty_typeEEEZZNS1_27merge_sort_block_merge_implIS3_PlPS5_mZN2at6native12_GLOBAL__N_124unique_dim_cuda_templateIfEESt5tupleIJNSA_6TensorESF_SF_EERKSF_lbbbEUlllE_EE10hipError_tT0_T1_T2_jT3_P12ihipStream_tbPNSt15iterator_traitsISL_E10value_typeEPNSR_ISM_E10value_typeEPSN_NS1_7vsmem_tEENKUlT_SL_SM_SN_E_clIS8_S8_S9_S9_EESK_S10_SL_SM_SN_EUlS10_E_NS1_11comp_targetILNS1_3genE5ELNS1_11target_archE942ELNS1_3gpuE9ELNS1_3repE0EEENS1_48merge_mergepath_partition_config_static_selectorELNS0_4arch9wavefront6targetE0EEEvSM_.kd
    .uniform_work_group_size: 1
    .uses_dynamic_stack: false
    .vgpr_count:     0
    .vgpr_spill_count: 0
    .wavefront_size: 32
  - .args:
      - .offset:         0
        .size:           56
        .value_kind:     by_value
    .group_segment_fixed_size: 0
    .kernarg_segment_align: 8
    .kernarg_segment_size: 56
    .language:       OpenCL C
    .language_version:
      - 2
      - 0
    .max_flat_workgroup_size: 128
    .name:           _ZN7rocprim17ROCPRIM_400000_NS6detail17trampoline_kernelINS0_14default_configENS1_38merge_sort_block_merge_config_selectorIlNS0_10empty_typeEEEZZNS1_27merge_sort_block_merge_implIS3_PlPS5_mZN2at6native12_GLOBAL__N_124unique_dim_cuda_templateIfEESt5tupleIJNSA_6TensorESF_SF_EERKSF_lbbbEUlllE_EE10hipError_tT0_T1_T2_jT3_P12ihipStream_tbPNSt15iterator_traitsISL_E10value_typeEPNSR_ISM_E10value_typeEPSN_NS1_7vsmem_tEENKUlT_SL_SM_SN_E_clIS8_S8_S9_S9_EESK_S10_SL_SM_SN_EUlS10_E_NS1_11comp_targetILNS1_3genE4ELNS1_11target_archE910ELNS1_3gpuE8ELNS1_3repE0EEENS1_48merge_mergepath_partition_config_static_selectorELNS0_4arch9wavefront6targetE0EEEvSM_
    .private_segment_fixed_size: 0
    .sgpr_count:     0
    .sgpr_spill_count: 0
    .symbol:         _ZN7rocprim17ROCPRIM_400000_NS6detail17trampoline_kernelINS0_14default_configENS1_38merge_sort_block_merge_config_selectorIlNS0_10empty_typeEEEZZNS1_27merge_sort_block_merge_implIS3_PlPS5_mZN2at6native12_GLOBAL__N_124unique_dim_cuda_templateIfEESt5tupleIJNSA_6TensorESF_SF_EERKSF_lbbbEUlllE_EE10hipError_tT0_T1_T2_jT3_P12ihipStream_tbPNSt15iterator_traitsISL_E10value_typeEPNSR_ISM_E10value_typeEPSN_NS1_7vsmem_tEENKUlT_SL_SM_SN_E_clIS8_S8_S9_S9_EESK_S10_SL_SM_SN_EUlS10_E_NS1_11comp_targetILNS1_3genE4ELNS1_11target_archE910ELNS1_3gpuE8ELNS1_3repE0EEENS1_48merge_mergepath_partition_config_static_selectorELNS0_4arch9wavefront6targetE0EEEvSM_.kd
    .uniform_work_group_size: 1
    .uses_dynamic_stack: false
    .vgpr_count:     0
    .vgpr_spill_count: 0
    .wavefront_size: 32
  - .args:
      - .offset:         0
        .size:           56
        .value_kind:     by_value
    .group_segment_fixed_size: 0
    .kernarg_segment_align: 8
    .kernarg_segment_size: 56
    .language:       OpenCL C
    .language_version:
      - 2
      - 0
    .max_flat_workgroup_size: 128
    .name:           _ZN7rocprim17ROCPRIM_400000_NS6detail17trampoline_kernelINS0_14default_configENS1_38merge_sort_block_merge_config_selectorIlNS0_10empty_typeEEEZZNS1_27merge_sort_block_merge_implIS3_PlPS5_mZN2at6native12_GLOBAL__N_124unique_dim_cuda_templateIfEESt5tupleIJNSA_6TensorESF_SF_EERKSF_lbbbEUlllE_EE10hipError_tT0_T1_T2_jT3_P12ihipStream_tbPNSt15iterator_traitsISL_E10value_typeEPNSR_ISM_E10value_typeEPSN_NS1_7vsmem_tEENKUlT_SL_SM_SN_E_clIS8_S8_S9_S9_EESK_S10_SL_SM_SN_EUlS10_E_NS1_11comp_targetILNS1_3genE3ELNS1_11target_archE908ELNS1_3gpuE7ELNS1_3repE0EEENS1_48merge_mergepath_partition_config_static_selectorELNS0_4arch9wavefront6targetE0EEEvSM_
    .private_segment_fixed_size: 0
    .sgpr_count:     0
    .sgpr_spill_count: 0
    .symbol:         _ZN7rocprim17ROCPRIM_400000_NS6detail17trampoline_kernelINS0_14default_configENS1_38merge_sort_block_merge_config_selectorIlNS0_10empty_typeEEEZZNS1_27merge_sort_block_merge_implIS3_PlPS5_mZN2at6native12_GLOBAL__N_124unique_dim_cuda_templateIfEESt5tupleIJNSA_6TensorESF_SF_EERKSF_lbbbEUlllE_EE10hipError_tT0_T1_T2_jT3_P12ihipStream_tbPNSt15iterator_traitsISL_E10value_typeEPNSR_ISM_E10value_typeEPSN_NS1_7vsmem_tEENKUlT_SL_SM_SN_E_clIS8_S8_S9_S9_EESK_S10_SL_SM_SN_EUlS10_E_NS1_11comp_targetILNS1_3genE3ELNS1_11target_archE908ELNS1_3gpuE7ELNS1_3repE0EEENS1_48merge_mergepath_partition_config_static_selectorELNS0_4arch9wavefront6targetE0EEEvSM_.kd
    .uniform_work_group_size: 1
    .uses_dynamic_stack: false
    .vgpr_count:     0
    .vgpr_spill_count: 0
    .wavefront_size: 32
  - .args:
      - .offset:         0
        .size:           56
        .value_kind:     by_value
    .group_segment_fixed_size: 0
    .kernarg_segment_align: 8
    .kernarg_segment_size: 56
    .language:       OpenCL C
    .language_version:
      - 2
      - 0
    .max_flat_workgroup_size: 128
    .name:           _ZN7rocprim17ROCPRIM_400000_NS6detail17trampoline_kernelINS0_14default_configENS1_38merge_sort_block_merge_config_selectorIlNS0_10empty_typeEEEZZNS1_27merge_sort_block_merge_implIS3_PlPS5_mZN2at6native12_GLOBAL__N_124unique_dim_cuda_templateIfEESt5tupleIJNSA_6TensorESF_SF_EERKSF_lbbbEUlllE_EE10hipError_tT0_T1_T2_jT3_P12ihipStream_tbPNSt15iterator_traitsISL_E10value_typeEPNSR_ISM_E10value_typeEPSN_NS1_7vsmem_tEENKUlT_SL_SM_SN_E_clIS8_S8_S9_S9_EESK_S10_SL_SM_SN_EUlS10_E_NS1_11comp_targetILNS1_3genE2ELNS1_11target_archE906ELNS1_3gpuE6ELNS1_3repE0EEENS1_48merge_mergepath_partition_config_static_selectorELNS0_4arch9wavefront6targetE0EEEvSM_
    .private_segment_fixed_size: 0
    .sgpr_count:     0
    .sgpr_spill_count: 0
    .symbol:         _ZN7rocprim17ROCPRIM_400000_NS6detail17trampoline_kernelINS0_14default_configENS1_38merge_sort_block_merge_config_selectorIlNS0_10empty_typeEEEZZNS1_27merge_sort_block_merge_implIS3_PlPS5_mZN2at6native12_GLOBAL__N_124unique_dim_cuda_templateIfEESt5tupleIJNSA_6TensorESF_SF_EERKSF_lbbbEUlllE_EE10hipError_tT0_T1_T2_jT3_P12ihipStream_tbPNSt15iterator_traitsISL_E10value_typeEPNSR_ISM_E10value_typeEPSN_NS1_7vsmem_tEENKUlT_SL_SM_SN_E_clIS8_S8_S9_S9_EESK_S10_SL_SM_SN_EUlS10_E_NS1_11comp_targetILNS1_3genE2ELNS1_11target_archE906ELNS1_3gpuE6ELNS1_3repE0EEENS1_48merge_mergepath_partition_config_static_selectorELNS0_4arch9wavefront6targetE0EEEvSM_.kd
    .uniform_work_group_size: 1
    .uses_dynamic_stack: false
    .vgpr_count:     0
    .vgpr_spill_count: 0
    .wavefront_size: 32
  - .args:
      - .offset:         0
        .size:           56
        .value_kind:     by_value
    .group_segment_fixed_size: 0
    .kernarg_segment_align: 8
    .kernarg_segment_size: 56
    .language:       OpenCL C
    .language_version:
      - 2
      - 0
    .max_flat_workgroup_size: 128
    .name:           _ZN7rocprim17ROCPRIM_400000_NS6detail17trampoline_kernelINS0_14default_configENS1_38merge_sort_block_merge_config_selectorIlNS0_10empty_typeEEEZZNS1_27merge_sort_block_merge_implIS3_PlPS5_mZN2at6native12_GLOBAL__N_124unique_dim_cuda_templateIfEESt5tupleIJNSA_6TensorESF_SF_EERKSF_lbbbEUlllE_EE10hipError_tT0_T1_T2_jT3_P12ihipStream_tbPNSt15iterator_traitsISL_E10value_typeEPNSR_ISM_E10value_typeEPSN_NS1_7vsmem_tEENKUlT_SL_SM_SN_E_clIS8_S8_S9_S9_EESK_S10_SL_SM_SN_EUlS10_E_NS1_11comp_targetILNS1_3genE9ELNS1_11target_archE1100ELNS1_3gpuE3ELNS1_3repE0EEENS1_48merge_mergepath_partition_config_static_selectorELNS0_4arch9wavefront6targetE0EEEvSM_
    .private_segment_fixed_size: 0
    .sgpr_count:     0
    .sgpr_spill_count: 0
    .symbol:         _ZN7rocprim17ROCPRIM_400000_NS6detail17trampoline_kernelINS0_14default_configENS1_38merge_sort_block_merge_config_selectorIlNS0_10empty_typeEEEZZNS1_27merge_sort_block_merge_implIS3_PlPS5_mZN2at6native12_GLOBAL__N_124unique_dim_cuda_templateIfEESt5tupleIJNSA_6TensorESF_SF_EERKSF_lbbbEUlllE_EE10hipError_tT0_T1_T2_jT3_P12ihipStream_tbPNSt15iterator_traitsISL_E10value_typeEPNSR_ISM_E10value_typeEPSN_NS1_7vsmem_tEENKUlT_SL_SM_SN_E_clIS8_S8_S9_S9_EESK_S10_SL_SM_SN_EUlS10_E_NS1_11comp_targetILNS1_3genE9ELNS1_11target_archE1100ELNS1_3gpuE3ELNS1_3repE0EEENS1_48merge_mergepath_partition_config_static_selectorELNS0_4arch9wavefront6targetE0EEEvSM_.kd
    .uniform_work_group_size: 1
    .uses_dynamic_stack: false
    .vgpr_count:     0
    .vgpr_spill_count: 0
    .wavefront_size: 32
  - .args:
      - .offset:         0
        .size:           56
        .value_kind:     by_value
    .group_segment_fixed_size: 0
    .kernarg_segment_align: 8
    .kernarg_segment_size: 56
    .language:       OpenCL C
    .language_version:
      - 2
      - 0
    .max_flat_workgroup_size: 128
    .name:           _ZN7rocprim17ROCPRIM_400000_NS6detail17trampoline_kernelINS0_14default_configENS1_38merge_sort_block_merge_config_selectorIlNS0_10empty_typeEEEZZNS1_27merge_sort_block_merge_implIS3_PlPS5_mZN2at6native12_GLOBAL__N_124unique_dim_cuda_templateIfEESt5tupleIJNSA_6TensorESF_SF_EERKSF_lbbbEUlllE_EE10hipError_tT0_T1_T2_jT3_P12ihipStream_tbPNSt15iterator_traitsISL_E10value_typeEPNSR_ISM_E10value_typeEPSN_NS1_7vsmem_tEENKUlT_SL_SM_SN_E_clIS8_S8_S9_S9_EESK_S10_SL_SM_SN_EUlS10_E_NS1_11comp_targetILNS1_3genE8ELNS1_11target_archE1030ELNS1_3gpuE2ELNS1_3repE0EEENS1_48merge_mergepath_partition_config_static_selectorELNS0_4arch9wavefront6targetE0EEEvSM_
    .private_segment_fixed_size: 0
    .sgpr_count:     0
    .sgpr_spill_count: 0
    .symbol:         _ZN7rocprim17ROCPRIM_400000_NS6detail17trampoline_kernelINS0_14default_configENS1_38merge_sort_block_merge_config_selectorIlNS0_10empty_typeEEEZZNS1_27merge_sort_block_merge_implIS3_PlPS5_mZN2at6native12_GLOBAL__N_124unique_dim_cuda_templateIfEESt5tupleIJNSA_6TensorESF_SF_EERKSF_lbbbEUlllE_EE10hipError_tT0_T1_T2_jT3_P12ihipStream_tbPNSt15iterator_traitsISL_E10value_typeEPNSR_ISM_E10value_typeEPSN_NS1_7vsmem_tEENKUlT_SL_SM_SN_E_clIS8_S8_S9_S9_EESK_S10_SL_SM_SN_EUlS10_E_NS1_11comp_targetILNS1_3genE8ELNS1_11target_archE1030ELNS1_3gpuE2ELNS1_3repE0EEENS1_48merge_mergepath_partition_config_static_selectorELNS0_4arch9wavefront6targetE0EEEvSM_.kd
    .uniform_work_group_size: 1
    .uses_dynamic_stack: false
    .vgpr_count:     0
    .vgpr_spill_count: 0
    .wavefront_size: 32
  - .args:
      - .offset:         0
        .size:           88
        .value_kind:     by_value
      - .offset:         88
        .size:           4
        .value_kind:     hidden_block_count_x
      - .offset:         92
        .size:           4
        .value_kind:     hidden_block_count_y
      - .offset:         96
        .size:           4
        .value_kind:     hidden_block_count_z
      - .offset:         100
        .size:           2
        .value_kind:     hidden_group_size_x
      - .offset:         102
        .size:           2
        .value_kind:     hidden_group_size_y
      - .offset:         104
        .size:           2
        .value_kind:     hidden_group_size_z
      - .offset:         106
        .size:           2
        .value_kind:     hidden_remainder_x
      - .offset:         108
        .size:           2
        .value_kind:     hidden_remainder_y
      - .offset:         110
        .size:           2
        .value_kind:     hidden_remainder_z
      - .offset:         128
        .size:           8
        .value_kind:     hidden_global_offset_x
      - .offset:         136
        .size:           8
        .value_kind:     hidden_global_offset_y
      - .offset:         144
        .size:           8
        .value_kind:     hidden_global_offset_z
      - .offset:         152
        .size:           2
        .value_kind:     hidden_grid_dims
    .group_segment_fixed_size: 8448
    .kernarg_segment_align: 8
    .kernarg_segment_size: 344
    .language:       OpenCL C
    .language_version:
      - 2
      - 0
    .max_flat_workgroup_size: 128
    .name:           _ZN7rocprim17ROCPRIM_400000_NS6detail17trampoline_kernelINS0_14default_configENS1_38merge_sort_block_merge_config_selectorIlNS0_10empty_typeEEEZZNS1_27merge_sort_block_merge_implIS3_PlPS5_mZN2at6native12_GLOBAL__N_124unique_dim_cuda_templateIfEESt5tupleIJNSA_6TensorESF_SF_EERKSF_lbbbEUlllE_EE10hipError_tT0_T1_T2_jT3_P12ihipStream_tbPNSt15iterator_traitsISL_E10value_typeEPNSR_ISM_E10value_typeEPSN_NS1_7vsmem_tEENKUlT_SL_SM_SN_E_clIS8_S8_S9_S9_EESK_S10_SL_SM_SN_EUlS10_E0_NS1_11comp_targetILNS1_3genE0ELNS1_11target_archE4294967295ELNS1_3gpuE0ELNS1_3repE0EEENS1_38merge_mergepath_config_static_selectorELNS0_4arch9wavefront6targetE0EEEvSM_
    .private_segment_fixed_size: 0
    .sgpr_count:     34
    .sgpr_spill_count: 0
    .symbol:         _ZN7rocprim17ROCPRIM_400000_NS6detail17trampoline_kernelINS0_14default_configENS1_38merge_sort_block_merge_config_selectorIlNS0_10empty_typeEEEZZNS1_27merge_sort_block_merge_implIS3_PlPS5_mZN2at6native12_GLOBAL__N_124unique_dim_cuda_templateIfEESt5tupleIJNSA_6TensorESF_SF_EERKSF_lbbbEUlllE_EE10hipError_tT0_T1_T2_jT3_P12ihipStream_tbPNSt15iterator_traitsISL_E10value_typeEPNSR_ISM_E10value_typeEPSN_NS1_7vsmem_tEENKUlT_SL_SM_SN_E_clIS8_S8_S9_S9_EESK_S10_SL_SM_SN_EUlS10_E0_NS1_11comp_targetILNS1_3genE0ELNS1_11target_archE4294967295ELNS1_3gpuE0ELNS1_3repE0EEENS1_38merge_mergepath_config_static_selectorELNS0_4arch9wavefront6targetE0EEEvSM_.kd
    .uniform_work_group_size: 1
    .uses_dynamic_stack: false
    .vgpr_count:     40
    .vgpr_spill_count: 0
    .wavefront_size: 32
  - .args:
      - .offset:         0
        .size:           88
        .value_kind:     by_value
    .group_segment_fixed_size: 0
    .kernarg_segment_align: 8
    .kernarg_segment_size: 88
    .language:       OpenCL C
    .language_version:
      - 2
      - 0
    .max_flat_workgroup_size: 512
    .name:           _ZN7rocprim17ROCPRIM_400000_NS6detail17trampoline_kernelINS0_14default_configENS1_38merge_sort_block_merge_config_selectorIlNS0_10empty_typeEEEZZNS1_27merge_sort_block_merge_implIS3_PlPS5_mZN2at6native12_GLOBAL__N_124unique_dim_cuda_templateIfEESt5tupleIJNSA_6TensorESF_SF_EERKSF_lbbbEUlllE_EE10hipError_tT0_T1_T2_jT3_P12ihipStream_tbPNSt15iterator_traitsISL_E10value_typeEPNSR_ISM_E10value_typeEPSN_NS1_7vsmem_tEENKUlT_SL_SM_SN_E_clIS8_S8_S9_S9_EESK_S10_SL_SM_SN_EUlS10_E0_NS1_11comp_targetILNS1_3genE10ELNS1_11target_archE1201ELNS1_3gpuE5ELNS1_3repE0EEENS1_38merge_mergepath_config_static_selectorELNS0_4arch9wavefront6targetE0EEEvSM_
    .private_segment_fixed_size: 0
    .sgpr_count:     0
    .sgpr_spill_count: 0
    .symbol:         _ZN7rocprim17ROCPRIM_400000_NS6detail17trampoline_kernelINS0_14default_configENS1_38merge_sort_block_merge_config_selectorIlNS0_10empty_typeEEEZZNS1_27merge_sort_block_merge_implIS3_PlPS5_mZN2at6native12_GLOBAL__N_124unique_dim_cuda_templateIfEESt5tupleIJNSA_6TensorESF_SF_EERKSF_lbbbEUlllE_EE10hipError_tT0_T1_T2_jT3_P12ihipStream_tbPNSt15iterator_traitsISL_E10value_typeEPNSR_ISM_E10value_typeEPSN_NS1_7vsmem_tEENKUlT_SL_SM_SN_E_clIS8_S8_S9_S9_EESK_S10_SL_SM_SN_EUlS10_E0_NS1_11comp_targetILNS1_3genE10ELNS1_11target_archE1201ELNS1_3gpuE5ELNS1_3repE0EEENS1_38merge_mergepath_config_static_selectorELNS0_4arch9wavefront6targetE0EEEvSM_.kd
    .uniform_work_group_size: 1
    .uses_dynamic_stack: false
    .vgpr_count:     0
    .vgpr_spill_count: 0
    .wavefront_size: 32
  - .args:
      - .offset:         0
        .size:           88
        .value_kind:     by_value
    .group_segment_fixed_size: 0
    .kernarg_segment_align: 8
    .kernarg_segment_size: 88
    .language:       OpenCL C
    .language_version:
      - 2
      - 0
    .max_flat_workgroup_size: 128
    .name:           _ZN7rocprim17ROCPRIM_400000_NS6detail17trampoline_kernelINS0_14default_configENS1_38merge_sort_block_merge_config_selectorIlNS0_10empty_typeEEEZZNS1_27merge_sort_block_merge_implIS3_PlPS5_mZN2at6native12_GLOBAL__N_124unique_dim_cuda_templateIfEESt5tupleIJNSA_6TensorESF_SF_EERKSF_lbbbEUlllE_EE10hipError_tT0_T1_T2_jT3_P12ihipStream_tbPNSt15iterator_traitsISL_E10value_typeEPNSR_ISM_E10value_typeEPSN_NS1_7vsmem_tEENKUlT_SL_SM_SN_E_clIS8_S8_S9_S9_EESK_S10_SL_SM_SN_EUlS10_E0_NS1_11comp_targetILNS1_3genE5ELNS1_11target_archE942ELNS1_3gpuE9ELNS1_3repE0EEENS1_38merge_mergepath_config_static_selectorELNS0_4arch9wavefront6targetE0EEEvSM_
    .private_segment_fixed_size: 0
    .sgpr_count:     0
    .sgpr_spill_count: 0
    .symbol:         _ZN7rocprim17ROCPRIM_400000_NS6detail17trampoline_kernelINS0_14default_configENS1_38merge_sort_block_merge_config_selectorIlNS0_10empty_typeEEEZZNS1_27merge_sort_block_merge_implIS3_PlPS5_mZN2at6native12_GLOBAL__N_124unique_dim_cuda_templateIfEESt5tupleIJNSA_6TensorESF_SF_EERKSF_lbbbEUlllE_EE10hipError_tT0_T1_T2_jT3_P12ihipStream_tbPNSt15iterator_traitsISL_E10value_typeEPNSR_ISM_E10value_typeEPSN_NS1_7vsmem_tEENKUlT_SL_SM_SN_E_clIS8_S8_S9_S9_EESK_S10_SL_SM_SN_EUlS10_E0_NS1_11comp_targetILNS1_3genE5ELNS1_11target_archE942ELNS1_3gpuE9ELNS1_3repE0EEENS1_38merge_mergepath_config_static_selectorELNS0_4arch9wavefront6targetE0EEEvSM_.kd
    .uniform_work_group_size: 1
    .uses_dynamic_stack: false
    .vgpr_count:     0
    .vgpr_spill_count: 0
    .wavefront_size: 32
  - .args:
      - .offset:         0
        .size:           88
        .value_kind:     by_value
    .group_segment_fixed_size: 0
    .kernarg_segment_align: 8
    .kernarg_segment_size: 88
    .language:       OpenCL C
    .language_version:
      - 2
      - 0
    .max_flat_workgroup_size: 256
    .name:           _ZN7rocprim17ROCPRIM_400000_NS6detail17trampoline_kernelINS0_14default_configENS1_38merge_sort_block_merge_config_selectorIlNS0_10empty_typeEEEZZNS1_27merge_sort_block_merge_implIS3_PlPS5_mZN2at6native12_GLOBAL__N_124unique_dim_cuda_templateIfEESt5tupleIJNSA_6TensorESF_SF_EERKSF_lbbbEUlllE_EE10hipError_tT0_T1_T2_jT3_P12ihipStream_tbPNSt15iterator_traitsISL_E10value_typeEPNSR_ISM_E10value_typeEPSN_NS1_7vsmem_tEENKUlT_SL_SM_SN_E_clIS8_S8_S9_S9_EESK_S10_SL_SM_SN_EUlS10_E0_NS1_11comp_targetILNS1_3genE4ELNS1_11target_archE910ELNS1_3gpuE8ELNS1_3repE0EEENS1_38merge_mergepath_config_static_selectorELNS0_4arch9wavefront6targetE0EEEvSM_
    .private_segment_fixed_size: 0
    .sgpr_count:     0
    .sgpr_spill_count: 0
    .symbol:         _ZN7rocprim17ROCPRIM_400000_NS6detail17trampoline_kernelINS0_14default_configENS1_38merge_sort_block_merge_config_selectorIlNS0_10empty_typeEEEZZNS1_27merge_sort_block_merge_implIS3_PlPS5_mZN2at6native12_GLOBAL__N_124unique_dim_cuda_templateIfEESt5tupleIJNSA_6TensorESF_SF_EERKSF_lbbbEUlllE_EE10hipError_tT0_T1_T2_jT3_P12ihipStream_tbPNSt15iterator_traitsISL_E10value_typeEPNSR_ISM_E10value_typeEPSN_NS1_7vsmem_tEENKUlT_SL_SM_SN_E_clIS8_S8_S9_S9_EESK_S10_SL_SM_SN_EUlS10_E0_NS1_11comp_targetILNS1_3genE4ELNS1_11target_archE910ELNS1_3gpuE8ELNS1_3repE0EEENS1_38merge_mergepath_config_static_selectorELNS0_4arch9wavefront6targetE0EEEvSM_.kd
    .uniform_work_group_size: 1
    .uses_dynamic_stack: false
    .vgpr_count:     0
    .vgpr_spill_count: 0
    .wavefront_size: 32
  - .args:
      - .offset:         0
        .size:           88
        .value_kind:     by_value
    .group_segment_fixed_size: 0
    .kernarg_segment_align: 8
    .kernarg_segment_size: 88
    .language:       OpenCL C
    .language_version:
      - 2
      - 0
    .max_flat_workgroup_size: 128
    .name:           _ZN7rocprim17ROCPRIM_400000_NS6detail17trampoline_kernelINS0_14default_configENS1_38merge_sort_block_merge_config_selectorIlNS0_10empty_typeEEEZZNS1_27merge_sort_block_merge_implIS3_PlPS5_mZN2at6native12_GLOBAL__N_124unique_dim_cuda_templateIfEESt5tupleIJNSA_6TensorESF_SF_EERKSF_lbbbEUlllE_EE10hipError_tT0_T1_T2_jT3_P12ihipStream_tbPNSt15iterator_traitsISL_E10value_typeEPNSR_ISM_E10value_typeEPSN_NS1_7vsmem_tEENKUlT_SL_SM_SN_E_clIS8_S8_S9_S9_EESK_S10_SL_SM_SN_EUlS10_E0_NS1_11comp_targetILNS1_3genE3ELNS1_11target_archE908ELNS1_3gpuE7ELNS1_3repE0EEENS1_38merge_mergepath_config_static_selectorELNS0_4arch9wavefront6targetE0EEEvSM_
    .private_segment_fixed_size: 0
    .sgpr_count:     0
    .sgpr_spill_count: 0
    .symbol:         _ZN7rocprim17ROCPRIM_400000_NS6detail17trampoline_kernelINS0_14default_configENS1_38merge_sort_block_merge_config_selectorIlNS0_10empty_typeEEEZZNS1_27merge_sort_block_merge_implIS3_PlPS5_mZN2at6native12_GLOBAL__N_124unique_dim_cuda_templateIfEESt5tupleIJNSA_6TensorESF_SF_EERKSF_lbbbEUlllE_EE10hipError_tT0_T1_T2_jT3_P12ihipStream_tbPNSt15iterator_traitsISL_E10value_typeEPNSR_ISM_E10value_typeEPSN_NS1_7vsmem_tEENKUlT_SL_SM_SN_E_clIS8_S8_S9_S9_EESK_S10_SL_SM_SN_EUlS10_E0_NS1_11comp_targetILNS1_3genE3ELNS1_11target_archE908ELNS1_3gpuE7ELNS1_3repE0EEENS1_38merge_mergepath_config_static_selectorELNS0_4arch9wavefront6targetE0EEEvSM_.kd
    .uniform_work_group_size: 1
    .uses_dynamic_stack: false
    .vgpr_count:     0
    .vgpr_spill_count: 0
    .wavefront_size: 32
  - .args:
      - .offset:         0
        .size:           88
        .value_kind:     by_value
    .group_segment_fixed_size: 0
    .kernarg_segment_align: 8
    .kernarg_segment_size: 88
    .language:       OpenCL C
    .language_version:
      - 2
      - 0
    .max_flat_workgroup_size: 256
    .name:           _ZN7rocprim17ROCPRIM_400000_NS6detail17trampoline_kernelINS0_14default_configENS1_38merge_sort_block_merge_config_selectorIlNS0_10empty_typeEEEZZNS1_27merge_sort_block_merge_implIS3_PlPS5_mZN2at6native12_GLOBAL__N_124unique_dim_cuda_templateIfEESt5tupleIJNSA_6TensorESF_SF_EERKSF_lbbbEUlllE_EE10hipError_tT0_T1_T2_jT3_P12ihipStream_tbPNSt15iterator_traitsISL_E10value_typeEPNSR_ISM_E10value_typeEPSN_NS1_7vsmem_tEENKUlT_SL_SM_SN_E_clIS8_S8_S9_S9_EESK_S10_SL_SM_SN_EUlS10_E0_NS1_11comp_targetILNS1_3genE2ELNS1_11target_archE906ELNS1_3gpuE6ELNS1_3repE0EEENS1_38merge_mergepath_config_static_selectorELNS0_4arch9wavefront6targetE0EEEvSM_
    .private_segment_fixed_size: 0
    .sgpr_count:     0
    .sgpr_spill_count: 0
    .symbol:         _ZN7rocprim17ROCPRIM_400000_NS6detail17trampoline_kernelINS0_14default_configENS1_38merge_sort_block_merge_config_selectorIlNS0_10empty_typeEEEZZNS1_27merge_sort_block_merge_implIS3_PlPS5_mZN2at6native12_GLOBAL__N_124unique_dim_cuda_templateIfEESt5tupleIJNSA_6TensorESF_SF_EERKSF_lbbbEUlllE_EE10hipError_tT0_T1_T2_jT3_P12ihipStream_tbPNSt15iterator_traitsISL_E10value_typeEPNSR_ISM_E10value_typeEPSN_NS1_7vsmem_tEENKUlT_SL_SM_SN_E_clIS8_S8_S9_S9_EESK_S10_SL_SM_SN_EUlS10_E0_NS1_11comp_targetILNS1_3genE2ELNS1_11target_archE906ELNS1_3gpuE6ELNS1_3repE0EEENS1_38merge_mergepath_config_static_selectorELNS0_4arch9wavefront6targetE0EEEvSM_.kd
    .uniform_work_group_size: 1
    .uses_dynamic_stack: false
    .vgpr_count:     0
    .vgpr_spill_count: 0
    .wavefront_size: 32
  - .args:
      - .offset:         0
        .size:           88
        .value_kind:     by_value
    .group_segment_fixed_size: 0
    .kernarg_segment_align: 8
    .kernarg_segment_size: 88
    .language:       OpenCL C
    .language_version:
      - 2
      - 0
    .max_flat_workgroup_size: 512
    .name:           _ZN7rocprim17ROCPRIM_400000_NS6detail17trampoline_kernelINS0_14default_configENS1_38merge_sort_block_merge_config_selectorIlNS0_10empty_typeEEEZZNS1_27merge_sort_block_merge_implIS3_PlPS5_mZN2at6native12_GLOBAL__N_124unique_dim_cuda_templateIfEESt5tupleIJNSA_6TensorESF_SF_EERKSF_lbbbEUlllE_EE10hipError_tT0_T1_T2_jT3_P12ihipStream_tbPNSt15iterator_traitsISL_E10value_typeEPNSR_ISM_E10value_typeEPSN_NS1_7vsmem_tEENKUlT_SL_SM_SN_E_clIS8_S8_S9_S9_EESK_S10_SL_SM_SN_EUlS10_E0_NS1_11comp_targetILNS1_3genE9ELNS1_11target_archE1100ELNS1_3gpuE3ELNS1_3repE0EEENS1_38merge_mergepath_config_static_selectorELNS0_4arch9wavefront6targetE0EEEvSM_
    .private_segment_fixed_size: 0
    .sgpr_count:     0
    .sgpr_spill_count: 0
    .symbol:         _ZN7rocprim17ROCPRIM_400000_NS6detail17trampoline_kernelINS0_14default_configENS1_38merge_sort_block_merge_config_selectorIlNS0_10empty_typeEEEZZNS1_27merge_sort_block_merge_implIS3_PlPS5_mZN2at6native12_GLOBAL__N_124unique_dim_cuda_templateIfEESt5tupleIJNSA_6TensorESF_SF_EERKSF_lbbbEUlllE_EE10hipError_tT0_T1_T2_jT3_P12ihipStream_tbPNSt15iterator_traitsISL_E10value_typeEPNSR_ISM_E10value_typeEPSN_NS1_7vsmem_tEENKUlT_SL_SM_SN_E_clIS8_S8_S9_S9_EESK_S10_SL_SM_SN_EUlS10_E0_NS1_11comp_targetILNS1_3genE9ELNS1_11target_archE1100ELNS1_3gpuE3ELNS1_3repE0EEENS1_38merge_mergepath_config_static_selectorELNS0_4arch9wavefront6targetE0EEEvSM_.kd
    .uniform_work_group_size: 1
    .uses_dynamic_stack: false
    .vgpr_count:     0
    .vgpr_spill_count: 0
    .wavefront_size: 32
  - .args:
      - .offset:         0
        .size:           88
        .value_kind:     by_value
    .group_segment_fixed_size: 0
    .kernarg_segment_align: 8
    .kernarg_segment_size: 88
    .language:       OpenCL C
    .language_version:
      - 2
      - 0
    .max_flat_workgroup_size: 1024
    .name:           _ZN7rocprim17ROCPRIM_400000_NS6detail17trampoline_kernelINS0_14default_configENS1_38merge_sort_block_merge_config_selectorIlNS0_10empty_typeEEEZZNS1_27merge_sort_block_merge_implIS3_PlPS5_mZN2at6native12_GLOBAL__N_124unique_dim_cuda_templateIfEESt5tupleIJNSA_6TensorESF_SF_EERKSF_lbbbEUlllE_EE10hipError_tT0_T1_T2_jT3_P12ihipStream_tbPNSt15iterator_traitsISL_E10value_typeEPNSR_ISM_E10value_typeEPSN_NS1_7vsmem_tEENKUlT_SL_SM_SN_E_clIS8_S8_S9_S9_EESK_S10_SL_SM_SN_EUlS10_E0_NS1_11comp_targetILNS1_3genE8ELNS1_11target_archE1030ELNS1_3gpuE2ELNS1_3repE0EEENS1_38merge_mergepath_config_static_selectorELNS0_4arch9wavefront6targetE0EEEvSM_
    .private_segment_fixed_size: 0
    .sgpr_count:     0
    .sgpr_spill_count: 0
    .symbol:         _ZN7rocprim17ROCPRIM_400000_NS6detail17trampoline_kernelINS0_14default_configENS1_38merge_sort_block_merge_config_selectorIlNS0_10empty_typeEEEZZNS1_27merge_sort_block_merge_implIS3_PlPS5_mZN2at6native12_GLOBAL__N_124unique_dim_cuda_templateIfEESt5tupleIJNSA_6TensorESF_SF_EERKSF_lbbbEUlllE_EE10hipError_tT0_T1_T2_jT3_P12ihipStream_tbPNSt15iterator_traitsISL_E10value_typeEPNSR_ISM_E10value_typeEPSN_NS1_7vsmem_tEENKUlT_SL_SM_SN_E_clIS8_S8_S9_S9_EESK_S10_SL_SM_SN_EUlS10_E0_NS1_11comp_targetILNS1_3genE8ELNS1_11target_archE1030ELNS1_3gpuE2ELNS1_3repE0EEENS1_38merge_mergepath_config_static_selectorELNS0_4arch9wavefront6targetE0EEEvSM_.kd
    .uniform_work_group_size: 1
    .uses_dynamic_stack: false
    .vgpr_count:     0
    .vgpr_spill_count: 0
    .wavefront_size: 32
  - .args:
      - .offset:         0
        .size:           64
        .value_kind:     by_value
    .group_segment_fixed_size: 0
    .kernarg_segment_align: 8
    .kernarg_segment_size: 64
    .language:       OpenCL C
    .language_version:
      - 2
      - 0
    .max_flat_workgroup_size: 256
    .name:           _ZN7rocprim17ROCPRIM_400000_NS6detail17trampoline_kernelINS0_14default_configENS1_38merge_sort_block_merge_config_selectorIlNS0_10empty_typeEEEZZNS1_27merge_sort_block_merge_implIS3_PlPS5_mZN2at6native12_GLOBAL__N_124unique_dim_cuda_templateIfEESt5tupleIJNSA_6TensorESF_SF_EERKSF_lbbbEUlllE_EE10hipError_tT0_T1_T2_jT3_P12ihipStream_tbPNSt15iterator_traitsISL_E10value_typeEPNSR_ISM_E10value_typeEPSN_NS1_7vsmem_tEENKUlT_SL_SM_SN_E_clIS8_S8_S9_S9_EESK_S10_SL_SM_SN_EUlS10_E1_NS1_11comp_targetILNS1_3genE0ELNS1_11target_archE4294967295ELNS1_3gpuE0ELNS1_3repE0EEENS1_36merge_oddeven_config_static_selectorELNS0_4arch9wavefront6targetE0EEEvSM_
    .private_segment_fixed_size: 0
    .sgpr_count:     31
    .sgpr_spill_count: 0
    .symbol:         _ZN7rocprim17ROCPRIM_400000_NS6detail17trampoline_kernelINS0_14default_configENS1_38merge_sort_block_merge_config_selectorIlNS0_10empty_typeEEEZZNS1_27merge_sort_block_merge_implIS3_PlPS5_mZN2at6native12_GLOBAL__N_124unique_dim_cuda_templateIfEESt5tupleIJNSA_6TensorESF_SF_EERKSF_lbbbEUlllE_EE10hipError_tT0_T1_T2_jT3_P12ihipStream_tbPNSt15iterator_traitsISL_E10value_typeEPNSR_ISM_E10value_typeEPSN_NS1_7vsmem_tEENKUlT_SL_SM_SN_E_clIS8_S8_S9_S9_EESK_S10_SL_SM_SN_EUlS10_E1_NS1_11comp_targetILNS1_3genE0ELNS1_11target_archE4294967295ELNS1_3gpuE0ELNS1_3repE0EEENS1_36merge_oddeven_config_static_selectorELNS0_4arch9wavefront6targetE0EEEvSM_.kd
    .uniform_work_group_size: 1
    .uses_dynamic_stack: false
    .vgpr_count:     17
    .vgpr_spill_count: 0
    .wavefront_size: 32
  - .args:
      - .offset:         0
        .size:           64
        .value_kind:     by_value
    .group_segment_fixed_size: 0
    .kernarg_segment_align: 8
    .kernarg_segment_size: 64
    .language:       OpenCL C
    .language_version:
      - 2
      - 0
    .max_flat_workgroup_size: 256
    .name:           _ZN7rocprim17ROCPRIM_400000_NS6detail17trampoline_kernelINS0_14default_configENS1_38merge_sort_block_merge_config_selectorIlNS0_10empty_typeEEEZZNS1_27merge_sort_block_merge_implIS3_PlPS5_mZN2at6native12_GLOBAL__N_124unique_dim_cuda_templateIfEESt5tupleIJNSA_6TensorESF_SF_EERKSF_lbbbEUlllE_EE10hipError_tT0_T1_T2_jT3_P12ihipStream_tbPNSt15iterator_traitsISL_E10value_typeEPNSR_ISM_E10value_typeEPSN_NS1_7vsmem_tEENKUlT_SL_SM_SN_E_clIS8_S8_S9_S9_EESK_S10_SL_SM_SN_EUlS10_E1_NS1_11comp_targetILNS1_3genE10ELNS1_11target_archE1201ELNS1_3gpuE5ELNS1_3repE0EEENS1_36merge_oddeven_config_static_selectorELNS0_4arch9wavefront6targetE0EEEvSM_
    .private_segment_fixed_size: 0
    .sgpr_count:     0
    .sgpr_spill_count: 0
    .symbol:         _ZN7rocprim17ROCPRIM_400000_NS6detail17trampoline_kernelINS0_14default_configENS1_38merge_sort_block_merge_config_selectorIlNS0_10empty_typeEEEZZNS1_27merge_sort_block_merge_implIS3_PlPS5_mZN2at6native12_GLOBAL__N_124unique_dim_cuda_templateIfEESt5tupleIJNSA_6TensorESF_SF_EERKSF_lbbbEUlllE_EE10hipError_tT0_T1_T2_jT3_P12ihipStream_tbPNSt15iterator_traitsISL_E10value_typeEPNSR_ISM_E10value_typeEPSN_NS1_7vsmem_tEENKUlT_SL_SM_SN_E_clIS8_S8_S9_S9_EESK_S10_SL_SM_SN_EUlS10_E1_NS1_11comp_targetILNS1_3genE10ELNS1_11target_archE1201ELNS1_3gpuE5ELNS1_3repE0EEENS1_36merge_oddeven_config_static_selectorELNS0_4arch9wavefront6targetE0EEEvSM_.kd
    .uniform_work_group_size: 1
    .uses_dynamic_stack: false
    .vgpr_count:     0
    .vgpr_spill_count: 0
    .wavefront_size: 32
  - .args:
      - .offset:         0
        .size:           64
        .value_kind:     by_value
    .group_segment_fixed_size: 0
    .kernarg_segment_align: 8
    .kernarg_segment_size: 64
    .language:       OpenCL C
    .language_version:
      - 2
      - 0
    .max_flat_workgroup_size: 256
    .name:           _ZN7rocprim17ROCPRIM_400000_NS6detail17trampoline_kernelINS0_14default_configENS1_38merge_sort_block_merge_config_selectorIlNS0_10empty_typeEEEZZNS1_27merge_sort_block_merge_implIS3_PlPS5_mZN2at6native12_GLOBAL__N_124unique_dim_cuda_templateIfEESt5tupleIJNSA_6TensorESF_SF_EERKSF_lbbbEUlllE_EE10hipError_tT0_T1_T2_jT3_P12ihipStream_tbPNSt15iterator_traitsISL_E10value_typeEPNSR_ISM_E10value_typeEPSN_NS1_7vsmem_tEENKUlT_SL_SM_SN_E_clIS8_S8_S9_S9_EESK_S10_SL_SM_SN_EUlS10_E1_NS1_11comp_targetILNS1_3genE5ELNS1_11target_archE942ELNS1_3gpuE9ELNS1_3repE0EEENS1_36merge_oddeven_config_static_selectorELNS0_4arch9wavefront6targetE0EEEvSM_
    .private_segment_fixed_size: 0
    .sgpr_count:     0
    .sgpr_spill_count: 0
    .symbol:         _ZN7rocprim17ROCPRIM_400000_NS6detail17trampoline_kernelINS0_14default_configENS1_38merge_sort_block_merge_config_selectorIlNS0_10empty_typeEEEZZNS1_27merge_sort_block_merge_implIS3_PlPS5_mZN2at6native12_GLOBAL__N_124unique_dim_cuda_templateIfEESt5tupleIJNSA_6TensorESF_SF_EERKSF_lbbbEUlllE_EE10hipError_tT0_T1_T2_jT3_P12ihipStream_tbPNSt15iterator_traitsISL_E10value_typeEPNSR_ISM_E10value_typeEPSN_NS1_7vsmem_tEENKUlT_SL_SM_SN_E_clIS8_S8_S9_S9_EESK_S10_SL_SM_SN_EUlS10_E1_NS1_11comp_targetILNS1_3genE5ELNS1_11target_archE942ELNS1_3gpuE9ELNS1_3repE0EEENS1_36merge_oddeven_config_static_selectorELNS0_4arch9wavefront6targetE0EEEvSM_.kd
    .uniform_work_group_size: 1
    .uses_dynamic_stack: false
    .vgpr_count:     0
    .vgpr_spill_count: 0
    .wavefront_size: 32
  - .args:
      - .offset:         0
        .size:           64
        .value_kind:     by_value
    .group_segment_fixed_size: 0
    .kernarg_segment_align: 8
    .kernarg_segment_size: 64
    .language:       OpenCL C
    .language_version:
      - 2
      - 0
    .max_flat_workgroup_size: 256
    .name:           _ZN7rocprim17ROCPRIM_400000_NS6detail17trampoline_kernelINS0_14default_configENS1_38merge_sort_block_merge_config_selectorIlNS0_10empty_typeEEEZZNS1_27merge_sort_block_merge_implIS3_PlPS5_mZN2at6native12_GLOBAL__N_124unique_dim_cuda_templateIfEESt5tupleIJNSA_6TensorESF_SF_EERKSF_lbbbEUlllE_EE10hipError_tT0_T1_T2_jT3_P12ihipStream_tbPNSt15iterator_traitsISL_E10value_typeEPNSR_ISM_E10value_typeEPSN_NS1_7vsmem_tEENKUlT_SL_SM_SN_E_clIS8_S8_S9_S9_EESK_S10_SL_SM_SN_EUlS10_E1_NS1_11comp_targetILNS1_3genE4ELNS1_11target_archE910ELNS1_3gpuE8ELNS1_3repE0EEENS1_36merge_oddeven_config_static_selectorELNS0_4arch9wavefront6targetE0EEEvSM_
    .private_segment_fixed_size: 0
    .sgpr_count:     0
    .sgpr_spill_count: 0
    .symbol:         _ZN7rocprim17ROCPRIM_400000_NS6detail17trampoline_kernelINS0_14default_configENS1_38merge_sort_block_merge_config_selectorIlNS0_10empty_typeEEEZZNS1_27merge_sort_block_merge_implIS3_PlPS5_mZN2at6native12_GLOBAL__N_124unique_dim_cuda_templateIfEESt5tupleIJNSA_6TensorESF_SF_EERKSF_lbbbEUlllE_EE10hipError_tT0_T1_T2_jT3_P12ihipStream_tbPNSt15iterator_traitsISL_E10value_typeEPNSR_ISM_E10value_typeEPSN_NS1_7vsmem_tEENKUlT_SL_SM_SN_E_clIS8_S8_S9_S9_EESK_S10_SL_SM_SN_EUlS10_E1_NS1_11comp_targetILNS1_3genE4ELNS1_11target_archE910ELNS1_3gpuE8ELNS1_3repE0EEENS1_36merge_oddeven_config_static_selectorELNS0_4arch9wavefront6targetE0EEEvSM_.kd
    .uniform_work_group_size: 1
    .uses_dynamic_stack: false
    .vgpr_count:     0
    .vgpr_spill_count: 0
    .wavefront_size: 32
  - .args:
      - .offset:         0
        .size:           64
        .value_kind:     by_value
    .group_segment_fixed_size: 0
    .kernarg_segment_align: 8
    .kernarg_segment_size: 64
    .language:       OpenCL C
    .language_version:
      - 2
      - 0
    .max_flat_workgroup_size: 256
    .name:           _ZN7rocprim17ROCPRIM_400000_NS6detail17trampoline_kernelINS0_14default_configENS1_38merge_sort_block_merge_config_selectorIlNS0_10empty_typeEEEZZNS1_27merge_sort_block_merge_implIS3_PlPS5_mZN2at6native12_GLOBAL__N_124unique_dim_cuda_templateIfEESt5tupleIJNSA_6TensorESF_SF_EERKSF_lbbbEUlllE_EE10hipError_tT0_T1_T2_jT3_P12ihipStream_tbPNSt15iterator_traitsISL_E10value_typeEPNSR_ISM_E10value_typeEPSN_NS1_7vsmem_tEENKUlT_SL_SM_SN_E_clIS8_S8_S9_S9_EESK_S10_SL_SM_SN_EUlS10_E1_NS1_11comp_targetILNS1_3genE3ELNS1_11target_archE908ELNS1_3gpuE7ELNS1_3repE0EEENS1_36merge_oddeven_config_static_selectorELNS0_4arch9wavefront6targetE0EEEvSM_
    .private_segment_fixed_size: 0
    .sgpr_count:     0
    .sgpr_spill_count: 0
    .symbol:         _ZN7rocprim17ROCPRIM_400000_NS6detail17trampoline_kernelINS0_14default_configENS1_38merge_sort_block_merge_config_selectorIlNS0_10empty_typeEEEZZNS1_27merge_sort_block_merge_implIS3_PlPS5_mZN2at6native12_GLOBAL__N_124unique_dim_cuda_templateIfEESt5tupleIJNSA_6TensorESF_SF_EERKSF_lbbbEUlllE_EE10hipError_tT0_T1_T2_jT3_P12ihipStream_tbPNSt15iterator_traitsISL_E10value_typeEPNSR_ISM_E10value_typeEPSN_NS1_7vsmem_tEENKUlT_SL_SM_SN_E_clIS8_S8_S9_S9_EESK_S10_SL_SM_SN_EUlS10_E1_NS1_11comp_targetILNS1_3genE3ELNS1_11target_archE908ELNS1_3gpuE7ELNS1_3repE0EEENS1_36merge_oddeven_config_static_selectorELNS0_4arch9wavefront6targetE0EEEvSM_.kd
    .uniform_work_group_size: 1
    .uses_dynamic_stack: false
    .vgpr_count:     0
    .vgpr_spill_count: 0
    .wavefront_size: 32
  - .args:
      - .offset:         0
        .size:           64
        .value_kind:     by_value
    .group_segment_fixed_size: 0
    .kernarg_segment_align: 8
    .kernarg_segment_size: 64
    .language:       OpenCL C
    .language_version:
      - 2
      - 0
    .max_flat_workgroup_size: 256
    .name:           _ZN7rocprim17ROCPRIM_400000_NS6detail17trampoline_kernelINS0_14default_configENS1_38merge_sort_block_merge_config_selectorIlNS0_10empty_typeEEEZZNS1_27merge_sort_block_merge_implIS3_PlPS5_mZN2at6native12_GLOBAL__N_124unique_dim_cuda_templateIfEESt5tupleIJNSA_6TensorESF_SF_EERKSF_lbbbEUlllE_EE10hipError_tT0_T1_T2_jT3_P12ihipStream_tbPNSt15iterator_traitsISL_E10value_typeEPNSR_ISM_E10value_typeEPSN_NS1_7vsmem_tEENKUlT_SL_SM_SN_E_clIS8_S8_S9_S9_EESK_S10_SL_SM_SN_EUlS10_E1_NS1_11comp_targetILNS1_3genE2ELNS1_11target_archE906ELNS1_3gpuE6ELNS1_3repE0EEENS1_36merge_oddeven_config_static_selectorELNS0_4arch9wavefront6targetE0EEEvSM_
    .private_segment_fixed_size: 0
    .sgpr_count:     0
    .sgpr_spill_count: 0
    .symbol:         _ZN7rocprim17ROCPRIM_400000_NS6detail17trampoline_kernelINS0_14default_configENS1_38merge_sort_block_merge_config_selectorIlNS0_10empty_typeEEEZZNS1_27merge_sort_block_merge_implIS3_PlPS5_mZN2at6native12_GLOBAL__N_124unique_dim_cuda_templateIfEESt5tupleIJNSA_6TensorESF_SF_EERKSF_lbbbEUlllE_EE10hipError_tT0_T1_T2_jT3_P12ihipStream_tbPNSt15iterator_traitsISL_E10value_typeEPNSR_ISM_E10value_typeEPSN_NS1_7vsmem_tEENKUlT_SL_SM_SN_E_clIS8_S8_S9_S9_EESK_S10_SL_SM_SN_EUlS10_E1_NS1_11comp_targetILNS1_3genE2ELNS1_11target_archE906ELNS1_3gpuE6ELNS1_3repE0EEENS1_36merge_oddeven_config_static_selectorELNS0_4arch9wavefront6targetE0EEEvSM_.kd
    .uniform_work_group_size: 1
    .uses_dynamic_stack: false
    .vgpr_count:     0
    .vgpr_spill_count: 0
    .wavefront_size: 32
  - .args:
      - .offset:         0
        .size:           64
        .value_kind:     by_value
    .group_segment_fixed_size: 0
    .kernarg_segment_align: 8
    .kernarg_segment_size: 64
    .language:       OpenCL C
    .language_version:
      - 2
      - 0
    .max_flat_workgroup_size: 256
    .name:           _ZN7rocprim17ROCPRIM_400000_NS6detail17trampoline_kernelINS0_14default_configENS1_38merge_sort_block_merge_config_selectorIlNS0_10empty_typeEEEZZNS1_27merge_sort_block_merge_implIS3_PlPS5_mZN2at6native12_GLOBAL__N_124unique_dim_cuda_templateIfEESt5tupleIJNSA_6TensorESF_SF_EERKSF_lbbbEUlllE_EE10hipError_tT0_T1_T2_jT3_P12ihipStream_tbPNSt15iterator_traitsISL_E10value_typeEPNSR_ISM_E10value_typeEPSN_NS1_7vsmem_tEENKUlT_SL_SM_SN_E_clIS8_S8_S9_S9_EESK_S10_SL_SM_SN_EUlS10_E1_NS1_11comp_targetILNS1_3genE9ELNS1_11target_archE1100ELNS1_3gpuE3ELNS1_3repE0EEENS1_36merge_oddeven_config_static_selectorELNS0_4arch9wavefront6targetE0EEEvSM_
    .private_segment_fixed_size: 0
    .sgpr_count:     0
    .sgpr_spill_count: 0
    .symbol:         _ZN7rocprim17ROCPRIM_400000_NS6detail17trampoline_kernelINS0_14default_configENS1_38merge_sort_block_merge_config_selectorIlNS0_10empty_typeEEEZZNS1_27merge_sort_block_merge_implIS3_PlPS5_mZN2at6native12_GLOBAL__N_124unique_dim_cuda_templateIfEESt5tupleIJNSA_6TensorESF_SF_EERKSF_lbbbEUlllE_EE10hipError_tT0_T1_T2_jT3_P12ihipStream_tbPNSt15iterator_traitsISL_E10value_typeEPNSR_ISM_E10value_typeEPSN_NS1_7vsmem_tEENKUlT_SL_SM_SN_E_clIS8_S8_S9_S9_EESK_S10_SL_SM_SN_EUlS10_E1_NS1_11comp_targetILNS1_3genE9ELNS1_11target_archE1100ELNS1_3gpuE3ELNS1_3repE0EEENS1_36merge_oddeven_config_static_selectorELNS0_4arch9wavefront6targetE0EEEvSM_.kd
    .uniform_work_group_size: 1
    .uses_dynamic_stack: false
    .vgpr_count:     0
    .vgpr_spill_count: 0
    .wavefront_size: 32
  - .args:
      - .offset:         0
        .size:           64
        .value_kind:     by_value
    .group_segment_fixed_size: 0
    .kernarg_segment_align: 8
    .kernarg_segment_size: 64
    .language:       OpenCL C
    .language_version:
      - 2
      - 0
    .max_flat_workgroup_size: 256
    .name:           _ZN7rocprim17ROCPRIM_400000_NS6detail17trampoline_kernelINS0_14default_configENS1_38merge_sort_block_merge_config_selectorIlNS0_10empty_typeEEEZZNS1_27merge_sort_block_merge_implIS3_PlPS5_mZN2at6native12_GLOBAL__N_124unique_dim_cuda_templateIfEESt5tupleIJNSA_6TensorESF_SF_EERKSF_lbbbEUlllE_EE10hipError_tT0_T1_T2_jT3_P12ihipStream_tbPNSt15iterator_traitsISL_E10value_typeEPNSR_ISM_E10value_typeEPSN_NS1_7vsmem_tEENKUlT_SL_SM_SN_E_clIS8_S8_S9_S9_EESK_S10_SL_SM_SN_EUlS10_E1_NS1_11comp_targetILNS1_3genE8ELNS1_11target_archE1030ELNS1_3gpuE2ELNS1_3repE0EEENS1_36merge_oddeven_config_static_selectorELNS0_4arch9wavefront6targetE0EEEvSM_
    .private_segment_fixed_size: 0
    .sgpr_count:     0
    .sgpr_spill_count: 0
    .symbol:         _ZN7rocprim17ROCPRIM_400000_NS6detail17trampoline_kernelINS0_14default_configENS1_38merge_sort_block_merge_config_selectorIlNS0_10empty_typeEEEZZNS1_27merge_sort_block_merge_implIS3_PlPS5_mZN2at6native12_GLOBAL__N_124unique_dim_cuda_templateIfEESt5tupleIJNSA_6TensorESF_SF_EERKSF_lbbbEUlllE_EE10hipError_tT0_T1_T2_jT3_P12ihipStream_tbPNSt15iterator_traitsISL_E10value_typeEPNSR_ISM_E10value_typeEPSN_NS1_7vsmem_tEENKUlT_SL_SM_SN_E_clIS8_S8_S9_S9_EESK_S10_SL_SM_SN_EUlS10_E1_NS1_11comp_targetILNS1_3genE8ELNS1_11target_archE1030ELNS1_3gpuE2ELNS1_3repE0EEENS1_36merge_oddeven_config_static_selectorELNS0_4arch9wavefront6targetE0EEEvSM_.kd
    .uniform_work_group_size: 1
    .uses_dynamic_stack: false
    .vgpr_count:     0
    .vgpr_spill_count: 0
    .wavefront_size: 32
  - .args:
      - .offset:         0
        .size:           64
        .value_kind:     by_value
    .group_segment_fixed_size: 2048
    .kernarg_segment_align: 8
    .kernarg_segment_size: 64
    .language:       OpenCL C
    .language_version:
      - 2
      - 0
    .max_flat_workgroup_size: 128
    .name:           _ZN7rocprim17ROCPRIM_400000_NS6detail17trampoline_kernelINS0_14default_configENS1_35adjacent_difference_config_selectorILb0ElEEZNS1_24adjacent_difference_implIS3_Lb0ELb0EPlS7_ZN2at6native12_GLOBAL__N_124unique_dim_cuda_templateIfEESt5tupleIJNS8_6TensorESD_SD_EERKSD_lbbbEUlllE1_EE10hipError_tPvRmT2_T3_mT4_P12ihipStream_tbEUlT_E_NS1_11comp_targetILNS1_3genE0ELNS1_11target_archE4294967295ELNS1_3gpuE0ELNS1_3repE0EEENS1_30default_config_static_selectorELNS0_4arch9wavefront6targetE0EEEvT1_
    .private_segment_fixed_size: 0
    .sgpr_count:     26
    .sgpr_spill_count: 0
    .symbol:         _ZN7rocprim17ROCPRIM_400000_NS6detail17trampoline_kernelINS0_14default_configENS1_35adjacent_difference_config_selectorILb0ElEEZNS1_24adjacent_difference_implIS3_Lb0ELb0EPlS7_ZN2at6native12_GLOBAL__N_124unique_dim_cuda_templateIfEESt5tupleIJNS8_6TensorESD_SD_EERKSD_lbbbEUlllE1_EE10hipError_tPvRmT2_T3_mT4_P12ihipStream_tbEUlT_E_NS1_11comp_targetILNS1_3genE0ELNS1_11target_archE4294967295ELNS1_3gpuE0ELNS1_3repE0EEENS1_30default_config_static_selectorELNS0_4arch9wavefront6targetE0EEEvT1_.kd
    .uniform_work_group_size: 1
    .uses_dynamic_stack: false
    .vgpr_count:     11
    .vgpr_spill_count: 0
    .wavefront_size: 32
  - .args:
      - .offset:         0
        .size:           64
        .value_kind:     by_value
    .group_segment_fixed_size: 0
    .kernarg_segment_align: 8
    .kernarg_segment_size: 64
    .language:       OpenCL C
    .language_version:
      - 2
      - 0
    .max_flat_workgroup_size: 128
    .name:           _ZN7rocprim17ROCPRIM_400000_NS6detail17trampoline_kernelINS0_14default_configENS1_35adjacent_difference_config_selectorILb0ElEEZNS1_24adjacent_difference_implIS3_Lb0ELb0EPlS7_ZN2at6native12_GLOBAL__N_124unique_dim_cuda_templateIfEESt5tupleIJNS8_6TensorESD_SD_EERKSD_lbbbEUlllE1_EE10hipError_tPvRmT2_T3_mT4_P12ihipStream_tbEUlT_E_NS1_11comp_targetILNS1_3genE10ELNS1_11target_archE1201ELNS1_3gpuE5ELNS1_3repE0EEENS1_30default_config_static_selectorELNS0_4arch9wavefront6targetE0EEEvT1_
    .private_segment_fixed_size: 0
    .sgpr_count:     0
    .sgpr_spill_count: 0
    .symbol:         _ZN7rocprim17ROCPRIM_400000_NS6detail17trampoline_kernelINS0_14default_configENS1_35adjacent_difference_config_selectorILb0ElEEZNS1_24adjacent_difference_implIS3_Lb0ELb0EPlS7_ZN2at6native12_GLOBAL__N_124unique_dim_cuda_templateIfEESt5tupleIJNS8_6TensorESD_SD_EERKSD_lbbbEUlllE1_EE10hipError_tPvRmT2_T3_mT4_P12ihipStream_tbEUlT_E_NS1_11comp_targetILNS1_3genE10ELNS1_11target_archE1201ELNS1_3gpuE5ELNS1_3repE0EEENS1_30default_config_static_selectorELNS0_4arch9wavefront6targetE0EEEvT1_.kd
    .uniform_work_group_size: 1
    .uses_dynamic_stack: false
    .vgpr_count:     0
    .vgpr_spill_count: 0
    .wavefront_size: 32
  - .args:
      - .offset:         0
        .size:           64
        .value_kind:     by_value
    .group_segment_fixed_size: 0
    .kernarg_segment_align: 8
    .kernarg_segment_size: 64
    .language:       OpenCL C
    .language_version:
      - 2
      - 0
    .max_flat_workgroup_size: 64
    .name:           _ZN7rocprim17ROCPRIM_400000_NS6detail17trampoline_kernelINS0_14default_configENS1_35adjacent_difference_config_selectorILb0ElEEZNS1_24adjacent_difference_implIS3_Lb0ELb0EPlS7_ZN2at6native12_GLOBAL__N_124unique_dim_cuda_templateIfEESt5tupleIJNS8_6TensorESD_SD_EERKSD_lbbbEUlllE1_EE10hipError_tPvRmT2_T3_mT4_P12ihipStream_tbEUlT_E_NS1_11comp_targetILNS1_3genE5ELNS1_11target_archE942ELNS1_3gpuE9ELNS1_3repE0EEENS1_30default_config_static_selectorELNS0_4arch9wavefront6targetE0EEEvT1_
    .private_segment_fixed_size: 0
    .sgpr_count:     0
    .sgpr_spill_count: 0
    .symbol:         _ZN7rocprim17ROCPRIM_400000_NS6detail17trampoline_kernelINS0_14default_configENS1_35adjacent_difference_config_selectorILb0ElEEZNS1_24adjacent_difference_implIS3_Lb0ELb0EPlS7_ZN2at6native12_GLOBAL__N_124unique_dim_cuda_templateIfEESt5tupleIJNS8_6TensorESD_SD_EERKSD_lbbbEUlllE1_EE10hipError_tPvRmT2_T3_mT4_P12ihipStream_tbEUlT_E_NS1_11comp_targetILNS1_3genE5ELNS1_11target_archE942ELNS1_3gpuE9ELNS1_3repE0EEENS1_30default_config_static_selectorELNS0_4arch9wavefront6targetE0EEEvT1_.kd
    .uniform_work_group_size: 1
    .uses_dynamic_stack: false
    .vgpr_count:     0
    .vgpr_spill_count: 0
    .wavefront_size: 32
  - .args:
      - .offset:         0
        .size:           64
        .value_kind:     by_value
    .group_segment_fixed_size: 0
    .kernarg_segment_align: 8
    .kernarg_segment_size: 64
    .language:       OpenCL C
    .language_version:
      - 2
      - 0
    .max_flat_workgroup_size: 256
    .name:           _ZN7rocprim17ROCPRIM_400000_NS6detail17trampoline_kernelINS0_14default_configENS1_35adjacent_difference_config_selectorILb0ElEEZNS1_24adjacent_difference_implIS3_Lb0ELb0EPlS7_ZN2at6native12_GLOBAL__N_124unique_dim_cuda_templateIfEESt5tupleIJNS8_6TensorESD_SD_EERKSD_lbbbEUlllE1_EE10hipError_tPvRmT2_T3_mT4_P12ihipStream_tbEUlT_E_NS1_11comp_targetILNS1_3genE4ELNS1_11target_archE910ELNS1_3gpuE8ELNS1_3repE0EEENS1_30default_config_static_selectorELNS0_4arch9wavefront6targetE0EEEvT1_
    .private_segment_fixed_size: 0
    .sgpr_count:     0
    .sgpr_spill_count: 0
    .symbol:         _ZN7rocprim17ROCPRIM_400000_NS6detail17trampoline_kernelINS0_14default_configENS1_35adjacent_difference_config_selectorILb0ElEEZNS1_24adjacent_difference_implIS3_Lb0ELb0EPlS7_ZN2at6native12_GLOBAL__N_124unique_dim_cuda_templateIfEESt5tupleIJNS8_6TensorESD_SD_EERKSD_lbbbEUlllE1_EE10hipError_tPvRmT2_T3_mT4_P12ihipStream_tbEUlT_E_NS1_11comp_targetILNS1_3genE4ELNS1_11target_archE910ELNS1_3gpuE8ELNS1_3repE0EEENS1_30default_config_static_selectorELNS0_4arch9wavefront6targetE0EEEvT1_.kd
    .uniform_work_group_size: 1
    .uses_dynamic_stack: false
    .vgpr_count:     0
    .vgpr_spill_count: 0
    .wavefront_size: 32
  - .args:
      - .offset:         0
        .size:           64
        .value_kind:     by_value
    .group_segment_fixed_size: 0
    .kernarg_segment_align: 8
    .kernarg_segment_size: 64
    .language:       OpenCL C
    .language_version:
      - 2
      - 0
    .max_flat_workgroup_size: 128
    .name:           _ZN7rocprim17ROCPRIM_400000_NS6detail17trampoline_kernelINS0_14default_configENS1_35adjacent_difference_config_selectorILb0ElEEZNS1_24adjacent_difference_implIS3_Lb0ELb0EPlS7_ZN2at6native12_GLOBAL__N_124unique_dim_cuda_templateIfEESt5tupleIJNS8_6TensorESD_SD_EERKSD_lbbbEUlllE1_EE10hipError_tPvRmT2_T3_mT4_P12ihipStream_tbEUlT_E_NS1_11comp_targetILNS1_3genE3ELNS1_11target_archE908ELNS1_3gpuE7ELNS1_3repE0EEENS1_30default_config_static_selectorELNS0_4arch9wavefront6targetE0EEEvT1_
    .private_segment_fixed_size: 0
    .sgpr_count:     0
    .sgpr_spill_count: 0
    .symbol:         _ZN7rocprim17ROCPRIM_400000_NS6detail17trampoline_kernelINS0_14default_configENS1_35adjacent_difference_config_selectorILb0ElEEZNS1_24adjacent_difference_implIS3_Lb0ELb0EPlS7_ZN2at6native12_GLOBAL__N_124unique_dim_cuda_templateIfEESt5tupleIJNS8_6TensorESD_SD_EERKSD_lbbbEUlllE1_EE10hipError_tPvRmT2_T3_mT4_P12ihipStream_tbEUlT_E_NS1_11comp_targetILNS1_3genE3ELNS1_11target_archE908ELNS1_3gpuE7ELNS1_3repE0EEENS1_30default_config_static_selectorELNS0_4arch9wavefront6targetE0EEEvT1_.kd
    .uniform_work_group_size: 1
    .uses_dynamic_stack: false
    .vgpr_count:     0
    .vgpr_spill_count: 0
    .wavefront_size: 32
  - .args:
      - .offset:         0
        .size:           64
        .value_kind:     by_value
    .group_segment_fixed_size: 0
    .kernarg_segment_align: 8
    .kernarg_segment_size: 64
    .language:       OpenCL C
    .language_version:
      - 2
      - 0
    .max_flat_workgroup_size: 128
    .name:           _ZN7rocprim17ROCPRIM_400000_NS6detail17trampoline_kernelINS0_14default_configENS1_35adjacent_difference_config_selectorILb0ElEEZNS1_24adjacent_difference_implIS3_Lb0ELb0EPlS7_ZN2at6native12_GLOBAL__N_124unique_dim_cuda_templateIfEESt5tupleIJNS8_6TensorESD_SD_EERKSD_lbbbEUlllE1_EE10hipError_tPvRmT2_T3_mT4_P12ihipStream_tbEUlT_E_NS1_11comp_targetILNS1_3genE2ELNS1_11target_archE906ELNS1_3gpuE6ELNS1_3repE0EEENS1_30default_config_static_selectorELNS0_4arch9wavefront6targetE0EEEvT1_
    .private_segment_fixed_size: 0
    .sgpr_count:     0
    .sgpr_spill_count: 0
    .symbol:         _ZN7rocprim17ROCPRIM_400000_NS6detail17trampoline_kernelINS0_14default_configENS1_35adjacent_difference_config_selectorILb0ElEEZNS1_24adjacent_difference_implIS3_Lb0ELb0EPlS7_ZN2at6native12_GLOBAL__N_124unique_dim_cuda_templateIfEESt5tupleIJNS8_6TensorESD_SD_EERKSD_lbbbEUlllE1_EE10hipError_tPvRmT2_T3_mT4_P12ihipStream_tbEUlT_E_NS1_11comp_targetILNS1_3genE2ELNS1_11target_archE906ELNS1_3gpuE6ELNS1_3repE0EEENS1_30default_config_static_selectorELNS0_4arch9wavefront6targetE0EEEvT1_.kd
    .uniform_work_group_size: 1
    .uses_dynamic_stack: false
    .vgpr_count:     0
    .vgpr_spill_count: 0
    .wavefront_size: 32
  - .args:
      - .offset:         0
        .size:           64
        .value_kind:     by_value
    .group_segment_fixed_size: 0
    .kernarg_segment_align: 8
    .kernarg_segment_size: 64
    .language:       OpenCL C
    .language_version:
      - 2
      - 0
    .max_flat_workgroup_size: 512
    .name:           _ZN7rocprim17ROCPRIM_400000_NS6detail17trampoline_kernelINS0_14default_configENS1_35adjacent_difference_config_selectorILb0ElEEZNS1_24adjacent_difference_implIS3_Lb0ELb0EPlS7_ZN2at6native12_GLOBAL__N_124unique_dim_cuda_templateIfEESt5tupleIJNS8_6TensorESD_SD_EERKSD_lbbbEUlllE1_EE10hipError_tPvRmT2_T3_mT4_P12ihipStream_tbEUlT_E_NS1_11comp_targetILNS1_3genE9ELNS1_11target_archE1100ELNS1_3gpuE3ELNS1_3repE0EEENS1_30default_config_static_selectorELNS0_4arch9wavefront6targetE0EEEvT1_
    .private_segment_fixed_size: 0
    .sgpr_count:     0
    .sgpr_spill_count: 0
    .symbol:         _ZN7rocprim17ROCPRIM_400000_NS6detail17trampoline_kernelINS0_14default_configENS1_35adjacent_difference_config_selectorILb0ElEEZNS1_24adjacent_difference_implIS3_Lb0ELb0EPlS7_ZN2at6native12_GLOBAL__N_124unique_dim_cuda_templateIfEESt5tupleIJNS8_6TensorESD_SD_EERKSD_lbbbEUlllE1_EE10hipError_tPvRmT2_T3_mT4_P12ihipStream_tbEUlT_E_NS1_11comp_targetILNS1_3genE9ELNS1_11target_archE1100ELNS1_3gpuE3ELNS1_3repE0EEENS1_30default_config_static_selectorELNS0_4arch9wavefront6targetE0EEEvT1_.kd
    .uniform_work_group_size: 1
    .uses_dynamic_stack: false
    .vgpr_count:     0
    .vgpr_spill_count: 0
    .wavefront_size: 32
  - .args:
      - .offset:         0
        .size:           64
        .value_kind:     by_value
    .group_segment_fixed_size: 0
    .kernarg_segment_align: 8
    .kernarg_segment_size: 64
    .language:       OpenCL C
    .language_version:
      - 2
      - 0
    .max_flat_workgroup_size: 1024
    .name:           _ZN7rocprim17ROCPRIM_400000_NS6detail17trampoline_kernelINS0_14default_configENS1_35adjacent_difference_config_selectorILb0ElEEZNS1_24adjacent_difference_implIS3_Lb0ELb0EPlS7_ZN2at6native12_GLOBAL__N_124unique_dim_cuda_templateIfEESt5tupleIJNS8_6TensorESD_SD_EERKSD_lbbbEUlllE1_EE10hipError_tPvRmT2_T3_mT4_P12ihipStream_tbEUlT_E_NS1_11comp_targetILNS1_3genE8ELNS1_11target_archE1030ELNS1_3gpuE2ELNS1_3repE0EEENS1_30default_config_static_selectorELNS0_4arch9wavefront6targetE0EEEvT1_
    .private_segment_fixed_size: 0
    .sgpr_count:     0
    .sgpr_spill_count: 0
    .symbol:         _ZN7rocprim17ROCPRIM_400000_NS6detail17trampoline_kernelINS0_14default_configENS1_35adjacent_difference_config_selectorILb0ElEEZNS1_24adjacent_difference_implIS3_Lb0ELb0EPlS7_ZN2at6native12_GLOBAL__N_124unique_dim_cuda_templateIfEESt5tupleIJNS8_6TensorESD_SD_EERKSD_lbbbEUlllE1_EE10hipError_tPvRmT2_T3_mT4_P12ihipStream_tbEUlT_E_NS1_11comp_targetILNS1_3genE8ELNS1_11target_archE1030ELNS1_3gpuE2ELNS1_3repE0EEENS1_30default_config_static_selectorELNS0_4arch9wavefront6targetE0EEEvT1_.kd
    .uniform_work_group_size: 1
    .uses_dynamic_stack: false
    .vgpr_count:     0
    .vgpr_spill_count: 0
    .wavefront_size: 32
  - .args:
      - .offset:         0
        .size:           56
        .value_kind:     by_value
      - .offset:         56
        .size:           4
        .value_kind:     hidden_block_count_x
      - .offset:         60
        .size:           4
        .value_kind:     hidden_block_count_y
      - .offset:         64
        .size:           4
        .value_kind:     hidden_block_count_z
      - .offset:         68
        .size:           2
        .value_kind:     hidden_group_size_x
      - .offset:         70
        .size:           2
        .value_kind:     hidden_group_size_y
      - .offset:         72
        .size:           2
        .value_kind:     hidden_group_size_z
      - .offset:         74
        .size:           2
        .value_kind:     hidden_remainder_x
      - .offset:         76
        .size:           2
        .value_kind:     hidden_remainder_y
      - .offset:         78
        .size:           2
        .value_kind:     hidden_remainder_z
      - .offset:         96
        .size:           8
        .value_kind:     hidden_global_offset_x
      - .offset:         104
        .size:           8
        .value_kind:     hidden_global_offset_y
      - .offset:         112
        .size:           8
        .value_kind:     hidden_global_offset_z
      - .offset:         120
        .size:           2
        .value_kind:     hidden_grid_dims
    .group_segment_fixed_size: 0
    .kernarg_segment_align: 8
    .kernarg_segment_size: 312
    .language:       OpenCL C
    .language_version:
      - 2
      - 0
    .max_flat_workgroup_size: 128
    .name:           _ZN7rocprim17ROCPRIM_400000_NS6detail17trampoline_kernelINS0_14default_configENS1_25transform_config_selectorIlLb0EEEZNS1_14transform_implILb0ES3_S5_NS0_18transform_iteratorINS0_17counting_iteratorImlEEZNS1_24adjacent_difference_implIS3_Lb1ELb0EPlSB_ZN2at6native12_GLOBAL__N_124unique_dim_cuda_templateIfEESt5tupleIJNSC_6TensorESH_SH_EERKSH_lbbbEUlllE1_EE10hipError_tPvRmT2_T3_mT4_P12ihipStream_tbEUlmE_lEESB_NS0_8identityIvEEEESM_SP_SQ_mSR_ST_bEUlT_E_NS1_11comp_targetILNS1_3genE0ELNS1_11target_archE4294967295ELNS1_3gpuE0ELNS1_3repE0EEENS1_30default_config_static_selectorELNS0_4arch9wavefront6targetE0EEEvT1_
    .private_segment_fixed_size: 0
    .sgpr_count:     16
    .sgpr_spill_count: 0
    .symbol:         _ZN7rocprim17ROCPRIM_400000_NS6detail17trampoline_kernelINS0_14default_configENS1_25transform_config_selectorIlLb0EEEZNS1_14transform_implILb0ES3_S5_NS0_18transform_iteratorINS0_17counting_iteratorImlEEZNS1_24adjacent_difference_implIS3_Lb1ELb0EPlSB_ZN2at6native12_GLOBAL__N_124unique_dim_cuda_templateIfEESt5tupleIJNSC_6TensorESH_SH_EERKSH_lbbbEUlllE1_EE10hipError_tPvRmT2_T3_mT4_P12ihipStream_tbEUlmE_lEESB_NS0_8identityIvEEEESM_SP_SQ_mSR_ST_bEUlT_E_NS1_11comp_targetILNS1_3genE0ELNS1_11target_archE4294967295ELNS1_3gpuE0ELNS1_3repE0EEENS1_30default_config_static_selectorELNS0_4arch9wavefront6targetE0EEEvT1_.kd
    .uniform_work_group_size: 1
    .uses_dynamic_stack: false
    .vgpr_count:     4
    .vgpr_spill_count: 0
    .wavefront_size: 32
  - .args:
      - .offset:         0
        .size:           56
        .value_kind:     by_value
    .group_segment_fixed_size: 0
    .kernarg_segment_align: 8
    .kernarg_segment_size: 56
    .language:       OpenCL C
    .language_version:
      - 2
      - 0
    .max_flat_workgroup_size: 512
    .name:           _ZN7rocprim17ROCPRIM_400000_NS6detail17trampoline_kernelINS0_14default_configENS1_25transform_config_selectorIlLb0EEEZNS1_14transform_implILb0ES3_S5_NS0_18transform_iteratorINS0_17counting_iteratorImlEEZNS1_24adjacent_difference_implIS3_Lb1ELb0EPlSB_ZN2at6native12_GLOBAL__N_124unique_dim_cuda_templateIfEESt5tupleIJNSC_6TensorESH_SH_EERKSH_lbbbEUlllE1_EE10hipError_tPvRmT2_T3_mT4_P12ihipStream_tbEUlmE_lEESB_NS0_8identityIvEEEESM_SP_SQ_mSR_ST_bEUlT_E_NS1_11comp_targetILNS1_3genE5ELNS1_11target_archE942ELNS1_3gpuE9ELNS1_3repE0EEENS1_30default_config_static_selectorELNS0_4arch9wavefront6targetE0EEEvT1_
    .private_segment_fixed_size: 0
    .sgpr_count:     0
    .sgpr_spill_count: 0
    .symbol:         _ZN7rocprim17ROCPRIM_400000_NS6detail17trampoline_kernelINS0_14default_configENS1_25transform_config_selectorIlLb0EEEZNS1_14transform_implILb0ES3_S5_NS0_18transform_iteratorINS0_17counting_iteratorImlEEZNS1_24adjacent_difference_implIS3_Lb1ELb0EPlSB_ZN2at6native12_GLOBAL__N_124unique_dim_cuda_templateIfEESt5tupleIJNSC_6TensorESH_SH_EERKSH_lbbbEUlllE1_EE10hipError_tPvRmT2_T3_mT4_P12ihipStream_tbEUlmE_lEESB_NS0_8identityIvEEEESM_SP_SQ_mSR_ST_bEUlT_E_NS1_11comp_targetILNS1_3genE5ELNS1_11target_archE942ELNS1_3gpuE9ELNS1_3repE0EEENS1_30default_config_static_selectorELNS0_4arch9wavefront6targetE0EEEvT1_.kd
    .uniform_work_group_size: 1
    .uses_dynamic_stack: false
    .vgpr_count:     0
    .vgpr_spill_count: 0
    .wavefront_size: 32
  - .args:
      - .offset:         0
        .size:           56
        .value_kind:     by_value
    .group_segment_fixed_size: 0
    .kernarg_segment_align: 8
    .kernarg_segment_size: 56
    .language:       OpenCL C
    .language_version:
      - 2
      - 0
    .max_flat_workgroup_size: 256
    .name:           _ZN7rocprim17ROCPRIM_400000_NS6detail17trampoline_kernelINS0_14default_configENS1_25transform_config_selectorIlLb0EEEZNS1_14transform_implILb0ES3_S5_NS0_18transform_iteratorINS0_17counting_iteratorImlEEZNS1_24adjacent_difference_implIS3_Lb1ELb0EPlSB_ZN2at6native12_GLOBAL__N_124unique_dim_cuda_templateIfEESt5tupleIJNSC_6TensorESH_SH_EERKSH_lbbbEUlllE1_EE10hipError_tPvRmT2_T3_mT4_P12ihipStream_tbEUlmE_lEESB_NS0_8identityIvEEEESM_SP_SQ_mSR_ST_bEUlT_E_NS1_11comp_targetILNS1_3genE4ELNS1_11target_archE910ELNS1_3gpuE8ELNS1_3repE0EEENS1_30default_config_static_selectorELNS0_4arch9wavefront6targetE0EEEvT1_
    .private_segment_fixed_size: 0
    .sgpr_count:     0
    .sgpr_spill_count: 0
    .symbol:         _ZN7rocprim17ROCPRIM_400000_NS6detail17trampoline_kernelINS0_14default_configENS1_25transform_config_selectorIlLb0EEEZNS1_14transform_implILb0ES3_S5_NS0_18transform_iteratorINS0_17counting_iteratorImlEEZNS1_24adjacent_difference_implIS3_Lb1ELb0EPlSB_ZN2at6native12_GLOBAL__N_124unique_dim_cuda_templateIfEESt5tupleIJNSC_6TensorESH_SH_EERKSH_lbbbEUlllE1_EE10hipError_tPvRmT2_T3_mT4_P12ihipStream_tbEUlmE_lEESB_NS0_8identityIvEEEESM_SP_SQ_mSR_ST_bEUlT_E_NS1_11comp_targetILNS1_3genE4ELNS1_11target_archE910ELNS1_3gpuE8ELNS1_3repE0EEENS1_30default_config_static_selectorELNS0_4arch9wavefront6targetE0EEEvT1_.kd
    .uniform_work_group_size: 1
    .uses_dynamic_stack: false
    .vgpr_count:     0
    .vgpr_spill_count: 0
    .wavefront_size: 32
  - .args:
      - .offset:         0
        .size:           56
        .value_kind:     by_value
    .group_segment_fixed_size: 0
    .kernarg_segment_align: 8
    .kernarg_segment_size: 56
    .language:       OpenCL C
    .language_version:
      - 2
      - 0
    .max_flat_workgroup_size: 128
    .name:           _ZN7rocprim17ROCPRIM_400000_NS6detail17trampoline_kernelINS0_14default_configENS1_25transform_config_selectorIlLb0EEEZNS1_14transform_implILb0ES3_S5_NS0_18transform_iteratorINS0_17counting_iteratorImlEEZNS1_24adjacent_difference_implIS3_Lb1ELb0EPlSB_ZN2at6native12_GLOBAL__N_124unique_dim_cuda_templateIfEESt5tupleIJNSC_6TensorESH_SH_EERKSH_lbbbEUlllE1_EE10hipError_tPvRmT2_T3_mT4_P12ihipStream_tbEUlmE_lEESB_NS0_8identityIvEEEESM_SP_SQ_mSR_ST_bEUlT_E_NS1_11comp_targetILNS1_3genE3ELNS1_11target_archE908ELNS1_3gpuE7ELNS1_3repE0EEENS1_30default_config_static_selectorELNS0_4arch9wavefront6targetE0EEEvT1_
    .private_segment_fixed_size: 0
    .sgpr_count:     0
    .sgpr_spill_count: 0
    .symbol:         _ZN7rocprim17ROCPRIM_400000_NS6detail17trampoline_kernelINS0_14default_configENS1_25transform_config_selectorIlLb0EEEZNS1_14transform_implILb0ES3_S5_NS0_18transform_iteratorINS0_17counting_iteratorImlEEZNS1_24adjacent_difference_implIS3_Lb1ELb0EPlSB_ZN2at6native12_GLOBAL__N_124unique_dim_cuda_templateIfEESt5tupleIJNSC_6TensorESH_SH_EERKSH_lbbbEUlllE1_EE10hipError_tPvRmT2_T3_mT4_P12ihipStream_tbEUlmE_lEESB_NS0_8identityIvEEEESM_SP_SQ_mSR_ST_bEUlT_E_NS1_11comp_targetILNS1_3genE3ELNS1_11target_archE908ELNS1_3gpuE7ELNS1_3repE0EEENS1_30default_config_static_selectorELNS0_4arch9wavefront6targetE0EEEvT1_.kd
    .uniform_work_group_size: 1
    .uses_dynamic_stack: false
    .vgpr_count:     0
    .vgpr_spill_count: 0
    .wavefront_size: 32
  - .args:
      - .offset:         0
        .size:           56
        .value_kind:     by_value
    .group_segment_fixed_size: 0
    .kernarg_segment_align: 8
    .kernarg_segment_size: 56
    .language:       OpenCL C
    .language_version:
      - 2
      - 0
    .max_flat_workgroup_size: 512
    .name:           _ZN7rocprim17ROCPRIM_400000_NS6detail17trampoline_kernelINS0_14default_configENS1_25transform_config_selectorIlLb0EEEZNS1_14transform_implILb0ES3_S5_NS0_18transform_iteratorINS0_17counting_iteratorImlEEZNS1_24adjacent_difference_implIS3_Lb1ELb0EPlSB_ZN2at6native12_GLOBAL__N_124unique_dim_cuda_templateIfEESt5tupleIJNSC_6TensorESH_SH_EERKSH_lbbbEUlllE1_EE10hipError_tPvRmT2_T3_mT4_P12ihipStream_tbEUlmE_lEESB_NS0_8identityIvEEEESM_SP_SQ_mSR_ST_bEUlT_E_NS1_11comp_targetILNS1_3genE2ELNS1_11target_archE906ELNS1_3gpuE6ELNS1_3repE0EEENS1_30default_config_static_selectorELNS0_4arch9wavefront6targetE0EEEvT1_
    .private_segment_fixed_size: 0
    .sgpr_count:     0
    .sgpr_spill_count: 0
    .symbol:         _ZN7rocprim17ROCPRIM_400000_NS6detail17trampoline_kernelINS0_14default_configENS1_25transform_config_selectorIlLb0EEEZNS1_14transform_implILb0ES3_S5_NS0_18transform_iteratorINS0_17counting_iteratorImlEEZNS1_24adjacent_difference_implIS3_Lb1ELb0EPlSB_ZN2at6native12_GLOBAL__N_124unique_dim_cuda_templateIfEESt5tupleIJNSC_6TensorESH_SH_EERKSH_lbbbEUlllE1_EE10hipError_tPvRmT2_T3_mT4_P12ihipStream_tbEUlmE_lEESB_NS0_8identityIvEEEESM_SP_SQ_mSR_ST_bEUlT_E_NS1_11comp_targetILNS1_3genE2ELNS1_11target_archE906ELNS1_3gpuE6ELNS1_3repE0EEENS1_30default_config_static_selectorELNS0_4arch9wavefront6targetE0EEEvT1_.kd
    .uniform_work_group_size: 1
    .uses_dynamic_stack: false
    .vgpr_count:     0
    .vgpr_spill_count: 0
    .wavefront_size: 32
  - .args:
      - .offset:         0
        .size:           56
        .value_kind:     by_value
    .group_segment_fixed_size: 0
    .kernarg_segment_align: 8
    .kernarg_segment_size: 56
    .language:       OpenCL C
    .language_version:
      - 2
      - 0
    .max_flat_workgroup_size: 1024
    .name:           _ZN7rocprim17ROCPRIM_400000_NS6detail17trampoline_kernelINS0_14default_configENS1_25transform_config_selectorIlLb0EEEZNS1_14transform_implILb0ES3_S5_NS0_18transform_iteratorINS0_17counting_iteratorImlEEZNS1_24adjacent_difference_implIS3_Lb1ELb0EPlSB_ZN2at6native12_GLOBAL__N_124unique_dim_cuda_templateIfEESt5tupleIJNSC_6TensorESH_SH_EERKSH_lbbbEUlllE1_EE10hipError_tPvRmT2_T3_mT4_P12ihipStream_tbEUlmE_lEESB_NS0_8identityIvEEEESM_SP_SQ_mSR_ST_bEUlT_E_NS1_11comp_targetILNS1_3genE10ELNS1_11target_archE1201ELNS1_3gpuE5ELNS1_3repE0EEENS1_30default_config_static_selectorELNS0_4arch9wavefront6targetE0EEEvT1_
    .private_segment_fixed_size: 0
    .sgpr_count:     0
    .sgpr_spill_count: 0
    .symbol:         _ZN7rocprim17ROCPRIM_400000_NS6detail17trampoline_kernelINS0_14default_configENS1_25transform_config_selectorIlLb0EEEZNS1_14transform_implILb0ES3_S5_NS0_18transform_iteratorINS0_17counting_iteratorImlEEZNS1_24adjacent_difference_implIS3_Lb1ELb0EPlSB_ZN2at6native12_GLOBAL__N_124unique_dim_cuda_templateIfEESt5tupleIJNSC_6TensorESH_SH_EERKSH_lbbbEUlllE1_EE10hipError_tPvRmT2_T3_mT4_P12ihipStream_tbEUlmE_lEESB_NS0_8identityIvEEEESM_SP_SQ_mSR_ST_bEUlT_E_NS1_11comp_targetILNS1_3genE10ELNS1_11target_archE1201ELNS1_3gpuE5ELNS1_3repE0EEENS1_30default_config_static_selectorELNS0_4arch9wavefront6targetE0EEEvT1_.kd
    .uniform_work_group_size: 1
    .uses_dynamic_stack: false
    .vgpr_count:     0
    .vgpr_spill_count: 0
    .wavefront_size: 32
  - .args:
      - .offset:         0
        .size:           56
        .value_kind:     by_value
    .group_segment_fixed_size: 0
    .kernarg_segment_align: 8
    .kernarg_segment_size: 56
    .language:       OpenCL C
    .language_version:
      - 2
      - 0
    .max_flat_workgroup_size: 512
    .name:           _ZN7rocprim17ROCPRIM_400000_NS6detail17trampoline_kernelINS0_14default_configENS1_25transform_config_selectorIlLb0EEEZNS1_14transform_implILb0ES3_S5_NS0_18transform_iteratorINS0_17counting_iteratorImlEEZNS1_24adjacent_difference_implIS3_Lb1ELb0EPlSB_ZN2at6native12_GLOBAL__N_124unique_dim_cuda_templateIfEESt5tupleIJNSC_6TensorESH_SH_EERKSH_lbbbEUlllE1_EE10hipError_tPvRmT2_T3_mT4_P12ihipStream_tbEUlmE_lEESB_NS0_8identityIvEEEESM_SP_SQ_mSR_ST_bEUlT_E_NS1_11comp_targetILNS1_3genE10ELNS1_11target_archE1200ELNS1_3gpuE4ELNS1_3repE0EEENS1_30default_config_static_selectorELNS0_4arch9wavefront6targetE0EEEvT1_
    .private_segment_fixed_size: 0
    .sgpr_count:     0
    .sgpr_spill_count: 0
    .symbol:         _ZN7rocprim17ROCPRIM_400000_NS6detail17trampoline_kernelINS0_14default_configENS1_25transform_config_selectorIlLb0EEEZNS1_14transform_implILb0ES3_S5_NS0_18transform_iteratorINS0_17counting_iteratorImlEEZNS1_24adjacent_difference_implIS3_Lb1ELb0EPlSB_ZN2at6native12_GLOBAL__N_124unique_dim_cuda_templateIfEESt5tupleIJNSC_6TensorESH_SH_EERKSH_lbbbEUlllE1_EE10hipError_tPvRmT2_T3_mT4_P12ihipStream_tbEUlmE_lEESB_NS0_8identityIvEEEESM_SP_SQ_mSR_ST_bEUlT_E_NS1_11comp_targetILNS1_3genE10ELNS1_11target_archE1200ELNS1_3gpuE4ELNS1_3repE0EEENS1_30default_config_static_selectorELNS0_4arch9wavefront6targetE0EEEvT1_.kd
    .uniform_work_group_size: 1
    .uses_dynamic_stack: false
    .vgpr_count:     0
    .vgpr_spill_count: 0
    .wavefront_size: 32
  - .args:
      - .offset:         0
        .size:           56
        .value_kind:     by_value
    .group_segment_fixed_size: 0
    .kernarg_segment_align: 8
    .kernarg_segment_size: 56
    .language:       OpenCL C
    .language_version:
      - 2
      - 0
    .max_flat_workgroup_size: 512
    .name:           _ZN7rocprim17ROCPRIM_400000_NS6detail17trampoline_kernelINS0_14default_configENS1_25transform_config_selectorIlLb0EEEZNS1_14transform_implILb0ES3_S5_NS0_18transform_iteratorINS0_17counting_iteratorImlEEZNS1_24adjacent_difference_implIS3_Lb1ELb0EPlSB_ZN2at6native12_GLOBAL__N_124unique_dim_cuda_templateIfEESt5tupleIJNSC_6TensorESH_SH_EERKSH_lbbbEUlllE1_EE10hipError_tPvRmT2_T3_mT4_P12ihipStream_tbEUlmE_lEESB_NS0_8identityIvEEEESM_SP_SQ_mSR_ST_bEUlT_E_NS1_11comp_targetILNS1_3genE9ELNS1_11target_archE1100ELNS1_3gpuE3ELNS1_3repE0EEENS1_30default_config_static_selectorELNS0_4arch9wavefront6targetE0EEEvT1_
    .private_segment_fixed_size: 0
    .sgpr_count:     0
    .sgpr_spill_count: 0
    .symbol:         _ZN7rocprim17ROCPRIM_400000_NS6detail17trampoline_kernelINS0_14default_configENS1_25transform_config_selectorIlLb0EEEZNS1_14transform_implILb0ES3_S5_NS0_18transform_iteratorINS0_17counting_iteratorImlEEZNS1_24adjacent_difference_implIS3_Lb1ELb0EPlSB_ZN2at6native12_GLOBAL__N_124unique_dim_cuda_templateIfEESt5tupleIJNSC_6TensorESH_SH_EERKSH_lbbbEUlllE1_EE10hipError_tPvRmT2_T3_mT4_P12ihipStream_tbEUlmE_lEESB_NS0_8identityIvEEEESM_SP_SQ_mSR_ST_bEUlT_E_NS1_11comp_targetILNS1_3genE9ELNS1_11target_archE1100ELNS1_3gpuE3ELNS1_3repE0EEENS1_30default_config_static_selectorELNS0_4arch9wavefront6targetE0EEEvT1_.kd
    .uniform_work_group_size: 1
    .uses_dynamic_stack: false
    .vgpr_count:     0
    .vgpr_spill_count: 0
    .wavefront_size: 32
  - .args:
      - .offset:         0
        .size:           56
        .value_kind:     by_value
    .group_segment_fixed_size: 0
    .kernarg_segment_align: 8
    .kernarg_segment_size: 56
    .language:       OpenCL C
    .language_version:
      - 2
      - 0
    .max_flat_workgroup_size: 512
    .name:           _ZN7rocprim17ROCPRIM_400000_NS6detail17trampoline_kernelINS0_14default_configENS1_25transform_config_selectorIlLb0EEEZNS1_14transform_implILb0ES3_S5_NS0_18transform_iteratorINS0_17counting_iteratorImlEEZNS1_24adjacent_difference_implIS3_Lb1ELb0EPlSB_ZN2at6native12_GLOBAL__N_124unique_dim_cuda_templateIfEESt5tupleIJNSC_6TensorESH_SH_EERKSH_lbbbEUlllE1_EE10hipError_tPvRmT2_T3_mT4_P12ihipStream_tbEUlmE_lEESB_NS0_8identityIvEEEESM_SP_SQ_mSR_ST_bEUlT_E_NS1_11comp_targetILNS1_3genE8ELNS1_11target_archE1030ELNS1_3gpuE2ELNS1_3repE0EEENS1_30default_config_static_selectorELNS0_4arch9wavefront6targetE0EEEvT1_
    .private_segment_fixed_size: 0
    .sgpr_count:     0
    .sgpr_spill_count: 0
    .symbol:         _ZN7rocprim17ROCPRIM_400000_NS6detail17trampoline_kernelINS0_14default_configENS1_25transform_config_selectorIlLb0EEEZNS1_14transform_implILb0ES3_S5_NS0_18transform_iteratorINS0_17counting_iteratorImlEEZNS1_24adjacent_difference_implIS3_Lb1ELb0EPlSB_ZN2at6native12_GLOBAL__N_124unique_dim_cuda_templateIfEESt5tupleIJNSC_6TensorESH_SH_EERKSH_lbbbEUlllE1_EE10hipError_tPvRmT2_T3_mT4_P12ihipStream_tbEUlmE_lEESB_NS0_8identityIvEEEESM_SP_SQ_mSR_ST_bEUlT_E_NS1_11comp_targetILNS1_3genE8ELNS1_11target_archE1030ELNS1_3gpuE2ELNS1_3repE0EEENS1_30default_config_static_selectorELNS0_4arch9wavefront6targetE0EEEvT1_.kd
    .uniform_work_group_size: 1
    .uses_dynamic_stack: false
    .vgpr_count:     0
    .vgpr_spill_count: 0
    .wavefront_size: 32
  - .args:
      - .offset:         0
        .size:           64
        .value_kind:     by_value
    .group_segment_fixed_size: 8448
    .kernarg_segment_align: 8
    .kernarg_segment_size: 64
    .language:       OpenCL C
    .language_version:
      - 2
      - 0
    .max_flat_workgroup_size: 512
    .name:           _ZN7rocprim17ROCPRIM_400000_NS6detail17trampoline_kernelINS0_14default_configENS1_35adjacent_difference_config_selectorILb1ElEEZNS1_24adjacent_difference_implIS3_Lb1ELb0EPlS7_ZN2at6native12_GLOBAL__N_124unique_dim_cuda_templateIfEESt5tupleIJNS8_6TensorESD_SD_EERKSD_lbbbEUlllE1_EE10hipError_tPvRmT2_T3_mT4_P12ihipStream_tbEUlT_E_NS1_11comp_targetILNS1_3genE0ELNS1_11target_archE4294967295ELNS1_3gpuE0ELNS1_3repE0EEENS1_30default_config_static_selectorELNS0_4arch9wavefront6targetE0EEEvT1_
    .private_segment_fixed_size: 0
    .sgpr_count:     31
    .sgpr_spill_count: 0
    .symbol:         _ZN7rocprim17ROCPRIM_400000_NS6detail17trampoline_kernelINS0_14default_configENS1_35adjacent_difference_config_selectorILb1ElEEZNS1_24adjacent_difference_implIS3_Lb1ELb0EPlS7_ZN2at6native12_GLOBAL__N_124unique_dim_cuda_templateIfEESt5tupleIJNS8_6TensorESD_SD_EERKSD_lbbbEUlllE1_EE10hipError_tPvRmT2_T3_mT4_P12ihipStream_tbEUlT_E_NS1_11comp_targetILNS1_3genE0ELNS1_11target_archE4294967295ELNS1_3gpuE0ELNS1_3repE0EEENS1_30default_config_static_selectorELNS0_4arch9wavefront6targetE0EEEvT1_.kd
    .uniform_work_group_size: 1
    .uses_dynamic_stack: false
    .vgpr_count:     16
    .vgpr_spill_count: 0
    .wavefront_size: 32
  - .args:
      - .offset:         0
        .size:           64
        .value_kind:     by_value
    .group_segment_fixed_size: 0
    .kernarg_segment_align: 8
    .kernarg_segment_size: 64
    .language:       OpenCL C
    .language_version:
      - 2
      - 0
    .max_flat_workgroup_size: 32
    .name:           _ZN7rocprim17ROCPRIM_400000_NS6detail17trampoline_kernelINS0_14default_configENS1_35adjacent_difference_config_selectorILb1ElEEZNS1_24adjacent_difference_implIS3_Lb1ELb0EPlS7_ZN2at6native12_GLOBAL__N_124unique_dim_cuda_templateIfEESt5tupleIJNS8_6TensorESD_SD_EERKSD_lbbbEUlllE1_EE10hipError_tPvRmT2_T3_mT4_P12ihipStream_tbEUlT_E_NS1_11comp_targetILNS1_3genE10ELNS1_11target_archE1201ELNS1_3gpuE5ELNS1_3repE0EEENS1_30default_config_static_selectorELNS0_4arch9wavefront6targetE0EEEvT1_
    .private_segment_fixed_size: 0
    .sgpr_count:     0
    .sgpr_spill_count: 0
    .symbol:         _ZN7rocprim17ROCPRIM_400000_NS6detail17trampoline_kernelINS0_14default_configENS1_35adjacent_difference_config_selectorILb1ElEEZNS1_24adjacent_difference_implIS3_Lb1ELb0EPlS7_ZN2at6native12_GLOBAL__N_124unique_dim_cuda_templateIfEESt5tupleIJNS8_6TensorESD_SD_EERKSD_lbbbEUlllE1_EE10hipError_tPvRmT2_T3_mT4_P12ihipStream_tbEUlT_E_NS1_11comp_targetILNS1_3genE10ELNS1_11target_archE1201ELNS1_3gpuE5ELNS1_3repE0EEENS1_30default_config_static_selectorELNS0_4arch9wavefront6targetE0EEEvT1_.kd
    .uniform_work_group_size: 1
    .uses_dynamic_stack: false
    .vgpr_count:     0
    .vgpr_spill_count: 0
    .wavefront_size: 32
  - .args:
      - .offset:         0
        .size:           64
        .value_kind:     by_value
    .group_segment_fixed_size: 0
    .kernarg_segment_align: 8
    .kernarg_segment_size: 64
    .language:       OpenCL C
    .language_version:
      - 2
      - 0
    .max_flat_workgroup_size: 256
    .name:           _ZN7rocprim17ROCPRIM_400000_NS6detail17trampoline_kernelINS0_14default_configENS1_35adjacent_difference_config_selectorILb1ElEEZNS1_24adjacent_difference_implIS3_Lb1ELb0EPlS7_ZN2at6native12_GLOBAL__N_124unique_dim_cuda_templateIfEESt5tupleIJNS8_6TensorESD_SD_EERKSD_lbbbEUlllE1_EE10hipError_tPvRmT2_T3_mT4_P12ihipStream_tbEUlT_E_NS1_11comp_targetILNS1_3genE5ELNS1_11target_archE942ELNS1_3gpuE9ELNS1_3repE0EEENS1_30default_config_static_selectorELNS0_4arch9wavefront6targetE0EEEvT1_
    .private_segment_fixed_size: 0
    .sgpr_count:     0
    .sgpr_spill_count: 0
    .symbol:         _ZN7rocprim17ROCPRIM_400000_NS6detail17trampoline_kernelINS0_14default_configENS1_35adjacent_difference_config_selectorILb1ElEEZNS1_24adjacent_difference_implIS3_Lb1ELb0EPlS7_ZN2at6native12_GLOBAL__N_124unique_dim_cuda_templateIfEESt5tupleIJNS8_6TensorESD_SD_EERKSD_lbbbEUlllE1_EE10hipError_tPvRmT2_T3_mT4_P12ihipStream_tbEUlT_E_NS1_11comp_targetILNS1_3genE5ELNS1_11target_archE942ELNS1_3gpuE9ELNS1_3repE0EEENS1_30default_config_static_selectorELNS0_4arch9wavefront6targetE0EEEvT1_.kd
    .uniform_work_group_size: 1
    .uses_dynamic_stack: false
    .vgpr_count:     0
    .vgpr_spill_count: 0
    .wavefront_size: 32
  - .args:
      - .offset:         0
        .size:           64
        .value_kind:     by_value
    .group_segment_fixed_size: 0
    .kernarg_segment_align: 8
    .kernarg_segment_size: 64
    .language:       OpenCL C
    .language_version:
      - 2
      - 0
    .max_flat_workgroup_size: 512
    .name:           _ZN7rocprim17ROCPRIM_400000_NS6detail17trampoline_kernelINS0_14default_configENS1_35adjacent_difference_config_selectorILb1ElEEZNS1_24adjacent_difference_implIS3_Lb1ELb0EPlS7_ZN2at6native12_GLOBAL__N_124unique_dim_cuda_templateIfEESt5tupleIJNS8_6TensorESD_SD_EERKSD_lbbbEUlllE1_EE10hipError_tPvRmT2_T3_mT4_P12ihipStream_tbEUlT_E_NS1_11comp_targetILNS1_3genE4ELNS1_11target_archE910ELNS1_3gpuE8ELNS1_3repE0EEENS1_30default_config_static_selectorELNS0_4arch9wavefront6targetE0EEEvT1_
    .private_segment_fixed_size: 0
    .sgpr_count:     0
    .sgpr_spill_count: 0
    .symbol:         _ZN7rocprim17ROCPRIM_400000_NS6detail17trampoline_kernelINS0_14default_configENS1_35adjacent_difference_config_selectorILb1ElEEZNS1_24adjacent_difference_implIS3_Lb1ELb0EPlS7_ZN2at6native12_GLOBAL__N_124unique_dim_cuda_templateIfEESt5tupleIJNS8_6TensorESD_SD_EERKSD_lbbbEUlllE1_EE10hipError_tPvRmT2_T3_mT4_P12ihipStream_tbEUlT_E_NS1_11comp_targetILNS1_3genE4ELNS1_11target_archE910ELNS1_3gpuE8ELNS1_3repE0EEENS1_30default_config_static_selectorELNS0_4arch9wavefront6targetE0EEEvT1_.kd
    .uniform_work_group_size: 1
    .uses_dynamic_stack: false
    .vgpr_count:     0
    .vgpr_spill_count: 0
    .wavefront_size: 32
  - .args:
      - .offset:         0
        .size:           64
        .value_kind:     by_value
    .group_segment_fixed_size: 0
    .kernarg_segment_align: 8
    .kernarg_segment_size: 64
    .language:       OpenCL C
    .language_version:
      - 2
      - 0
    .max_flat_workgroup_size: 512
    .name:           _ZN7rocprim17ROCPRIM_400000_NS6detail17trampoline_kernelINS0_14default_configENS1_35adjacent_difference_config_selectorILb1ElEEZNS1_24adjacent_difference_implIS3_Lb1ELb0EPlS7_ZN2at6native12_GLOBAL__N_124unique_dim_cuda_templateIfEESt5tupleIJNS8_6TensorESD_SD_EERKSD_lbbbEUlllE1_EE10hipError_tPvRmT2_T3_mT4_P12ihipStream_tbEUlT_E_NS1_11comp_targetILNS1_3genE3ELNS1_11target_archE908ELNS1_3gpuE7ELNS1_3repE0EEENS1_30default_config_static_selectorELNS0_4arch9wavefront6targetE0EEEvT1_
    .private_segment_fixed_size: 0
    .sgpr_count:     0
    .sgpr_spill_count: 0
    .symbol:         _ZN7rocprim17ROCPRIM_400000_NS6detail17trampoline_kernelINS0_14default_configENS1_35adjacent_difference_config_selectorILb1ElEEZNS1_24adjacent_difference_implIS3_Lb1ELb0EPlS7_ZN2at6native12_GLOBAL__N_124unique_dim_cuda_templateIfEESt5tupleIJNS8_6TensorESD_SD_EERKSD_lbbbEUlllE1_EE10hipError_tPvRmT2_T3_mT4_P12ihipStream_tbEUlT_E_NS1_11comp_targetILNS1_3genE3ELNS1_11target_archE908ELNS1_3gpuE7ELNS1_3repE0EEENS1_30default_config_static_selectorELNS0_4arch9wavefront6targetE0EEEvT1_.kd
    .uniform_work_group_size: 1
    .uses_dynamic_stack: false
    .vgpr_count:     0
    .vgpr_spill_count: 0
    .wavefront_size: 32
  - .args:
      - .offset:         0
        .size:           64
        .value_kind:     by_value
    .group_segment_fixed_size: 0
    .kernarg_segment_align: 8
    .kernarg_segment_size: 64
    .language:       OpenCL C
    .language_version:
      - 2
      - 0
    .max_flat_workgroup_size: 128
    .name:           _ZN7rocprim17ROCPRIM_400000_NS6detail17trampoline_kernelINS0_14default_configENS1_35adjacent_difference_config_selectorILb1ElEEZNS1_24adjacent_difference_implIS3_Lb1ELb0EPlS7_ZN2at6native12_GLOBAL__N_124unique_dim_cuda_templateIfEESt5tupleIJNS8_6TensorESD_SD_EERKSD_lbbbEUlllE1_EE10hipError_tPvRmT2_T3_mT4_P12ihipStream_tbEUlT_E_NS1_11comp_targetILNS1_3genE2ELNS1_11target_archE906ELNS1_3gpuE6ELNS1_3repE0EEENS1_30default_config_static_selectorELNS0_4arch9wavefront6targetE0EEEvT1_
    .private_segment_fixed_size: 0
    .sgpr_count:     0
    .sgpr_spill_count: 0
    .symbol:         _ZN7rocprim17ROCPRIM_400000_NS6detail17trampoline_kernelINS0_14default_configENS1_35adjacent_difference_config_selectorILb1ElEEZNS1_24adjacent_difference_implIS3_Lb1ELb0EPlS7_ZN2at6native12_GLOBAL__N_124unique_dim_cuda_templateIfEESt5tupleIJNS8_6TensorESD_SD_EERKSD_lbbbEUlllE1_EE10hipError_tPvRmT2_T3_mT4_P12ihipStream_tbEUlT_E_NS1_11comp_targetILNS1_3genE2ELNS1_11target_archE906ELNS1_3gpuE6ELNS1_3repE0EEENS1_30default_config_static_selectorELNS0_4arch9wavefront6targetE0EEEvT1_.kd
    .uniform_work_group_size: 1
    .uses_dynamic_stack: false
    .vgpr_count:     0
    .vgpr_spill_count: 0
    .wavefront_size: 32
  - .args:
      - .offset:         0
        .size:           64
        .value_kind:     by_value
    .group_segment_fixed_size: 0
    .kernarg_segment_align: 8
    .kernarg_segment_size: 64
    .language:       OpenCL C
    .language_version:
      - 2
      - 0
    .max_flat_workgroup_size: 128
    .name:           _ZN7rocprim17ROCPRIM_400000_NS6detail17trampoline_kernelINS0_14default_configENS1_35adjacent_difference_config_selectorILb1ElEEZNS1_24adjacent_difference_implIS3_Lb1ELb0EPlS7_ZN2at6native12_GLOBAL__N_124unique_dim_cuda_templateIfEESt5tupleIJNS8_6TensorESD_SD_EERKSD_lbbbEUlllE1_EE10hipError_tPvRmT2_T3_mT4_P12ihipStream_tbEUlT_E_NS1_11comp_targetILNS1_3genE9ELNS1_11target_archE1100ELNS1_3gpuE3ELNS1_3repE0EEENS1_30default_config_static_selectorELNS0_4arch9wavefront6targetE0EEEvT1_
    .private_segment_fixed_size: 0
    .sgpr_count:     0
    .sgpr_spill_count: 0
    .symbol:         _ZN7rocprim17ROCPRIM_400000_NS6detail17trampoline_kernelINS0_14default_configENS1_35adjacent_difference_config_selectorILb1ElEEZNS1_24adjacent_difference_implIS3_Lb1ELb0EPlS7_ZN2at6native12_GLOBAL__N_124unique_dim_cuda_templateIfEESt5tupleIJNS8_6TensorESD_SD_EERKSD_lbbbEUlllE1_EE10hipError_tPvRmT2_T3_mT4_P12ihipStream_tbEUlT_E_NS1_11comp_targetILNS1_3genE9ELNS1_11target_archE1100ELNS1_3gpuE3ELNS1_3repE0EEENS1_30default_config_static_selectorELNS0_4arch9wavefront6targetE0EEEvT1_.kd
    .uniform_work_group_size: 1
    .uses_dynamic_stack: false
    .vgpr_count:     0
    .vgpr_spill_count: 0
    .wavefront_size: 32
  - .args:
      - .offset:         0
        .size:           64
        .value_kind:     by_value
    .group_segment_fixed_size: 0
    .kernarg_segment_align: 8
    .kernarg_segment_size: 64
    .language:       OpenCL C
    .language_version:
      - 2
      - 0
    .max_flat_workgroup_size: 32
    .name:           _ZN7rocprim17ROCPRIM_400000_NS6detail17trampoline_kernelINS0_14default_configENS1_35adjacent_difference_config_selectorILb1ElEEZNS1_24adjacent_difference_implIS3_Lb1ELb0EPlS7_ZN2at6native12_GLOBAL__N_124unique_dim_cuda_templateIfEESt5tupleIJNS8_6TensorESD_SD_EERKSD_lbbbEUlllE1_EE10hipError_tPvRmT2_T3_mT4_P12ihipStream_tbEUlT_E_NS1_11comp_targetILNS1_3genE8ELNS1_11target_archE1030ELNS1_3gpuE2ELNS1_3repE0EEENS1_30default_config_static_selectorELNS0_4arch9wavefront6targetE0EEEvT1_
    .private_segment_fixed_size: 0
    .sgpr_count:     0
    .sgpr_spill_count: 0
    .symbol:         _ZN7rocprim17ROCPRIM_400000_NS6detail17trampoline_kernelINS0_14default_configENS1_35adjacent_difference_config_selectorILb1ElEEZNS1_24adjacent_difference_implIS3_Lb1ELb0EPlS7_ZN2at6native12_GLOBAL__N_124unique_dim_cuda_templateIfEESt5tupleIJNS8_6TensorESD_SD_EERKSD_lbbbEUlllE1_EE10hipError_tPvRmT2_T3_mT4_P12ihipStream_tbEUlT_E_NS1_11comp_targetILNS1_3genE8ELNS1_11target_archE1030ELNS1_3gpuE2ELNS1_3repE0EEENS1_30default_config_static_selectorELNS0_4arch9wavefront6targetE0EEEvT1_.kd
    .uniform_work_group_size: 1
    .uses_dynamic_stack: false
    .vgpr_count:     0
    .vgpr_spill_count: 0
    .wavefront_size: 32
  - .args:
      - .offset:         0
        .size:           120
        .value_kind:     by_value
    .group_segment_fixed_size: 28680
    .kernarg_segment_align: 8
    .kernarg_segment_size: 120
    .language:       OpenCL C
    .language_version:
      - 2
      - 0
    .max_flat_workgroup_size: 512
    .name:           _ZN7rocprim17ROCPRIM_400000_NS6detail17trampoline_kernelINS0_14default_configENS1_25partition_config_selectorILNS1_17partition_subalgoE8ElNS0_10empty_typeEbEEZZNS1_14partition_implILS5_8ELb0ES3_jPlPS6_PKS6_NS0_5tupleIJS9_S6_EEENSD_IJSA_SA_EEENS0_18inequality_wrapperIZN2at6native12_GLOBAL__N_124unique_dim_cuda_templateIfEESt5tupleIJNSH_6TensorESM_SM_EERKSM_lbbbEUlllE0_EEPmJS6_EEE10hipError_tPvRmT3_T4_T5_T6_T7_T9_mT8_P12ihipStream_tbDpT10_ENKUlT_T0_E_clISt17integral_constantIbLb0EES1C_EEDaS17_S18_EUlS17_E_NS1_11comp_targetILNS1_3genE0ELNS1_11target_archE4294967295ELNS1_3gpuE0ELNS1_3repE0EEENS1_30default_config_static_selectorELNS0_4arch9wavefront6targetE0EEEvT1_
    .private_segment_fixed_size: 0
    .sgpr_count:     38
    .sgpr_spill_count: 0
    .symbol:         _ZN7rocprim17ROCPRIM_400000_NS6detail17trampoline_kernelINS0_14default_configENS1_25partition_config_selectorILNS1_17partition_subalgoE8ElNS0_10empty_typeEbEEZZNS1_14partition_implILS5_8ELb0ES3_jPlPS6_PKS6_NS0_5tupleIJS9_S6_EEENSD_IJSA_SA_EEENS0_18inequality_wrapperIZN2at6native12_GLOBAL__N_124unique_dim_cuda_templateIfEESt5tupleIJNSH_6TensorESM_SM_EERKSM_lbbbEUlllE0_EEPmJS6_EEE10hipError_tPvRmT3_T4_T5_T6_T7_T9_mT8_P12ihipStream_tbDpT10_ENKUlT_T0_E_clISt17integral_constantIbLb0EES1C_EEDaS17_S18_EUlS17_E_NS1_11comp_targetILNS1_3genE0ELNS1_11target_archE4294967295ELNS1_3gpuE0ELNS1_3repE0EEENS1_30default_config_static_selectorELNS0_4arch9wavefront6targetE0EEEvT1_.kd
    .uniform_work_group_size: 1
    .uses_dynamic_stack: false
    .vgpr_count:     54
    .vgpr_spill_count: 0
    .wavefront_size: 32
  - .args:
      - .offset:         0
        .size:           120
        .value_kind:     by_value
    .group_segment_fixed_size: 0
    .kernarg_segment_align: 8
    .kernarg_segment_size: 120
    .language:       OpenCL C
    .language_version:
      - 2
      - 0
    .max_flat_workgroup_size: 512
    .name:           _ZN7rocprim17ROCPRIM_400000_NS6detail17trampoline_kernelINS0_14default_configENS1_25partition_config_selectorILNS1_17partition_subalgoE8ElNS0_10empty_typeEbEEZZNS1_14partition_implILS5_8ELb0ES3_jPlPS6_PKS6_NS0_5tupleIJS9_S6_EEENSD_IJSA_SA_EEENS0_18inequality_wrapperIZN2at6native12_GLOBAL__N_124unique_dim_cuda_templateIfEESt5tupleIJNSH_6TensorESM_SM_EERKSM_lbbbEUlllE0_EEPmJS6_EEE10hipError_tPvRmT3_T4_T5_T6_T7_T9_mT8_P12ihipStream_tbDpT10_ENKUlT_T0_E_clISt17integral_constantIbLb0EES1C_EEDaS17_S18_EUlS17_E_NS1_11comp_targetILNS1_3genE5ELNS1_11target_archE942ELNS1_3gpuE9ELNS1_3repE0EEENS1_30default_config_static_selectorELNS0_4arch9wavefront6targetE0EEEvT1_
    .private_segment_fixed_size: 0
    .sgpr_count:     0
    .sgpr_spill_count: 0
    .symbol:         _ZN7rocprim17ROCPRIM_400000_NS6detail17trampoline_kernelINS0_14default_configENS1_25partition_config_selectorILNS1_17partition_subalgoE8ElNS0_10empty_typeEbEEZZNS1_14partition_implILS5_8ELb0ES3_jPlPS6_PKS6_NS0_5tupleIJS9_S6_EEENSD_IJSA_SA_EEENS0_18inequality_wrapperIZN2at6native12_GLOBAL__N_124unique_dim_cuda_templateIfEESt5tupleIJNSH_6TensorESM_SM_EERKSM_lbbbEUlllE0_EEPmJS6_EEE10hipError_tPvRmT3_T4_T5_T6_T7_T9_mT8_P12ihipStream_tbDpT10_ENKUlT_T0_E_clISt17integral_constantIbLb0EES1C_EEDaS17_S18_EUlS17_E_NS1_11comp_targetILNS1_3genE5ELNS1_11target_archE942ELNS1_3gpuE9ELNS1_3repE0EEENS1_30default_config_static_selectorELNS0_4arch9wavefront6targetE0EEEvT1_.kd
    .uniform_work_group_size: 1
    .uses_dynamic_stack: false
    .vgpr_count:     0
    .vgpr_spill_count: 0
    .wavefront_size: 32
  - .args:
      - .offset:         0
        .size:           120
        .value_kind:     by_value
    .group_segment_fixed_size: 0
    .kernarg_segment_align: 8
    .kernarg_segment_size: 120
    .language:       OpenCL C
    .language_version:
      - 2
      - 0
    .max_flat_workgroup_size: 256
    .name:           _ZN7rocprim17ROCPRIM_400000_NS6detail17trampoline_kernelINS0_14default_configENS1_25partition_config_selectorILNS1_17partition_subalgoE8ElNS0_10empty_typeEbEEZZNS1_14partition_implILS5_8ELb0ES3_jPlPS6_PKS6_NS0_5tupleIJS9_S6_EEENSD_IJSA_SA_EEENS0_18inequality_wrapperIZN2at6native12_GLOBAL__N_124unique_dim_cuda_templateIfEESt5tupleIJNSH_6TensorESM_SM_EERKSM_lbbbEUlllE0_EEPmJS6_EEE10hipError_tPvRmT3_T4_T5_T6_T7_T9_mT8_P12ihipStream_tbDpT10_ENKUlT_T0_E_clISt17integral_constantIbLb0EES1C_EEDaS17_S18_EUlS17_E_NS1_11comp_targetILNS1_3genE4ELNS1_11target_archE910ELNS1_3gpuE8ELNS1_3repE0EEENS1_30default_config_static_selectorELNS0_4arch9wavefront6targetE0EEEvT1_
    .private_segment_fixed_size: 0
    .sgpr_count:     0
    .sgpr_spill_count: 0
    .symbol:         _ZN7rocprim17ROCPRIM_400000_NS6detail17trampoline_kernelINS0_14default_configENS1_25partition_config_selectorILNS1_17partition_subalgoE8ElNS0_10empty_typeEbEEZZNS1_14partition_implILS5_8ELb0ES3_jPlPS6_PKS6_NS0_5tupleIJS9_S6_EEENSD_IJSA_SA_EEENS0_18inequality_wrapperIZN2at6native12_GLOBAL__N_124unique_dim_cuda_templateIfEESt5tupleIJNSH_6TensorESM_SM_EERKSM_lbbbEUlllE0_EEPmJS6_EEE10hipError_tPvRmT3_T4_T5_T6_T7_T9_mT8_P12ihipStream_tbDpT10_ENKUlT_T0_E_clISt17integral_constantIbLb0EES1C_EEDaS17_S18_EUlS17_E_NS1_11comp_targetILNS1_3genE4ELNS1_11target_archE910ELNS1_3gpuE8ELNS1_3repE0EEENS1_30default_config_static_selectorELNS0_4arch9wavefront6targetE0EEEvT1_.kd
    .uniform_work_group_size: 1
    .uses_dynamic_stack: false
    .vgpr_count:     0
    .vgpr_spill_count: 0
    .wavefront_size: 32
  - .args:
      - .offset:         0
        .size:           120
        .value_kind:     by_value
    .group_segment_fixed_size: 0
    .kernarg_segment_align: 8
    .kernarg_segment_size: 120
    .language:       OpenCL C
    .language_version:
      - 2
      - 0
    .max_flat_workgroup_size: 512
    .name:           _ZN7rocprim17ROCPRIM_400000_NS6detail17trampoline_kernelINS0_14default_configENS1_25partition_config_selectorILNS1_17partition_subalgoE8ElNS0_10empty_typeEbEEZZNS1_14partition_implILS5_8ELb0ES3_jPlPS6_PKS6_NS0_5tupleIJS9_S6_EEENSD_IJSA_SA_EEENS0_18inequality_wrapperIZN2at6native12_GLOBAL__N_124unique_dim_cuda_templateIfEESt5tupleIJNSH_6TensorESM_SM_EERKSM_lbbbEUlllE0_EEPmJS6_EEE10hipError_tPvRmT3_T4_T5_T6_T7_T9_mT8_P12ihipStream_tbDpT10_ENKUlT_T0_E_clISt17integral_constantIbLb0EES1C_EEDaS17_S18_EUlS17_E_NS1_11comp_targetILNS1_3genE3ELNS1_11target_archE908ELNS1_3gpuE7ELNS1_3repE0EEENS1_30default_config_static_selectorELNS0_4arch9wavefront6targetE0EEEvT1_
    .private_segment_fixed_size: 0
    .sgpr_count:     0
    .sgpr_spill_count: 0
    .symbol:         _ZN7rocprim17ROCPRIM_400000_NS6detail17trampoline_kernelINS0_14default_configENS1_25partition_config_selectorILNS1_17partition_subalgoE8ElNS0_10empty_typeEbEEZZNS1_14partition_implILS5_8ELb0ES3_jPlPS6_PKS6_NS0_5tupleIJS9_S6_EEENSD_IJSA_SA_EEENS0_18inequality_wrapperIZN2at6native12_GLOBAL__N_124unique_dim_cuda_templateIfEESt5tupleIJNSH_6TensorESM_SM_EERKSM_lbbbEUlllE0_EEPmJS6_EEE10hipError_tPvRmT3_T4_T5_T6_T7_T9_mT8_P12ihipStream_tbDpT10_ENKUlT_T0_E_clISt17integral_constantIbLb0EES1C_EEDaS17_S18_EUlS17_E_NS1_11comp_targetILNS1_3genE3ELNS1_11target_archE908ELNS1_3gpuE7ELNS1_3repE0EEENS1_30default_config_static_selectorELNS0_4arch9wavefront6targetE0EEEvT1_.kd
    .uniform_work_group_size: 1
    .uses_dynamic_stack: false
    .vgpr_count:     0
    .vgpr_spill_count: 0
    .wavefront_size: 32
  - .args:
      - .offset:         0
        .size:           120
        .value_kind:     by_value
    .group_segment_fixed_size: 0
    .kernarg_segment_align: 8
    .kernarg_segment_size: 120
    .language:       OpenCL C
    .language_version:
      - 2
      - 0
    .max_flat_workgroup_size: 256
    .name:           _ZN7rocprim17ROCPRIM_400000_NS6detail17trampoline_kernelINS0_14default_configENS1_25partition_config_selectorILNS1_17partition_subalgoE8ElNS0_10empty_typeEbEEZZNS1_14partition_implILS5_8ELb0ES3_jPlPS6_PKS6_NS0_5tupleIJS9_S6_EEENSD_IJSA_SA_EEENS0_18inequality_wrapperIZN2at6native12_GLOBAL__N_124unique_dim_cuda_templateIfEESt5tupleIJNSH_6TensorESM_SM_EERKSM_lbbbEUlllE0_EEPmJS6_EEE10hipError_tPvRmT3_T4_T5_T6_T7_T9_mT8_P12ihipStream_tbDpT10_ENKUlT_T0_E_clISt17integral_constantIbLb0EES1C_EEDaS17_S18_EUlS17_E_NS1_11comp_targetILNS1_3genE2ELNS1_11target_archE906ELNS1_3gpuE6ELNS1_3repE0EEENS1_30default_config_static_selectorELNS0_4arch9wavefront6targetE0EEEvT1_
    .private_segment_fixed_size: 0
    .sgpr_count:     0
    .sgpr_spill_count: 0
    .symbol:         _ZN7rocprim17ROCPRIM_400000_NS6detail17trampoline_kernelINS0_14default_configENS1_25partition_config_selectorILNS1_17partition_subalgoE8ElNS0_10empty_typeEbEEZZNS1_14partition_implILS5_8ELb0ES3_jPlPS6_PKS6_NS0_5tupleIJS9_S6_EEENSD_IJSA_SA_EEENS0_18inequality_wrapperIZN2at6native12_GLOBAL__N_124unique_dim_cuda_templateIfEESt5tupleIJNSH_6TensorESM_SM_EERKSM_lbbbEUlllE0_EEPmJS6_EEE10hipError_tPvRmT3_T4_T5_T6_T7_T9_mT8_P12ihipStream_tbDpT10_ENKUlT_T0_E_clISt17integral_constantIbLb0EES1C_EEDaS17_S18_EUlS17_E_NS1_11comp_targetILNS1_3genE2ELNS1_11target_archE906ELNS1_3gpuE6ELNS1_3repE0EEENS1_30default_config_static_selectorELNS0_4arch9wavefront6targetE0EEEvT1_.kd
    .uniform_work_group_size: 1
    .uses_dynamic_stack: false
    .vgpr_count:     0
    .vgpr_spill_count: 0
    .wavefront_size: 32
  - .args:
      - .offset:         0
        .size:           120
        .value_kind:     by_value
    .group_segment_fixed_size: 0
    .kernarg_segment_align: 8
    .kernarg_segment_size: 120
    .language:       OpenCL C
    .language_version:
      - 2
      - 0
    .max_flat_workgroup_size: 384
    .name:           _ZN7rocprim17ROCPRIM_400000_NS6detail17trampoline_kernelINS0_14default_configENS1_25partition_config_selectorILNS1_17partition_subalgoE8ElNS0_10empty_typeEbEEZZNS1_14partition_implILS5_8ELb0ES3_jPlPS6_PKS6_NS0_5tupleIJS9_S6_EEENSD_IJSA_SA_EEENS0_18inequality_wrapperIZN2at6native12_GLOBAL__N_124unique_dim_cuda_templateIfEESt5tupleIJNSH_6TensorESM_SM_EERKSM_lbbbEUlllE0_EEPmJS6_EEE10hipError_tPvRmT3_T4_T5_T6_T7_T9_mT8_P12ihipStream_tbDpT10_ENKUlT_T0_E_clISt17integral_constantIbLb0EES1C_EEDaS17_S18_EUlS17_E_NS1_11comp_targetILNS1_3genE10ELNS1_11target_archE1200ELNS1_3gpuE4ELNS1_3repE0EEENS1_30default_config_static_selectorELNS0_4arch9wavefront6targetE0EEEvT1_
    .private_segment_fixed_size: 0
    .sgpr_count:     0
    .sgpr_spill_count: 0
    .symbol:         _ZN7rocprim17ROCPRIM_400000_NS6detail17trampoline_kernelINS0_14default_configENS1_25partition_config_selectorILNS1_17partition_subalgoE8ElNS0_10empty_typeEbEEZZNS1_14partition_implILS5_8ELb0ES3_jPlPS6_PKS6_NS0_5tupleIJS9_S6_EEENSD_IJSA_SA_EEENS0_18inequality_wrapperIZN2at6native12_GLOBAL__N_124unique_dim_cuda_templateIfEESt5tupleIJNSH_6TensorESM_SM_EERKSM_lbbbEUlllE0_EEPmJS6_EEE10hipError_tPvRmT3_T4_T5_T6_T7_T9_mT8_P12ihipStream_tbDpT10_ENKUlT_T0_E_clISt17integral_constantIbLb0EES1C_EEDaS17_S18_EUlS17_E_NS1_11comp_targetILNS1_3genE10ELNS1_11target_archE1200ELNS1_3gpuE4ELNS1_3repE0EEENS1_30default_config_static_selectorELNS0_4arch9wavefront6targetE0EEEvT1_.kd
    .uniform_work_group_size: 1
    .uses_dynamic_stack: false
    .vgpr_count:     0
    .vgpr_spill_count: 0
    .wavefront_size: 32
  - .args:
      - .offset:         0
        .size:           120
        .value_kind:     by_value
    .group_segment_fixed_size: 0
    .kernarg_segment_align: 8
    .kernarg_segment_size: 120
    .language:       OpenCL C
    .language_version:
      - 2
      - 0
    .max_flat_workgroup_size: 512
    .name:           _ZN7rocprim17ROCPRIM_400000_NS6detail17trampoline_kernelINS0_14default_configENS1_25partition_config_selectorILNS1_17partition_subalgoE8ElNS0_10empty_typeEbEEZZNS1_14partition_implILS5_8ELb0ES3_jPlPS6_PKS6_NS0_5tupleIJS9_S6_EEENSD_IJSA_SA_EEENS0_18inequality_wrapperIZN2at6native12_GLOBAL__N_124unique_dim_cuda_templateIfEESt5tupleIJNSH_6TensorESM_SM_EERKSM_lbbbEUlllE0_EEPmJS6_EEE10hipError_tPvRmT3_T4_T5_T6_T7_T9_mT8_P12ihipStream_tbDpT10_ENKUlT_T0_E_clISt17integral_constantIbLb0EES1C_EEDaS17_S18_EUlS17_E_NS1_11comp_targetILNS1_3genE9ELNS1_11target_archE1100ELNS1_3gpuE3ELNS1_3repE0EEENS1_30default_config_static_selectorELNS0_4arch9wavefront6targetE0EEEvT1_
    .private_segment_fixed_size: 0
    .sgpr_count:     0
    .sgpr_spill_count: 0
    .symbol:         _ZN7rocprim17ROCPRIM_400000_NS6detail17trampoline_kernelINS0_14default_configENS1_25partition_config_selectorILNS1_17partition_subalgoE8ElNS0_10empty_typeEbEEZZNS1_14partition_implILS5_8ELb0ES3_jPlPS6_PKS6_NS0_5tupleIJS9_S6_EEENSD_IJSA_SA_EEENS0_18inequality_wrapperIZN2at6native12_GLOBAL__N_124unique_dim_cuda_templateIfEESt5tupleIJNSH_6TensorESM_SM_EERKSM_lbbbEUlllE0_EEPmJS6_EEE10hipError_tPvRmT3_T4_T5_T6_T7_T9_mT8_P12ihipStream_tbDpT10_ENKUlT_T0_E_clISt17integral_constantIbLb0EES1C_EEDaS17_S18_EUlS17_E_NS1_11comp_targetILNS1_3genE9ELNS1_11target_archE1100ELNS1_3gpuE3ELNS1_3repE0EEENS1_30default_config_static_selectorELNS0_4arch9wavefront6targetE0EEEvT1_.kd
    .uniform_work_group_size: 1
    .uses_dynamic_stack: false
    .vgpr_count:     0
    .vgpr_spill_count: 0
    .wavefront_size: 32
  - .args:
      - .offset:         0
        .size:           120
        .value_kind:     by_value
    .group_segment_fixed_size: 0
    .kernarg_segment_align: 8
    .kernarg_segment_size: 120
    .language:       OpenCL C
    .language_version:
      - 2
      - 0
    .max_flat_workgroup_size: 512
    .name:           _ZN7rocprim17ROCPRIM_400000_NS6detail17trampoline_kernelINS0_14default_configENS1_25partition_config_selectorILNS1_17partition_subalgoE8ElNS0_10empty_typeEbEEZZNS1_14partition_implILS5_8ELb0ES3_jPlPS6_PKS6_NS0_5tupleIJS9_S6_EEENSD_IJSA_SA_EEENS0_18inequality_wrapperIZN2at6native12_GLOBAL__N_124unique_dim_cuda_templateIfEESt5tupleIJNSH_6TensorESM_SM_EERKSM_lbbbEUlllE0_EEPmJS6_EEE10hipError_tPvRmT3_T4_T5_T6_T7_T9_mT8_P12ihipStream_tbDpT10_ENKUlT_T0_E_clISt17integral_constantIbLb0EES1C_EEDaS17_S18_EUlS17_E_NS1_11comp_targetILNS1_3genE8ELNS1_11target_archE1030ELNS1_3gpuE2ELNS1_3repE0EEENS1_30default_config_static_selectorELNS0_4arch9wavefront6targetE0EEEvT1_
    .private_segment_fixed_size: 0
    .sgpr_count:     0
    .sgpr_spill_count: 0
    .symbol:         _ZN7rocprim17ROCPRIM_400000_NS6detail17trampoline_kernelINS0_14default_configENS1_25partition_config_selectorILNS1_17partition_subalgoE8ElNS0_10empty_typeEbEEZZNS1_14partition_implILS5_8ELb0ES3_jPlPS6_PKS6_NS0_5tupleIJS9_S6_EEENSD_IJSA_SA_EEENS0_18inequality_wrapperIZN2at6native12_GLOBAL__N_124unique_dim_cuda_templateIfEESt5tupleIJNSH_6TensorESM_SM_EERKSM_lbbbEUlllE0_EEPmJS6_EEE10hipError_tPvRmT3_T4_T5_T6_T7_T9_mT8_P12ihipStream_tbDpT10_ENKUlT_T0_E_clISt17integral_constantIbLb0EES1C_EEDaS17_S18_EUlS17_E_NS1_11comp_targetILNS1_3genE8ELNS1_11target_archE1030ELNS1_3gpuE2ELNS1_3repE0EEENS1_30default_config_static_selectorELNS0_4arch9wavefront6targetE0EEEvT1_.kd
    .uniform_work_group_size: 1
    .uses_dynamic_stack: false
    .vgpr_count:     0
    .vgpr_spill_count: 0
    .wavefront_size: 32
  - .args:
      - .offset:         0
        .size:           136
        .value_kind:     by_value
    .group_segment_fixed_size: 0
    .kernarg_segment_align: 8
    .kernarg_segment_size: 136
    .language:       OpenCL C
    .language_version:
      - 2
      - 0
    .max_flat_workgroup_size: 512
    .name:           _ZN7rocprim17ROCPRIM_400000_NS6detail17trampoline_kernelINS0_14default_configENS1_25partition_config_selectorILNS1_17partition_subalgoE8ElNS0_10empty_typeEbEEZZNS1_14partition_implILS5_8ELb0ES3_jPlPS6_PKS6_NS0_5tupleIJS9_S6_EEENSD_IJSA_SA_EEENS0_18inequality_wrapperIZN2at6native12_GLOBAL__N_124unique_dim_cuda_templateIfEESt5tupleIJNSH_6TensorESM_SM_EERKSM_lbbbEUlllE0_EEPmJS6_EEE10hipError_tPvRmT3_T4_T5_T6_T7_T9_mT8_P12ihipStream_tbDpT10_ENKUlT_T0_E_clISt17integral_constantIbLb1EES1C_EEDaS17_S18_EUlS17_E_NS1_11comp_targetILNS1_3genE0ELNS1_11target_archE4294967295ELNS1_3gpuE0ELNS1_3repE0EEENS1_30default_config_static_selectorELNS0_4arch9wavefront6targetE0EEEvT1_
    .private_segment_fixed_size: 0
    .sgpr_count:     0
    .sgpr_spill_count: 0
    .symbol:         _ZN7rocprim17ROCPRIM_400000_NS6detail17trampoline_kernelINS0_14default_configENS1_25partition_config_selectorILNS1_17partition_subalgoE8ElNS0_10empty_typeEbEEZZNS1_14partition_implILS5_8ELb0ES3_jPlPS6_PKS6_NS0_5tupleIJS9_S6_EEENSD_IJSA_SA_EEENS0_18inequality_wrapperIZN2at6native12_GLOBAL__N_124unique_dim_cuda_templateIfEESt5tupleIJNSH_6TensorESM_SM_EERKSM_lbbbEUlllE0_EEPmJS6_EEE10hipError_tPvRmT3_T4_T5_T6_T7_T9_mT8_P12ihipStream_tbDpT10_ENKUlT_T0_E_clISt17integral_constantIbLb1EES1C_EEDaS17_S18_EUlS17_E_NS1_11comp_targetILNS1_3genE0ELNS1_11target_archE4294967295ELNS1_3gpuE0ELNS1_3repE0EEENS1_30default_config_static_selectorELNS0_4arch9wavefront6targetE0EEEvT1_.kd
    .uniform_work_group_size: 1
    .uses_dynamic_stack: false
    .vgpr_count:     0
    .vgpr_spill_count: 0
    .wavefront_size: 32
  - .args:
      - .offset:         0
        .size:           136
        .value_kind:     by_value
    .group_segment_fixed_size: 0
    .kernarg_segment_align: 8
    .kernarg_segment_size: 136
    .language:       OpenCL C
    .language_version:
      - 2
      - 0
    .max_flat_workgroup_size: 512
    .name:           _ZN7rocprim17ROCPRIM_400000_NS6detail17trampoline_kernelINS0_14default_configENS1_25partition_config_selectorILNS1_17partition_subalgoE8ElNS0_10empty_typeEbEEZZNS1_14partition_implILS5_8ELb0ES3_jPlPS6_PKS6_NS0_5tupleIJS9_S6_EEENSD_IJSA_SA_EEENS0_18inequality_wrapperIZN2at6native12_GLOBAL__N_124unique_dim_cuda_templateIfEESt5tupleIJNSH_6TensorESM_SM_EERKSM_lbbbEUlllE0_EEPmJS6_EEE10hipError_tPvRmT3_T4_T5_T6_T7_T9_mT8_P12ihipStream_tbDpT10_ENKUlT_T0_E_clISt17integral_constantIbLb1EES1C_EEDaS17_S18_EUlS17_E_NS1_11comp_targetILNS1_3genE5ELNS1_11target_archE942ELNS1_3gpuE9ELNS1_3repE0EEENS1_30default_config_static_selectorELNS0_4arch9wavefront6targetE0EEEvT1_
    .private_segment_fixed_size: 0
    .sgpr_count:     0
    .sgpr_spill_count: 0
    .symbol:         _ZN7rocprim17ROCPRIM_400000_NS6detail17trampoline_kernelINS0_14default_configENS1_25partition_config_selectorILNS1_17partition_subalgoE8ElNS0_10empty_typeEbEEZZNS1_14partition_implILS5_8ELb0ES3_jPlPS6_PKS6_NS0_5tupleIJS9_S6_EEENSD_IJSA_SA_EEENS0_18inequality_wrapperIZN2at6native12_GLOBAL__N_124unique_dim_cuda_templateIfEESt5tupleIJNSH_6TensorESM_SM_EERKSM_lbbbEUlllE0_EEPmJS6_EEE10hipError_tPvRmT3_T4_T5_T6_T7_T9_mT8_P12ihipStream_tbDpT10_ENKUlT_T0_E_clISt17integral_constantIbLb1EES1C_EEDaS17_S18_EUlS17_E_NS1_11comp_targetILNS1_3genE5ELNS1_11target_archE942ELNS1_3gpuE9ELNS1_3repE0EEENS1_30default_config_static_selectorELNS0_4arch9wavefront6targetE0EEEvT1_.kd
    .uniform_work_group_size: 1
    .uses_dynamic_stack: false
    .vgpr_count:     0
    .vgpr_spill_count: 0
    .wavefront_size: 32
  - .args:
      - .offset:         0
        .size:           136
        .value_kind:     by_value
    .group_segment_fixed_size: 0
    .kernarg_segment_align: 8
    .kernarg_segment_size: 136
    .language:       OpenCL C
    .language_version:
      - 2
      - 0
    .max_flat_workgroup_size: 256
    .name:           _ZN7rocprim17ROCPRIM_400000_NS6detail17trampoline_kernelINS0_14default_configENS1_25partition_config_selectorILNS1_17partition_subalgoE8ElNS0_10empty_typeEbEEZZNS1_14partition_implILS5_8ELb0ES3_jPlPS6_PKS6_NS0_5tupleIJS9_S6_EEENSD_IJSA_SA_EEENS0_18inequality_wrapperIZN2at6native12_GLOBAL__N_124unique_dim_cuda_templateIfEESt5tupleIJNSH_6TensorESM_SM_EERKSM_lbbbEUlllE0_EEPmJS6_EEE10hipError_tPvRmT3_T4_T5_T6_T7_T9_mT8_P12ihipStream_tbDpT10_ENKUlT_T0_E_clISt17integral_constantIbLb1EES1C_EEDaS17_S18_EUlS17_E_NS1_11comp_targetILNS1_3genE4ELNS1_11target_archE910ELNS1_3gpuE8ELNS1_3repE0EEENS1_30default_config_static_selectorELNS0_4arch9wavefront6targetE0EEEvT1_
    .private_segment_fixed_size: 0
    .sgpr_count:     0
    .sgpr_spill_count: 0
    .symbol:         _ZN7rocprim17ROCPRIM_400000_NS6detail17trampoline_kernelINS0_14default_configENS1_25partition_config_selectorILNS1_17partition_subalgoE8ElNS0_10empty_typeEbEEZZNS1_14partition_implILS5_8ELb0ES3_jPlPS6_PKS6_NS0_5tupleIJS9_S6_EEENSD_IJSA_SA_EEENS0_18inequality_wrapperIZN2at6native12_GLOBAL__N_124unique_dim_cuda_templateIfEESt5tupleIJNSH_6TensorESM_SM_EERKSM_lbbbEUlllE0_EEPmJS6_EEE10hipError_tPvRmT3_T4_T5_T6_T7_T9_mT8_P12ihipStream_tbDpT10_ENKUlT_T0_E_clISt17integral_constantIbLb1EES1C_EEDaS17_S18_EUlS17_E_NS1_11comp_targetILNS1_3genE4ELNS1_11target_archE910ELNS1_3gpuE8ELNS1_3repE0EEENS1_30default_config_static_selectorELNS0_4arch9wavefront6targetE0EEEvT1_.kd
    .uniform_work_group_size: 1
    .uses_dynamic_stack: false
    .vgpr_count:     0
    .vgpr_spill_count: 0
    .wavefront_size: 32
  - .args:
      - .offset:         0
        .size:           136
        .value_kind:     by_value
    .group_segment_fixed_size: 0
    .kernarg_segment_align: 8
    .kernarg_segment_size: 136
    .language:       OpenCL C
    .language_version:
      - 2
      - 0
    .max_flat_workgroup_size: 512
    .name:           _ZN7rocprim17ROCPRIM_400000_NS6detail17trampoline_kernelINS0_14default_configENS1_25partition_config_selectorILNS1_17partition_subalgoE8ElNS0_10empty_typeEbEEZZNS1_14partition_implILS5_8ELb0ES3_jPlPS6_PKS6_NS0_5tupleIJS9_S6_EEENSD_IJSA_SA_EEENS0_18inequality_wrapperIZN2at6native12_GLOBAL__N_124unique_dim_cuda_templateIfEESt5tupleIJNSH_6TensorESM_SM_EERKSM_lbbbEUlllE0_EEPmJS6_EEE10hipError_tPvRmT3_T4_T5_T6_T7_T9_mT8_P12ihipStream_tbDpT10_ENKUlT_T0_E_clISt17integral_constantIbLb1EES1C_EEDaS17_S18_EUlS17_E_NS1_11comp_targetILNS1_3genE3ELNS1_11target_archE908ELNS1_3gpuE7ELNS1_3repE0EEENS1_30default_config_static_selectorELNS0_4arch9wavefront6targetE0EEEvT1_
    .private_segment_fixed_size: 0
    .sgpr_count:     0
    .sgpr_spill_count: 0
    .symbol:         _ZN7rocprim17ROCPRIM_400000_NS6detail17trampoline_kernelINS0_14default_configENS1_25partition_config_selectorILNS1_17partition_subalgoE8ElNS0_10empty_typeEbEEZZNS1_14partition_implILS5_8ELb0ES3_jPlPS6_PKS6_NS0_5tupleIJS9_S6_EEENSD_IJSA_SA_EEENS0_18inequality_wrapperIZN2at6native12_GLOBAL__N_124unique_dim_cuda_templateIfEESt5tupleIJNSH_6TensorESM_SM_EERKSM_lbbbEUlllE0_EEPmJS6_EEE10hipError_tPvRmT3_T4_T5_T6_T7_T9_mT8_P12ihipStream_tbDpT10_ENKUlT_T0_E_clISt17integral_constantIbLb1EES1C_EEDaS17_S18_EUlS17_E_NS1_11comp_targetILNS1_3genE3ELNS1_11target_archE908ELNS1_3gpuE7ELNS1_3repE0EEENS1_30default_config_static_selectorELNS0_4arch9wavefront6targetE0EEEvT1_.kd
    .uniform_work_group_size: 1
    .uses_dynamic_stack: false
    .vgpr_count:     0
    .vgpr_spill_count: 0
    .wavefront_size: 32
  - .args:
      - .offset:         0
        .size:           136
        .value_kind:     by_value
    .group_segment_fixed_size: 0
    .kernarg_segment_align: 8
    .kernarg_segment_size: 136
    .language:       OpenCL C
    .language_version:
      - 2
      - 0
    .max_flat_workgroup_size: 256
    .name:           _ZN7rocprim17ROCPRIM_400000_NS6detail17trampoline_kernelINS0_14default_configENS1_25partition_config_selectorILNS1_17partition_subalgoE8ElNS0_10empty_typeEbEEZZNS1_14partition_implILS5_8ELb0ES3_jPlPS6_PKS6_NS0_5tupleIJS9_S6_EEENSD_IJSA_SA_EEENS0_18inequality_wrapperIZN2at6native12_GLOBAL__N_124unique_dim_cuda_templateIfEESt5tupleIJNSH_6TensorESM_SM_EERKSM_lbbbEUlllE0_EEPmJS6_EEE10hipError_tPvRmT3_T4_T5_T6_T7_T9_mT8_P12ihipStream_tbDpT10_ENKUlT_T0_E_clISt17integral_constantIbLb1EES1C_EEDaS17_S18_EUlS17_E_NS1_11comp_targetILNS1_3genE2ELNS1_11target_archE906ELNS1_3gpuE6ELNS1_3repE0EEENS1_30default_config_static_selectorELNS0_4arch9wavefront6targetE0EEEvT1_
    .private_segment_fixed_size: 0
    .sgpr_count:     0
    .sgpr_spill_count: 0
    .symbol:         _ZN7rocprim17ROCPRIM_400000_NS6detail17trampoline_kernelINS0_14default_configENS1_25partition_config_selectorILNS1_17partition_subalgoE8ElNS0_10empty_typeEbEEZZNS1_14partition_implILS5_8ELb0ES3_jPlPS6_PKS6_NS0_5tupleIJS9_S6_EEENSD_IJSA_SA_EEENS0_18inequality_wrapperIZN2at6native12_GLOBAL__N_124unique_dim_cuda_templateIfEESt5tupleIJNSH_6TensorESM_SM_EERKSM_lbbbEUlllE0_EEPmJS6_EEE10hipError_tPvRmT3_T4_T5_T6_T7_T9_mT8_P12ihipStream_tbDpT10_ENKUlT_T0_E_clISt17integral_constantIbLb1EES1C_EEDaS17_S18_EUlS17_E_NS1_11comp_targetILNS1_3genE2ELNS1_11target_archE906ELNS1_3gpuE6ELNS1_3repE0EEENS1_30default_config_static_selectorELNS0_4arch9wavefront6targetE0EEEvT1_.kd
    .uniform_work_group_size: 1
    .uses_dynamic_stack: false
    .vgpr_count:     0
    .vgpr_spill_count: 0
    .wavefront_size: 32
  - .args:
      - .offset:         0
        .size:           136
        .value_kind:     by_value
    .group_segment_fixed_size: 0
    .kernarg_segment_align: 8
    .kernarg_segment_size: 136
    .language:       OpenCL C
    .language_version:
      - 2
      - 0
    .max_flat_workgroup_size: 384
    .name:           _ZN7rocprim17ROCPRIM_400000_NS6detail17trampoline_kernelINS0_14default_configENS1_25partition_config_selectorILNS1_17partition_subalgoE8ElNS0_10empty_typeEbEEZZNS1_14partition_implILS5_8ELb0ES3_jPlPS6_PKS6_NS0_5tupleIJS9_S6_EEENSD_IJSA_SA_EEENS0_18inequality_wrapperIZN2at6native12_GLOBAL__N_124unique_dim_cuda_templateIfEESt5tupleIJNSH_6TensorESM_SM_EERKSM_lbbbEUlllE0_EEPmJS6_EEE10hipError_tPvRmT3_T4_T5_T6_T7_T9_mT8_P12ihipStream_tbDpT10_ENKUlT_T0_E_clISt17integral_constantIbLb1EES1C_EEDaS17_S18_EUlS17_E_NS1_11comp_targetILNS1_3genE10ELNS1_11target_archE1200ELNS1_3gpuE4ELNS1_3repE0EEENS1_30default_config_static_selectorELNS0_4arch9wavefront6targetE0EEEvT1_
    .private_segment_fixed_size: 0
    .sgpr_count:     0
    .sgpr_spill_count: 0
    .symbol:         _ZN7rocprim17ROCPRIM_400000_NS6detail17trampoline_kernelINS0_14default_configENS1_25partition_config_selectorILNS1_17partition_subalgoE8ElNS0_10empty_typeEbEEZZNS1_14partition_implILS5_8ELb0ES3_jPlPS6_PKS6_NS0_5tupleIJS9_S6_EEENSD_IJSA_SA_EEENS0_18inequality_wrapperIZN2at6native12_GLOBAL__N_124unique_dim_cuda_templateIfEESt5tupleIJNSH_6TensorESM_SM_EERKSM_lbbbEUlllE0_EEPmJS6_EEE10hipError_tPvRmT3_T4_T5_T6_T7_T9_mT8_P12ihipStream_tbDpT10_ENKUlT_T0_E_clISt17integral_constantIbLb1EES1C_EEDaS17_S18_EUlS17_E_NS1_11comp_targetILNS1_3genE10ELNS1_11target_archE1200ELNS1_3gpuE4ELNS1_3repE0EEENS1_30default_config_static_selectorELNS0_4arch9wavefront6targetE0EEEvT1_.kd
    .uniform_work_group_size: 1
    .uses_dynamic_stack: false
    .vgpr_count:     0
    .vgpr_spill_count: 0
    .wavefront_size: 32
  - .args:
      - .offset:         0
        .size:           136
        .value_kind:     by_value
    .group_segment_fixed_size: 0
    .kernarg_segment_align: 8
    .kernarg_segment_size: 136
    .language:       OpenCL C
    .language_version:
      - 2
      - 0
    .max_flat_workgroup_size: 512
    .name:           _ZN7rocprim17ROCPRIM_400000_NS6detail17trampoline_kernelINS0_14default_configENS1_25partition_config_selectorILNS1_17partition_subalgoE8ElNS0_10empty_typeEbEEZZNS1_14partition_implILS5_8ELb0ES3_jPlPS6_PKS6_NS0_5tupleIJS9_S6_EEENSD_IJSA_SA_EEENS0_18inequality_wrapperIZN2at6native12_GLOBAL__N_124unique_dim_cuda_templateIfEESt5tupleIJNSH_6TensorESM_SM_EERKSM_lbbbEUlllE0_EEPmJS6_EEE10hipError_tPvRmT3_T4_T5_T6_T7_T9_mT8_P12ihipStream_tbDpT10_ENKUlT_T0_E_clISt17integral_constantIbLb1EES1C_EEDaS17_S18_EUlS17_E_NS1_11comp_targetILNS1_3genE9ELNS1_11target_archE1100ELNS1_3gpuE3ELNS1_3repE0EEENS1_30default_config_static_selectorELNS0_4arch9wavefront6targetE0EEEvT1_
    .private_segment_fixed_size: 0
    .sgpr_count:     0
    .sgpr_spill_count: 0
    .symbol:         _ZN7rocprim17ROCPRIM_400000_NS6detail17trampoline_kernelINS0_14default_configENS1_25partition_config_selectorILNS1_17partition_subalgoE8ElNS0_10empty_typeEbEEZZNS1_14partition_implILS5_8ELb0ES3_jPlPS6_PKS6_NS0_5tupleIJS9_S6_EEENSD_IJSA_SA_EEENS0_18inequality_wrapperIZN2at6native12_GLOBAL__N_124unique_dim_cuda_templateIfEESt5tupleIJNSH_6TensorESM_SM_EERKSM_lbbbEUlllE0_EEPmJS6_EEE10hipError_tPvRmT3_T4_T5_T6_T7_T9_mT8_P12ihipStream_tbDpT10_ENKUlT_T0_E_clISt17integral_constantIbLb1EES1C_EEDaS17_S18_EUlS17_E_NS1_11comp_targetILNS1_3genE9ELNS1_11target_archE1100ELNS1_3gpuE3ELNS1_3repE0EEENS1_30default_config_static_selectorELNS0_4arch9wavefront6targetE0EEEvT1_.kd
    .uniform_work_group_size: 1
    .uses_dynamic_stack: false
    .vgpr_count:     0
    .vgpr_spill_count: 0
    .wavefront_size: 32
  - .args:
      - .offset:         0
        .size:           136
        .value_kind:     by_value
    .group_segment_fixed_size: 0
    .kernarg_segment_align: 8
    .kernarg_segment_size: 136
    .language:       OpenCL C
    .language_version:
      - 2
      - 0
    .max_flat_workgroup_size: 512
    .name:           _ZN7rocprim17ROCPRIM_400000_NS6detail17trampoline_kernelINS0_14default_configENS1_25partition_config_selectorILNS1_17partition_subalgoE8ElNS0_10empty_typeEbEEZZNS1_14partition_implILS5_8ELb0ES3_jPlPS6_PKS6_NS0_5tupleIJS9_S6_EEENSD_IJSA_SA_EEENS0_18inequality_wrapperIZN2at6native12_GLOBAL__N_124unique_dim_cuda_templateIfEESt5tupleIJNSH_6TensorESM_SM_EERKSM_lbbbEUlllE0_EEPmJS6_EEE10hipError_tPvRmT3_T4_T5_T6_T7_T9_mT8_P12ihipStream_tbDpT10_ENKUlT_T0_E_clISt17integral_constantIbLb1EES1C_EEDaS17_S18_EUlS17_E_NS1_11comp_targetILNS1_3genE8ELNS1_11target_archE1030ELNS1_3gpuE2ELNS1_3repE0EEENS1_30default_config_static_selectorELNS0_4arch9wavefront6targetE0EEEvT1_
    .private_segment_fixed_size: 0
    .sgpr_count:     0
    .sgpr_spill_count: 0
    .symbol:         _ZN7rocprim17ROCPRIM_400000_NS6detail17trampoline_kernelINS0_14default_configENS1_25partition_config_selectorILNS1_17partition_subalgoE8ElNS0_10empty_typeEbEEZZNS1_14partition_implILS5_8ELb0ES3_jPlPS6_PKS6_NS0_5tupleIJS9_S6_EEENSD_IJSA_SA_EEENS0_18inequality_wrapperIZN2at6native12_GLOBAL__N_124unique_dim_cuda_templateIfEESt5tupleIJNSH_6TensorESM_SM_EERKSM_lbbbEUlllE0_EEPmJS6_EEE10hipError_tPvRmT3_T4_T5_T6_T7_T9_mT8_P12ihipStream_tbDpT10_ENKUlT_T0_E_clISt17integral_constantIbLb1EES1C_EEDaS17_S18_EUlS17_E_NS1_11comp_targetILNS1_3genE8ELNS1_11target_archE1030ELNS1_3gpuE2ELNS1_3repE0EEENS1_30default_config_static_selectorELNS0_4arch9wavefront6targetE0EEEvT1_.kd
    .uniform_work_group_size: 1
    .uses_dynamic_stack: false
    .vgpr_count:     0
    .vgpr_spill_count: 0
    .wavefront_size: 32
  - .args:
      - .offset:         0
        .size:           120
        .value_kind:     by_value
    .group_segment_fixed_size: 0
    .kernarg_segment_align: 8
    .kernarg_segment_size: 120
    .language:       OpenCL C
    .language_version:
      - 2
      - 0
    .max_flat_workgroup_size: 512
    .name:           _ZN7rocprim17ROCPRIM_400000_NS6detail17trampoline_kernelINS0_14default_configENS1_25partition_config_selectorILNS1_17partition_subalgoE8ElNS0_10empty_typeEbEEZZNS1_14partition_implILS5_8ELb0ES3_jPlPS6_PKS6_NS0_5tupleIJS9_S6_EEENSD_IJSA_SA_EEENS0_18inequality_wrapperIZN2at6native12_GLOBAL__N_124unique_dim_cuda_templateIfEESt5tupleIJNSH_6TensorESM_SM_EERKSM_lbbbEUlllE0_EEPmJS6_EEE10hipError_tPvRmT3_T4_T5_T6_T7_T9_mT8_P12ihipStream_tbDpT10_ENKUlT_T0_E_clISt17integral_constantIbLb1EES1B_IbLb0EEEEDaS17_S18_EUlS17_E_NS1_11comp_targetILNS1_3genE0ELNS1_11target_archE4294967295ELNS1_3gpuE0ELNS1_3repE0EEENS1_30default_config_static_selectorELNS0_4arch9wavefront6targetE0EEEvT1_
    .private_segment_fixed_size: 0
    .sgpr_count:     0
    .sgpr_spill_count: 0
    .symbol:         _ZN7rocprim17ROCPRIM_400000_NS6detail17trampoline_kernelINS0_14default_configENS1_25partition_config_selectorILNS1_17partition_subalgoE8ElNS0_10empty_typeEbEEZZNS1_14partition_implILS5_8ELb0ES3_jPlPS6_PKS6_NS0_5tupleIJS9_S6_EEENSD_IJSA_SA_EEENS0_18inequality_wrapperIZN2at6native12_GLOBAL__N_124unique_dim_cuda_templateIfEESt5tupleIJNSH_6TensorESM_SM_EERKSM_lbbbEUlllE0_EEPmJS6_EEE10hipError_tPvRmT3_T4_T5_T6_T7_T9_mT8_P12ihipStream_tbDpT10_ENKUlT_T0_E_clISt17integral_constantIbLb1EES1B_IbLb0EEEEDaS17_S18_EUlS17_E_NS1_11comp_targetILNS1_3genE0ELNS1_11target_archE4294967295ELNS1_3gpuE0ELNS1_3repE0EEENS1_30default_config_static_selectorELNS0_4arch9wavefront6targetE0EEEvT1_.kd
    .uniform_work_group_size: 1
    .uses_dynamic_stack: false
    .vgpr_count:     0
    .vgpr_spill_count: 0
    .wavefront_size: 32
  - .args:
      - .offset:         0
        .size:           120
        .value_kind:     by_value
    .group_segment_fixed_size: 0
    .kernarg_segment_align: 8
    .kernarg_segment_size: 120
    .language:       OpenCL C
    .language_version:
      - 2
      - 0
    .max_flat_workgroup_size: 512
    .name:           _ZN7rocprim17ROCPRIM_400000_NS6detail17trampoline_kernelINS0_14default_configENS1_25partition_config_selectorILNS1_17partition_subalgoE8ElNS0_10empty_typeEbEEZZNS1_14partition_implILS5_8ELb0ES3_jPlPS6_PKS6_NS0_5tupleIJS9_S6_EEENSD_IJSA_SA_EEENS0_18inequality_wrapperIZN2at6native12_GLOBAL__N_124unique_dim_cuda_templateIfEESt5tupleIJNSH_6TensorESM_SM_EERKSM_lbbbEUlllE0_EEPmJS6_EEE10hipError_tPvRmT3_T4_T5_T6_T7_T9_mT8_P12ihipStream_tbDpT10_ENKUlT_T0_E_clISt17integral_constantIbLb1EES1B_IbLb0EEEEDaS17_S18_EUlS17_E_NS1_11comp_targetILNS1_3genE5ELNS1_11target_archE942ELNS1_3gpuE9ELNS1_3repE0EEENS1_30default_config_static_selectorELNS0_4arch9wavefront6targetE0EEEvT1_
    .private_segment_fixed_size: 0
    .sgpr_count:     0
    .sgpr_spill_count: 0
    .symbol:         _ZN7rocprim17ROCPRIM_400000_NS6detail17trampoline_kernelINS0_14default_configENS1_25partition_config_selectorILNS1_17partition_subalgoE8ElNS0_10empty_typeEbEEZZNS1_14partition_implILS5_8ELb0ES3_jPlPS6_PKS6_NS0_5tupleIJS9_S6_EEENSD_IJSA_SA_EEENS0_18inequality_wrapperIZN2at6native12_GLOBAL__N_124unique_dim_cuda_templateIfEESt5tupleIJNSH_6TensorESM_SM_EERKSM_lbbbEUlllE0_EEPmJS6_EEE10hipError_tPvRmT3_T4_T5_T6_T7_T9_mT8_P12ihipStream_tbDpT10_ENKUlT_T0_E_clISt17integral_constantIbLb1EES1B_IbLb0EEEEDaS17_S18_EUlS17_E_NS1_11comp_targetILNS1_3genE5ELNS1_11target_archE942ELNS1_3gpuE9ELNS1_3repE0EEENS1_30default_config_static_selectorELNS0_4arch9wavefront6targetE0EEEvT1_.kd
    .uniform_work_group_size: 1
    .uses_dynamic_stack: false
    .vgpr_count:     0
    .vgpr_spill_count: 0
    .wavefront_size: 32
  - .args:
      - .offset:         0
        .size:           120
        .value_kind:     by_value
    .group_segment_fixed_size: 0
    .kernarg_segment_align: 8
    .kernarg_segment_size: 120
    .language:       OpenCL C
    .language_version:
      - 2
      - 0
    .max_flat_workgroup_size: 256
    .name:           _ZN7rocprim17ROCPRIM_400000_NS6detail17trampoline_kernelINS0_14default_configENS1_25partition_config_selectorILNS1_17partition_subalgoE8ElNS0_10empty_typeEbEEZZNS1_14partition_implILS5_8ELb0ES3_jPlPS6_PKS6_NS0_5tupleIJS9_S6_EEENSD_IJSA_SA_EEENS0_18inequality_wrapperIZN2at6native12_GLOBAL__N_124unique_dim_cuda_templateIfEESt5tupleIJNSH_6TensorESM_SM_EERKSM_lbbbEUlllE0_EEPmJS6_EEE10hipError_tPvRmT3_T4_T5_T6_T7_T9_mT8_P12ihipStream_tbDpT10_ENKUlT_T0_E_clISt17integral_constantIbLb1EES1B_IbLb0EEEEDaS17_S18_EUlS17_E_NS1_11comp_targetILNS1_3genE4ELNS1_11target_archE910ELNS1_3gpuE8ELNS1_3repE0EEENS1_30default_config_static_selectorELNS0_4arch9wavefront6targetE0EEEvT1_
    .private_segment_fixed_size: 0
    .sgpr_count:     0
    .sgpr_spill_count: 0
    .symbol:         _ZN7rocprim17ROCPRIM_400000_NS6detail17trampoline_kernelINS0_14default_configENS1_25partition_config_selectorILNS1_17partition_subalgoE8ElNS0_10empty_typeEbEEZZNS1_14partition_implILS5_8ELb0ES3_jPlPS6_PKS6_NS0_5tupleIJS9_S6_EEENSD_IJSA_SA_EEENS0_18inequality_wrapperIZN2at6native12_GLOBAL__N_124unique_dim_cuda_templateIfEESt5tupleIJNSH_6TensorESM_SM_EERKSM_lbbbEUlllE0_EEPmJS6_EEE10hipError_tPvRmT3_T4_T5_T6_T7_T9_mT8_P12ihipStream_tbDpT10_ENKUlT_T0_E_clISt17integral_constantIbLb1EES1B_IbLb0EEEEDaS17_S18_EUlS17_E_NS1_11comp_targetILNS1_3genE4ELNS1_11target_archE910ELNS1_3gpuE8ELNS1_3repE0EEENS1_30default_config_static_selectorELNS0_4arch9wavefront6targetE0EEEvT1_.kd
    .uniform_work_group_size: 1
    .uses_dynamic_stack: false
    .vgpr_count:     0
    .vgpr_spill_count: 0
    .wavefront_size: 32
  - .args:
      - .offset:         0
        .size:           120
        .value_kind:     by_value
    .group_segment_fixed_size: 0
    .kernarg_segment_align: 8
    .kernarg_segment_size: 120
    .language:       OpenCL C
    .language_version:
      - 2
      - 0
    .max_flat_workgroup_size: 512
    .name:           _ZN7rocprim17ROCPRIM_400000_NS6detail17trampoline_kernelINS0_14default_configENS1_25partition_config_selectorILNS1_17partition_subalgoE8ElNS0_10empty_typeEbEEZZNS1_14partition_implILS5_8ELb0ES3_jPlPS6_PKS6_NS0_5tupleIJS9_S6_EEENSD_IJSA_SA_EEENS0_18inequality_wrapperIZN2at6native12_GLOBAL__N_124unique_dim_cuda_templateIfEESt5tupleIJNSH_6TensorESM_SM_EERKSM_lbbbEUlllE0_EEPmJS6_EEE10hipError_tPvRmT3_T4_T5_T6_T7_T9_mT8_P12ihipStream_tbDpT10_ENKUlT_T0_E_clISt17integral_constantIbLb1EES1B_IbLb0EEEEDaS17_S18_EUlS17_E_NS1_11comp_targetILNS1_3genE3ELNS1_11target_archE908ELNS1_3gpuE7ELNS1_3repE0EEENS1_30default_config_static_selectorELNS0_4arch9wavefront6targetE0EEEvT1_
    .private_segment_fixed_size: 0
    .sgpr_count:     0
    .sgpr_spill_count: 0
    .symbol:         _ZN7rocprim17ROCPRIM_400000_NS6detail17trampoline_kernelINS0_14default_configENS1_25partition_config_selectorILNS1_17partition_subalgoE8ElNS0_10empty_typeEbEEZZNS1_14partition_implILS5_8ELb0ES3_jPlPS6_PKS6_NS0_5tupleIJS9_S6_EEENSD_IJSA_SA_EEENS0_18inequality_wrapperIZN2at6native12_GLOBAL__N_124unique_dim_cuda_templateIfEESt5tupleIJNSH_6TensorESM_SM_EERKSM_lbbbEUlllE0_EEPmJS6_EEE10hipError_tPvRmT3_T4_T5_T6_T7_T9_mT8_P12ihipStream_tbDpT10_ENKUlT_T0_E_clISt17integral_constantIbLb1EES1B_IbLb0EEEEDaS17_S18_EUlS17_E_NS1_11comp_targetILNS1_3genE3ELNS1_11target_archE908ELNS1_3gpuE7ELNS1_3repE0EEENS1_30default_config_static_selectorELNS0_4arch9wavefront6targetE0EEEvT1_.kd
    .uniform_work_group_size: 1
    .uses_dynamic_stack: false
    .vgpr_count:     0
    .vgpr_spill_count: 0
    .wavefront_size: 32
  - .args:
      - .offset:         0
        .size:           120
        .value_kind:     by_value
    .group_segment_fixed_size: 0
    .kernarg_segment_align: 8
    .kernarg_segment_size: 120
    .language:       OpenCL C
    .language_version:
      - 2
      - 0
    .max_flat_workgroup_size: 256
    .name:           _ZN7rocprim17ROCPRIM_400000_NS6detail17trampoline_kernelINS0_14default_configENS1_25partition_config_selectorILNS1_17partition_subalgoE8ElNS0_10empty_typeEbEEZZNS1_14partition_implILS5_8ELb0ES3_jPlPS6_PKS6_NS0_5tupleIJS9_S6_EEENSD_IJSA_SA_EEENS0_18inequality_wrapperIZN2at6native12_GLOBAL__N_124unique_dim_cuda_templateIfEESt5tupleIJNSH_6TensorESM_SM_EERKSM_lbbbEUlllE0_EEPmJS6_EEE10hipError_tPvRmT3_T4_T5_T6_T7_T9_mT8_P12ihipStream_tbDpT10_ENKUlT_T0_E_clISt17integral_constantIbLb1EES1B_IbLb0EEEEDaS17_S18_EUlS17_E_NS1_11comp_targetILNS1_3genE2ELNS1_11target_archE906ELNS1_3gpuE6ELNS1_3repE0EEENS1_30default_config_static_selectorELNS0_4arch9wavefront6targetE0EEEvT1_
    .private_segment_fixed_size: 0
    .sgpr_count:     0
    .sgpr_spill_count: 0
    .symbol:         _ZN7rocprim17ROCPRIM_400000_NS6detail17trampoline_kernelINS0_14default_configENS1_25partition_config_selectorILNS1_17partition_subalgoE8ElNS0_10empty_typeEbEEZZNS1_14partition_implILS5_8ELb0ES3_jPlPS6_PKS6_NS0_5tupleIJS9_S6_EEENSD_IJSA_SA_EEENS0_18inequality_wrapperIZN2at6native12_GLOBAL__N_124unique_dim_cuda_templateIfEESt5tupleIJNSH_6TensorESM_SM_EERKSM_lbbbEUlllE0_EEPmJS6_EEE10hipError_tPvRmT3_T4_T5_T6_T7_T9_mT8_P12ihipStream_tbDpT10_ENKUlT_T0_E_clISt17integral_constantIbLb1EES1B_IbLb0EEEEDaS17_S18_EUlS17_E_NS1_11comp_targetILNS1_3genE2ELNS1_11target_archE906ELNS1_3gpuE6ELNS1_3repE0EEENS1_30default_config_static_selectorELNS0_4arch9wavefront6targetE0EEEvT1_.kd
    .uniform_work_group_size: 1
    .uses_dynamic_stack: false
    .vgpr_count:     0
    .vgpr_spill_count: 0
    .wavefront_size: 32
  - .args:
      - .offset:         0
        .size:           120
        .value_kind:     by_value
    .group_segment_fixed_size: 0
    .kernarg_segment_align: 8
    .kernarg_segment_size: 120
    .language:       OpenCL C
    .language_version:
      - 2
      - 0
    .max_flat_workgroup_size: 384
    .name:           _ZN7rocprim17ROCPRIM_400000_NS6detail17trampoline_kernelINS0_14default_configENS1_25partition_config_selectorILNS1_17partition_subalgoE8ElNS0_10empty_typeEbEEZZNS1_14partition_implILS5_8ELb0ES3_jPlPS6_PKS6_NS0_5tupleIJS9_S6_EEENSD_IJSA_SA_EEENS0_18inequality_wrapperIZN2at6native12_GLOBAL__N_124unique_dim_cuda_templateIfEESt5tupleIJNSH_6TensorESM_SM_EERKSM_lbbbEUlllE0_EEPmJS6_EEE10hipError_tPvRmT3_T4_T5_T6_T7_T9_mT8_P12ihipStream_tbDpT10_ENKUlT_T0_E_clISt17integral_constantIbLb1EES1B_IbLb0EEEEDaS17_S18_EUlS17_E_NS1_11comp_targetILNS1_3genE10ELNS1_11target_archE1200ELNS1_3gpuE4ELNS1_3repE0EEENS1_30default_config_static_selectorELNS0_4arch9wavefront6targetE0EEEvT1_
    .private_segment_fixed_size: 0
    .sgpr_count:     0
    .sgpr_spill_count: 0
    .symbol:         _ZN7rocprim17ROCPRIM_400000_NS6detail17trampoline_kernelINS0_14default_configENS1_25partition_config_selectorILNS1_17partition_subalgoE8ElNS0_10empty_typeEbEEZZNS1_14partition_implILS5_8ELb0ES3_jPlPS6_PKS6_NS0_5tupleIJS9_S6_EEENSD_IJSA_SA_EEENS0_18inequality_wrapperIZN2at6native12_GLOBAL__N_124unique_dim_cuda_templateIfEESt5tupleIJNSH_6TensorESM_SM_EERKSM_lbbbEUlllE0_EEPmJS6_EEE10hipError_tPvRmT3_T4_T5_T6_T7_T9_mT8_P12ihipStream_tbDpT10_ENKUlT_T0_E_clISt17integral_constantIbLb1EES1B_IbLb0EEEEDaS17_S18_EUlS17_E_NS1_11comp_targetILNS1_3genE10ELNS1_11target_archE1200ELNS1_3gpuE4ELNS1_3repE0EEENS1_30default_config_static_selectorELNS0_4arch9wavefront6targetE0EEEvT1_.kd
    .uniform_work_group_size: 1
    .uses_dynamic_stack: false
    .vgpr_count:     0
    .vgpr_spill_count: 0
    .wavefront_size: 32
  - .args:
      - .offset:         0
        .size:           120
        .value_kind:     by_value
    .group_segment_fixed_size: 0
    .kernarg_segment_align: 8
    .kernarg_segment_size: 120
    .language:       OpenCL C
    .language_version:
      - 2
      - 0
    .max_flat_workgroup_size: 512
    .name:           _ZN7rocprim17ROCPRIM_400000_NS6detail17trampoline_kernelINS0_14default_configENS1_25partition_config_selectorILNS1_17partition_subalgoE8ElNS0_10empty_typeEbEEZZNS1_14partition_implILS5_8ELb0ES3_jPlPS6_PKS6_NS0_5tupleIJS9_S6_EEENSD_IJSA_SA_EEENS0_18inequality_wrapperIZN2at6native12_GLOBAL__N_124unique_dim_cuda_templateIfEESt5tupleIJNSH_6TensorESM_SM_EERKSM_lbbbEUlllE0_EEPmJS6_EEE10hipError_tPvRmT3_T4_T5_T6_T7_T9_mT8_P12ihipStream_tbDpT10_ENKUlT_T0_E_clISt17integral_constantIbLb1EES1B_IbLb0EEEEDaS17_S18_EUlS17_E_NS1_11comp_targetILNS1_3genE9ELNS1_11target_archE1100ELNS1_3gpuE3ELNS1_3repE0EEENS1_30default_config_static_selectorELNS0_4arch9wavefront6targetE0EEEvT1_
    .private_segment_fixed_size: 0
    .sgpr_count:     0
    .sgpr_spill_count: 0
    .symbol:         _ZN7rocprim17ROCPRIM_400000_NS6detail17trampoline_kernelINS0_14default_configENS1_25partition_config_selectorILNS1_17partition_subalgoE8ElNS0_10empty_typeEbEEZZNS1_14partition_implILS5_8ELb0ES3_jPlPS6_PKS6_NS0_5tupleIJS9_S6_EEENSD_IJSA_SA_EEENS0_18inequality_wrapperIZN2at6native12_GLOBAL__N_124unique_dim_cuda_templateIfEESt5tupleIJNSH_6TensorESM_SM_EERKSM_lbbbEUlllE0_EEPmJS6_EEE10hipError_tPvRmT3_T4_T5_T6_T7_T9_mT8_P12ihipStream_tbDpT10_ENKUlT_T0_E_clISt17integral_constantIbLb1EES1B_IbLb0EEEEDaS17_S18_EUlS17_E_NS1_11comp_targetILNS1_3genE9ELNS1_11target_archE1100ELNS1_3gpuE3ELNS1_3repE0EEENS1_30default_config_static_selectorELNS0_4arch9wavefront6targetE0EEEvT1_.kd
    .uniform_work_group_size: 1
    .uses_dynamic_stack: false
    .vgpr_count:     0
    .vgpr_spill_count: 0
    .wavefront_size: 32
  - .args:
      - .offset:         0
        .size:           120
        .value_kind:     by_value
    .group_segment_fixed_size: 0
    .kernarg_segment_align: 8
    .kernarg_segment_size: 120
    .language:       OpenCL C
    .language_version:
      - 2
      - 0
    .max_flat_workgroup_size: 512
    .name:           _ZN7rocprim17ROCPRIM_400000_NS6detail17trampoline_kernelINS0_14default_configENS1_25partition_config_selectorILNS1_17partition_subalgoE8ElNS0_10empty_typeEbEEZZNS1_14partition_implILS5_8ELb0ES3_jPlPS6_PKS6_NS0_5tupleIJS9_S6_EEENSD_IJSA_SA_EEENS0_18inequality_wrapperIZN2at6native12_GLOBAL__N_124unique_dim_cuda_templateIfEESt5tupleIJNSH_6TensorESM_SM_EERKSM_lbbbEUlllE0_EEPmJS6_EEE10hipError_tPvRmT3_T4_T5_T6_T7_T9_mT8_P12ihipStream_tbDpT10_ENKUlT_T0_E_clISt17integral_constantIbLb1EES1B_IbLb0EEEEDaS17_S18_EUlS17_E_NS1_11comp_targetILNS1_3genE8ELNS1_11target_archE1030ELNS1_3gpuE2ELNS1_3repE0EEENS1_30default_config_static_selectorELNS0_4arch9wavefront6targetE0EEEvT1_
    .private_segment_fixed_size: 0
    .sgpr_count:     0
    .sgpr_spill_count: 0
    .symbol:         _ZN7rocprim17ROCPRIM_400000_NS6detail17trampoline_kernelINS0_14default_configENS1_25partition_config_selectorILNS1_17partition_subalgoE8ElNS0_10empty_typeEbEEZZNS1_14partition_implILS5_8ELb0ES3_jPlPS6_PKS6_NS0_5tupleIJS9_S6_EEENSD_IJSA_SA_EEENS0_18inequality_wrapperIZN2at6native12_GLOBAL__N_124unique_dim_cuda_templateIfEESt5tupleIJNSH_6TensorESM_SM_EERKSM_lbbbEUlllE0_EEPmJS6_EEE10hipError_tPvRmT3_T4_T5_T6_T7_T9_mT8_P12ihipStream_tbDpT10_ENKUlT_T0_E_clISt17integral_constantIbLb1EES1B_IbLb0EEEEDaS17_S18_EUlS17_E_NS1_11comp_targetILNS1_3genE8ELNS1_11target_archE1030ELNS1_3gpuE2ELNS1_3repE0EEENS1_30default_config_static_selectorELNS0_4arch9wavefront6targetE0EEEvT1_.kd
    .uniform_work_group_size: 1
    .uses_dynamic_stack: false
    .vgpr_count:     0
    .vgpr_spill_count: 0
    .wavefront_size: 32
  - .args:
      - .offset:         0
        .size:           136
        .value_kind:     by_value
    .group_segment_fixed_size: 28680
    .kernarg_segment_align: 8
    .kernarg_segment_size: 136
    .language:       OpenCL C
    .language_version:
      - 2
      - 0
    .max_flat_workgroup_size: 512
    .name:           _ZN7rocprim17ROCPRIM_400000_NS6detail17trampoline_kernelINS0_14default_configENS1_25partition_config_selectorILNS1_17partition_subalgoE8ElNS0_10empty_typeEbEEZZNS1_14partition_implILS5_8ELb0ES3_jPlPS6_PKS6_NS0_5tupleIJS9_S6_EEENSD_IJSA_SA_EEENS0_18inequality_wrapperIZN2at6native12_GLOBAL__N_124unique_dim_cuda_templateIfEESt5tupleIJNSH_6TensorESM_SM_EERKSM_lbbbEUlllE0_EEPmJS6_EEE10hipError_tPvRmT3_T4_T5_T6_T7_T9_mT8_P12ihipStream_tbDpT10_ENKUlT_T0_E_clISt17integral_constantIbLb0EES1B_IbLb1EEEEDaS17_S18_EUlS17_E_NS1_11comp_targetILNS1_3genE0ELNS1_11target_archE4294967295ELNS1_3gpuE0ELNS1_3repE0EEENS1_30default_config_static_selectorELNS0_4arch9wavefront6targetE0EEEvT1_
    .private_segment_fixed_size: 0
    .sgpr_count:     38
    .sgpr_spill_count: 0
    .symbol:         _ZN7rocprim17ROCPRIM_400000_NS6detail17trampoline_kernelINS0_14default_configENS1_25partition_config_selectorILNS1_17partition_subalgoE8ElNS0_10empty_typeEbEEZZNS1_14partition_implILS5_8ELb0ES3_jPlPS6_PKS6_NS0_5tupleIJS9_S6_EEENSD_IJSA_SA_EEENS0_18inequality_wrapperIZN2at6native12_GLOBAL__N_124unique_dim_cuda_templateIfEESt5tupleIJNSH_6TensorESM_SM_EERKSM_lbbbEUlllE0_EEPmJS6_EEE10hipError_tPvRmT3_T4_T5_T6_T7_T9_mT8_P12ihipStream_tbDpT10_ENKUlT_T0_E_clISt17integral_constantIbLb0EES1B_IbLb1EEEEDaS17_S18_EUlS17_E_NS1_11comp_targetILNS1_3genE0ELNS1_11target_archE4294967295ELNS1_3gpuE0ELNS1_3repE0EEENS1_30default_config_static_selectorELNS0_4arch9wavefront6targetE0EEEvT1_.kd
    .uniform_work_group_size: 1
    .uses_dynamic_stack: false
    .vgpr_count:     53
    .vgpr_spill_count: 0
    .wavefront_size: 32
  - .args:
      - .offset:         0
        .size:           136
        .value_kind:     by_value
    .group_segment_fixed_size: 0
    .kernarg_segment_align: 8
    .kernarg_segment_size: 136
    .language:       OpenCL C
    .language_version:
      - 2
      - 0
    .max_flat_workgroup_size: 512
    .name:           _ZN7rocprim17ROCPRIM_400000_NS6detail17trampoline_kernelINS0_14default_configENS1_25partition_config_selectorILNS1_17partition_subalgoE8ElNS0_10empty_typeEbEEZZNS1_14partition_implILS5_8ELb0ES3_jPlPS6_PKS6_NS0_5tupleIJS9_S6_EEENSD_IJSA_SA_EEENS0_18inequality_wrapperIZN2at6native12_GLOBAL__N_124unique_dim_cuda_templateIfEESt5tupleIJNSH_6TensorESM_SM_EERKSM_lbbbEUlllE0_EEPmJS6_EEE10hipError_tPvRmT3_T4_T5_T6_T7_T9_mT8_P12ihipStream_tbDpT10_ENKUlT_T0_E_clISt17integral_constantIbLb0EES1B_IbLb1EEEEDaS17_S18_EUlS17_E_NS1_11comp_targetILNS1_3genE5ELNS1_11target_archE942ELNS1_3gpuE9ELNS1_3repE0EEENS1_30default_config_static_selectorELNS0_4arch9wavefront6targetE0EEEvT1_
    .private_segment_fixed_size: 0
    .sgpr_count:     0
    .sgpr_spill_count: 0
    .symbol:         _ZN7rocprim17ROCPRIM_400000_NS6detail17trampoline_kernelINS0_14default_configENS1_25partition_config_selectorILNS1_17partition_subalgoE8ElNS0_10empty_typeEbEEZZNS1_14partition_implILS5_8ELb0ES3_jPlPS6_PKS6_NS0_5tupleIJS9_S6_EEENSD_IJSA_SA_EEENS0_18inequality_wrapperIZN2at6native12_GLOBAL__N_124unique_dim_cuda_templateIfEESt5tupleIJNSH_6TensorESM_SM_EERKSM_lbbbEUlllE0_EEPmJS6_EEE10hipError_tPvRmT3_T4_T5_T6_T7_T9_mT8_P12ihipStream_tbDpT10_ENKUlT_T0_E_clISt17integral_constantIbLb0EES1B_IbLb1EEEEDaS17_S18_EUlS17_E_NS1_11comp_targetILNS1_3genE5ELNS1_11target_archE942ELNS1_3gpuE9ELNS1_3repE0EEENS1_30default_config_static_selectorELNS0_4arch9wavefront6targetE0EEEvT1_.kd
    .uniform_work_group_size: 1
    .uses_dynamic_stack: false
    .vgpr_count:     0
    .vgpr_spill_count: 0
    .wavefront_size: 32
  - .args:
      - .offset:         0
        .size:           136
        .value_kind:     by_value
    .group_segment_fixed_size: 0
    .kernarg_segment_align: 8
    .kernarg_segment_size: 136
    .language:       OpenCL C
    .language_version:
      - 2
      - 0
    .max_flat_workgroup_size: 256
    .name:           _ZN7rocprim17ROCPRIM_400000_NS6detail17trampoline_kernelINS0_14default_configENS1_25partition_config_selectorILNS1_17partition_subalgoE8ElNS0_10empty_typeEbEEZZNS1_14partition_implILS5_8ELb0ES3_jPlPS6_PKS6_NS0_5tupleIJS9_S6_EEENSD_IJSA_SA_EEENS0_18inequality_wrapperIZN2at6native12_GLOBAL__N_124unique_dim_cuda_templateIfEESt5tupleIJNSH_6TensorESM_SM_EERKSM_lbbbEUlllE0_EEPmJS6_EEE10hipError_tPvRmT3_T4_T5_T6_T7_T9_mT8_P12ihipStream_tbDpT10_ENKUlT_T0_E_clISt17integral_constantIbLb0EES1B_IbLb1EEEEDaS17_S18_EUlS17_E_NS1_11comp_targetILNS1_3genE4ELNS1_11target_archE910ELNS1_3gpuE8ELNS1_3repE0EEENS1_30default_config_static_selectorELNS0_4arch9wavefront6targetE0EEEvT1_
    .private_segment_fixed_size: 0
    .sgpr_count:     0
    .sgpr_spill_count: 0
    .symbol:         _ZN7rocprim17ROCPRIM_400000_NS6detail17trampoline_kernelINS0_14default_configENS1_25partition_config_selectorILNS1_17partition_subalgoE8ElNS0_10empty_typeEbEEZZNS1_14partition_implILS5_8ELb0ES3_jPlPS6_PKS6_NS0_5tupleIJS9_S6_EEENSD_IJSA_SA_EEENS0_18inequality_wrapperIZN2at6native12_GLOBAL__N_124unique_dim_cuda_templateIfEESt5tupleIJNSH_6TensorESM_SM_EERKSM_lbbbEUlllE0_EEPmJS6_EEE10hipError_tPvRmT3_T4_T5_T6_T7_T9_mT8_P12ihipStream_tbDpT10_ENKUlT_T0_E_clISt17integral_constantIbLb0EES1B_IbLb1EEEEDaS17_S18_EUlS17_E_NS1_11comp_targetILNS1_3genE4ELNS1_11target_archE910ELNS1_3gpuE8ELNS1_3repE0EEENS1_30default_config_static_selectorELNS0_4arch9wavefront6targetE0EEEvT1_.kd
    .uniform_work_group_size: 1
    .uses_dynamic_stack: false
    .vgpr_count:     0
    .vgpr_spill_count: 0
    .wavefront_size: 32
  - .args:
      - .offset:         0
        .size:           136
        .value_kind:     by_value
    .group_segment_fixed_size: 0
    .kernarg_segment_align: 8
    .kernarg_segment_size: 136
    .language:       OpenCL C
    .language_version:
      - 2
      - 0
    .max_flat_workgroup_size: 512
    .name:           _ZN7rocprim17ROCPRIM_400000_NS6detail17trampoline_kernelINS0_14default_configENS1_25partition_config_selectorILNS1_17partition_subalgoE8ElNS0_10empty_typeEbEEZZNS1_14partition_implILS5_8ELb0ES3_jPlPS6_PKS6_NS0_5tupleIJS9_S6_EEENSD_IJSA_SA_EEENS0_18inequality_wrapperIZN2at6native12_GLOBAL__N_124unique_dim_cuda_templateIfEESt5tupleIJNSH_6TensorESM_SM_EERKSM_lbbbEUlllE0_EEPmJS6_EEE10hipError_tPvRmT3_T4_T5_T6_T7_T9_mT8_P12ihipStream_tbDpT10_ENKUlT_T0_E_clISt17integral_constantIbLb0EES1B_IbLb1EEEEDaS17_S18_EUlS17_E_NS1_11comp_targetILNS1_3genE3ELNS1_11target_archE908ELNS1_3gpuE7ELNS1_3repE0EEENS1_30default_config_static_selectorELNS0_4arch9wavefront6targetE0EEEvT1_
    .private_segment_fixed_size: 0
    .sgpr_count:     0
    .sgpr_spill_count: 0
    .symbol:         _ZN7rocprim17ROCPRIM_400000_NS6detail17trampoline_kernelINS0_14default_configENS1_25partition_config_selectorILNS1_17partition_subalgoE8ElNS0_10empty_typeEbEEZZNS1_14partition_implILS5_8ELb0ES3_jPlPS6_PKS6_NS0_5tupleIJS9_S6_EEENSD_IJSA_SA_EEENS0_18inequality_wrapperIZN2at6native12_GLOBAL__N_124unique_dim_cuda_templateIfEESt5tupleIJNSH_6TensorESM_SM_EERKSM_lbbbEUlllE0_EEPmJS6_EEE10hipError_tPvRmT3_T4_T5_T6_T7_T9_mT8_P12ihipStream_tbDpT10_ENKUlT_T0_E_clISt17integral_constantIbLb0EES1B_IbLb1EEEEDaS17_S18_EUlS17_E_NS1_11comp_targetILNS1_3genE3ELNS1_11target_archE908ELNS1_3gpuE7ELNS1_3repE0EEENS1_30default_config_static_selectorELNS0_4arch9wavefront6targetE0EEEvT1_.kd
    .uniform_work_group_size: 1
    .uses_dynamic_stack: false
    .vgpr_count:     0
    .vgpr_spill_count: 0
    .wavefront_size: 32
  - .args:
      - .offset:         0
        .size:           136
        .value_kind:     by_value
    .group_segment_fixed_size: 0
    .kernarg_segment_align: 8
    .kernarg_segment_size: 136
    .language:       OpenCL C
    .language_version:
      - 2
      - 0
    .max_flat_workgroup_size: 256
    .name:           _ZN7rocprim17ROCPRIM_400000_NS6detail17trampoline_kernelINS0_14default_configENS1_25partition_config_selectorILNS1_17partition_subalgoE8ElNS0_10empty_typeEbEEZZNS1_14partition_implILS5_8ELb0ES3_jPlPS6_PKS6_NS0_5tupleIJS9_S6_EEENSD_IJSA_SA_EEENS0_18inequality_wrapperIZN2at6native12_GLOBAL__N_124unique_dim_cuda_templateIfEESt5tupleIJNSH_6TensorESM_SM_EERKSM_lbbbEUlllE0_EEPmJS6_EEE10hipError_tPvRmT3_T4_T5_T6_T7_T9_mT8_P12ihipStream_tbDpT10_ENKUlT_T0_E_clISt17integral_constantIbLb0EES1B_IbLb1EEEEDaS17_S18_EUlS17_E_NS1_11comp_targetILNS1_3genE2ELNS1_11target_archE906ELNS1_3gpuE6ELNS1_3repE0EEENS1_30default_config_static_selectorELNS0_4arch9wavefront6targetE0EEEvT1_
    .private_segment_fixed_size: 0
    .sgpr_count:     0
    .sgpr_spill_count: 0
    .symbol:         _ZN7rocprim17ROCPRIM_400000_NS6detail17trampoline_kernelINS0_14default_configENS1_25partition_config_selectorILNS1_17partition_subalgoE8ElNS0_10empty_typeEbEEZZNS1_14partition_implILS5_8ELb0ES3_jPlPS6_PKS6_NS0_5tupleIJS9_S6_EEENSD_IJSA_SA_EEENS0_18inequality_wrapperIZN2at6native12_GLOBAL__N_124unique_dim_cuda_templateIfEESt5tupleIJNSH_6TensorESM_SM_EERKSM_lbbbEUlllE0_EEPmJS6_EEE10hipError_tPvRmT3_T4_T5_T6_T7_T9_mT8_P12ihipStream_tbDpT10_ENKUlT_T0_E_clISt17integral_constantIbLb0EES1B_IbLb1EEEEDaS17_S18_EUlS17_E_NS1_11comp_targetILNS1_3genE2ELNS1_11target_archE906ELNS1_3gpuE6ELNS1_3repE0EEENS1_30default_config_static_selectorELNS0_4arch9wavefront6targetE0EEEvT1_.kd
    .uniform_work_group_size: 1
    .uses_dynamic_stack: false
    .vgpr_count:     0
    .vgpr_spill_count: 0
    .wavefront_size: 32
  - .args:
      - .offset:         0
        .size:           136
        .value_kind:     by_value
    .group_segment_fixed_size: 0
    .kernarg_segment_align: 8
    .kernarg_segment_size: 136
    .language:       OpenCL C
    .language_version:
      - 2
      - 0
    .max_flat_workgroup_size: 384
    .name:           _ZN7rocprim17ROCPRIM_400000_NS6detail17trampoline_kernelINS0_14default_configENS1_25partition_config_selectorILNS1_17partition_subalgoE8ElNS0_10empty_typeEbEEZZNS1_14partition_implILS5_8ELb0ES3_jPlPS6_PKS6_NS0_5tupleIJS9_S6_EEENSD_IJSA_SA_EEENS0_18inequality_wrapperIZN2at6native12_GLOBAL__N_124unique_dim_cuda_templateIfEESt5tupleIJNSH_6TensorESM_SM_EERKSM_lbbbEUlllE0_EEPmJS6_EEE10hipError_tPvRmT3_T4_T5_T6_T7_T9_mT8_P12ihipStream_tbDpT10_ENKUlT_T0_E_clISt17integral_constantIbLb0EES1B_IbLb1EEEEDaS17_S18_EUlS17_E_NS1_11comp_targetILNS1_3genE10ELNS1_11target_archE1200ELNS1_3gpuE4ELNS1_3repE0EEENS1_30default_config_static_selectorELNS0_4arch9wavefront6targetE0EEEvT1_
    .private_segment_fixed_size: 0
    .sgpr_count:     0
    .sgpr_spill_count: 0
    .symbol:         _ZN7rocprim17ROCPRIM_400000_NS6detail17trampoline_kernelINS0_14default_configENS1_25partition_config_selectorILNS1_17partition_subalgoE8ElNS0_10empty_typeEbEEZZNS1_14partition_implILS5_8ELb0ES3_jPlPS6_PKS6_NS0_5tupleIJS9_S6_EEENSD_IJSA_SA_EEENS0_18inequality_wrapperIZN2at6native12_GLOBAL__N_124unique_dim_cuda_templateIfEESt5tupleIJNSH_6TensorESM_SM_EERKSM_lbbbEUlllE0_EEPmJS6_EEE10hipError_tPvRmT3_T4_T5_T6_T7_T9_mT8_P12ihipStream_tbDpT10_ENKUlT_T0_E_clISt17integral_constantIbLb0EES1B_IbLb1EEEEDaS17_S18_EUlS17_E_NS1_11comp_targetILNS1_3genE10ELNS1_11target_archE1200ELNS1_3gpuE4ELNS1_3repE0EEENS1_30default_config_static_selectorELNS0_4arch9wavefront6targetE0EEEvT1_.kd
    .uniform_work_group_size: 1
    .uses_dynamic_stack: false
    .vgpr_count:     0
    .vgpr_spill_count: 0
    .wavefront_size: 32
  - .args:
      - .offset:         0
        .size:           136
        .value_kind:     by_value
    .group_segment_fixed_size: 0
    .kernarg_segment_align: 8
    .kernarg_segment_size: 136
    .language:       OpenCL C
    .language_version:
      - 2
      - 0
    .max_flat_workgroup_size: 512
    .name:           _ZN7rocprim17ROCPRIM_400000_NS6detail17trampoline_kernelINS0_14default_configENS1_25partition_config_selectorILNS1_17partition_subalgoE8ElNS0_10empty_typeEbEEZZNS1_14partition_implILS5_8ELb0ES3_jPlPS6_PKS6_NS0_5tupleIJS9_S6_EEENSD_IJSA_SA_EEENS0_18inequality_wrapperIZN2at6native12_GLOBAL__N_124unique_dim_cuda_templateIfEESt5tupleIJNSH_6TensorESM_SM_EERKSM_lbbbEUlllE0_EEPmJS6_EEE10hipError_tPvRmT3_T4_T5_T6_T7_T9_mT8_P12ihipStream_tbDpT10_ENKUlT_T0_E_clISt17integral_constantIbLb0EES1B_IbLb1EEEEDaS17_S18_EUlS17_E_NS1_11comp_targetILNS1_3genE9ELNS1_11target_archE1100ELNS1_3gpuE3ELNS1_3repE0EEENS1_30default_config_static_selectorELNS0_4arch9wavefront6targetE0EEEvT1_
    .private_segment_fixed_size: 0
    .sgpr_count:     0
    .sgpr_spill_count: 0
    .symbol:         _ZN7rocprim17ROCPRIM_400000_NS6detail17trampoline_kernelINS0_14default_configENS1_25partition_config_selectorILNS1_17partition_subalgoE8ElNS0_10empty_typeEbEEZZNS1_14partition_implILS5_8ELb0ES3_jPlPS6_PKS6_NS0_5tupleIJS9_S6_EEENSD_IJSA_SA_EEENS0_18inequality_wrapperIZN2at6native12_GLOBAL__N_124unique_dim_cuda_templateIfEESt5tupleIJNSH_6TensorESM_SM_EERKSM_lbbbEUlllE0_EEPmJS6_EEE10hipError_tPvRmT3_T4_T5_T6_T7_T9_mT8_P12ihipStream_tbDpT10_ENKUlT_T0_E_clISt17integral_constantIbLb0EES1B_IbLb1EEEEDaS17_S18_EUlS17_E_NS1_11comp_targetILNS1_3genE9ELNS1_11target_archE1100ELNS1_3gpuE3ELNS1_3repE0EEENS1_30default_config_static_selectorELNS0_4arch9wavefront6targetE0EEEvT1_.kd
    .uniform_work_group_size: 1
    .uses_dynamic_stack: false
    .vgpr_count:     0
    .vgpr_spill_count: 0
    .wavefront_size: 32
  - .args:
      - .offset:         0
        .size:           136
        .value_kind:     by_value
    .group_segment_fixed_size: 0
    .kernarg_segment_align: 8
    .kernarg_segment_size: 136
    .language:       OpenCL C
    .language_version:
      - 2
      - 0
    .max_flat_workgroup_size: 512
    .name:           _ZN7rocprim17ROCPRIM_400000_NS6detail17trampoline_kernelINS0_14default_configENS1_25partition_config_selectorILNS1_17partition_subalgoE8ElNS0_10empty_typeEbEEZZNS1_14partition_implILS5_8ELb0ES3_jPlPS6_PKS6_NS0_5tupleIJS9_S6_EEENSD_IJSA_SA_EEENS0_18inequality_wrapperIZN2at6native12_GLOBAL__N_124unique_dim_cuda_templateIfEESt5tupleIJNSH_6TensorESM_SM_EERKSM_lbbbEUlllE0_EEPmJS6_EEE10hipError_tPvRmT3_T4_T5_T6_T7_T9_mT8_P12ihipStream_tbDpT10_ENKUlT_T0_E_clISt17integral_constantIbLb0EES1B_IbLb1EEEEDaS17_S18_EUlS17_E_NS1_11comp_targetILNS1_3genE8ELNS1_11target_archE1030ELNS1_3gpuE2ELNS1_3repE0EEENS1_30default_config_static_selectorELNS0_4arch9wavefront6targetE0EEEvT1_
    .private_segment_fixed_size: 0
    .sgpr_count:     0
    .sgpr_spill_count: 0
    .symbol:         _ZN7rocprim17ROCPRIM_400000_NS6detail17trampoline_kernelINS0_14default_configENS1_25partition_config_selectorILNS1_17partition_subalgoE8ElNS0_10empty_typeEbEEZZNS1_14partition_implILS5_8ELb0ES3_jPlPS6_PKS6_NS0_5tupleIJS9_S6_EEENSD_IJSA_SA_EEENS0_18inequality_wrapperIZN2at6native12_GLOBAL__N_124unique_dim_cuda_templateIfEESt5tupleIJNSH_6TensorESM_SM_EERKSM_lbbbEUlllE0_EEPmJS6_EEE10hipError_tPvRmT3_T4_T5_T6_T7_T9_mT8_P12ihipStream_tbDpT10_ENKUlT_T0_E_clISt17integral_constantIbLb0EES1B_IbLb1EEEEDaS17_S18_EUlS17_E_NS1_11comp_targetILNS1_3genE8ELNS1_11target_archE1030ELNS1_3gpuE2ELNS1_3repE0EEENS1_30default_config_static_selectorELNS0_4arch9wavefront6targetE0EEEvT1_.kd
    .uniform_work_group_size: 1
    .uses_dynamic_stack: false
    .vgpr_count:     0
    .vgpr_spill_count: 0
    .wavefront_size: 32
  - .args:
      - .offset:         0
        .size:           120
        .value_kind:     by_value
    .group_segment_fixed_size: 5128
    .kernarg_segment_align: 8
    .kernarg_segment_size: 120
    .language:       OpenCL C
    .language_version:
      - 2
      - 0
    .max_flat_workgroup_size: 128
    .name:           _ZN7rocprim17ROCPRIM_400000_NS6detail17trampoline_kernelINS0_14default_configENS1_25partition_config_selectorILNS1_17partition_subalgoE9EllbEEZZNS1_14partition_implILS5_9ELb0ES3_jPlS8_PNS0_10empty_typeENS0_5tupleIJS8_S9_EEENSB_IJS8_SA_EEENS0_18inequality_wrapperIZN2at6native12_GLOBAL__N_124unique_dim_cuda_templateIfEESt5tupleIJNSF_6TensorESK_SK_EERKSK_lbbbEUlllE0_EEPmJS9_EEE10hipError_tPvRmT3_T4_T5_T6_T7_T9_mT8_P12ihipStream_tbDpT10_ENKUlT_T0_E_clISt17integral_constantIbLb0EES1A_EEDaS15_S16_EUlS15_E_NS1_11comp_targetILNS1_3genE0ELNS1_11target_archE4294967295ELNS1_3gpuE0ELNS1_3repE0EEENS1_30default_config_static_selectorELNS0_4arch9wavefront6targetE0EEEvT1_
    .private_segment_fixed_size: 0
    .sgpr_count:     34
    .sgpr_spill_count: 0
    .symbol:         _ZN7rocprim17ROCPRIM_400000_NS6detail17trampoline_kernelINS0_14default_configENS1_25partition_config_selectorILNS1_17partition_subalgoE9EllbEEZZNS1_14partition_implILS5_9ELb0ES3_jPlS8_PNS0_10empty_typeENS0_5tupleIJS8_S9_EEENSB_IJS8_SA_EEENS0_18inequality_wrapperIZN2at6native12_GLOBAL__N_124unique_dim_cuda_templateIfEESt5tupleIJNSF_6TensorESK_SK_EERKSK_lbbbEUlllE0_EEPmJS9_EEE10hipError_tPvRmT3_T4_T5_T6_T7_T9_mT8_P12ihipStream_tbDpT10_ENKUlT_T0_E_clISt17integral_constantIbLb0EES1A_EEDaS15_S16_EUlS15_E_NS1_11comp_targetILNS1_3genE0ELNS1_11target_archE4294967295ELNS1_3gpuE0ELNS1_3repE0EEENS1_30default_config_static_selectorELNS0_4arch9wavefront6targetE0EEEvT1_.kd
    .uniform_work_group_size: 1
    .uses_dynamic_stack: false
    .vgpr_count:     56
    .vgpr_spill_count: 0
    .wavefront_size: 32
  - .args:
      - .offset:         0
        .size:           120
        .value_kind:     by_value
    .group_segment_fixed_size: 0
    .kernarg_segment_align: 8
    .kernarg_segment_size: 120
    .language:       OpenCL C
    .language_version:
      - 2
      - 0
    .max_flat_workgroup_size: 512
    .name:           _ZN7rocprim17ROCPRIM_400000_NS6detail17trampoline_kernelINS0_14default_configENS1_25partition_config_selectorILNS1_17partition_subalgoE9EllbEEZZNS1_14partition_implILS5_9ELb0ES3_jPlS8_PNS0_10empty_typeENS0_5tupleIJS8_S9_EEENSB_IJS8_SA_EEENS0_18inequality_wrapperIZN2at6native12_GLOBAL__N_124unique_dim_cuda_templateIfEESt5tupleIJNSF_6TensorESK_SK_EERKSK_lbbbEUlllE0_EEPmJS9_EEE10hipError_tPvRmT3_T4_T5_T6_T7_T9_mT8_P12ihipStream_tbDpT10_ENKUlT_T0_E_clISt17integral_constantIbLb0EES1A_EEDaS15_S16_EUlS15_E_NS1_11comp_targetILNS1_3genE5ELNS1_11target_archE942ELNS1_3gpuE9ELNS1_3repE0EEENS1_30default_config_static_selectorELNS0_4arch9wavefront6targetE0EEEvT1_
    .private_segment_fixed_size: 0
    .sgpr_count:     0
    .sgpr_spill_count: 0
    .symbol:         _ZN7rocprim17ROCPRIM_400000_NS6detail17trampoline_kernelINS0_14default_configENS1_25partition_config_selectorILNS1_17partition_subalgoE9EllbEEZZNS1_14partition_implILS5_9ELb0ES3_jPlS8_PNS0_10empty_typeENS0_5tupleIJS8_S9_EEENSB_IJS8_SA_EEENS0_18inequality_wrapperIZN2at6native12_GLOBAL__N_124unique_dim_cuda_templateIfEESt5tupleIJNSF_6TensorESK_SK_EERKSK_lbbbEUlllE0_EEPmJS9_EEE10hipError_tPvRmT3_T4_T5_T6_T7_T9_mT8_P12ihipStream_tbDpT10_ENKUlT_T0_E_clISt17integral_constantIbLb0EES1A_EEDaS15_S16_EUlS15_E_NS1_11comp_targetILNS1_3genE5ELNS1_11target_archE942ELNS1_3gpuE9ELNS1_3repE0EEENS1_30default_config_static_selectorELNS0_4arch9wavefront6targetE0EEEvT1_.kd
    .uniform_work_group_size: 1
    .uses_dynamic_stack: false
    .vgpr_count:     0
    .vgpr_spill_count: 0
    .wavefront_size: 32
  - .args:
      - .offset:         0
        .size:           120
        .value_kind:     by_value
    .group_segment_fixed_size: 0
    .kernarg_segment_align: 8
    .kernarg_segment_size: 120
    .language:       OpenCL C
    .language_version:
      - 2
      - 0
    .max_flat_workgroup_size: 128
    .name:           _ZN7rocprim17ROCPRIM_400000_NS6detail17trampoline_kernelINS0_14default_configENS1_25partition_config_selectorILNS1_17partition_subalgoE9EllbEEZZNS1_14partition_implILS5_9ELb0ES3_jPlS8_PNS0_10empty_typeENS0_5tupleIJS8_S9_EEENSB_IJS8_SA_EEENS0_18inequality_wrapperIZN2at6native12_GLOBAL__N_124unique_dim_cuda_templateIfEESt5tupleIJNSF_6TensorESK_SK_EERKSK_lbbbEUlllE0_EEPmJS9_EEE10hipError_tPvRmT3_T4_T5_T6_T7_T9_mT8_P12ihipStream_tbDpT10_ENKUlT_T0_E_clISt17integral_constantIbLb0EES1A_EEDaS15_S16_EUlS15_E_NS1_11comp_targetILNS1_3genE4ELNS1_11target_archE910ELNS1_3gpuE8ELNS1_3repE0EEENS1_30default_config_static_selectorELNS0_4arch9wavefront6targetE0EEEvT1_
    .private_segment_fixed_size: 0
    .sgpr_count:     0
    .sgpr_spill_count: 0
    .symbol:         _ZN7rocprim17ROCPRIM_400000_NS6detail17trampoline_kernelINS0_14default_configENS1_25partition_config_selectorILNS1_17partition_subalgoE9EllbEEZZNS1_14partition_implILS5_9ELb0ES3_jPlS8_PNS0_10empty_typeENS0_5tupleIJS8_S9_EEENSB_IJS8_SA_EEENS0_18inequality_wrapperIZN2at6native12_GLOBAL__N_124unique_dim_cuda_templateIfEESt5tupleIJNSF_6TensorESK_SK_EERKSK_lbbbEUlllE0_EEPmJS9_EEE10hipError_tPvRmT3_T4_T5_T6_T7_T9_mT8_P12ihipStream_tbDpT10_ENKUlT_T0_E_clISt17integral_constantIbLb0EES1A_EEDaS15_S16_EUlS15_E_NS1_11comp_targetILNS1_3genE4ELNS1_11target_archE910ELNS1_3gpuE8ELNS1_3repE0EEENS1_30default_config_static_selectorELNS0_4arch9wavefront6targetE0EEEvT1_.kd
    .uniform_work_group_size: 1
    .uses_dynamic_stack: false
    .vgpr_count:     0
    .vgpr_spill_count: 0
    .wavefront_size: 32
  - .args:
      - .offset:         0
        .size:           120
        .value_kind:     by_value
    .group_segment_fixed_size: 0
    .kernarg_segment_align: 8
    .kernarg_segment_size: 120
    .language:       OpenCL C
    .language_version:
      - 2
      - 0
    .max_flat_workgroup_size: 128
    .name:           _ZN7rocprim17ROCPRIM_400000_NS6detail17trampoline_kernelINS0_14default_configENS1_25partition_config_selectorILNS1_17partition_subalgoE9EllbEEZZNS1_14partition_implILS5_9ELb0ES3_jPlS8_PNS0_10empty_typeENS0_5tupleIJS8_S9_EEENSB_IJS8_SA_EEENS0_18inequality_wrapperIZN2at6native12_GLOBAL__N_124unique_dim_cuda_templateIfEESt5tupleIJNSF_6TensorESK_SK_EERKSK_lbbbEUlllE0_EEPmJS9_EEE10hipError_tPvRmT3_T4_T5_T6_T7_T9_mT8_P12ihipStream_tbDpT10_ENKUlT_T0_E_clISt17integral_constantIbLb0EES1A_EEDaS15_S16_EUlS15_E_NS1_11comp_targetILNS1_3genE3ELNS1_11target_archE908ELNS1_3gpuE7ELNS1_3repE0EEENS1_30default_config_static_selectorELNS0_4arch9wavefront6targetE0EEEvT1_
    .private_segment_fixed_size: 0
    .sgpr_count:     0
    .sgpr_spill_count: 0
    .symbol:         _ZN7rocprim17ROCPRIM_400000_NS6detail17trampoline_kernelINS0_14default_configENS1_25partition_config_selectorILNS1_17partition_subalgoE9EllbEEZZNS1_14partition_implILS5_9ELb0ES3_jPlS8_PNS0_10empty_typeENS0_5tupleIJS8_S9_EEENSB_IJS8_SA_EEENS0_18inequality_wrapperIZN2at6native12_GLOBAL__N_124unique_dim_cuda_templateIfEESt5tupleIJNSF_6TensorESK_SK_EERKSK_lbbbEUlllE0_EEPmJS9_EEE10hipError_tPvRmT3_T4_T5_T6_T7_T9_mT8_P12ihipStream_tbDpT10_ENKUlT_T0_E_clISt17integral_constantIbLb0EES1A_EEDaS15_S16_EUlS15_E_NS1_11comp_targetILNS1_3genE3ELNS1_11target_archE908ELNS1_3gpuE7ELNS1_3repE0EEENS1_30default_config_static_selectorELNS0_4arch9wavefront6targetE0EEEvT1_.kd
    .uniform_work_group_size: 1
    .uses_dynamic_stack: false
    .vgpr_count:     0
    .vgpr_spill_count: 0
    .wavefront_size: 32
  - .args:
      - .offset:         0
        .size:           120
        .value_kind:     by_value
    .group_segment_fixed_size: 0
    .kernarg_segment_align: 8
    .kernarg_segment_size: 120
    .language:       OpenCL C
    .language_version:
      - 2
      - 0
    .max_flat_workgroup_size: 192
    .name:           _ZN7rocprim17ROCPRIM_400000_NS6detail17trampoline_kernelINS0_14default_configENS1_25partition_config_selectorILNS1_17partition_subalgoE9EllbEEZZNS1_14partition_implILS5_9ELb0ES3_jPlS8_PNS0_10empty_typeENS0_5tupleIJS8_S9_EEENSB_IJS8_SA_EEENS0_18inequality_wrapperIZN2at6native12_GLOBAL__N_124unique_dim_cuda_templateIfEESt5tupleIJNSF_6TensorESK_SK_EERKSK_lbbbEUlllE0_EEPmJS9_EEE10hipError_tPvRmT3_T4_T5_T6_T7_T9_mT8_P12ihipStream_tbDpT10_ENKUlT_T0_E_clISt17integral_constantIbLb0EES1A_EEDaS15_S16_EUlS15_E_NS1_11comp_targetILNS1_3genE2ELNS1_11target_archE906ELNS1_3gpuE6ELNS1_3repE0EEENS1_30default_config_static_selectorELNS0_4arch9wavefront6targetE0EEEvT1_
    .private_segment_fixed_size: 0
    .sgpr_count:     0
    .sgpr_spill_count: 0
    .symbol:         _ZN7rocprim17ROCPRIM_400000_NS6detail17trampoline_kernelINS0_14default_configENS1_25partition_config_selectorILNS1_17partition_subalgoE9EllbEEZZNS1_14partition_implILS5_9ELb0ES3_jPlS8_PNS0_10empty_typeENS0_5tupleIJS8_S9_EEENSB_IJS8_SA_EEENS0_18inequality_wrapperIZN2at6native12_GLOBAL__N_124unique_dim_cuda_templateIfEESt5tupleIJNSF_6TensorESK_SK_EERKSK_lbbbEUlllE0_EEPmJS9_EEE10hipError_tPvRmT3_T4_T5_T6_T7_T9_mT8_P12ihipStream_tbDpT10_ENKUlT_T0_E_clISt17integral_constantIbLb0EES1A_EEDaS15_S16_EUlS15_E_NS1_11comp_targetILNS1_3genE2ELNS1_11target_archE906ELNS1_3gpuE6ELNS1_3repE0EEENS1_30default_config_static_selectorELNS0_4arch9wavefront6targetE0EEEvT1_.kd
    .uniform_work_group_size: 1
    .uses_dynamic_stack: false
    .vgpr_count:     0
    .vgpr_spill_count: 0
    .wavefront_size: 32
  - .args:
      - .offset:         0
        .size:           120
        .value_kind:     by_value
    .group_segment_fixed_size: 0
    .kernarg_segment_align: 8
    .kernarg_segment_size: 120
    .language:       OpenCL C
    .language_version:
      - 2
      - 0
    .max_flat_workgroup_size: 384
    .name:           _ZN7rocprim17ROCPRIM_400000_NS6detail17trampoline_kernelINS0_14default_configENS1_25partition_config_selectorILNS1_17partition_subalgoE9EllbEEZZNS1_14partition_implILS5_9ELb0ES3_jPlS8_PNS0_10empty_typeENS0_5tupleIJS8_S9_EEENSB_IJS8_SA_EEENS0_18inequality_wrapperIZN2at6native12_GLOBAL__N_124unique_dim_cuda_templateIfEESt5tupleIJNSF_6TensorESK_SK_EERKSK_lbbbEUlllE0_EEPmJS9_EEE10hipError_tPvRmT3_T4_T5_T6_T7_T9_mT8_P12ihipStream_tbDpT10_ENKUlT_T0_E_clISt17integral_constantIbLb0EES1A_EEDaS15_S16_EUlS15_E_NS1_11comp_targetILNS1_3genE10ELNS1_11target_archE1200ELNS1_3gpuE4ELNS1_3repE0EEENS1_30default_config_static_selectorELNS0_4arch9wavefront6targetE0EEEvT1_
    .private_segment_fixed_size: 0
    .sgpr_count:     0
    .sgpr_spill_count: 0
    .symbol:         _ZN7rocprim17ROCPRIM_400000_NS6detail17trampoline_kernelINS0_14default_configENS1_25partition_config_selectorILNS1_17partition_subalgoE9EllbEEZZNS1_14partition_implILS5_9ELb0ES3_jPlS8_PNS0_10empty_typeENS0_5tupleIJS8_S9_EEENSB_IJS8_SA_EEENS0_18inequality_wrapperIZN2at6native12_GLOBAL__N_124unique_dim_cuda_templateIfEESt5tupleIJNSF_6TensorESK_SK_EERKSK_lbbbEUlllE0_EEPmJS9_EEE10hipError_tPvRmT3_T4_T5_T6_T7_T9_mT8_P12ihipStream_tbDpT10_ENKUlT_T0_E_clISt17integral_constantIbLb0EES1A_EEDaS15_S16_EUlS15_E_NS1_11comp_targetILNS1_3genE10ELNS1_11target_archE1200ELNS1_3gpuE4ELNS1_3repE0EEENS1_30default_config_static_selectorELNS0_4arch9wavefront6targetE0EEEvT1_.kd
    .uniform_work_group_size: 1
    .uses_dynamic_stack: false
    .vgpr_count:     0
    .vgpr_spill_count: 0
    .wavefront_size: 32
  - .args:
      - .offset:         0
        .size:           120
        .value_kind:     by_value
    .group_segment_fixed_size: 0
    .kernarg_segment_align: 8
    .kernarg_segment_size: 120
    .language:       OpenCL C
    .language_version:
      - 2
      - 0
    .max_flat_workgroup_size: 512
    .name:           _ZN7rocprim17ROCPRIM_400000_NS6detail17trampoline_kernelINS0_14default_configENS1_25partition_config_selectorILNS1_17partition_subalgoE9EllbEEZZNS1_14partition_implILS5_9ELb0ES3_jPlS8_PNS0_10empty_typeENS0_5tupleIJS8_S9_EEENSB_IJS8_SA_EEENS0_18inequality_wrapperIZN2at6native12_GLOBAL__N_124unique_dim_cuda_templateIfEESt5tupleIJNSF_6TensorESK_SK_EERKSK_lbbbEUlllE0_EEPmJS9_EEE10hipError_tPvRmT3_T4_T5_T6_T7_T9_mT8_P12ihipStream_tbDpT10_ENKUlT_T0_E_clISt17integral_constantIbLb0EES1A_EEDaS15_S16_EUlS15_E_NS1_11comp_targetILNS1_3genE9ELNS1_11target_archE1100ELNS1_3gpuE3ELNS1_3repE0EEENS1_30default_config_static_selectorELNS0_4arch9wavefront6targetE0EEEvT1_
    .private_segment_fixed_size: 0
    .sgpr_count:     0
    .sgpr_spill_count: 0
    .symbol:         _ZN7rocprim17ROCPRIM_400000_NS6detail17trampoline_kernelINS0_14default_configENS1_25partition_config_selectorILNS1_17partition_subalgoE9EllbEEZZNS1_14partition_implILS5_9ELb0ES3_jPlS8_PNS0_10empty_typeENS0_5tupleIJS8_S9_EEENSB_IJS8_SA_EEENS0_18inequality_wrapperIZN2at6native12_GLOBAL__N_124unique_dim_cuda_templateIfEESt5tupleIJNSF_6TensorESK_SK_EERKSK_lbbbEUlllE0_EEPmJS9_EEE10hipError_tPvRmT3_T4_T5_T6_T7_T9_mT8_P12ihipStream_tbDpT10_ENKUlT_T0_E_clISt17integral_constantIbLb0EES1A_EEDaS15_S16_EUlS15_E_NS1_11comp_targetILNS1_3genE9ELNS1_11target_archE1100ELNS1_3gpuE3ELNS1_3repE0EEENS1_30default_config_static_selectorELNS0_4arch9wavefront6targetE0EEEvT1_.kd
    .uniform_work_group_size: 1
    .uses_dynamic_stack: false
    .vgpr_count:     0
    .vgpr_spill_count: 0
    .wavefront_size: 32
  - .args:
      - .offset:         0
        .size:           120
        .value_kind:     by_value
    .group_segment_fixed_size: 0
    .kernarg_segment_align: 8
    .kernarg_segment_size: 120
    .language:       OpenCL C
    .language_version:
      - 2
      - 0
    .max_flat_workgroup_size: 512
    .name:           _ZN7rocprim17ROCPRIM_400000_NS6detail17trampoline_kernelINS0_14default_configENS1_25partition_config_selectorILNS1_17partition_subalgoE9EllbEEZZNS1_14partition_implILS5_9ELb0ES3_jPlS8_PNS0_10empty_typeENS0_5tupleIJS8_S9_EEENSB_IJS8_SA_EEENS0_18inequality_wrapperIZN2at6native12_GLOBAL__N_124unique_dim_cuda_templateIfEESt5tupleIJNSF_6TensorESK_SK_EERKSK_lbbbEUlllE0_EEPmJS9_EEE10hipError_tPvRmT3_T4_T5_T6_T7_T9_mT8_P12ihipStream_tbDpT10_ENKUlT_T0_E_clISt17integral_constantIbLb0EES1A_EEDaS15_S16_EUlS15_E_NS1_11comp_targetILNS1_3genE8ELNS1_11target_archE1030ELNS1_3gpuE2ELNS1_3repE0EEENS1_30default_config_static_selectorELNS0_4arch9wavefront6targetE0EEEvT1_
    .private_segment_fixed_size: 0
    .sgpr_count:     0
    .sgpr_spill_count: 0
    .symbol:         _ZN7rocprim17ROCPRIM_400000_NS6detail17trampoline_kernelINS0_14default_configENS1_25partition_config_selectorILNS1_17partition_subalgoE9EllbEEZZNS1_14partition_implILS5_9ELb0ES3_jPlS8_PNS0_10empty_typeENS0_5tupleIJS8_S9_EEENSB_IJS8_SA_EEENS0_18inequality_wrapperIZN2at6native12_GLOBAL__N_124unique_dim_cuda_templateIfEESt5tupleIJNSF_6TensorESK_SK_EERKSK_lbbbEUlllE0_EEPmJS9_EEE10hipError_tPvRmT3_T4_T5_T6_T7_T9_mT8_P12ihipStream_tbDpT10_ENKUlT_T0_E_clISt17integral_constantIbLb0EES1A_EEDaS15_S16_EUlS15_E_NS1_11comp_targetILNS1_3genE8ELNS1_11target_archE1030ELNS1_3gpuE2ELNS1_3repE0EEENS1_30default_config_static_selectorELNS0_4arch9wavefront6targetE0EEEvT1_.kd
    .uniform_work_group_size: 1
    .uses_dynamic_stack: false
    .vgpr_count:     0
    .vgpr_spill_count: 0
    .wavefront_size: 32
  - .args:
      - .offset:         0
        .size:           136
        .value_kind:     by_value
    .group_segment_fixed_size: 0
    .kernarg_segment_align: 8
    .kernarg_segment_size: 136
    .language:       OpenCL C
    .language_version:
      - 2
      - 0
    .max_flat_workgroup_size: 128
    .name:           _ZN7rocprim17ROCPRIM_400000_NS6detail17trampoline_kernelINS0_14default_configENS1_25partition_config_selectorILNS1_17partition_subalgoE9EllbEEZZNS1_14partition_implILS5_9ELb0ES3_jPlS8_PNS0_10empty_typeENS0_5tupleIJS8_S9_EEENSB_IJS8_SA_EEENS0_18inequality_wrapperIZN2at6native12_GLOBAL__N_124unique_dim_cuda_templateIfEESt5tupleIJNSF_6TensorESK_SK_EERKSK_lbbbEUlllE0_EEPmJS9_EEE10hipError_tPvRmT3_T4_T5_T6_T7_T9_mT8_P12ihipStream_tbDpT10_ENKUlT_T0_E_clISt17integral_constantIbLb1EES1A_EEDaS15_S16_EUlS15_E_NS1_11comp_targetILNS1_3genE0ELNS1_11target_archE4294967295ELNS1_3gpuE0ELNS1_3repE0EEENS1_30default_config_static_selectorELNS0_4arch9wavefront6targetE0EEEvT1_
    .private_segment_fixed_size: 0
    .sgpr_count:     0
    .sgpr_spill_count: 0
    .symbol:         _ZN7rocprim17ROCPRIM_400000_NS6detail17trampoline_kernelINS0_14default_configENS1_25partition_config_selectorILNS1_17partition_subalgoE9EllbEEZZNS1_14partition_implILS5_9ELb0ES3_jPlS8_PNS0_10empty_typeENS0_5tupleIJS8_S9_EEENSB_IJS8_SA_EEENS0_18inequality_wrapperIZN2at6native12_GLOBAL__N_124unique_dim_cuda_templateIfEESt5tupleIJNSF_6TensorESK_SK_EERKSK_lbbbEUlllE0_EEPmJS9_EEE10hipError_tPvRmT3_T4_T5_T6_T7_T9_mT8_P12ihipStream_tbDpT10_ENKUlT_T0_E_clISt17integral_constantIbLb1EES1A_EEDaS15_S16_EUlS15_E_NS1_11comp_targetILNS1_3genE0ELNS1_11target_archE4294967295ELNS1_3gpuE0ELNS1_3repE0EEENS1_30default_config_static_selectorELNS0_4arch9wavefront6targetE0EEEvT1_.kd
    .uniform_work_group_size: 1
    .uses_dynamic_stack: false
    .vgpr_count:     0
    .vgpr_spill_count: 0
    .wavefront_size: 32
  - .args:
      - .offset:         0
        .size:           136
        .value_kind:     by_value
    .group_segment_fixed_size: 0
    .kernarg_segment_align: 8
    .kernarg_segment_size: 136
    .language:       OpenCL C
    .language_version:
      - 2
      - 0
    .max_flat_workgroup_size: 512
    .name:           _ZN7rocprim17ROCPRIM_400000_NS6detail17trampoline_kernelINS0_14default_configENS1_25partition_config_selectorILNS1_17partition_subalgoE9EllbEEZZNS1_14partition_implILS5_9ELb0ES3_jPlS8_PNS0_10empty_typeENS0_5tupleIJS8_S9_EEENSB_IJS8_SA_EEENS0_18inequality_wrapperIZN2at6native12_GLOBAL__N_124unique_dim_cuda_templateIfEESt5tupleIJNSF_6TensorESK_SK_EERKSK_lbbbEUlllE0_EEPmJS9_EEE10hipError_tPvRmT3_T4_T5_T6_T7_T9_mT8_P12ihipStream_tbDpT10_ENKUlT_T0_E_clISt17integral_constantIbLb1EES1A_EEDaS15_S16_EUlS15_E_NS1_11comp_targetILNS1_3genE5ELNS1_11target_archE942ELNS1_3gpuE9ELNS1_3repE0EEENS1_30default_config_static_selectorELNS0_4arch9wavefront6targetE0EEEvT1_
    .private_segment_fixed_size: 0
    .sgpr_count:     0
    .sgpr_spill_count: 0
    .symbol:         _ZN7rocprim17ROCPRIM_400000_NS6detail17trampoline_kernelINS0_14default_configENS1_25partition_config_selectorILNS1_17partition_subalgoE9EllbEEZZNS1_14partition_implILS5_9ELb0ES3_jPlS8_PNS0_10empty_typeENS0_5tupleIJS8_S9_EEENSB_IJS8_SA_EEENS0_18inequality_wrapperIZN2at6native12_GLOBAL__N_124unique_dim_cuda_templateIfEESt5tupleIJNSF_6TensorESK_SK_EERKSK_lbbbEUlllE0_EEPmJS9_EEE10hipError_tPvRmT3_T4_T5_T6_T7_T9_mT8_P12ihipStream_tbDpT10_ENKUlT_T0_E_clISt17integral_constantIbLb1EES1A_EEDaS15_S16_EUlS15_E_NS1_11comp_targetILNS1_3genE5ELNS1_11target_archE942ELNS1_3gpuE9ELNS1_3repE0EEENS1_30default_config_static_selectorELNS0_4arch9wavefront6targetE0EEEvT1_.kd
    .uniform_work_group_size: 1
    .uses_dynamic_stack: false
    .vgpr_count:     0
    .vgpr_spill_count: 0
    .wavefront_size: 32
  - .args:
      - .offset:         0
        .size:           136
        .value_kind:     by_value
    .group_segment_fixed_size: 0
    .kernarg_segment_align: 8
    .kernarg_segment_size: 136
    .language:       OpenCL C
    .language_version:
      - 2
      - 0
    .max_flat_workgroup_size: 128
    .name:           _ZN7rocprim17ROCPRIM_400000_NS6detail17trampoline_kernelINS0_14default_configENS1_25partition_config_selectorILNS1_17partition_subalgoE9EllbEEZZNS1_14partition_implILS5_9ELb0ES3_jPlS8_PNS0_10empty_typeENS0_5tupleIJS8_S9_EEENSB_IJS8_SA_EEENS0_18inequality_wrapperIZN2at6native12_GLOBAL__N_124unique_dim_cuda_templateIfEESt5tupleIJNSF_6TensorESK_SK_EERKSK_lbbbEUlllE0_EEPmJS9_EEE10hipError_tPvRmT3_T4_T5_T6_T7_T9_mT8_P12ihipStream_tbDpT10_ENKUlT_T0_E_clISt17integral_constantIbLb1EES1A_EEDaS15_S16_EUlS15_E_NS1_11comp_targetILNS1_3genE4ELNS1_11target_archE910ELNS1_3gpuE8ELNS1_3repE0EEENS1_30default_config_static_selectorELNS0_4arch9wavefront6targetE0EEEvT1_
    .private_segment_fixed_size: 0
    .sgpr_count:     0
    .sgpr_spill_count: 0
    .symbol:         _ZN7rocprim17ROCPRIM_400000_NS6detail17trampoline_kernelINS0_14default_configENS1_25partition_config_selectorILNS1_17partition_subalgoE9EllbEEZZNS1_14partition_implILS5_9ELb0ES3_jPlS8_PNS0_10empty_typeENS0_5tupleIJS8_S9_EEENSB_IJS8_SA_EEENS0_18inequality_wrapperIZN2at6native12_GLOBAL__N_124unique_dim_cuda_templateIfEESt5tupleIJNSF_6TensorESK_SK_EERKSK_lbbbEUlllE0_EEPmJS9_EEE10hipError_tPvRmT3_T4_T5_T6_T7_T9_mT8_P12ihipStream_tbDpT10_ENKUlT_T0_E_clISt17integral_constantIbLb1EES1A_EEDaS15_S16_EUlS15_E_NS1_11comp_targetILNS1_3genE4ELNS1_11target_archE910ELNS1_3gpuE8ELNS1_3repE0EEENS1_30default_config_static_selectorELNS0_4arch9wavefront6targetE0EEEvT1_.kd
    .uniform_work_group_size: 1
    .uses_dynamic_stack: false
    .vgpr_count:     0
    .vgpr_spill_count: 0
    .wavefront_size: 32
  - .args:
      - .offset:         0
        .size:           136
        .value_kind:     by_value
    .group_segment_fixed_size: 0
    .kernarg_segment_align: 8
    .kernarg_segment_size: 136
    .language:       OpenCL C
    .language_version:
      - 2
      - 0
    .max_flat_workgroup_size: 128
    .name:           _ZN7rocprim17ROCPRIM_400000_NS6detail17trampoline_kernelINS0_14default_configENS1_25partition_config_selectorILNS1_17partition_subalgoE9EllbEEZZNS1_14partition_implILS5_9ELb0ES3_jPlS8_PNS0_10empty_typeENS0_5tupleIJS8_S9_EEENSB_IJS8_SA_EEENS0_18inequality_wrapperIZN2at6native12_GLOBAL__N_124unique_dim_cuda_templateIfEESt5tupleIJNSF_6TensorESK_SK_EERKSK_lbbbEUlllE0_EEPmJS9_EEE10hipError_tPvRmT3_T4_T5_T6_T7_T9_mT8_P12ihipStream_tbDpT10_ENKUlT_T0_E_clISt17integral_constantIbLb1EES1A_EEDaS15_S16_EUlS15_E_NS1_11comp_targetILNS1_3genE3ELNS1_11target_archE908ELNS1_3gpuE7ELNS1_3repE0EEENS1_30default_config_static_selectorELNS0_4arch9wavefront6targetE0EEEvT1_
    .private_segment_fixed_size: 0
    .sgpr_count:     0
    .sgpr_spill_count: 0
    .symbol:         _ZN7rocprim17ROCPRIM_400000_NS6detail17trampoline_kernelINS0_14default_configENS1_25partition_config_selectorILNS1_17partition_subalgoE9EllbEEZZNS1_14partition_implILS5_9ELb0ES3_jPlS8_PNS0_10empty_typeENS0_5tupleIJS8_S9_EEENSB_IJS8_SA_EEENS0_18inequality_wrapperIZN2at6native12_GLOBAL__N_124unique_dim_cuda_templateIfEESt5tupleIJNSF_6TensorESK_SK_EERKSK_lbbbEUlllE0_EEPmJS9_EEE10hipError_tPvRmT3_T4_T5_T6_T7_T9_mT8_P12ihipStream_tbDpT10_ENKUlT_T0_E_clISt17integral_constantIbLb1EES1A_EEDaS15_S16_EUlS15_E_NS1_11comp_targetILNS1_3genE3ELNS1_11target_archE908ELNS1_3gpuE7ELNS1_3repE0EEENS1_30default_config_static_selectorELNS0_4arch9wavefront6targetE0EEEvT1_.kd
    .uniform_work_group_size: 1
    .uses_dynamic_stack: false
    .vgpr_count:     0
    .vgpr_spill_count: 0
    .wavefront_size: 32
  - .args:
      - .offset:         0
        .size:           136
        .value_kind:     by_value
    .group_segment_fixed_size: 0
    .kernarg_segment_align: 8
    .kernarg_segment_size: 136
    .language:       OpenCL C
    .language_version:
      - 2
      - 0
    .max_flat_workgroup_size: 192
    .name:           _ZN7rocprim17ROCPRIM_400000_NS6detail17trampoline_kernelINS0_14default_configENS1_25partition_config_selectorILNS1_17partition_subalgoE9EllbEEZZNS1_14partition_implILS5_9ELb0ES3_jPlS8_PNS0_10empty_typeENS0_5tupleIJS8_S9_EEENSB_IJS8_SA_EEENS0_18inequality_wrapperIZN2at6native12_GLOBAL__N_124unique_dim_cuda_templateIfEESt5tupleIJNSF_6TensorESK_SK_EERKSK_lbbbEUlllE0_EEPmJS9_EEE10hipError_tPvRmT3_T4_T5_T6_T7_T9_mT8_P12ihipStream_tbDpT10_ENKUlT_T0_E_clISt17integral_constantIbLb1EES1A_EEDaS15_S16_EUlS15_E_NS1_11comp_targetILNS1_3genE2ELNS1_11target_archE906ELNS1_3gpuE6ELNS1_3repE0EEENS1_30default_config_static_selectorELNS0_4arch9wavefront6targetE0EEEvT1_
    .private_segment_fixed_size: 0
    .sgpr_count:     0
    .sgpr_spill_count: 0
    .symbol:         _ZN7rocprim17ROCPRIM_400000_NS6detail17trampoline_kernelINS0_14default_configENS1_25partition_config_selectorILNS1_17partition_subalgoE9EllbEEZZNS1_14partition_implILS5_9ELb0ES3_jPlS8_PNS0_10empty_typeENS0_5tupleIJS8_S9_EEENSB_IJS8_SA_EEENS0_18inequality_wrapperIZN2at6native12_GLOBAL__N_124unique_dim_cuda_templateIfEESt5tupleIJNSF_6TensorESK_SK_EERKSK_lbbbEUlllE0_EEPmJS9_EEE10hipError_tPvRmT3_T4_T5_T6_T7_T9_mT8_P12ihipStream_tbDpT10_ENKUlT_T0_E_clISt17integral_constantIbLb1EES1A_EEDaS15_S16_EUlS15_E_NS1_11comp_targetILNS1_3genE2ELNS1_11target_archE906ELNS1_3gpuE6ELNS1_3repE0EEENS1_30default_config_static_selectorELNS0_4arch9wavefront6targetE0EEEvT1_.kd
    .uniform_work_group_size: 1
    .uses_dynamic_stack: false
    .vgpr_count:     0
    .vgpr_spill_count: 0
    .wavefront_size: 32
  - .args:
      - .offset:         0
        .size:           136
        .value_kind:     by_value
    .group_segment_fixed_size: 0
    .kernarg_segment_align: 8
    .kernarg_segment_size: 136
    .language:       OpenCL C
    .language_version:
      - 2
      - 0
    .max_flat_workgroup_size: 384
    .name:           _ZN7rocprim17ROCPRIM_400000_NS6detail17trampoline_kernelINS0_14default_configENS1_25partition_config_selectorILNS1_17partition_subalgoE9EllbEEZZNS1_14partition_implILS5_9ELb0ES3_jPlS8_PNS0_10empty_typeENS0_5tupleIJS8_S9_EEENSB_IJS8_SA_EEENS0_18inequality_wrapperIZN2at6native12_GLOBAL__N_124unique_dim_cuda_templateIfEESt5tupleIJNSF_6TensorESK_SK_EERKSK_lbbbEUlllE0_EEPmJS9_EEE10hipError_tPvRmT3_T4_T5_T6_T7_T9_mT8_P12ihipStream_tbDpT10_ENKUlT_T0_E_clISt17integral_constantIbLb1EES1A_EEDaS15_S16_EUlS15_E_NS1_11comp_targetILNS1_3genE10ELNS1_11target_archE1200ELNS1_3gpuE4ELNS1_3repE0EEENS1_30default_config_static_selectorELNS0_4arch9wavefront6targetE0EEEvT1_
    .private_segment_fixed_size: 0
    .sgpr_count:     0
    .sgpr_spill_count: 0
    .symbol:         _ZN7rocprim17ROCPRIM_400000_NS6detail17trampoline_kernelINS0_14default_configENS1_25partition_config_selectorILNS1_17partition_subalgoE9EllbEEZZNS1_14partition_implILS5_9ELb0ES3_jPlS8_PNS0_10empty_typeENS0_5tupleIJS8_S9_EEENSB_IJS8_SA_EEENS0_18inequality_wrapperIZN2at6native12_GLOBAL__N_124unique_dim_cuda_templateIfEESt5tupleIJNSF_6TensorESK_SK_EERKSK_lbbbEUlllE0_EEPmJS9_EEE10hipError_tPvRmT3_T4_T5_T6_T7_T9_mT8_P12ihipStream_tbDpT10_ENKUlT_T0_E_clISt17integral_constantIbLb1EES1A_EEDaS15_S16_EUlS15_E_NS1_11comp_targetILNS1_3genE10ELNS1_11target_archE1200ELNS1_3gpuE4ELNS1_3repE0EEENS1_30default_config_static_selectorELNS0_4arch9wavefront6targetE0EEEvT1_.kd
    .uniform_work_group_size: 1
    .uses_dynamic_stack: false
    .vgpr_count:     0
    .vgpr_spill_count: 0
    .wavefront_size: 32
  - .args:
      - .offset:         0
        .size:           136
        .value_kind:     by_value
    .group_segment_fixed_size: 0
    .kernarg_segment_align: 8
    .kernarg_segment_size: 136
    .language:       OpenCL C
    .language_version:
      - 2
      - 0
    .max_flat_workgroup_size: 512
    .name:           _ZN7rocprim17ROCPRIM_400000_NS6detail17trampoline_kernelINS0_14default_configENS1_25partition_config_selectorILNS1_17partition_subalgoE9EllbEEZZNS1_14partition_implILS5_9ELb0ES3_jPlS8_PNS0_10empty_typeENS0_5tupleIJS8_S9_EEENSB_IJS8_SA_EEENS0_18inequality_wrapperIZN2at6native12_GLOBAL__N_124unique_dim_cuda_templateIfEESt5tupleIJNSF_6TensorESK_SK_EERKSK_lbbbEUlllE0_EEPmJS9_EEE10hipError_tPvRmT3_T4_T5_T6_T7_T9_mT8_P12ihipStream_tbDpT10_ENKUlT_T0_E_clISt17integral_constantIbLb1EES1A_EEDaS15_S16_EUlS15_E_NS1_11comp_targetILNS1_3genE9ELNS1_11target_archE1100ELNS1_3gpuE3ELNS1_3repE0EEENS1_30default_config_static_selectorELNS0_4arch9wavefront6targetE0EEEvT1_
    .private_segment_fixed_size: 0
    .sgpr_count:     0
    .sgpr_spill_count: 0
    .symbol:         _ZN7rocprim17ROCPRIM_400000_NS6detail17trampoline_kernelINS0_14default_configENS1_25partition_config_selectorILNS1_17partition_subalgoE9EllbEEZZNS1_14partition_implILS5_9ELb0ES3_jPlS8_PNS0_10empty_typeENS0_5tupleIJS8_S9_EEENSB_IJS8_SA_EEENS0_18inequality_wrapperIZN2at6native12_GLOBAL__N_124unique_dim_cuda_templateIfEESt5tupleIJNSF_6TensorESK_SK_EERKSK_lbbbEUlllE0_EEPmJS9_EEE10hipError_tPvRmT3_T4_T5_T6_T7_T9_mT8_P12ihipStream_tbDpT10_ENKUlT_T0_E_clISt17integral_constantIbLb1EES1A_EEDaS15_S16_EUlS15_E_NS1_11comp_targetILNS1_3genE9ELNS1_11target_archE1100ELNS1_3gpuE3ELNS1_3repE0EEENS1_30default_config_static_selectorELNS0_4arch9wavefront6targetE0EEEvT1_.kd
    .uniform_work_group_size: 1
    .uses_dynamic_stack: false
    .vgpr_count:     0
    .vgpr_spill_count: 0
    .wavefront_size: 32
  - .args:
      - .offset:         0
        .size:           136
        .value_kind:     by_value
    .group_segment_fixed_size: 0
    .kernarg_segment_align: 8
    .kernarg_segment_size: 136
    .language:       OpenCL C
    .language_version:
      - 2
      - 0
    .max_flat_workgroup_size: 512
    .name:           _ZN7rocprim17ROCPRIM_400000_NS6detail17trampoline_kernelINS0_14default_configENS1_25partition_config_selectorILNS1_17partition_subalgoE9EllbEEZZNS1_14partition_implILS5_9ELb0ES3_jPlS8_PNS0_10empty_typeENS0_5tupleIJS8_S9_EEENSB_IJS8_SA_EEENS0_18inequality_wrapperIZN2at6native12_GLOBAL__N_124unique_dim_cuda_templateIfEESt5tupleIJNSF_6TensorESK_SK_EERKSK_lbbbEUlllE0_EEPmJS9_EEE10hipError_tPvRmT3_T4_T5_T6_T7_T9_mT8_P12ihipStream_tbDpT10_ENKUlT_T0_E_clISt17integral_constantIbLb1EES1A_EEDaS15_S16_EUlS15_E_NS1_11comp_targetILNS1_3genE8ELNS1_11target_archE1030ELNS1_3gpuE2ELNS1_3repE0EEENS1_30default_config_static_selectorELNS0_4arch9wavefront6targetE0EEEvT1_
    .private_segment_fixed_size: 0
    .sgpr_count:     0
    .sgpr_spill_count: 0
    .symbol:         _ZN7rocprim17ROCPRIM_400000_NS6detail17trampoline_kernelINS0_14default_configENS1_25partition_config_selectorILNS1_17partition_subalgoE9EllbEEZZNS1_14partition_implILS5_9ELb0ES3_jPlS8_PNS0_10empty_typeENS0_5tupleIJS8_S9_EEENSB_IJS8_SA_EEENS0_18inequality_wrapperIZN2at6native12_GLOBAL__N_124unique_dim_cuda_templateIfEESt5tupleIJNSF_6TensorESK_SK_EERKSK_lbbbEUlllE0_EEPmJS9_EEE10hipError_tPvRmT3_T4_T5_T6_T7_T9_mT8_P12ihipStream_tbDpT10_ENKUlT_T0_E_clISt17integral_constantIbLb1EES1A_EEDaS15_S16_EUlS15_E_NS1_11comp_targetILNS1_3genE8ELNS1_11target_archE1030ELNS1_3gpuE2ELNS1_3repE0EEENS1_30default_config_static_selectorELNS0_4arch9wavefront6targetE0EEEvT1_.kd
    .uniform_work_group_size: 1
    .uses_dynamic_stack: false
    .vgpr_count:     0
    .vgpr_spill_count: 0
    .wavefront_size: 32
  - .args:
      - .offset:         0
        .size:           120
        .value_kind:     by_value
    .group_segment_fixed_size: 0
    .kernarg_segment_align: 8
    .kernarg_segment_size: 120
    .language:       OpenCL C
    .language_version:
      - 2
      - 0
    .max_flat_workgroup_size: 128
    .name:           _ZN7rocprim17ROCPRIM_400000_NS6detail17trampoline_kernelINS0_14default_configENS1_25partition_config_selectorILNS1_17partition_subalgoE9EllbEEZZNS1_14partition_implILS5_9ELb0ES3_jPlS8_PNS0_10empty_typeENS0_5tupleIJS8_S9_EEENSB_IJS8_SA_EEENS0_18inequality_wrapperIZN2at6native12_GLOBAL__N_124unique_dim_cuda_templateIfEESt5tupleIJNSF_6TensorESK_SK_EERKSK_lbbbEUlllE0_EEPmJS9_EEE10hipError_tPvRmT3_T4_T5_T6_T7_T9_mT8_P12ihipStream_tbDpT10_ENKUlT_T0_E_clISt17integral_constantIbLb1EES19_IbLb0EEEEDaS15_S16_EUlS15_E_NS1_11comp_targetILNS1_3genE0ELNS1_11target_archE4294967295ELNS1_3gpuE0ELNS1_3repE0EEENS1_30default_config_static_selectorELNS0_4arch9wavefront6targetE0EEEvT1_
    .private_segment_fixed_size: 0
    .sgpr_count:     0
    .sgpr_spill_count: 0
    .symbol:         _ZN7rocprim17ROCPRIM_400000_NS6detail17trampoline_kernelINS0_14default_configENS1_25partition_config_selectorILNS1_17partition_subalgoE9EllbEEZZNS1_14partition_implILS5_9ELb0ES3_jPlS8_PNS0_10empty_typeENS0_5tupleIJS8_S9_EEENSB_IJS8_SA_EEENS0_18inequality_wrapperIZN2at6native12_GLOBAL__N_124unique_dim_cuda_templateIfEESt5tupleIJNSF_6TensorESK_SK_EERKSK_lbbbEUlllE0_EEPmJS9_EEE10hipError_tPvRmT3_T4_T5_T6_T7_T9_mT8_P12ihipStream_tbDpT10_ENKUlT_T0_E_clISt17integral_constantIbLb1EES19_IbLb0EEEEDaS15_S16_EUlS15_E_NS1_11comp_targetILNS1_3genE0ELNS1_11target_archE4294967295ELNS1_3gpuE0ELNS1_3repE0EEENS1_30default_config_static_selectorELNS0_4arch9wavefront6targetE0EEEvT1_.kd
    .uniform_work_group_size: 1
    .uses_dynamic_stack: false
    .vgpr_count:     0
    .vgpr_spill_count: 0
    .wavefront_size: 32
  - .args:
      - .offset:         0
        .size:           120
        .value_kind:     by_value
    .group_segment_fixed_size: 0
    .kernarg_segment_align: 8
    .kernarg_segment_size: 120
    .language:       OpenCL C
    .language_version:
      - 2
      - 0
    .max_flat_workgroup_size: 512
    .name:           _ZN7rocprim17ROCPRIM_400000_NS6detail17trampoline_kernelINS0_14default_configENS1_25partition_config_selectorILNS1_17partition_subalgoE9EllbEEZZNS1_14partition_implILS5_9ELb0ES3_jPlS8_PNS0_10empty_typeENS0_5tupleIJS8_S9_EEENSB_IJS8_SA_EEENS0_18inequality_wrapperIZN2at6native12_GLOBAL__N_124unique_dim_cuda_templateIfEESt5tupleIJNSF_6TensorESK_SK_EERKSK_lbbbEUlllE0_EEPmJS9_EEE10hipError_tPvRmT3_T4_T5_T6_T7_T9_mT8_P12ihipStream_tbDpT10_ENKUlT_T0_E_clISt17integral_constantIbLb1EES19_IbLb0EEEEDaS15_S16_EUlS15_E_NS1_11comp_targetILNS1_3genE5ELNS1_11target_archE942ELNS1_3gpuE9ELNS1_3repE0EEENS1_30default_config_static_selectorELNS0_4arch9wavefront6targetE0EEEvT1_
    .private_segment_fixed_size: 0
    .sgpr_count:     0
    .sgpr_spill_count: 0
    .symbol:         _ZN7rocprim17ROCPRIM_400000_NS6detail17trampoline_kernelINS0_14default_configENS1_25partition_config_selectorILNS1_17partition_subalgoE9EllbEEZZNS1_14partition_implILS5_9ELb0ES3_jPlS8_PNS0_10empty_typeENS0_5tupleIJS8_S9_EEENSB_IJS8_SA_EEENS0_18inequality_wrapperIZN2at6native12_GLOBAL__N_124unique_dim_cuda_templateIfEESt5tupleIJNSF_6TensorESK_SK_EERKSK_lbbbEUlllE0_EEPmJS9_EEE10hipError_tPvRmT3_T4_T5_T6_T7_T9_mT8_P12ihipStream_tbDpT10_ENKUlT_T0_E_clISt17integral_constantIbLb1EES19_IbLb0EEEEDaS15_S16_EUlS15_E_NS1_11comp_targetILNS1_3genE5ELNS1_11target_archE942ELNS1_3gpuE9ELNS1_3repE0EEENS1_30default_config_static_selectorELNS0_4arch9wavefront6targetE0EEEvT1_.kd
    .uniform_work_group_size: 1
    .uses_dynamic_stack: false
    .vgpr_count:     0
    .vgpr_spill_count: 0
    .wavefront_size: 32
  - .args:
      - .offset:         0
        .size:           120
        .value_kind:     by_value
    .group_segment_fixed_size: 0
    .kernarg_segment_align: 8
    .kernarg_segment_size: 120
    .language:       OpenCL C
    .language_version:
      - 2
      - 0
    .max_flat_workgroup_size: 128
    .name:           _ZN7rocprim17ROCPRIM_400000_NS6detail17trampoline_kernelINS0_14default_configENS1_25partition_config_selectorILNS1_17partition_subalgoE9EllbEEZZNS1_14partition_implILS5_9ELb0ES3_jPlS8_PNS0_10empty_typeENS0_5tupleIJS8_S9_EEENSB_IJS8_SA_EEENS0_18inequality_wrapperIZN2at6native12_GLOBAL__N_124unique_dim_cuda_templateIfEESt5tupleIJNSF_6TensorESK_SK_EERKSK_lbbbEUlllE0_EEPmJS9_EEE10hipError_tPvRmT3_T4_T5_T6_T7_T9_mT8_P12ihipStream_tbDpT10_ENKUlT_T0_E_clISt17integral_constantIbLb1EES19_IbLb0EEEEDaS15_S16_EUlS15_E_NS1_11comp_targetILNS1_3genE4ELNS1_11target_archE910ELNS1_3gpuE8ELNS1_3repE0EEENS1_30default_config_static_selectorELNS0_4arch9wavefront6targetE0EEEvT1_
    .private_segment_fixed_size: 0
    .sgpr_count:     0
    .sgpr_spill_count: 0
    .symbol:         _ZN7rocprim17ROCPRIM_400000_NS6detail17trampoline_kernelINS0_14default_configENS1_25partition_config_selectorILNS1_17partition_subalgoE9EllbEEZZNS1_14partition_implILS5_9ELb0ES3_jPlS8_PNS0_10empty_typeENS0_5tupleIJS8_S9_EEENSB_IJS8_SA_EEENS0_18inequality_wrapperIZN2at6native12_GLOBAL__N_124unique_dim_cuda_templateIfEESt5tupleIJNSF_6TensorESK_SK_EERKSK_lbbbEUlllE0_EEPmJS9_EEE10hipError_tPvRmT3_T4_T5_T6_T7_T9_mT8_P12ihipStream_tbDpT10_ENKUlT_T0_E_clISt17integral_constantIbLb1EES19_IbLb0EEEEDaS15_S16_EUlS15_E_NS1_11comp_targetILNS1_3genE4ELNS1_11target_archE910ELNS1_3gpuE8ELNS1_3repE0EEENS1_30default_config_static_selectorELNS0_4arch9wavefront6targetE0EEEvT1_.kd
    .uniform_work_group_size: 1
    .uses_dynamic_stack: false
    .vgpr_count:     0
    .vgpr_spill_count: 0
    .wavefront_size: 32
  - .args:
      - .offset:         0
        .size:           120
        .value_kind:     by_value
    .group_segment_fixed_size: 0
    .kernarg_segment_align: 8
    .kernarg_segment_size: 120
    .language:       OpenCL C
    .language_version:
      - 2
      - 0
    .max_flat_workgroup_size: 128
    .name:           _ZN7rocprim17ROCPRIM_400000_NS6detail17trampoline_kernelINS0_14default_configENS1_25partition_config_selectorILNS1_17partition_subalgoE9EllbEEZZNS1_14partition_implILS5_9ELb0ES3_jPlS8_PNS0_10empty_typeENS0_5tupleIJS8_S9_EEENSB_IJS8_SA_EEENS0_18inequality_wrapperIZN2at6native12_GLOBAL__N_124unique_dim_cuda_templateIfEESt5tupleIJNSF_6TensorESK_SK_EERKSK_lbbbEUlllE0_EEPmJS9_EEE10hipError_tPvRmT3_T4_T5_T6_T7_T9_mT8_P12ihipStream_tbDpT10_ENKUlT_T0_E_clISt17integral_constantIbLb1EES19_IbLb0EEEEDaS15_S16_EUlS15_E_NS1_11comp_targetILNS1_3genE3ELNS1_11target_archE908ELNS1_3gpuE7ELNS1_3repE0EEENS1_30default_config_static_selectorELNS0_4arch9wavefront6targetE0EEEvT1_
    .private_segment_fixed_size: 0
    .sgpr_count:     0
    .sgpr_spill_count: 0
    .symbol:         _ZN7rocprim17ROCPRIM_400000_NS6detail17trampoline_kernelINS0_14default_configENS1_25partition_config_selectorILNS1_17partition_subalgoE9EllbEEZZNS1_14partition_implILS5_9ELb0ES3_jPlS8_PNS0_10empty_typeENS0_5tupleIJS8_S9_EEENSB_IJS8_SA_EEENS0_18inequality_wrapperIZN2at6native12_GLOBAL__N_124unique_dim_cuda_templateIfEESt5tupleIJNSF_6TensorESK_SK_EERKSK_lbbbEUlllE0_EEPmJS9_EEE10hipError_tPvRmT3_T4_T5_T6_T7_T9_mT8_P12ihipStream_tbDpT10_ENKUlT_T0_E_clISt17integral_constantIbLb1EES19_IbLb0EEEEDaS15_S16_EUlS15_E_NS1_11comp_targetILNS1_3genE3ELNS1_11target_archE908ELNS1_3gpuE7ELNS1_3repE0EEENS1_30default_config_static_selectorELNS0_4arch9wavefront6targetE0EEEvT1_.kd
    .uniform_work_group_size: 1
    .uses_dynamic_stack: false
    .vgpr_count:     0
    .vgpr_spill_count: 0
    .wavefront_size: 32
  - .args:
      - .offset:         0
        .size:           120
        .value_kind:     by_value
    .group_segment_fixed_size: 0
    .kernarg_segment_align: 8
    .kernarg_segment_size: 120
    .language:       OpenCL C
    .language_version:
      - 2
      - 0
    .max_flat_workgroup_size: 192
    .name:           _ZN7rocprim17ROCPRIM_400000_NS6detail17trampoline_kernelINS0_14default_configENS1_25partition_config_selectorILNS1_17partition_subalgoE9EllbEEZZNS1_14partition_implILS5_9ELb0ES3_jPlS8_PNS0_10empty_typeENS0_5tupleIJS8_S9_EEENSB_IJS8_SA_EEENS0_18inequality_wrapperIZN2at6native12_GLOBAL__N_124unique_dim_cuda_templateIfEESt5tupleIJNSF_6TensorESK_SK_EERKSK_lbbbEUlllE0_EEPmJS9_EEE10hipError_tPvRmT3_T4_T5_T6_T7_T9_mT8_P12ihipStream_tbDpT10_ENKUlT_T0_E_clISt17integral_constantIbLb1EES19_IbLb0EEEEDaS15_S16_EUlS15_E_NS1_11comp_targetILNS1_3genE2ELNS1_11target_archE906ELNS1_3gpuE6ELNS1_3repE0EEENS1_30default_config_static_selectorELNS0_4arch9wavefront6targetE0EEEvT1_
    .private_segment_fixed_size: 0
    .sgpr_count:     0
    .sgpr_spill_count: 0
    .symbol:         _ZN7rocprim17ROCPRIM_400000_NS6detail17trampoline_kernelINS0_14default_configENS1_25partition_config_selectorILNS1_17partition_subalgoE9EllbEEZZNS1_14partition_implILS5_9ELb0ES3_jPlS8_PNS0_10empty_typeENS0_5tupleIJS8_S9_EEENSB_IJS8_SA_EEENS0_18inequality_wrapperIZN2at6native12_GLOBAL__N_124unique_dim_cuda_templateIfEESt5tupleIJNSF_6TensorESK_SK_EERKSK_lbbbEUlllE0_EEPmJS9_EEE10hipError_tPvRmT3_T4_T5_T6_T7_T9_mT8_P12ihipStream_tbDpT10_ENKUlT_T0_E_clISt17integral_constantIbLb1EES19_IbLb0EEEEDaS15_S16_EUlS15_E_NS1_11comp_targetILNS1_3genE2ELNS1_11target_archE906ELNS1_3gpuE6ELNS1_3repE0EEENS1_30default_config_static_selectorELNS0_4arch9wavefront6targetE0EEEvT1_.kd
    .uniform_work_group_size: 1
    .uses_dynamic_stack: false
    .vgpr_count:     0
    .vgpr_spill_count: 0
    .wavefront_size: 32
  - .args:
      - .offset:         0
        .size:           120
        .value_kind:     by_value
    .group_segment_fixed_size: 0
    .kernarg_segment_align: 8
    .kernarg_segment_size: 120
    .language:       OpenCL C
    .language_version:
      - 2
      - 0
    .max_flat_workgroup_size: 384
    .name:           _ZN7rocprim17ROCPRIM_400000_NS6detail17trampoline_kernelINS0_14default_configENS1_25partition_config_selectorILNS1_17partition_subalgoE9EllbEEZZNS1_14partition_implILS5_9ELb0ES3_jPlS8_PNS0_10empty_typeENS0_5tupleIJS8_S9_EEENSB_IJS8_SA_EEENS0_18inequality_wrapperIZN2at6native12_GLOBAL__N_124unique_dim_cuda_templateIfEESt5tupleIJNSF_6TensorESK_SK_EERKSK_lbbbEUlllE0_EEPmJS9_EEE10hipError_tPvRmT3_T4_T5_T6_T7_T9_mT8_P12ihipStream_tbDpT10_ENKUlT_T0_E_clISt17integral_constantIbLb1EES19_IbLb0EEEEDaS15_S16_EUlS15_E_NS1_11comp_targetILNS1_3genE10ELNS1_11target_archE1200ELNS1_3gpuE4ELNS1_3repE0EEENS1_30default_config_static_selectorELNS0_4arch9wavefront6targetE0EEEvT1_
    .private_segment_fixed_size: 0
    .sgpr_count:     0
    .sgpr_spill_count: 0
    .symbol:         _ZN7rocprim17ROCPRIM_400000_NS6detail17trampoline_kernelINS0_14default_configENS1_25partition_config_selectorILNS1_17partition_subalgoE9EllbEEZZNS1_14partition_implILS5_9ELb0ES3_jPlS8_PNS0_10empty_typeENS0_5tupleIJS8_S9_EEENSB_IJS8_SA_EEENS0_18inequality_wrapperIZN2at6native12_GLOBAL__N_124unique_dim_cuda_templateIfEESt5tupleIJNSF_6TensorESK_SK_EERKSK_lbbbEUlllE0_EEPmJS9_EEE10hipError_tPvRmT3_T4_T5_T6_T7_T9_mT8_P12ihipStream_tbDpT10_ENKUlT_T0_E_clISt17integral_constantIbLb1EES19_IbLb0EEEEDaS15_S16_EUlS15_E_NS1_11comp_targetILNS1_3genE10ELNS1_11target_archE1200ELNS1_3gpuE4ELNS1_3repE0EEENS1_30default_config_static_selectorELNS0_4arch9wavefront6targetE0EEEvT1_.kd
    .uniform_work_group_size: 1
    .uses_dynamic_stack: false
    .vgpr_count:     0
    .vgpr_spill_count: 0
    .wavefront_size: 32
  - .args:
      - .offset:         0
        .size:           120
        .value_kind:     by_value
    .group_segment_fixed_size: 0
    .kernarg_segment_align: 8
    .kernarg_segment_size: 120
    .language:       OpenCL C
    .language_version:
      - 2
      - 0
    .max_flat_workgroup_size: 512
    .name:           _ZN7rocprim17ROCPRIM_400000_NS6detail17trampoline_kernelINS0_14default_configENS1_25partition_config_selectorILNS1_17partition_subalgoE9EllbEEZZNS1_14partition_implILS5_9ELb0ES3_jPlS8_PNS0_10empty_typeENS0_5tupleIJS8_S9_EEENSB_IJS8_SA_EEENS0_18inequality_wrapperIZN2at6native12_GLOBAL__N_124unique_dim_cuda_templateIfEESt5tupleIJNSF_6TensorESK_SK_EERKSK_lbbbEUlllE0_EEPmJS9_EEE10hipError_tPvRmT3_T4_T5_T6_T7_T9_mT8_P12ihipStream_tbDpT10_ENKUlT_T0_E_clISt17integral_constantIbLb1EES19_IbLb0EEEEDaS15_S16_EUlS15_E_NS1_11comp_targetILNS1_3genE9ELNS1_11target_archE1100ELNS1_3gpuE3ELNS1_3repE0EEENS1_30default_config_static_selectorELNS0_4arch9wavefront6targetE0EEEvT1_
    .private_segment_fixed_size: 0
    .sgpr_count:     0
    .sgpr_spill_count: 0
    .symbol:         _ZN7rocprim17ROCPRIM_400000_NS6detail17trampoline_kernelINS0_14default_configENS1_25partition_config_selectorILNS1_17partition_subalgoE9EllbEEZZNS1_14partition_implILS5_9ELb0ES3_jPlS8_PNS0_10empty_typeENS0_5tupleIJS8_S9_EEENSB_IJS8_SA_EEENS0_18inequality_wrapperIZN2at6native12_GLOBAL__N_124unique_dim_cuda_templateIfEESt5tupleIJNSF_6TensorESK_SK_EERKSK_lbbbEUlllE0_EEPmJS9_EEE10hipError_tPvRmT3_T4_T5_T6_T7_T9_mT8_P12ihipStream_tbDpT10_ENKUlT_T0_E_clISt17integral_constantIbLb1EES19_IbLb0EEEEDaS15_S16_EUlS15_E_NS1_11comp_targetILNS1_3genE9ELNS1_11target_archE1100ELNS1_3gpuE3ELNS1_3repE0EEENS1_30default_config_static_selectorELNS0_4arch9wavefront6targetE0EEEvT1_.kd
    .uniform_work_group_size: 1
    .uses_dynamic_stack: false
    .vgpr_count:     0
    .vgpr_spill_count: 0
    .wavefront_size: 32
  - .args:
      - .offset:         0
        .size:           120
        .value_kind:     by_value
    .group_segment_fixed_size: 0
    .kernarg_segment_align: 8
    .kernarg_segment_size: 120
    .language:       OpenCL C
    .language_version:
      - 2
      - 0
    .max_flat_workgroup_size: 512
    .name:           _ZN7rocprim17ROCPRIM_400000_NS6detail17trampoline_kernelINS0_14default_configENS1_25partition_config_selectorILNS1_17partition_subalgoE9EllbEEZZNS1_14partition_implILS5_9ELb0ES3_jPlS8_PNS0_10empty_typeENS0_5tupleIJS8_S9_EEENSB_IJS8_SA_EEENS0_18inequality_wrapperIZN2at6native12_GLOBAL__N_124unique_dim_cuda_templateIfEESt5tupleIJNSF_6TensorESK_SK_EERKSK_lbbbEUlllE0_EEPmJS9_EEE10hipError_tPvRmT3_T4_T5_T6_T7_T9_mT8_P12ihipStream_tbDpT10_ENKUlT_T0_E_clISt17integral_constantIbLb1EES19_IbLb0EEEEDaS15_S16_EUlS15_E_NS1_11comp_targetILNS1_3genE8ELNS1_11target_archE1030ELNS1_3gpuE2ELNS1_3repE0EEENS1_30default_config_static_selectorELNS0_4arch9wavefront6targetE0EEEvT1_
    .private_segment_fixed_size: 0
    .sgpr_count:     0
    .sgpr_spill_count: 0
    .symbol:         _ZN7rocprim17ROCPRIM_400000_NS6detail17trampoline_kernelINS0_14default_configENS1_25partition_config_selectorILNS1_17partition_subalgoE9EllbEEZZNS1_14partition_implILS5_9ELb0ES3_jPlS8_PNS0_10empty_typeENS0_5tupleIJS8_S9_EEENSB_IJS8_SA_EEENS0_18inequality_wrapperIZN2at6native12_GLOBAL__N_124unique_dim_cuda_templateIfEESt5tupleIJNSF_6TensorESK_SK_EERKSK_lbbbEUlllE0_EEPmJS9_EEE10hipError_tPvRmT3_T4_T5_T6_T7_T9_mT8_P12ihipStream_tbDpT10_ENKUlT_T0_E_clISt17integral_constantIbLb1EES19_IbLb0EEEEDaS15_S16_EUlS15_E_NS1_11comp_targetILNS1_3genE8ELNS1_11target_archE1030ELNS1_3gpuE2ELNS1_3repE0EEENS1_30default_config_static_selectorELNS0_4arch9wavefront6targetE0EEEvT1_.kd
    .uniform_work_group_size: 1
    .uses_dynamic_stack: false
    .vgpr_count:     0
    .vgpr_spill_count: 0
    .wavefront_size: 32
  - .args:
      - .offset:         0
        .size:           136
        .value_kind:     by_value
    .group_segment_fixed_size: 5128
    .kernarg_segment_align: 8
    .kernarg_segment_size: 136
    .language:       OpenCL C
    .language_version:
      - 2
      - 0
    .max_flat_workgroup_size: 128
    .name:           _ZN7rocprim17ROCPRIM_400000_NS6detail17trampoline_kernelINS0_14default_configENS1_25partition_config_selectorILNS1_17partition_subalgoE9EllbEEZZNS1_14partition_implILS5_9ELb0ES3_jPlS8_PNS0_10empty_typeENS0_5tupleIJS8_S9_EEENSB_IJS8_SA_EEENS0_18inequality_wrapperIZN2at6native12_GLOBAL__N_124unique_dim_cuda_templateIfEESt5tupleIJNSF_6TensorESK_SK_EERKSK_lbbbEUlllE0_EEPmJS9_EEE10hipError_tPvRmT3_T4_T5_T6_T7_T9_mT8_P12ihipStream_tbDpT10_ENKUlT_T0_E_clISt17integral_constantIbLb0EES19_IbLb1EEEEDaS15_S16_EUlS15_E_NS1_11comp_targetILNS1_3genE0ELNS1_11target_archE4294967295ELNS1_3gpuE0ELNS1_3repE0EEENS1_30default_config_static_selectorELNS0_4arch9wavefront6targetE0EEEvT1_
    .private_segment_fixed_size: 0
    .sgpr_count:     38
    .sgpr_spill_count: 0
    .symbol:         _ZN7rocprim17ROCPRIM_400000_NS6detail17trampoline_kernelINS0_14default_configENS1_25partition_config_selectorILNS1_17partition_subalgoE9EllbEEZZNS1_14partition_implILS5_9ELb0ES3_jPlS8_PNS0_10empty_typeENS0_5tupleIJS8_S9_EEENSB_IJS8_SA_EEENS0_18inequality_wrapperIZN2at6native12_GLOBAL__N_124unique_dim_cuda_templateIfEESt5tupleIJNSF_6TensorESK_SK_EERKSK_lbbbEUlllE0_EEPmJS9_EEE10hipError_tPvRmT3_T4_T5_T6_T7_T9_mT8_P12ihipStream_tbDpT10_ENKUlT_T0_E_clISt17integral_constantIbLb0EES19_IbLb1EEEEDaS15_S16_EUlS15_E_NS1_11comp_targetILNS1_3genE0ELNS1_11target_archE4294967295ELNS1_3gpuE0ELNS1_3repE0EEENS1_30default_config_static_selectorELNS0_4arch9wavefront6targetE0EEEvT1_.kd
    .uniform_work_group_size: 1
    .uses_dynamic_stack: false
    .vgpr_count:     55
    .vgpr_spill_count: 0
    .wavefront_size: 32
  - .args:
      - .offset:         0
        .size:           136
        .value_kind:     by_value
    .group_segment_fixed_size: 0
    .kernarg_segment_align: 8
    .kernarg_segment_size: 136
    .language:       OpenCL C
    .language_version:
      - 2
      - 0
    .max_flat_workgroup_size: 512
    .name:           _ZN7rocprim17ROCPRIM_400000_NS6detail17trampoline_kernelINS0_14default_configENS1_25partition_config_selectorILNS1_17partition_subalgoE9EllbEEZZNS1_14partition_implILS5_9ELb0ES3_jPlS8_PNS0_10empty_typeENS0_5tupleIJS8_S9_EEENSB_IJS8_SA_EEENS0_18inequality_wrapperIZN2at6native12_GLOBAL__N_124unique_dim_cuda_templateIfEESt5tupleIJNSF_6TensorESK_SK_EERKSK_lbbbEUlllE0_EEPmJS9_EEE10hipError_tPvRmT3_T4_T5_T6_T7_T9_mT8_P12ihipStream_tbDpT10_ENKUlT_T0_E_clISt17integral_constantIbLb0EES19_IbLb1EEEEDaS15_S16_EUlS15_E_NS1_11comp_targetILNS1_3genE5ELNS1_11target_archE942ELNS1_3gpuE9ELNS1_3repE0EEENS1_30default_config_static_selectorELNS0_4arch9wavefront6targetE0EEEvT1_
    .private_segment_fixed_size: 0
    .sgpr_count:     0
    .sgpr_spill_count: 0
    .symbol:         _ZN7rocprim17ROCPRIM_400000_NS6detail17trampoline_kernelINS0_14default_configENS1_25partition_config_selectorILNS1_17partition_subalgoE9EllbEEZZNS1_14partition_implILS5_9ELb0ES3_jPlS8_PNS0_10empty_typeENS0_5tupleIJS8_S9_EEENSB_IJS8_SA_EEENS0_18inequality_wrapperIZN2at6native12_GLOBAL__N_124unique_dim_cuda_templateIfEESt5tupleIJNSF_6TensorESK_SK_EERKSK_lbbbEUlllE0_EEPmJS9_EEE10hipError_tPvRmT3_T4_T5_T6_T7_T9_mT8_P12ihipStream_tbDpT10_ENKUlT_T0_E_clISt17integral_constantIbLb0EES19_IbLb1EEEEDaS15_S16_EUlS15_E_NS1_11comp_targetILNS1_3genE5ELNS1_11target_archE942ELNS1_3gpuE9ELNS1_3repE0EEENS1_30default_config_static_selectorELNS0_4arch9wavefront6targetE0EEEvT1_.kd
    .uniform_work_group_size: 1
    .uses_dynamic_stack: false
    .vgpr_count:     0
    .vgpr_spill_count: 0
    .wavefront_size: 32
  - .args:
      - .offset:         0
        .size:           136
        .value_kind:     by_value
    .group_segment_fixed_size: 0
    .kernarg_segment_align: 8
    .kernarg_segment_size: 136
    .language:       OpenCL C
    .language_version:
      - 2
      - 0
    .max_flat_workgroup_size: 128
    .name:           _ZN7rocprim17ROCPRIM_400000_NS6detail17trampoline_kernelINS0_14default_configENS1_25partition_config_selectorILNS1_17partition_subalgoE9EllbEEZZNS1_14partition_implILS5_9ELb0ES3_jPlS8_PNS0_10empty_typeENS0_5tupleIJS8_S9_EEENSB_IJS8_SA_EEENS0_18inequality_wrapperIZN2at6native12_GLOBAL__N_124unique_dim_cuda_templateIfEESt5tupleIJNSF_6TensorESK_SK_EERKSK_lbbbEUlllE0_EEPmJS9_EEE10hipError_tPvRmT3_T4_T5_T6_T7_T9_mT8_P12ihipStream_tbDpT10_ENKUlT_T0_E_clISt17integral_constantIbLb0EES19_IbLb1EEEEDaS15_S16_EUlS15_E_NS1_11comp_targetILNS1_3genE4ELNS1_11target_archE910ELNS1_3gpuE8ELNS1_3repE0EEENS1_30default_config_static_selectorELNS0_4arch9wavefront6targetE0EEEvT1_
    .private_segment_fixed_size: 0
    .sgpr_count:     0
    .sgpr_spill_count: 0
    .symbol:         _ZN7rocprim17ROCPRIM_400000_NS6detail17trampoline_kernelINS0_14default_configENS1_25partition_config_selectorILNS1_17partition_subalgoE9EllbEEZZNS1_14partition_implILS5_9ELb0ES3_jPlS8_PNS0_10empty_typeENS0_5tupleIJS8_S9_EEENSB_IJS8_SA_EEENS0_18inequality_wrapperIZN2at6native12_GLOBAL__N_124unique_dim_cuda_templateIfEESt5tupleIJNSF_6TensorESK_SK_EERKSK_lbbbEUlllE0_EEPmJS9_EEE10hipError_tPvRmT3_T4_T5_T6_T7_T9_mT8_P12ihipStream_tbDpT10_ENKUlT_T0_E_clISt17integral_constantIbLb0EES19_IbLb1EEEEDaS15_S16_EUlS15_E_NS1_11comp_targetILNS1_3genE4ELNS1_11target_archE910ELNS1_3gpuE8ELNS1_3repE0EEENS1_30default_config_static_selectorELNS0_4arch9wavefront6targetE0EEEvT1_.kd
    .uniform_work_group_size: 1
    .uses_dynamic_stack: false
    .vgpr_count:     0
    .vgpr_spill_count: 0
    .wavefront_size: 32
  - .args:
      - .offset:         0
        .size:           136
        .value_kind:     by_value
    .group_segment_fixed_size: 0
    .kernarg_segment_align: 8
    .kernarg_segment_size: 136
    .language:       OpenCL C
    .language_version:
      - 2
      - 0
    .max_flat_workgroup_size: 128
    .name:           _ZN7rocprim17ROCPRIM_400000_NS6detail17trampoline_kernelINS0_14default_configENS1_25partition_config_selectorILNS1_17partition_subalgoE9EllbEEZZNS1_14partition_implILS5_9ELb0ES3_jPlS8_PNS0_10empty_typeENS0_5tupleIJS8_S9_EEENSB_IJS8_SA_EEENS0_18inequality_wrapperIZN2at6native12_GLOBAL__N_124unique_dim_cuda_templateIfEESt5tupleIJNSF_6TensorESK_SK_EERKSK_lbbbEUlllE0_EEPmJS9_EEE10hipError_tPvRmT3_T4_T5_T6_T7_T9_mT8_P12ihipStream_tbDpT10_ENKUlT_T0_E_clISt17integral_constantIbLb0EES19_IbLb1EEEEDaS15_S16_EUlS15_E_NS1_11comp_targetILNS1_3genE3ELNS1_11target_archE908ELNS1_3gpuE7ELNS1_3repE0EEENS1_30default_config_static_selectorELNS0_4arch9wavefront6targetE0EEEvT1_
    .private_segment_fixed_size: 0
    .sgpr_count:     0
    .sgpr_spill_count: 0
    .symbol:         _ZN7rocprim17ROCPRIM_400000_NS6detail17trampoline_kernelINS0_14default_configENS1_25partition_config_selectorILNS1_17partition_subalgoE9EllbEEZZNS1_14partition_implILS5_9ELb0ES3_jPlS8_PNS0_10empty_typeENS0_5tupleIJS8_S9_EEENSB_IJS8_SA_EEENS0_18inequality_wrapperIZN2at6native12_GLOBAL__N_124unique_dim_cuda_templateIfEESt5tupleIJNSF_6TensorESK_SK_EERKSK_lbbbEUlllE0_EEPmJS9_EEE10hipError_tPvRmT3_T4_T5_T6_T7_T9_mT8_P12ihipStream_tbDpT10_ENKUlT_T0_E_clISt17integral_constantIbLb0EES19_IbLb1EEEEDaS15_S16_EUlS15_E_NS1_11comp_targetILNS1_3genE3ELNS1_11target_archE908ELNS1_3gpuE7ELNS1_3repE0EEENS1_30default_config_static_selectorELNS0_4arch9wavefront6targetE0EEEvT1_.kd
    .uniform_work_group_size: 1
    .uses_dynamic_stack: false
    .vgpr_count:     0
    .vgpr_spill_count: 0
    .wavefront_size: 32
  - .args:
      - .offset:         0
        .size:           136
        .value_kind:     by_value
    .group_segment_fixed_size: 0
    .kernarg_segment_align: 8
    .kernarg_segment_size: 136
    .language:       OpenCL C
    .language_version:
      - 2
      - 0
    .max_flat_workgroup_size: 192
    .name:           _ZN7rocprim17ROCPRIM_400000_NS6detail17trampoline_kernelINS0_14default_configENS1_25partition_config_selectorILNS1_17partition_subalgoE9EllbEEZZNS1_14partition_implILS5_9ELb0ES3_jPlS8_PNS0_10empty_typeENS0_5tupleIJS8_S9_EEENSB_IJS8_SA_EEENS0_18inequality_wrapperIZN2at6native12_GLOBAL__N_124unique_dim_cuda_templateIfEESt5tupleIJNSF_6TensorESK_SK_EERKSK_lbbbEUlllE0_EEPmJS9_EEE10hipError_tPvRmT3_T4_T5_T6_T7_T9_mT8_P12ihipStream_tbDpT10_ENKUlT_T0_E_clISt17integral_constantIbLb0EES19_IbLb1EEEEDaS15_S16_EUlS15_E_NS1_11comp_targetILNS1_3genE2ELNS1_11target_archE906ELNS1_3gpuE6ELNS1_3repE0EEENS1_30default_config_static_selectorELNS0_4arch9wavefront6targetE0EEEvT1_
    .private_segment_fixed_size: 0
    .sgpr_count:     0
    .sgpr_spill_count: 0
    .symbol:         _ZN7rocprim17ROCPRIM_400000_NS6detail17trampoline_kernelINS0_14default_configENS1_25partition_config_selectorILNS1_17partition_subalgoE9EllbEEZZNS1_14partition_implILS5_9ELb0ES3_jPlS8_PNS0_10empty_typeENS0_5tupleIJS8_S9_EEENSB_IJS8_SA_EEENS0_18inequality_wrapperIZN2at6native12_GLOBAL__N_124unique_dim_cuda_templateIfEESt5tupleIJNSF_6TensorESK_SK_EERKSK_lbbbEUlllE0_EEPmJS9_EEE10hipError_tPvRmT3_T4_T5_T6_T7_T9_mT8_P12ihipStream_tbDpT10_ENKUlT_T0_E_clISt17integral_constantIbLb0EES19_IbLb1EEEEDaS15_S16_EUlS15_E_NS1_11comp_targetILNS1_3genE2ELNS1_11target_archE906ELNS1_3gpuE6ELNS1_3repE0EEENS1_30default_config_static_selectorELNS0_4arch9wavefront6targetE0EEEvT1_.kd
    .uniform_work_group_size: 1
    .uses_dynamic_stack: false
    .vgpr_count:     0
    .vgpr_spill_count: 0
    .wavefront_size: 32
  - .args:
      - .offset:         0
        .size:           136
        .value_kind:     by_value
    .group_segment_fixed_size: 0
    .kernarg_segment_align: 8
    .kernarg_segment_size: 136
    .language:       OpenCL C
    .language_version:
      - 2
      - 0
    .max_flat_workgroup_size: 384
    .name:           _ZN7rocprim17ROCPRIM_400000_NS6detail17trampoline_kernelINS0_14default_configENS1_25partition_config_selectorILNS1_17partition_subalgoE9EllbEEZZNS1_14partition_implILS5_9ELb0ES3_jPlS8_PNS0_10empty_typeENS0_5tupleIJS8_S9_EEENSB_IJS8_SA_EEENS0_18inequality_wrapperIZN2at6native12_GLOBAL__N_124unique_dim_cuda_templateIfEESt5tupleIJNSF_6TensorESK_SK_EERKSK_lbbbEUlllE0_EEPmJS9_EEE10hipError_tPvRmT3_T4_T5_T6_T7_T9_mT8_P12ihipStream_tbDpT10_ENKUlT_T0_E_clISt17integral_constantIbLb0EES19_IbLb1EEEEDaS15_S16_EUlS15_E_NS1_11comp_targetILNS1_3genE10ELNS1_11target_archE1200ELNS1_3gpuE4ELNS1_3repE0EEENS1_30default_config_static_selectorELNS0_4arch9wavefront6targetE0EEEvT1_
    .private_segment_fixed_size: 0
    .sgpr_count:     0
    .sgpr_spill_count: 0
    .symbol:         _ZN7rocprim17ROCPRIM_400000_NS6detail17trampoline_kernelINS0_14default_configENS1_25partition_config_selectorILNS1_17partition_subalgoE9EllbEEZZNS1_14partition_implILS5_9ELb0ES3_jPlS8_PNS0_10empty_typeENS0_5tupleIJS8_S9_EEENSB_IJS8_SA_EEENS0_18inequality_wrapperIZN2at6native12_GLOBAL__N_124unique_dim_cuda_templateIfEESt5tupleIJNSF_6TensorESK_SK_EERKSK_lbbbEUlllE0_EEPmJS9_EEE10hipError_tPvRmT3_T4_T5_T6_T7_T9_mT8_P12ihipStream_tbDpT10_ENKUlT_T0_E_clISt17integral_constantIbLb0EES19_IbLb1EEEEDaS15_S16_EUlS15_E_NS1_11comp_targetILNS1_3genE10ELNS1_11target_archE1200ELNS1_3gpuE4ELNS1_3repE0EEENS1_30default_config_static_selectorELNS0_4arch9wavefront6targetE0EEEvT1_.kd
    .uniform_work_group_size: 1
    .uses_dynamic_stack: false
    .vgpr_count:     0
    .vgpr_spill_count: 0
    .wavefront_size: 32
  - .args:
      - .offset:         0
        .size:           136
        .value_kind:     by_value
    .group_segment_fixed_size: 0
    .kernarg_segment_align: 8
    .kernarg_segment_size: 136
    .language:       OpenCL C
    .language_version:
      - 2
      - 0
    .max_flat_workgroup_size: 512
    .name:           _ZN7rocprim17ROCPRIM_400000_NS6detail17trampoline_kernelINS0_14default_configENS1_25partition_config_selectorILNS1_17partition_subalgoE9EllbEEZZNS1_14partition_implILS5_9ELb0ES3_jPlS8_PNS0_10empty_typeENS0_5tupleIJS8_S9_EEENSB_IJS8_SA_EEENS0_18inequality_wrapperIZN2at6native12_GLOBAL__N_124unique_dim_cuda_templateIfEESt5tupleIJNSF_6TensorESK_SK_EERKSK_lbbbEUlllE0_EEPmJS9_EEE10hipError_tPvRmT3_T4_T5_T6_T7_T9_mT8_P12ihipStream_tbDpT10_ENKUlT_T0_E_clISt17integral_constantIbLb0EES19_IbLb1EEEEDaS15_S16_EUlS15_E_NS1_11comp_targetILNS1_3genE9ELNS1_11target_archE1100ELNS1_3gpuE3ELNS1_3repE0EEENS1_30default_config_static_selectorELNS0_4arch9wavefront6targetE0EEEvT1_
    .private_segment_fixed_size: 0
    .sgpr_count:     0
    .sgpr_spill_count: 0
    .symbol:         _ZN7rocprim17ROCPRIM_400000_NS6detail17trampoline_kernelINS0_14default_configENS1_25partition_config_selectorILNS1_17partition_subalgoE9EllbEEZZNS1_14partition_implILS5_9ELb0ES3_jPlS8_PNS0_10empty_typeENS0_5tupleIJS8_S9_EEENSB_IJS8_SA_EEENS0_18inequality_wrapperIZN2at6native12_GLOBAL__N_124unique_dim_cuda_templateIfEESt5tupleIJNSF_6TensorESK_SK_EERKSK_lbbbEUlllE0_EEPmJS9_EEE10hipError_tPvRmT3_T4_T5_T6_T7_T9_mT8_P12ihipStream_tbDpT10_ENKUlT_T0_E_clISt17integral_constantIbLb0EES19_IbLb1EEEEDaS15_S16_EUlS15_E_NS1_11comp_targetILNS1_3genE9ELNS1_11target_archE1100ELNS1_3gpuE3ELNS1_3repE0EEENS1_30default_config_static_selectorELNS0_4arch9wavefront6targetE0EEEvT1_.kd
    .uniform_work_group_size: 1
    .uses_dynamic_stack: false
    .vgpr_count:     0
    .vgpr_spill_count: 0
    .wavefront_size: 32
  - .args:
      - .offset:         0
        .size:           136
        .value_kind:     by_value
    .group_segment_fixed_size: 0
    .kernarg_segment_align: 8
    .kernarg_segment_size: 136
    .language:       OpenCL C
    .language_version:
      - 2
      - 0
    .max_flat_workgroup_size: 512
    .name:           _ZN7rocprim17ROCPRIM_400000_NS6detail17trampoline_kernelINS0_14default_configENS1_25partition_config_selectorILNS1_17partition_subalgoE9EllbEEZZNS1_14partition_implILS5_9ELb0ES3_jPlS8_PNS0_10empty_typeENS0_5tupleIJS8_S9_EEENSB_IJS8_SA_EEENS0_18inequality_wrapperIZN2at6native12_GLOBAL__N_124unique_dim_cuda_templateIfEESt5tupleIJNSF_6TensorESK_SK_EERKSK_lbbbEUlllE0_EEPmJS9_EEE10hipError_tPvRmT3_T4_T5_T6_T7_T9_mT8_P12ihipStream_tbDpT10_ENKUlT_T0_E_clISt17integral_constantIbLb0EES19_IbLb1EEEEDaS15_S16_EUlS15_E_NS1_11comp_targetILNS1_3genE8ELNS1_11target_archE1030ELNS1_3gpuE2ELNS1_3repE0EEENS1_30default_config_static_selectorELNS0_4arch9wavefront6targetE0EEEvT1_
    .private_segment_fixed_size: 0
    .sgpr_count:     0
    .sgpr_spill_count: 0
    .symbol:         _ZN7rocprim17ROCPRIM_400000_NS6detail17trampoline_kernelINS0_14default_configENS1_25partition_config_selectorILNS1_17partition_subalgoE9EllbEEZZNS1_14partition_implILS5_9ELb0ES3_jPlS8_PNS0_10empty_typeENS0_5tupleIJS8_S9_EEENSB_IJS8_SA_EEENS0_18inequality_wrapperIZN2at6native12_GLOBAL__N_124unique_dim_cuda_templateIfEESt5tupleIJNSF_6TensorESK_SK_EERKSK_lbbbEUlllE0_EEPmJS9_EEE10hipError_tPvRmT3_T4_T5_T6_T7_T9_mT8_P12ihipStream_tbDpT10_ENKUlT_T0_E_clISt17integral_constantIbLb0EES19_IbLb1EEEEDaS15_S16_EUlS15_E_NS1_11comp_targetILNS1_3genE8ELNS1_11target_archE1030ELNS1_3gpuE2ELNS1_3repE0EEENS1_30default_config_static_selectorELNS0_4arch9wavefront6targetE0EEEvT1_.kd
    .uniform_work_group_size: 1
    .uses_dynamic_stack: false
    .vgpr_count:     0
    .vgpr_spill_count: 0
    .wavefront_size: 32
  - .args:
      - .offset:         0
        .size:           72
        .value_kind:     by_value
      - .offset:         72
        .size:           4
        .value_kind:     hidden_block_count_x
      - .offset:         76
        .size:           4
        .value_kind:     hidden_block_count_y
      - .offset:         80
        .size:           4
        .value_kind:     hidden_block_count_z
      - .offset:         84
        .size:           2
        .value_kind:     hidden_group_size_x
      - .offset:         86
        .size:           2
        .value_kind:     hidden_group_size_y
      - .offset:         88
        .size:           2
        .value_kind:     hidden_group_size_z
      - .offset:         90
        .size:           2
        .value_kind:     hidden_remainder_x
      - .offset:         92
        .size:           2
        .value_kind:     hidden_remainder_y
      - .offset:         94
        .size:           2
        .value_kind:     hidden_remainder_z
      - .offset:         112
        .size:           8
        .value_kind:     hidden_global_offset_x
      - .offset:         120
        .size:           8
        .value_kind:     hidden_global_offset_y
      - .offset:         128
        .size:           8
        .value_kind:     hidden_global_offset_z
      - .offset:         136
        .size:           2
        .value_kind:     hidden_grid_dims
    .group_segment_fixed_size: 16896
    .kernarg_segment_align: 8
    .kernarg_segment_size: 328
    .language:       OpenCL C
    .language_version:
      - 2
      - 0
    .max_flat_workgroup_size: 256
    .name:           _ZN7rocprim17ROCPRIM_400000_NS6detail17trampoline_kernelINS0_14default_configENS1_37merge_sort_block_sort_config_selectorIlNS0_10empty_typeEEEZNS1_21merge_sort_block_sortIS3_PlS8_PS5_S9_ZN2at6native12_GLOBAL__N_124unique_dim_cuda_templateIbEESt5tupleIJNSA_6TensorESF_SF_EERKSF_lbbbEUlllE_EE10hipError_tT0_T1_T2_T3_mRjT4_P12ihipStream_tbNS1_7vsmem_tEEUlT_E_NS1_11comp_targetILNS1_3genE0ELNS1_11target_archE4294967295ELNS1_3gpuE0ELNS1_3repE0EEENS1_30default_config_static_selectorELNS0_4arch9wavefront6targetE0EEEvSM_
    .private_segment_fixed_size: 0
    .sgpr_count:     43
    .sgpr_spill_count: 0
    .symbol:         _ZN7rocprim17ROCPRIM_400000_NS6detail17trampoline_kernelINS0_14default_configENS1_37merge_sort_block_sort_config_selectorIlNS0_10empty_typeEEEZNS1_21merge_sort_block_sortIS3_PlS8_PS5_S9_ZN2at6native12_GLOBAL__N_124unique_dim_cuda_templateIbEESt5tupleIJNSA_6TensorESF_SF_EERKSF_lbbbEUlllE_EE10hipError_tT0_T1_T2_T3_mRjT4_P12ihipStream_tbNS1_7vsmem_tEEUlT_E_NS1_11comp_targetILNS1_3genE0ELNS1_11target_archE4294967295ELNS1_3gpuE0ELNS1_3repE0EEENS1_30default_config_static_selectorELNS0_4arch9wavefront6targetE0EEEvSM_.kd
    .uniform_work_group_size: 1
    .uses_dynamic_stack: false
    .vgpr_count:     57
    .vgpr_spill_count: 0
    .wavefront_size: 32
  - .args:
      - .offset:         0
        .size:           72
        .value_kind:     by_value
    .group_segment_fixed_size: 0
    .kernarg_segment_align: 8
    .kernarg_segment_size: 72
    .language:       OpenCL C
    .language_version:
      - 2
      - 0
    .max_flat_workgroup_size: 256
    .name:           _ZN7rocprim17ROCPRIM_400000_NS6detail17trampoline_kernelINS0_14default_configENS1_37merge_sort_block_sort_config_selectorIlNS0_10empty_typeEEEZNS1_21merge_sort_block_sortIS3_PlS8_PS5_S9_ZN2at6native12_GLOBAL__N_124unique_dim_cuda_templateIbEESt5tupleIJNSA_6TensorESF_SF_EERKSF_lbbbEUlllE_EE10hipError_tT0_T1_T2_T3_mRjT4_P12ihipStream_tbNS1_7vsmem_tEEUlT_E_NS1_11comp_targetILNS1_3genE5ELNS1_11target_archE942ELNS1_3gpuE9ELNS1_3repE0EEENS1_30default_config_static_selectorELNS0_4arch9wavefront6targetE0EEEvSM_
    .private_segment_fixed_size: 0
    .sgpr_count:     0
    .sgpr_spill_count: 0
    .symbol:         _ZN7rocprim17ROCPRIM_400000_NS6detail17trampoline_kernelINS0_14default_configENS1_37merge_sort_block_sort_config_selectorIlNS0_10empty_typeEEEZNS1_21merge_sort_block_sortIS3_PlS8_PS5_S9_ZN2at6native12_GLOBAL__N_124unique_dim_cuda_templateIbEESt5tupleIJNSA_6TensorESF_SF_EERKSF_lbbbEUlllE_EE10hipError_tT0_T1_T2_T3_mRjT4_P12ihipStream_tbNS1_7vsmem_tEEUlT_E_NS1_11comp_targetILNS1_3genE5ELNS1_11target_archE942ELNS1_3gpuE9ELNS1_3repE0EEENS1_30default_config_static_selectorELNS0_4arch9wavefront6targetE0EEEvSM_.kd
    .uniform_work_group_size: 1
    .uses_dynamic_stack: false
    .vgpr_count:     0
    .vgpr_spill_count: 0
    .wavefront_size: 32
  - .args:
      - .offset:         0
        .size:           72
        .value_kind:     by_value
    .group_segment_fixed_size: 0
    .kernarg_segment_align: 8
    .kernarg_segment_size: 72
    .language:       OpenCL C
    .language_version:
      - 2
      - 0
    .max_flat_workgroup_size: 256
    .name:           _ZN7rocprim17ROCPRIM_400000_NS6detail17trampoline_kernelINS0_14default_configENS1_37merge_sort_block_sort_config_selectorIlNS0_10empty_typeEEEZNS1_21merge_sort_block_sortIS3_PlS8_PS5_S9_ZN2at6native12_GLOBAL__N_124unique_dim_cuda_templateIbEESt5tupleIJNSA_6TensorESF_SF_EERKSF_lbbbEUlllE_EE10hipError_tT0_T1_T2_T3_mRjT4_P12ihipStream_tbNS1_7vsmem_tEEUlT_E_NS1_11comp_targetILNS1_3genE4ELNS1_11target_archE910ELNS1_3gpuE8ELNS1_3repE0EEENS1_30default_config_static_selectorELNS0_4arch9wavefront6targetE0EEEvSM_
    .private_segment_fixed_size: 0
    .sgpr_count:     0
    .sgpr_spill_count: 0
    .symbol:         _ZN7rocprim17ROCPRIM_400000_NS6detail17trampoline_kernelINS0_14default_configENS1_37merge_sort_block_sort_config_selectorIlNS0_10empty_typeEEEZNS1_21merge_sort_block_sortIS3_PlS8_PS5_S9_ZN2at6native12_GLOBAL__N_124unique_dim_cuda_templateIbEESt5tupleIJNSA_6TensorESF_SF_EERKSF_lbbbEUlllE_EE10hipError_tT0_T1_T2_T3_mRjT4_P12ihipStream_tbNS1_7vsmem_tEEUlT_E_NS1_11comp_targetILNS1_3genE4ELNS1_11target_archE910ELNS1_3gpuE8ELNS1_3repE0EEENS1_30default_config_static_selectorELNS0_4arch9wavefront6targetE0EEEvSM_.kd
    .uniform_work_group_size: 1
    .uses_dynamic_stack: false
    .vgpr_count:     0
    .vgpr_spill_count: 0
    .wavefront_size: 32
  - .args:
      - .offset:         0
        .size:           72
        .value_kind:     by_value
    .group_segment_fixed_size: 0
    .kernarg_segment_align: 8
    .kernarg_segment_size: 72
    .language:       OpenCL C
    .language_version:
      - 2
      - 0
    .max_flat_workgroup_size: 256
    .name:           _ZN7rocprim17ROCPRIM_400000_NS6detail17trampoline_kernelINS0_14default_configENS1_37merge_sort_block_sort_config_selectorIlNS0_10empty_typeEEEZNS1_21merge_sort_block_sortIS3_PlS8_PS5_S9_ZN2at6native12_GLOBAL__N_124unique_dim_cuda_templateIbEESt5tupleIJNSA_6TensorESF_SF_EERKSF_lbbbEUlllE_EE10hipError_tT0_T1_T2_T3_mRjT4_P12ihipStream_tbNS1_7vsmem_tEEUlT_E_NS1_11comp_targetILNS1_3genE3ELNS1_11target_archE908ELNS1_3gpuE7ELNS1_3repE0EEENS1_30default_config_static_selectorELNS0_4arch9wavefront6targetE0EEEvSM_
    .private_segment_fixed_size: 0
    .sgpr_count:     0
    .sgpr_spill_count: 0
    .symbol:         _ZN7rocprim17ROCPRIM_400000_NS6detail17trampoline_kernelINS0_14default_configENS1_37merge_sort_block_sort_config_selectorIlNS0_10empty_typeEEEZNS1_21merge_sort_block_sortIS3_PlS8_PS5_S9_ZN2at6native12_GLOBAL__N_124unique_dim_cuda_templateIbEESt5tupleIJNSA_6TensorESF_SF_EERKSF_lbbbEUlllE_EE10hipError_tT0_T1_T2_T3_mRjT4_P12ihipStream_tbNS1_7vsmem_tEEUlT_E_NS1_11comp_targetILNS1_3genE3ELNS1_11target_archE908ELNS1_3gpuE7ELNS1_3repE0EEENS1_30default_config_static_selectorELNS0_4arch9wavefront6targetE0EEEvSM_.kd
    .uniform_work_group_size: 1
    .uses_dynamic_stack: false
    .vgpr_count:     0
    .vgpr_spill_count: 0
    .wavefront_size: 32
  - .args:
      - .offset:         0
        .size:           72
        .value_kind:     by_value
    .group_segment_fixed_size: 0
    .kernarg_segment_align: 8
    .kernarg_segment_size: 72
    .language:       OpenCL C
    .language_version:
      - 2
      - 0
    .max_flat_workgroup_size: 256
    .name:           _ZN7rocprim17ROCPRIM_400000_NS6detail17trampoline_kernelINS0_14default_configENS1_37merge_sort_block_sort_config_selectorIlNS0_10empty_typeEEEZNS1_21merge_sort_block_sortIS3_PlS8_PS5_S9_ZN2at6native12_GLOBAL__N_124unique_dim_cuda_templateIbEESt5tupleIJNSA_6TensorESF_SF_EERKSF_lbbbEUlllE_EE10hipError_tT0_T1_T2_T3_mRjT4_P12ihipStream_tbNS1_7vsmem_tEEUlT_E_NS1_11comp_targetILNS1_3genE2ELNS1_11target_archE906ELNS1_3gpuE6ELNS1_3repE0EEENS1_30default_config_static_selectorELNS0_4arch9wavefront6targetE0EEEvSM_
    .private_segment_fixed_size: 0
    .sgpr_count:     0
    .sgpr_spill_count: 0
    .symbol:         _ZN7rocprim17ROCPRIM_400000_NS6detail17trampoline_kernelINS0_14default_configENS1_37merge_sort_block_sort_config_selectorIlNS0_10empty_typeEEEZNS1_21merge_sort_block_sortIS3_PlS8_PS5_S9_ZN2at6native12_GLOBAL__N_124unique_dim_cuda_templateIbEESt5tupleIJNSA_6TensorESF_SF_EERKSF_lbbbEUlllE_EE10hipError_tT0_T1_T2_T3_mRjT4_P12ihipStream_tbNS1_7vsmem_tEEUlT_E_NS1_11comp_targetILNS1_3genE2ELNS1_11target_archE906ELNS1_3gpuE6ELNS1_3repE0EEENS1_30default_config_static_selectorELNS0_4arch9wavefront6targetE0EEEvSM_.kd
    .uniform_work_group_size: 1
    .uses_dynamic_stack: false
    .vgpr_count:     0
    .vgpr_spill_count: 0
    .wavefront_size: 32
  - .args:
      - .offset:         0
        .size:           72
        .value_kind:     by_value
    .group_segment_fixed_size: 0
    .kernarg_segment_align: 8
    .kernarg_segment_size: 72
    .language:       OpenCL C
    .language_version:
      - 2
      - 0
    .max_flat_workgroup_size: 256
    .name:           _ZN7rocprim17ROCPRIM_400000_NS6detail17trampoline_kernelINS0_14default_configENS1_37merge_sort_block_sort_config_selectorIlNS0_10empty_typeEEEZNS1_21merge_sort_block_sortIS3_PlS8_PS5_S9_ZN2at6native12_GLOBAL__N_124unique_dim_cuda_templateIbEESt5tupleIJNSA_6TensorESF_SF_EERKSF_lbbbEUlllE_EE10hipError_tT0_T1_T2_T3_mRjT4_P12ihipStream_tbNS1_7vsmem_tEEUlT_E_NS1_11comp_targetILNS1_3genE10ELNS1_11target_archE1201ELNS1_3gpuE5ELNS1_3repE0EEENS1_30default_config_static_selectorELNS0_4arch9wavefront6targetE0EEEvSM_
    .private_segment_fixed_size: 0
    .sgpr_count:     0
    .sgpr_spill_count: 0
    .symbol:         _ZN7rocprim17ROCPRIM_400000_NS6detail17trampoline_kernelINS0_14default_configENS1_37merge_sort_block_sort_config_selectorIlNS0_10empty_typeEEEZNS1_21merge_sort_block_sortIS3_PlS8_PS5_S9_ZN2at6native12_GLOBAL__N_124unique_dim_cuda_templateIbEESt5tupleIJNSA_6TensorESF_SF_EERKSF_lbbbEUlllE_EE10hipError_tT0_T1_T2_T3_mRjT4_P12ihipStream_tbNS1_7vsmem_tEEUlT_E_NS1_11comp_targetILNS1_3genE10ELNS1_11target_archE1201ELNS1_3gpuE5ELNS1_3repE0EEENS1_30default_config_static_selectorELNS0_4arch9wavefront6targetE0EEEvSM_.kd
    .uniform_work_group_size: 1
    .uses_dynamic_stack: false
    .vgpr_count:     0
    .vgpr_spill_count: 0
    .wavefront_size: 32
  - .args:
      - .offset:         0
        .size:           72
        .value_kind:     by_value
    .group_segment_fixed_size: 0
    .kernarg_segment_align: 8
    .kernarg_segment_size: 72
    .language:       OpenCL C
    .language_version:
      - 2
      - 0
    .max_flat_workgroup_size: 512
    .name:           _ZN7rocprim17ROCPRIM_400000_NS6detail17trampoline_kernelINS0_14default_configENS1_37merge_sort_block_sort_config_selectorIlNS0_10empty_typeEEEZNS1_21merge_sort_block_sortIS3_PlS8_PS5_S9_ZN2at6native12_GLOBAL__N_124unique_dim_cuda_templateIbEESt5tupleIJNSA_6TensorESF_SF_EERKSF_lbbbEUlllE_EE10hipError_tT0_T1_T2_T3_mRjT4_P12ihipStream_tbNS1_7vsmem_tEEUlT_E_NS1_11comp_targetILNS1_3genE10ELNS1_11target_archE1200ELNS1_3gpuE4ELNS1_3repE0EEENS1_30default_config_static_selectorELNS0_4arch9wavefront6targetE0EEEvSM_
    .private_segment_fixed_size: 0
    .sgpr_count:     0
    .sgpr_spill_count: 0
    .symbol:         _ZN7rocprim17ROCPRIM_400000_NS6detail17trampoline_kernelINS0_14default_configENS1_37merge_sort_block_sort_config_selectorIlNS0_10empty_typeEEEZNS1_21merge_sort_block_sortIS3_PlS8_PS5_S9_ZN2at6native12_GLOBAL__N_124unique_dim_cuda_templateIbEESt5tupleIJNSA_6TensorESF_SF_EERKSF_lbbbEUlllE_EE10hipError_tT0_T1_T2_T3_mRjT4_P12ihipStream_tbNS1_7vsmem_tEEUlT_E_NS1_11comp_targetILNS1_3genE10ELNS1_11target_archE1200ELNS1_3gpuE4ELNS1_3repE0EEENS1_30default_config_static_selectorELNS0_4arch9wavefront6targetE0EEEvSM_.kd
    .uniform_work_group_size: 1
    .uses_dynamic_stack: false
    .vgpr_count:     0
    .vgpr_spill_count: 0
    .wavefront_size: 32
  - .args:
      - .offset:         0
        .size:           72
        .value_kind:     by_value
    .group_segment_fixed_size: 0
    .kernarg_segment_align: 8
    .kernarg_segment_size: 72
    .language:       OpenCL C
    .language_version:
      - 2
      - 0
    .max_flat_workgroup_size: 256
    .name:           _ZN7rocprim17ROCPRIM_400000_NS6detail17trampoline_kernelINS0_14default_configENS1_37merge_sort_block_sort_config_selectorIlNS0_10empty_typeEEEZNS1_21merge_sort_block_sortIS3_PlS8_PS5_S9_ZN2at6native12_GLOBAL__N_124unique_dim_cuda_templateIbEESt5tupleIJNSA_6TensorESF_SF_EERKSF_lbbbEUlllE_EE10hipError_tT0_T1_T2_T3_mRjT4_P12ihipStream_tbNS1_7vsmem_tEEUlT_E_NS1_11comp_targetILNS1_3genE9ELNS1_11target_archE1100ELNS1_3gpuE3ELNS1_3repE0EEENS1_30default_config_static_selectorELNS0_4arch9wavefront6targetE0EEEvSM_
    .private_segment_fixed_size: 0
    .sgpr_count:     0
    .sgpr_spill_count: 0
    .symbol:         _ZN7rocprim17ROCPRIM_400000_NS6detail17trampoline_kernelINS0_14default_configENS1_37merge_sort_block_sort_config_selectorIlNS0_10empty_typeEEEZNS1_21merge_sort_block_sortIS3_PlS8_PS5_S9_ZN2at6native12_GLOBAL__N_124unique_dim_cuda_templateIbEESt5tupleIJNSA_6TensorESF_SF_EERKSF_lbbbEUlllE_EE10hipError_tT0_T1_T2_T3_mRjT4_P12ihipStream_tbNS1_7vsmem_tEEUlT_E_NS1_11comp_targetILNS1_3genE9ELNS1_11target_archE1100ELNS1_3gpuE3ELNS1_3repE0EEENS1_30default_config_static_selectorELNS0_4arch9wavefront6targetE0EEEvSM_.kd
    .uniform_work_group_size: 1
    .uses_dynamic_stack: false
    .vgpr_count:     0
    .vgpr_spill_count: 0
    .wavefront_size: 32
  - .args:
      - .offset:         0
        .size:           72
        .value_kind:     by_value
    .group_segment_fixed_size: 0
    .kernarg_segment_align: 8
    .kernarg_segment_size: 72
    .language:       OpenCL C
    .language_version:
      - 2
      - 0
    .max_flat_workgroup_size: 256
    .name:           _ZN7rocprim17ROCPRIM_400000_NS6detail17trampoline_kernelINS0_14default_configENS1_37merge_sort_block_sort_config_selectorIlNS0_10empty_typeEEEZNS1_21merge_sort_block_sortIS3_PlS8_PS5_S9_ZN2at6native12_GLOBAL__N_124unique_dim_cuda_templateIbEESt5tupleIJNSA_6TensorESF_SF_EERKSF_lbbbEUlllE_EE10hipError_tT0_T1_T2_T3_mRjT4_P12ihipStream_tbNS1_7vsmem_tEEUlT_E_NS1_11comp_targetILNS1_3genE8ELNS1_11target_archE1030ELNS1_3gpuE2ELNS1_3repE0EEENS1_30default_config_static_selectorELNS0_4arch9wavefront6targetE0EEEvSM_
    .private_segment_fixed_size: 0
    .sgpr_count:     0
    .sgpr_spill_count: 0
    .symbol:         _ZN7rocprim17ROCPRIM_400000_NS6detail17trampoline_kernelINS0_14default_configENS1_37merge_sort_block_sort_config_selectorIlNS0_10empty_typeEEEZNS1_21merge_sort_block_sortIS3_PlS8_PS5_S9_ZN2at6native12_GLOBAL__N_124unique_dim_cuda_templateIbEESt5tupleIJNSA_6TensorESF_SF_EERKSF_lbbbEUlllE_EE10hipError_tT0_T1_T2_T3_mRjT4_P12ihipStream_tbNS1_7vsmem_tEEUlT_E_NS1_11comp_targetILNS1_3genE8ELNS1_11target_archE1030ELNS1_3gpuE2ELNS1_3repE0EEENS1_30default_config_static_selectorELNS0_4arch9wavefront6targetE0EEEvSM_.kd
    .uniform_work_group_size: 1
    .uses_dynamic_stack: false
    .vgpr_count:     0
    .vgpr_spill_count: 0
    .wavefront_size: 32
  - .args:
      - .offset:         0
        .size:           56
        .value_kind:     by_value
    .group_segment_fixed_size: 0
    .kernarg_segment_align: 8
    .kernarg_segment_size: 56
    .language:       OpenCL C
    .language_version:
      - 2
      - 0
    .max_flat_workgroup_size: 128
    .name:           _ZN7rocprim17ROCPRIM_400000_NS6detail17trampoline_kernelINS0_14default_configENS1_38merge_sort_block_merge_config_selectorIlNS0_10empty_typeEEEZZNS1_27merge_sort_block_merge_implIS3_PlPS5_mZN2at6native12_GLOBAL__N_124unique_dim_cuda_templateIbEESt5tupleIJNSA_6TensorESF_SF_EERKSF_lbbbEUlllE_EE10hipError_tT0_T1_T2_jT3_P12ihipStream_tbPNSt15iterator_traitsISL_E10value_typeEPNSR_ISM_E10value_typeEPSN_NS1_7vsmem_tEENKUlT_SL_SM_SN_E_clIS8_S8_S9_S9_EESK_S10_SL_SM_SN_EUlS10_E_NS1_11comp_targetILNS1_3genE0ELNS1_11target_archE4294967295ELNS1_3gpuE0ELNS1_3repE0EEENS1_48merge_mergepath_partition_config_static_selectorELNS0_4arch9wavefront6targetE0EEEvSM_
    .private_segment_fixed_size: 0
    .sgpr_count:     22
    .sgpr_spill_count: 0
    .symbol:         _ZN7rocprim17ROCPRIM_400000_NS6detail17trampoline_kernelINS0_14default_configENS1_38merge_sort_block_merge_config_selectorIlNS0_10empty_typeEEEZZNS1_27merge_sort_block_merge_implIS3_PlPS5_mZN2at6native12_GLOBAL__N_124unique_dim_cuda_templateIbEESt5tupleIJNSA_6TensorESF_SF_EERKSF_lbbbEUlllE_EE10hipError_tT0_T1_T2_jT3_P12ihipStream_tbPNSt15iterator_traitsISL_E10value_typeEPNSR_ISM_E10value_typeEPSN_NS1_7vsmem_tEENKUlT_SL_SM_SN_E_clIS8_S8_S9_S9_EESK_S10_SL_SM_SN_EUlS10_E_NS1_11comp_targetILNS1_3genE0ELNS1_11target_archE4294967295ELNS1_3gpuE0ELNS1_3repE0EEENS1_48merge_mergepath_partition_config_static_selectorELNS0_4arch9wavefront6targetE0EEEvSM_.kd
    .uniform_work_group_size: 1
    .uses_dynamic_stack: false
    .vgpr_count:     22
    .vgpr_spill_count: 0
    .wavefront_size: 32
  - .args:
      - .offset:         0
        .size:           56
        .value_kind:     by_value
    .group_segment_fixed_size: 0
    .kernarg_segment_align: 8
    .kernarg_segment_size: 56
    .language:       OpenCL C
    .language_version:
      - 2
      - 0
    .max_flat_workgroup_size: 128
    .name:           _ZN7rocprim17ROCPRIM_400000_NS6detail17trampoline_kernelINS0_14default_configENS1_38merge_sort_block_merge_config_selectorIlNS0_10empty_typeEEEZZNS1_27merge_sort_block_merge_implIS3_PlPS5_mZN2at6native12_GLOBAL__N_124unique_dim_cuda_templateIbEESt5tupleIJNSA_6TensorESF_SF_EERKSF_lbbbEUlllE_EE10hipError_tT0_T1_T2_jT3_P12ihipStream_tbPNSt15iterator_traitsISL_E10value_typeEPNSR_ISM_E10value_typeEPSN_NS1_7vsmem_tEENKUlT_SL_SM_SN_E_clIS8_S8_S9_S9_EESK_S10_SL_SM_SN_EUlS10_E_NS1_11comp_targetILNS1_3genE10ELNS1_11target_archE1201ELNS1_3gpuE5ELNS1_3repE0EEENS1_48merge_mergepath_partition_config_static_selectorELNS0_4arch9wavefront6targetE0EEEvSM_
    .private_segment_fixed_size: 0
    .sgpr_count:     0
    .sgpr_spill_count: 0
    .symbol:         _ZN7rocprim17ROCPRIM_400000_NS6detail17trampoline_kernelINS0_14default_configENS1_38merge_sort_block_merge_config_selectorIlNS0_10empty_typeEEEZZNS1_27merge_sort_block_merge_implIS3_PlPS5_mZN2at6native12_GLOBAL__N_124unique_dim_cuda_templateIbEESt5tupleIJNSA_6TensorESF_SF_EERKSF_lbbbEUlllE_EE10hipError_tT0_T1_T2_jT3_P12ihipStream_tbPNSt15iterator_traitsISL_E10value_typeEPNSR_ISM_E10value_typeEPSN_NS1_7vsmem_tEENKUlT_SL_SM_SN_E_clIS8_S8_S9_S9_EESK_S10_SL_SM_SN_EUlS10_E_NS1_11comp_targetILNS1_3genE10ELNS1_11target_archE1201ELNS1_3gpuE5ELNS1_3repE0EEENS1_48merge_mergepath_partition_config_static_selectorELNS0_4arch9wavefront6targetE0EEEvSM_.kd
    .uniform_work_group_size: 1
    .uses_dynamic_stack: false
    .vgpr_count:     0
    .vgpr_spill_count: 0
    .wavefront_size: 32
  - .args:
      - .offset:         0
        .size:           56
        .value_kind:     by_value
    .group_segment_fixed_size: 0
    .kernarg_segment_align: 8
    .kernarg_segment_size: 56
    .language:       OpenCL C
    .language_version:
      - 2
      - 0
    .max_flat_workgroup_size: 128
    .name:           _ZN7rocprim17ROCPRIM_400000_NS6detail17trampoline_kernelINS0_14default_configENS1_38merge_sort_block_merge_config_selectorIlNS0_10empty_typeEEEZZNS1_27merge_sort_block_merge_implIS3_PlPS5_mZN2at6native12_GLOBAL__N_124unique_dim_cuda_templateIbEESt5tupleIJNSA_6TensorESF_SF_EERKSF_lbbbEUlllE_EE10hipError_tT0_T1_T2_jT3_P12ihipStream_tbPNSt15iterator_traitsISL_E10value_typeEPNSR_ISM_E10value_typeEPSN_NS1_7vsmem_tEENKUlT_SL_SM_SN_E_clIS8_S8_S9_S9_EESK_S10_SL_SM_SN_EUlS10_E_NS1_11comp_targetILNS1_3genE5ELNS1_11target_archE942ELNS1_3gpuE9ELNS1_3repE0EEENS1_48merge_mergepath_partition_config_static_selectorELNS0_4arch9wavefront6targetE0EEEvSM_
    .private_segment_fixed_size: 0
    .sgpr_count:     0
    .sgpr_spill_count: 0
    .symbol:         _ZN7rocprim17ROCPRIM_400000_NS6detail17trampoline_kernelINS0_14default_configENS1_38merge_sort_block_merge_config_selectorIlNS0_10empty_typeEEEZZNS1_27merge_sort_block_merge_implIS3_PlPS5_mZN2at6native12_GLOBAL__N_124unique_dim_cuda_templateIbEESt5tupleIJNSA_6TensorESF_SF_EERKSF_lbbbEUlllE_EE10hipError_tT0_T1_T2_jT3_P12ihipStream_tbPNSt15iterator_traitsISL_E10value_typeEPNSR_ISM_E10value_typeEPSN_NS1_7vsmem_tEENKUlT_SL_SM_SN_E_clIS8_S8_S9_S9_EESK_S10_SL_SM_SN_EUlS10_E_NS1_11comp_targetILNS1_3genE5ELNS1_11target_archE942ELNS1_3gpuE9ELNS1_3repE0EEENS1_48merge_mergepath_partition_config_static_selectorELNS0_4arch9wavefront6targetE0EEEvSM_.kd
    .uniform_work_group_size: 1
    .uses_dynamic_stack: false
    .vgpr_count:     0
    .vgpr_spill_count: 0
    .wavefront_size: 32
  - .args:
      - .offset:         0
        .size:           56
        .value_kind:     by_value
    .group_segment_fixed_size: 0
    .kernarg_segment_align: 8
    .kernarg_segment_size: 56
    .language:       OpenCL C
    .language_version:
      - 2
      - 0
    .max_flat_workgroup_size: 128
    .name:           _ZN7rocprim17ROCPRIM_400000_NS6detail17trampoline_kernelINS0_14default_configENS1_38merge_sort_block_merge_config_selectorIlNS0_10empty_typeEEEZZNS1_27merge_sort_block_merge_implIS3_PlPS5_mZN2at6native12_GLOBAL__N_124unique_dim_cuda_templateIbEESt5tupleIJNSA_6TensorESF_SF_EERKSF_lbbbEUlllE_EE10hipError_tT0_T1_T2_jT3_P12ihipStream_tbPNSt15iterator_traitsISL_E10value_typeEPNSR_ISM_E10value_typeEPSN_NS1_7vsmem_tEENKUlT_SL_SM_SN_E_clIS8_S8_S9_S9_EESK_S10_SL_SM_SN_EUlS10_E_NS1_11comp_targetILNS1_3genE4ELNS1_11target_archE910ELNS1_3gpuE8ELNS1_3repE0EEENS1_48merge_mergepath_partition_config_static_selectorELNS0_4arch9wavefront6targetE0EEEvSM_
    .private_segment_fixed_size: 0
    .sgpr_count:     0
    .sgpr_spill_count: 0
    .symbol:         _ZN7rocprim17ROCPRIM_400000_NS6detail17trampoline_kernelINS0_14default_configENS1_38merge_sort_block_merge_config_selectorIlNS0_10empty_typeEEEZZNS1_27merge_sort_block_merge_implIS3_PlPS5_mZN2at6native12_GLOBAL__N_124unique_dim_cuda_templateIbEESt5tupleIJNSA_6TensorESF_SF_EERKSF_lbbbEUlllE_EE10hipError_tT0_T1_T2_jT3_P12ihipStream_tbPNSt15iterator_traitsISL_E10value_typeEPNSR_ISM_E10value_typeEPSN_NS1_7vsmem_tEENKUlT_SL_SM_SN_E_clIS8_S8_S9_S9_EESK_S10_SL_SM_SN_EUlS10_E_NS1_11comp_targetILNS1_3genE4ELNS1_11target_archE910ELNS1_3gpuE8ELNS1_3repE0EEENS1_48merge_mergepath_partition_config_static_selectorELNS0_4arch9wavefront6targetE0EEEvSM_.kd
    .uniform_work_group_size: 1
    .uses_dynamic_stack: false
    .vgpr_count:     0
    .vgpr_spill_count: 0
    .wavefront_size: 32
  - .args:
      - .offset:         0
        .size:           56
        .value_kind:     by_value
    .group_segment_fixed_size: 0
    .kernarg_segment_align: 8
    .kernarg_segment_size: 56
    .language:       OpenCL C
    .language_version:
      - 2
      - 0
    .max_flat_workgroup_size: 128
    .name:           _ZN7rocprim17ROCPRIM_400000_NS6detail17trampoline_kernelINS0_14default_configENS1_38merge_sort_block_merge_config_selectorIlNS0_10empty_typeEEEZZNS1_27merge_sort_block_merge_implIS3_PlPS5_mZN2at6native12_GLOBAL__N_124unique_dim_cuda_templateIbEESt5tupleIJNSA_6TensorESF_SF_EERKSF_lbbbEUlllE_EE10hipError_tT0_T1_T2_jT3_P12ihipStream_tbPNSt15iterator_traitsISL_E10value_typeEPNSR_ISM_E10value_typeEPSN_NS1_7vsmem_tEENKUlT_SL_SM_SN_E_clIS8_S8_S9_S9_EESK_S10_SL_SM_SN_EUlS10_E_NS1_11comp_targetILNS1_3genE3ELNS1_11target_archE908ELNS1_3gpuE7ELNS1_3repE0EEENS1_48merge_mergepath_partition_config_static_selectorELNS0_4arch9wavefront6targetE0EEEvSM_
    .private_segment_fixed_size: 0
    .sgpr_count:     0
    .sgpr_spill_count: 0
    .symbol:         _ZN7rocprim17ROCPRIM_400000_NS6detail17trampoline_kernelINS0_14default_configENS1_38merge_sort_block_merge_config_selectorIlNS0_10empty_typeEEEZZNS1_27merge_sort_block_merge_implIS3_PlPS5_mZN2at6native12_GLOBAL__N_124unique_dim_cuda_templateIbEESt5tupleIJNSA_6TensorESF_SF_EERKSF_lbbbEUlllE_EE10hipError_tT0_T1_T2_jT3_P12ihipStream_tbPNSt15iterator_traitsISL_E10value_typeEPNSR_ISM_E10value_typeEPSN_NS1_7vsmem_tEENKUlT_SL_SM_SN_E_clIS8_S8_S9_S9_EESK_S10_SL_SM_SN_EUlS10_E_NS1_11comp_targetILNS1_3genE3ELNS1_11target_archE908ELNS1_3gpuE7ELNS1_3repE0EEENS1_48merge_mergepath_partition_config_static_selectorELNS0_4arch9wavefront6targetE0EEEvSM_.kd
    .uniform_work_group_size: 1
    .uses_dynamic_stack: false
    .vgpr_count:     0
    .vgpr_spill_count: 0
    .wavefront_size: 32
  - .args:
      - .offset:         0
        .size:           56
        .value_kind:     by_value
    .group_segment_fixed_size: 0
    .kernarg_segment_align: 8
    .kernarg_segment_size: 56
    .language:       OpenCL C
    .language_version:
      - 2
      - 0
    .max_flat_workgroup_size: 128
    .name:           _ZN7rocprim17ROCPRIM_400000_NS6detail17trampoline_kernelINS0_14default_configENS1_38merge_sort_block_merge_config_selectorIlNS0_10empty_typeEEEZZNS1_27merge_sort_block_merge_implIS3_PlPS5_mZN2at6native12_GLOBAL__N_124unique_dim_cuda_templateIbEESt5tupleIJNSA_6TensorESF_SF_EERKSF_lbbbEUlllE_EE10hipError_tT0_T1_T2_jT3_P12ihipStream_tbPNSt15iterator_traitsISL_E10value_typeEPNSR_ISM_E10value_typeEPSN_NS1_7vsmem_tEENKUlT_SL_SM_SN_E_clIS8_S8_S9_S9_EESK_S10_SL_SM_SN_EUlS10_E_NS1_11comp_targetILNS1_3genE2ELNS1_11target_archE906ELNS1_3gpuE6ELNS1_3repE0EEENS1_48merge_mergepath_partition_config_static_selectorELNS0_4arch9wavefront6targetE0EEEvSM_
    .private_segment_fixed_size: 0
    .sgpr_count:     0
    .sgpr_spill_count: 0
    .symbol:         _ZN7rocprim17ROCPRIM_400000_NS6detail17trampoline_kernelINS0_14default_configENS1_38merge_sort_block_merge_config_selectorIlNS0_10empty_typeEEEZZNS1_27merge_sort_block_merge_implIS3_PlPS5_mZN2at6native12_GLOBAL__N_124unique_dim_cuda_templateIbEESt5tupleIJNSA_6TensorESF_SF_EERKSF_lbbbEUlllE_EE10hipError_tT0_T1_T2_jT3_P12ihipStream_tbPNSt15iterator_traitsISL_E10value_typeEPNSR_ISM_E10value_typeEPSN_NS1_7vsmem_tEENKUlT_SL_SM_SN_E_clIS8_S8_S9_S9_EESK_S10_SL_SM_SN_EUlS10_E_NS1_11comp_targetILNS1_3genE2ELNS1_11target_archE906ELNS1_3gpuE6ELNS1_3repE0EEENS1_48merge_mergepath_partition_config_static_selectorELNS0_4arch9wavefront6targetE0EEEvSM_.kd
    .uniform_work_group_size: 1
    .uses_dynamic_stack: false
    .vgpr_count:     0
    .vgpr_spill_count: 0
    .wavefront_size: 32
  - .args:
      - .offset:         0
        .size:           56
        .value_kind:     by_value
    .group_segment_fixed_size: 0
    .kernarg_segment_align: 8
    .kernarg_segment_size: 56
    .language:       OpenCL C
    .language_version:
      - 2
      - 0
    .max_flat_workgroup_size: 128
    .name:           _ZN7rocprim17ROCPRIM_400000_NS6detail17trampoline_kernelINS0_14default_configENS1_38merge_sort_block_merge_config_selectorIlNS0_10empty_typeEEEZZNS1_27merge_sort_block_merge_implIS3_PlPS5_mZN2at6native12_GLOBAL__N_124unique_dim_cuda_templateIbEESt5tupleIJNSA_6TensorESF_SF_EERKSF_lbbbEUlllE_EE10hipError_tT0_T1_T2_jT3_P12ihipStream_tbPNSt15iterator_traitsISL_E10value_typeEPNSR_ISM_E10value_typeEPSN_NS1_7vsmem_tEENKUlT_SL_SM_SN_E_clIS8_S8_S9_S9_EESK_S10_SL_SM_SN_EUlS10_E_NS1_11comp_targetILNS1_3genE9ELNS1_11target_archE1100ELNS1_3gpuE3ELNS1_3repE0EEENS1_48merge_mergepath_partition_config_static_selectorELNS0_4arch9wavefront6targetE0EEEvSM_
    .private_segment_fixed_size: 0
    .sgpr_count:     0
    .sgpr_spill_count: 0
    .symbol:         _ZN7rocprim17ROCPRIM_400000_NS6detail17trampoline_kernelINS0_14default_configENS1_38merge_sort_block_merge_config_selectorIlNS0_10empty_typeEEEZZNS1_27merge_sort_block_merge_implIS3_PlPS5_mZN2at6native12_GLOBAL__N_124unique_dim_cuda_templateIbEESt5tupleIJNSA_6TensorESF_SF_EERKSF_lbbbEUlllE_EE10hipError_tT0_T1_T2_jT3_P12ihipStream_tbPNSt15iterator_traitsISL_E10value_typeEPNSR_ISM_E10value_typeEPSN_NS1_7vsmem_tEENKUlT_SL_SM_SN_E_clIS8_S8_S9_S9_EESK_S10_SL_SM_SN_EUlS10_E_NS1_11comp_targetILNS1_3genE9ELNS1_11target_archE1100ELNS1_3gpuE3ELNS1_3repE0EEENS1_48merge_mergepath_partition_config_static_selectorELNS0_4arch9wavefront6targetE0EEEvSM_.kd
    .uniform_work_group_size: 1
    .uses_dynamic_stack: false
    .vgpr_count:     0
    .vgpr_spill_count: 0
    .wavefront_size: 32
  - .args:
      - .offset:         0
        .size:           56
        .value_kind:     by_value
    .group_segment_fixed_size: 0
    .kernarg_segment_align: 8
    .kernarg_segment_size: 56
    .language:       OpenCL C
    .language_version:
      - 2
      - 0
    .max_flat_workgroup_size: 128
    .name:           _ZN7rocprim17ROCPRIM_400000_NS6detail17trampoline_kernelINS0_14default_configENS1_38merge_sort_block_merge_config_selectorIlNS0_10empty_typeEEEZZNS1_27merge_sort_block_merge_implIS3_PlPS5_mZN2at6native12_GLOBAL__N_124unique_dim_cuda_templateIbEESt5tupleIJNSA_6TensorESF_SF_EERKSF_lbbbEUlllE_EE10hipError_tT0_T1_T2_jT3_P12ihipStream_tbPNSt15iterator_traitsISL_E10value_typeEPNSR_ISM_E10value_typeEPSN_NS1_7vsmem_tEENKUlT_SL_SM_SN_E_clIS8_S8_S9_S9_EESK_S10_SL_SM_SN_EUlS10_E_NS1_11comp_targetILNS1_3genE8ELNS1_11target_archE1030ELNS1_3gpuE2ELNS1_3repE0EEENS1_48merge_mergepath_partition_config_static_selectorELNS0_4arch9wavefront6targetE0EEEvSM_
    .private_segment_fixed_size: 0
    .sgpr_count:     0
    .sgpr_spill_count: 0
    .symbol:         _ZN7rocprim17ROCPRIM_400000_NS6detail17trampoline_kernelINS0_14default_configENS1_38merge_sort_block_merge_config_selectorIlNS0_10empty_typeEEEZZNS1_27merge_sort_block_merge_implIS3_PlPS5_mZN2at6native12_GLOBAL__N_124unique_dim_cuda_templateIbEESt5tupleIJNSA_6TensorESF_SF_EERKSF_lbbbEUlllE_EE10hipError_tT0_T1_T2_jT3_P12ihipStream_tbPNSt15iterator_traitsISL_E10value_typeEPNSR_ISM_E10value_typeEPSN_NS1_7vsmem_tEENKUlT_SL_SM_SN_E_clIS8_S8_S9_S9_EESK_S10_SL_SM_SN_EUlS10_E_NS1_11comp_targetILNS1_3genE8ELNS1_11target_archE1030ELNS1_3gpuE2ELNS1_3repE0EEENS1_48merge_mergepath_partition_config_static_selectorELNS0_4arch9wavefront6targetE0EEEvSM_.kd
    .uniform_work_group_size: 1
    .uses_dynamic_stack: false
    .vgpr_count:     0
    .vgpr_spill_count: 0
    .wavefront_size: 32
  - .args:
      - .offset:         0
        .size:           88
        .value_kind:     by_value
      - .offset:         88
        .size:           4
        .value_kind:     hidden_block_count_x
      - .offset:         92
        .size:           4
        .value_kind:     hidden_block_count_y
      - .offset:         96
        .size:           4
        .value_kind:     hidden_block_count_z
      - .offset:         100
        .size:           2
        .value_kind:     hidden_group_size_x
      - .offset:         102
        .size:           2
        .value_kind:     hidden_group_size_y
      - .offset:         104
        .size:           2
        .value_kind:     hidden_group_size_z
      - .offset:         106
        .size:           2
        .value_kind:     hidden_remainder_x
      - .offset:         108
        .size:           2
        .value_kind:     hidden_remainder_y
      - .offset:         110
        .size:           2
        .value_kind:     hidden_remainder_z
      - .offset:         128
        .size:           8
        .value_kind:     hidden_global_offset_x
      - .offset:         136
        .size:           8
        .value_kind:     hidden_global_offset_y
      - .offset:         144
        .size:           8
        .value_kind:     hidden_global_offset_z
      - .offset:         152
        .size:           2
        .value_kind:     hidden_grid_dims
    .group_segment_fixed_size: 8448
    .kernarg_segment_align: 8
    .kernarg_segment_size: 344
    .language:       OpenCL C
    .language_version:
      - 2
      - 0
    .max_flat_workgroup_size: 128
    .name:           _ZN7rocprim17ROCPRIM_400000_NS6detail17trampoline_kernelINS0_14default_configENS1_38merge_sort_block_merge_config_selectorIlNS0_10empty_typeEEEZZNS1_27merge_sort_block_merge_implIS3_PlPS5_mZN2at6native12_GLOBAL__N_124unique_dim_cuda_templateIbEESt5tupleIJNSA_6TensorESF_SF_EERKSF_lbbbEUlllE_EE10hipError_tT0_T1_T2_jT3_P12ihipStream_tbPNSt15iterator_traitsISL_E10value_typeEPNSR_ISM_E10value_typeEPSN_NS1_7vsmem_tEENKUlT_SL_SM_SN_E_clIS8_S8_S9_S9_EESK_S10_SL_SM_SN_EUlS10_E0_NS1_11comp_targetILNS1_3genE0ELNS1_11target_archE4294967295ELNS1_3gpuE0ELNS1_3repE0EEENS1_38merge_mergepath_config_static_selectorELNS0_4arch9wavefront6targetE0EEEvSM_
    .private_segment_fixed_size: 0
    .sgpr_count:     34
    .sgpr_spill_count: 0
    .symbol:         _ZN7rocprim17ROCPRIM_400000_NS6detail17trampoline_kernelINS0_14default_configENS1_38merge_sort_block_merge_config_selectorIlNS0_10empty_typeEEEZZNS1_27merge_sort_block_merge_implIS3_PlPS5_mZN2at6native12_GLOBAL__N_124unique_dim_cuda_templateIbEESt5tupleIJNSA_6TensorESF_SF_EERKSF_lbbbEUlllE_EE10hipError_tT0_T1_T2_jT3_P12ihipStream_tbPNSt15iterator_traitsISL_E10value_typeEPNSR_ISM_E10value_typeEPSN_NS1_7vsmem_tEENKUlT_SL_SM_SN_E_clIS8_S8_S9_S9_EESK_S10_SL_SM_SN_EUlS10_E0_NS1_11comp_targetILNS1_3genE0ELNS1_11target_archE4294967295ELNS1_3gpuE0ELNS1_3repE0EEENS1_38merge_mergepath_config_static_selectorELNS0_4arch9wavefront6targetE0EEEvSM_.kd
    .uniform_work_group_size: 1
    .uses_dynamic_stack: false
    .vgpr_count:     41
    .vgpr_spill_count: 0
    .wavefront_size: 32
  - .args:
      - .offset:         0
        .size:           88
        .value_kind:     by_value
    .group_segment_fixed_size: 0
    .kernarg_segment_align: 8
    .kernarg_segment_size: 88
    .language:       OpenCL C
    .language_version:
      - 2
      - 0
    .max_flat_workgroup_size: 512
    .name:           _ZN7rocprim17ROCPRIM_400000_NS6detail17trampoline_kernelINS0_14default_configENS1_38merge_sort_block_merge_config_selectorIlNS0_10empty_typeEEEZZNS1_27merge_sort_block_merge_implIS3_PlPS5_mZN2at6native12_GLOBAL__N_124unique_dim_cuda_templateIbEESt5tupleIJNSA_6TensorESF_SF_EERKSF_lbbbEUlllE_EE10hipError_tT0_T1_T2_jT3_P12ihipStream_tbPNSt15iterator_traitsISL_E10value_typeEPNSR_ISM_E10value_typeEPSN_NS1_7vsmem_tEENKUlT_SL_SM_SN_E_clIS8_S8_S9_S9_EESK_S10_SL_SM_SN_EUlS10_E0_NS1_11comp_targetILNS1_3genE10ELNS1_11target_archE1201ELNS1_3gpuE5ELNS1_3repE0EEENS1_38merge_mergepath_config_static_selectorELNS0_4arch9wavefront6targetE0EEEvSM_
    .private_segment_fixed_size: 0
    .sgpr_count:     0
    .sgpr_spill_count: 0
    .symbol:         _ZN7rocprim17ROCPRIM_400000_NS6detail17trampoline_kernelINS0_14default_configENS1_38merge_sort_block_merge_config_selectorIlNS0_10empty_typeEEEZZNS1_27merge_sort_block_merge_implIS3_PlPS5_mZN2at6native12_GLOBAL__N_124unique_dim_cuda_templateIbEESt5tupleIJNSA_6TensorESF_SF_EERKSF_lbbbEUlllE_EE10hipError_tT0_T1_T2_jT3_P12ihipStream_tbPNSt15iterator_traitsISL_E10value_typeEPNSR_ISM_E10value_typeEPSN_NS1_7vsmem_tEENKUlT_SL_SM_SN_E_clIS8_S8_S9_S9_EESK_S10_SL_SM_SN_EUlS10_E0_NS1_11comp_targetILNS1_3genE10ELNS1_11target_archE1201ELNS1_3gpuE5ELNS1_3repE0EEENS1_38merge_mergepath_config_static_selectorELNS0_4arch9wavefront6targetE0EEEvSM_.kd
    .uniform_work_group_size: 1
    .uses_dynamic_stack: false
    .vgpr_count:     0
    .vgpr_spill_count: 0
    .wavefront_size: 32
  - .args:
      - .offset:         0
        .size:           88
        .value_kind:     by_value
    .group_segment_fixed_size: 0
    .kernarg_segment_align: 8
    .kernarg_segment_size: 88
    .language:       OpenCL C
    .language_version:
      - 2
      - 0
    .max_flat_workgroup_size: 128
    .name:           _ZN7rocprim17ROCPRIM_400000_NS6detail17trampoline_kernelINS0_14default_configENS1_38merge_sort_block_merge_config_selectorIlNS0_10empty_typeEEEZZNS1_27merge_sort_block_merge_implIS3_PlPS5_mZN2at6native12_GLOBAL__N_124unique_dim_cuda_templateIbEESt5tupleIJNSA_6TensorESF_SF_EERKSF_lbbbEUlllE_EE10hipError_tT0_T1_T2_jT3_P12ihipStream_tbPNSt15iterator_traitsISL_E10value_typeEPNSR_ISM_E10value_typeEPSN_NS1_7vsmem_tEENKUlT_SL_SM_SN_E_clIS8_S8_S9_S9_EESK_S10_SL_SM_SN_EUlS10_E0_NS1_11comp_targetILNS1_3genE5ELNS1_11target_archE942ELNS1_3gpuE9ELNS1_3repE0EEENS1_38merge_mergepath_config_static_selectorELNS0_4arch9wavefront6targetE0EEEvSM_
    .private_segment_fixed_size: 0
    .sgpr_count:     0
    .sgpr_spill_count: 0
    .symbol:         _ZN7rocprim17ROCPRIM_400000_NS6detail17trampoline_kernelINS0_14default_configENS1_38merge_sort_block_merge_config_selectorIlNS0_10empty_typeEEEZZNS1_27merge_sort_block_merge_implIS3_PlPS5_mZN2at6native12_GLOBAL__N_124unique_dim_cuda_templateIbEESt5tupleIJNSA_6TensorESF_SF_EERKSF_lbbbEUlllE_EE10hipError_tT0_T1_T2_jT3_P12ihipStream_tbPNSt15iterator_traitsISL_E10value_typeEPNSR_ISM_E10value_typeEPSN_NS1_7vsmem_tEENKUlT_SL_SM_SN_E_clIS8_S8_S9_S9_EESK_S10_SL_SM_SN_EUlS10_E0_NS1_11comp_targetILNS1_3genE5ELNS1_11target_archE942ELNS1_3gpuE9ELNS1_3repE0EEENS1_38merge_mergepath_config_static_selectorELNS0_4arch9wavefront6targetE0EEEvSM_.kd
    .uniform_work_group_size: 1
    .uses_dynamic_stack: false
    .vgpr_count:     0
    .vgpr_spill_count: 0
    .wavefront_size: 32
  - .args:
      - .offset:         0
        .size:           88
        .value_kind:     by_value
    .group_segment_fixed_size: 0
    .kernarg_segment_align: 8
    .kernarg_segment_size: 88
    .language:       OpenCL C
    .language_version:
      - 2
      - 0
    .max_flat_workgroup_size: 256
    .name:           _ZN7rocprim17ROCPRIM_400000_NS6detail17trampoline_kernelINS0_14default_configENS1_38merge_sort_block_merge_config_selectorIlNS0_10empty_typeEEEZZNS1_27merge_sort_block_merge_implIS3_PlPS5_mZN2at6native12_GLOBAL__N_124unique_dim_cuda_templateIbEESt5tupleIJNSA_6TensorESF_SF_EERKSF_lbbbEUlllE_EE10hipError_tT0_T1_T2_jT3_P12ihipStream_tbPNSt15iterator_traitsISL_E10value_typeEPNSR_ISM_E10value_typeEPSN_NS1_7vsmem_tEENKUlT_SL_SM_SN_E_clIS8_S8_S9_S9_EESK_S10_SL_SM_SN_EUlS10_E0_NS1_11comp_targetILNS1_3genE4ELNS1_11target_archE910ELNS1_3gpuE8ELNS1_3repE0EEENS1_38merge_mergepath_config_static_selectorELNS0_4arch9wavefront6targetE0EEEvSM_
    .private_segment_fixed_size: 0
    .sgpr_count:     0
    .sgpr_spill_count: 0
    .symbol:         _ZN7rocprim17ROCPRIM_400000_NS6detail17trampoline_kernelINS0_14default_configENS1_38merge_sort_block_merge_config_selectorIlNS0_10empty_typeEEEZZNS1_27merge_sort_block_merge_implIS3_PlPS5_mZN2at6native12_GLOBAL__N_124unique_dim_cuda_templateIbEESt5tupleIJNSA_6TensorESF_SF_EERKSF_lbbbEUlllE_EE10hipError_tT0_T1_T2_jT3_P12ihipStream_tbPNSt15iterator_traitsISL_E10value_typeEPNSR_ISM_E10value_typeEPSN_NS1_7vsmem_tEENKUlT_SL_SM_SN_E_clIS8_S8_S9_S9_EESK_S10_SL_SM_SN_EUlS10_E0_NS1_11comp_targetILNS1_3genE4ELNS1_11target_archE910ELNS1_3gpuE8ELNS1_3repE0EEENS1_38merge_mergepath_config_static_selectorELNS0_4arch9wavefront6targetE0EEEvSM_.kd
    .uniform_work_group_size: 1
    .uses_dynamic_stack: false
    .vgpr_count:     0
    .vgpr_spill_count: 0
    .wavefront_size: 32
  - .args:
      - .offset:         0
        .size:           88
        .value_kind:     by_value
    .group_segment_fixed_size: 0
    .kernarg_segment_align: 8
    .kernarg_segment_size: 88
    .language:       OpenCL C
    .language_version:
      - 2
      - 0
    .max_flat_workgroup_size: 128
    .name:           _ZN7rocprim17ROCPRIM_400000_NS6detail17trampoline_kernelINS0_14default_configENS1_38merge_sort_block_merge_config_selectorIlNS0_10empty_typeEEEZZNS1_27merge_sort_block_merge_implIS3_PlPS5_mZN2at6native12_GLOBAL__N_124unique_dim_cuda_templateIbEESt5tupleIJNSA_6TensorESF_SF_EERKSF_lbbbEUlllE_EE10hipError_tT0_T1_T2_jT3_P12ihipStream_tbPNSt15iterator_traitsISL_E10value_typeEPNSR_ISM_E10value_typeEPSN_NS1_7vsmem_tEENKUlT_SL_SM_SN_E_clIS8_S8_S9_S9_EESK_S10_SL_SM_SN_EUlS10_E0_NS1_11comp_targetILNS1_3genE3ELNS1_11target_archE908ELNS1_3gpuE7ELNS1_3repE0EEENS1_38merge_mergepath_config_static_selectorELNS0_4arch9wavefront6targetE0EEEvSM_
    .private_segment_fixed_size: 0
    .sgpr_count:     0
    .sgpr_spill_count: 0
    .symbol:         _ZN7rocprim17ROCPRIM_400000_NS6detail17trampoline_kernelINS0_14default_configENS1_38merge_sort_block_merge_config_selectorIlNS0_10empty_typeEEEZZNS1_27merge_sort_block_merge_implIS3_PlPS5_mZN2at6native12_GLOBAL__N_124unique_dim_cuda_templateIbEESt5tupleIJNSA_6TensorESF_SF_EERKSF_lbbbEUlllE_EE10hipError_tT0_T1_T2_jT3_P12ihipStream_tbPNSt15iterator_traitsISL_E10value_typeEPNSR_ISM_E10value_typeEPSN_NS1_7vsmem_tEENKUlT_SL_SM_SN_E_clIS8_S8_S9_S9_EESK_S10_SL_SM_SN_EUlS10_E0_NS1_11comp_targetILNS1_3genE3ELNS1_11target_archE908ELNS1_3gpuE7ELNS1_3repE0EEENS1_38merge_mergepath_config_static_selectorELNS0_4arch9wavefront6targetE0EEEvSM_.kd
    .uniform_work_group_size: 1
    .uses_dynamic_stack: false
    .vgpr_count:     0
    .vgpr_spill_count: 0
    .wavefront_size: 32
  - .args:
      - .offset:         0
        .size:           88
        .value_kind:     by_value
    .group_segment_fixed_size: 0
    .kernarg_segment_align: 8
    .kernarg_segment_size: 88
    .language:       OpenCL C
    .language_version:
      - 2
      - 0
    .max_flat_workgroup_size: 256
    .name:           _ZN7rocprim17ROCPRIM_400000_NS6detail17trampoline_kernelINS0_14default_configENS1_38merge_sort_block_merge_config_selectorIlNS0_10empty_typeEEEZZNS1_27merge_sort_block_merge_implIS3_PlPS5_mZN2at6native12_GLOBAL__N_124unique_dim_cuda_templateIbEESt5tupleIJNSA_6TensorESF_SF_EERKSF_lbbbEUlllE_EE10hipError_tT0_T1_T2_jT3_P12ihipStream_tbPNSt15iterator_traitsISL_E10value_typeEPNSR_ISM_E10value_typeEPSN_NS1_7vsmem_tEENKUlT_SL_SM_SN_E_clIS8_S8_S9_S9_EESK_S10_SL_SM_SN_EUlS10_E0_NS1_11comp_targetILNS1_3genE2ELNS1_11target_archE906ELNS1_3gpuE6ELNS1_3repE0EEENS1_38merge_mergepath_config_static_selectorELNS0_4arch9wavefront6targetE0EEEvSM_
    .private_segment_fixed_size: 0
    .sgpr_count:     0
    .sgpr_spill_count: 0
    .symbol:         _ZN7rocprim17ROCPRIM_400000_NS6detail17trampoline_kernelINS0_14default_configENS1_38merge_sort_block_merge_config_selectorIlNS0_10empty_typeEEEZZNS1_27merge_sort_block_merge_implIS3_PlPS5_mZN2at6native12_GLOBAL__N_124unique_dim_cuda_templateIbEESt5tupleIJNSA_6TensorESF_SF_EERKSF_lbbbEUlllE_EE10hipError_tT0_T1_T2_jT3_P12ihipStream_tbPNSt15iterator_traitsISL_E10value_typeEPNSR_ISM_E10value_typeEPSN_NS1_7vsmem_tEENKUlT_SL_SM_SN_E_clIS8_S8_S9_S9_EESK_S10_SL_SM_SN_EUlS10_E0_NS1_11comp_targetILNS1_3genE2ELNS1_11target_archE906ELNS1_3gpuE6ELNS1_3repE0EEENS1_38merge_mergepath_config_static_selectorELNS0_4arch9wavefront6targetE0EEEvSM_.kd
    .uniform_work_group_size: 1
    .uses_dynamic_stack: false
    .vgpr_count:     0
    .vgpr_spill_count: 0
    .wavefront_size: 32
  - .args:
      - .offset:         0
        .size:           88
        .value_kind:     by_value
    .group_segment_fixed_size: 0
    .kernarg_segment_align: 8
    .kernarg_segment_size: 88
    .language:       OpenCL C
    .language_version:
      - 2
      - 0
    .max_flat_workgroup_size: 512
    .name:           _ZN7rocprim17ROCPRIM_400000_NS6detail17trampoline_kernelINS0_14default_configENS1_38merge_sort_block_merge_config_selectorIlNS0_10empty_typeEEEZZNS1_27merge_sort_block_merge_implIS3_PlPS5_mZN2at6native12_GLOBAL__N_124unique_dim_cuda_templateIbEESt5tupleIJNSA_6TensorESF_SF_EERKSF_lbbbEUlllE_EE10hipError_tT0_T1_T2_jT3_P12ihipStream_tbPNSt15iterator_traitsISL_E10value_typeEPNSR_ISM_E10value_typeEPSN_NS1_7vsmem_tEENKUlT_SL_SM_SN_E_clIS8_S8_S9_S9_EESK_S10_SL_SM_SN_EUlS10_E0_NS1_11comp_targetILNS1_3genE9ELNS1_11target_archE1100ELNS1_3gpuE3ELNS1_3repE0EEENS1_38merge_mergepath_config_static_selectorELNS0_4arch9wavefront6targetE0EEEvSM_
    .private_segment_fixed_size: 0
    .sgpr_count:     0
    .sgpr_spill_count: 0
    .symbol:         _ZN7rocprim17ROCPRIM_400000_NS6detail17trampoline_kernelINS0_14default_configENS1_38merge_sort_block_merge_config_selectorIlNS0_10empty_typeEEEZZNS1_27merge_sort_block_merge_implIS3_PlPS5_mZN2at6native12_GLOBAL__N_124unique_dim_cuda_templateIbEESt5tupleIJNSA_6TensorESF_SF_EERKSF_lbbbEUlllE_EE10hipError_tT0_T1_T2_jT3_P12ihipStream_tbPNSt15iterator_traitsISL_E10value_typeEPNSR_ISM_E10value_typeEPSN_NS1_7vsmem_tEENKUlT_SL_SM_SN_E_clIS8_S8_S9_S9_EESK_S10_SL_SM_SN_EUlS10_E0_NS1_11comp_targetILNS1_3genE9ELNS1_11target_archE1100ELNS1_3gpuE3ELNS1_3repE0EEENS1_38merge_mergepath_config_static_selectorELNS0_4arch9wavefront6targetE0EEEvSM_.kd
    .uniform_work_group_size: 1
    .uses_dynamic_stack: false
    .vgpr_count:     0
    .vgpr_spill_count: 0
    .wavefront_size: 32
  - .args:
      - .offset:         0
        .size:           88
        .value_kind:     by_value
    .group_segment_fixed_size: 0
    .kernarg_segment_align: 8
    .kernarg_segment_size: 88
    .language:       OpenCL C
    .language_version:
      - 2
      - 0
    .max_flat_workgroup_size: 1024
    .name:           _ZN7rocprim17ROCPRIM_400000_NS6detail17trampoline_kernelINS0_14default_configENS1_38merge_sort_block_merge_config_selectorIlNS0_10empty_typeEEEZZNS1_27merge_sort_block_merge_implIS3_PlPS5_mZN2at6native12_GLOBAL__N_124unique_dim_cuda_templateIbEESt5tupleIJNSA_6TensorESF_SF_EERKSF_lbbbEUlllE_EE10hipError_tT0_T1_T2_jT3_P12ihipStream_tbPNSt15iterator_traitsISL_E10value_typeEPNSR_ISM_E10value_typeEPSN_NS1_7vsmem_tEENKUlT_SL_SM_SN_E_clIS8_S8_S9_S9_EESK_S10_SL_SM_SN_EUlS10_E0_NS1_11comp_targetILNS1_3genE8ELNS1_11target_archE1030ELNS1_3gpuE2ELNS1_3repE0EEENS1_38merge_mergepath_config_static_selectorELNS0_4arch9wavefront6targetE0EEEvSM_
    .private_segment_fixed_size: 0
    .sgpr_count:     0
    .sgpr_spill_count: 0
    .symbol:         _ZN7rocprim17ROCPRIM_400000_NS6detail17trampoline_kernelINS0_14default_configENS1_38merge_sort_block_merge_config_selectorIlNS0_10empty_typeEEEZZNS1_27merge_sort_block_merge_implIS3_PlPS5_mZN2at6native12_GLOBAL__N_124unique_dim_cuda_templateIbEESt5tupleIJNSA_6TensorESF_SF_EERKSF_lbbbEUlllE_EE10hipError_tT0_T1_T2_jT3_P12ihipStream_tbPNSt15iterator_traitsISL_E10value_typeEPNSR_ISM_E10value_typeEPSN_NS1_7vsmem_tEENKUlT_SL_SM_SN_E_clIS8_S8_S9_S9_EESK_S10_SL_SM_SN_EUlS10_E0_NS1_11comp_targetILNS1_3genE8ELNS1_11target_archE1030ELNS1_3gpuE2ELNS1_3repE0EEENS1_38merge_mergepath_config_static_selectorELNS0_4arch9wavefront6targetE0EEEvSM_.kd
    .uniform_work_group_size: 1
    .uses_dynamic_stack: false
    .vgpr_count:     0
    .vgpr_spill_count: 0
    .wavefront_size: 32
  - .args:
      - .offset:         0
        .size:           64
        .value_kind:     by_value
    .group_segment_fixed_size: 0
    .kernarg_segment_align: 8
    .kernarg_segment_size: 64
    .language:       OpenCL C
    .language_version:
      - 2
      - 0
    .max_flat_workgroup_size: 256
    .name:           _ZN7rocprim17ROCPRIM_400000_NS6detail17trampoline_kernelINS0_14default_configENS1_38merge_sort_block_merge_config_selectorIlNS0_10empty_typeEEEZZNS1_27merge_sort_block_merge_implIS3_PlPS5_mZN2at6native12_GLOBAL__N_124unique_dim_cuda_templateIbEESt5tupleIJNSA_6TensorESF_SF_EERKSF_lbbbEUlllE_EE10hipError_tT0_T1_T2_jT3_P12ihipStream_tbPNSt15iterator_traitsISL_E10value_typeEPNSR_ISM_E10value_typeEPSN_NS1_7vsmem_tEENKUlT_SL_SM_SN_E_clIS8_S8_S9_S9_EESK_S10_SL_SM_SN_EUlS10_E1_NS1_11comp_targetILNS1_3genE0ELNS1_11target_archE4294967295ELNS1_3gpuE0ELNS1_3repE0EEENS1_36merge_oddeven_config_static_selectorELNS0_4arch9wavefront6targetE0EEEvSM_
    .private_segment_fixed_size: 0
    .sgpr_count:     29
    .sgpr_spill_count: 0
    .symbol:         _ZN7rocprim17ROCPRIM_400000_NS6detail17trampoline_kernelINS0_14default_configENS1_38merge_sort_block_merge_config_selectorIlNS0_10empty_typeEEEZZNS1_27merge_sort_block_merge_implIS3_PlPS5_mZN2at6native12_GLOBAL__N_124unique_dim_cuda_templateIbEESt5tupleIJNSA_6TensorESF_SF_EERKSF_lbbbEUlllE_EE10hipError_tT0_T1_T2_jT3_P12ihipStream_tbPNSt15iterator_traitsISL_E10value_typeEPNSR_ISM_E10value_typeEPSN_NS1_7vsmem_tEENKUlT_SL_SM_SN_E_clIS8_S8_S9_S9_EESK_S10_SL_SM_SN_EUlS10_E1_NS1_11comp_targetILNS1_3genE0ELNS1_11target_archE4294967295ELNS1_3gpuE0ELNS1_3repE0EEENS1_36merge_oddeven_config_static_selectorELNS0_4arch9wavefront6targetE0EEEvSM_.kd
    .uniform_work_group_size: 1
    .uses_dynamic_stack: false
    .vgpr_count:     18
    .vgpr_spill_count: 0
    .wavefront_size: 32
  - .args:
      - .offset:         0
        .size:           64
        .value_kind:     by_value
    .group_segment_fixed_size: 0
    .kernarg_segment_align: 8
    .kernarg_segment_size: 64
    .language:       OpenCL C
    .language_version:
      - 2
      - 0
    .max_flat_workgroup_size: 256
    .name:           _ZN7rocprim17ROCPRIM_400000_NS6detail17trampoline_kernelINS0_14default_configENS1_38merge_sort_block_merge_config_selectorIlNS0_10empty_typeEEEZZNS1_27merge_sort_block_merge_implIS3_PlPS5_mZN2at6native12_GLOBAL__N_124unique_dim_cuda_templateIbEESt5tupleIJNSA_6TensorESF_SF_EERKSF_lbbbEUlllE_EE10hipError_tT0_T1_T2_jT3_P12ihipStream_tbPNSt15iterator_traitsISL_E10value_typeEPNSR_ISM_E10value_typeEPSN_NS1_7vsmem_tEENKUlT_SL_SM_SN_E_clIS8_S8_S9_S9_EESK_S10_SL_SM_SN_EUlS10_E1_NS1_11comp_targetILNS1_3genE10ELNS1_11target_archE1201ELNS1_3gpuE5ELNS1_3repE0EEENS1_36merge_oddeven_config_static_selectorELNS0_4arch9wavefront6targetE0EEEvSM_
    .private_segment_fixed_size: 0
    .sgpr_count:     0
    .sgpr_spill_count: 0
    .symbol:         _ZN7rocprim17ROCPRIM_400000_NS6detail17trampoline_kernelINS0_14default_configENS1_38merge_sort_block_merge_config_selectorIlNS0_10empty_typeEEEZZNS1_27merge_sort_block_merge_implIS3_PlPS5_mZN2at6native12_GLOBAL__N_124unique_dim_cuda_templateIbEESt5tupleIJNSA_6TensorESF_SF_EERKSF_lbbbEUlllE_EE10hipError_tT0_T1_T2_jT3_P12ihipStream_tbPNSt15iterator_traitsISL_E10value_typeEPNSR_ISM_E10value_typeEPSN_NS1_7vsmem_tEENKUlT_SL_SM_SN_E_clIS8_S8_S9_S9_EESK_S10_SL_SM_SN_EUlS10_E1_NS1_11comp_targetILNS1_3genE10ELNS1_11target_archE1201ELNS1_3gpuE5ELNS1_3repE0EEENS1_36merge_oddeven_config_static_selectorELNS0_4arch9wavefront6targetE0EEEvSM_.kd
    .uniform_work_group_size: 1
    .uses_dynamic_stack: false
    .vgpr_count:     0
    .vgpr_spill_count: 0
    .wavefront_size: 32
  - .args:
      - .offset:         0
        .size:           64
        .value_kind:     by_value
    .group_segment_fixed_size: 0
    .kernarg_segment_align: 8
    .kernarg_segment_size: 64
    .language:       OpenCL C
    .language_version:
      - 2
      - 0
    .max_flat_workgroup_size: 256
    .name:           _ZN7rocprim17ROCPRIM_400000_NS6detail17trampoline_kernelINS0_14default_configENS1_38merge_sort_block_merge_config_selectorIlNS0_10empty_typeEEEZZNS1_27merge_sort_block_merge_implIS3_PlPS5_mZN2at6native12_GLOBAL__N_124unique_dim_cuda_templateIbEESt5tupleIJNSA_6TensorESF_SF_EERKSF_lbbbEUlllE_EE10hipError_tT0_T1_T2_jT3_P12ihipStream_tbPNSt15iterator_traitsISL_E10value_typeEPNSR_ISM_E10value_typeEPSN_NS1_7vsmem_tEENKUlT_SL_SM_SN_E_clIS8_S8_S9_S9_EESK_S10_SL_SM_SN_EUlS10_E1_NS1_11comp_targetILNS1_3genE5ELNS1_11target_archE942ELNS1_3gpuE9ELNS1_3repE0EEENS1_36merge_oddeven_config_static_selectorELNS0_4arch9wavefront6targetE0EEEvSM_
    .private_segment_fixed_size: 0
    .sgpr_count:     0
    .sgpr_spill_count: 0
    .symbol:         _ZN7rocprim17ROCPRIM_400000_NS6detail17trampoline_kernelINS0_14default_configENS1_38merge_sort_block_merge_config_selectorIlNS0_10empty_typeEEEZZNS1_27merge_sort_block_merge_implIS3_PlPS5_mZN2at6native12_GLOBAL__N_124unique_dim_cuda_templateIbEESt5tupleIJNSA_6TensorESF_SF_EERKSF_lbbbEUlllE_EE10hipError_tT0_T1_T2_jT3_P12ihipStream_tbPNSt15iterator_traitsISL_E10value_typeEPNSR_ISM_E10value_typeEPSN_NS1_7vsmem_tEENKUlT_SL_SM_SN_E_clIS8_S8_S9_S9_EESK_S10_SL_SM_SN_EUlS10_E1_NS1_11comp_targetILNS1_3genE5ELNS1_11target_archE942ELNS1_3gpuE9ELNS1_3repE0EEENS1_36merge_oddeven_config_static_selectorELNS0_4arch9wavefront6targetE0EEEvSM_.kd
    .uniform_work_group_size: 1
    .uses_dynamic_stack: false
    .vgpr_count:     0
    .vgpr_spill_count: 0
    .wavefront_size: 32
  - .args:
      - .offset:         0
        .size:           64
        .value_kind:     by_value
    .group_segment_fixed_size: 0
    .kernarg_segment_align: 8
    .kernarg_segment_size: 64
    .language:       OpenCL C
    .language_version:
      - 2
      - 0
    .max_flat_workgroup_size: 256
    .name:           _ZN7rocprim17ROCPRIM_400000_NS6detail17trampoline_kernelINS0_14default_configENS1_38merge_sort_block_merge_config_selectorIlNS0_10empty_typeEEEZZNS1_27merge_sort_block_merge_implIS3_PlPS5_mZN2at6native12_GLOBAL__N_124unique_dim_cuda_templateIbEESt5tupleIJNSA_6TensorESF_SF_EERKSF_lbbbEUlllE_EE10hipError_tT0_T1_T2_jT3_P12ihipStream_tbPNSt15iterator_traitsISL_E10value_typeEPNSR_ISM_E10value_typeEPSN_NS1_7vsmem_tEENKUlT_SL_SM_SN_E_clIS8_S8_S9_S9_EESK_S10_SL_SM_SN_EUlS10_E1_NS1_11comp_targetILNS1_3genE4ELNS1_11target_archE910ELNS1_3gpuE8ELNS1_3repE0EEENS1_36merge_oddeven_config_static_selectorELNS0_4arch9wavefront6targetE0EEEvSM_
    .private_segment_fixed_size: 0
    .sgpr_count:     0
    .sgpr_spill_count: 0
    .symbol:         _ZN7rocprim17ROCPRIM_400000_NS6detail17trampoline_kernelINS0_14default_configENS1_38merge_sort_block_merge_config_selectorIlNS0_10empty_typeEEEZZNS1_27merge_sort_block_merge_implIS3_PlPS5_mZN2at6native12_GLOBAL__N_124unique_dim_cuda_templateIbEESt5tupleIJNSA_6TensorESF_SF_EERKSF_lbbbEUlllE_EE10hipError_tT0_T1_T2_jT3_P12ihipStream_tbPNSt15iterator_traitsISL_E10value_typeEPNSR_ISM_E10value_typeEPSN_NS1_7vsmem_tEENKUlT_SL_SM_SN_E_clIS8_S8_S9_S9_EESK_S10_SL_SM_SN_EUlS10_E1_NS1_11comp_targetILNS1_3genE4ELNS1_11target_archE910ELNS1_3gpuE8ELNS1_3repE0EEENS1_36merge_oddeven_config_static_selectorELNS0_4arch9wavefront6targetE0EEEvSM_.kd
    .uniform_work_group_size: 1
    .uses_dynamic_stack: false
    .vgpr_count:     0
    .vgpr_spill_count: 0
    .wavefront_size: 32
  - .args:
      - .offset:         0
        .size:           64
        .value_kind:     by_value
    .group_segment_fixed_size: 0
    .kernarg_segment_align: 8
    .kernarg_segment_size: 64
    .language:       OpenCL C
    .language_version:
      - 2
      - 0
    .max_flat_workgroup_size: 256
    .name:           _ZN7rocprim17ROCPRIM_400000_NS6detail17trampoline_kernelINS0_14default_configENS1_38merge_sort_block_merge_config_selectorIlNS0_10empty_typeEEEZZNS1_27merge_sort_block_merge_implIS3_PlPS5_mZN2at6native12_GLOBAL__N_124unique_dim_cuda_templateIbEESt5tupleIJNSA_6TensorESF_SF_EERKSF_lbbbEUlllE_EE10hipError_tT0_T1_T2_jT3_P12ihipStream_tbPNSt15iterator_traitsISL_E10value_typeEPNSR_ISM_E10value_typeEPSN_NS1_7vsmem_tEENKUlT_SL_SM_SN_E_clIS8_S8_S9_S9_EESK_S10_SL_SM_SN_EUlS10_E1_NS1_11comp_targetILNS1_3genE3ELNS1_11target_archE908ELNS1_3gpuE7ELNS1_3repE0EEENS1_36merge_oddeven_config_static_selectorELNS0_4arch9wavefront6targetE0EEEvSM_
    .private_segment_fixed_size: 0
    .sgpr_count:     0
    .sgpr_spill_count: 0
    .symbol:         _ZN7rocprim17ROCPRIM_400000_NS6detail17trampoline_kernelINS0_14default_configENS1_38merge_sort_block_merge_config_selectorIlNS0_10empty_typeEEEZZNS1_27merge_sort_block_merge_implIS3_PlPS5_mZN2at6native12_GLOBAL__N_124unique_dim_cuda_templateIbEESt5tupleIJNSA_6TensorESF_SF_EERKSF_lbbbEUlllE_EE10hipError_tT0_T1_T2_jT3_P12ihipStream_tbPNSt15iterator_traitsISL_E10value_typeEPNSR_ISM_E10value_typeEPSN_NS1_7vsmem_tEENKUlT_SL_SM_SN_E_clIS8_S8_S9_S9_EESK_S10_SL_SM_SN_EUlS10_E1_NS1_11comp_targetILNS1_3genE3ELNS1_11target_archE908ELNS1_3gpuE7ELNS1_3repE0EEENS1_36merge_oddeven_config_static_selectorELNS0_4arch9wavefront6targetE0EEEvSM_.kd
    .uniform_work_group_size: 1
    .uses_dynamic_stack: false
    .vgpr_count:     0
    .vgpr_spill_count: 0
    .wavefront_size: 32
  - .args:
      - .offset:         0
        .size:           64
        .value_kind:     by_value
    .group_segment_fixed_size: 0
    .kernarg_segment_align: 8
    .kernarg_segment_size: 64
    .language:       OpenCL C
    .language_version:
      - 2
      - 0
    .max_flat_workgroup_size: 256
    .name:           _ZN7rocprim17ROCPRIM_400000_NS6detail17trampoline_kernelINS0_14default_configENS1_38merge_sort_block_merge_config_selectorIlNS0_10empty_typeEEEZZNS1_27merge_sort_block_merge_implIS3_PlPS5_mZN2at6native12_GLOBAL__N_124unique_dim_cuda_templateIbEESt5tupleIJNSA_6TensorESF_SF_EERKSF_lbbbEUlllE_EE10hipError_tT0_T1_T2_jT3_P12ihipStream_tbPNSt15iterator_traitsISL_E10value_typeEPNSR_ISM_E10value_typeEPSN_NS1_7vsmem_tEENKUlT_SL_SM_SN_E_clIS8_S8_S9_S9_EESK_S10_SL_SM_SN_EUlS10_E1_NS1_11comp_targetILNS1_3genE2ELNS1_11target_archE906ELNS1_3gpuE6ELNS1_3repE0EEENS1_36merge_oddeven_config_static_selectorELNS0_4arch9wavefront6targetE0EEEvSM_
    .private_segment_fixed_size: 0
    .sgpr_count:     0
    .sgpr_spill_count: 0
    .symbol:         _ZN7rocprim17ROCPRIM_400000_NS6detail17trampoline_kernelINS0_14default_configENS1_38merge_sort_block_merge_config_selectorIlNS0_10empty_typeEEEZZNS1_27merge_sort_block_merge_implIS3_PlPS5_mZN2at6native12_GLOBAL__N_124unique_dim_cuda_templateIbEESt5tupleIJNSA_6TensorESF_SF_EERKSF_lbbbEUlllE_EE10hipError_tT0_T1_T2_jT3_P12ihipStream_tbPNSt15iterator_traitsISL_E10value_typeEPNSR_ISM_E10value_typeEPSN_NS1_7vsmem_tEENKUlT_SL_SM_SN_E_clIS8_S8_S9_S9_EESK_S10_SL_SM_SN_EUlS10_E1_NS1_11comp_targetILNS1_3genE2ELNS1_11target_archE906ELNS1_3gpuE6ELNS1_3repE0EEENS1_36merge_oddeven_config_static_selectorELNS0_4arch9wavefront6targetE0EEEvSM_.kd
    .uniform_work_group_size: 1
    .uses_dynamic_stack: false
    .vgpr_count:     0
    .vgpr_spill_count: 0
    .wavefront_size: 32
  - .args:
      - .offset:         0
        .size:           64
        .value_kind:     by_value
    .group_segment_fixed_size: 0
    .kernarg_segment_align: 8
    .kernarg_segment_size: 64
    .language:       OpenCL C
    .language_version:
      - 2
      - 0
    .max_flat_workgroup_size: 256
    .name:           _ZN7rocprim17ROCPRIM_400000_NS6detail17trampoline_kernelINS0_14default_configENS1_38merge_sort_block_merge_config_selectorIlNS0_10empty_typeEEEZZNS1_27merge_sort_block_merge_implIS3_PlPS5_mZN2at6native12_GLOBAL__N_124unique_dim_cuda_templateIbEESt5tupleIJNSA_6TensorESF_SF_EERKSF_lbbbEUlllE_EE10hipError_tT0_T1_T2_jT3_P12ihipStream_tbPNSt15iterator_traitsISL_E10value_typeEPNSR_ISM_E10value_typeEPSN_NS1_7vsmem_tEENKUlT_SL_SM_SN_E_clIS8_S8_S9_S9_EESK_S10_SL_SM_SN_EUlS10_E1_NS1_11comp_targetILNS1_3genE9ELNS1_11target_archE1100ELNS1_3gpuE3ELNS1_3repE0EEENS1_36merge_oddeven_config_static_selectorELNS0_4arch9wavefront6targetE0EEEvSM_
    .private_segment_fixed_size: 0
    .sgpr_count:     0
    .sgpr_spill_count: 0
    .symbol:         _ZN7rocprim17ROCPRIM_400000_NS6detail17trampoline_kernelINS0_14default_configENS1_38merge_sort_block_merge_config_selectorIlNS0_10empty_typeEEEZZNS1_27merge_sort_block_merge_implIS3_PlPS5_mZN2at6native12_GLOBAL__N_124unique_dim_cuda_templateIbEESt5tupleIJNSA_6TensorESF_SF_EERKSF_lbbbEUlllE_EE10hipError_tT0_T1_T2_jT3_P12ihipStream_tbPNSt15iterator_traitsISL_E10value_typeEPNSR_ISM_E10value_typeEPSN_NS1_7vsmem_tEENKUlT_SL_SM_SN_E_clIS8_S8_S9_S9_EESK_S10_SL_SM_SN_EUlS10_E1_NS1_11comp_targetILNS1_3genE9ELNS1_11target_archE1100ELNS1_3gpuE3ELNS1_3repE0EEENS1_36merge_oddeven_config_static_selectorELNS0_4arch9wavefront6targetE0EEEvSM_.kd
    .uniform_work_group_size: 1
    .uses_dynamic_stack: false
    .vgpr_count:     0
    .vgpr_spill_count: 0
    .wavefront_size: 32
  - .args:
      - .offset:         0
        .size:           64
        .value_kind:     by_value
    .group_segment_fixed_size: 0
    .kernarg_segment_align: 8
    .kernarg_segment_size: 64
    .language:       OpenCL C
    .language_version:
      - 2
      - 0
    .max_flat_workgroup_size: 256
    .name:           _ZN7rocprim17ROCPRIM_400000_NS6detail17trampoline_kernelINS0_14default_configENS1_38merge_sort_block_merge_config_selectorIlNS0_10empty_typeEEEZZNS1_27merge_sort_block_merge_implIS3_PlPS5_mZN2at6native12_GLOBAL__N_124unique_dim_cuda_templateIbEESt5tupleIJNSA_6TensorESF_SF_EERKSF_lbbbEUlllE_EE10hipError_tT0_T1_T2_jT3_P12ihipStream_tbPNSt15iterator_traitsISL_E10value_typeEPNSR_ISM_E10value_typeEPSN_NS1_7vsmem_tEENKUlT_SL_SM_SN_E_clIS8_S8_S9_S9_EESK_S10_SL_SM_SN_EUlS10_E1_NS1_11comp_targetILNS1_3genE8ELNS1_11target_archE1030ELNS1_3gpuE2ELNS1_3repE0EEENS1_36merge_oddeven_config_static_selectorELNS0_4arch9wavefront6targetE0EEEvSM_
    .private_segment_fixed_size: 0
    .sgpr_count:     0
    .sgpr_spill_count: 0
    .symbol:         _ZN7rocprim17ROCPRIM_400000_NS6detail17trampoline_kernelINS0_14default_configENS1_38merge_sort_block_merge_config_selectorIlNS0_10empty_typeEEEZZNS1_27merge_sort_block_merge_implIS3_PlPS5_mZN2at6native12_GLOBAL__N_124unique_dim_cuda_templateIbEESt5tupleIJNSA_6TensorESF_SF_EERKSF_lbbbEUlllE_EE10hipError_tT0_T1_T2_jT3_P12ihipStream_tbPNSt15iterator_traitsISL_E10value_typeEPNSR_ISM_E10value_typeEPSN_NS1_7vsmem_tEENKUlT_SL_SM_SN_E_clIS8_S8_S9_S9_EESK_S10_SL_SM_SN_EUlS10_E1_NS1_11comp_targetILNS1_3genE8ELNS1_11target_archE1030ELNS1_3gpuE2ELNS1_3repE0EEENS1_36merge_oddeven_config_static_selectorELNS0_4arch9wavefront6targetE0EEEvSM_.kd
    .uniform_work_group_size: 1
    .uses_dynamic_stack: false
    .vgpr_count:     0
    .vgpr_spill_count: 0
    .wavefront_size: 32
  - .args:
      - .offset:         0
        .size:           64
        .value_kind:     by_value
    .group_segment_fixed_size: 2048
    .kernarg_segment_align: 8
    .kernarg_segment_size: 64
    .language:       OpenCL C
    .language_version:
      - 2
      - 0
    .max_flat_workgroup_size: 128
    .name:           _ZN7rocprim17ROCPRIM_400000_NS6detail17trampoline_kernelINS0_14default_configENS1_35adjacent_difference_config_selectorILb0ElEEZNS1_24adjacent_difference_implIS3_Lb0ELb0EPlS7_ZN2at6native12_GLOBAL__N_124unique_dim_cuda_templateIbEESt5tupleIJNS8_6TensorESD_SD_EERKSD_lbbbEUlllE1_EE10hipError_tPvRmT2_T3_mT4_P12ihipStream_tbEUlT_E_NS1_11comp_targetILNS1_3genE0ELNS1_11target_archE4294967295ELNS1_3gpuE0ELNS1_3repE0EEENS1_30default_config_static_selectorELNS0_4arch9wavefront6targetE0EEEvT1_
    .private_segment_fixed_size: 0
    .sgpr_count:     26
    .sgpr_spill_count: 0
    .symbol:         _ZN7rocprim17ROCPRIM_400000_NS6detail17trampoline_kernelINS0_14default_configENS1_35adjacent_difference_config_selectorILb0ElEEZNS1_24adjacent_difference_implIS3_Lb0ELb0EPlS7_ZN2at6native12_GLOBAL__N_124unique_dim_cuda_templateIbEESt5tupleIJNS8_6TensorESD_SD_EERKSD_lbbbEUlllE1_EE10hipError_tPvRmT2_T3_mT4_P12ihipStream_tbEUlT_E_NS1_11comp_targetILNS1_3genE0ELNS1_11target_archE4294967295ELNS1_3gpuE0ELNS1_3repE0EEENS1_30default_config_static_selectorELNS0_4arch9wavefront6targetE0EEEvT1_.kd
    .uniform_work_group_size: 1
    .uses_dynamic_stack: false
    .vgpr_count:     12
    .vgpr_spill_count: 0
    .wavefront_size: 32
  - .args:
      - .offset:         0
        .size:           64
        .value_kind:     by_value
    .group_segment_fixed_size: 0
    .kernarg_segment_align: 8
    .kernarg_segment_size: 64
    .language:       OpenCL C
    .language_version:
      - 2
      - 0
    .max_flat_workgroup_size: 128
    .name:           _ZN7rocprim17ROCPRIM_400000_NS6detail17trampoline_kernelINS0_14default_configENS1_35adjacent_difference_config_selectorILb0ElEEZNS1_24adjacent_difference_implIS3_Lb0ELb0EPlS7_ZN2at6native12_GLOBAL__N_124unique_dim_cuda_templateIbEESt5tupleIJNS8_6TensorESD_SD_EERKSD_lbbbEUlllE1_EE10hipError_tPvRmT2_T3_mT4_P12ihipStream_tbEUlT_E_NS1_11comp_targetILNS1_3genE10ELNS1_11target_archE1201ELNS1_3gpuE5ELNS1_3repE0EEENS1_30default_config_static_selectorELNS0_4arch9wavefront6targetE0EEEvT1_
    .private_segment_fixed_size: 0
    .sgpr_count:     0
    .sgpr_spill_count: 0
    .symbol:         _ZN7rocprim17ROCPRIM_400000_NS6detail17trampoline_kernelINS0_14default_configENS1_35adjacent_difference_config_selectorILb0ElEEZNS1_24adjacent_difference_implIS3_Lb0ELb0EPlS7_ZN2at6native12_GLOBAL__N_124unique_dim_cuda_templateIbEESt5tupleIJNS8_6TensorESD_SD_EERKSD_lbbbEUlllE1_EE10hipError_tPvRmT2_T3_mT4_P12ihipStream_tbEUlT_E_NS1_11comp_targetILNS1_3genE10ELNS1_11target_archE1201ELNS1_3gpuE5ELNS1_3repE0EEENS1_30default_config_static_selectorELNS0_4arch9wavefront6targetE0EEEvT1_.kd
    .uniform_work_group_size: 1
    .uses_dynamic_stack: false
    .vgpr_count:     0
    .vgpr_spill_count: 0
    .wavefront_size: 32
  - .args:
      - .offset:         0
        .size:           64
        .value_kind:     by_value
    .group_segment_fixed_size: 0
    .kernarg_segment_align: 8
    .kernarg_segment_size: 64
    .language:       OpenCL C
    .language_version:
      - 2
      - 0
    .max_flat_workgroup_size: 64
    .name:           _ZN7rocprim17ROCPRIM_400000_NS6detail17trampoline_kernelINS0_14default_configENS1_35adjacent_difference_config_selectorILb0ElEEZNS1_24adjacent_difference_implIS3_Lb0ELb0EPlS7_ZN2at6native12_GLOBAL__N_124unique_dim_cuda_templateIbEESt5tupleIJNS8_6TensorESD_SD_EERKSD_lbbbEUlllE1_EE10hipError_tPvRmT2_T3_mT4_P12ihipStream_tbEUlT_E_NS1_11comp_targetILNS1_3genE5ELNS1_11target_archE942ELNS1_3gpuE9ELNS1_3repE0EEENS1_30default_config_static_selectorELNS0_4arch9wavefront6targetE0EEEvT1_
    .private_segment_fixed_size: 0
    .sgpr_count:     0
    .sgpr_spill_count: 0
    .symbol:         _ZN7rocprim17ROCPRIM_400000_NS6detail17trampoline_kernelINS0_14default_configENS1_35adjacent_difference_config_selectorILb0ElEEZNS1_24adjacent_difference_implIS3_Lb0ELb0EPlS7_ZN2at6native12_GLOBAL__N_124unique_dim_cuda_templateIbEESt5tupleIJNS8_6TensorESD_SD_EERKSD_lbbbEUlllE1_EE10hipError_tPvRmT2_T3_mT4_P12ihipStream_tbEUlT_E_NS1_11comp_targetILNS1_3genE5ELNS1_11target_archE942ELNS1_3gpuE9ELNS1_3repE0EEENS1_30default_config_static_selectorELNS0_4arch9wavefront6targetE0EEEvT1_.kd
    .uniform_work_group_size: 1
    .uses_dynamic_stack: false
    .vgpr_count:     0
    .vgpr_spill_count: 0
    .wavefront_size: 32
  - .args:
      - .offset:         0
        .size:           64
        .value_kind:     by_value
    .group_segment_fixed_size: 0
    .kernarg_segment_align: 8
    .kernarg_segment_size: 64
    .language:       OpenCL C
    .language_version:
      - 2
      - 0
    .max_flat_workgroup_size: 256
    .name:           _ZN7rocprim17ROCPRIM_400000_NS6detail17trampoline_kernelINS0_14default_configENS1_35adjacent_difference_config_selectorILb0ElEEZNS1_24adjacent_difference_implIS3_Lb0ELb0EPlS7_ZN2at6native12_GLOBAL__N_124unique_dim_cuda_templateIbEESt5tupleIJNS8_6TensorESD_SD_EERKSD_lbbbEUlllE1_EE10hipError_tPvRmT2_T3_mT4_P12ihipStream_tbEUlT_E_NS1_11comp_targetILNS1_3genE4ELNS1_11target_archE910ELNS1_3gpuE8ELNS1_3repE0EEENS1_30default_config_static_selectorELNS0_4arch9wavefront6targetE0EEEvT1_
    .private_segment_fixed_size: 0
    .sgpr_count:     0
    .sgpr_spill_count: 0
    .symbol:         _ZN7rocprim17ROCPRIM_400000_NS6detail17trampoline_kernelINS0_14default_configENS1_35adjacent_difference_config_selectorILb0ElEEZNS1_24adjacent_difference_implIS3_Lb0ELb0EPlS7_ZN2at6native12_GLOBAL__N_124unique_dim_cuda_templateIbEESt5tupleIJNS8_6TensorESD_SD_EERKSD_lbbbEUlllE1_EE10hipError_tPvRmT2_T3_mT4_P12ihipStream_tbEUlT_E_NS1_11comp_targetILNS1_3genE4ELNS1_11target_archE910ELNS1_3gpuE8ELNS1_3repE0EEENS1_30default_config_static_selectorELNS0_4arch9wavefront6targetE0EEEvT1_.kd
    .uniform_work_group_size: 1
    .uses_dynamic_stack: false
    .vgpr_count:     0
    .vgpr_spill_count: 0
    .wavefront_size: 32
  - .args:
      - .offset:         0
        .size:           64
        .value_kind:     by_value
    .group_segment_fixed_size: 0
    .kernarg_segment_align: 8
    .kernarg_segment_size: 64
    .language:       OpenCL C
    .language_version:
      - 2
      - 0
    .max_flat_workgroup_size: 128
    .name:           _ZN7rocprim17ROCPRIM_400000_NS6detail17trampoline_kernelINS0_14default_configENS1_35adjacent_difference_config_selectorILb0ElEEZNS1_24adjacent_difference_implIS3_Lb0ELb0EPlS7_ZN2at6native12_GLOBAL__N_124unique_dim_cuda_templateIbEESt5tupleIJNS8_6TensorESD_SD_EERKSD_lbbbEUlllE1_EE10hipError_tPvRmT2_T3_mT4_P12ihipStream_tbEUlT_E_NS1_11comp_targetILNS1_3genE3ELNS1_11target_archE908ELNS1_3gpuE7ELNS1_3repE0EEENS1_30default_config_static_selectorELNS0_4arch9wavefront6targetE0EEEvT1_
    .private_segment_fixed_size: 0
    .sgpr_count:     0
    .sgpr_spill_count: 0
    .symbol:         _ZN7rocprim17ROCPRIM_400000_NS6detail17trampoline_kernelINS0_14default_configENS1_35adjacent_difference_config_selectorILb0ElEEZNS1_24adjacent_difference_implIS3_Lb0ELb0EPlS7_ZN2at6native12_GLOBAL__N_124unique_dim_cuda_templateIbEESt5tupleIJNS8_6TensorESD_SD_EERKSD_lbbbEUlllE1_EE10hipError_tPvRmT2_T3_mT4_P12ihipStream_tbEUlT_E_NS1_11comp_targetILNS1_3genE3ELNS1_11target_archE908ELNS1_3gpuE7ELNS1_3repE0EEENS1_30default_config_static_selectorELNS0_4arch9wavefront6targetE0EEEvT1_.kd
    .uniform_work_group_size: 1
    .uses_dynamic_stack: false
    .vgpr_count:     0
    .vgpr_spill_count: 0
    .wavefront_size: 32
  - .args:
      - .offset:         0
        .size:           64
        .value_kind:     by_value
    .group_segment_fixed_size: 0
    .kernarg_segment_align: 8
    .kernarg_segment_size: 64
    .language:       OpenCL C
    .language_version:
      - 2
      - 0
    .max_flat_workgroup_size: 128
    .name:           _ZN7rocprim17ROCPRIM_400000_NS6detail17trampoline_kernelINS0_14default_configENS1_35adjacent_difference_config_selectorILb0ElEEZNS1_24adjacent_difference_implIS3_Lb0ELb0EPlS7_ZN2at6native12_GLOBAL__N_124unique_dim_cuda_templateIbEESt5tupleIJNS8_6TensorESD_SD_EERKSD_lbbbEUlllE1_EE10hipError_tPvRmT2_T3_mT4_P12ihipStream_tbEUlT_E_NS1_11comp_targetILNS1_3genE2ELNS1_11target_archE906ELNS1_3gpuE6ELNS1_3repE0EEENS1_30default_config_static_selectorELNS0_4arch9wavefront6targetE0EEEvT1_
    .private_segment_fixed_size: 0
    .sgpr_count:     0
    .sgpr_spill_count: 0
    .symbol:         _ZN7rocprim17ROCPRIM_400000_NS6detail17trampoline_kernelINS0_14default_configENS1_35adjacent_difference_config_selectorILb0ElEEZNS1_24adjacent_difference_implIS3_Lb0ELb0EPlS7_ZN2at6native12_GLOBAL__N_124unique_dim_cuda_templateIbEESt5tupleIJNS8_6TensorESD_SD_EERKSD_lbbbEUlllE1_EE10hipError_tPvRmT2_T3_mT4_P12ihipStream_tbEUlT_E_NS1_11comp_targetILNS1_3genE2ELNS1_11target_archE906ELNS1_3gpuE6ELNS1_3repE0EEENS1_30default_config_static_selectorELNS0_4arch9wavefront6targetE0EEEvT1_.kd
    .uniform_work_group_size: 1
    .uses_dynamic_stack: false
    .vgpr_count:     0
    .vgpr_spill_count: 0
    .wavefront_size: 32
  - .args:
      - .offset:         0
        .size:           64
        .value_kind:     by_value
    .group_segment_fixed_size: 0
    .kernarg_segment_align: 8
    .kernarg_segment_size: 64
    .language:       OpenCL C
    .language_version:
      - 2
      - 0
    .max_flat_workgroup_size: 512
    .name:           _ZN7rocprim17ROCPRIM_400000_NS6detail17trampoline_kernelINS0_14default_configENS1_35adjacent_difference_config_selectorILb0ElEEZNS1_24adjacent_difference_implIS3_Lb0ELb0EPlS7_ZN2at6native12_GLOBAL__N_124unique_dim_cuda_templateIbEESt5tupleIJNS8_6TensorESD_SD_EERKSD_lbbbEUlllE1_EE10hipError_tPvRmT2_T3_mT4_P12ihipStream_tbEUlT_E_NS1_11comp_targetILNS1_3genE9ELNS1_11target_archE1100ELNS1_3gpuE3ELNS1_3repE0EEENS1_30default_config_static_selectorELNS0_4arch9wavefront6targetE0EEEvT1_
    .private_segment_fixed_size: 0
    .sgpr_count:     0
    .sgpr_spill_count: 0
    .symbol:         _ZN7rocprim17ROCPRIM_400000_NS6detail17trampoline_kernelINS0_14default_configENS1_35adjacent_difference_config_selectorILb0ElEEZNS1_24adjacent_difference_implIS3_Lb0ELb0EPlS7_ZN2at6native12_GLOBAL__N_124unique_dim_cuda_templateIbEESt5tupleIJNS8_6TensorESD_SD_EERKSD_lbbbEUlllE1_EE10hipError_tPvRmT2_T3_mT4_P12ihipStream_tbEUlT_E_NS1_11comp_targetILNS1_3genE9ELNS1_11target_archE1100ELNS1_3gpuE3ELNS1_3repE0EEENS1_30default_config_static_selectorELNS0_4arch9wavefront6targetE0EEEvT1_.kd
    .uniform_work_group_size: 1
    .uses_dynamic_stack: false
    .vgpr_count:     0
    .vgpr_spill_count: 0
    .wavefront_size: 32
  - .args:
      - .offset:         0
        .size:           64
        .value_kind:     by_value
    .group_segment_fixed_size: 0
    .kernarg_segment_align: 8
    .kernarg_segment_size: 64
    .language:       OpenCL C
    .language_version:
      - 2
      - 0
    .max_flat_workgroup_size: 1024
    .name:           _ZN7rocprim17ROCPRIM_400000_NS6detail17trampoline_kernelINS0_14default_configENS1_35adjacent_difference_config_selectorILb0ElEEZNS1_24adjacent_difference_implIS3_Lb0ELb0EPlS7_ZN2at6native12_GLOBAL__N_124unique_dim_cuda_templateIbEESt5tupleIJNS8_6TensorESD_SD_EERKSD_lbbbEUlllE1_EE10hipError_tPvRmT2_T3_mT4_P12ihipStream_tbEUlT_E_NS1_11comp_targetILNS1_3genE8ELNS1_11target_archE1030ELNS1_3gpuE2ELNS1_3repE0EEENS1_30default_config_static_selectorELNS0_4arch9wavefront6targetE0EEEvT1_
    .private_segment_fixed_size: 0
    .sgpr_count:     0
    .sgpr_spill_count: 0
    .symbol:         _ZN7rocprim17ROCPRIM_400000_NS6detail17trampoline_kernelINS0_14default_configENS1_35adjacent_difference_config_selectorILb0ElEEZNS1_24adjacent_difference_implIS3_Lb0ELb0EPlS7_ZN2at6native12_GLOBAL__N_124unique_dim_cuda_templateIbEESt5tupleIJNS8_6TensorESD_SD_EERKSD_lbbbEUlllE1_EE10hipError_tPvRmT2_T3_mT4_P12ihipStream_tbEUlT_E_NS1_11comp_targetILNS1_3genE8ELNS1_11target_archE1030ELNS1_3gpuE2ELNS1_3repE0EEENS1_30default_config_static_selectorELNS0_4arch9wavefront6targetE0EEEvT1_.kd
    .uniform_work_group_size: 1
    .uses_dynamic_stack: false
    .vgpr_count:     0
    .vgpr_spill_count: 0
    .wavefront_size: 32
  - .args:
      - .offset:         0
        .size:           56
        .value_kind:     by_value
      - .offset:         56
        .size:           4
        .value_kind:     hidden_block_count_x
      - .offset:         60
        .size:           4
        .value_kind:     hidden_block_count_y
      - .offset:         64
        .size:           4
        .value_kind:     hidden_block_count_z
      - .offset:         68
        .size:           2
        .value_kind:     hidden_group_size_x
      - .offset:         70
        .size:           2
        .value_kind:     hidden_group_size_y
      - .offset:         72
        .size:           2
        .value_kind:     hidden_group_size_z
      - .offset:         74
        .size:           2
        .value_kind:     hidden_remainder_x
      - .offset:         76
        .size:           2
        .value_kind:     hidden_remainder_y
      - .offset:         78
        .size:           2
        .value_kind:     hidden_remainder_z
      - .offset:         96
        .size:           8
        .value_kind:     hidden_global_offset_x
      - .offset:         104
        .size:           8
        .value_kind:     hidden_global_offset_y
      - .offset:         112
        .size:           8
        .value_kind:     hidden_global_offset_z
      - .offset:         120
        .size:           2
        .value_kind:     hidden_grid_dims
    .group_segment_fixed_size: 0
    .kernarg_segment_align: 8
    .kernarg_segment_size: 312
    .language:       OpenCL C
    .language_version:
      - 2
      - 0
    .max_flat_workgroup_size: 128
    .name:           _ZN7rocprim17ROCPRIM_400000_NS6detail17trampoline_kernelINS0_14default_configENS1_25transform_config_selectorIlLb0EEEZNS1_14transform_implILb0ES3_S5_NS0_18transform_iteratorINS0_17counting_iteratorImlEEZNS1_24adjacent_difference_implIS3_Lb1ELb0EPlSB_ZN2at6native12_GLOBAL__N_124unique_dim_cuda_templateIbEESt5tupleIJNSC_6TensorESH_SH_EERKSH_lbbbEUlllE1_EE10hipError_tPvRmT2_T3_mT4_P12ihipStream_tbEUlmE_lEESB_NS0_8identityIvEEEESM_SP_SQ_mSR_ST_bEUlT_E_NS1_11comp_targetILNS1_3genE0ELNS1_11target_archE4294967295ELNS1_3gpuE0ELNS1_3repE0EEENS1_30default_config_static_selectorELNS0_4arch9wavefront6targetE0EEEvT1_
    .private_segment_fixed_size: 0
    .sgpr_count:     16
    .sgpr_spill_count: 0
    .symbol:         _ZN7rocprim17ROCPRIM_400000_NS6detail17trampoline_kernelINS0_14default_configENS1_25transform_config_selectorIlLb0EEEZNS1_14transform_implILb0ES3_S5_NS0_18transform_iteratorINS0_17counting_iteratorImlEEZNS1_24adjacent_difference_implIS3_Lb1ELb0EPlSB_ZN2at6native12_GLOBAL__N_124unique_dim_cuda_templateIbEESt5tupleIJNSC_6TensorESH_SH_EERKSH_lbbbEUlllE1_EE10hipError_tPvRmT2_T3_mT4_P12ihipStream_tbEUlmE_lEESB_NS0_8identityIvEEEESM_SP_SQ_mSR_ST_bEUlT_E_NS1_11comp_targetILNS1_3genE0ELNS1_11target_archE4294967295ELNS1_3gpuE0ELNS1_3repE0EEENS1_30default_config_static_selectorELNS0_4arch9wavefront6targetE0EEEvT1_.kd
    .uniform_work_group_size: 1
    .uses_dynamic_stack: false
    .vgpr_count:     4
    .vgpr_spill_count: 0
    .wavefront_size: 32
  - .args:
      - .offset:         0
        .size:           56
        .value_kind:     by_value
    .group_segment_fixed_size: 0
    .kernarg_segment_align: 8
    .kernarg_segment_size: 56
    .language:       OpenCL C
    .language_version:
      - 2
      - 0
    .max_flat_workgroup_size: 512
    .name:           _ZN7rocprim17ROCPRIM_400000_NS6detail17trampoline_kernelINS0_14default_configENS1_25transform_config_selectorIlLb0EEEZNS1_14transform_implILb0ES3_S5_NS0_18transform_iteratorINS0_17counting_iteratorImlEEZNS1_24adjacent_difference_implIS3_Lb1ELb0EPlSB_ZN2at6native12_GLOBAL__N_124unique_dim_cuda_templateIbEESt5tupleIJNSC_6TensorESH_SH_EERKSH_lbbbEUlllE1_EE10hipError_tPvRmT2_T3_mT4_P12ihipStream_tbEUlmE_lEESB_NS0_8identityIvEEEESM_SP_SQ_mSR_ST_bEUlT_E_NS1_11comp_targetILNS1_3genE5ELNS1_11target_archE942ELNS1_3gpuE9ELNS1_3repE0EEENS1_30default_config_static_selectorELNS0_4arch9wavefront6targetE0EEEvT1_
    .private_segment_fixed_size: 0
    .sgpr_count:     0
    .sgpr_spill_count: 0
    .symbol:         _ZN7rocprim17ROCPRIM_400000_NS6detail17trampoline_kernelINS0_14default_configENS1_25transform_config_selectorIlLb0EEEZNS1_14transform_implILb0ES3_S5_NS0_18transform_iteratorINS0_17counting_iteratorImlEEZNS1_24adjacent_difference_implIS3_Lb1ELb0EPlSB_ZN2at6native12_GLOBAL__N_124unique_dim_cuda_templateIbEESt5tupleIJNSC_6TensorESH_SH_EERKSH_lbbbEUlllE1_EE10hipError_tPvRmT2_T3_mT4_P12ihipStream_tbEUlmE_lEESB_NS0_8identityIvEEEESM_SP_SQ_mSR_ST_bEUlT_E_NS1_11comp_targetILNS1_3genE5ELNS1_11target_archE942ELNS1_3gpuE9ELNS1_3repE0EEENS1_30default_config_static_selectorELNS0_4arch9wavefront6targetE0EEEvT1_.kd
    .uniform_work_group_size: 1
    .uses_dynamic_stack: false
    .vgpr_count:     0
    .vgpr_spill_count: 0
    .wavefront_size: 32
  - .args:
      - .offset:         0
        .size:           56
        .value_kind:     by_value
    .group_segment_fixed_size: 0
    .kernarg_segment_align: 8
    .kernarg_segment_size: 56
    .language:       OpenCL C
    .language_version:
      - 2
      - 0
    .max_flat_workgroup_size: 256
    .name:           _ZN7rocprim17ROCPRIM_400000_NS6detail17trampoline_kernelINS0_14default_configENS1_25transform_config_selectorIlLb0EEEZNS1_14transform_implILb0ES3_S5_NS0_18transform_iteratorINS0_17counting_iteratorImlEEZNS1_24adjacent_difference_implIS3_Lb1ELb0EPlSB_ZN2at6native12_GLOBAL__N_124unique_dim_cuda_templateIbEESt5tupleIJNSC_6TensorESH_SH_EERKSH_lbbbEUlllE1_EE10hipError_tPvRmT2_T3_mT4_P12ihipStream_tbEUlmE_lEESB_NS0_8identityIvEEEESM_SP_SQ_mSR_ST_bEUlT_E_NS1_11comp_targetILNS1_3genE4ELNS1_11target_archE910ELNS1_3gpuE8ELNS1_3repE0EEENS1_30default_config_static_selectorELNS0_4arch9wavefront6targetE0EEEvT1_
    .private_segment_fixed_size: 0
    .sgpr_count:     0
    .sgpr_spill_count: 0
    .symbol:         _ZN7rocprim17ROCPRIM_400000_NS6detail17trampoline_kernelINS0_14default_configENS1_25transform_config_selectorIlLb0EEEZNS1_14transform_implILb0ES3_S5_NS0_18transform_iteratorINS0_17counting_iteratorImlEEZNS1_24adjacent_difference_implIS3_Lb1ELb0EPlSB_ZN2at6native12_GLOBAL__N_124unique_dim_cuda_templateIbEESt5tupleIJNSC_6TensorESH_SH_EERKSH_lbbbEUlllE1_EE10hipError_tPvRmT2_T3_mT4_P12ihipStream_tbEUlmE_lEESB_NS0_8identityIvEEEESM_SP_SQ_mSR_ST_bEUlT_E_NS1_11comp_targetILNS1_3genE4ELNS1_11target_archE910ELNS1_3gpuE8ELNS1_3repE0EEENS1_30default_config_static_selectorELNS0_4arch9wavefront6targetE0EEEvT1_.kd
    .uniform_work_group_size: 1
    .uses_dynamic_stack: false
    .vgpr_count:     0
    .vgpr_spill_count: 0
    .wavefront_size: 32
  - .args:
      - .offset:         0
        .size:           56
        .value_kind:     by_value
    .group_segment_fixed_size: 0
    .kernarg_segment_align: 8
    .kernarg_segment_size: 56
    .language:       OpenCL C
    .language_version:
      - 2
      - 0
    .max_flat_workgroup_size: 128
    .name:           _ZN7rocprim17ROCPRIM_400000_NS6detail17trampoline_kernelINS0_14default_configENS1_25transform_config_selectorIlLb0EEEZNS1_14transform_implILb0ES3_S5_NS0_18transform_iteratorINS0_17counting_iteratorImlEEZNS1_24adjacent_difference_implIS3_Lb1ELb0EPlSB_ZN2at6native12_GLOBAL__N_124unique_dim_cuda_templateIbEESt5tupleIJNSC_6TensorESH_SH_EERKSH_lbbbEUlllE1_EE10hipError_tPvRmT2_T3_mT4_P12ihipStream_tbEUlmE_lEESB_NS0_8identityIvEEEESM_SP_SQ_mSR_ST_bEUlT_E_NS1_11comp_targetILNS1_3genE3ELNS1_11target_archE908ELNS1_3gpuE7ELNS1_3repE0EEENS1_30default_config_static_selectorELNS0_4arch9wavefront6targetE0EEEvT1_
    .private_segment_fixed_size: 0
    .sgpr_count:     0
    .sgpr_spill_count: 0
    .symbol:         _ZN7rocprim17ROCPRIM_400000_NS6detail17trampoline_kernelINS0_14default_configENS1_25transform_config_selectorIlLb0EEEZNS1_14transform_implILb0ES3_S5_NS0_18transform_iteratorINS0_17counting_iteratorImlEEZNS1_24adjacent_difference_implIS3_Lb1ELb0EPlSB_ZN2at6native12_GLOBAL__N_124unique_dim_cuda_templateIbEESt5tupleIJNSC_6TensorESH_SH_EERKSH_lbbbEUlllE1_EE10hipError_tPvRmT2_T3_mT4_P12ihipStream_tbEUlmE_lEESB_NS0_8identityIvEEEESM_SP_SQ_mSR_ST_bEUlT_E_NS1_11comp_targetILNS1_3genE3ELNS1_11target_archE908ELNS1_3gpuE7ELNS1_3repE0EEENS1_30default_config_static_selectorELNS0_4arch9wavefront6targetE0EEEvT1_.kd
    .uniform_work_group_size: 1
    .uses_dynamic_stack: false
    .vgpr_count:     0
    .vgpr_spill_count: 0
    .wavefront_size: 32
  - .args:
      - .offset:         0
        .size:           56
        .value_kind:     by_value
    .group_segment_fixed_size: 0
    .kernarg_segment_align: 8
    .kernarg_segment_size: 56
    .language:       OpenCL C
    .language_version:
      - 2
      - 0
    .max_flat_workgroup_size: 512
    .name:           _ZN7rocprim17ROCPRIM_400000_NS6detail17trampoline_kernelINS0_14default_configENS1_25transform_config_selectorIlLb0EEEZNS1_14transform_implILb0ES3_S5_NS0_18transform_iteratorINS0_17counting_iteratorImlEEZNS1_24adjacent_difference_implIS3_Lb1ELb0EPlSB_ZN2at6native12_GLOBAL__N_124unique_dim_cuda_templateIbEESt5tupleIJNSC_6TensorESH_SH_EERKSH_lbbbEUlllE1_EE10hipError_tPvRmT2_T3_mT4_P12ihipStream_tbEUlmE_lEESB_NS0_8identityIvEEEESM_SP_SQ_mSR_ST_bEUlT_E_NS1_11comp_targetILNS1_3genE2ELNS1_11target_archE906ELNS1_3gpuE6ELNS1_3repE0EEENS1_30default_config_static_selectorELNS0_4arch9wavefront6targetE0EEEvT1_
    .private_segment_fixed_size: 0
    .sgpr_count:     0
    .sgpr_spill_count: 0
    .symbol:         _ZN7rocprim17ROCPRIM_400000_NS6detail17trampoline_kernelINS0_14default_configENS1_25transform_config_selectorIlLb0EEEZNS1_14transform_implILb0ES3_S5_NS0_18transform_iteratorINS0_17counting_iteratorImlEEZNS1_24adjacent_difference_implIS3_Lb1ELb0EPlSB_ZN2at6native12_GLOBAL__N_124unique_dim_cuda_templateIbEESt5tupleIJNSC_6TensorESH_SH_EERKSH_lbbbEUlllE1_EE10hipError_tPvRmT2_T3_mT4_P12ihipStream_tbEUlmE_lEESB_NS0_8identityIvEEEESM_SP_SQ_mSR_ST_bEUlT_E_NS1_11comp_targetILNS1_3genE2ELNS1_11target_archE906ELNS1_3gpuE6ELNS1_3repE0EEENS1_30default_config_static_selectorELNS0_4arch9wavefront6targetE0EEEvT1_.kd
    .uniform_work_group_size: 1
    .uses_dynamic_stack: false
    .vgpr_count:     0
    .vgpr_spill_count: 0
    .wavefront_size: 32
  - .args:
      - .offset:         0
        .size:           56
        .value_kind:     by_value
    .group_segment_fixed_size: 0
    .kernarg_segment_align: 8
    .kernarg_segment_size: 56
    .language:       OpenCL C
    .language_version:
      - 2
      - 0
    .max_flat_workgroup_size: 1024
    .name:           _ZN7rocprim17ROCPRIM_400000_NS6detail17trampoline_kernelINS0_14default_configENS1_25transform_config_selectorIlLb0EEEZNS1_14transform_implILb0ES3_S5_NS0_18transform_iteratorINS0_17counting_iteratorImlEEZNS1_24adjacent_difference_implIS3_Lb1ELb0EPlSB_ZN2at6native12_GLOBAL__N_124unique_dim_cuda_templateIbEESt5tupleIJNSC_6TensorESH_SH_EERKSH_lbbbEUlllE1_EE10hipError_tPvRmT2_T3_mT4_P12ihipStream_tbEUlmE_lEESB_NS0_8identityIvEEEESM_SP_SQ_mSR_ST_bEUlT_E_NS1_11comp_targetILNS1_3genE10ELNS1_11target_archE1201ELNS1_3gpuE5ELNS1_3repE0EEENS1_30default_config_static_selectorELNS0_4arch9wavefront6targetE0EEEvT1_
    .private_segment_fixed_size: 0
    .sgpr_count:     0
    .sgpr_spill_count: 0
    .symbol:         _ZN7rocprim17ROCPRIM_400000_NS6detail17trampoline_kernelINS0_14default_configENS1_25transform_config_selectorIlLb0EEEZNS1_14transform_implILb0ES3_S5_NS0_18transform_iteratorINS0_17counting_iteratorImlEEZNS1_24adjacent_difference_implIS3_Lb1ELb0EPlSB_ZN2at6native12_GLOBAL__N_124unique_dim_cuda_templateIbEESt5tupleIJNSC_6TensorESH_SH_EERKSH_lbbbEUlllE1_EE10hipError_tPvRmT2_T3_mT4_P12ihipStream_tbEUlmE_lEESB_NS0_8identityIvEEEESM_SP_SQ_mSR_ST_bEUlT_E_NS1_11comp_targetILNS1_3genE10ELNS1_11target_archE1201ELNS1_3gpuE5ELNS1_3repE0EEENS1_30default_config_static_selectorELNS0_4arch9wavefront6targetE0EEEvT1_.kd
    .uniform_work_group_size: 1
    .uses_dynamic_stack: false
    .vgpr_count:     0
    .vgpr_spill_count: 0
    .wavefront_size: 32
  - .args:
      - .offset:         0
        .size:           56
        .value_kind:     by_value
    .group_segment_fixed_size: 0
    .kernarg_segment_align: 8
    .kernarg_segment_size: 56
    .language:       OpenCL C
    .language_version:
      - 2
      - 0
    .max_flat_workgroup_size: 512
    .name:           _ZN7rocprim17ROCPRIM_400000_NS6detail17trampoline_kernelINS0_14default_configENS1_25transform_config_selectorIlLb0EEEZNS1_14transform_implILb0ES3_S5_NS0_18transform_iteratorINS0_17counting_iteratorImlEEZNS1_24adjacent_difference_implIS3_Lb1ELb0EPlSB_ZN2at6native12_GLOBAL__N_124unique_dim_cuda_templateIbEESt5tupleIJNSC_6TensorESH_SH_EERKSH_lbbbEUlllE1_EE10hipError_tPvRmT2_T3_mT4_P12ihipStream_tbEUlmE_lEESB_NS0_8identityIvEEEESM_SP_SQ_mSR_ST_bEUlT_E_NS1_11comp_targetILNS1_3genE10ELNS1_11target_archE1200ELNS1_3gpuE4ELNS1_3repE0EEENS1_30default_config_static_selectorELNS0_4arch9wavefront6targetE0EEEvT1_
    .private_segment_fixed_size: 0
    .sgpr_count:     0
    .sgpr_spill_count: 0
    .symbol:         _ZN7rocprim17ROCPRIM_400000_NS6detail17trampoline_kernelINS0_14default_configENS1_25transform_config_selectorIlLb0EEEZNS1_14transform_implILb0ES3_S5_NS0_18transform_iteratorINS0_17counting_iteratorImlEEZNS1_24adjacent_difference_implIS3_Lb1ELb0EPlSB_ZN2at6native12_GLOBAL__N_124unique_dim_cuda_templateIbEESt5tupleIJNSC_6TensorESH_SH_EERKSH_lbbbEUlllE1_EE10hipError_tPvRmT2_T3_mT4_P12ihipStream_tbEUlmE_lEESB_NS0_8identityIvEEEESM_SP_SQ_mSR_ST_bEUlT_E_NS1_11comp_targetILNS1_3genE10ELNS1_11target_archE1200ELNS1_3gpuE4ELNS1_3repE0EEENS1_30default_config_static_selectorELNS0_4arch9wavefront6targetE0EEEvT1_.kd
    .uniform_work_group_size: 1
    .uses_dynamic_stack: false
    .vgpr_count:     0
    .vgpr_spill_count: 0
    .wavefront_size: 32
  - .args:
      - .offset:         0
        .size:           56
        .value_kind:     by_value
    .group_segment_fixed_size: 0
    .kernarg_segment_align: 8
    .kernarg_segment_size: 56
    .language:       OpenCL C
    .language_version:
      - 2
      - 0
    .max_flat_workgroup_size: 512
    .name:           _ZN7rocprim17ROCPRIM_400000_NS6detail17trampoline_kernelINS0_14default_configENS1_25transform_config_selectorIlLb0EEEZNS1_14transform_implILb0ES3_S5_NS0_18transform_iteratorINS0_17counting_iteratorImlEEZNS1_24adjacent_difference_implIS3_Lb1ELb0EPlSB_ZN2at6native12_GLOBAL__N_124unique_dim_cuda_templateIbEESt5tupleIJNSC_6TensorESH_SH_EERKSH_lbbbEUlllE1_EE10hipError_tPvRmT2_T3_mT4_P12ihipStream_tbEUlmE_lEESB_NS0_8identityIvEEEESM_SP_SQ_mSR_ST_bEUlT_E_NS1_11comp_targetILNS1_3genE9ELNS1_11target_archE1100ELNS1_3gpuE3ELNS1_3repE0EEENS1_30default_config_static_selectorELNS0_4arch9wavefront6targetE0EEEvT1_
    .private_segment_fixed_size: 0
    .sgpr_count:     0
    .sgpr_spill_count: 0
    .symbol:         _ZN7rocprim17ROCPRIM_400000_NS6detail17trampoline_kernelINS0_14default_configENS1_25transform_config_selectorIlLb0EEEZNS1_14transform_implILb0ES3_S5_NS0_18transform_iteratorINS0_17counting_iteratorImlEEZNS1_24adjacent_difference_implIS3_Lb1ELb0EPlSB_ZN2at6native12_GLOBAL__N_124unique_dim_cuda_templateIbEESt5tupleIJNSC_6TensorESH_SH_EERKSH_lbbbEUlllE1_EE10hipError_tPvRmT2_T3_mT4_P12ihipStream_tbEUlmE_lEESB_NS0_8identityIvEEEESM_SP_SQ_mSR_ST_bEUlT_E_NS1_11comp_targetILNS1_3genE9ELNS1_11target_archE1100ELNS1_3gpuE3ELNS1_3repE0EEENS1_30default_config_static_selectorELNS0_4arch9wavefront6targetE0EEEvT1_.kd
    .uniform_work_group_size: 1
    .uses_dynamic_stack: false
    .vgpr_count:     0
    .vgpr_spill_count: 0
    .wavefront_size: 32
  - .args:
      - .offset:         0
        .size:           56
        .value_kind:     by_value
    .group_segment_fixed_size: 0
    .kernarg_segment_align: 8
    .kernarg_segment_size: 56
    .language:       OpenCL C
    .language_version:
      - 2
      - 0
    .max_flat_workgroup_size: 512
    .name:           _ZN7rocprim17ROCPRIM_400000_NS6detail17trampoline_kernelINS0_14default_configENS1_25transform_config_selectorIlLb0EEEZNS1_14transform_implILb0ES3_S5_NS0_18transform_iteratorINS0_17counting_iteratorImlEEZNS1_24adjacent_difference_implIS3_Lb1ELb0EPlSB_ZN2at6native12_GLOBAL__N_124unique_dim_cuda_templateIbEESt5tupleIJNSC_6TensorESH_SH_EERKSH_lbbbEUlllE1_EE10hipError_tPvRmT2_T3_mT4_P12ihipStream_tbEUlmE_lEESB_NS0_8identityIvEEEESM_SP_SQ_mSR_ST_bEUlT_E_NS1_11comp_targetILNS1_3genE8ELNS1_11target_archE1030ELNS1_3gpuE2ELNS1_3repE0EEENS1_30default_config_static_selectorELNS0_4arch9wavefront6targetE0EEEvT1_
    .private_segment_fixed_size: 0
    .sgpr_count:     0
    .sgpr_spill_count: 0
    .symbol:         _ZN7rocprim17ROCPRIM_400000_NS6detail17trampoline_kernelINS0_14default_configENS1_25transform_config_selectorIlLb0EEEZNS1_14transform_implILb0ES3_S5_NS0_18transform_iteratorINS0_17counting_iteratorImlEEZNS1_24adjacent_difference_implIS3_Lb1ELb0EPlSB_ZN2at6native12_GLOBAL__N_124unique_dim_cuda_templateIbEESt5tupleIJNSC_6TensorESH_SH_EERKSH_lbbbEUlllE1_EE10hipError_tPvRmT2_T3_mT4_P12ihipStream_tbEUlmE_lEESB_NS0_8identityIvEEEESM_SP_SQ_mSR_ST_bEUlT_E_NS1_11comp_targetILNS1_3genE8ELNS1_11target_archE1030ELNS1_3gpuE2ELNS1_3repE0EEENS1_30default_config_static_selectorELNS0_4arch9wavefront6targetE0EEEvT1_.kd
    .uniform_work_group_size: 1
    .uses_dynamic_stack: false
    .vgpr_count:     0
    .vgpr_spill_count: 0
    .wavefront_size: 32
  - .args:
      - .offset:         0
        .size:           64
        .value_kind:     by_value
    .group_segment_fixed_size: 8448
    .kernarg_segment_align: 8
    .kernarg_segment_size: 64
    .language:       OpenCL C
    .language_version:
      - 2
      - 0
    .max_flat_workgroup_size: 512
    .name:           _ZN7rocprim17ROCPRIM_400000_NS6detail17trampoline_kernelINS0_14default_configENS1_35adjacent_difference_config_selectorILb1ElEEZNS1_24adjacent_difference_implIS3_Lb1ELb0EPlS7_ZN2at6native12_GLOBAL__N_124unique_dim_cuda_templateIbEESt5tupleIJNS8_6TensorESD_SD_EERKSD_lbbbEUlllE1_EE10hipError_tPvRmT2_T3_mT4_P12ihipStream_tbEUlT_E_NS1_11comp_targetILNS1_3genE0ELNS1_11target_archE4294967295ELNS1_3gpuE0ELNS1_3repE0EEENS1_30default_config_static_selectorELNS0_4arch9wavefront6targetE0EEEvT1_
    .private_segment_fixed_size: 0
    .sgpr_count:     31
    .sgpr_spill_count: 0
    .symbol:         _ZN7rocprim17ROCPRIM_400000_NS6detail17trampoline_kernelINS0_14default_configENS1_35adjacent_difference_config_selectorILb1ElEEZNS1_24adjacent_difference_implIS3_Lb1ELb0EPlS7_ZN2at6native12_GLOBAL__N_124unique_dim_cuda_templateIbEESt5tupleIJNS8_6TensorESD_SD_EERKSD_lbbbEUlllE1_EE10hipError_tPvRmT2_T3_mT4_P12ihipStream_tbEUlT_E_NS1_11comp_targetILNS1_3genE0ELNS1_11target_archE4294967295ELNS1_3gpuE0ELNS1_3repE0EEENS1_30default_config_static_selectorELNS0_4arch9wavefront6targetE0EEEvT1_.kd
    .uniform_work_group_size: 1
    .uses_dynamic_stack: false
    .vgpr_count:     16
    .vgpr_spill_count: 0
    .wavefront_size: 32
  - .args:
      - .offset:         0
        .size:           64
        .value_kind:     by_value
    .group_segment_fixed_size: 0
    .kernarg_segment_align: 8
    .kernarg_segment_size: 64
    .language:       OpenCL C
    .language_version:
      - 2
      - 0
    .max_flat_workgroup_size: 32
    .name:           _ZN7rocprim17ROCPRIM_400000_NS6detail17trampoline_kernelINS0_14default_configENS1_35adjacent_difference_config_selectorILb1ElEEZNS1_24adjacent_difference_implIS3_Lb1ELb0EPlS7_ZN2at6native12_GLOBAL__N_124unique_dim_cuda_templateIbEESt5tupleIJNS8_6TensorESD_SD_EERKSD_lbbbEUlllE1_EE10hipError_tPvRmT2_T3_mT4_P12ihipStream_tbEUlT_E_NS1_11comp_targetILNS1_3genE10ELNS1_11target_archE1201ELNS1_3gpuE5ELNS1_3repE0EEENS1_30default_config_static_selectorELNS0_4arch9wavefront6targetE0EEEvT1_
    .private_segment_fixed_size: 0
    .sgpr_count:     0
    .sgpr_spill_count: 0
    .symbol:         _ZN7rocprim17ROCPRIM_400000_NS6detail17trampoline_kernelINS0_14default_configENS1_35adjacent_difference_config_selectorILb1ElEEZNS1_24adjacent_difference_implIS3_Lb1ELb0EPlS7_ZN2at6native12_GLOBAL__N_124unique_dim_cuda_templateIbEESt5tupleIJNS8_6TensorESD_SD_EERKSD_lbbbEUlllE1_EE10hipError_tPvRmT2_T3_mT4_P12ihipStream_tbEUlT_E_NS1_11comp_targetILNS1_3genE10ELNS1_11target_archE1201ELNS1_3gpuE5ELNS1_3repE0EEENS1_30default_config_static_selectorELNS0_4arch9wavefront6targetE0EEEvT1_.kd
    .uniform_work_group_size: 1
    .uses_dynamic_stack: false
    .vgpr_count:     0
    .vgpr_spill_count: 0
    .wavefront_size: 32
  - .args:
      - .offset:         0
        .size:           64
        .value_kind:     by_value
    .group_segment_fixed_size: 0
    .kernarg_segment_align: 8
    .kernarg_segment_size: 64
    .language:       OpenCL C
    .language_version:
      - 2
      - 0
    .max_flat_workgroup_size: 256
    .name:           _ZN7rocprim17ROCPRIM_400000_NS6detail17trampoline_kernelINS0_14default_configENS1_35adjacent_difference_config_selectorILb1ElEEZNS1_24adjacent_difference_implIS3_Lb1ELb0EPlS7_ZN2at6native12_GLOBAL__N_124unique_dim_cuda_templateIbEESt5tupleIJNS8_6TensorESD_SD_EERKSD_lbbbEUlllE1_EE10hipError_tPvRmT2_T3_mT4_P12ihipStream_tbEUlT_E_NS1_11comp_targetILNS1_3genE5ELNS1_11target_archE942ELNS1_3gpuE9ELNS1_3repE0EEENS1_30default_config_static_selectorELNS0_4arch9wavefront6targetE0EEEvT1_
    .private_segment_fixed_size: 0
    .sgpr_count:     0
    .sgpr_spill_count: 0
    .symbol:         _ZN7rocprim17ROCPRIM_400000_NS6detail17trampoline_kernelINS0_14default_configENS1_35adjacent_difference_config_selectorILb1ElEEZNS1_24adjacent_difference_implIS3_Lb1ELb0EPlS7_ZN2at6native12_GLOBAL__N_124unique_dim_cuda_templateIbEESt5tupleIJNS8_6TensorESD_SD_EERKSD_lbbbEUlllE1_EE10hipError_tPvRmT2_T3_mT4_P12ihipStream_tbEUlT_E_NS1_11comp_targetILNS1_3genE5ELNS1_11target_archE942ELNS1_3gpuE9ELNS1_3repE0EEENS1_30default_config_static_selectorELNS0_4arch9wavefront6targetE0EEEvT1_.kd
    .uniform_work_group_size: 1
    .uses_dynamic_stack: false
    .vgpr_count:     0
    .vgpr_spill_count: 0
    .wavefront_size: 32
  - .args:
      - .offset:         0
        .size:           64
        .value_kind:     by_value
    .group_segment_fixed_size: 0
    .kernarg_segment_align: 8
    .kernarg_segment_size: 64
    .language:       OpenCL C
    .language_version:
      - 2
      - 0
    .max_flat_workgroup_size: 512
    .name:           _ZN7rocprim17ROCPRIM_400000_NS6detail17trampoline_kernelINS0_14default_configENS1_35adjacent_difference_config_selectorILb1ElEEZNS1_24adjacent_difference_implIS3_Lb1ELb0EPlS7_ZN2at6native12_GLOBAL__N_124unique_dim_cuda_templateIbEESt5tupleIJNS8_6TensorESD_SD_EERKSD_lbbbEUlllE1_EE10hipError_tPvRmT2_T3_mT4_P12ihipStream_tbEUlT_E_NS1_11comp_targetILNS1_3genE4ELNS1_11target_archE910ELNS1_3gpuE8ELNS1_3repE0EEENS1_30default_config_static_selectorELNS0_4arch9wavefront6targetE0EEEvT1_
    .private_segment_fixed_size: 0
    .sgpr_count:     0
    .sgpr_spill_count: 0
    .symbol:         _ZN7rocprim17ROCPRIM_400000_NS6detail17trampoline_kernelINS0_14default_configENS1_35adjacent_difference_config_selectorILb1ElEEZNS1_24adjacent_difference_implIS3_Lb1ELb0EPlS7_ZN2at6native12_GLOBAL__N_124unique_dim_cuda_templateIbEESt5tupleIJNS8_6TensorESD_SD_EERKSD_lbbbEUlllE1_EE10hipError_tPvRmT2_T3_mT4_P12ihipStream_tbEUlT_E_NS1_11comp_targetILNS1_3genE4ELNS1_11target_archE910ELNS1_3gpuE8ELNS1_3repE0EEENS1_30default_config_static_selectorELNS0_4arch9wavefront6targetE0EEEvT1_.kd
    .uniform_work_group_size: 1
    .uses_dynamic_stack: false
    .vgpr_count:     0
    .vgpr_spill_count: 0
    .wavefront_size: 32
  - .args:
      - .offset:         0
        .size:           64
        .value_kind:     by_value
    .group_segment_fixed_size: 0
    .kernarg_segment_align: 8
    .kernarg_segment_size: 64
    .language:       OpenCL C
    .language_version:
      - 2
      - 0
    .max_flat_workgroup_size: 512
    .name:           _ZN7rocprim17ROCPRIM_400000_NS6detail17trampoline_kernelINS0_14default_configENS1_35adjacent_difference_config_selectorILb1ElEEZNS1_24adjacent_difference_implIS3_Lb1ELb0EPlS7_ZN2at6native12_GLOBAL__N_124unique_dim_cuda_templateIbEESt5tupleIJNS8_6TensorESD_SD_EERKSD_lbbbEUlllE1_EE10hipError_tPvRmT2_T3_mT4_P12ihipStream_tbEUlT_E_NS1_11comp_targetILNS1_3genE3ELNS1_11target_archE908ELNS1_3gpuE7ELNS1_3repE0EEENS1_30default_config_static_selectorELNS0_4arch9wavefront6targetE0EEEvT1_
    .private_segment_fixed_size: 0
    .sgpr_count:     0
    .sgpr_spill_count: 0
    .symbol:         _ZN7rocprim17ROCPRIM_400000_NS6detail17trampoline_kernelINS0_14default_configENS1_35adjacent_difference_config_selectorILb1ElEEZNS1_24adjacent_difference_implIS3_Lb1ELb0EPlS7_ZN2at6native12_GLOBAL__N_124unique_dim_cuda_templateIbEESt5tupleIJNS8_6TensorESD_SD_EERKSD_lbbbEUlllE1_EE10hipError_tPvRmT2_T3_mT4_P12ihipStream_tbEUlT_E_NS1_11comp_targetILNS1_3genE3ELNS1_11target_archE908ELNS1_3gpuE7ELNS1_3repE0EEENS1_30default_config_static_selectorELNS0_4arch9wavefront6targetE0EEEvT1_.kd
    .uniform_work_group_size: 1
    .uses_dynamic_stack: false
    .vgpr_count:     0
    .vgpr_spill_count: 0
    .wavefront_size: 32
  - .args:
      - .offset:         0
        .size:           64
        .value_kind:     by_value
    .group_segment_fixed_size: 0
    .kernarg_segment_align: 8
    .kernarg_segment_size: 64
    .language:       OpenCL C
    .language_version:
      - 2
      - 0
    .max_flat_workgroup_size: 128
    .name:           _ZN7rocprim17ROCPRIM_400000_NS6detail17trampoline_kernelINS0_14default_configENS1_35adjacent_difference_config_selectorILb1ElEEZNS1_24adjacent_difference_implIS3_Lb1ELb0EPlS7_ZN2at6native12_GLOBAL__N_124unique_dim_cuda_templateIbEESt5tupleIJNS8_6TensorESD_SD_EERKSD_lbbbEUlllE1_EE10hipError_tPvRmT2_T3_mT4_P12ihipStream_tbEUlT_E_NS1_11comp_targetILNS1_3genE2ELNS1_11target_archE906ELNS1_3gpuE6ELNS1_3repE0EEENS1_30default_config_static_selectorELNS0_4arch9wavefront6targetE0EEEvT1_
    .private_segment_fixed_size: 0
    .sgpr_count:     0
    .sgpr_spill_count: 0
    .symbol:         _ZN7rocprim17ROCPRIM_400000_NS6detail17trampoline_kernelINS0_14default_configENS1_35adjacent_difference_config_selectorILb1ElEEZNS1_24adjacent_difference_implIS3_Lb1ELb0EPlS7_ZN2at6native12_GLOBAL__N_124unique_dim_cuda_templateIbEESt5tupleIJNS8_6TensorESD_SD_EERKSD_lbbbEUlllE1_EE10hipError_tPvRmT2_T3_mT4_P12ihipStream_tbEUlT_E_NS1_11comp_targetILNS1_3genE2ELNS1_11target_archE906ELNS1_3gpuE6ELNS1_3repE0EEENS1_30default_config_static_selectorELNS0_4arch9wavefront6targetE0EEEvT1_.kd
    .uniform_work_group_size: 1
    .uses_dynamic_stack: false
    .vgpr_count:     0
    .vgpr_spill_count: 0
    .wavefront_size: 32
  - .args:
      - .offset:         0
        .size:           64
        .value_kind:     by_value
    .group_segment_fixed_size: 0
    .kernarg_segment_align: 8
    .kernarg_segment_size: 64
    .language:       OpenCL C
    .language_version:
      - 2
      - 0
    .max_flat_workgroup_size: 128
    .name:           _ZN7rocprim17ROCPRIM_400000_NS6detail17trampoline_kernelINS0_14default_configENS1_35adjacent_difference_config_selectorILb1ElEEZNS1_24adjacent_difference_implIS3_Lb1ELb0EPlS7_ZN2at6native12_GLOBAL__N_124unique_dim_cuda_templateIbEESt5tupleIJNS8_6TensorESD_SD_EERKSD_lbbbEUlllE1_EE10hipError_tPvRmT2_T3_mT4_P12ihipStream_tbEUlT_E_NS1_11comp_targetILNS1_3genE9ELNS1_11target_archE1100ELNS1_3gpuE3ELNS1_3repE0EEENS1_30default_config_static_selectorELNS0_4arch9wavefront6targetE0EEEvT1_
    .private_segment_fixed_size: 0
    .sgpr_count:     0
    .sgpr_spill_count: 0
    .symbol:         _ZN7rocprim17ROCPRIM_400000_NS6detail17trampoline_kernelINS0_14default_configENS1_35adjacent_difference_config_selectorILb1ElEEZNS1_24adjacent_difference_implIS3_Lb1ELb0EPlS7_ZN2at6native12_GLOBAL__N_124unique_dim_cuda_templateIbEESt5tupleIJNS8_6TensorESD_SD_EERKSD_lbbbEUlllE1_EE10hipError_tPvRmT2_T3_mT4_P12ihipStream_tbEUlT_E_NS1_11comp_targetILNS1_3genE9ELNS1_11target_archE1100ELNS1_3gpuE3ELNS1_3repE0EEENS1_30default_config_static_selectorELNS0_4arch9wavefront6targetE0EEEvT1_.kd
    .uniform_work_group_size: 1
    .uses_dynamic_stack: false
    .vgpr_count:     0
    .vgpr_spill_count: 0
    .wavefront_size: 32
  - .args:
      - .offset:         0
        .size:           64
        .value_kind:     by_value
    .group_segment_fixed_size: 0
    .kernarg_segment_align: 8
    .kernarg_segment_size: 64
    .language:       OpenCL C
    .language_version:
      - 2
      - 0
    .max_flat_workgroup_size: 32
    .name:           _ZN7rocprim17ROCPRIM_400000_NS6detail17trampoline_kernelINS0_14default_configENS1_35adjacent_difference_config_selectorILb1ElEEZNS1_24adjacent_difference_implIS3_Lb1ELb0EPlS7_ZN2at6native12_GLOBAL__N_124unique_dim_cuda_templateIbEESt5tupleIJNS8_6TensorESD_SD_EERKSD_lbbbEUlllE1_EE10hipError_tPvRmT2_T3_mT4_P12ihipStream_tbEUlT_E_NS1_11comp_targetILNS1_3genE8ELNS1_11target_archE1030ELNS1_3gpuE2ELNS1_3repE0EEENS1_30default_config_static_selectorELNS0_4arch9wavefront6targetE0EEEvT1_
    .private_segment_fixed_size: 0
    .sgpr_count:     0
    .sgpr_spill_count: 0
    .symbol:         _ZN7rocprim17ROCPRIM_400000_NS6detail17trampoline_kernelINS0_14default_configENS1_35adjacent_difference_config_selectorILb1ElEEZNS1_24adjacent_difference_implIS3_Lb1ELb0EPlS7_ZN2at6native12_GLOBAL__N_124unique_dim_cuda_templateIbEESt5tupleIJNS8_6TensorESD_SD_EERKSD_lbbbEUlllE1_EE10hipError_tPvRmT2_T3_mT4_P12ihipStream_tbEUlT_E_NS1_11comp_targetILNS1_3genE8ELNS1_11target_archE1030ELNS1_3gpuE2ELNS1_3repE0EEENS1_30default_config_static_selectorELNS0_4arch9wavefront6targetE0EEEvT1_.kd
    .uniform_work_group_size: 1
    .uses_dynamic_stack: false
    .vgpr_count:     0
    .vgpr_spill_count: 0
    .wavefront_size: 32
  - .args:
      - .offset:         0
        .size:           120
        .value_kind:     by_value
    .group_segment_fixed_size: 28680
    .kernarg_segment_align: 8
    .kernarg_segment_size: 120
    .language:       OpenCL C
    .language_version:
      - 2
      - 0
    .max_flat_workgroup_size: 512
    .name:           _ZN7rocprim17ROCPRIM_400000_NS6detail17trampoline_kernelINS0_14default_configENS1_25partition_config_selectorILNS1_17partition_subalgoE8ElNS0_10empty_typeEbEEZZNS1_14partition_implILS5_8ELb0ES3_jPlPS6_PKS6_NS0_5tupleIJS9_S6_EEENSD_IJSA_SA_EEENS0_18inequality_wrapperIZN2at6native12_GLOBAL__N_124unique_dim_cuda_templateIbEESt5tupleIJNSH_6TensorESM_SM_EERKSM_lbbbEUlllE0_EEPmJS6_EEE10hipError_tPvRmT3_T4_T5_T6_T7_T9_mT8_P12ihipStream_tbDpT10_ENKUlT_T0_E_clISt17integral_constantIbLb0EES1C_EEDaS17_S18_EUlS17_E_NS1_11comp_targetILNS1_3genE0ELNS1_11target_archE4294967295ELNS1_3gpuE0ELNS1_3repE0EEENS1_30default_config_static_selectorELNS0_4arch9wavefront6targetE0EEEvT1_
    .private_segment_fixed_size: 0
    .sgpr_count:     36
    .sgpr_spill_count: 0
    .symbol:         _ZN7rocprim17ROCPRIM_400000_NS6detail17trampoline_kernelINS0_14default_configENS1_25partition_config_selectorILNS1_17partition_subalgoE8ElNS0_10empty_typeEbEEZZNS1_14partition_implILS5_8ELb0ES3_jPlPS6_PKS6_NS0_5tupleIJS9_S6_EEENSD_IJSA_SA_EEENS0_18inequality_wrapperIZN2at6native12_GLOBAL__N_124unique_dim_cuda_templateIbEESt5tupleIJNSH_6TensorESM_SM_EERKSM_lbbbEUlllE0_EEPmJS6_EEE10hipError_tPvRmT3_T4_T5_T6_T7_T9_mT8_P12ihipStream_tbDpT10_ENKUlT_T0_E_clISt17integral_constantIbLb0EES1C_EEDaS17_S18_EUlS17_E_NS1_11comp_targetILNS1_3genE0ELNS1_11target_archE4294967295ELNS1_3gpuE0ELNS1_3repE0EEENS1_30default_config_static_selectorELNS0_4arch9wavefront6targetE0EEEvT1_.kd
    .uniform_work_group_size: 1
    .uses_dynamic_stack: false
    .vgpr_count:     54
    .vgpr_spill_count: 0
    .wavefront_size: 32
  - .args:
      - .offset:         0
        .size:           120
        .value_kind:     by_value
    .group_segment_fixed_size: 0
    .kernarg_segment_align: 8
    .kernarg_segment_size: 120
    .language:       OpenCL C
    .language_version:
      - 2
      - 0
    .max_flat_workgroup_size: 512
    .name:           _ZN7rocprim17ROCPRIM_400000_NS6detail17trampoline_kernelINS0_14default_configENS1_25partition_config_selectorILNS1_17partition_subalgoE8ElNS0_10empty_typeEbEEZZNS1_14partition_implILS5_8ELb0ES3_jPlPS6_PKS6_NS0_5tupleIJS9_S6_EEENSD_IJSA_SA_EEENS0_18inequality_wrapperIZN2at6native12_GLOBAL__N_124unique_dim_cuda_templateIbEESt5tupleIJNSH_6TensorESM_SM_EERKSM_lbbbEUlllE0_EEPmJS6_EEE10hipError_tPvRmT3_T4_T5_T6_T7_T9_mT8_P12ihipStream_tbDpT10_ENKUlT_T0_E_clISt17integral_constantIbLb0EES1C_EEDaS17_S18_EUlS17_E_NS1_11comp_targetILNS1_3genE5ELNS1_11target_archE942ELNS1_3gpuE9ELNS1_3repE0EEENS1_30default_config_static_selectorELNS0_4arch9wavefront6targetE0EEEvT1_
    .private_segment_fixed_size: 0
    .sgpr_count:     0
    .sgpr_spill_count: 0
    .symbol:         _ZN7rocprim17ROCPRIM_400000_NS6detail17trampoline_kernelINS0_14default_configENS1_25partition_config_selectorILNS1_17partition_subalgoE8ElNS0_10empty_typeEbEEZZNS1_14partition_implILS5_8ELb0ES3_jPlPS6_PKS6_NS0_5tupleIJS9_S6_EEENSD_IJSA_SA_EEENS0_18inequality_wrapperIZN2at6native12_GLOBAL__N_124unique_dim_cuda_templateIbEESt5tupleIJNSH_6TensorESM_SM_EERKSM_lbbbEUlllE0_EEPmJS6_EEE10hipError_tPvRmT3_T4_T5_T6_T7_T9_mT8_P12ihipStream_tbDpT10_ENKUlT_T0_E_clISt17integral_constantIbLb0EES1C_EEDaS17_S18_EUlS17_E_NS1_11comp_targetILNS1_3genE5ELNS1_11target_archE942ELNS1_3gpuE9ELNS1_3repE0EEENS1_30default_config_static_selectorELNS0_4arch9wavefront6targetE0EEEvT1_.kd
    .uniform_work_group_size: 1
    .uses_dynamic_stack: false
    .vgpr_count:     0
    .vgpr_spill_count: 0
    .wavefront_size: 32
  - .args:
      - .offset:         0
        .size:           120
        .value_kind:     by_value
    .group_segment_fixed_size: 0
    .kernarg_segment_align: 8
    .kernarg_segment_size: 120
    .language:       OpenCL C
    .language_version:
      - 2
      - 0
    .max_flat_workgroup_size: 256
    .name:           _ZN7rocprim17ROCPRIM_400000_NS6detail17trampoline_kernelINS0_14default_configENS1_25partition_config_selectorILNS1_17partition_subalgoE8ElNS0_10empty_typeEbEEZZNS1_14partition_implILS5_8ELb0ES3_jPlPS6_PKS6_NS0_5tupleIJS9_S6_EEENSD_IJSA_SA_EEENS0_18inequality_wrapperIZN2at6native12_GLOBAL__N_124unique_dim_cuda_templateIbEESt5tupleIJNSH_6TensorESM_SM_EERKSM_lbbbEUlllE0_EEPmJS6_EEE10hipError_tPvRmT3_T4_T5_T6_T7_T9_mT8_P12ihipStream_tbDpT10_ENKUlT_T0_E_clISt17integral_constantIbLb0EES1C_EEDaS17_S18_EUlS17_E_NS1_11comp_targetILNS1_3genE4ELNS1_11target_archE910ELNS1_3gpuE8ELNS1_3repE0EEENS1_30default_config_static_selectorELNS0_4arch9wavefront6targetE0EEEvT1_
    .private_segment_fixed_size: 0
    .sgpr_count:     0
    .sgpr_spill_count: 0
    .symbol:         _ZN7rocprim17ROCPRIM_400000_NS6detail17trampoline_kernelINS0_14default_configENS1_25partition_config_selectorILNS1_17partition_subalgoE8ElNS0_10empty_typeEbEEZZNS1_14partition_implILS5_8ELb0ES3_jPlPS6_PKS6_NS0_5tupleIJS9_S6_EEENSD_IJSA_SA_EEENS0_18inequality_wrapperIZN2at6native12_GLOBAL__N_124unique_dim_cuda_templateIbEESt5tupleIJNSH_6TensorESM_SM_EERKSM_lbbbEUlllE0_EEPmJS6_EEE10hipError_tPvRmT3_T4_T5_T6_T7_T9_mT8_P12ihipStream_tbDpT10_ENKUlT_T0_E_clISt17integral_constantIbLb0EES1C_EEDaS17_S18_EUlS17_E_NS1_11comp_targetILNS1_3genE4ELNS1_11target_archE910ELNS1_3gpuE8ELNS1_3repE0EEENS1_30default_config_static_selectorELNS0_4arch9wavefront6targetE0EEEvT1_.kd
    .uniform_work_group_size: 1
    .uses_dynamic_stack: false
    .vgpr_count:     0
    .vgpr_spill_count: 0
    .wavefront_size: 32
  - .args:
      - .offset:         0
        .size:           120
        .value_kind:     by_value
    .group_segment_fixed_size: 0
    .kernarg_segment_align: 8
    .kernarg_segment_size: 120
    .language:       OpenCL C
    .language_version:
      - 2
      - 0
    .max_flat_workgroup_size: 512
    .name:           _ZN7rocprim17ROCPRIM_400000_NS6detail17trampoline_kernelINS0_14default_configENS1_25partition_config_selectorILNS1_17partition_subalgoE8ElNS0_10empty_typeEbEEZZNS1_14partition_implILS5_8ELb0ES3_jPlPS6_PKS6_NS0_5tupleIJS9_S6_EEENSD_IJSA_SA_EEENS0_18inequality_wrapperIZN2at6native12_GLOBAL__N_124unique_dim_cuda_templateIbEESt5tupleIJNSH_6TensorESM_SM_EERKSM_lbbbEUlllE0_EEPmJS6_EEE10hipError_tPvRmT3_T4_T5_T6_T7_T9_mT8_P12ihipStream_tbDpT10_ENKUlT_T0_E_clISt17integral_constantIbLb0EES1C_EEDaS17_S18_EUlS17_E_NS1_11comp_targetILNS1_3genE3ELNS1_11target_archE908ELNS1_3gpuE7ELNS1_3repE0EEENS1_30default_config_static_selectorELNS0_4arch9wavefront6targetE0EEEvT1_
    .private_segment_fixed_size: 0
    .sgpr_count:     0
    .sgpr_spill_count: 0
    .symbol:         _ZN7rocprim17ROCPRIM_400000_NS6detail17trampoline_kernelINS0_14default_configENS1_25partition_config_selectorILNS1_17partition_subalgoE8ElNS0_10empty_typeEbEEZZNS1_14partition_implILS5_8ELb0ES3_jPlPS6_PKS6_NS0_5tupleIJS9_S6_EEENSD_IJSA_SA_EEENS0_18inequality_wrapperIZN2at6native12_GLOBAL__N_124unique_dim_cuda_templateIbEESt5tupleIJNSH_6TensorESM_SM_EERKSM_lbbbEUlllE0_EEPmJS6_EEE10hipError_tPvRmT3_T4_T5_T6_T7_T9_mT8_P12ihipStream_tbDpT10_ENKUlT_T0_E_clISt17integral_constantIbLb0EES1C_EEDaS17_S18_EUlS17_E_NS1_11comp_targetILNS1_3genE3ELNS1_11target_archE908ELNS1_3gpuE7ELNS1_3repE0EEENS1_30default_config_static_selectorELNS0_4arch9wavefront6targetE0EEEvT1_.kd
    .uniform_work_group_size: 1
    .uses_dynamic_stack: false
    .vgpr_count:     0
    .vgpr_spill_count: 0
    .wavefront_size: 32
  - .args:
      - .offset:         0
        .size:           120
        .value_kind:     by_value
    .group_segment_fixed_size: 0
    .kernarg_segment_align: 8
    .kernarg_segment_size: 120
    .language:       OpenCL C
    .language_version:
      - 2
      - 0
    .max_flat_workgroup_size: 256
    .name:           _ZN7rocprim17ROCPRIM_400000_NS6detail17trampoline_kernelINS0_14default_configENS1_25partition_config_selectorILNS1_17partition_subalgoE8ElNS0_10empty_typeEbEEZZNS1_14partition_implILS5_8ELb0ES3_jPlPS6_PKS6_NS0_5tupleIJS9_S6_EEENSD_IJSA_SA_EEENS0_18inequality_wrapperIZN2at6native12_GLOBAL__N_124unique_dim_cuda_templateIbEESt5tupleIJNSH_6TensorESM_SM_EERKSM_lbbbEUlllE0_EEPmJS6_EEE10hipError_tPvRmT3_T4_T5_T6_T7_T9_mT8_P12ihipStream_tbDpT10_ENKUlT_T0_E_clISt17integral_constantIbLb0EES1C_EEDaS17_S18_EUlS17_E_NS1_11comp_targetILNS1_3genE2ELNS1_11target_archE906ELNS1_3gpuE6ELNS1_3repE0EEENS1_30default_config_static_selectorELNS0_4arch9wavefront6targetE0EEEvT1_
    .private_segment_fixed_size: 0
    .sgpr_count:     0
    .sgpr_spill_count: 0
    .symbol:         _ZN7rocprim17ROCPRIM_400000_NS6detail17trampoline_kernelINS0_14default_configENS1_25partition_config_selectorILNS1_17partition_subalgoE8ElNS0_10empty_typeEbEEZZNS1_14partition_implILS5_8ELb0ES3_jPlPS6_PKS6_NS0_5tupleIJS9_S6_EEENSD_IJSA_SA_EEENS0_18inequality_wrapperIZN2at6native12_GLOBAL__N_124unique_dim_cuda_templateIbEESt5tupleIJNSH_6TensorESM_SM_EERKSM_lbbbEUlllE0_EEPmJS6_EEE10hipError_tPvRmT3_T4_T5_T6_T7_T9_mT8_P12ihipStream_tbDpT10_ENKUlT_T0_E_clISt17integral_constantIbLb0EES1C_EEDaS17_S18_EUlS17_E_NS1_11comp_targetILNS1_3genE2ELNS1_11target_archE906ELNS1_3gpuE6ELNS1_3repE0EEENS1_30default_config_static_selectorELNS0_4arch9wavefront6targetE0EEEvT1_.kd
    .uniform_work_group_size: 1
    .uses_dynamic_stack: false
    .vgpr_count:     0
    .vgpr_spill_count: 0
    .wavefront_size: 32
  - .args:
      - .offset:         0
        .size:           120
        .value_kind:     by_value
    .group_segment_fixed_size: 0
    .kernarg_segment_align: 8
    .kernarg_segment_size: 120
    .language:       OpenCL C
    .language_version:
      - 2
      - 0
    .max_flat_workgroup_size: 384
    .name:           _ZN7rocprim17ROCPRIM_400000_NS6detail17trampoline_kernelINS0_14default_configENS1_25partition_config_selectorILNS1_17partition_subalgoE8ElNS0_10empty_typeEbEEZZNS1_14partition_implILS5_8ELb0ES3_jPlPS6_PKS6_NS0_5tupleIJS9_S6_EEENSD_IJSA_SA_EEENS0_18inequality_wrapperIZN2at6native12_GLOBAL__N_124unique_dim_cuda_templateIbEESt5tupleIJNSH_6TensorESM_SM_EERKSM_lbbbEUlllE0_EEPmJS6_EEE10hipError_tPvRmT3_T4_T5_T6_T7_T9_mT8_P12ihipStream_tbDpT10_ENKUlT_T0_E_clISt17integral_constantIbLb0EES1C_EEDaS17_S18_EUlS17_E_NS1_11comp_targetILNS1_3genE10ELNS1_11target_archE1200ELNS1_3gpuE4ELNS1_3repE0EEENS1_30default_config_static_selectorELNS0_4arch9wavefront6targetE0EEEvT1_
    .private_segment_fixed_size: 0
    .sgpr_count:     0
    .sgpr_spill_count: 0
    .symbol:         _ZN7rocprim17ROCPRIM_400000_NS6detail17trampoline_kernelINS0_14default_configENS1_25partition_config_selectorILNS1_17partition_subalgoE8ElNS0_10empty_typeEbEEZZNS1_14partition_implILS5_8ELb0ES3_jPlPS6_PKS6_NS0_5tupleIJS9_S6_EEENSD_IJSA_SA_EEENS0_18inequality_wrapperIZN2at6native12_GLOBAL__N_124unique_dim_cuda_templateIbEESt5tupleIJNSH_6TensorESM_SM_EERKSM_lbbbEUlllE0_EEPmJS6_EEE10hipError_tPvRmT3_T4_T5_T6_T7_T9_mT8_P12ihipStream_tbDpT10_ENKUlT_T0_E_clISt17integral_constantIbLb0EES1C_EEDaS17_S18_EUlS17_E_NS1_11comp_targetILNS1_3genE10ELNS1_11target_archE1200ELNS1_3gpuE4ELNS1_3repE0EEENS1_30default_config_static_selectorELNS0_4arch9wavefront6targetE0EEEvT1_.kd
    .uniform_work_group_size: 1
    .uses_dynamic_stack: false
    .vgpr_count:     0
    .vgpr_spill_count: 0
    .wavefront_size: 32
  - .args:
      - .offset:         0
        .size:           120
        .value_kind:     by_value
    .group_segment_fixed_size: 0
    .kernarg_segment_align: 8
    .kernarg_segment_size: 120
    .language:       OpenCL C
    .language_version:
      - 2
      - 0
    .max_flat_workgroup_size: 512
    .name:           _ZN7rocprim17ROCPRIM_400000_NS6detail17trampoline_kernelINS0_14default_configENS1_25partition_config_selectorILNS1_17partition_subalgoE8ElNS0_10empty_typeEbEEZZNS1_14partition_implILS5_8ELb0ES3_jPlPS6_PKS6_NS0_5tupleIJS9_S6_EEENSD_IJSA_SA_EEENS0_18inequality_wrapperIZN2at6native12_GLOBAL__N_124unique_dim_cuda_templateIbEESt5tupleIJNSH_6TensorESM_SM_EERKSM_lbbbEUlllE0_EEPmJS6_EEE10hipError_tPvRmT3_T4_T5_T6_T7_T9_mT8_P12ihipStream_tbDpT10_ENKUlT_T0_E_clISt17integral_constantIbLb0EES1C_EEDaS17_S18_EUlS17_E_NS1_11comp_targetILNS1_3genE9ELNS1_11target_archE1100ELNS1_3gpuE3ELNS1_3repE0EEENS1_30default_config_static_selectorELNS0_4arch9wavefront6targetE0EEEvT1_
    .private_segment_fixed_size: 0
    .sgpr_count:     0
    .sgpr_spill_count: 0
    .symbol:         _ZN7rocprim17ROCPRIM_400000_NS6detail17trampoline_kernelINS0_14default_configENS1_25partition_config_selectorILNS1_17partition_subalgoE8ElNS0_10empty_typeEbEEZZNS1_14partition_implILS5_8ELb0ES3_jPlPS6_PKS6_NS0_5tupleIJS9_S6_EEENSD_IJSA_SA_EEENS0_18inequality_wrapperIZN2at6native12_GLOBAL__N_124unique_dim_cuda_templateIbEESt5tupleIJNSH_6TensorESM_SM_EERKSM_lbbbEUlllE0_EEPmJS6_EEE10hipError_tPvRmT3_T4_T5_T6_T7_T9_mT8_P12ihipStream_tbDpT10_ENKUlT_T0_E_clISt17integral_constantIbLb0EES1C_EEDaS17_S18_EUlS17_E_NS1_11comp_targetILNS1_3genE9ELNS1_11target_archE1100ELNS1_3gpuE3ELNS1_3repE0EEENS1_30default_config_static_selectorELNS0_4arch9wavefront6targetE0EEEvT1_.kd
    .uniform_work_group_size: 1
    .uses_dynamic_stack: false
    .vgpr_count:     0
    .vgpr_spill_count: 0
    .wavefront_size: 32
  - .args:
      - .offset:         0
        .size:           120
        .value_kind:     by_value
    .group_segment_fixed_size: 0
    .kernarg_segment_align: 8
    .kernarg_segment_size: 120
    .language:       OpenCL C
    .language_version:
      - 2
      - 0
    .max_flat_workgroup_size: 512
    .name:           _ZN7rocprim17ROCPRIM_400000_NS6detail17trampoline_kernelINS0_14default_configENS1_25partition_config_selectorILNS1_17partition_subalgoE8ElNS0_10empty_typeEbEEZZNS1_14partition_implILS5_8ELb0ES3_jPlPS6_PKS6_NS0_5tupleIJS9_S6_EEENSD_IJSA_SA_EEENS0_18inequality_wrapperIZN2at6native12_GLOBAL__N_124unique_dim_cuda_templateIbEESt5tupleIJNSH_6TensorESM_SM_EERKSM_lbbbEUlllE0_EEPmJS6_EEE10hipError_tPvRmT3_T4_T5_T6_T7_T9_mT8_P12ihipStream_tbDpT10_ENKUlT_T0_E_clISt17integral_constantIbLb0EES1C_EEDaS17_S18_EUlS17_E_NS1_11comp_targetILNS1_3genE8ELNS1_11target_archE1030ELNS1_3gpuE2ELNS1_3repE0EEENS1_30default_config_static_selectorELNS0_4arch9wavefront6targetE0EEEvT1_
    .private_segment_fixed_size: 0
    .sgpr_count:     0
    .sgpr_spill_count: 0
    .symbol:         _ZN7rocprim17ROCPRIM_400000_NS6detail17trampoline_kernelINS0_14default_configENS1_25partition_config_selectorILNS1_17partition_subalgoE8ElNS0_10empty_typeEbEEZZNS1_14partition_implILS5_8ELb0ES3_jPlPS6_PKS6_NS0_5tupleIJS9_S6_EEENSD_IJSA_SA_EEENS0_18inequality_wrapperIZN2at6native12_GLOBAL__N_124unique_dim_cuda_templateIbEESt5tupleIJNSH_6TensorESM_SM_EERKSM_lbbbEUlllE0_EEPmJS6_EEE10hipError_tPvRmT3_T4_T5_T6_T7_T9_mT8_P12ihipStream_tbDpT10_ENKUlT_T0_E_clISt17integral_constantIbLb0EES1C_EEDaS17_S18_EUlS17_E_NS1_11comp_targetILNS1_3genE8ELNS1_11target_archE1030ELNS1_3gpuE2ELNS1_3repE0EEENS1_30default_config_static_selectorELNS0_4arch9wavefront6targetE0EEEvT1_.kd
    .uniform_work_group_size: 1
    .uses_dynamic_stack: false
    .vgpr_count:     0
    .vgpr_spill_count: 0
    .wavefront_size: 32
  - .args:
      - .offset:         0
        .size:           136
        .value_kind:     by_value
    .group_segment_fixed_size: 0
    .kernarg_segment_align: 8
    .kernarg_segment_size: 136
    .language:       OpenCL C
    .language_version:
      - 2
      - 0
    .max_flat_workgroup_size: 512
    .name:           _ZN7rocprim17ROCPRIM_400000_NS6detail17trampoline_kernelINS0_14default_configENS1_25partition_config_selectorILNS1_17partition_subalgoE8ElNS0_10empty_typeEbEEZZNS1_14partition_implILS5_8ELb0ES3_jPlPS6_PKS6_NS0_5tupleIJS9_S6_EEENSD_IJSA_SA_EEENS0_18inequality_wrapperIZN2at6native12_GLOBAL__N_124unique_dim_cuda_templateIbEESt5tupleIJNSH_6TensorESM_SM_EERKSM_lbbbEUlllE0_EEPmJS6_EEE10hipError_tPvRmT3_T4_T5_T6_T7_T9_mT8_P12ihipStream_tbDpT10_ENKUlT_T0_E_clISt17integral_constantIbLb1EES1C_EEDaS17_S18_EUlS17_E_NS1_11comp_targetILNS1_3genE0ELNS1_11target_archE4294967295ELNS1_3gpuE0ELNS1_3repE0EEENS1_30default_config_static_selectorELNS0_4arch9wavefront6targetE0EEEvT1_
    .private_segment_fixed_size: 0
    .sgpr_count:     0
    .sgpr_spill_count: 0
    .symbol:         _ZN7rocprim17ROCPRIM_400000_NS6detail17trampoline_kernelINS0_14default_configENS1_25partition_config_selectorILNS1_17partition_subalgoE8ElNS0_10empty_typeEbEEZZNS1_14partition_implILS5_8ELb0ES3_jPlPS6_PKS6_NS0_5tupleIJS9_S6_EEENSD_IJSA_SA_EEENS0_18inequality_wrapperIZN2at6native12_GLOBAL__N_124unique_dim_cuda_templateIbEESt5tupleIJNSH_6TensorESM_SM_EERKSM_lbbbEUlllE0_EEPmJS6_EEE10hipError_tPvRmT3_T4_T5_T6_T7_T9_mT8_P12ihipStream_tbDpT10_ENKUlT_T0_E_clISt17integral_constantIbLb1EES1C_EEDaS17_S18_EUlS17_E_NS1_11comp_targetILNS1_3genE0ELNS1_11target_archE4294967295ELNS1_3gpuE0ELNS1_3repE0EEENS1_30default_config_static_selectorELNS0_4arch9wavefront6targetE0EEEvT1_.kd
    .uniform_work_group_size: 1
    .uses_dynamic_stack: false
    .vgpr_count:     0
    .vgpr_spill_count: 0
    .wavefront_size: 32
  - .args:
      - .offset:         0
        .size:           136
        .value_kind:     by_value
    .group_segment_fixed_size: 0
    .kernarg_segment_align: 8
    .kernarg_segment_size: 136
    .language:       OpenCL C
    .language_version:
      - 2
      - 0
    .max_flat_workgroup_size: 512
    .name:           _ZN7rocprim17ROCPRIM_400000_NS6detail17trampoline_kernelINS0_14default_configENS1_25partition_config_selectorILNS1_17partition_subalgoE8ElNS0_10empty_typeEbEEZZNS1_14partition_implILS5_8ELb0ES3_jPlPS6_PKS6_NS0_5tupleIJS9_S6_EEENSD_IJSA_SA_EEENS0_18inequality_wrapperIZN2at6native12_GLOBAL__N_124unique_dim_cuda_templateIbEESt5tupleIJNSH_6TensorESM_SM_EERKSM_lbbbEUlllE0_EEPmJS6_EEE10hipError_tPvRmT3_T4_T5_T6_T7_T9_mT8_P12ihipStream_tbDpT10_ENKUlT_T0_E_clISt17integral_constantIbLb1EES1C_EEDaS17_S18_EUlS17_E_NS1_11comp_targetILNS1_3genE5ELNS1_11target_archE942ELNS1_3gpuE9ELNS1_3repE0EEENS1_30default_config_static_selectorELNS0_4arch9wavefront6targetE0EEEvT1_
    .private_segment_fixed_size: 0
    .sgpr_count:     0
    .sgpr_spill_count: 0
    .symbol:         _ZN7rocprim17ROCPRIM_400000_NS6detail17trampoline_kernelINS0_14default_configENS1_25partition_config_selectorILNS1_17partition_subalgoE8ElNS0_10empty_typeEbEEZZNS1_14partition_implILS5_8ELb0ES3_jPlPS6_PKS6_NS0_5tupleIJS9_S6_EEENSD_IJSA_SA_EEENS0_18inequality_wrapperIZN2at6native12_GLOBAL__N_124unique_dim_cuda_templateIbEESt5tupleIJNSH_6TensorESM_SM_EERKSM_lbbbEUlllE0_EEPmJS6_EEE10hipError_tPvRmT3_T4_T5_T6_T7_T9_mT8_P12ihipStream_tbDpT10_ENKUlT_T0_E_clISt17integral_constantIbLb1EES1C_EEDaS17_S18_EUlS17_E_NS1_11comp_targetILNS1_3genE5ELNS1_11target_archE942ELNS1_3gpuE9ELNS1_3repE0EEENS1_30default_config_static_selectorELNS0_4arch9wavefront6targetE0EEEvT1_.kd
    .uniform_work_group_size: 1
    .uses_dynamic_stack: false
    .vgpr_count:     0
    .vgpr_spill_count: 0
    .wavefront_size: 32
  - .args:
      - .offset:         0
        .size:           136
        .value_kind:     by_value
    .group_segment_fixed_size: 0
    .kernarg_segment_align: 8
    .kernarg_segment_size: 136
    .language:       OpenCL C
    .language_version:
      - 2
      - 0
    .max_flat_workgroup_size: 256
    .name:           _ZN7rocprim17ROCPRIM_400000_NS6detail17trampoline_kernelINS0_14default_configENS1_25partition_config_selectorILNS1_17partition_subalgoE8ElNS0_10empty_typeEbEEZZNS1_14partition_implILS5_8ELb0ES3_jPlPS6_PKS6_NS0_5tupleIJS9_S6_EEENSD_IJSA_SA_EEENS0_18inequality_wrapperIZN2at6native12_GLOBAL__N_124unique_dim_cuda_templateIbEESt5tupleIJNSH_6TensorESM_SM_EERKSM_lbbbEUlllE0_EEPmJS6_EEE10hipError_tPvRmT3_T4_T5_T6_T7_T9_mT8_P12ihipStream_tbDpT10_ENKUlT_T0_E_clISt17integral_constantIbLb1EES1C_EEDaS17_S18_EUlS17_E_NS1_11comp_targetILNS1_3genE4ELNS1_11target_archE910ELNS1_3gpuE8ELNS1_3repE0EEENS1_30default_config_static_selectorELNS0_4arch9wavefront6targetE0EEEvT1_
    .private_segment_fixed_size: 0
    .sgpr_count:     0
    .sgpr_spill_count: 0
    .symbol:         _ZN7rocprim17ROCPRIM_400000_NS6detail17trampoline_kernelINS0_14default_configENS1_25partition_config_selectorILNS1_17partition_subalgoE8ElNS0_10empty_typeEbEEZZNS1_14partition_implILS5_8ELb0ES3_jPlPS6_PKS6_NS0_5tupleIJS9_S6_EEENSD_IJSA_SA_EEENS0_18inequality_wrapperIZN2at6native12_GLOBAL__N_124unique_dim_cuda_templateIbEESt5tupleIJNSH_6TensorESM_SM_EERKSM_lbbbEUlllE0_EEPmJS6_EEE10hipError_tPvRmT3_T4_T5_T6_T7_T9_mT8_P12ihipStream_tbDpT10_ENKUlT_T0_E_clISt17integral_constantIbLb1EES1C_EEDaS17_S18_EUlS17_E_NS1_11comp_targetILNS1_3genE4ELNS1_11target_archE910ELNS1_3gpuE8ELNS1_3repE0EEENS1_30default_config_static_selectorELNS0_4arch9wavefront6targetE0EEEvT1_.kd
    .uniform_work_group_size: 1
    .uses_dynamic_stack: false
    .vgpr_count:     0
    .vgpr_spill_count: 0
    .wavefront_size: 32
  - .args:
      - .offset:         0
        .size:           136
        .value_kind:     by_value
    .group_segment_fixed_size: 0
    .kernarg_segment_align: 8
    .kernarg_segment_size: 136
    .language:       OpenCL C
    .language_version:
      - 2
      - 0
    .max_flat_workgroup_size: 512
    .name:           _ZN7rocprim17ROCPRIM_400000_NS6detail17trampoline_kernelINS0_14default_configENS1_25partition_config_selectorILNS1_17partition_subalgoE8ElNS0_10empty_typeEbEEZZNS1_14partition_implILS5_8ELb0ES3_jPlPS6_PKS6_NS0_5tupleIJS9_S6_EEENSD_IJSA_SA_EEENS0_18inequality_wrapperIZN2at6native12_GLOBAL__N_124unique_dim_cuda_templateIbEESt5tupleIJNSH_6TensorESM_SM_EERKSM_lbbbEUlllE0_EEPmJS6_EEE10hipError_tPvRmT3_T4_T5_T6_T7_T9_mT8_P12ihipStream_tbDpT10_ENKUlT_T0_E_clISt17integral_constantIbLb1EES1C_EEDaS17_S18_EUlS17_E_NS1_11comp_targetILNS1_3genE3ELNS1_11target_archE908ELNS1_3gpuE7ELNS1_3repE0EEENS1_30default_config_static_selectorELNS0_4arch9wavefront6targetE0EEEvT1_
    .private_segment_fixed_size: 0
    .sgpr_count:     0
    .sgpr_spill_count: 0
    .symbol:         _ZN7rocprim17ROCPRIM_400000_NS6detail17trampoline_kernelINS0_14default_configENS1_25partition_config_selectorILNS1_17partition_subalgoE8ElNS0_10empty_typeEbEEZZNS1_14partition_implILS5_8ELb0ES3_jPlPS6_PKS6_NS0_5tupleIJS9_S6_EEENSD_IJSA_SA_EEENS0_18inequality_wrapperIZN2at6native12_GLOBAL__N_124unique_dim_cuda_templateIbEESt5tupleIJNSH_6TensorESM_SM_EERKSM_lbbbEUlllE0_EEPmJS6_EEE10hipError_tPvRmT3_T4_T5_T6_T7_T9_mT8_P12ihipStream_tbDpT10_ENKUlT_T0_E_clISt17integral_constantIbLb1EES1C_EEDaS17_S18_EUlS17_E_NS1_11comp_targetILNS1_3genE3ELNS1_11target_archE908ELNS1_3gpuE7ELNS1_3repE0EEENS1_30default_config_static_selectorELNS0_4arch9wavefront6targetE0EEEvT1_.kd
    .uniform_work_group_size: 1
    .uses_dynamic_stack: false
    .vgpr_count:     0
    .vgpr_spill_count: 0
    .wavefront_size: 32
  - .args:
      - .offset:         0
        .size:           136
        .value_kind:     by_value
    .group_segment_fixed_size: 0
    .kernarg_segment_align: 8
    .kernarg_segment_size: 136
    .language:       OpenCL C
    .language_version:
      - 2
      - 0
    .max_flat_workgroup_size: 256
    .name:           _ZN7rocprim17ROCPRIM_400000_NS6detail17trampoline_kernelINS0_14default_configENS1_25partition_config_selectorILNS1_17partition_subalgoE8ElNS0_10empty_typeEbEEZZNS1_14partition_implILS5_8ELb0ES3_jPlPS6_PKS6_NS0_5tupleIJS9_S6_EEENSD_IJSA_SA_EEENS0_18inequality_wrapperIZN2at6native12_GLOBAL__N_124unique_dim_cuda_templateIbEESt5tupleIJNSH_6TensorESM_SM_EERKSM_lbbbEUlllE0_EEPmJS6_EEE10hipError_tPvRmT3_T4_T5_T6_T7_T9_mT8_P12ihipStream_tbDpT10_ENKUlT_T0_E_clISt17integral_constantIbLb1EES1C_EEDaS17_S18_EUlS17_E_NS1_11comp_targetILNS1_3genE2ELNS1_11target_archE906ELNS1_3gpuE6ELNS1_3repE0EEENS1_30default_config_static_selectorELNS0_4arch9wavefront6targetE0EEEvT1_
    .private_segment_fixed_size: 0
    .sgpr_count:     0
    .sgpr_spill_count: 0
    .symbol:         _ZN7rocprim17ROCPRIM_400000_NS6detail17trampoline_kernelINS0_14default_configENS1_25partition_config_selectorILNS1_17partition_subalgoE8ElNS0_10empty_typeEbEEZZNS1_14partition_implILS5_8ELb0ES3_jPlPS6_PKS6_NS0_5tupleIJS9_S6_EEENSD_IJSA_SA_EEENS0_18inequality_wrapperIZN2at6native12_GLOBAL__N_124unique_dim_cuda_templateIbEESt5tupleIJNSH_6TensorESM_SM_EERKSM_lbbbEUlllE0_EEPmJS6_EEE10hipError_tPvRmT3_T4_T5_T6_T7_T9_mT8_P12ihipStream_tbDpT10_ENKUlT_T0_E_clISt17integral_constantIbLb1EES1C_EEDaS17_S18_EUlS17_E_NS1_11comp_targetILNS1_3genE2ELNS1_11target_archE906ELNS1_3gpuE6ELNS1_3repE0EEENS1_30default_config_static_selectorELNS0_4arch9wavefront6targetE0EEEvT1_.kd
    .uniform_work_group_size: 1
    .uses_dynamic_stack: false
    .vgpr_count:     0
    .vgpr_spill_count: 0
    .wavefront_size: 32
  - .args:
      - .offset:         0
        .size:           136
        .value_kind:     by_value
    .group_segment_fixed_size: 0
    .kernarg_segment_align: 8
    .kernarg_segment_size: 136
    .language:       OpenCL C
    .language_version:
      - 2
      - 0
    .max_flat_workgroup_size: 384
    .name:           _ZN7rocprim17ROCPRIM_400000_NS6detail17trampoline_kernelINS0_14default_configENS1_25partition_config_selectorILNS1_17partition_subalgoE8ElNS0_10empty_typeEbEEZZNS1_14partition_implILS5_8ELb0ES3_jPlPS6_PKS6_NS0_5tupleIJS9_S6_EEENSD_IJSA_SA_EEENS0_18inequality_wrapperIZN2at6native12_GLOBAL__N_124unique_dim_cuda_templateIbEESt5tupleIJNSH_6TensorESM_SM_EERKSM_lbbbEUlllE0_EEPmJS6_EEE10hipError_tPvRmT3_T4_T5_T6_T7_T9_mT8_P12ihipStream_tbDpT10_ENKUlT_T0_E_clISt17integral_constantIbLb1EES1C_EEDaS17_S18_EUlS17_E_NS1_11comp_targetILNS1_3genE10ELNS1_11target_archE1200ELNS1_3gpuE4ELNS1_3repE0EEENS1_30default_config_static_selectorELNS0_4arch9wavefront6targetE0EEEvT1_
    .private_segment_fixed_size: 0
    .sgpr_count:     0
    .sgpr_spill_count: 0
    .symbol:         _ZN7rocprim17ROCPRIM_400000_NS6detail17trampoline_kernelINS0_14default_configENS1_25partition_config_selectorILNS1_17partition_subalgoE8ElNS0_10empty_typeEbEEZZNS1_14partition_implILS5_8ELb0ES3_jPlPS6_PKS6_NS0_5tupleIJS9_S6_EEENSD_IJSA_SA_EEENS0_18inequality_wrapperIZN2at6native12_GLOBAL__N_124unique_dim_cuda_templateIbEESt5tupleIJNSH_6TensorESM_SM_EERKSM_lbbbEUlllE0_EEPmJS6_EEE10hipError_tPvRmT3_T4_T5_T6_T7_T9_mT8_P12ihipStream_tbDpT10_ENKUlT_T0_E_clISt17integral_constantIbLb1EES1C_EEDaS17_S18_EUlS17_E_NS1_11comp_targetILNS1_3genE10ELNS1_11target_archE1200ELNS1_3gpuE4ELNS1_3repE0EEENS1_30default_config_static_selectorELNS0_4arch9wavefront6targetE0EEEvT1_.kd
    .uniform_work_group_size: 1
    .uses_dynamic_stack: false
    .vgpr_count:     0
    .vgpr_spill_count: 0
    .wavefront_size: 32
  - .args:
      - .offset:         0
        .size:           136
        .value_kind:     by_value
    .group_segment_fixed_size: 0
    .kernarg_segment_align: 8
    .kernarg_segment_size: 136
    .language:       OpenCL C
    .language_version:
      - 2
      - 0
    .max_flat_workgroup_size: 512
    .name:           _ZN7rocprim17ROCPRIM_400000_NS6detail17trampoline_kernelINS0_14default_configENS1_25partition_config_selectorILNS1_17partition_subalgoE8ElNS0_10empty_typeEbEEZZNS1_14partition_implILS5_8ELb0ES3_jPlPS6_PKS6_NS0_5tupleIJS9_S6_EEENSD_IJSA_SA_EEENS0_18inequality_wrapperIZN2at6native12_GLOBAL__N_124unique_dim_cuda_templateIbEESt5tupleIJNSH_6TensorESM_SM_EERKSM_lbbbEUlllE0_EEPmJS6_EEE10hipError_tPvRmT3_T4_T5_T6_T7_T9_mT8_P12ihipStream_tbDpT10_ENKUlT_T0_E_clISt17integral_constantIbLb1EES1C_EEDaS17_S18_EUlS17_E_NS1_11comp_targetILNS1_3genE9ELNS1_11target_archE1100ELNS1_3gpuE3ELNS1_3repE0EEENS1_30default_config_static_selectorELNS0_4arch9wavefront6targetE0EEEvT1_
    .private_segment_fixed_size: 0
    .sgpr_count:     0
    .sgpr_spill_count: 0
    .symbol:         _ZN7rocprim17ROCPRIM_400000_NS6detail17trampoline_kernelINS0_14default_configENS1_25partition_config_selectorILNS1_17partition_subalgoE8ElNS0_10empty_typeEbEEZZNS1_14partition_implILS5_8ELb0ES3_jPlPS6_PKS6_NS0_5tupleIJS9_S6_EEENSD_IJSA_SA_EEENS0_18inequality_wrapperIZN2at6native12_GLOBAL__N_124unique_dim_cuda_templateIbEESt5tupleIJNSH_6TensorESM_SM_EERKSM_lbbbEUlllE0_EEPmJS6_EEE10hipError_tPvRmT3_T4_T5_T6_T7_T9_mT8_P12ihipStream_tbDpT10_ENKUlT_T0_E_clISt17integral_constantIbLb1EES1C_EEDaS17_S18_EUlS17_E_NS1_11comp_targetILNS1_3genE9ELNS1_11target_archE1100ELNS1_3gpuE3ELNS1_3repE0EEENS1_30default_config_static_selectorELNS0_4arch9wavefront6targetE0EEEvT1_.kd
    .uniform_work_group_size: 1
    .uses_dynamic_stack: false
    .vgpr_count:     0
    .vgpr_spill_count: 0
    .wavefront_size: 32
  - .args:
      - .offset:         0
        .size:           136
        .value_kind:     by_value
    .group_segment_fixed_size: 0
    .kernarg_segment_align: 8
    .kernarg_segment_size: 136
    .language:       OpenCL C
    .language_version:
      - 2
      - 0
    .max_flat_workgroup_size: 512
    .name:           _ZN7rocprim17ROCPRIM_400000_NS6detail17trampoline_kernelINS0_14default_configENS1_25partition_config_selectorILNS1_17partition_subalgoE8ElNS0_10empty_typeEbEEZZNS1_14partition_implILS5_8ELb0ES3_jPlPS6_PKS6_NS0_5tupleIJS9_S6_EEENSD_IJSA_SA_EEENS0_18inequality_wrapperIZN2at6native12_GLOBAL__N_124unique_dim_cuda_templateIbEESt5tupleIJNSH_6TensorESM_SM_EERKSM_lbbbEUlllE0_EEPmJS6_EEE10hipError_tPvRmT3_T4_T5_T6_T7_T9_mT8_P12ihipStream_tbDpT10_ENKUlT_T0_E_clISt17integral_constantIbLb1EES1C_EEDaS17_S18_EUlS17_E_NS1_11comp_targetILNS1_3genE8ELNS1_11target_archE1030ELNS1_3gpuE2ELNS1_3repE0EEENS1_30default_config_static_selectorELNS0_4arch9wavefront6targetE0EEEvT1_
    .private_segment_fixed_size: 0
    .sgpr_count:     0
    .sgpr_spill_count: 0
    .symbol:         _ZN7rocprim17ROCPRIM_400000_NS6detail17trampoline_kernelINS0_14default_configENS1_25partition_config_selectorILNS1_17partition_subalgoE8ElNS0_10empty_typeEbEEZZNS1_14partition_implILS5_8ELb0ES3_jPlPS6_PKS6_NS0_5tupleIJS9_S6_EEENSD_IJSA_SA_EEENS0_18inequality_wrapperIZN2at6native12_GLOBAL__N_124unique_dim_cuda_templateIbEESt5tupleIJNSH_6TensorESM_SM_EERKSM_lbbbEUlllE0_EEPmJS6_EEE10hipError_tPvRmT3_T4_T5_T6_T7_T9_mT8_P12ihipStream_tbDpT10_ENKUlT_T0_E_clISt17integral_constantIbLb1EES1C_EEDaS17_S18_EUlS17_E_NS1_11comp_targetILNS1_3genE8ELNS1_11target_archE1030ELNS1_3gpuE2ELNS1_3repE0EEENS1_30default_config_static_selectorELNS0_4arch9wavefront6targetE0EEEvT1_.kd
    .uniform_work_group_size: 1
    .uses_dynamic_stack: false
    .vgpr_count:     0
    .vgpr_spill_count: 0
    .wavefront_size: 32
  - .args:
      - .offset:         0
        .size:           120
        .value_kind:     by_value
    .group_segment_fixed_size: 0
    .kernarg_segment_align: 8
    .kernarg_segment_size: 120
    .language:       OpenCL C
    .language_version:
      - 2
      - 0
    .max_flat_workgroup_size: 512
    .name:           _ZN7rocprim17ROCPRIM_400000_NS6detail17trampoline_kernelINS0_14default_configENS1_25partition_config_selectorILNS1_17partition_subalgoE8ElNS0_10empty_typeEbEEZZNS1_14partition_implILS5_8ELb0ES3_jPlPS6_PKS6_NS0_5tupleIJS9_S6_EEENSD_IJSA_SA_EEENS0_18inequality_wrapperIZN2at6native12_GLOBAL__N_124unique_dim_cuda_templateIbEESt5tupleIJNSH_6TensorESM_SM_EERKSM_lbbbEUlllE0_EEPmJS6_EEE10hipError_tPvRmT3_T4_T5_T6_T7_T9_mT8_P12ihipStream_tbDpT10_ENKUlT_T0_E_clISt17integral_constantIbLb1EES1B_IbLb0EEEEDaS17_S18_EUlS17_E_NS1_11comp_targetILNS1_3genE0ELNS1_11target_archE4294967295ELNS1_3gpuE0ELNS1_3repE0EEENS1_30default_config_static_selectorELNS0_4arch9wavefront6targetE0EEEvT1_
    .private_segment_fixed_size: 0
    .sgpr_count:     0
    .sgpr_spill_count: 0
    .symbol:         _ZN7rocprim17ROCPRIM_400000_NS6detail17trampoline_kernelINS0_14default_configENS1_25partition_config_selectorILNS1_17partition_subalgoE8ElNS0_10empty_typeEbEEZZNS1_14partition_implILS5_8ELb0ES3_jPlPS6_PKS6_NS0_5tupleIJS9_S6_EEENSD_IJSA_SA_EEENS0_18inequality_wrapperIZN2at6native12_GLOBAL__N_124unique_dim_cuda_templateIbEESt5tupleIJNSH_6TensorESM_SM_EERKSM_lbbbEUlllE0_EEPmJS6_EEE10hipError_tPvRmT3_T4_T5_T6_T7_T9_mT8_P12ihipStream_tbDpT10_ENKUlT_T0_E_clISt17integral_constantIbLb1EES1B_IbLb0EEEEDaS17_S18_EUlS17_E_NS1_11comp_targetILNS1_3genE0ELNS1_11target_archE4294967295ELNS1_3gpuE0ELNS1_3repE0EEENS1_30default_config_static_selectorELNS0_4arch9wavefront6targetE0EEEvT1_.kd
    .uniform_work_group_size: 1
    .uses_dynamic_stack: false
    .vgpr_count:     0
    .vgpr_spill_count: 0
    .wavefront_size: 32
  - .args:
      - .offset:         0
        .size:           120
        .value_kind:     by_value
    .group_segment_fixed_size: 0
    .kernarg_segment_align: 8
    .kernarg_segment_size: 120
    .language:       OpenCL C
    .language_version:
      - 2
      - 0
    .max_flat_workgroup_size: 512
    .name:           _ZN7rocprim17ROCPRIM_400000_NS6detail17trampoline_kernelINS0_14default_configENS1_25partition_config_selectorILNS1_17partition_subalgoE8ElNS0_10empty_typeEbEEZZNS1_14partition_implILS5_8ELb0ES3_jPlPS6_PKS6_NS0_5tupleIJS9_S6_EEENSD_IJSA_SA_EEENS0_18inequality_wrapperIZN2at6native12_GLOBAL__N_124unique_dim_cuda_templateIbEESt5tupleIJNSH_6TensorESM_SM_EERKSM_lbbbEUlllE0_EEPmJS6_EEE10hipError_tPvRmT3_T4_T5_T6_T7_T9_mT8_P12ihipStream_tbDpT10_ENKUlT_T0_E_clISt17integral_constantIbLb1EES1B_IbLb0EEEEDaS17_S18_EUlS17_E_NS1_11comp_targetILNS1_3genE5ELNS1_11target_archE942ELNS1_3gpuE9ELNS1_3repE0EEENS1_30default_config_static_selectorELNS0_4arch9wavefront6targetE0EEEvT1_
    .private_segment_fixed_size: 0
    .sgpr_count:     0
    .sgpr_spill_count: 0
    .symbol:         _ZN7rocprim17ROCPRIM_400000_NS6detail17trampoline_kernelINS0_14default_configENS1_25partition_config_selectorILNS1_17partition_subalgoE8ElNS0_10empty_typeEbEEZZNS1_14partition_implILS5_8ELb0ES3_jPlPS6_PKS6_NS0_5tupleIJS9_S6_EEENSD_IJSA_SA_EEENS0_18inequality_wrapperIZN2at6native12_GLOBAL__N_124unique_dim_cuda_templateIbEESt5tupleIJNSH_6TensorESM_SM_EERKSM_lbbbEUlllE0_EEPmJS6_EEE10hipError_tPvRmT3_T4_T5_T6_T7_T9_mT8_P12ihipStream_tbDpT10_ENKUlT_T0_E_clISt17integral_constantIbLb1EES1B_IbLb0EEEEDaS17_S18_EUlS17_E_NS1_11comp_targetILNS1_3genE5ELNS1_11target_archE942ELNS1_3gpuE9ELNS1_3repE0EEENS1_30default_config_static_selectorELNS0_4arch9wavefront6targetE0EEEvT1_.kd
    .uniform_work_group_size: 1
    .uses_dynamic_stack: false
    .vgpr_count:     0
    .vgpr_spill_count: 0
    .wavefront_size: 32
  - .args:
      - .offset:         0
        .size:           120
        .value_kind:     by_value
    .group_segment_fixed_size: 0
    .kernarg_segment_align: 8
    .kernarg_segment_size: 120
    .language:       OpenCL C
    .language_version:
      - 2
      - 0
    .max_flat_workgroup_size: 256
    .name:           _ZN7rocprim17ROCPRIM_400000_NS6detail17trampoline_kernelINS0_14default_configENS1_25partition_config_selectorILNS1_17partition_subalgoE8ElNS0_10empty_typeEbEEZZNS1_14partition_implILS5_8ELb0ES3_jPlPS6_PKS6_NS0_5tupleIJS9_S6_EEENSD_IJSA_SA_EEENS0_18inequality_wrapperIZN2at6native12_GLOBAL__N_124unique_dim_cuda_templateIbEESt5tupleIJNSH_6TensorESM_SM_EERKSM_lbbbEUlllE0_EEPmJS6_EEE10hipError_tPvRmT3_T4_T5_T6_T7_T9_mT8_P12ihipStream_tbDpT10_ENKUlT_T0_E_clISt17integral_constantIbLb1EES1B_IbLb0EEEEDaS17_S18_EUlS17_E_NS1_11comp_targetILNS1_3genE4ELNS1_11target_archE910ELNS1_3gpuE8ELNS1_3repE0EEENS1_30default_config_static_selectorELNS0_4arch9wavefront6targetE0EEEvT1_
    .private_segment_fixed_size: 0
    .sgpr_count:     0
    .sgpr_spill_count: 0
    .symbol:         _ZN7rocprim17ROCPRIM_400000_NS6detail17trampoline_kernelINS0_14default_configENS1_25partition_config_selectorILNS1_17partition_subalgoE8ElNS0_10empty_typeEbEEZZNS1_14partition_implILS5_8ELb0ES3_jPlPS6_PKS6_NS0_5tupleIJS9_S6_EEENSD_IJSA_SA_EEENS0_18inequality_wrapperIZN2at6native12_GLOBAL__N_124unique_dim_cuda_templateIbEESt5tupleIJNSH_6TensorESM_SM_EERKSM_lbbbEUlllE0_EEPmJS6_EEE10hipError_tPvRmT3_T4_T5_T6_T7_T9_mT8_P12ihipStream_tbDpT10_ENKUlT_T0_E_clISt17integral_constantIbLb1EES1B_IbLb0EEEEDaS17_S18_EUlS17_E_NS1_11comp_targetILNS1_3genE4ELNS1_11target_archE910ELNS1_3gpuE8ELNS1_3repE0EEENS1_30default_config_static_selectorELNS0_4arch9wavefront6targetE0EEEvT1_.kd
    .uniform_work_group_size: 1
    .uses_dynamic_stack: false
    .vgpr_count:     0
    .vgpr_spill_count: 0
    .wavefront_size: 32
  - .args:
      - .offset:         0
        .size:           120
        .value_kind:     by_value
    .group_segment_fixed_size: 0
    .kernarg_segment_align: 8
    .kernarg_segment_size: 120
    .language:       OpenCL C
    .language_version:
      - 2
      - 0
    .max_flat_workgroup_size: 512
    .name:           _ZN7rocprim17ROCPRIM_400000_NS6detail17trampoline_kernelINS0_14default_configENS1_25partition_config_selectorILNS1_17partition_subalgoE8ElNS0_10empty_typeEbEEZZNS1_14partition_implILS5_8ELb0ES3_jPlPS6_PKS6_NS0_5tupleIJS9_S6_EEENSD_IJSA_SA_EEENS0_18inequality_wrapperIZN2at6native12_GLOBAL__N_124unique_dim_cuda_templateIbEESt5tupleIJNSH_6TensorESM_SM_EERKSM_lbbbEUlllE0_EEPmJS6_EEE10hipError_tPvRmT3_T4_T5_T6_T7_T9_mT8_P12ihipStream_tbDpT10_ENKUlT_T0_E_clISt17integral_constantIbLb1EES1B_IbLb0EEEEDaS17_S18_EUlS17_E_NS1_11comp_targetILNS1_3genE3ELNS1_11target_archE908ELNS1_3gpuE7ELNS1_3repE0EEENS1_30default_config_static_selectorELNS0_4arch9wavefront6targetE0EEEvT1_
    .private_segment_fixed_size: 0
    .sgpr_count:     0
    .sgpr_spill_count: 0
    .symbol:         _ZN7rocprim17ROCPRIM_400000_NS6detail17trampoline_kernelINS0_14default_configENS1_25partition_config_selectorILNS1_17partition_subalgoE8ElNS0_10empty_typeEbEEZZNS1_14partition_implILS5_8ELb0ES3_jPlPS6_PKS6_NS0_5tupleIJS9_S6_EEENSD_IJSA_SA_EEENS0_18inequality_wrapperIZN2at6native12_GLOBAL__N_124unique_dim_cuda_templateIbEESt5tupleIJNSH_6TensorESM_SM_EERKSM_lbbbEUlllE0_EEPmJS6_EEE10hipError_tPvRmT3_T4_T5_T6_T7_T9_mT8_P12ihipStream_tbDpT10_ENKUlT_T0_E_clISt17integral_constantIbLb1EES1B_IbLb0EEEEDaS17_S18_EUlS17_E_NS1_11comp_targetILNS1_3genE3ELNS1_11target_archE908ELNS1_3gpuE7ELNS1_3repE0EEENS1_30default_config_static_selectorELNS0_4arch9wavefront6targetE0EEEvT1_.kd
    .uniform_work_group_size: 1
    .uses_dynamic_stack: false
    .vgpr_count:     0
    .vgpr_spill_count: 0
    .wavefront_size: 32
  - .args:
      - .offset:         0
        .size:           120
        .value_kind:     by_value
    .group_segment_fixed_size: 0
    .kernarg_segment_align: 8
    .kernarg_segment_size: 120
    .language:       OpenCL C
    .language_version:
      - 2
      - 0
    .max_flat_workgroup_size: 256
    .name:           _ZN7rocprim17ROCPRIM_400000_NS6detail17trampoline_kernelINS0_14default_configENS1_25partition_config_selectorILNS1_17partition_subalgoE8ElNS0_10empty_typeEbEEZZNS1_14partition_implILS5_8ELb0ES3_jPlPS6_PKS6_NS0_5tupleIJS9_S6_EEENSD_IJSA_SA_EEENS0_18inequality_wrapperIZN2at6native12_GLOBAL__N_124unique_dim_cuda_templateIbEESt5tupleIJNSH_6TensorESM_SM_EERKSM_lbbbEUlllE0_EEPmJS6_EEE10hipError_tPvRmT3_T4_T5_T6_T7_T9_mT8_P12ihipStream_tbDpT10_ENKUlT_T0_E_clISt17integral_constantIbLb1EES1B_IbLb0EEEEDaS17_S18_EUlS17_E_NS1_11comp_targetILNS1_3genE2ELNS1_11target_archE906ELNS1_3gpuE6ELNS1_3repE0EEENS1_30default_config_static_selectorELNS0_4arch9wavefront6targetE0EEEvT1_
    .private_segment_fixed_size: 0
    .sgpr_count:     0
    .sgpr_spill_count: 0
    .symbol:         _ZN7rocprim17ROCPRIM_400000_NS6detail17trampoline_kernelINS0_14default_configENS1_25partition_config_selectorILNS1_17partition_subalgoE8ElNS0_10empty_typeEbEEZZNS1_14partition_implILS5_8ELb0ES3_jPlPS6_PKS6_NS0_5tupleIJS9_S6_EEENSD_IJSA_SA_EEENS0_18inequality_wrapperIZN2at6native12_GLOBAL__N_124unique_dim_cuda_templateIbEESt5tupleIJNSH_6TensorESM_SM_EERKSM_lbbbEUlllE0_EEPmJS6_EEE10hipError_tPvRmT3_T4_T5_T6_T7_T9_mT8_P12ihipStream_tbDpT10_ENKUlT_T0_E_clISt17integral_constantIbLb1EES1B_IbLb0EEEEDaS17_S18_EUlS17_E_NS1_11comp_targetILNS1_3genE2ELNS1_11target_archE906ELNS1_3gpuE6ELNS1_3repE0EEENS1_30default_config_static_selectorELNS0_4arch9wavefront6targetE0EEEvT1_.kd
    .uniform_work_group_size: 1
    .uses_dynamic_stack: false
    .vgpr_count:     0
    .vgpr_spill_count: 0
    .wavefront_size: 32
  - .args:
      - .offset:         0
        .size:           120
        .value_kind:     by_value
    .group_segment_fixed_size: 0
    .kernarg_segment_align: 8
    .kernarg_segment_size: 120
    .language:       OpenCL C
    .language_version:
      - 2
      - 0
    .max_flat_workgroup_size: 384
    .name:           _ZN7rocprim17ROCPRIM_400000_NS6detail17trampoline_kernelINS0_14default_configENS1_25partition_config_selectorILNS1_17partition_subalgoE8ElNS0_10empty_typeEbEEZZNS1_14partition_implILS5_8ELb0ES3_jPlPS6_PKS6_NS0_5tupleIJS9_S6_EEENSD_IJSA_SA_EEENS0_18inequality_wrapperIZN2at6native12_GLOBAL__N_124unique_dim_cuda_templateIbEESt5tupleIJNSH_6TensorESM_SM_EERKSM_lbbbEUlllE0_EEPmJS6_EEE10hipError_tPvRmT3_T4_T5_T6_T7_T9_mT8_P12ihipStream_tbDpT10_ENKUlT_T0_E_clISt17integral_constantIbLb1EES1B_IbLb0EEEEDaS17_S18_EUlS17_E_NS1_11comp_targetILNS1_3genE10ELNS1_11target_archE1200ELNS1_3gpuE4ELNS1_3repE0EEENS1_30default_config_static_selectorELNS0_4arch9wavefront6targetE0EEEvT1_
    .private_segment_fixed_size: 0
    .sgpr_count:     0
    .sgpr_spill_count: 0
    .symbol:         _ZN7rocprim17ROCPRIM_400000_NS6detail17trampoline_kernelINS0_14default_configENS1_25partition_config_selectorILNS1_17partition_subalgoE8ElNS0_10empty_typeEbEEZZNS1_14partition_implILS5_8ELb0ES3_jPlPS6_PKS6_NS0_5tupleIJS9_S6_EEENSD_IJSA_SA_EEENS0_18inequality_wrapperIZN2at6native12_GLOBAL__N_124unique_dim_cuda_templateIbEESt5tupleIJNSH_6TensorESM_SM_EERKSM_lbbbEUlllE0_EEPmJS6_EEE10hipError_tPvRmT3_T4_T5_T6_T7_T9_mT8_P12ihipStream_tbDpT10_ENKUlT_T0_E_clISt17integral_constantIbLb1EES1B_IbLb0EEEEDaS17_S18_EUlS17_E_NS1_11comp_targetILNS1_3genE10ELNS1_11target_archE1200ELNS1_3gpuE4ELNS1_3repE0EEENS1_30default_config_static_selectorELNS0_4arch9wavefront6targetE0EEEvT1_.kd
    .uniform_work_group_size: 1
    .uses_dynamic_stack: false
    .vgpr_count:     0
    .vgpr_spill_count: 0
    .wavefront_size: 32
  - .args:
      - .offset:         0
        .size:           120
        .value_kind:     by_value
    .group_segment_fixed_size: 0
    .kernarg_segment_align: 8
    .kernarg_segment_size: 120
    .language:       OpenCL C
    .language_version:
      - 2
      - 0
    .max_flat_workgroup_size: 512
    .name:           _ZN7rocprim17ROCPRIM_400000_NS6detail17trampoline_kernelINS0_14default_configENS1_25partition_config_selectorILNS1_17partition_subalgoE8ElNS0_10empty_typeEbEEZZNS1_14partition_implILS5_8ELb0ES3_jPlPS6_PKS6_NS0_5tupleIJS9_S6_EEENSD_IJSA_SA_EEENS0_18inequality_wrapperIZN2at6native12_GLOBAL__N_124unique_dim_cuda_templateIbEESt5tupleIJNSH_6TensorESM_SM_EERKSM_lbbbEUlllE0_EEPmJS6_EEE10hipError_tPvRmT3_T4_T5_T6_T7_T9_mT8_P12ihipStream_tbDpT10_ENKUlT_T0_E_clISt17integral_constantIbLb1EES1B_IbLb0EEEEDaS17_S18_EUlS17_E_NS1_11comp_targetILNS1_3genE9ELNS1_11target_archE1100ELNS1_3gpuE3ELNS1_3repE0EEENS1_30default_config_static_selectorELNS0_4arch9wavefront6targetE0EEEvT1_
    .private_segment_fixed_size: 0
    .sgpr_count:     0
    .sgpr_spill_count: 0
    .symbol:         _ZN7rocprim17ROCPRIM_400000_NS6detail17trampoline_kernelINS0_14default_configENS1_25partition_config_selectorILNS1_17partition_subalgoE8ElNS0_10empty_typeEbEEZZNS1_14partition_implILS5_8ELb0ES3_jPlPS6_PKS6_NS0_5tupleIJS9_S6_EEENSD_IJSA_SA_EEENS0_18inequality_wrapperIZN2at6native12_GLOBAL__N_124unique_dim_cuda_templateIbEESt5tupleIJNSH_6TensorESM_SM_EERKSM_lbbbEUlllE0_EEPmJS6_EEE10hipError_tPvRmT3_T4_T5_T6_T7_T9_mT8_P12ihipStream_tbDpT10_ENKUlT_T0_E_clISt17integral_constantIbLb1EES1B_IbLb0EEEEDaS17_S18_EUlS17_E_NS1_11comp_targetILNS1_3genE9ELNS1_11target_archE1100ELNS1_3gpuE3ELNS1_3repE0EEENS1_30default_config_static_selectorELNS0_4arch9wavefront6targetE0EEEvT1_.kd
    .uniform_work_group_size: 1
    .uses_dynamic_stack: false
    .vgpr_count:     0
    .vgpr_spill_count: 0
    .wavefront_size: 32
  - .args:
      - .offset:         0
        .size:           120
        .value_kind:     by_value
    .group_segment_fixed_size: 0
    .kernarg_segment_align: 8
    .kernarg_segment_size: 120
    .language:       OpenCL C
    .language_version:
      - 2
      - 0
    .max_flat_workgroup_size: 512
    .name:           _ZN7rocprim17ROCPRIM_400000_NS6detail17trampoline_kernelINS0_14default_configENS1_25partition_config_selectorILNS1_17partition_subalgoE8ElNS0_10empty_typeEbEEZZNS1_14partition_implILS5_8ELb0ES3_jPlPS6_PKS6_NS0_5tupleIJS9_S6_EEENSD_IJSA_SA_EEENS0_18inequality_wrapperIZN2at6native12_GLOBAL__N_124unique_dim_cuda_templateIbEESt5tupleIJNSH_6TensorESM_SM_EERKSM_lbbbEUlllE0_EEPmJS6_EEE10hipError_tPvRmT3_T4_T5_T6_T7_T9_mT8_P12ihipStream_tbDpT10_ENKUlT_T0_E_clISt17integral_constantIbLb1EES1B_IbLb0EEEEDaS17_S18_EUlS17_E_NS1_11comp_targetILNS1_3genE8ELNS1_11target_archE1030ELNS1_3gpuE2ELNS1_3repE0EEENS1_30default_config_static_selectorELNS0_4arch9wavefront6targetE0EEEvT1_
    .private_segment_fixed_size: 0
    .sgpr_count:     0
    .sgpr_spill_count: 0
    .symbol:         _ZN7rocprim17ROCPRIM_400000_NS6detail17trampoline_kernelINS0_14default_configENS1_25partition_config_selectorILNS1_17partition_subalgoE8ElNS0_10empty_typeEbEEZZNS1_14partition_implILS5_8ELb0ES3_jPlPS6_PKS6_NS0_5tupleIJS9_S6_EEENSD_IJSA_SA_EEENS0_18inequality_wrapperIZN2at6native12_GLOBAL__N_124unique_dim_cuda_templateIbEESt5tupleIJNSH_6TensorESM_SM_EERKSM_lbbbEUlllE0_EEPmJS6_EEE10hipError_tPvRmT3_T4_T5_T6_T7_T9_mT8_P12ihipStream_tbDpT10_ENKUlT_T0_E_clISt17integral_constantIbLb1EES1B_IbLb0EEEEDaS17_S18_EUlS17_E_NS1_11comp_targetILNS1_3genE8ELNS1_11target_archE1030ELNS1_3gpuE2ELNS1_3repE0EEENS1_30default_config_static_selectorELNS0_4arch9wavefront6targetE0EEEvT1_.kd
    .uniform_work_group_size: 1
    .uses_dynamic_stack: false
    .vgpr_count:     0
    .vgpr_spill_count: 0
    .wavefront_size: 32
  - .args:
      - .offset:         0
        .size:           136
        .value_kind:     by_value
    .group_segment_fixed_size: 28680
    .kernarg_segment_align: 8
    .kernarg_segment_size: 136
    .language:       OpenCL C
    .language_version:
      - 2
      - 0
    .max_flat_workgroup_size: 512
    .name:           _ZN7rocprim17ROCPRIM_400000_NS6detail17trampoline_kernelINS0_14default_configENS1_25partition_config_selectorILNS1_17partition_subalgoE8ElNS0_10empty_typeEbEEZZNS1_14partition_implILS5_8ELb0ES3_jPlPS6_PKS6_NS0_5tupleIJS9_S6_EEENSD_IJSA_SA_EEENS0_18inequality_wrapperIZN2at6native12_GLOBAL__N_124unique_dim_cuda_templateIbEESt5tupleIJNSH_6TensorESM_SM_EERKSM_lbbbEUlllE0_EEPmJS6_EEE10hipError_tPvRmT3_T4_T5_T6_T7_T9_mT8_P12ihipStream_tbDpT10_ENKUlT_T0_E_clISt17integral_constantIbLb0EES1B_IbLb1EEEEDaS17_S18_EUlS17_E_NS1_11comp_targetILNS1_3genE0ELNS1_11target_archE4294967295ELNS1_3gpuE0ELNS1_3repE0EEENS1_30default_config_static_selectorELNS0_4arch9wavefront6targetE0EEEvT1_
    .private_segment_fixed_size: 0
    .sgpr_count:     37
    .sgpr_spill_count: 0
    .symbol:         _ZN7rocprim17ROCPRIM_400000_NS6detail17trampoline_kernelINS0_14default_configENS1_25partition_config_selectorILNS1_17partition_subalgoE8ElNS0_10empty_typeEbEEZZNS1_14partition_implILS5_8ELb0ES3_jPlPS6_PKS6_NS0_5tupleIJS9_S6_EEENSD_IJSA_SA_EEENS0_18inequality_wrapperIZN2at6native12_GLOBAL__N_124unique_dim_cuda_templateIbEESt5tupleIJNSH_6TensorESM_SM_EERKSM_lbbbEUlllE0_EEPmJS6_EEE10hipError_tPvRmT3_T4_T5_T6_T7_T9_mT8_P12ihipStream_tbDpT10_ENKUlT_T0_E_clISt17integral_constantIbLb0EES1B_IbLb1EEEEDaS17_S18_EUlS17_E_NS1_11comp_targetILNS1_3genE0ELNS1_11target_archE4294967295ELNS1_3gpuE0ELNS1_3repE0EEENS1_30default_config_static_selectorELNS0_4arch9wavefront6targetE0EEEvT1_.kd
    .uniform_work_group_size: 1
    .uses_dynamic_stack: false
    .vgpr_count:     53
    .vgpr_spill_count: 0
    .wavefront_size: 32
  - .args:
      - .offset:         0
        .size:           136
        .value_kind:     by_value
    .group_segment_fixed_size: 0
    .kernarg_segment_align: 8
    .kernarg_segment_size: 136
    .language:       OpenCL C
    .language_version:
      - 2
      - 0
    .max_flat_workgroup_size: 512
    .name:           _ZN7rocprim17ROCPRIM_400000_NS6detail17trampoline_kernelINS0_14default_configENS1_25partition_config_selectorILNS1_17partition_subalgoE8ElNS0_10empty_typeEbEEZZNS1_14partition_implILS5_8ELb0ES3_jPlPS6_PKS6_NS0_5tupleIJS9_S6_EEENSD_IJSA_SA_EEENS0_18inequality_wrapperIZN2at6native12_GLOBAL__N_124unique_dim_cuda_templateIbEESt5tupleIJNSH_6TensorESM_SM_EERKSM_lbbbEUlllE0_EEPmJS6_EEE10hipError_tPvRmT3_T4_T5_T6_T7_T9_mT8_P12ihipStream_tbDpT10_ENKUlT_T0_E_clISt17integral_constantIbLb0EES1B_IbLb1EEEEDaS17_S18_EUlS17_E_NS1_11comp_targetILNS1_3genE5ELNS1_11target_archE942ELNS1_3gpuE9ELNS1_3repE0EEENS1_30default_config_static_selectorELNS0_4arch9wavefront6targetE0EEEvT1_
    .private_segment_fixed_size: 0
    .sgpr_count:     0
    .sgpr_spill_count: 0
    .symbol:         _ZN7rocprim17ROCPRIM_400000_NS6detail17trampoline_kernelINS0_14default_configENS1_25partition_config_selectorILNS1_17partition_subalgoE8ElNS0_10empty_typeEbEEZZNS1_14partition_implILS5_8ELb0ES3_jPlPS6_PKS6_NS0_5tupleIJS9_S6_EEENSD_IJSA_SA_EEENS0_18inequality_wrapperIZN2at6native12_GLOBAL__N_124unique_dim_cuda_templateIbEESt5tupleIJNSH_6TensorESM_SM_EERKSM_lbbbEUlllE0_EEPmJS6_EEE10hipError_tPvRmT3_T4_T5_T6_T7_T9_mT8_P12ihipStream_tbDpT10_ENKUlT_T0_E_clISt17integral_constantIbLb0EES1B_IbLb1EEEEDaS17_S18_EUlS17_E_NS1_11comp_targetILNS1_3genE5ELNS1_11target_archE942ELNS1_3gpuE9ELNS1_3repE0EEENS1_30default_config_static_selectorELNS0_4arch9wavefront6targetE0EEEvT1_.kd
    .uniform_work_group_size: 1
    .uses_dynamic_stack: false
    .vgpr_count:     0
    .vgpr_spill_count: 0
    .wavefront_size: 32
  - .args:
      - .offset:         0
        .size:           136
        .value_kind:     by_value
    .group_segment_fixed_size: 0
    .kernarg_segment_align: 8
    .kernarg_segment_size: 136
    .language:       OpenCL C
    .language_version:
      - 2
      - 0
    .max_flat_workgroup_size: 256
    .name:           _ZN7rocprim17ROCPRIM_400000_NS6detail17trampoline_kernelINS0_14default_configENS1_25partition_config_selectorILNS1_17partition_subalgoE8ElNS0_10empty_typeEbEEZZNS1_14partition_implILS5_8ELb0ES3_jPlPS6_PKS6_NS0_5tupleIJS9_S6_EEENSD_IJSA_SA_EEENS0_18inequality_wrapperIZN2at6native12_GLOBAL__N_124unique_dim_cuda_templateIbEESt5tupleIJNSH_6TensorESM_SM_EERKSM_lbbbEUlllE0_EEPmJS6_EEE10hipError_tPvRmT3_T4_T5_T6_T7_T9_mT8_P12ihipStream_tbDpT10_ENKUlT_T0_E_clISt17integral_constantIbLb0EES1B_IbLb1EEEEDaS17_S18_EUlS17_E_NS1_11comp_targetILNS1_3genE4ELNS1_11target_archE910ELNS1_3gpuE8ELNS1_3repE0EEENS1_30default_config_static_selectorELNS0_4arch9wavefront6targetE0EEEvT1_
    .private_segment_fixed_size: 0
    .sgpr_count:     0
    .sgpr_spill_count: 0
    .symbol:         _ZN7rocprim17ROCPRIM_400000_NS6detail17trampoline_kernelINS0_14default_configENS1_25partition_config_selectorILNS1_17partition_subalgoE8ElNS0_10empty_typeEbEEZZNS1_14partition_implILS5_8ELb0ES3_jPlPS6_PKS6_NS0_5tupleIJS9_S6_EEENSD_IJSA_SA_EEENS0_18inequality_wrapperIZN2at6native12_GLOBAL__N_124unique_dim_cuda_templateIbEESt5tupleIJNSH_6TensorESM_SM_EERKSM_lbbbEUlllE0_EEPmJS6_EEE10hipError_tPvRmT3_T4_T5_T6_T7_T9_mT8_P12ihipStream_tbDpT10_ENKUlT_T0_E_clISt17integral_constantIbLb0EES1B_IbLb1EEEEDaS17_S18_EUlS17_E_NS1_11comp_targetILNS1_3genE4ELNS1_11target_archE910ELNS1_3gpuE8ELNS1_3repE0EEENS1_30default_config_static_selectorELNS0_4arch9wavefront6targetE0EEEvT1_.kd
    .uniform_work_group_size: 1
    .uses_dynamic_stack: false
    .vgpr_count:     0
    .vgpr_spill_count: 0
    .wavefront_size: 32
  - .args:
      - .offset:         0
        .size:           136
        .value_kind:     by_value
    .group_segment_fixed_size: 0
    .kernarg_segment_align: 8
    .kernarg_segment_size: 136
    .language:       OpenCL C
    .language_version:
      - 2
      - 0
    .max_flat_workgroup_size: 512
    .name:           _ZN7rocprim17ROCPRIM_400000_NS6detail17trampoline_kernelINS0_14default_configENS1_25partition_config_selectorILNS1_17partition_subalgoE8ElNS0_10empty_typeEbEEZZNS1_14partition_implILS5_8ELb0ES3_jPlPS6_PKS6_NS0_5tupleIJS9_S6_EEENSD_IJSA_SA_EEENS0_18inequality_wrapperIZN2at6native12_GLOBAL__N_124unique_dim_cuda_templateIbEESt5tupleIJNSH_6TensorESM_SM_EERKSM_lbbbEUlllE0_EEPmJS6_EEE10hipError_tPvRmT3_T4_T5_T6_T7_T9_mT8_P12ihipStream_tbDpT10_ENKUlT_T0_E_clISt17integral_constantIbLb0EES1B_IbLb1EEEEDaS17_S18_EUlS17_E_NS1_11comp_targetILNS1_3genE3ELNS1_11target_archE908ELNS1_3gpuE7ELNS1_3repE0EEENS1_30default_config_static_selectorELNS0_4arch9wavefront6targetE0EEEvT1_
    .private_segment_fixed_size: 0
    .sgpr_count:     0
    .sgpr_spill_count: 0
    .symbol:         _ZN7rocprim17ROCPRIM_400000_NS6detail17trampoline_kernelINS0_14default_configENS1_25partition_config_selectorILNS1_17partition_subalgoE8ElNS0_10empty_typeEbEEZZNS1_14partition_implILS5_8ELb0ES3_jPlPS6_PKS6_NS0_5tupleIJS9_S6_EEENSD_IJSA_SA_EEENS0_18inequality_wrapperIZN2at6native12_GLOBAL__N_124unique_dim_cuda_templateIbEESt5tupleIJNSH_6TensorESM_SM_EERKSM_lbbbEUlllE0_EEPmJS6_EEE10hipError_tPvRmT3_T4_T5_T6_T7_T9_mT8_P12ihipStream_tbDpT10_ENKUlT_T0_E_clISt17integral_constantIbLb0EES1B_IbLb1EEEEDaS17_S18_EUlS17_E_NS1_11comp_targetILNS1_3genE3ELNS1_11target_archE908ELNS1_3gpuE7ELNS1_3repE0EEENS1_30default_config_static_selectorELNS0_4arch9wavefront6targetE0EEEvT1_.kd
    .uniform_work_group_size: 1
    .uses_dynamic_stack: false
    .vgpr_count:     0
    .vgpr_spill_count: 0
    .wavefront_size: 32
  - .args:
      - .offset:         0
        .size:           136
        .value_kind:     by_value
    .group_segment_fixed_size: 0
    .kernarg_segment_align: 8
    .kernarg_segment_size: 136
    .language:       OpenCL C
    .language_version:
      - 2
      - 0
    .max_flat_workgroup_size: 256
    .name:           _ZN7rocprim17ROCPRIM_400000_NS6detail17trampoline_kernelINS0_14default_configENS1_25partition_config_selectorILNS1_17partition_subalgoE8ElNS0_10empty_typeEbEEZZNS1_14partition_implILS5_8ELb0ES3_jPlPS6_PKS6_NS0_5tupleIJS9_S6_EEENSD_IJSA_SA_EEENS0_18inequality_wrapperIZN2at6native12_GLOBAL__N_124unique_dim_cuda_templateIbEESt5tupleIJNSH_6TensorESM_SM_EERKSM_lbbbEUlllE0_EEPmJS6_EEE10hipError_tPvRmT3_T4_T5_T6_T7_T9_mT8_P12ihipStream_tbDpT10_ENKUlT_T0_E_clISt17integral_constantIbLb0EES1B_IbLb1EEEEDaS17_S18_EUlS17_E_NS1_11comp_targetILNS1_3genE2ELNS1_11target_archE906ELNS1_3gpuE6ELNS1_3repE0EEENS1_30default_config_static_selectorELNS0_4arch9wavefront6targetE0EEEvT1_
    .private_segment_fixed_size: 0
    .sgpr_count:     0
    .sgpr_spill_count: 0
    .symbol:         _ZN7rocprim17ROCPRIM_400000_NS6detail17trampoline_kernelINS0_14default_configENS1_25partition_config_selectorILNS1_17partition_subalgoE8ElNS0_10empty_typeEbEEZZNS1_14partition_implILS5_8ELb0ES3_jPlPS6_PKS6_NS0_5tupleIJS9_S6_EEENSD_IJSA_SA_EEENS0_18inequality_wrapperIZN2at6native12_GLOBAL__N_124unique_dim_cuda_templateIbEESt5tupleIJNSH_6TensorESM_SM_EERKSM_lbbbEUlllE0_EEPmJS6_EEE10hipError_tPvRmT3_T4_T5_T6_T7_T9_mT8_P12ihipStream_tbDpT10_ENKUlT_T0_E_clISt17integral_constantIbLb0EES1B_IbLb1EEEEDaS17_S18_EUlS17_E_NS1_11comp_targetILNS1_3genE2ELNS1_11target_archE906ELNS1_3gpuE6ELNS1_3repE0EEENS1_30default_config_static_selectorELNS0_4arch9wavefront6targetE0EEEvT1_.kd
    .uniform_work_group_size: 1
    .uses_dynamic_stack: false
    .vgpr_count:     0
    .vgpr_spill_count: 0
    .wavefront_size: 32
  - .args:
      - .offset:         0
        .size:           136
        .value_kind:     by_value
    .group_segment_fixed_size: 0
    .kernarg_segment_align: 8
    .kernarg_segment_size: 136
    .language:       OpenCL C
    .language_version:
      - 2
      - 0
    .max_flat_workgroup_size: 384
    .name:           _ZN7rocprim17ROCPRIM_400000_NS6detail17trampoline_kernelINS0_14default_configENS1_25partition_config_selectorILNS1_17partition_subalgoE8ElNS0_10empty_typeEbEEZZNS1_14partition_implILS5_8ELb0ES3_jPlPS6_PKS6_NS0_5tupleIJS9_S6_EEENSD_IJSA_SA_EEENS0_18inequality_wrapperIZN2at6native12_GLOBAL__N_124unique_dim_cuda_templateIbEESt5tupleIJNSH_6TensorESM_SM_EERKSM_lbbbEUlllE0_EEPmJS6_EEE10hipError_tPvRmT3_T4_T5_T6_T7_T9_mT8_P12ihipStream_tbDpT10_ENKUlT_T0_E_clISt17integral_constantIbLb0EES1B_IbLb1EEEEDaS17_S18_EUlS17_E_NS1_11comp_targetILNS1_3genE10ELNS1_11target_archE1200ELNS1_3gpuE4ELNS1_3repE0EEENS1_30default_config_static_selectorELNS0_4arch9wavefront6targetE0EEEvT1_
    .private_segment_fixed_size: 0
    .sgpr_count:     0
    .sgpr_spill_count: 0
    .symbol:         _ZN7rocprim17ROCPRIM_400000_NS6detail17trampoline_kernelINS0_14default_configENS1_25partition_config_selectorILNS1_17partition_subalgoE8ElNS0_10empty_typeEbEEZZNS1_14partition_implILS5_8ELb0ES3_jPlPS6_PKS6_NS0_5tupleIJS9_S6_EEENSD_IJSA_SA_EEENS0_18inequality_wrapperIZN2at6native12_GLOBAL__N_124unique_dim_cuda_templateIbEESt5tupleIJNSH_6TensorESM_SM_EERKSM_lbbbEUlllE0_EEPmJS6_EEE10hipError_tPvRmT3_T4_T5_T6_T7_T9_mT8_P12ihipStream_tbDpT10_ENKUlT_T0_E_clISt17integral_constantIbLb0EES1B_IbLb1EEEEDaS17_S18_EUlS17_E_NS1_11comp_targetILNS1_3genE10ELNS1_11target_archE1200ELNS1_3gpuE4ELNS1_3repE0EEENS1_30default_config_static_selectorELNS0_4arch9wavefront6targetE0EEEvT1_.kd
    .uniform_work_group_size: 1
    .uses_dynamic_stack: false
    .vgpr_count:     0
    .vgpr_spill_count: 0
    .wavefront_size: 32
  - .args:
      - .offset:         0
        .size:           136
        .value_kind:     by_value
    .group_segment_fixed_size: 0
    .kernarg_segment_align: 8
    .kernarg_segment_size: 136
    .language:       OpenCL C
    .language_version:
      - 2
      - 0
    .max_flat_workgroup_size: 512
    .name:           _ZN7rocprim17ROCPRIM_400000_NS6detail17trampoline_kernelINS0_14default_configENS1_25partition_config_selectorILNS1_17partition_subalgoE8ElNS0_10empty_typeEbEEZZNS1_14partition_implILS5_8ELb0ES3_jPlPS6_PKS6_NS0_5tupleIJS9_S6_EEENSD_IJSA_SA_EEENS0_18inequality_wrapperIZN2at6native12_GLOBAL__N_124unique_dim_cuda_templateIbEESt5tupleIJNSH_6TensorESM_SM_EERKSM_lbbbEUlllE0_EEPmJS6_EEE10hipError_tPvRmT3_T4_T5_T6_T7_T9_mT8_P12ihipStream_tbDpT10_ENKUlT_T0_E_clISt17integral_constantIbLb0EES1B_IbLb1EEEEDaS17_S18_EUlS17_E_NS1_11comp_targetILNS1_3genE9ELNS1_11target_archE1100ELNS1_3gpuE3ELNS1_3repE0EEENS1_30default_config_static_selectorELNS0_4arch9wavefront6targetE0EEEvT1_
    .private_segment_fixed_size: 0
    .sgpr_count:     0
    .sgpr_spill_count: 0
    .symbol:         _ZN7rocprim17ROCPRIM_400000_NS6detail17trampoline_kernelINS0_14default_configENS1_25partition_config_selectorILNS1_17partition_subalgoE8ElNS0_10empty_typeEbEEZZNS1_14partition_implILS5_8ELb0ES3_jPlPS6_PKS6_NS0_5tupleIJS9_S6_EEENSD_IJSA_SA_EEENS0_18inequality_wrapperIZN2at6native12_GLOBAL__N_124unique_dim_cuda_templateIbEESt5tupleIJNSH_6TensorESM_SM_EERKSM_lbbbEUlllE0_EEPmJS6_EEE10hipError_tPvRmT3_T4_T5_T6_T7_T9_mT8_P12ihipStream_tbDpT10_ENKUlT_T0_E_clISt17integral_constantIbLb0EES1B_IbLb1EEEEDaS17_S18_EUlS17_E_NS1_11comp_targetILNS1_3genE9ELNS1_11target_archE1100ELNS1_3gpuE3ELNS1_3repE0EEENS1_30default_config_static_selectorELNS0_4arch9wavefront6targetE0EEEvT1_.kd
    .uniform_work_group_size: 1
    .uses_dynamic_stack: false
    .vgpr_count:     0
    .vgpr_spill_count: 0
    .wavefront_size: 32
  - .args:
      - .offset:         0
        .size:           136
        .value_kind:     by_value
    .group_segment_fixed_size: 0
    .kernarg_segment_align: 8
    .kernarg_segment_size: 136
    .language:       OpenCL C
    .language_version:
      - 2
      - 0
    .max_flat_workgroup_size: 512
    .name:           _ZN7rocprim17ROCPRIM_400000_NS6detail17trampoline_kernelINS0_14default_configENS1_25partition_config_selectorILNS1_17partition_subalgoE8ElNS0_10empty_typeEbEEZZNS1_14partition_implILS5_8ELb0ES3_jPlPS6_PKS6_NS0_5tupleIJS9_S6_EEENSD_IJSA_SA_EEENS0_18inequality_wrapperIZN2at6native12_GLOBAL__N_124unique_dim_cuda_templateIbEESt5tupleIJNSH_6TensorESM_SM_EERKSM_lbbbEUlllE0_EEPmJS6_EEE10hipError_tPvRmT3_T4_T5_T6_T7_T9_mT8_P12ihipStream_tbDpT10_ENKUlT_T0_E_clISt17integral_constantIbLb0EES1B_IbLb1EEEEDaS17_S18_EUlS17_E_NS1_11comp_targetILNS1_3genE8ELNS1_11target_archE1030ELNS1_3gpuE2ELNS1_3repE0EEENS1_30default_config_static_selectorELNS0_4arch9wavefront6targetE0EEEvT1_
    .private_segment_fixed_size: 0
    .sgpr_count:     0
    .sgpr_spill_count: 0
    .symbol:         _ZN7rocprim17ROCPRIM_400000_NS6detail17trampoline_kernelINS0_14default_configENS1_25partition_config_selectorILNS1_17partition_subalgoE8ElNS0_10empty_typeEbEEZZNS1_14partition_implILS5_8ELb0ES3_jPlPS6_PKS6_NS0_5tupleIJS9_S6_EEENSD_IJSA_SA_EEENS0_18inequality_wrapperIZN2at6native12_GLOBAL__N_124unique_dim_cuda_templateIbEESt5tupleIJNSH_6TensorESM_SM_EERKSM_lbbbEUlllE0_EEPmJS6_EEE10hipError_tPvRmT3_T4_T5_T6_T7_T9_mT8_P12ihipStream_tbDpT10_ENKUlT_T0_E_clISt17integral_constantIbLb0EES1B_IbLb1EEEEDaS17_S18_EUlS17_E_NS1_11comp_targetILNS1_3genE8ELNS1_11target_archE1030ELNS1_3gpuE2ELNS1_3repE0EEENS1_30default_config_static_selectorELNS0_4arch9wavefront6targetE0EEEvT1_.kd
    .uniform_work_group_size: 1
    .uses_dynamic_stack: false
    .vgpr_count:     0
    .vgpr_spill_count: 0
    .wavefront_size: 32
  - .args:
      - .offset:         0
        .size:           120
        .value_kind:     by_value
    .group_segment_fixed_size: 5128
    .kernarg_segment_align: 8
    .kernarg_segment_size: 120
    .language:       OpenCL C
    .language_version:
      - 2
      - 0
    .max_flat_workgroup_size: 128
    .name:           _ZN7rocprim17ROCPRIM_400000_NS6detail17trampoline_kernelINS0_14default_configENS1_25partition_config_selectorILNS1_17partition_subalgoE9EllbEEZZNS1_14partition_implILS5_9ELb0ES3_jPlS8_PNS0_10empty_typeENS0_5tupleIJS8_S9_EEENSB_IJS8_SA_EEENS0_18inequality_wrapperIZN2at6native12_GLOBAL__N_124unique_dim_cuda_templateIbEESt5tupleIJNSF_6TensorESK_SK_EERKSK_lbbbEUlllE0_EEPmJS9_EEE10hipError_tPvRmT3_T4_T5_T6_T7_T9_mT8_P12ihipStream_tbDpT10_ENKUlT_T0_E_clISt17integral_constantIbLb0EES1A_EEDaS15_S16_EUlS15_E_NS1_11comp_targetILNS1_3genE0ELNS1_11target_archE4294967295ELNS1_3gpuE0ELNS1_3repE0EEENS1_30default_config_static_selectorELNS0_4arch9wavefront6targetE0EEEvT1_
    .private_segment_fixed_size: 0
    .sgpr_count:     33
    .sgpr_spill_count: 0
    .symbol:         _ZN7rocprim17ROCPRIM_400000_NS6detail17trampoline_kernelINS0_14default_configENS1_25partition_config_selectorILNS1_17partition_subalgoE9EllbEEZZNS1_14partition_implILS5_9ELb0ES3_jPlS8_PNS0_10empty_typeENS0_5tupleIJS8_S9_EEENSB_IJS8_SA_EEENS0_18inequality_wrapperIZN2at6native12_GLOBAL__N_124unique_dim_cuda_templateIbEESt5tupleIJNSF_6TensorESK_SK_EERKSK_lbbbEUlllE0_EEPmJS9_EEE10hipError_tPvRmT3_T4_T5_T6_T7_T9_mT8_P12ihipStream_tbDpT10_ENKUlT_T0_E_clISt17integral_constantIbLb0EES1A_EEDaS15_S16_EUlS15_E_NS1_11comp_targetILNS1_3genE0ELNS1_11target_archE4294967295ELNS1_3gpuE0ELNS1_3repE0EEENS1_30default_config_static_selectorELNS0_4arch9wavefront6targetE0EEEvT1_.kd
    .uniform_work_group_size: 1
    .uses_dynamic_stack: false
    .vgpr_count:     56
    .vgpr_spill_count: 0
    .wavefront_size: 32
  - .args:
      - .offset:         0
        .size:           120
        .value_kind:     by_value
    .group_segment_fixed_size: 0
    .kernarg_segment_align: 8
    .kernarg_segment_size: 120
    .language:       OpenCL C
    .language_version:
      - 2
      - 0
    .max_flat_workgroup_size: 512
    .name:           _ZN7rocprim17ROCPRIM_400000_NS6detail17trampoline_kernelINS0_14default_configENS1_25partition_config_selectorILNS1_17partition_subalgoE9EllbEEZZNS1_14partition_implILS5_9ELb0ES3_jPlS8_PNS0_10empty_typeENS0_5tupleIJS8_S9_EEENSB_IJS8_SA_EEENS0_18inequality_wrapperIZN2at6native12_GLOBAL__N_124unique_dim_cuda_templateIbEESt5tupleIJNSF_6TensorESK_SK_EERKSK_lbbbEUlllE0_EEPmJS9_EEE10hipError_tPvRmT3_T4_T5_T6_T7_T9_mT8_P12ihipStream_tbDpT10_ENKUlT_T0_E_clISt17integral_constantIbLb0EES1A_EEDaS15_S16_EUlS15_E_NS1_11comp_targetILNS1_3genE5ELNS1_11target_archE942ELNS1_3gpuE9ELNS1_3repE0EEENS1_30default_config_static_selectorELNS0_4arch9wavefront6targetE0EEEvT1_
    .private_segment_fixed_size: 0
    .sgpr_count:     0
    .sgpr_spill_count: 0
    .symbol:         _ZN7rocprim17ROCPRIM_400000_NS6detail17trampoline_kernelINS0_14default_configENS1_25partition_config_selectorILNS1_17partition_subalgoE9EllbEEZZNS1_14partition_implILS5_9ELb0ES3_jPlS8_PNS0_10empty_typeENS0_5tupleIJS8_S9_EEENSB_IJS8_SA_EEENS0_18inequality_wrapperIZN2at6native12_GLOBAL__N_124unique_dim_cuda_templateIbEESt5tupleIJNSF_6TensorESK_SK_EERKSK_lbbbEUlllE0_EEPmJS9_EEE10hipError_tPvRmT3_T4_T5_T6_T7_T9_mT8_P12ihipStream_tbDpT10_ENKUlT_T0_E_clISt17integral_constantIbLb0EES1A_EEDaS15_S16_EUlS15_E_NS1_11comp_targetILNS1_3genE5ELNS1_11target_archE942ELNS1_3gpuE9ELNS1_3repE0EEENS1_30default_config_static_selectorELNS0_4arch9wavefront6targetE0EEEvT1_.kd
    .uniform_work_group_size: 1
    .uses_dynamic_stack: false
    .vgpr_count:     0
    .vgpr_spill_count: 0
    .wavefront_size: 32
  - .args:
      - .offset:         0
        .size:           120
        .value_kind:     by_value
    .group_segment_fixed_size: 0
    .kernarg_segment_align: 8
    .kernarg_segment_size: 120
    .language:       OpenCL C
    .language_version:
      - 2
      - 0
    .max_flat_workgroup_size: 128
    .name:           _ZN7rocprim17ROCPRIM_400000_NS6detail17trampoline_kernelINS0_14default_configENS1_25partition_config_selectorILNS1_17partition_subalgoE9EllbEEZZNS1_14partition_implILS5_9ELb0ES3_jPlS8_PNS0_10empty_typeENS0_5tupleIJS8_S9_EEENSB_IJS8_SA_EEENS0_18inequality_wrapperIZN2at6native12_GLOBAL__N_124unique_dim_cuda_templateIbEESt5tupleIJNSF_6TensorESK_SK_EERKSK_lbbbEUlllE0_EEPmJS9_EEE10hipError_tPvRmT3_T4_T5_T6_T7_T9_mT8_P12ihipStream_tbDpT10_ENKUlT_T0_E_clISt17integral_constantIbLb0EES1A_EEDaS15_S16_EUlS15_E_NS1_11comp_targetILNS1_3genE4ELNS1_11target_archE910ELNS1_3gpuE8ELNS1_3repE0EEENS1_30default_config_static_selectorELNS0_4arch9wavefront6targetE0EEEvT1_
    .private_segment_fixed_size: 0
    .sgpr_count:     0
    .sgpr_spill_count: 0
    .symbol:         _ZN7rocprim17ROCPRIM_400000_NS6detail17trampoline_kernelINS0_14default_configENS1_25partition_config_selectorILNS1_17partition_subalgoE9EllbEEZZNS1_14partition_implILS5_9ELb0ES3_jPlS8_PNS0_10empty_typeENS0_5tupleIJS8_S9_EEENSB_IJS8_SA_EEENS0_18inequality_wrapperIZN2at6native12_GLOBAL__N_124unique_dim_cuda_templateIbEESt5tupleIJNSF_6TensorESK_SK_EERKSK_lbbbEUlllE0_EEPmJS9_EEE10hipError_tPvRmT3_T4_T5_T6_T7_T9_mT8_P12ihipStream_tbDpT10_ENKUlT_T0_E_clISt17integral_constantIbLb0EES1A_EEDaS15_S16_EUlS15_E_NS1_11comp_targetILNS1_3genE4ELNS1_11target_archE910ELNS1_3gpuE8ELNS1_3repE0EEENS1_30default_config_static_selectorELNS0_4arch9wavefront6targetE0EEEvT1_.kd
    .uniform_work_group_size: 1
    .uses_dynamic_stack: false
    .vgpr_count:     0
    .vgpr_spill_count: 0
    .wavefront_size: 32
  - .args:
      - .offset:         0
        .size:           120
        .value_kind:     by_value
    .group_segment_fixed_size: 0
    .kernarg_segment_align: 8
    .kernarg_segment_size: 120
    .language:       OpenCL C
    .language_version:
      - 2
      - 0
    .max_flat_workgroup_size: 128
    .name:           _ZN7rocprim17ROCPRIM_400000_NS6detail17trampoline_kernelINS0_14default_configENS1_25partition_config_selectorILNS1_17partition_subalgoE9EllbEEZZNS1_14partition_implILS5_9ELb0ES3_jPlS8_PNS0_10empty_typeENS0_5tupleIJS8_S9_EEENSB_IJS8_SA_EEENS0_18inequality_wrapperIZN2at6native12_GLOBAL__N_124unique_dim_cuda_templateIbEESt5tupleIJNSF_6TensorESK_SK_EERKSK_lbbbEUlllE0_EEPmJS9_EEE10hipError_tPvRmT3_T4_T5_T6_T7_T9_mT8_P12ihipStream_tbDpT10_ENKUlT_T0_E_clISt17integral_constantIbLb0EES1A_EEDaS15_S16_EUlS15_E_NS1_11comp_targetILNS1_3genE3ELNS1_11target_archE908ELNS1_3gpuE7ELNS1_3repE0EEENS1_30default_config_static_selectorELNS0_4arch9wavefront6targetE0EEEvT1_
    .private_segment_fixed_size: 0
    .sgpr_count:     0
    .sgpr_spill_count: 0
    .symbol:         _ZN7rocprim17ROCPRIM_400000_NS6detail17trampoline_kernelINS0_14default_configENS1_25partition_config_selectorILNS1_17partition_subalgoE9EllbEEZZNS1_14partition_implILS5_9ELb0ES3_jPlS8_PNS0_10empty_typeENS0_5tupleIJS8_S9_EEENSB_IJS8_SA_EEENS0_18inequality_wrapperIZN2at6native12_GLOBAL__N_124unique_dim_cuda_templateIbEESt5tupleIJNSF_6TensorESK_SK_EERKSK_lbbbEUlllE0_EEPmJS9_EEE10hipError_tPvRmT3_T4_T5_T6_T7_T9_mT8_P12ihipStream_tbDpT10_ENKUlT_T0_E_clISt17integral_constantIbLb0EES1A_EEDaS15_S16_EUlS15_E_NS1_11comp_targetILNS1_3genE3ELNS1_11target_archE908ELNS1_3gpuE7ELNS1_3repE0EEENS1_30default_config_static_selectorELNS0_4arch9wavefront6targetE0EEEvT1_.kd
    .uniform_work_group_size: 1
    .uses_dynamic_stack: false
    .vgpr_count:     0
    .vgpr_spill_count: 0
    .wavefront_size: 32
  - .args:
      - .offset:         0
        .size:           120
        .value_kind:     by_value
    .group_segment_fixed_size: 0
    .kernarg_segment_align: 8
    .kernarg_segment_size: 120
    .language:       OpenCL C
    .language_version:
      - 2
      - 0
    .max_flat_workgroup_size: 192
    .name:           _ZN7rocprim17ROCPRIM_400000_NS6detail17trampoline_kernelINS0_14default_configENS1_25partition_config_selectorILNS1_17partition_subalgoE9EllbEEZZNS1_14partition_implILS5_9ELb0ES3_jPlS8_PNS0_10empty_typeENS0_5tupleIJS8_S9_EEENSB_IJS8_SA_EEENS0_18inequality_wrapperIZN2at6native12_GLOBAL__N_124unique_dim_cuda_templateIbEESt5tupleIJNSF_6TensorESK_SK_EERKSK_lbbbEUlllE0_EEPmJS9_EEE10hipError_tPvRmT3_T4_T5_T6_T7_T9_mT8_P12ihipStream_tbDpT10_ENKUlT_T0_E_clISt17integral_constantIbLb0EES1A_EEDaS15_S16_EUlS15_E_NS1_11comp_targetILNS1_3genE2ELNS1_11target_archE906ELNS1_3gpuE6ELNS1_3repE0EEENS1_30default_config_static_selectorELNS0_4arch9wavefront6targetE0EEEvT1_
    .private_segment_fixed_size: 0
    .sgpr_count:     0
    .sgpr_spill_count: 0
    .symbol:         _ZN7rocprim17ROCPRIM_400000_NS6detail17trampoline_kernelINS0_14default_configENS1_25partition_config_selectorILNS1_17partition_subalgoE9EllbEEZZNS1_14partition_implILS5_9ELb0ES3_jPlS8_PNS0_10empty_typeENS0_5tupleIJS8_S9_EEENSB_IJS8_SA_EEENS0_18inequality_wrapperIZN2at6native12_GLOBAL__N_124unique_dim_cuda_templateIbEESt5tupleIJNSF_6TensorESK_SK_EERKSK_lbbbEUlllE0_EEPmJS9_EEE10hipError_tPvRmT3_T4_T5_T6_T7_T9_mT8_P12ihipStream_tbDpT10_ENKUlT_T0_E_clISt17integral_constantIbLb0EES1A_EEDaS15_S16_EUlS15_E_NS1_11comp_targetILNS1_3genE2ELNS1_11target_archE906ELNS1_3gpuE6ELNS1_3repE0EEENS1_30default_config_static_selectorELNS0_4arch9wavefront6targetE0EEEvT1_.kd
    .uniform_work_group_size: 1
    .uses_dynamic_stack: false
    .vgpr_count:     0
    .vgpr_spill_count: 0
    .wavefront_size: 32
  - .args:
      - .offset:         0
        .size:           120
        .value_kind:     by_value
    .group_segment_fixed_size: 0
    .kernarg_segment_align: 8
    .kernarg_segment_size: 120
    .language:       OpenCL C
    .language_version:
      - 2
      - 0
    .max_flat_workgroup_size: 384
    .name:           _ZN7rocprim17ROCPRIM_400000_NS6detail17trampoline_kernelINS0_14default_configENS1_25partition_config_selectorILNS1_17partition_subalgoE9EllbEEZZNS1_14partition_implILS5_9ELb0ES3_jPlS8_PNS0_10empty_typeENS0_5tupleIJS8_S9_EEENSB_IJS8_SA_EEENS0_18inequality_wrapperIZN2at6native12_GLOBAL__N_124unique_dim_cuda_templateIbEESt5tupleIJNSF_6TensorESK_SK_EERKSK_lbbbEUlllE0_EEPmJS9_EEE10hipError_tPvRmT3_T4_T5_T6_T7_T9_mT8_P12ihipStream_tbDpT10_ENKUlT_T0_E_clISt17integral_constantIbLb0EES1A_EEDaS15_S16_EUlS15_E_NS1_11comp_targetILNS1_3genE10ELNS1_11target_archE1200ELNS1_3gpuE4ELNS1_3repE0EEENS1_30default_config_static_selectorELNS0_4arch9wavefront6targetE0EEEvT1_
    .private_segment_fixed_size: 0
    .sgpr_count:     0
    .sgpr_spill_count: 0
    .symbol:         _ZN7rocprim17ROCPRIM_400000_NS6detail17trampoline_kernelINS0_14default_configENS1_25partition_config_selectorILNS1_17partition_subalgoE9EllbEEZZNS1_14partition_implILS5_9ELb0ES3_jPlS8_PNS0_10empty_typeENS0_5tupleIJS8_S9_EEENSB_IJS8_SA_EEENS0_18inequality_wrapperIZN2at6native12_GLOBAL__N_124unique_dim_cuda_templateIbEESt5tupleIJNSF_6TensorESK_SK_EERKSK_lbbbEUlllE0_EEPmJS9_EEE10hipError_tPvRmT3_T4_T5_T6_T7_T9_mT8_P12ihipStream_tbDpT10_ENKUlT_T0_E_clISt17integral_constantIbLb0EES1A_EEDaS15_S16_EUlS15_E_NS1_11comp_targetILNS1_3genE10ELNS1_11target_archE1200ELNS1_3gpuE4ELNS1_3repE0EEENS1_30default_config_static_selectorELNS0_4arch9wavefront6targetE0EEEvT1_.kd
    .uniform_work_group_size: 1
    .uses_dynamic_stack: false
    .vgpr_count:     0
    .vgpr_spill_count: 0
    .wavefront_size: 32
  - .args:
      - .offset:         0
        .size:           120
        .value_kind:     by_value
    .group_segment_fixed_size: 0
    .kernarg_segment_align: 8
    .kernarg_segment_size: 120
    .language:       OpenCL C
    .language_version:
      - 2
      - 0
    .max_flat_workgroup_size: 512
    .name:           _ZN7rocprim17ROCPRIM_400000_NS6detail17trampoline_kernelINS0_14default_configENS1_25partition_config_selectorILNS1_17partition_subalgoE9EllbEEZZNS1_14partition_implILS5_9ELb0ES3_jPlS8_PNS0_10empty_typeENS0_5tupleIJS8_S9_EEENSB_IJS8_SA_EEENS0_18inequality_wrapperIZN2at6native12_GLOBAL__N_124unique_dim_cuda_templateIbEESt5tupleIJNSF_6TensorESK_SK_EERKSK_lbbbEUlllE0_EEPmJS9_EEE10hipError_tPvRmT3_T4_T5_T6_T7_T9_mT8_P12ihipStream_tbDpT10_ENKUlT_T0_E_clISt17integral_constantIbLb0EES1A_EEDaS15_S16_EUlS15_E_NS1_11comp_targetILNS1_3genE9ELNS1_11target_archE1100ELNS1_3gpuE3ELNS1_3repE0EEENS1_30default_config_static_selectorELNS0_4arch9wavefront6targetE0EEEvT1_
    .private_segment_fixed_size: 0
    .sgpr_count:     0
    .sgpr_spill_count: 0
    .symbol:         _ZN7rocprim17ROCPRIM_400000_NS6detail17trampoline_kernelINS0_14default_configENS1_25partition_config_selectorILNS1_17partition_subalgoE9EllbEEZZNS1_14partition_implILS5_9ELb0ES3_jPlS8_PNS0_10empty_typeENS0_5tupleIJS8_S9_EEENSB_IJS8_SA_EEENS0_18inequality_wrapperIZN2at6native12_GLOBAL__N_124unique_dim_cuda_templateIbEESt5tupleIJNSF_6TensorESK_SK_EERKSK_lbbbEUlllE0_EEPmJS9_EEE10hipError_tPvRmT3_T4_T5_T6_T7_T9_mT8_P12ihipStream_tbDpT10_ENKUlT_T0_E_clISt17integral_constantIbLb0EES1A_EEDaS15_S16_EUlS15_E_NS1_11comp_targetILNS1_3genE9ELNS1_11target_archE1100ELNS1_3gpuE3ELNS1_3repE0EEENS1_30default_config_static_selectorELNS0_4arch9wavefront6targetE0EEEvT1_.kd
    .uniform_work_group_size: 1
    .uses_dynamic_stack: false
    .vgpr_count:     0
    .vgpr_spill_count: 0
    .wavefront_size: 32
  - .args:
      - .offset:         0
        .size:           120
        .value_kind:     by_value
    .group_segment_fixed_size: 0
    .kernarg_segment_align: 8
    .kernarg_segment_size: 120
    .language:       OpenCL C
    .language_version:
      - 2
      - 0
    .max_flat_workgroup_size: 512
    .name:           _ZN7rocprim17ROCPRIM_400000_NS6detail17trampoline_kernelINS0_14default_configENS1_25partition_config_selectorILNS1_17partition_subalgoE9EllbEEZZNS1_14partition_implILS5_9ELb0ES3_jPlS8_PNS0_10empty_typeENS0_5tupleIJS8_S9_EEENSB_IJS8_SA_EEENS0_18inequality_wrapperIZN2at6native12_GLOBAL__N_124unique_dim_cuda_templateIbEESt5tupleIJNSF_6TensorESK_SK_EERKSK_lbbbEUlllE0_EEPmJS9_EEE10hipError_tPvRmT3_T4_T5_T6_T7_T9_mT8_P12ihipStream_tbDpT10_ENKUlT_T0_E_clISt17integral_constantIbLb0EES1A_EEDaS15_S16_EUlS15_E_NS1_11comp_targetILNS1_3genE8ELNS1_11target_archE1030ELNS1_3gpuE2ELNS1_3repE0EEENS1_30default_config_static_selectorELNS0_4arch9wavefront6targetE0EEEvT1_
    .private_segment_fixed_size: 0
    .sgpr_count:     0
    .sgpr_spill_count: 0
    .symbol:         _ZN7rocprim17ROCPRIM_400000_NS6detail17trampoline_kernelINS0_14default_configENS1_25partition_config_selectorILNS1_17partition_subalgoE9EllbEEZZNS1_14partition_implILS5_9ELb0ES3_jPlS8_PNS0_10empty_typeENS0_5tupleIJS8_S9_EEENSB_IJS8_SA_EEENS0_18inequality_wrapperIZN2at6native12_GLOBAL__N_124unique_dim_cuda_templateIbEESt5tupleIJNSF_6TensorESK_SK_EERKSK_lbbbEUlllE0_EEPmJS9_EEE10hipError_tPvRmT3_T4_T5_T6_T7_T9_mT8_P12ihipStream_tbDpT10_ENKUlT_T0_E_clISt17integral_constantIbLb0EES1A_EEDaS15_S16_EUlS15_E_NS1_11comp_targetILNS1_3genE8ELNS1_11target_archE1030ELNS1_3gpuE2ELNS1_3repE0EEENS1_30default_config_static_selectorELNS0_4arch9wavefront6targetE0EEEvT1_.kd
    .uniform_work_group_size: 1
    .uses_dynamic_stack: false
    .vgpr_count:     0
    .vgpr_spill_count: 0
    .wavefront_size: 32
  - .args:
      - .offset:         0
        .size:           136
        .value_kind:     by_value
    .group_segment_fixed_size: 0
    .kernarg_segment_align: 8
    .kernarg_segment_size: 136
    .language:       OpenCL C
    .language_version:
      - 2
      - 0
    .max_flat_workgroup_size: 128
    .name:           _ZN7rocprim17ROCPRIM_400000_NS6detail17trampoline_kernelINS0_14default_configENS1_25partition_config_selectorILNS1_17partition_subalgoE9EllbEEZZNS1_14partition_implILS5_9ELb0ES3_jPlS8_PNS0_10empty_typeENS0_5tupleIJS8_S9_EEENSB_IJS8_SA_EEENS0_18inequality_wrapperIZN2at6native12_GLOBAL__N_124unique_dim_cuda_templateIbEESt5tupleIJNSF_6TensorESK_SK_EERKSK_lbbbEUlllE0_EEPmJS9_EEE10hipError_tPvRmT3_T4_T5_T6_T7_T9_mT8_P12ihipStream_tbDpT10_ENKUlT_T0_E_clISt17integral_constantIbLb1EES1A_EEDaS15_S16_EUlS15_E_NS1_11comp_targetILNS1_3genE0ELNS1_11target_archE4294967295ELNS1_3gpuE0ELNS1_3repE0EEENS1_30default_config_static_selectorELNS0_4arch9wavefront6targetE0EEEvT1_
    .private_segment_fixed_size: 0
    .sgpr_count:     0
    .sgpr_spill_count: 0
    .symbol:         _ZN7rocprim17ROCPRIM_400000_NS6detail17trampoline_kernelINS0_14default_configENS1_25partition_config_selectorILNS1_17partition_subalgoE9EllbEEZZNS1_14partition_implILS5_9ELb0ES3_jPlS8_PNS0_10empty_typeENS0_5tupleIJS8_S9_EEENSB_IJS8_SA_EEENS0_18inequality_wrapperIZN2at6native12_GLOBAL__N_124unique_dim_cuda_templateIbEESt5tupleIJNSF_6TensorESK_SK_EERKSK_lbbbEUlllE0_EEPmJS9_EEE10hipError_tPvRmT3_T4_T5_T6_T7_T9_mT8_P12ihipStream_tbDpT10_ENKUlT_T0_E_clISt17integral_constantIbLb1EES1A_EEDaS15_S16_EUlS15_E_NS1_11comp_targetILNS1_3genE0ELNS1_11target_archE4294967295ELNS1_3gpuE0ELNS1_3repE0EEENS1_30default_config_static_selectorELNS0_4arch9wavefront6targetE0EEEvT1_.kd
    .uniform_work_group_size: 1
    .uses_dynamic_stack: false
    .vgpr_count:     0
    .vgpr_spill_count: 0
    .wavefront_size: 32
  - .args:
      - .offset:         0
        .size:           136
        .value_kind:     by_value
    .group_segment_fixed_size: 0
    .kernarg_segment_align: 8
    .kernarg_segment_size: 136
    .language:       OpenCL C
    .language_version:
      - 2
      - 0
    .max_flat_workgroup_size: 512
    .name:           _ZN7rocprim17ROCPRIM_400000_NS6detail17trampoline_kernelINS0_14default_configENS1_25partition_config_selectorILNS1_17partition_subalgoE9EllbEEZZNS1_14partition_implILS5_9ELb0ES3_jPlS8_PNS0_10empty_typeENS0_5tupleIJS8_S9_EEENSB_IJS8_SA_EEENS0_18inequality_wrapperIZN2at6native12_GLOBAL__N_124unique_dim_cuda_templateIbEESt5tupleIJNSF_6TensorESK_SK_EERKSK_lbbbEUlllE0_EEPmJS9_EEE10hipError_tPvRmT3_T4_T5_T6_T7_T9_mT8_P12ihipStream_tbDpT10_ENKUlT_T0_E_clISt17integral_constantIbLb1EES1A_EEDaS15_S16_EUlS15_E_NS1_11comp_targetILNS1_3genE5ELNS1_11target_archE942ELNS1_3gpuE9ELNS1_3repE0EEENS1_30default_config_static_selectorELNS0_4arch9wavefront6targetE0EEEvT1_
    .private_segment_fixed_size: 0
    .sgpr_count:     0
    .sgpr_spill_count: 0
    .symbol:         _ZN7rocprim17ROCPRIM_400000_NS6detail17trampoline_kernelINS0_14default_configENS1_25partition_config_selectorILNS1_17partition_subalgoE9EllbEEZZNS1_14partition_implILS5_9ELb0ES3_jPlS8_PNS0_10empty_typeENS0_5tupleIJS8_S9_EEENSB_IJS8_SA_EEENS0_18inequality_wrapperIZN2at6native12_GLOBAL__N_124unique_dim_cuda_templateIbEESt5tupleIJNSF_6TensorESK_SK_EERKSK_lbbbEUlllE0_EEPmJS9_EEE10hipError_tPvRmT3_T4_T5_T6_T7_T9_mT8_P12ihipStream_tbDpT10_ENKUlT_T0_E_clISt17integral_constantIbLb1EES1A_EEDaS15_S16_EUlS15_E_NS1_11comp_targetILNS1_3genE5ELNS1_11target_archE942ELNS1_3gpuE9ELNS1_3repE0EEENS1_30default_config_static_selectorELNS0_4arch9wavefront6targetE0EEEvT1_.kd
    .uniform_work_group_size: 1
    .uses_dynamic_stack: false
    .vgpr_count:     0
    .vgpr_spill_count: 0
    .wavefront_size: 32
  - .args:
      - .offset:         0
        .size:           136
        .value_kind:     by_value
    .group_segment_fixed_size: 0
    .kernarg_segment_align: 8
    .kernarg_segment_size: 136
    .language:       OpenCL C
    .language_version:
      - 2
      - 0
    .max_flat_workgroup_size: 128
    .name:           _ZN7rocprim17ROCPRIM_400000_NS6detail17trampoline_kernelINS0_14default_configENS1_25partition_config_selectorILNS1_17partition_subalgoE9EllbEEZZNS1_14partition_implILS5_9ELb0ES3_jPlS8_PNS0_10empty_typeENS0_5tupleIJS8_S9_EEENSB_IJS8_SA_EEENS0_18inequality_wrapperIZN2at6native12_GLOBAL__N_124unique_dim_cuda_templateIbEESt5tupleIJNSF_6TensorESK_SK_EERKSK_lbbbEUlllE0_EEPmJS9_EEE10hipError_tPvRmT3_T4_T5_T6_T7_T9_mT8_P12ihipStream_tbDpT10_ENKUlT_T0_E_clISt17integral_constantIbLb1EES1A_EEDaS15_S16_EUlS15_E_NS1_11comp_targetILNS1_3genE4ELNS1_11target_archE910ELNS1_3gpuE8ELNS1_3repE0EEENS1_30default_config_static_selectorELNS0_4arch9wavefront6targetE0EEEvT1_
    .private_segment_fixed_size: 0
    .sgpr_count:     0
    .sgpr_spill_count: 0
    .symbol:         _ZN7rocprim17ROCPRIM_400000_NS6detail17trampoline_kernelINS0_14default_configENS1_25partition_config_selectorILNS1_17partition_subalgoE9EllbEEZZNS1_14partition_implILS5_9ELb0ES3_jPlS8_PNS0_10empty_typeENS0_5tupleIJS8_S9_EEENSB_IJS8_SA_EEENS0_18inequality_wrapperIZN2at6native12_GLOBAL__N_124unique_dim_cuda_templateIbEESt5tupleIJNSF_6TensorESK_SK_EERKSK_lbbbEUlllE0_EEPmJS9_EEE10hipError_tPvRmT3_T4_T5_T6_T7_T9_mT8_P12ihipStream_tbDpT10_ENKUlT_T0_E_clISt17integral_constantIbLb1EES1A_EEDaS15_S16_EUlS15_E_NS1_11comp_targetILNS1_3genE4ELNS1_11target_archE910ELNS1_3gpuE8ELNS1_3repE0EEENS1_30default_config_static_selectorELNS0_4arch9wavefront6targetE0EEEvT1_.kd
    .uniform_work_group_size: 1
    .uses_dynamic_stack: false
    .vgpr_count:     0
    .vgpr_spill_count: 0
    .wavefront_size: 32
  - .args:
      - .offset:         0
        .size:           136
        .value_kind:     by_value
    .group_segment_fixed_size: 0
    .kernarg_segment_align: 8
    .kernarg_segment_size: 136
    .language:       OpenCL C
    .language_version:
      - 2
      - 0
    .max_flat_workgroup_size: 128
    .name:           _ZN7rocprim17ROCPRIM_400000_NS6detail17trampoline_kernelINS0_14default_configENS1_25partition_config_selectorILNS1_17partition_subalgoE9EllbEEZZNS1_14partition_implILS5_9ELb0ES3_jPlS8_PNS0_10empty_typeENS0_5tupleIJS8_S9_EEENSB_IJS8_SA_EEENS0_18inequality_wrapperIZN2at6native12_GLOBAL__N_124unique_dim_cuda_templateIbEESt5tupleIJNSF_6TensorESK_SK_EERKSK_lbbbEUlllE0_EEPmJS9_EEE10hipError_tPvRmT3_T4_T5_T6_T7_T9_mT8_P12ihipStream_tbDpT10_ENKUlT_T0_E_clISt17integral_constantIbLb1EES1A_EEDaS15_S16_EUlS15_E_NS1_11comp_targetILNS1_3genE3ELNS1_11target_archE908ELNS1_3gpuE7ELNS1_3repE0EEENS1_30default_config_static_selectorELNS0_4arch9wavefront6targetE0EEEvT1_
    .private_segment_fixed_size: 0
    .sgpr_count:     0
    .sgpr_spill_count: 0
    .symbol:         _ZN7rocprim17ROCPRIM_400000_NS6detail17trampoline_kernelINS0_14default_configENS1_25partition_config_selectorILNS1_17partition_subalgoE9EllbEEZZNS1_14partition_implILS5_9ELb0ES3_jPlS8_PNS0_10empty_typeENS0_5tupleIJS8_S9_EEENSB_IJS8_SA_EEENS0_18inequality_wrapperIZN2at6native12_GLOBAL__N_124unique_dim_cuda_templateIbEESt5tupleIJNSF_6TensorESK_SK_EERKSK_lbbbEUlllE0_EEPmJS9_EEE10hipError_tPvRmT3_T4_T5_T6_T7_T9_mT8_P12ihipStream_tbDpT10_ENKUlT_T0_E_clISt17integral_constantIbLb1EES1A_EEDaS15_S16_EUlS15_E_NS1_11comp_targetILNS1_3genE3ELNS1_11target_archE908ELNS1_3gpuE7ELNS1_3repE0EEENS1_30default_config_static_selectorELNS0_4arch9wavefront6targetE0EEEvT1_.kd
    .uniform_work_group_size: 1
    .uses_dynamic_stack: false
    .vgpr_count:     0
    .vgpr_spill_count: 0
    .wavefront_size: 32
  - .args:
      - .offset:         0
        .size:           136
        .value_kind:     by_value
    .group_segment_fixed_size: 0
    .kernarg_segment_align: 8
    .kernarg_segment_size: 136
    .language:       OpenCL C
    .language_version:
      - 2
      - 0
    .max_flat_workgroup_size: 192
    .name:           _ZN7rocprim17ROCPRIM_400000_NS6detail17trampoline_kernelINS0_14default_configENS1_25partition_config_selectorILNS1_17partition_subalgoE9EllbEEZZNS1_14partition_implILS5_9ELb0ES3_jPlS8_PNS0_10empty_typeENS0_5tupleIJS8_S9_EEENSB_IJS8_SA_EEENS0_18inequality_wrapperIZN2at6native12_GLOBAL__N_124unique_dim_cuda_templateIbEESt5tupleIJNSF_6TensorESK_SK_EERKSK_lbbbEUlllE0_EEPmJS9_EEE10hipError_tPvRmT3_T4_T5_T6_T7_T9_mT8_P12ihipStream_tbDpT10_ENKUlT_T0_E_clISt17integral_constantIbLb1EES1A_EEDaS15_S16_EUlS15_E_NS1_11comp_targetILNS1_3genE2ELNS1_11target_archE906ELNS1_3gpuE6ELNS1_3repE0EEENS1_30default_config_static_selectorELNS0_4arch9wavefront6targetE0EEEvT1_
    .private_segment_fixed_size: 0
    .sgpr_count:     0
    .sgpr_spill_count: 0
    .symbol:         _ZN7rocprim17ROCPRIM_400000_NS6detail17trampoline_kernelINS0_14default_configENS1_25partition_config_selectorILNS1_17partition_subalgoE9EllbEEZZNS1_14partition_implILS5_9ELb0ES3_jPlS8_PNS0_10empty_typeENS0_5tupleIJS8_S9_EEENSB_IJS8_SA_EEENS0_18inequality_wrapperIZN2at6native12_GLOBAL__N_124unique_dim_cuda_templateIbEESt5tupleIJNSF_6TensorESK_SK_EERKSK_lbbbEUlllE0_EEPmJS9_EEE10hipError_tPvRmT3_T4_T5_T6_T7_T9_mT8_P12ihipStream_tbDpT10_ENKUlT_T0_E_clISt17integral_constantIbLb1EES1A_EEDaS15_S16_EUlS15_E_NS1_11comp_targetILNS1_3genE2ELNS1_11target_archE906ELNS1_3gpuE6ELNS1_3repE0EEENS1_30default_config_static_selectorELNS0_4arch9wavefront6targetE0EEEvT1_.kd
    .uniform_work_group_size: 1
    .uses_dynamic_stack: false
    .vgpr_count:     0
    .vgpr_spill_count: 0
    .wavefront_size: 32
  - .args:
      - .offset:         0
        .size:           136
        .value_kind:     by_value
    .group_segment_fixed_size: 0
    .kernarg_segment_align: 8
    .kernarg_segment_size: 136
    .language:       OpenCL C
    .language_version:
      - 2
      - 0
    .max_flat_workgroup_size: 384
    .name:           _ZN7rocprim17ROCPRIM_400000_NS6detail17trampoline_kernelINS0_14default_configENS1_25partition_config_selectorILNS1_17partition_subalgoE9EllbEEZZNS1_14partition_implILS5_9ELb0ES3_jPlS8_PNS0_10empty_typeENS0_5tupleIJS8_S9_EEENSB_IJS8_SA_EEENS0_18inequality_wrapperIZN2at6native12_GLOBAL__N_124unique_dim_cuda_templateIbEESt5tupleIJNSF_6TensorESK_SK_EERKSK_lbbbEUlllE0_EEPmJS9_EEE10hipError_tPvRmT3_T4_T5_T6_T7_T9_mT8_P12ihipStream_tbDpT10_ENKUlT_T0_E_clISt17integral_constantIbLb1EES1A_EEDaS15_S16_EUlS15_E_NS1_11comp_targetILNS1_3genE10ELNS1_11target_archE1200ELNS1_3gpuE4ELNS1_3repE0EEENS1_30default_config_static_selectorELNS0_4arch9wavefront6targetE0EEEvT1_
    .private_segment_fixed_size: 0
    .sgpr_count:     0
    .sgpr_spill_count: 0
    .symbol:         _ZN7rocprim17ROCPRIM_400000_NS6detail17trampoline_kernelINS0_14default_configENS1_25partition_config_selectorILNS1_17partition_subalgoE9EllbEEZZNS1_14partition_implILS5_9ELb0ES3_jPlS8_PNS0_10empty_typeENS0_5tupleIJS8_S9_EEENSB_IJS8_SA_EEENS0_18inequality_wrapperIZN2at6native12_GLOBAL__N_124unique_dim_cuda_templateIbEESt5tupleIJNSF_6TensorESK_SK_EERKSK_lbbbEUlllE0_EEPmJS9_EEE10hipError_tPvRmT3_T4_T5_T6_T7_T9_mT8_P12ihipStream_tbDpT10_ENKUlT_T0_E_clISt17integral_constantIbLb1EES1A_EEDaS15_S16_EUlS15_E_NS1_11comp_targetILNS1_3genE10ELNS1_11target_archE1200ELNS1_3gpuE4ELNS1_3repE0EEENS1_30default_config_static_selectorELNS0_4arch9wavefront6targetE0EEEvT1_.kd
    .uniform_work_group_size: 1
    .uses_dynamic_stack: false
    .vgpr_count:     0
    .vgpr_spill_count: 0
    .wavefront_size: 32
  - .args:
      - .offset:         0
        .size:           136
        .value_kind:     by_value
    .group_segment_fixed_size: 0
    .kernarg_segment_align: 8
    .kernarg_segment_size: 136
    .language:       OpenCL C
    .language_version:
      - 2
      - 0
    .max_flat_workgroup_size: 512
    .name:           _ZN7rocprim17ROCPRIM_400000_NS6detail17trampoline_kernelINS0_14default_configENS1_25partition_config_selectorILNS1_17partition_subalgoE9EllbEEZZNS1_14partition_implILS5_9ELb0ES3_jPlS8_PNS0_10empty_typeENS0_5tupleIJS8_S9_EEENSB_IJS8_SA_EEENS0_18inequality_wrapperIZN2at6native12_GLOBAL__N_124unique_dim_cuda_templateIbEESt5tupleIJNSF_6TensorESK_SK_EERKSK_lbbbEUlllE0_EEPmJS9_EEE10hipError_tPvRmT3_T4_T5_T6_T7_T9_mT8_P12ihipStream_tbDpT10_ENKUlT_T0_E_clISt17integral_constantIbLb1EES1A_EEDaS15_S16_EUlS15_E_NS1_11comp_targetILNS1_3genE9ELNS1_11target_archE1100ELNS1_3gpuE3ELNS1_3repE0EEENS1_30default_config_static_selectorELNS0_4arch9wavefront6targetE0EEEvT1_
    .private_segment_fixed_size: 0
    .sgpr_count:     0
    .sgpr_spill_count: 0
    .symbol:         _ZN7rocprim17ROCPRIM_400000_NS6detail17trampoline_kernelINS0_14default_configENS1_25partition_config_selectorILNS1_17partition_subalgoE9EllbEEZZNS1_14partition_implILS5_9ELb0ES3_jPlS8_PNS0_10empty_typeENS0_5tupleIJS8_S9_EEENSB_IJS8_SA_EEENS0_18inequality_wrapperIZN2at6native12_GLOBAL__N_124unique_dim_cuda_templateIbEESt5tupleIJNSF_6TensorESK_SK_EERKSK_lbbbEUlllE0_EEPmJS9_EEE10hipError_tPvRmT3_T4_T5_T6_T7_T9_mT8_P12ihipStream_tbDpT10_ENKUlT_T0_E_clISt17integral_constantIbLb1EES1A_EEDaS15_S16_EUlS15_E_NS1_11comp_targetILNS1_3genE9ELNS1_11target_archE1100ELNS1_3gpuE3ELNS1_3repE0EEENS1_30default_config_static_selectorELNS0_4arch9wavefront6targetE0EEEvT1_.kd
    .uniform_work_group_size: 1
    .uses_dynamic_stack: false
    .vgpr_count:     0
    .vgpr_spill_count: 0
    .wavefront_size: 32
  - .args:
      - .offset:         0
        .size:           136
        .value_kind:     by_value
    .group_segment_fixed_size: 0
    .kernarg_segment_align: 8
    .kernarg_segment_size: 136
    .language:       OpenCL C
    .language_version:
      - 2
      - 0
    .max_flat_workgroup_size: 512
    .name:           _ZN7rocprim17ROCPRIM_400000_NS6detail17trampoline_kernelINS0_14default_configENS1_25partition_config_selectorILNS1_17partition_subalgoE9EllbEEZZNS1_14partition_implILS5_9ELb0ES3_jPlS8_PNS0_10empty_typeENS0_5tupleIJS8_S9_EEENSB_IJS8_SA_EEENS0_18inequality_wrapperIZN2at6native12_GLOBAL__N_124unique_dim_cuda_templateIbEESt5tupleIJNSF_6TensorESK_SK_EERKSK_lbbbEUlllE0_EEPmJS9_EEE10hipError_tPvRmT3_T4_T5_T6_T7_T9_mT8_P12ihipStream_tbDpT10_ENKUlT_T0_E_clISt17integral_constantIbLb1EES1A_EEDaS15_S16_EUlS15_E_NS1_11comp_targetILNS1_3genE8ELNS1_11target_archE1030ELNS1_3gpuE2ELNS1_3repE0EEENS1_30default_config_static_selectorELNS0_4arch9wavefront6targetE0EEEvT1_
    .private_segment_fixed_size: 0
    .sgpr_count:     0
    .sgpr_spill_count: 0
    .symbol:         _ZN7rocprim17ROCPRIM_400000_NS6detail17trampoline_kernelINS0_14default_configENS1_25partition_config_selectorILNS1_17partition_subalgoE9EllbEEZZNS1_14partition_implILS5_9ELb0ES3_jPlS8_PNS0_10empty_typeENS0_5tupleIJS8_S9_EEENSB_IJS8_SA_EEENS0_18inequality_wrapperIZN2at6native12_GLOBAL__N_124unique_dim_cuda_templateIbEESt5tupleIJNSF_6TensorESK_SK_EERKSK_lbbbEUlllE0_EEPmJS9_EEE10hipError_tPvRmT3_T4_T5_T6_T7_T9_mT8_P12ihipStream_tbDpT10_ENKUlT_T0_E_clISt17integral_constantIbLb1EES1A_EEDaS15_S16_EUlS15_E_NS1_11comp_targetILNS1_3genE8ELNS1_11target_archE1030ELNS1_3gpuE2ELNS1_3repE0EEENS1_30default_config_static_selectorELNS0_4arch9wavefront6targetE0EEEvT1_.kd
    .uniform_work_group_size: 1
    .uses_dynamic_stack: false
    .vgpr_count:     0
    .vgpr_spill_count: 0
    .wavefront_size: 32
  - .args:
      - .offset:         0
        .size:           120
        .value_kind:     by_value
    .group_segment_fixed_size: 0
    .kernarg_segment_align: 8
    .kernarg_segment_size: 120
    .language:       OpenCL C
    .language_version:
      - 2
      - 0
    .max_flat_workgroup_size: 128
    .name:           _ZN7rocprim17ROCPRIM_400000_NS6detail17trampoline_kernelINS0_14default_configENS1_25partition_config_selectorILNS1_17partition_subalgoE9EllbEEZZNS1_14partition_implILS5_9ELb0ES3_jPlS8_PNS0_10empty_typeENS0_5tupleIJS8_S9_EEENSB_IJS8_SA_EEENS0_18inequality_wrapperIZN2at6native12_GLOBAL__N_124unique_dim_cuda_templateIbEESt5tupleIJNSF_6TensorESK_SK_EERKSK_lbbbEUlllE0_EEPmJS9_EEE10hipError_tPvRmT3_T4_T5_T6_T7_T9_mT8_P12ihipStream_tbDpT10_ENKUlT_T0_E_clISt17integral_constantIbLb1EES19_IbLb0EEEEDaS15_S16_EUlS15_E_NS1_11comp_targetILNS1_3genE0ELNS1_11target_archE4294967295ELNS1_3gpuE0ELNS1_3repE0EEENS1_30default_config_static_selectorELNS0_4arch9wavefront6targetE0EEEvT1_
    .private_segment_fixed_size: 0
    .sgpr_count:     0
    .sgpr_spill_count: 0
    .symbol:         _ZN7rocprim17ROCPRIM_400000_NS6detail17trampoline_kernelINS0_14default_configENS1_25partition_config_selectorILNS1_17partition_subalgoE9EllbEEZZNS1_14partition_implILS5_9ELb0ES3_jPlS8_PNS0_10empty_typeENS0_5tupleIJS8_S9_EEENSB_IJS8_SA_EEENS0_18inequality_wrapperIZN2at6native12_GLOBAL__N_124unique_dim_cuda_templateIbEESt5tupleIJNSF_6TensorESK_SK_EERKSK_lbbbEUlllE0_EEPmJS9_EEE10hipError_tPvRmT3_T4_T5_T6_T7_T9_mT8_P12ihipStream_tbDpT10_ENKUlT_T0_E_clISt17integral_constantIbLb1EES19_IbLb0EEEEDaS15_S16_EUlS15_E_NS1_11comp_targetILNS1_3genE0ELNS1_11target_archE4294967295ELNS1_3gpuE0ELNS1_3repE0EEENS1_30default_config_static_selectorELNS0_4arch9wavefront6targetE0EEEvT1_.kd
    .uniform_work_group_size: 1
    .uses_dynamic_stack: false
    .vgpr_count:     0
    .vgpr_spill_count: 0
    .wavefront_size: 32
  - .args:
      - .offset:         0
        .size:           120
        .value_kind:     by_value
    .group_segment_fixed_size: 0
    .kernarg_segment_align: 8
    .kernarg_segment_size: 120
    .language:       OpenCL C
    .language_version:
      - 2
      - 0
    .max_flat_workgroup_size: 512
    .name:           _ZN7rocprim17ROCPRIM_400000_NS6detail17trampoline_kernelINS0_14default_configENS1_25partition_config_selectorILNS1_17partition_subalgoE9EllbEEZZNS1_14partition_implILS5_9ELb0ES3_jPlS8_PNS0_10empty_typeENS0_5tupleIJS8_S9_EEENSB_IJS8_SA_EEENS0_18inequality_wrapperIZN2at6native12_GLOBAL__N_124unique_dim_cuda_templateIbEESt5tupleIJNSF_6TensorESK_SK_EERKSK_lbbbEUlllE0_EEPmJS9_EEE10hipError_tPvRmT3_T4_T5_T6_T7_T9_mT8_P12ihipStream_tbDpT10_ENKUlT_T0_E_clISt17integral_constantIbLb1EES19_IbLb0EEEEDaS15_S16_EUlS15_E_NS1_11comp_targetILNS1_3genE5ELNS1_11target_archE942ELNS1_3gpuE9ELNS1_3repE0EEENS1_30default_config_static_selectorELNS0_4arch9wavefront6targetE0EEEvT1_
    .private_segment_fixed_size: 0
    .sgpr_count:     0
    .sgpr_spill_count: 0
    .symbol:         _ZN7rocprim17ROCPRIM_400000_NS6detail17trampoline_kernelINS0_14default_configENS1_25partition_config_selectorILNS1_17partition_subalgoE9EllbEEZZNS1_14partition_implILS5_9ELb0ES3_jPlS8_PNS0_10empty_typeENS0_5tupleIJS8_S9_EEENSB_IJS8_SA_EEENS0_18inequality_wrapperIZN2at6native12_GLOBAL__N_124unique_dim_cuda_templateIbEESt5tupleIJNSF_6TensorESK_SK_EERKSK_lbbbEUlllE0_EEPmJS9_EEE10hipError_tPvRmT3_T4_T5_T6_T7_T9_mT8_P12ihipStream_tbDpT10_ENKUlT_T0_E_clISt17integral_constantIbLb1EES19_IbLb0EEEEDaS15_S16_EUlS15_E_NS1_11comp_targetILNS1_3genE5ELNS1_11target_archE942ELNS1_3gpuE9ELNS1_3repE0EEENS1_30default_config_static_selectorELNS0_4arch9wavefront6targetE0EEEvT1_.kd
    .uniform_work_group_size: 1
    .uses_dynamic_stack: false
    .vgpr_count:     0
    .vgpr_spill_count: 0
    .wavefront_size: 32
  - .args:
      - .offset:         0
        .size:           120
        .value_kind:     by_value
    .group_segment_fixed_size: 0
    .kernarg_segment_align: 8
    .kernarg_segment_size: 120
    .language:       OpenCL C
    .language_version:
      - 2
      - 0
    .max_flat_workgroup_size: 128
    .name:           _ZN7rocprim17ROCPRIM_400000_NS6detail17trampoline_kernelINS0_14default_configENS1_25partition_config_selectorILNS1_17partition_subalgoE9EllbEEZZNS1_14partition_implILS5_9ELb0ES3_jPlS8_PNS0_10empty_typeENS0_5tupleIJS8_S9_EEENSB_IJS8_SA_EEENS0_18inequality_wrapperIZN2at6native12_GLOBAL__N_124unique_dim_cuda_templateIbEESt5tupleIJNSF_6TensorESK_SK_EERKSK_lbbbEUlllE0_EEPmJS9_EEE10hipError_tPvRmT3_T4_T5_T6_T7_T9_mT8_P12ihipStream_tbDpT10_ENKUlT_T0_E_clISt17integral_constantIbLb1EES19_IbLb0EEEEDaS15_S16_EUlS15_E_NS1_11comp_targetILNS1_3genE4ELNS1_11target_archE910ELNS1_3gpuE8ELNS1_3repE0EEENS1_30default_config_static_selectorELNS0_4arch9wavefront6targetE0EEEvT1_
    .private_segment_fixed_size: 0
    .sgpr_count:     0
    .sgpr_spill_count: 0
    .symbol:         _ZN7rocprim17ROCPRIM_400000_NS6detail17trampoline_kernelINS0_14default_configENS1_25partition_config_selectorILNS1_17partition_subalgoE9EllbEEZZNS1_14partition_implILS5_9ELb0ES3_jPlS8_PNS0_10empty_typeENS0_5tupleIJS8_S9_EEENSB_IJS8_SA_EEENS0_18inequality_wrapperIZN2at6native12_GLOBAL__N_124unique_dim_cuda_templateIbEESt5tupleIJNSF_6TensorESK_SK_EERKSK_lbbbEUlllE0_EEPmJS9_EEE10hipError_tPvRmT3_T4_T5_T6_T7_T9_mT8_P12ihipStream_tbDpT10_ENKUlT_T0_E_clISt17integral_constantIbLb1EES19_IbLb0EEEEDaS15_S16_EUlS15_E_NS1_11comp_targetILNS1_3genE4ELNS1_11target_archE910ELNS1_3gpuE8ELNS1_3repE0EEENS1_30default_config_static_selectorELNS0_4arch9wavefront6targetE0EEEvT1_.kd
    .uniform_work_group_size: 1
    .uses_dynamic_stack: false
    .vgpr_count:     0
    .vgpr_spill_count: 0
    .wavefront_size: 32
  - .args:
      - .offset:         0
        .size:           120
        .value_kind:     by_value
    .group_segment_fixed_size: 0
    .kernarg_segment_align: 8
    .kernarg_segment_size: 120
    .language:       OpenCL C
    .language_version:
      - 2
      - 0
    .max_flat_workgroup_size: 128
    .name:           _ZN7rocprim17ROCPRIM_400000_NS6detail17trampoline_kernelINS0_14default_configENS1_25partition_config_selectorILNS1_17partition_subalgoE9EllbEEZZNS1_14partition_implILS5_9ELb0ES3_jPlS8_PNS0_10empty_typeENS0_5tupleIJS8_S9_EEENSB_IJS8_SA_EEENS0_18inequality_wrapperIZN2at6native12_GLOBAL__N_124unique_dim_cuda_templateIbEESt5tupleIJNSF_6TensorESK_SK_EERKSK_lbbbEUlllE0_EEPmJS9_EEE10hipError_tPvRmT3_T4_T5_T6_T7_T9_mT8_P12ihipStream_tbDpT10_ENKUlT_T0_E_clISt17integral_constantIbLb1EES19_IbLb0EEEEDaS15_S16_EUlS15_E_NS1_11comp_targetILNS1_3genE3ELNS1_11target_archE908ELNS1_3gpuE7ELNS1_3repE0EEENS1_30default_config_static_selectorELNS0_4arch9wavefront6targetE0EEEvT1_
    .private_segment_fixed_size: 0
    .sgpr_count:     0
    .sgpr_spill_count: 0
    .symbol:         _ZN7rocprim17ROCPRIM_400000_NS6detail17trampoline_kernelINS0_14default_configENS1_25partition_config_selectorILNS1_17partition_subalgoE9EllbEEZZNS1_14partition_implILS5_9ELb0ES3_jPlS8_PNS0_10empty_typeENS0_5tupleIJS8_S9_EEENSB_IJS8_SA_EEENS0_18inequality_wrapperIZN2at6native12_GLOBAL__N_124unique_dim_cuda_templateIbEESt5tupleIJNSF_6TensorESK_SK_EERKSK_lbbbEUlllE0_EEPmJS9_EEE10hipError_tPvRmT3_T4_T5_T6_T7_T9_mT8_P12ihipStream_tbDpT10_ENKUlT_T0_E_clISt17integral_constantIbLb1EES19_IbLb0EEEEDaS15_S16_EUlS15_E_NS1_11comp_targetILNS1_3genE3ELNS1_11target_archE908ELNS1_3gpuE7ELNS1_3repE0EEENS1_30default_config_static_selectorELNS0_4arch9wavefront6targetE0EEEvT1_.kd
    .uniform_work_group_size: 1
    .uses_dynamic_stack: false
    .vgpr_count:     0
    .vgpr_spill_count: 0
    .wavefront_size: 32
  - .args:
      - .offset:         0
        .size:           120
        .value_kind:     by_value
    .group_segment_fixed_size: 0
    .kernarg_segment_align: 8
    .kernarg_segment_size: 120
    .language:       OpenCL C
    .language_version:
      - 2
      - 0
    .max_flat_workgroup_size: 192
    .name:           _ZN7rocprim17ROCPRIM_400000_NS6detail17trampoline_kernelINS0_14default_configENS1_25partition_config_selectorILNS1_17partition_subalgoE9EllbEEZZNS1_14partition_implILS5_9ELb0ES3_jPlS8_PNS0_10empty_typeENS0_5tupleIJS8_S9_EEENSB_IJS8_SA_EEENS0_18inequality_wrapperIZN2at6native12_GLOBAL__N_124unique_dim_cuda_templateIbEESt5tupleIJNSF_6TensorESK_SK_EERKSK_lbbbEUlllE0_EEPmJS9_EEE10hipError_tPvRmT3_T4_T5_T6_T7_T9_mT8_P12ihipStream_tbDpT10_ENKUlT_T0_E_clISt17integral_constantIbLb1EES19_IbLb0EEEEDaS15_S16_EUlS15_E_NS1_11comp_targetILNS1_3genE2ELNS1_11target_archE906ELNS1_3gpuE6ELNS1_3repE0EEENS1_30default_config_static_selectorELNS0_4arch9wavefront6targetE0EEEvT1_
    .private_segment_fixed_size: 0
    .sgpr_count:     0
    .sgpr_spill_count: 0
    .symbol:         _ZN7rocprim17ROCPRIM_400000_NS6detail17trampoline_kernelINS0_14default_configENS1_25partition_config_selectorILNS1_17partition_subalgoE9EllbEEZZNS1_14partition_implILS5_9ELb0ES3_jPlS8_PNS0_10empty_typeENS0_5tupleIJS8_S9_EEENSB_IJS8_SA_EEENS0_18inequality_wrapperIZN2at6native12_GLOBAL__N_124unique_dim_cuda_templateIbEESt5tupleIJNSF_6TensorESK_SK_EERKSK_lbbbEUlllE0_EEPmJS9_EEE10hipError_tPvRmT3_T4_T5_T6_T7_T9_mT8_P12ihipStream_tbDpT10_ENKUlT_T0_E_clISt17integral_constantIbLb1EES19_IbLb0EEEEDaS15_S16_EUlS15_E_NS1_11comp_targetILNS1_3genE2ELNS1_11target_archE906ELNS1_3gpuE6ELNS1_3repE0EEENS1_30default_config_static_selectorELNS0_4arch9wavefront6targetE0EEEvT1_.kd
    .uniform_work_group_size: 1
    .uses_dynamic_stack: false
    .vgpr_count:     0
    .vgpr_spill_count: 0
    .wavefront_size: 32
  - .args:
      - .offset:         0
        .size:           120
        .value_kind:     by_value
    .group_segment_fixed_size: 0
    .kernarg_segment_align: 8
    .kernarg_segment_size: 120
    .language:       OpenCL C
    .language_version:
      - 2
      - 0
    .max_flat_workgroup_size: 384
    .name:           _ZN7rocprim17ROCPRIM_400000_NS6detail17trampoline_kernelINS0_14default_configENS1_25partition_config_selectorILNS1_17partition_subalgoE9EllbEEZZNS1_14partition_implILS5_9ELb0ES3_jPlS8_PNS0_10empty_typeENS0_5tupleIJS8_S9_EEENSB_IJS8_SA_EEENS0_18inequality_wrapperIZN2at6native12_GLOBAL__N_124unique_dim_cuda_templateIbEESt5tupleIJNSF_6TensorESK_SK_EERKSK_lbbbEUlllE0_EEPmJS9_EEE10hipError_tPvRmT3_T4_T5_T6_T7_T9_mT8_P12ihipStream_tbDpT10_ENKUlT_T0_E_clISt17integral_constantIbLb1EES19_IbLb0EEEEDaS15_S16_EUlS15_E_NS1_11comp_targetILNS1_3genE10ELNS1_11target_archE1200ELNS1_3gpuE4ELNS1_3repE0EEENS1_30default_config_static_selectorELNS0_4arch9wavefront6targetE0EEEvT1_
    .private_segment_fixed_size: 0
    .sgpr_count:     0
    .sgpr_spill_count: 0
    .symbol:         _ZN7rocprim17ROCPRIM_400000_NS6detail17trampoline_kernelINS0_14default_configENS1_25partition_config_selectorILNS1_17partition_subalgoE9EllbEEZZNS1_14partition_implILS5_9ELb0ES3_jPlS8_PNS0_10empty_typeENS0_5tupleIJS8_S9_EEENSB_IJS8_SA_EEENS0_18inequality_wrapperIZN2at6native12_GLOBAL__N_124unique_dim_cuda_templateIbEESt5tupleIJNSF_6TensorESK_SK_EERKSK_lbbbEUlllE0_EEPmJS9_EEE10hipError_tPvRmT3_T4_T5_T6_T7_T9_mT8_P12ihipStream_tbDpT10_ENKUlT_T0_E_clISt17integral_constantIbLb1EES19_IbLb0EEEEDaS15_S16_EUlS15_E_NS1_11comp_targetILNS1_3genE10ELNS1_11target_archE1200ELNS1_3gpuE4ELNS1_3repE0EEENS1_30default_config_static_selectorELNS0_4arch9wavefront6targetE0EEEvT1_.kd
    .uniform_work_group_size: 1
    .uses_dynamic_stack: false
    .vgpr_count:     0
    .vgpr_spill_count: 0
    .wavefront_size: 32
  - .args:
      - .offset:         0
        .size:           120
        .value_kind:     by_value
    .group_segment_fixed_size: 0
    .kernarg_segment_align: 8
    .kernarg_segment_size: 120
    .language:       OpenCL C
    .language_version:
      - 2
      - 0
    .max_flat_workgroup_size: 512
    .name:           _ZN7rocprim17ROCPRIM_400000_NS6detail17trampoline_kernelINS0_14default_configENS1_25partition_config_selectorILNS1_17partition_subalgoE9EllbEEZZNS1_14partition_implILS5_9ELb0ES3_jPlS8_PNS0_10empty_typeENS0_5tupleIJS8_S9_EEENSB_IJS8_SA_EEENS0_18inequality_wrapperIZN2at6native12_GLOBAL__N_124unique_dim_cuda_templateIbEESt5tupleIJNSF_6TensorESK_SK_EERKSK_lbbbEUlllE0_EEPmJS9_EEE10hipError_tPvRmT3_T4_T5_T6_T7_T9_mT8_P12ihipStream_tbDpT10_ENKUlT_T0_E_clISt17integral_constantIbLb1EES19_IbLb0EEEEDaS15_S16_EUlS15_E_NS1_11comp_targetILNS1_3genE9ELNS1_11target_archE1100ELNS1_3gpuE3ELNS1_3repE0EEENS1_30default_config_static_selectorELNS0_4arch9wavefront6targetE0EEEvT1_
    .private_segment_fixed_size: 0
    .sgpr_count:     0
    .sgpr_spill_count: 0
    .symbol:         _ZN7rocprim17ROCPRIM_400000_NS6detail17trampoline_kernelINS0_14default_configENS1_25partition_config_selectorILNS1_17partition_subalgoE9EllbEEZZNS1_14partition_implILS5_9ELb0ES3_jPlS8_PNS0_10empty_typeENS0_5tupleIJS8_S9_EEENSB_IJS8_SA_EEENS0_18inequality_wrapperIZN2at6native12_GLOBAL__N_124unique_dim_cuda_templateIbEESt5tupleIJNSF_6TensorESK_SK_EERKSK_lbbbEUlllE0_EEPmJS9_EEE10hipError_tPvRmT3_T4_T5_T6_T7_T9_mT8_P12ihipStream_tbDpT10_ENKUlT_T0_E_clISt17integral_constantIbLb1EES19_IbLb0EEEEDaS15_S16_EUlS15_E_NS1_11comp_targetILNS1_3genE9ELNS1_11target_archE1100ELNS1_3gpuE3ELNS1_3repE0EEENS1_30default_config_static_selectorELNS0_4arch9wavefront6targetE0EEEvT1_.kd
    .uniform_work_group_size: 1
    .uses_dynamic_stack: false
    .vgpr_count:     0
    .vgpr_spill_count: 0
    .wavefront_size: 32
  - .args:
      - .offset:         0
        .size:           120
        .value_kind:     by_value
    .group_segment_fixed_size: 0
    .kernarg_segment_align: 8
    .kernarg_segment_size: 120
    .language:       OpenCL C
    .language_version:
      - 2
      - 0
    .max_flat_workgroup_size: 512
    .name:           _ZN7rocprim17ROCPRIM_400000_NS6detail17trampoline_kernelINS0_14default_configENS1_25partition_config_selectorILNS1_17partition_subalgoE9EllbEEZZNS1_14partition_implILS5_9ELb0ES3_jPlS8_PNS0_10empty_typeENS0_5tupleIJS8_S9_EEENSB_IJS8_SA_EEENS0_18inequality_wrapperIZN2at6native12_GLOBAL__N_124unique_dim_cuda_templateIbEESt5tupleIJNSF_6TensorESK_SK_EERKSK_lbbbEUlllE0_EEPmJS9_EEE10hipError_tPvRmT3_T4_T5_T6_T7_T9_mT8_P12ihipStream_tbDpT10_ENKUlT_T0_E_clISt17integral_constantIbLb1EES19_IbLb0EEEEDaS15_S16_EUlS15_E_NS1_11comp_targetILNS1_3genE8ELNS1_11target_archE1030ELNS1_3gpuE2ELNS1_3repE0EEENS1_30default_config_static_selectorELNS0_4arch9wavefront6targetE0EEEvT1_
    .private_segment_fixed_size: 0
    .sgpr_count:     0
    .sgpr_spill_count: 0
    .symbol:         _ZN7rocprim17ROCPRIM_400000_NS6detail17trampoline_kernelINS0_14default_configENS1_25partition_config_selectorILNS1_17partition_subalgoE9EllbEEZZNS1_14partition_implILS5_9ELb0ES3_jPlS8_PNS0_10empty_typeENS0_5tupleIJS8_S9_EEENSB_IJS8_SA_EEENS0_18inequality_wrapperIZN2at6native12_GLOBAL__N_124unique_dim_cuda_templateIbEESt5tupleIJNSF_6TensorESK_SK_EERKSK_lbbbEUlllE0_EEPmJS9_EEE10hipError_tPvRmT3_T4_T5_T6_T7_T9_mT8_P12ihipStream_tbDpT10_ENKUlT_T0_E_clISt17integral_constantIbLb1EES19_IbLb0EEEEDaS15_S16_EUlS15_E_NS1_11comp_targetILNS1_3genE8ELNS1_11target_archE1030ELNS1_3gpuE2ELNS1_3repE0EEENS1_30default_config_static_selectorELNS0_4arch9wavefront6targetE0EEEvT1_.kd
    .uniform_work_group_size: 1
    .uses_dynamic_stack: false
    .vgpr_count:     0
    .vgpr_spill_count: 0
    .wavefront_size: 32
  - .args:
      - .offset:         0
        .size:           136
        .value_kind:     by_value
    .group_segment_fixed_size: 5128
    .kernarg_segment_align: 8
    .kernarg_segment_size: 136
    .language:       OpenCL C
    .language_version:
      - 2
      - 0
    .max_flat_workgroup_size: 128
    .name:           _ZN7rocprim17ROCPRIM_400000_NS6detail17trampoline_kernelINS0_14default_configENS1_25partition_config_selectorILNS1_17partition_subalgoE9EllbEEZZNS1_14partition_implILS5_9ELb0ES3_jPlS8_PNS0_10empty_typeENS0_5tupleIJS8_S9_EEENSB_IJS8_SA_EEENS0_18inequality_wrapperIZN2at6native12_GLOBAL__N_124unique_dim_cuda_templateIbEESt5tupleIJNSF_6TensorESK_SK_EERKSK_lbbbEUlllE0_EEPmJS9_EEE10hipError_tPvRmT3_T4_T5_T6_T7_T9_mT8_P12ihipStream_tbDpT10_ENKUlT_T0_E_clISt17integral_constantIbLb0EES19_IbLb1EEEEDaS15_S16_EUlS15_E_NS1_11comp_targetILNS1_3genE0ELNS1_11target_archE4294967295ELNS1_3gpuE0ELNS1_3repE0EEENS1_30default_config_static_selectorELNS0_4arch9wavefront6targetE0EEEvT1_
    .private_segment_fixed_size: 0
    .sgpr_count:     38
    .sgpr_spill_count: 0
    .symbol:         _ZN7rocprim17ROCPRIM_400000_NS6detail17trampoline_kernelINS0_14default_configENS1_25partition_config_selectorILNS1_17partition_subalgoE9EllbEEZZNS1_14partition_implILS5_9ELb0ES3_jPlS8_PNS0_10empty_typeENS0_5tupleIJS8_S9_EEENSB_IJS8_SA_EEENS0_18inequality_wrapperIZN2at6native12_GLOBAL__N_124unique_dim_cuda_templateIbEESt5tupleIJNSF_6TensorESK_SK_EERKSK_lbbbEUlllE0_EEPmJS9_EEE10hipError_tPvRmT3_T4_T5_T6_T7_T9_mT8_P12ihipStream_tbDpT10_ENKUlT_T0_E_clISt17integral_constantIbLb0EES19_IbLb1EEEEDaS15_S16_EUlS15_E_NS1_11comp_targetILNS1_3genE0ELNS1_11target_archE4294967295ELNS1_3gpuE0ELNS1_3repE0EEENS1_30default_config_static_selectorELNS0_4arch9wavefront6targetE0EEEvT1_.kd
    .uniform_work_group_size: 1
    .uses_dynamic_stack: false
    .vgpr_count:     55
    .vgpr_spill_count: 0
    .wavefront_size: 32
  - .args:
      - .offset:         0
        .size:           136
        .value_kind:     by_value
    .group_segment_fixed_size: 0
    .kernarg_segment_align: 8
    .kernarg_segment_size: 136
    .language:       OpenCL C
    .language_version:
      - 2
      - 0
    .max_flat_workgroup_size: 512
    .name:           _ZN7rocprim17ROCPRIM_400000_NS6detail17trampoline_kernelINS0_14default_configENS1_25partition_config_selectorILNS1_17partition_subalgoE9EllbEEZZNS1_14partition_implILS5_9ELb0ES3_jPlS8_PNS0_10empty_typeENS0_5tupleIJS8_S9_EEENSB_IJS8_SA_EEENS0_18inequality_wrapperIZN2at6native12_GLOBAL__N_124unique_dim_cuda_templateIbEESt5tupleIJNSF_6TensorESK_SK_EERKSK_lbbbEUlllE0_EEPmJS9_EEE10hipError_tPvRmT3_T4_T5_T6_T7_T9_mT8_P12ihipStream_tbDpT10_ENKUlT_T0_E_clISt17integral_constantIbLb0EES19_IbLb1EEEEDaS15_S16_EUlS15_E_NS1_11comp_targetILNS1_3genE5ELNS1_11target_archE942ELNS1_3gpuE9ELNS1_3repE0EEENS1_30default_config_static_selectorELNS0_4arch9wavefront6targetE0EEEvT1_
    .private_segment_fixed_size: 0
    .sgpr_count:     0
    .sgpr_spill_count: 0
    .symbol:         _ZN7rocprim17ROCPRIM_400000_NS6detail17trampoline_kernelINS0_14default_configENS1_25partition_config_selectorILNS1_17partition_subalgoE9EllbEEZZNS1_14partition_implILS5_9ELb0ES3_jPlS8_PNS0_10empty_typeENS0_5tupleIJS8_S9_EEENSB_IJS8_SA_EEENS0_18inequality_wrapperIZN2at6native12_GLOBAL__N_124unique_dim_cuda_templateIbEESt5tupleIJNSF_6TensorESK_SK_EERKSK_lbbbEUlllE0_EEPmJS9_EEE10hipError_tPvRmT3_T4_T5_T6_T7_T9_mT8_P12ihipStream_tbDpT10_ENKUlT_T0_E_clISt17integral_constantIbLb0EES19_IbLb1EEEEDaS15_S16_EUlS15_E_NS1_11comp_targetILNS1_3genE5ELNS1_11target_archE942ELNS1_3gpuE9ELNS1_3repE0EEENS1_30default_config_static_selectorELNS0_4arch9wavefront6targetE0EEEvT1_.kd
    .uniform_work_group_size: 1
    .uses_dynamic_stack: false
    .vgpr_count:     0
    .vgpr_spill_count: 0
    .wavefront_size: 32
  - .args:
      - .offset:         0
        .size:           136
        .value_kind:     by_value
    .group_segment_fixed_size: 0
    .kernarg_segment_align: 8
    .kernarg_segment_size: 136
    .language:       OpenCL C
    .language_version:
      - 2
      - 0
    .max_flat_workgroup_size: 128
    .name:           _ZN7rocprim17ROCPRIM_400000_NS6detail17trampoline_kernelINS0_14default_configENS1_25partition_config_selectorILNS1_17partition_subalgoE9EllbEEZZNS1_14partition_implILS5_9ELb0ES3_jPlS8_PNS0_10empty_typeENS0_5tupleIJS8_S9_EEENSB_IJS8_SA_EEENS0_18inequality_wrapperIZN2at6native12_GLOBAL__N_124unique_dim_cuda_templateIbEESt5tupleIJNSF_6TensorESK_SK_EERKSK_lbbbEUlllE0_EEPmJS9_EEE10hipError_tPvRmT3_T4_T5_T6_T7_T9_mT8_P12ihipStream_tbDpT10_ENKUlT_T0_E_clISt17integral_constantIbLb0EES19_IbLb1EEEEDaS15_S16_EUlS15_E_NS1_11comp_targetILNS1_3genE4ELNS1_11target_archE910ELNS1_3gpuE8ELNS1_3repE0EEENS1_30default_config_static_selectorELNS0_4arch9wavefront6targetE0EEEvT1_
    .private_segment_fixed_size: 0
    .sgpr_count:     0
    .sgpr_spill_count: 0
    .symbol:         _ZN7rocprim17ROCPRIM_400000_NS6detail17trampoline_kernelINS0_14default_configENS1_25partition_config_selectorILNS1_17partition_subalgoE9EllbEEZZNS1_14partition_implILS5_9ELb0ES3_jPlS8_PNS0_10empty_typeENS0_5tupleIJS8_S9_EEENSB_IJS8_SA_EEENS0_18inequality_wrapperIZN2at6native12_GLOBAL__N_124unique_dim_cuda_templateIbEESt5tupleIJNSF_6TensorESK_SK_EERKSK_lbbbEUlllE0_EEPmJS9_EEE10hipError_tPvRmT3_T4_T5_T6_T7_T9_mT8_P12ihipStream_tbDpT10_ENKUlT_T0_E_clISt17integral_constantIbLb0EES19_IbLb1EEEEDaS15_S16_EUlS15_E_NS1_11comp_targetILNS1_3genE4ELNS1_11target_archE910ELNS1_3gpuE8ELNS1_3repE0EEENS1_30default_config_static_selectorELNS0_4arch9wavefront6targetE0EEEvT1_.kd
    .uniform_work_group_size: 1
    .uses_dynamic_stack: false
    .vgpr_count:     0
    .vgpr_spill_count: 0
    .wavefront_size: 32
  - .args:
      - .offset:         0
        .size:           136
        .value_kind:     by_value
    .group_segment_fixed_size: 0
    .kernarg_segment_align: 8
    .kernarg_segment_size: 136
    .language:       OpenCL C
    .language_version:
      - 2
      - 0
    .max_flat_workgroup_size: 128
    .name:           _ZN7rocprim17ROCPRIM_400000_NS6detail17trampoline_kernelINS0_14default_configENS1_25partition_config_selectorILNS1_17partition_subalgoE9EllbEEZZNS1_14partition_implILS5_9ELb0ES3_jPlS8_PNS0_10empty_typeENS0_5tupleIJS8_S9_EEENSB_IJS8_SA_EEENS0_18inequality_wrapperIZN2at6native12_GLOBAL__N_124unique_dim_cuda_templateIbEESt5tupleIJNSF_6TensorESK_SK_EERKSK_lbbbEUlllE0_EEPmJS9_EEE10hipError_tPvRmT3_T4_T5_T6_T7_T9_mT8_P12ihipStream_tbDpT10_ENKUlT_T0_E_clISt17integral_constantIbLb0EES19_IbLb1EEEEDaS15_S16_EUlS15_E_NS1_11comp_targetILNS1_3genE3ELNS1_11target_archE908ELNS1_3gpuE7ELNS1_3repE0EEENS1_30default_config_static_selectorELNS0_4arch9wavefront6targetE0EEEvT1_
    .private_segment_fixed_size: 0
    .sgpr_count:     0
    .sgpr_spill_count: 0
    .symbol:         _ZN7rocprim17ROCPRIM_400000_NS6detail17trampoline_kernelINS0_14default_configENS1_25partition_config_selectorILNS1_17partition_subalgoE9EllbEEZZNS1_14partition_implILS5_9ELb0ES3_jPlS8_PNS0_10empty_typeENS0_5tupleIJS8_S9_EEENSB_IJS8_SA_EEENS0_18inequality_wrapperIZN2at6native12_GLOBAL__N_124unique_dim_cuda_templateIbEESt5tupleIJNSF_6TensorESK_SK_EERKSK_lbbbEUlllE0_EEPmJS9_EEE10hipError_tPvRmT3_T4_T5_T6_T7_T9_mT8_P12ihipStream_tbDpT10_ENKUlT_T0_E_clISt17integral_constantIbLb0EES19_IbLb1EEEEDaS15_S16_EUlS15_E_NS1_11comp_targetILNS1_3genE3ELNS1_11target_archE908ELNS1_3gpuE7ELNS1_3repE0EEENS1_30default_config_static_selectorELNS0_4arch9wavefront6targetE0EEEvT1_.kd
    .uniform_work_group_size: 1
    .uses_dynamic_stack: false
    .vgpr_count:     0
    .vgpr_spill_count: 0
    .wavefront_size: 32
  - .args:
      - .offset:         0
        .size:           136
        .value_kind:     by_value
    .group_segment_fixed_size: 0
    .kernarg_segment_align: 8
    .kernarg_segment_size: 136
    .language:       OpenCL C
    .language_version:
      - 2
      - 0
    .max_flat_workgroup_size: 192
    .name:           _ZN7rocprim17ROCPRIM_400000_NS6detail17trampoline_kernelINS0_14default_configENS1_25partition_config_selectorILNS1_17partition_subalgoE9EllbEEZZNS1_14partition_implILS5_9ELb0ES3_jPlS8_PNS0_10empty_typeENS0_5tupleIJS8_S9_EEENSB_IJS8_SA_EEENS0_18inequality_wrapperIZN2at6native12_GLOBAL__N_124unique_dim_cuda_templateIbEESt5tupleIJNSF_6TensorESK_SK_EERKSK_lbbbEUlllE0_EEPmJS9_EEE10hipError_tPvRmT3_T4_T5_T6_T7_T9_mT8_P12ihipStream_tbDpT10_ENKUlT_T0_E_clISt17integral_constantIbLb0EES19_IbLb1EEEEDaS15_S16_EUlS15_E_NS1_11comp_targetILNS1_3genE2ELNS1_11target_archE906ELNS1_3gpuE6ELNS1_3repE0EEENS1_30default_config_static_selectorELNS0_4arch9wavefront6targetE0EEEvT1_
    .private_segment_fixed_size: 0
    .sgpr_count:     0
    .sgpr_spill_count: 0
    .symbol:         _ZN7rocprim17ROCPRIM_400000_NS6detail17trampoline_kernelINS0_14default_configENS1_25partition_config_selectorILNS1_17partition_subalgoE9EllbEEZZNS1_14partition_implILS5_9ELb0ES3_jPlS8_PNS0_10empty_typeENS0_5tupleIJS8_S9_EEENSB_IJS8_SA_EEENS0_18inequality_wrapperIZN2at6native12_GLOBAL__N_124unique_dim_cuda_templateIbEESt5tupleIJNSF_6TensorESK_SK_EERKSK_lbbbEUlllE0_EEPmJS9_EEE10hipError_tPvRmT3_T4_T5_T6_T7_T9_mT8_P12ihipStream_tbDpT10_ENKUlT_T0_E_clISt17integral_constantIbLb0EES19_IbLb1EEEEDaS15_S16_EUlS15_E_NS1_11comp_targetILNS1_3genE2ELNS1_11target_archE906ELNS1_3gpuE6ELNS1_3repE0EEENS1_30default_config_static_selectorELNS0_4arch9wavefront6targetE0EEEvT1_.kd
    .uniform_work_group_size: 1
    .uses_dynamic_stack: false
    .vgpr_count:     0
    .vgpr_spill_count: 0
    .wavefront_size: 32
  - .args:
      - .offset:         0
        .size:           136
        .value_kind:     by_value
    .group_segment_fixed_size: 0
    .kernarg_segment_align: 8
    .kernarg_segment_size: 136
    .language:       OpenCL C
    .language_version:
      - 2
      - 0
    .max_flat_workgroup_size: 384
    .name:           _ZN7rocprim17ROCPRIM_400000_NS6detail17trampoline_kernelINS0_14default_configENS1_25partition_config_selectorILNS1_17partition_subalgoE9EllbEEZZNS1_14partition_implILS5_9ELb0ES3_jPlS8_PNS0_10empty_typeENS0_5tupleIJS8_S9_EEENSB_IJS8_SA_EEENS0_18inequality_wrapperIZN2at6native12_GLOBAL__N_124unique_dim_cuda_templateIbEESt5tupleIJNSF_6TensorESK_SK_EERKSK_lbbbEUlllE0_EEPmJS9_EEE10hipError_tPvRmT3_T4_T5_T6_T7_T9_mT8_P12ihipStream_tbDpT10_ENKUlT_T0_E_clISt17integral_constantIbLb0EES19_IbLb1EEEEDaS15_S16_EUlS15_E_NS1_11comp_targetILNS1_3genE10ELNS1_11target_archE1200ELNS1_3gpuE4ELNS1_3repE0EEENS1_30default_config_static_selectorELNS0_4arch9wavefront6targetE0EEEvT1_
    .private_segment_fixed_size: 0
    .sgpr_count:     0
    .sgpr_spill_count: 0
    .symbol:         _ZN7rocprim17ROCPRIM_400000_NS6detail17trampoline_kernelINS0_14default_configENS1_25partition_config_selectorILNS1_17partition_subalgoE9EllbEEZZNS1_14partition_implILS5_9ELb0ES3_jPlS8_PNS0_10empty_typeENS0_5tupleIJS8_S9_EEENSB_IJS8_SA_EEENS0_18inequality_wrapperIZN2at6native12_GLOBAL__N_124unique_dim_cuda_templateIbEESt5tupleIJNSF_6TensorESK_SK_EERKSK_lbbbEUlllE0_EEPmJS9_EEE10hipError_tPvRmT3_T4_T5_T6_T7_T9_mT8_P12ihipStream_tbDpT10_ENKUlT_T0_E_clISt17integral_constantIbLb0EES19_IbLb1EEEEDaS15_S16_EUlS15_E_NS1_11comp_targetILNS1_3genE10ELNS1_11target_archE1200ELNS1_3gpuE4ELNS1_3repE0EEENS1_30default_config_static_selectorELNS0_4arch9wavefront6targetE0EEEvT1_.kd
    .uniform_work_group_size: 1
    .uses_dynamic_stack: false
    .vgpr_count:     0
    .vgpr_spill_count: 0
    .wavefront_size: 32
  - .args:
      - .offset:         0
        .size:           136
        .value_kind:     by_value
    .group_segment_fixed_size: 0
    .kernarg_segment_align: 8
    .kernarg_segment_size: 136
    .language:       OpenCL C
    .language_version:
      - 2
      - 0
    .max_flat_workgroup_size: 512
    .name:           _ZN7rocprim17ROCPRIM_400000_NS6detail17trampoline_kernelINS0_14default_configENS1_25partition_config_selectorILNS1_17partition_subalgoE9EllbEEZZNS1_14partition_implILS5_9ELb0ES3_jPlS8_PNS0_10empty_typeENS0_5tupleIJS8_S9_EEENSB_IJS8_SA_EEENS0_18inequality_wrapperIZN2at6native12_GLOBAL__N_124unique_dim_cuda_templateIbEESt5tupleIJNSF_6TensorESK_SK_EERKSK_lbbbEUlllE0_EEPmJS9_EEE10hipError_tPvRmT3_T4_T5_T6_T7_T9_mT8_P12ihipStream_tbDpT10_ENKUlT_T0_E_clISt17integral_constantIbLb0EES19_IbLb1EEEEDaS15_S16_EUlS15_E_NS1_11comp_targetILNS1_3genE9ELNS1_11target_archE1100ELNS1_3gpuE3ELNS1_3repE0EEENS1_30default_config_static_selectorELNS0_4arch9wavefront6targetE0EEEvT1_
    .private_segment_fixed_size: 0
    .sgpr_count:     0
    .sgpr_spill_count: 0
    .symbol:         _ZN7rocprim17ROCPRIM_400000_NS6detail17trampoline_kernelINS0_14default_configENS1_25partition_config_selectorILNS1_17partition_subalgoE9EllbEEZZNS1_14partition_implILS5_9ELb0ES3_jPlS8_PNS0_10empty_typeENS0_5tupleIJS8_S9_EEENSB_IJS8_SA_EEENS0_18inequality_wrapperIZN2at6native12_GLOBAL__N_124unique_dim_cuda_templateIbEESt5tupleIJNSF_6TensorESK_SK_EERKSK_lbbbEUlllE0_EEPmJS9_EEE10hipError_tPvRmT3_T4_T5_T6_T7_T9_mT8_P12ihipStream_tbDpT10_ENKUlT_T0_E_clISt17integral_constantIbLb0EES19_IbLb1EEEEDaS15_S16_EUlS15_E_NS1_11comp_targetILNS1_3genE9ELNS1_11target_archE1100ELNS1_3gpuE3ELNS1_3repE0EEENS1_30default_config_static_selectorELNS0_4arch9wavefront6targetE0EEEvT1_.kd
    .uniform_work_group_size: 1
    .uses_dynamic_stack: false
    .vgpr_count:     0
    .vgpr_spill_count: 0
    .wavefront_size: 32
  - .args:
      - .offset:         0
        .size:           136
        .value_kind:     by_value
    .group_segment_fixed_size: 0
    .kernarg_segment_align: 8
    .kernarg_segment_size: 136
    .language:       OpenCL C
    .language_version:
      - 2
      - 0
    .max_flat_workgroup_size: 512
    .name:           _ZN7rocprim17ROCPRIM_400000_NS6detail17trampoline_kernelINS0_14default_configENS1_25partition_config_selectorILNS1_17partition_subalgoE9EllbEEZZNS1_14partition_implILS5_9ELb0ES3_jPlS8_PNS0_10empty_typeENS0_5tupleIJS8_S9_EEENSB_IJS8_SA_EEENS0_18inequality_wrapperIZN2at6native12_GLOBAL__N_124unique_dim_cuda_templateIbEESt5tupleIJNSF_6TensorESK_SK_EERKSK_lbbbEUlllE0_EEPmJS9_EEE10hipError_tPvRmT3_T4_T5_T6_T7_T9_mT8_P12ihipStream_tbDpT10_ENKUlT_T0_E_clISt17integral_constantIbLb0EES19_IbLb1EEEEDaS15_S16_EUlS15_E_NS1_11comp_targetILNS1_3genE8ELNS1_11target_archE1030ELNS1_3gpuE2ELNS1_3repE0EEENS1_30default_config_static_selectorELNS0_4arch9wavefront6targetE0EEEvT1_
    .private_segment_fixed_size: 0
    .sgpr_count:     0
    .sgpr_spill_count: 0
    .symbol:         _ZN7rocprim17ROCPRIM_400000_NS6detail17trampoline_kernelINS0_14default_configENS1_25partition_config_selectorILNS1_17partition_subalgoE9EllbEEZZNS1_14partition_implILS5_9ELb0ES3_jPlS8_PNS0_10empty_typeENS0_5tupleIJS8_S9_EEENSB_IJS8_SA_EEENS0_18inequality_wrapperIZN2at6native12_GLOBAL__N_124unique_dim_cuda_templateIbEESt5tupleIJNSF_6TensorESK_SK_EERKSK_lbbbEUlllE0_EEPmJS9_EEE10hipError_tPvRmT3_T4_T5_T6_T7_T9_mT8_P12ihipStream_tbDpT10_ENKUlT_T0_E_clISt17integral_constantIbLb0EES19_IbLb1EEEEDaS15_S16_EUlS15_E_NS1_11comp_targetILNS1_3genE8ELNS1_11target_archE1030ELNS1_3gpuE2ELNS1_3repE0EEENS1_30default_config_static_selectorELNS0_4arch9wavefront6targetE0EEEvT1_.kd
    .uniform_work_group_size: 1
    .uses_dynamic_stack: false
    .vgpr_count:     0
    .vgpr_spill_count: 0
    .wavefront_size: 32
  - .args:
      - .offset:         0
        .size:           72
        .value_kind:     by_value
      - .offset:         72
        .size:           4
        .value_kind:     hidden_block_count_x
      - .offset:         76
        .size:           4
        .value_kind:     hidden_block_count_y
      - .offset:         80
        .size:           4
        .value_kind:     hidden_block_count_z
      - .offset:         84
        .size:           2
        .value_kind:     hidden_group_size_x
      - .offset:         86
        .size:           2
        .value_kind:     hidden_group_size_y
      - .offset:         88
        .size:           2
        .value_kind:     hidden_group_size_z
      - .offset:         90
        .size:           2
        .value_kind:     hidden_remainder_x
      - .offset:         92
        .size:           2
        .value_kind:     hidden_remainder_y
      - .offset:         94
        .size:           2
        .value_kind:     hidden_remainder_z
      - .offset:         112
        .size:           8
        .value_kind:     hidden_global_offset_x
      - .offset:         120
        .size:           8
        .value_kind:     hidden_global_offset_y
      - .offset:         128
        .size:           8
        .value_kind:     hidden_global_offset_z
      - .offset:         136
        .size:           2
        .value_kind:     hidden_grid_dims
      - .offset:         152
        .size:           8
        .value_kind:     hidden_hostcall_buffer
      - .offset:         160
        .size:           8
        .value_kind:     hidden_multigrid_sync_arg
      - .offset:         168
        .size:           8
        .value_kind:     hidden_heap_v1
      - .offset:         176
        .size:           8
        .value_kind:     hidden_default_queue
      - .offset:         184
        .size:           8
        .value_kind:     hidden_completion_action
      - .offset:         272
        .size:           8
        .value_kind:     hidden_queue_ptr
    .group_segment_fixed_size: 16896
    .kernarg_segment_align: 8
    .kernarg_segment_size: 328
    .language:       OpenCL C
    .language_version:
      - 2
      - 0
    .max_flat_workgroup_size: 256
    .name:           _ZN7rocprim17ROCPRIM_400000_NS6detail17trampoline_kernelINS0_14default_configENS1_37merge_sort_block_sort_config_selectorIlNS0_10empty_typeEEEZNS1_21merge_sort_block_sortIS3_PlS8_PS5_S9_ZN2at6native12_GLOBAL__N_124unique_dim_cuda_templateIN3c108BFloat16EEESt5tupleIJNSA_6TensorESH_SH_EERKSH_lbbbEUlllE_EE10hipError_tT0_T1_T2_T3_mRjT4_P12ihipStream_tbNS1_7vsmem_tEEUlT_E_NS1_11comp_targetILNS1_3genE0ELNS1_11target_archE4294967295ELNS1_3gpuE0ELNS1_3repE0EEENS1_30default_config_static_selectorELNS0_4arch9wavefront6targetE0EEEvSO_
    .private_segment_fixed_size: 0
    .sgpr_count:     46
    .sgpr_spill_count: 0
    .symbol:         _ZN7rocprim17ROCPRIM_400000_NS6detail17trampoline_kernelINS0_14default_configENS1_37merge_sort_block_sort_config_selectorIlNS0_10empty_typeEEEZNS1_21merge_sort_block_sortIS3_PlS8_PS5_S9_ZN2at6native12_GLOBAL__N_124unique_dim_cuda_templateIN3c108BFloat16EEESt5tupleIJNSA_6TensorESH_SH_EERKSH_lbbbEUlllE_EE10hipError_tT0_T1_T2_T3_mRjT4_P12ihipStream_tbNS1_7vsmem_tEEUlT_E_NS1_11comp_targetILNS1_3genE0ELNS1_11target_archE4294967295ELNS1_3gpuE0ELNS1_3repE0EEENS1_30default_config_static_selectorELNS0_4arch9wavefront6targetE0EEEvSO_.kd
    .uniform_work_group_size: 1
    .uses_dynamic_stack: false
    .vgpr_count:     120
    .vgpr_spill_count: 0
    .wavefront_size: 32
  - .args:
      - .offset:         0
        .size:           72
        .value_kind:     by_value
    .group_segment_fixed_size: 0
    .kernarg_segment_align: 8
    .kernarg_segment_size: 72
    .language:       OpenCL C
    .language_version:
      - 2
      - 0
    .max_flat_workgroup_size: 256
    .name:           _ZN7rocprim17ROCPRIM_400000_NS6detail17trampoline_kernelINS0_14default_configENS1_37merge_sort_block_sort_config_selectorIlNS0_10empty_typeEEEZNS1_21merge_sort_block_sortIS3_PlS8_PS5_S9_ZN2at6native12_GLOBAL__N_124unique_dim_cuda_templateIN3c108BFloat16EEESt5tupleIJNSA_6TensorESH_SH_EERKSH_lbbbEUlllE_EE10hipError_tT0_T1_T2_T3_mRjT4_P12ihipStream_tbNS1_7vsmem_tEEUlT_E_NS1_11comp_targetILNS1_3genE5ELNS1_11target_archE942ELNS1_3gpuE9ELNS1_3repE0EEENS1_30default_config_static_selectorELNS0_4arch9wavefront6targetE0EEEvSO_
    .private_segment_fixed_size: 0
    .sgpr_count:     0
    .sgpr_spill_count: 0
    .symbol:         _ZN7rocprim17ROCPRIM_400000_NS6detail17trampoline_kernelINS0_14default_configENS1_37merge_sort_block_sort_config_selectorIlNS0_10empty_typeEEEZNS1_21merge_sort_block_sortIS3_PlS8_PS5_S9_ZN2at6native12_GLOBAL__N_124unique_dim_cuda_templateIN3c108BFloat16EEESt5tupleIJNSA_6TensorESH_SH_EERKSH_lbbbEUlllE_EE10hipError_tT0_T1_T2_T3_mRjT4_P12ihipStream_tbNS1_7vsmem_tEEUlT_E_NS1_11comp_targetILNS1_3genE5ELNS1_11target_archE942ELNS1_3gpuE9ELNS1_3repE0EEENS1_30default_config_static_selectorELNS0_4arch9wavefront6targetE0EEEvSO_.kd
    .uniform_work_group_size: 1
    .uses_dynamic_stack: false
    .vgpr_count:     0
    .vgpr_spill_count: 0
    .wavefront_size: 32
  - .args:
      - .offset:         0
        .size:           72
        .value_kind:     by_value
    .group_segment_fixed_size: 0
    .kernarg_segment_align: 8
    .kernarg_segment_size: 72
    .language:       OpenCL C
    .language_version:
      - 2
      - 0
    .max_flat_workgroup_size: 256
    .name:           _ZN7rocprim17ROCPRIM_400000_NS6detail17trampoline_kernelINS0_14default_configENS1_37merge_sort_block_sort_config_selectorIlNS0_10empty_typeEEEZNS1_21merge_sort_block_sortIS3_PlS8_PS5_S9_ZN2at6native12_GLOBAL__N_124unique_dim_cuda_templateIN3c108BFloat16EEESt5tupleIJNSA_6TensorESH_SH_EERKSH_lbbbEUlllE_EE10hipError_tT0_T1_T2_T3_mRjT4_P12ihipStream_tbNS1_7vsmem_tEEUlT_E_NS1_11comp_targetILNS1_3genE4ELNS1_11target_archE910ELNS1_3gpuE8ELNS1_3repE0EEENS1_30default_config_static_selectorELNS0_4arch9wavefront6targetE0EEEvSO_
    .private_segment_fixed_size: 0
    .sgpr_count:     0
    .sgpr_spill_count: 0
    .symbol:         _ZN7rocprim17ROCPRIM_400000_NS6detail17trampoline_kernelINS0_14default_configENS1_37merge_sort_block_sort_config_selectorIlNS0_10empty_typeEEEZNS1_21merge_sort_block_sortIS3_PlS8_PS5_S9_ZN2at6native12_GLOBAL__N_124unique_dim_cuda_templateIN3c108BFloat16EEESt5tupleIJNSA_6TensorESH_SH_EERKSH_lbbbEUlllE_EE10hipError_tT0_T1_T2_T3_mRjT4_P12ihipStream_tbNS1_7vsmem_tEEUlT_E_NS1_11comp_targetILNS1_3genE4ELNS1_11target_archE910ELNS1_3gpuE8ELNS1_3repE0EEENS1_30default_config_static_selectorELNS0_4arch9wavefront6targetE0EEEvSO_.kd
    .uniform_work_group_size: 1
    .uses_dynamic_stack: false
    .vgpr_count:     0
    .vgpr_spill_count: 0
    .wavefront_size: 32
  - .args:
      - .offset:         0
        .size:           72
        .value_kind:     by_value
    .group_segment_fixed_size: 0
    .kernarg_segment_align: 8
    .kernarg_segment_size: 72
    .language:       OpenCL C
    .language_version:
      - 2
      - 0
    .max_flat_workgroup_size: 256
    .name:           _ZN7rocprim17ROCPRIM_400000_NS6detail17trampoline_kernelINS0_14default_configENS1_37merge_sort_block_sort_config_selectorIlNS0_10empty_typeEEEZNS1_21merge_sort_block_sortIS3_PlS8_PS5_S9_ZN2at6native12_GLOBAL__N_124unique_dim_cuda_templateIN3c108BFloat16EEESt5tupleIJNSA_6TensorESH_SH_EERKSH_lbbbEUlllE_EE10hipError_tT0_T1_T2_T3_mRjT4_P12ihipStream_tbNS1_7vsmem_tEEUlT_E_NS1_11comp_targetILNS1_3genE3ELNS1_11target_archE908ELNS1_3gpuE7ELNS1_3repE0EEENS1_30default_config_static_selectorELNS0_4arch9wavefront6targetE0EEEvSO_
    .private_segment_fixed_size: 0
    .sgpr_count:     0
    .sgpr_spill_count: 0
    .symbol:         _ZN7rocprim17ROCPRIM_400000_NS6detail17trampoline_kernelINS0_14default_configENS1_37merge_sort_block_sort_config_selectorIlNS0_10empty_typeEEEZNS1_21merge_sort_block_sortIS3_PlS8_PS5_S9_ZN2at6native12_GLOBAL__N_124unique_dim_cuda_templateIN3c108BFloat16EEESt5tupleIJNSA_6TensorESH_SH_EERKSH_lbbbEUlllE_EE10hipError_tT0_T1_T2_T3_mRjT4_P12ihipStream_tbNS1_7vsmem_tEEUlT_E_NS1_11comp_targetILNS1_3genE3ELNS1_11target_archE908ELNS1_3gpuE7ELNS1_3repE0EEENS1_30default_config_static_selectorELNS0_4arch9wavefront6targetE0EEEvSO_.kd
    .uniform_work_group_size: 1
    .uses_dynamic_stack: false
    .vgpr_count:     0
    .vgpr_spill_count: 0
    .wavefront_size: 32
  - .args:
      - .offset:         0
        .size:           72
        .value_kind:     by_value
    .group_segment_fixed_size: 0
    .kernarg_segment_align: 8
    .kernarg_segment_size: 72
    .language:       OpenCL C
    .language_version:
      - 2
      - 0
    .max_flat_workgroup_size: 256
    .name:           _ZN7rocprim17ROCPRIM_400000_NS6detail17trampoline_kernelINS0_14default_configENS1_37merge_sort_block_sort_config_selectorIlNS0_10empty_typeEEEZNS1_21merge_sort_block_sortIS3_PlS8_PS5_S9_ZN2at6native12_GLOBAL__N_124unique_dim_cuda_templateIN3c108BFloat16EEESt5tupleIJNSA_6TensorESH_SH_EERKSH_lbbbEUlllE_EE10hipError_tT0_T1_T2_T3_mRjT4_P12ihipStream_tbNS1_7vsmem_tEEUlT_E_NS1_11comp_targetILNS1_3genE2ELNS1_11target_archE906ELNS1_3gpuE6ELNS1_3repE0EEENS1_30default_config_static_selectorELNS0_4arch9wavefront6targetE0EEEvSO_
    .private_segment_fixed_size: 0
    .sgpr_count:     0
    .sgpr_spill_count: 0
    .symbol:         _ZN7rocprim17ROCPRIM_400000_NS6detail17trampoline_kernelINS0_14default_configENS1_37merge_sort_block_sort_config_selectorIlNS0_10empty_typeEEEZNS1_21merge_sort_block_sortIS3_PlS8_PS5_S9_ZN2at6native12_GLOBAL__N_124unique_dim_cuda_templateIN3c108BFloat16EEESt5tupleIJNSA_6TensorESH_SH_EERKSH_lbbbEUlllE_EE10hipError_tT0_T1_T2_T3_mRjT4_P12ihipStream_tbNS1_7vsmem_tEEUlT_E_NS1_11comp_targetILNS1_3genE2ELNS1_11target_archE906ELNS1_3gpuE6ELNS1_3repE0EEENS1_30default_config_static_selectorELNS0_4arch9wavefront6targetE0EEEvSO_.kd
    .uniform_work_group_size: 1
    .uses_dynamic_stack: false
    .vgpr_count:     0
    .vgpr_spill_count: 0
    .wavefront_size: 32
  - .args:
      - .offset:         0
        .size:           72
        .value_kind:     by_value
    .group_segment_fixed_size: 0
    .kernarg_segment_align: 8
    .kernarg_segment_size: 72
    .language:       OpenCL C
    .language_version:
      - 2
      - 0
    .max_flat_workgroup_size: 256
    .name:           _ZN7rocprim17ROCPRIM_400000_NS6detail17trampoline_kernelINS0_14default_configENS1_37merge_sort_block_sort_config_selectorIlNS0_10empty_typeEEEZNS1_21merge_sort_block_sortIS3_PlS8_PS5_S9_ZN2at6native12_GLOBAL__N_124unique_dim_cuda_templateIN3c108BFloat16EEESt5tupleIJNSA_6TensorESH_SH_EERKSH_lbbbEUlllE_EE10hipError_tT0_T1_T2_T3_mRjT4_P12ihipStream_tbNS1_7vsmem_tEEUlT_E_NS1_11comp_targetILNS1_3genE10ELNS1_11target_archE1201ELNS1_3gpuE5ELNS1_3repE0EEENS1_30default_config_static_selectorELNS0_4arch9wavefront6targetE0EEEvSO_
    .private_segment_fixed_size: 0
    .sgpr_count:     0
    .sgpr_spill_count: 0
    .symbol:         _ZN7rocprim17ROCPRIM_400000_NS6detail17trampoline_kernelINS0_14default_configENS1_37merge_sort_block_sort_config_selectorIlNS0_10empty_typeEEEZNS1_21merge_sort_block_sortIS3_PlS8_PS5_S9_ZN2at6native12_GLOBAL__N_124unique_dim_cuda_templateIN3c108BFloat16EEESt5tupleIJNSA_6TensorESH_SH_EERKSH_lbbbEUlllE_EE10hipError_tT0_T1_T2_T3_mRjT4_P12ihipStream_tbNS1_7vsmem_tEEUlT_E_NS1_11comp_targetILNS1_3genE10ELNS1_11target_archE1201ELNS1_3gpuE5ELNS1_3repE0EEENS1_30default_config_static_selectorELNS0_4arch9wavefront6targetE0EEEvSO_.kd
    .uniform_work_group_size: 1
    .uses_dynamic_stack: false
    .vgpr_count:     0
    .vgpr_spill_count: 0
    .wavefront_size: 32
  - .args:
      - .offset:         0
        .size:           72
        .value_kind:     by_value
    .group_segment_fixed_size: 0
    .kernarg_segment_align: 8
    .kernarg_segment_size: 72
    .language:       OpenCL C
    .language_version:
      - 2
      - 0
    .max_flat_workgroup_size: 512
    .name:           _ZN7rocprim17ROCPRIM_400000_NS6detail17trampoline_kernelINS0_14default_configENS1_37merge_sort_block_sort_config_selectorIlNS0_10empty_typeEEEZNS1_21merge_sort_block_sortIS3_PlS8_PS5_S9_ZN2at6native12_GLOBAL__N_124unique_dim_cuda_templateIN3c108BFloat16EEESt5tupleIJNSA_6TensorESH_SH_EERKSH_lbbbEUlllE_EE10hipError_tT0_T1_T2_T3_mRjT4_P12ihipStream_tbNS1_7vsmem_tEEUlT_E_NS1_11comp_targetILNS1_3genE10ELNS1_11target_archE1200ELNS1_3gpuE4ELNS1_3repE0EEENS1_30default_config_static_selectorELNS0_4arch9wavefront6targetE0EEEvSO_
    .private_segment_fixed_size: 0
    .sgpr_count:     0
    .sgpr_spill_count: 0
    .symbol:         _ZN7rocprim17ROCPRIM_400000_NS6detail17trampoline_kernelINS0_14default_configENS1_37merge_sort_block_sort_config_selectorIlNS0_10empty_typeEEEZNS1_21merge_sort_block_sortIS3_PlS8_PS5_S9_ZN2at6native12_GLOBAL__N_124unique_dim_cuda_templateIN3c108BFloat16EEESt5tupleIJNSA_6TensorESH_SH_EERKSH_lbbbEUlllE_EE10hipError_tT0_T1_T2_T3_mRjT4_P12ihipStream_tbNS1_7vsmem_tEEUlT_E_NS1_11comp_targetILNS1_3genE10ELNS1_11target_archE1200ELNS1_3gpuE4ELNS1_3repE0EEENS1_30default_config_static_selectorELNS0_4arch9wavefront6targetE0EEEvSO_.kd
    .uniform_work_group_size: 1
    .uses_dynamic_stack: false
    .vgpr_count:     0
    .vgpr_spill_count: 0
    .wavefront_size: 32
  - .args:
      - .offset:         0
        .size:           72
        .value_kind:     by_value
    .group_segment_fixed_size: 0
    .kernarg_segment_align: 8
    .kernarg_segment_size: 72
    .language:       OpenCL C
    .language_version:
      - 2
      - 0
    .max_flat_workgroup_size: 256
    .name:           _ZN7rocprim17ROCPRIM_400000_NS6detail17trampoline_kernelINS0_14default_configENS1_37merge_sort_block_sort_config_selectorIlNS0_10empty_typeEEEZNS1_21merge_sort_block_sortIS3_PlS8_PS5_S9_ZN2at6native12_GLOBAL__N_124unique_dim_cuda_templateIN3c108BFloat16EEESt5tupleIJNSA_6TensorESH_SH_EERKSH_lbbbEUlllE_EE10hipError_tT0_T1_T2_T3_mRjT4_P12ihipStream_tbNS1_7vsmem_tEEUlT_E_NS1_11comp_targetILNS1_3genE9ELNS1_11target_archE1100ELNS1_3gpuE3ELNS1_3repE0EEENS1_30default_config_static_selectorELNS0_4arch9wavefront6targetE0EEEvSO_
    .private_segment_fixed_size: 0
    .sgpr_count:     0
    .sgpr_spill_count: 0
    .symbol:         _ZN7rocprim17ROCPRIM_400000_NS6detail17trampoline_kernelINS0_14default_configENS1_37merge_sort_block_sort_config_selectorIlNS0_10empty_typeEEEZNS1_21merge_sort_block_sortIS3_PlS8_PS5_S9_ZN2at6native12_GLOBAL__N_124unique_dim_cuda_templateIN3c108BFloat16EEESt5tupleIJNSA_6TensorESH_SH_EERKSH_lbbbEUlllE_EE10hipError_tT0_T1_T2_T3_mRjT4_P12ihipStream_tbNS1_7vsmem_tEEUlT_E_NS1_11comp_targetILNS1_3genE9ELNS1_11target_archE1100ELNS1_3gpuE3ELNS1_3repE0EEENS1_30default_config_static_selectorELNS0_4arch9wavefront6targetE0EEEvSO_.kd
    .uniform_work_group_size: 1
    .uses_dynamic_stack: false
    .vgpr_count:     0
    .vgpr_spill_count: 0
    .wavefront_size: 32
  - .args:
      - .offset:         0
        .size:           72
        .value_kind:     by_value
    .group_segment_fixed_size: 0
    .kernarg_segment_align: 8
    .kernarg_segment_size: 72
    .language:       OpenCL C
    .language_version:
      - 2
      - 0
    .max_flat_workgroup_size: 256
    .name:           _ZN7rocprim17ROCPRIM_400000_NS6detail17trampoline_kernelINS0_14default_configENS1_37merge_sort_block_sort_config_selectorIlNS0_10empty_typeEEEZNS1_21merge_sort_block_sortIS3_PlS8_PS5_S9_ZN2at6native12_GLOBAL__N_124unique_dim_cuda_templateIN3c108BFloat16EEESt5tupleIJNSA_6TensorESH_SH_EERKSH_lbbbEUlllE_EE10hipError_tT0_T1_T2_T3_mRjT4_P12ihipStream_tbNS1_7vsmem_tEEUlT_E_NS1_11comp_targetILNS1_3genE8ELNS1_11target_archE1030ELNS1_3gpuE2ELNS1_3repE0EEENS1_30default_config_static_selectorELNS0_4arch9wavefront6targetE0EEEvSO_
    .private_segment_fixed_size: 0
    .sgpr_count:     0
    .sgpr_spill_count: 0
    .symbol:         _ZN7rocprim17ROCPRIM_400000_NS6detail17trampoline_kernelINS0_14default_configENS1_37merge_sort_block_sort_config_selectorIlNS0_10empty_typeEEEZNS1_21merge_sort_block_sortIS3_PlS8_PS5_S9_ZN2at6native12_GLOBAL__N_124unique_dim_cuda_templateIN3c108BFloat16EEESt5tupleIJNSA_6TensorESH_SH_EERKSH_lbbbEUlllE_EE10hipError_tT0_T1_T2_T3_mRjT4_P12ihipStream_tbNS1_7vsmem_tEEUlT_E_NS1_11comp_targetILNS1_3genE8ELNS1_11target_archE1030ELNS1_3gpuE2ELNS1_3repE0EEENS1_30default_config_static_selectorELNS0_4arch9wavefront6targetE0EEEvSO_.kd
    .uniform_work_group_size: 1
    .uses_dynamic_stack: false
    .vgpr_count:     0
    .vgpr_spill_count: 0
    .wavefront_size: 32
  - .args:
      - .offset:         0
        .size:           56
        .value_kind:     by_value
    .group_segment_fixed_size: 0
    .kernarg_segment_align: 8
    .kernarg_segment_size: 56
    .language:       OpenCL C
    .language_version:
      - 2
      - 0
    .max_flat_workgroup_size: 128
    .name:           _ZN7rocprim17ROCPRIM_400000_NS6detail17trampoline_kernelINS0_14default_configENS1_38merge_sort_block_merge_config_selectorIlNS0_10empty_typeEEEZZNS1_27merge_sort_block_merge_implIS3_PlPS5_mZN2at6native12_GLOBAL__N_124unique_dim_cuda_templateIN3c108BFloat16EEESt5tupleIJNSA_6TensorESH_SH_EERKSH_lbbbEUlllE_EE10hipError_tT0_T1_T2_jT3_P12ihipStream_tbPNSt15iterator_traitsISN_E10value_typeEPNST_ISO_E10value_typeEPSP_NS1_7vsmem_tEENKUlT_SN_SO_SP_E_clIS8_S8_S9_S9_EESM_S12_SN_SO_SP_EUlS12_E_NS1_11comp_targetILNS1_3genE0ELNS1_11target_archE4294967295ELNS1_3gpuE0ELNS1_3repE0EEENS1_48merge_mergepath_partition_config_static_selectorELNS0_4arch9wavefront6targetE0EEEvSO_
    .private_segment_fixed_size: 0
    .sgpr_count:     23
    .sgpr_spill_count: 0
    .symbol:         _ZN7rocprim17ROCPRIM_400000_NS6detail17trampoline_kernelINS0_14default_configENS1_38merge_sort_block_merge_config_selectorIlNS0_10empty_typeEEEZZNS1_27merge_sort_block_merge_implIS3_PlPS5_mZN2at6native12_GLOBAL__N_124unique_dim_cuda_templateIN3c108BFloat16EEESt5tupleIJNSA_6TensorESH_SH_EERKSH_lbbbEUlllE_EE10hipError_tT0_T1_T2_jT3_P12ihipStream_tbPNSt15iterator_traitsISN_E10value_typeEPNST_ISO_E10value_typeEPSP_NS1_7vsmem_tEENKUlT_SN_SO_SP_E_clIS8_S8_S9_S9_EESM_S12_SN_SO_SP_EUlS12_E_NS1_11comp_targetILNS1_3genE0ELNS1_11target_archE4294967295ELNS1_3gpuE0ELNS1_3repE0EEENS1_48merge_mergepath_partition_config_static_selectorELNS0_4arch9wavefront6targetE0EEEvSO_.kd
    .uniform_work_group_size: 1
    .uses_dynamic_stack: false
    .vgpr_count:     22
    .vgpr_spill_count: 0
    .wavefront_size: 32
  - .args:
      - .offset:         0
        .size:           56
        .value_kind:     by_value
    .group_segment_fixed_size: 0
    .kernarg_segment_align: 8
    .kernarg_segment_size: 56
    .language:       OpenCL C
    .language_version:
      - 2
      - 0
    .max_flat_workgroup_size: 128
    .name:           _ZN7rocprim17ROCPRIM_400000_NS6detail17trampoline_kernelINS0_14default_configENS1_38merge_sort_block_merge_config_selectorIlNS0_10empty_typeEEEZZNS1_27merge_sort_block_merge_implIS3_PlPS5_mZN2at6native12_GLOBAL__N_124unique_dim_cuda_templateIN3c108BFloat16EEESt5tupleIJNSA_6TensorESH_SH_EERKSH_lbbbEUlllE_EE10hipError_tT0_T1_T2_jT3_P12ihipStream_tbPNSt15iterator_traitsISN_E10value_typeEPNST_ISO_E10value_typeEPSP_NS1_7vsmem_tEENKUlT_SN_SO_SP_E_clIS8_S8_S9_S9_EESM_S12_SN_SO_SP_EUlS12_E_NS1_11comp_targetILNS1_3genE10ELNS1_11target_archE1201ELNS1_3gpuE5ELNS1_3repE0EEENS1_48merge_mergepath_partition_config_static_selectorELNS0_4arch9wavefront6targetE0EEEvSO_
    .private_segment_fixed_size: 0
    .sgpr_count:     0
    .sgpr_spill_count: 0
    .symbol:         _ZN7rocprim17ROCPRIM_400000_NS6detail17trampoline_kernelINS0_14default_configENS1_38merge_sort_block_merge_config_selectorIlNS0_10empty_typeEEEZZNS1_27merge_sort_block_merge_implIS3_PlPS5_mZN2at6native12_GLOBAL__N_124unique_dim_cuda_templateIN3c108BFloat16EEESt5tupleIJNSA_6TensorESH_SH_EERKSH_lbbbEUlllE_EE10hipError_tT0_T1_T2_jT3_P12ihipStream_tbPNSt15iterator_traitsISN_E10value_typeEPNST_ISO_E10value_typeEPSP_NS1_7vsmem_tEENKUlT_SN_SO_SP_E_clIS8_S8_S9_S9_EESM_S12_SN_SO_SP_EUlS12_E_NS1_11comp_targetILNS1_3genE10ELNS1_11target_archE1201ELNS1_3gpuE5ELNS1_3repE0EEENS1_48merge_mergepath_partition_config_static_selectorELNS0_4arch9wavefront6targetE0EEEvSO_.kd
    .uniform_work_group_size: 1
    .uses_dynamic_stack: false
    .vgpr_count:     0
    .vgpr_spill_count: 0
    .wavefront_size: 32
  - .args:
      - .offset:         0
        .size:           56
        .value_kind:     by_value
    .group_segment_fixed_size: 0
    .kernarg_segment_align: 8
    .kernarg_segment_size: 56
    .language:       OpenCL C
    .language_version:
      - 2
      - 0
    .max_flat_workgroup_size: 128
    .name:           _ZN7rocprim17ROCPRIM_400000_NS6detail17trampoline_kernelINS0_14default_configENS1_38merge_sort_block_merge_config_selectorIlNS0_10empty_typeEEEZZNS1_27merge_sort_block_merge_implIS3_PlPS5_mZN2at6native12_GLOBAL__N_124unique_dim_cuda_templateIN3c108BFloat16EEESt5tupleIJNSA_6TensorESH_SH_EERKSH_lbbbEUlllE_EE10hipError_tT0_T1_T2_jT3_P12ihipStream_tbPNSt15iterator_traitsISN_E10value_typeEPNST_ISO_E10value_typeEPSP_NS1_7vsmem_tEENKUlT_SN_SO_SP_E_clIS8_S8_S9_S9_EESM_S12_SN_SO_SP_EUlS12_E_NS1_11comp_targetILNS1_3genE5ELNS1_11target_archE942ELNS1_3gpuE9ELNS1_3repE0EEENS1_48merge_mergepath_partition_config_static_selectorELNS0_4arch9wavefront6targetE0EEEvSO_
    .private_segment_fixed_size: 0
    .sgpr_count:     0
    .sgpr_spill_count: 0
    .symbol:         _ZN7rocprim17ROCPRIM_400000_NS6detail17trampoline_kernelINS0_14default_configENS1_38merge_sort_block_merge_config_selectorIlNS0_10empty_typeEEEZZNS1_27merge_sort_block_merge_implIS3_PlPS5_mZN2at6native12_GLOBAL__N_124unique_dim_cuda_templateIN3c108BFloat16EEESt5tupleIJNSA_6TensorESH_SH_EERKSH_lbbbEUlllE_EE10hipError_tT0_T1_T2_jT3_P12ihipStream_tbPNSt15iterator_traitsISN_E10value_typeEPNST_ISO_E10value_typeEPSP_NS1_7vsmem_tEENKUlT_SN_SO_SP_E_clIS8_S8_S9_S9_EESM_S12_SN_SO_SP_EUlS12_E_NS1_11comp_targetILNS1_3genE5ELNS1_11target_archE942ELNS1_3gpuE9ELNS1_3repE0EEENS1_48merge_mergepath_partition_config_static_selectorELNS0_4arch9wavefront6targetE0EEEvSO_.kd
    .uniform_work_group_size: 1
    .uses_dynamic_stack: false
    .vgpr_count:     0
    .vgpr_spill_count: 0
    .wavefront_size: 32
  - .args:
      - .offset:         0
        .size:           56
        .value_kind:     by_value
    .group_segment_fixed_size: 0
    .kernarg_segment_align: 8
    .kernarg_segment_size: 56
    .language:       OpenCL C
    .language_version:
      - 2
      - 0
    .max_flat_workgroup_size: 128
    .name:           _ZN7rocprim17ROCPRIM_400000_NS6detail17trampoline_kernelINS0_14default_configENS1_38merge_sort_block_merge_config_selectorIlNS0_10empty_typeEEEZZNS1_27merge_sort_block_merge_implIS3_PlPS5_mZN2at6native12_GLOBAL__N_124unique_dim_cuda_templateIN3c108BFloat16EEESt5tupleIJNSA_6TensorESH_SH_EERKSH_lbbbEUlllE_EE10hipError_tT0_T1_T2_jT3_P12ihipStream_tbPNSt15iterator_traitsISN_E10value_typeEPNST_ISO_E10value_typeEPSP_NS1_7vsmem_tEENKUlT_SN_SO_SP_E_clIS8_S8_S9_S9_EESM_S12_SN_SO_SP_EUlS12_E_NS1_11comp_targetILNS1_3genE4ELNS1_11target_archE910ELNS1_3gpuE8ELNS1_3repE0EEENS1_48merge_mergepath_partition_config_static_selectorELNS0_4arch9wavefront6targetE0EEEvSO_
    .private_segment_fixed_size: 0
    .sgpr_count:     0
    .sgpr_spill_count: 0
    .symbol:         _ZN7rocprim17ROCPRIM_400000_NS6detail17trampoline_kernelINS0_14default_configENS1_38merge_sort_block_merge_config_selectorIlNS0_10empty_typeEEEZZNS1_27merge_sort_block_merge_implIS3_PlPS5_mZN2at6native12_GLOBAL__N_124unique_dim_cuda_templateIN3c108BFloat16EEESt5tupleIJNSA_6TensorESH_SH_EERKSH_lbbbEUlllE_EE10hipError_tT0_T1_T2_jT3_P12ihipStream_tbPNSt15iterator_traitsISN_E10value_typeEPNST_ISO_E10value_typeEPSP_NS1_7vsmem_tEENKUlT_SN_SO_SP_E_clIS8_S8_S9_S9_EESM_S12_SN_SO_SP_EUlS12_E_NS1_11comp_targetILNS1_3genE4ELNS1_11target_archE910ELNS1_3gpuE8ELNS1_3repE0EEENS1_48merge_mergepath_partition_config_static_selectorELNS0_4arch9wavefront6targetE0EEEvSO_.kd
    .uniform_work_group_size: 1
    .uses_dynamic_stack: false
    .vgpr_count:     0
    .vgpr_spill_count: 0
    .wavefront_size: 32
  - .args:
      - .offset:         0
        .size:           56
        .value_kind:     by_value
    .group_segment_fixed_size: 0
    .kernarg_segment_align: 8
    .kernarg_segment_size: 56
    .language:       OpenCL C
    .language_version:
      - 2
      - 0
    .max_flat_workgroup_size: 128
    .name:           _ZN7rocprim17ROCPRIM_400000_NS6detail17trampoline_kernelINS0_14default_configENS1_38merge_sort_block_merge_config_selectorIlNS0_10empty_typeEEEZZNS1_27merge_sort_block_merge_implIS3_PlPS5_mZN2at6native12_GLOBAL__N_124unique_dim_cuda_templateIN3c108BFloat16EEESt5tupleIJNSA_6TensorESH_SH_EERKSH_lbbbEUlllE_EE10hipError_tT0_T1_T2_jT3_P12ihipStream_tbPNSt15iterator_traitsISN_E10value_typeEPNST_ISO_E10value_typeEPSP_NS1_7vsmem_tEENKUlT_SN_SO_SP_E_clIS8_S8_S9_S9_EESM_S12_SN_SO_SP_EUlS12_E_NS1_11comp_targetILNS1_3genE3ELNS1_11target_archE908ELNS1_3gpuE7ELNS1_3repE0EEENS1_48merge_mergepath_partition_config_static_selectorELNS0_4arch9wavefront6targetE0EEEvSO_
    .private_segment_fixed_size: 0
    .sgpr_count:     0
    .sgpr_spill_count: 0
    .symbol:         _ZN7rocprim17ROCPRIM_400000_NS6detail17trampoline_kernelINS0_14default_configENS1_38merge_sort_block_merge_config_selectorIlNS0_10empty_typeEEEZZNS1_27merge_sort_block_merge_implIS3_PlPS5_mZN2at6native12_GLOBAL__N_124unique_dim_cuda_templateIN3c108BFloat16EEESt5tupleIJNSA_6TensorESH_SH_EERKSH_lbbbEUlllE_EE10hipError_tT0_T1_T2_jT3_P12ihipStream_tbPNSt15iterator_traitsISN_E10value_typeEPNST_ISO_E10value_typeEPSP_NS1_7vsmem_tEENKUlT_SN_SO_SP_E_clIS8_S8_S9_S9_EESM_S12_SN_SO_SP_EUlS12_E_NS1_11comp_targetILNS1_3genE3ELNS1_11target_archE908ELNS1_3gpuE7ELNS1_3repE0EEENS1_48merge_mergepath_partition_config_static_selectorELNS0_4arch9wavefront6targetE0EEEvSO_.kd
    .uniform_work_group_size: 1
    .uses_dynamic_stack: false
    .vgpr_count:     0
    .vgpr_spill_count: 0
    .wavefront_size: 32
  - .args:
      - .offset:         0
        .size:           56
        .value_kind:     by_value
    .group_segment_fixed_size: 0
    .kernarg_segment_align: 8
    .kernarg_segment_size: 56
    .language:       OpenCL C
    .language_version:
      - 2
      - 0
    .max_flat_workgroup_size: 128
    .name:           _ZN7rocprim17ROCPRIM_400000_NS6detail17trampoline_kernelINS0_14default_configENS1_38merge_sort_block_merge_config_selectorIlNS0_10empty_typeEEEZZNS1_27merge_sort_block_merge_implIS3_PlPS5_mZN2at6native12_GLOBAL__N_124unique_dim_cuda_templateIN3c108BFloat16EEESt5tupleIJNSA_6TensorESH_SH_EERKSH_lbbbEUlllE_EE10hipError_tT0_T1_T2_jT3_P12ihipStream_tbPNSt15iterator_traitsISN_E10value_typeEPNST_ISO_E10value_typeEPSP_NS1_7vsmem_tEENKUlT_SN_SO_SP_E_clIS8_S8_S9_S9_EESM_S12_SN_SO_SP_EUlS12_E_NS1_11comp_targetILNS1_3genE2ELNS1_11target_archE906ELNS1_3gpuE6ELNS1_3repE0EEENS1_48merge_mergepath_partition_config_static_selectorELNS0_4arch9wavefront6targetE0EEEvSO_
    .private_segment_fixed_size: 0
    .sgpr_count:     0
    .sgpr_spill_count: 0
    .symbol:         _ZN7rocprim17ROCPRIM_400000_NS6detail17trampoline_kernelINS0_14default_configENS1_38merge_sort_block_merge_config_selectorIlNS0_10empty_typeEEEZZNS1_27merge_sort_block_merge_implIS3_PlPS5_mZN2at6native12_GLOBAL__N_124unique_dim_cuda_templateIN3c108BFloat16EEESt5tupleIJNSA_6TensorESH_SH_EERKSH_lbbbEUlllE_EE10hipError_tT0_T1_T2_jT3_P12ihipStream_tbPNSt15iterator_traitsISN_E10value_typeEPNST_ISO_E10value_typeEPSP_NS1_7vsmem_tEENKUlT_SN_SO_SP_E_clIS8_S8_S9_S9_EESM_S12_SN_SO_SP_EUlS12_E_NS1_11comp_targetILNS1_3genE2ELNS1_11target_archE906ELNS1_3gpuE6ELNS1_3repE0EEENS1_48merge_mergepath_partition_config_static_selectorELNS0_4arch9wavefront6targetE0EEEvSO_.kd
    .uniform_work_group_size: 1
    .uses_dynamic_stack: false
    .vgpr_count:     0
    .vgpr_spill_count: 0
    .wavefront_size: 32
  - .args:
      - .offset:         0
        .size:           56
        .value_kind:     by_value
    .group_segment_fixed_size: 0
    .kernarg_segment_align: 8
    .kernarg_segment_size: 56
    .language:       OpenCL C
    .language_version:
      - 2
      - 0
    .max_flat_workgroup_size: 128
    .name:           _ZN7rocprim17ROCPRIM_400000_NS6detail17trampoline_kernelINS0_14default_configENS1_38merge_sort_block_merge_config_selectorIlNS0_10empty_typeEEEZZNS1_27merge_sort_block_merge_implIS3_PlPS5_mZN2at6native12_GLOBAL__N_124unique_dim_cuda_templateIN3c108BFloat16EEESt5tupleIJNSA_6TensorESH_SH_EERKSH_lbbbEUlllE_EE10hipError_tT0_T1_T2_jT3_P12ihipStream_tbPNSt15iterator_traitsISN_E10value_typeEPNST_ISO_E10value_typeEPSP_NS1_7vsmem_tEENKUlT_SN_SO_SP_E_clIS8_S8_S9_S9_EESM_S12_SN_SO_SP_EUlS12_E_NS1_11comp_targetILNS1_3genE9ELNS1_11target_archE1100ELNS1_3gpuE3ELNS1_3repE0EEENS1_48merge_mergepath_partition_config_static_selectorELNS0_4arch9wavefront6targetE0EEEvSO_
    .private_segment_fixed_size: 0
    .sgpr_count:     0
    .sgpr_spill_count: 0
    .symbol:         _ZN7rocprim17ROCPRIM_400000_NS6detail17trampoline_kernelINS0_14default_configENS1_38merge_sort_block_merge_config_selectorIlNS0_10empty_typeEEEZZNS1_27merge_sort_block_merge_implIS3_PlPS5_mZN2at6native12_GLOBAL__N_124unique_dim_cuda_templateIN3c108BFloat16EEESt5tupleIJNSA_6TensorESH_SH_EERKSH_lbbbEUlllE_EE10hipError_tT0_T1_T2_jT3_P12ihipStream_tbPNSt15iterator_traitsISN_E10value_typeEPNST_ISO_E10value_typeEPSP_NS1_7vsmem_tEENKUlT_SN_SO_SP_E_clIS8_S8_S9_S9_EESM_S12_SN_SO_SP_EUlS12_E_NS1_11comp_targetILNS1_3genE9ELNS1_11target_archE1100ELNS1_3gpuE3ELNS1_3repE0EEENS1_48merge_mergepath_partition_config_static_selectorELNS0_4arch9wavefront6targetE0EEEvSO_.kd
    .uniform_work_group_size: 1
    .uses_dynamic_stack: false
    .vgpr_count:     0
    .vgpr_spill_count: 0
    .wavefront_size: 32
  - .args:
      - .offset:         0
        .size:           56
        .value_kind:     by_value
    .group_segment_fixed_size: 0
    .kernarg_segment_align: 8
    .kernarg_segment_size: 56
    .language:       OpenCL C
    .language_version:
      - 2
      - 0
    .max_flat_workgroup_size: 128
    .name:           _ZN7rocprim17ROCPRIM_400000_NS6detail17trampoline_kernelINS0_14default_configENS1_38merge_sort_block_merge_config_selectorIlNS0_10empty_typeEEEZZNS1_27merge_sort_block_merge_implIS3_PlPS5_mZN2at6native12_GLOBAL__N_124unique_dim_cuda_templateIN3c108BFloat16EEESt5tupleIJNSA_6TensorESH_SH_EERKSH_lbbbEUlllE_EE10hipError_tT0_T1_T2_jT3_P12ihipStream_tbPNSt15iterator_traitsISN_E10value_typeEPNST_ISO_E10value_typeEPSP_NS1_7vsmem_tEENKUlT_SN_SO_SP_E_clIS8_S8_S9_S9_EESM_S12_SN_SO_SP_EUlS12_E_NS1_11comp_targetILNS1_3genE8ELNS1_11target_archE1030ELNS1_3gpuE2ELNS1_3repE0EEENS1_48merge_mergepath_partition_config_static_selectorELNS0_4arch9wavefront6targetE0EEEvSO_
    .private_segment_fixed_size: 0
    .sgpr_count:     0
    .sgpr_spill_count: 0
    .symbol:         _ZN7rocprim17ROCPRIM_400000_NS6detail17trampoline_kernelINS0_14default_configENS1_38merge_sort_block_merge_config_selectorIlNS0_10empty_typeEEEZZNS1_27merge_sort_block_merge_implIS3_PlPS5_mZN2at6native12_GLOBAL__N_124unique_dim_cuda_templateIN3c108BFloat16EEESt5tupleIJNSA_6TensorESH_SH_EERKSH_lbbbEUlllE_EE10hipError_tT0_T1_T2_jT3_P12ihipStream_tbPNSt15iterator_traitsISN_E10value_typeEPNST_ISO_E10value_typeEPSP_NS1_7vsmem_tEENKUlT_SN_SO_SP_E_clIS8_S8_S9_S9_EESM_S12_SN_SO_SP_EUlS12_E_NS1_11comp_targetILNS1_3genE8ELNS1_11target_archE1030ELNS1_3gpuE2ELNS1_3repE0EEENS1_48merge_mergepath_partition_config_static_selectorELNS0_4arch9wavefront6targetE0EEEvSO_.kd
    .uniform_work_group_size: 1
    .uses_dynamic_stack: false
    .vgpr_count:     0
    .vgpr_spill_count: 0
    .wavefront_size: 32
  - .args:
      - .offset:         0
        .size:           88
        .value_kind:     by_value
      - .offset:         88
        .size:           4
        .value_kind:     hidden_block_count_x
      - .offset:         92
        .size:           4
        .value_kind:     hidden_block_count_y
      - .offset:         96
        .size:           4
        .value_kind:     hidden_block_count_z
      - .offset:         100
        .size:           2
        .value_kind:     hidden_group_size_x
      - .offset:         102
        .size:           2
        .value_kind:     hidden_group_size_y
      - .offset:         104
        .size:           2
        .value_kind:     hidden_group_size_z
      - .offset:         106
        .size:           2
        .value_kind:     hidden_remainder_x
      - .offset:         108
        .size:           2
        .value_kind:     hidden_remainder_y
      - .offset:         110
        .size:           2
        .value_kind:     hidden_remainder_z
      - .offset:         128
        .size:           8
        .value_kind:     hidden_global_offset_x
      - .offset:         136
        .size:           8
        .value_kind:     hidden_global_offset_y
      - .offset:         144
        .size:           8
        .value_kind:     hidden_global_offset_z
      - .offset:         152
        .size:           2
        .value_kind:     hidden_grid_dims
    .group_segment_fixed_size: 8448
    .kernarg_segment_align: 8
    .kernarg_segment_size: 344
    .language:       OpenCL C
    .language_version:
      - 2
      - 0
    .max_flat_workgroup_size: 128
    .name:           _ZN7rocprim17ROCPRIM_400000_NS6detail17trampoline_kernelINS0_14default_configENS1_38merge_sort_block_merge_config_selectorIlNS0_10empty_typeEEEZZNS1_27merge_sort_block_merge_implIS3_PlPS5_mZN2at6native12_GLOBAL__N_124unique_dim_cuda_templateIN3c108BFloat16EEESt5tupleIJNSA_6TensorESH_SH_EERKSH_lbbbEUlllE_EE10hipError_tT0_T1_T2_jT3_P12ihipStream_tbPNSt15iterator_traitsISN_E10value_typeEPNST_ISO_E10value_typeEPSP_NS1_7vsmem_tEENKUlT_SN_SO_SP_E_clIS8_S8_S9_S9_EESM_S12_SN_SO_SP_EUlS12_E0_NS1_11comp_targetILNS1_3genE0ELNS1_11target_archE4294967295ELNS1_3gpuE0ELNS1_3repE0EEENS1_38merge_mergepath_config_static_selectorELNS0_4arch9wavefront6targetE0EEEvSO_
    .private_segment_fixed_size: 0
    .sgpr_count:     33
    .sgpr_spill_count: 0
    .symbol:         _ZN7rocprim17ROCPRIM_400000_NS6detail17trampoline_kernelINS0_14default_configENS1_38merge_sort_block_merge_config_selectorIlNS0_10empty_typeEEEZZNS1_27merge_sort_block_merge_implIS3_PlPS5_mZN2at6native12_GLOBAL__N_124unique_dim_cuda_templateIN3c108BFloat16EEESt5tupleIJNSA_6TensorESH_SH_EERKSH_lbbbEUlllE_EE10hipError_tT0_T1_T2_jT3_P12ihipStream_tbPNSt15iterator_traitsISN_E10value_typeEPNST_ISO_E10value_typeEPSP_NS1_7vsmem_tEENKUlT_SN_SO_SP_E_clIS8_S8_S9_S9_EESM_S12_SN_SO_SP_EUlS12_E0_NS1_11comp_targetILNS1_3genE0ELNS1_11target_archE4294967295ELNS1_3gpuE0ELNS1_3repE0EEENS1_38merge_mergepath_config_static_selectorELNS0_4arch9wavefront6targetE0EEEvSO_.kd
    .uniform_work_group_size: 1
    .uses_dynamic_stack: false
    .vgpr_count:     40
    .vgpr_spill_count: 0
    .wavefront_size: 32
  - .args:
      - .offset:         0
        .size:           88
        .value_kind:     by_value
    .group_segment_fixed_size: 0
    .kernarg_segment_align: 8
    .kernarg_segment_size: 88
    .language:       OpenCL C
    .language_version:
      - 2
      - 0
    .max_flat_workgroup_size: 512
    .name:           _ZN7rocprim17ROCPRIM_400000_NS6detail17trampoline_kernelINS0_14default_configENS1_38merge_sort_block_merge_config_selectorIlNS0_10empty_typeEEEZZNS1_27merge_sort_block_merge_implIS3_PlPS5_mZN2at6native12_GLOBAL__N_124unique_dim_cuda_templateIN3c108BFloat16EEESt5tupleIJNSA_6TensorESH_SH_EERKSH_lbbbEUlllE_EE10hipError_tT0_T1_T2_jT3_P12ihipStream_tbPNSt15iterator_traitsISN_E10value_typeEPNST_ISO_E10value_typeEPSP_NS1_7vsmem_tEENKUlT_SN_SO_SP_E_clIS8_S8_S9_S9_EESM_S12_SN_SO_SP_EUlS12_E0_NS1_11comp_targetILNS1_3genE10ELNS1_11target_archE1201ELNS1_3gpuE5ELNS1_3repE0EEENS1_38merge_mergepath_config_static_selectorELNS0_4arch9wavefront6targetE0EEEvSO_
    .private_segment_fixed_size: 0
    .sgpr_count:     0
    .sgpr_spill_count: 0
    .symbol:         _ZN7rocprim17ROCPRIM_400000_NS6detail17trampoline_kernelINS0_14default_configENS1_38merge_sort_block_merge_config_selectorIlNS0_10empty_typeEEEZZNS1_27merge_sort_block_merge_implIS3_PlPS5_mZN2at6native12_GLOBAL__N_124unique_dim_cuda_templateIN3c108BFloat16EEESt5tupleIJNSA_6TensorESH_SH_EERKSH_lbbbEUlllE_EE10hipError_tT0_T1_T2_jT3_P12ihipStream_tbPNSt15iterator_traitsISN_E10value_typeEPNST_ISO_E10value_typeEPSP_NS1_7vsmem_tEENKUlT_SN_SO_SP_E_clIS8_S8_S9_S9_EESM_S12_SN_SO_SP_EUlS12_E0_NS1_11comp_targetILNS1_3genE10ELNS1_11target_archE1201ELNS1_3gpuE5ELNS1_3repE0EEENS1_38merge_mergepath_config_static_selectorELNS0_4arch9wavefront6targetE0EEEvSO_.kd
    .uniform_work_group_size: 1
    .uses_dynamic_stack: false
    .vgpr_count:     0
    .vgpr_spill_count: 0
    .wavefront_size: 32
  - .args:
      - .offset:         0
        .size:           88
        .value_kind:     by_value
    .group_segment_fixed_size: 0
    .kernarg_segment_align: 8
    .kernarg_segment_size: 88
    .language:       OpenCL C
    .language_version:
      - 2
      - 0
    .max_flat_workgroup_size: 128
    .name:           _ZN7rocprim17ROCPRIM_400000_NS6detail17trampoline_kernelINS0_14default_configENS1_38merge_sort_block_merge_config_selectorIlNS0_10empty_typeEEEZZNS1_27merge_sort_block_merge_implIS3_PlPS5_mZN2at6native12_GLOBAL__N_124unique_dim_cuda_templateIN3c108BFloat16EEESt5tupleIJNSA_6TensorESH_SH_EERKSH_lbbbEUlllE_EE10hipError_tT0_T1_T2_jT3_P12ihipStream_tbPNSt15iterator_traitsISN_E10value_typeEPNST_ISO_E10value_typeEPSP_NS1_7vsmem_tEENKUlT_SN_SO_SP_E_clIS8_S8_S9_S9_EESM_S12_SN_SO_SP_EUlS12_E0_NS1_11comp_targetILNS1_3genE5ELNS1_11target_archE942ELNS1_3gpuE9ELNS1_3repE0EEENS1_38merge_mergepath_config_static_selectorELNS0_4arch9wavefront6targetE0EEEvSO_
    .private_segment_fixed_size: 0
    .sgpr_count:     0
    .sgpr_spill_count: 0
    .symbol:         _ZN7rocprim17ROCPRIM_400000_NS6detail17trampoline_kernelINS0_14default_configENS1_38merge_sort_block_merge_config_selectorIlNS0_10empty_typeEEEZZNS1_27merge_sort_block_merge_implIS3_PlPS5_mZN2at6native12_GLOBAL__N_124unique_dim_cuda_templateIN3c108BFloat16EEESt5tupleIJNSA_6TensorESH_SH_EERKSH_lbbbEUlllE_EE10hipError_tT0_T1_T2_jT3_P12ihipStream_tbPNSt15iterator_traitsISN_E10value_typeEPNST_ISO_E10value_typeEPSP_NS1_7vsmem_tEENKUlT_SN_SO_SP_E_clIS8_S8_S9_S9_EESM_S12_SN_SO_SP_EUlS12_E0_NS1_11comp_targetILNS1_3genE5ELNS1_11target_archE942ELNS1_3gpuE9ELNS1_3repE0EEENS1_38merge_mergepath_config_static_selectorELNS0_4arch9wavefront6targetE0EEEvSO_.kd
    .uniform_work_group_size: 1
    .uses_dynamic_stack: false
    .vgpr_count:     0
    .vgpr_spill_count: 0
    .wavefront_size: 32
  - .args:
      - .offset:         0
        .size:           88
        .value_kind:     by_value
    .group_segment_fixed_size: 0
    .kernarg_segment_align: 8
    .kernarg_segment_size: 88
    .language:       OpenCL C
    .language_version:
      - 2
      - 0
    .max_flat_workgroup_size: 256
    .name:           _ZN7rocprim17ROCPRIM_400000_NS6detail17trampoline_kernelINS0_14default_configENS1_38merge_sort_block_merge_config_selectorIlNS0_10empty_typeEEEZZNS1_27merge_sort_block_merge_implIS3_PlPS5_mZN2at6native12_GLOBAL__N_124unique_dim_cuda_templateIN3c108BFloat16EEESt5tupleIJNSA_6TensorESH_SH_EERKSH_lbbbEUlllE_EE10hipError_tT0_T1_T2_jT3_P12ihipStream_tbPNSt15iterator_traitsISN_E10value_typeEPNST_ISO_E10value_typeEPSP_NS1_7vsmem_tEENKUlT_SN_SO_SP_E_clIS8_S8_S9_S9_EESM_S12_SN_SO_SP_EUlS12_E0_NS1_11comp_targetILNS1_3genE4ELNS1_11target_archE910ELNS1_3gpuE8ELNS1_3repE0EEENS1_38merge_mergepath_config_static_selectorELNS0_4arch9wavefront6targetE0EEEvSO_
    .private_segment_fixed_size: 0
    .sgpr_count:     0
    .sgpr_spill_count: 0
    .symbol:         _ZN7rocprim17ROCPRIM_400000_NS6detail17trampoline_kernelINS0_14default_configENS1_38merge_sort_block_merge_config_selectorIlNS0_10empty_typeEEEZZNS1_27merge_sort_block_merge_implIS3_PlPS5_mZN2at6native12_GLOBAL__N_124unique_dim_cuda_templateIN3c108BFloat16EEESt5tupleIJNSA_6TensorESH_SH_EERKSH_lbbbEUlllE_EE10hipError_tT0_T1_T2_jT3_P12ihipStream_tbPNSt15iterator_traitsISN_E10value_typeEPNST_ISO_E10value_typeEPSP_NS1_7vsmem_tEENKUlT_SN_SO_SP_E_clIS8_S8_S9_S9_EESM_S12_SN_SO_SP_EUlS12_E0_NS1_11comp_targetILNS1_3genE4ELNS1_11target_archE910ELNS1_3gpuE8ELNS1_3repE0EEENS1_38merge_mergepath_config_static_selectorELNS0_4arch9wavefront6targetE0EEEvSO_.kd
    .uniform_work_group_size: 1
    .uses_dynamic_stack: false
    .vgpr_count:     0
    .vgpr_spill_count: 0
    .wavefront_size: 32
  - .args:
      - .offset:         0
        .size:           88
        .value_kind:     by_value
    .group_segment_fixed_size: 0
    .kernarg_segment_align: 8
    .kernarg_segment_size: 88
    .language:       OpenCL C
    .language_version:
      - 2
      - 0
    .max_flat_workgroup_size: 128
    .name:           _ZN7rocprim17ROCPRIM_400000_NS6detail17trampoline_kernelINS0_14default_configENS1_38merge_sort_block_merge_config_selectorIlNS0_10empty_typeEEEZZNS1_27merge_sort_block_merge_implIS3_PlPS5_mZN2at6native12_GLOBAL__N_124unique_dim_cuda_templateIN3c108BFloat16EEESt5tupleIJNSA_6TensorESH_SH_EERKSH_lbbbEUlllE_EE10hipError_tT0_T1_T2_jT3_P12ihipStream_tbPNSt15iterator_traitsISN_E10value_typeEPNST_ISO_E10value_typeEPSP_NS1_7vsmem_tEENKUlT_SN_SO_SP_E_clIS8_S8_S9_S9_EESM_S12_SN_SO_SP_EUlS12_E0_NS1_11comp_targetILNS1_3genE3ELNS1_11target_archE908ELNS1_3gpuE7ELNS1_3repE0EEENS1_38merge_mergepath_config_static_selectorELNS0_4arch9wavefront6targetE0EEEvSO_
    .private_segment_fixed_size: 0
    .sgpr_count:     0
    .sgpr_spill_count: 0
    .symbol:         _ZN7rocprim17ROCPRIM_400000_NS6detail17trampoline_kernelINS0_14default_configENS1_38merge_sort_block_merge_config_selectorIlNS0_10empty_typeEEEZZNS1_27merge_sort_block_merge_implIS3_PlPS5_mZN2at6native12_GLOBAL__N_124unique_dim_cuda_templateIN3c108BFloat16EEESt5tupleIJNSA_6TensorESH_SH_EERKSH_lbbbEUlllE_EE10hipError_tT0_T1_T2_jT3_P12ihipStream_tbPNSt15iterator_traitsISN_E10value_typeEPNST_ISO_E10value_typeEPSP_NS1_7vsmem_tEENKUlT_SN_SO_SP_E_clIS8_S8_S9_S9_EESM_S12_SN_SO_SP_EUlS12_E0_NS1_11comp_targetILNS1_3genE3ELNS1_11target_archE908ELNS1_3gpuE7ELNS1_3repE0EEENS1_38merge_mergepath_config_static_selectorELNS0_4arch9wavefront6targetE0EEEvSO_.kd
    .uniform_work_group_size: 1
    .uses_dynamic_stack: false
    .vgpr_count:     0
    .vgpr_spill_count: 0
    .wavefront_size: 32
  - .args:
      - .offset:         0
        .size:           88
        .value_kind:     by_value
    .group_segment_fixed_size: 0
    .kernarg_segment_align: 8
    .kernarg_segment_size: 88
    .language:       OpenCL C
    .language_version:
      - 2
      - 0
    .max_flat_workgroup_size: 256
    .name:           _ZN7rocprim17ROCPRIM_400000_NS6detail17trampoline_kernelINS0_14default_configENS1_38merge_sort_block_merge_config_selectorIlNS0_10empty_typeEEEZZNS1_27merge_sort_block_merge_implIS3_PlPS5_mZN2at6native12_GLOBAL__N_124unique_dim_cuda_templateIN3c108BFloat16EEESt5tupleIJNSA_6TensorESH_SH_EERKSH_lbbbEUlllE_EE10hipError_tT0_T1_T2_jT3_P12ihipStream_tbPNSt15iterator_traitsISN_E10value_typeEPNST_ISO_E10value_typeEPSP_NS1_7vsmem_tEENKUlT_SN_SO_SP_E_clIS8_S8_S9_S9_EESM_S12_SN_SO_SP_EUlS12_E0_NS1_11comp_targetILNS1_3genE2ELNS1_11target_archE906ELNS1_3gpuE6ELNS1_3repE0EEENS1_38merge_mergepath_config_static_selectorELNS0_4arch9wavefront6targetE0EEEvSO_
    .private_segment_fixed_size: 0
    .sgpr_count:     0
    .sgpr_spill_count: 0
    .symbol:         _ZN7rocprim17ROCPRIM_400000_NS6detail17trampoline_kernelINS0_14default_configENS1_38merge_sort_block_merge_config_selectorIlNS0_10empty_typeEEEZZNS1_27merge_sort_block_merge_implIS3_PlPS5_mZN2at6native12_GLOBAL__N_124unique_dim_cuda_templateIN3c108BFloat16EEESt5tupleIJNSA_6TensorESH_SH_EERKSH_lbbbEUlllE_EE10hipError_tT0_T1_T2_jT3_P12ihipStream_tbPNSt15iterator_traitsISN_E10value_typeEPNST_ISO_E10value_typeEPSP_NS1_7vsmem_tEENKUlT_SN_SO_SP_E_clIS8_S8_S9_S9_EESM_S12_SN_SO_SP_EUlS12_E0_NS1_11comp_targetILNS1_3genE2ELNS1_11target_archE906ELNS1_3gpuE6ELNS1_3repE0EEENS1_38merge_mergepath_config_static_selectorELNS0_4arch9wavefront6targetE0EEEvSO_.kd
    .uniform_work_group_size: 1
    .uses_dynamic_stack: false
    .vgpr_count:     0
    .vgpr_spill_count: 0
    .wavefront_size: 32
  - .args:
      - .offset:         0
        .size:           88
        .value_kind:     by_value
    .group_segment_fixed_size: 0
    .kernarg_segment_align: 8
    .kernarg_segment_size: 88
    .language:       OpenCL C
    .language_version:
      - 2
      - 0
    .max_flat_workgroup_size: 512
    .name:           _ZN7rocprim17ROCPRIM_400000_NS6detail17trampoline_kernelINS0_14default_configENS1_38merge_sort_block_merge_config_selectorIlNS0_10empty_typeEEEZZNS1_27merge_sort_block_merge_implIS3_PlPS5_mZN2at6native12_GLOBAL__N_124unique_dim_cuda_templateIN3c108BFloat16EEESt5tupleIJNSA_6TensorESH_SH_EERKSH_lbbbEUlllE_EE10hipError_tT0_T1_T2_jT3_P12ihipStream_tbPNSt15iterator_traitsISN_E10value_typeEPNST_ISO_E10value_typeEPSP_NS1_7vsmem_tEENKUlT_SN_SO_SP_E_clIS8_S8_S9_S9_EESM_S12_SN_SO_SP_EUlS12_E0_NS1_11comp_targetILNS1_3genE9ELNS1_11target_archE1100ELNS1_3gpuE3ELNS1_3repE0EEENS1_38merge_mergepath_config_static_selectorELNS0_4arch9wavefront6targetE0EEEvSO_
    .private_segment_fixed_size: 0
    .sgpr_count:     0
    .sgpr_spill_count: 0
    .symbol:         _ZN7rocprim17ROCPRIM_400000_NS6detail17trampoline_kernelINS0_14default_configENS1_38merge_sort_block_merge_config_selectorIlNS0_10empty_typeEEEZZNS1_27merge_sort_block_merge_implIS3_PlPS5_mZN2at6native12_GLOBAL__N_124unique_dim_cuda_templateIN3c108BFloat16EEESt5tupleIJNSA_6TensorESH_SH_EERKSH_lbbbEUlllE_EE10hipError_tT0_T1_T2_jT3_P12ihipStream_tbPNSt15iterator_traitsISN_E10value_typeEPNST_ISO_E10value_typeEPSP_NS1_7vsmem_tEENKUlT_SN_SO_SP_E_clIS8_S8_S9_S9_EESM_S12_SN_SO_SP_EUlS12_E0_NS1_11comp_targetILNS1_3genE9ELNS1_11target_archE1100ELNS1_3gpuE3ELNS1_3repE0EEENS1_38merge_mergepath_config_static_selectorELNS0_4arch9wavefront6targetE0EEEvSO_.kd
    .uniform_work_group_size: 1
    .uses_dynamic_stack: false
    .vgpr_count:     0
    .vgpr_spill_count: 0
    .wavefront_size: 32
  - .args:
      - .offset:         0
        .size:           88
        .value_kind:     by_value
    .group_segment_fixed_size: 0
    .kernarg_segment_align: 8
    .kernarg_segment_size: 88
    .language:       OpenCL C
    .language_version:
      - 2
      - 0
    .max_flat_workgroup_size: 1024
    .name:           _ZN7rocprim17ROCPRIM_400000_NS6detail17trampoline_kernelINS0_14default_configENS1_38merge_sort_block_merge_config_selectorIlNS0_10empty_typeEEEZZNS1_27merge_sort_block_merge_implIS3_PlPS5_mZN2at6native12_GLOBAL__N_124unique_dim_cuda_templateIN3c108BFloat16EEESt5tupleIJNSA_6TensorESH_SH_EERKSH_lbbbEUlllE_EE10hipError_tT0_T1_T2_jT3_P12ihipStream_tbPNSt15iterator_traitsISN_E10value_typeEPNST_ISO_E10value_typeEPSP_NS1_7vsmem_tEENKUlT_SN_SO_SP_E_clIS8_S8_S9_S9_EESM_S12_SN_SO_SP_EUlS12_E0_NS1_11comp_targetILNS1_3genE8ELNS1_11target_archE1030ELNS1_3gpuE2ELNS1_3repE0EEENS1_38merge_mergepath_config_static_selectorELNS0_4arch9wavefront6targetE0EEEvSO_
    .private_segment_fixed_size: 0
    .sgpr_count:     0
    .sgpr_spill_count: 0
    .symbol:         _ZN7rocprim17ROCPRIM_400000_NS6detail17trampoline_kernelINS0_14default_configENS1_38merge_sort_block_merge_config_selectorIlNS0_10empty_typeEEEZZNS1_27merge_sort_block_merge_implIS3_PlPS5_mZN2at6native12_GLOBAL__N_124unique_dim_cuda_templateIN3c108BFloat16EEESt5tupleIJNSA_6TensorESH_SH_EERKSH_lbbbEUlllE_EE10hipError_tT0_T1_T2_jT3_P12ihipStream_tbPNSt15iterator_traitsISN_E10value_typeEPNST_ISO_E10value_typeEPSP_NS1_7vsmem_tEENKUlT_SN_SO_SP_E_clIS8_S8_S9_S9_EESM_S12_SN_SO_SP_EUlS12_E0_NS1_11comp_targetILNS1_3genE8ELNS1_11target_archE1030ELNS1_3gpuE2ELNS1_3repE0EEENS1_38merge_mergepath_config_static_selectorELNS0_4arch9wavefront6targetE0EEEvSO_.kd
    .uniform_work_group_size: 1
    .uses_dynamic_stack: false
    .vgpr_count:     0
    .vgpr_spill_count: 0
    .wavefront_size: 32
  - .args:
      - .offset:         0
        .size:           64
        .value_kind:     by_value
    .group_segment_fixed_size: 0
    .kernarg_segment_align: 8
    .kernarg_segment_size: 64
    .language:       OpenCL C
    .language_version:
      - 2
      - 0
    .max_flat_workgroup_size: 256
    .name:           _ZN7rocprim17ROCPRIM_400000_NS6detail17trampoline_kernelINS0_14default_configENS1_38merge_sort_block_merge_config_selectorIlNS0_10empty_typeEEEZZNS1_27merge_sort_block_merge_implIS3_PlPS5_mZN2at6native12_GLOBAL__N_124unique_dim_cuda_templateIN3c108BFloat16EEESt5tupleIJNSA_6TensorESH_SH_EERKSH_lbbbEUlllE_EE10hipError_tT0_T1_T2_jT3_P12ihipStream_tbPNSt15iterator_traitsISN_E10value_typeEPNST_ISO_E10value_typeEPSP_NS1_7vsmem_tEENKUlT_SN_SO_SP_E_clIS8_S8_S9_S9_EESM_S12_SN_SO_SP_EUlS12_E1_NS1_11comp_targetILNS1_3genE0ELNS1_11target_archE4294967295ELNS1_3gpuE0ELNS1_3repE0EEENS1_36merge_oddeven_config_static_selectorELNS0_4arch9wavefront6targetE0EEEvSO_
    .private_segment_fixed_size: 0
    .sgpr_count:     30
    .sgpr_spill_count: 0
    .symbol:         _ZN7rocprim17ROCPRIM_400000_NS6detail17trampoline_kernelINS0_14default_configENS1_38merge_sort_block_merge_config_selectorIlNS0_10empty_typeEEEZZNS1_27merge_sort_block_merge_implIS3_PlPS5_mZN2at6native12_GLOBAL__N_124unique_dim_cuda_templateIN3c108BFloat16EEESt5tupleIJNSA_6TensorESH_SH_EERKSH_lbbbEUlllE_EE10hipError_tT0_T1_T2_jT3_P12ihipStream_tbPNSt15iterator_traitsISN_E10value_typeEPNST_ISO_E10value_typeEPSP_NS1_7vsmem_tEENKUlT_SN_SO_SP_E_clIS8_S8_S9_S9_EESM_S12_SN_SO_SP_EUlS12_E1_NS1_11comp_targetILNS1_3genE0ELNS1_11target_archE4294967295ELNS1_3gpuE0ELNS1_3repE0EEENS1_36merge_oddeven_config_static_selectorELNS0_4arch9wavefront6targetE0EEEvSO_.kd
    .uniform_work_group_size: 1
    .uses_dynamic_stack: false
    .vgpr_count:     17
    .vgpr_spill_count: 0
    .wavefront_size: 32
  - .args:
      - .offset:         0
        .size:           64
        .value_kind:     by_value
    .group_segment_fixed_size: 0
    .kernarg_segment_align: 8
    .kernarg_segment_size: 64
    .language:       OpenCL C
    .language_version:
      - 2
      - 0
    .max_flat_workgroup_size: 256
    .name:           _ZN7rocprim17ROCPRIM_400000_NS6detail17trampoline_kernelINS0_14default_configENS1_38merge_sort_block_merge_config_selectorIlNS0_10empty_typeEEEZZNS1_27merge_sort_block_merge_implIS3_PlPS5_mZN2at6native12_GLOBAL__N_124unique_dim_cuda_templateIN3c108BFloat16EEESt5tupleIJNSA_6TensorESH_SH_EERKSH_lbbbEUlllE_EE10hipError_tT0_T1_T2_jT3_P12ihipStream_tbPNSt15iterator_traitsISN_E10value_typeEPNST_ISO_E10value_typeEPSP_NS1_7vsmem_tEENKUlT_SN_SO_SP_E_clIS8_S8_S9_S9_EESM_S12_SN_SO_SP_EUlS12_E1_NS1_11comp_targetILNS1_3genE10ELNS1_11target_archE1201ELNS1_3gpuE5ELNS1_3repE0EEENS1_36merge_oddeven_config_static_selectorELNS0_4arch9wavefront6targetE0EEEvSO_
    .private_segment_fixed_size: 0
    .sgpr_count:     0
    .sgpr_spill_count: 0
    .symbol:         _ZN7rocprim17ROCPRIM_400000_NS6detail17trampoline_kernelINS0_14default_configENS1_38merge_sort_block_merge_config_selectorIlNS0_10empty_typeEEEZZNS1_27merge_sort_block_merge_implIS3_PlPS5_mZN2at6native12_GLOBAL__N_124unique_dim_cuda_templateIN3c108BFloat16EEESt5tupleIJNSA_6TensorESH_SH_EERKSH_lbbbEUlllE_EE10hipError_tT0_T1_T2_jT3_P12ihipStream_tbPNSt15iterator_traitsISN_E10value_typeEPNST_ISO_E10value_typeEPSP_NS1_7vsmem_tEENKUlT_SN_SO_SP_E_clIS8_S8_S9_S9_EESM_S12_SN_SO_SP_EUlS12_E1_NS1_11comp_targetILNS1_3genE10ELNS1_11target_archE1201ELNS1_3gpuE5ELNS1_3repE0EEENS1_36merge_oddeven_config_static_selectorELNS0_4arch9wavefront6targetE0EEEvSO_.kd
    .uniform_work_group_size: 1
    .uses_dynamic_stack: false
    .vgpr_count:     0
    .vgpr_spill_count: 0
    .wavefront_size: 32
  - .args:
      - .offset:         0
        .size:           64
        .value_kind:     by_value
    .group_segment_fixed_size: 0
    .kernarg_segment_align: 8
    .kernarg_segment_size: 64
    .language:       OpenCL C
    .language_version:
      - 2
      - 0
    .max_flat_workgroup_size: 256
    .name:           _ZN7rocprim17ROCPRIM_400000_NS6detail17trampoline_kernelINS0_14default_configENS1_38merge_sort_block_merge_config_selectorIlNS0_10empty_typeEEEZZNS1_27merge_sort_block_merge_implIS3_PlPS5_mZN2at6native12_GLOBAL__N_124unique_dim_cuda_templateIN3c108BFloat16EEESt5tupleIJNSA_6TensorESH_SH_EERKSH_lbbbEUlllE_EE10hipError_tT0_T1_T2_jT3_P12ihipStream_tbPNSt15iterator_traitsISN_E10value_typeEPNST_ISO_E10value_typeEPSP_NS1_7vsmem_tEENKUlT_SN_SO_SP_E_clIS8_S8_S9_S9_EESM_S12_SN_SO_SP_EUlS12_E1_NS1_11comp_targetILNS1_3genE5ELNS1_11target_archE942ELNS1_3gpuE9ELNS1_3repE0EEENS1_36merge_oddeven_config_static_selectorELNS0_4arch9wavefront6targetE0EEEvSO_
    .private_segment_fixed_size: 0
    .sgpr_count:     0
    .sgpr_spill_count: 0
    .symbol:         _ZN7rocprim17ROCPRIM_400000_NS6detail17trampoline_kernelINS0_14default_configENS1_38merge_sort_block_merge_config_selectorIlNS0_10empty_typeEEEZZNS1_27merge_sort_block_merge_implIS3_PlPS5_mZN2at6native12_GLOBAL__N_124unique_dim_cuda_templateIN3c108BFloat16EEESt5tupleIJNSA_6TensorESH_SH_EERKSH_lbbbEUlllE_EE10hipError_tT0_T1_T2_jT3_P12ihipStream_tbPNSt15iterator_traitsISN_E10value_typeEPNST_ISO_E10value_typeEPSP_NS1_7vsmem_tEENKUlT_SN_SO_SP_E_clIS8_S8_S9_S9_EESM_S12_SN_SO_SP_EUlS12_E1_NS1_11comp_targetILNS1_3genE5ELNS1_11target_archE942ELNS1_3gpuE9ELNS1_3repE0EEENS1_36merge_oddeven_config_static_selectorELNS0_4arch9wavefront6targetE0EEEvSO_.kd
    .uniform_work_group_size: 1
    .uses_dynamic_stack: false
    .vgpr_count:     0
    .vgpr_spill_count: 0
    .wavefront_size: 32
  - .args:
      - .offset:         0
        .size:           64
        .value_kind:     by_value
    .group_segment_fixed_size: 0
    .kernarg_segment_align: 8
    .kernarg_segment_size: 64
    .language:       OpenCL C
    .language_version:
      - 2
      - 0
    .max_flat_workgroup_size: 256
    .name:           _ZN7rocprim17ROCPRIM_400000_NS6detail17trampoline_kernelINS0_14default_configENS1_38merge_sort_block_merge_config_selectorIlNS0_10empty_typeEEEZZNS1_27merge_sort_block_merge_implIS3_PlPS5_mZN2at6native12_GLOBAL__N_124unique_dim_cuda_templateIN3c108BFloat16EEESt5tupleIJNSA_6TensorESH_SH_EERKSH_lbbbEUlllE_EE10hipError_tT0_T1_T2_jT3_P12ihipStream_tbPNSt15iterator_traitsISN_E10value_typeEPNST_ISO_E10value_typeEPSP_NS1_7vsmem_tEENKUlT_SN_SO_SP_E_clIS8_S8_S9_S9_EESM_S12_SN_SO_SP_EUlS12_E1_NS1_11comp_targetILNS1_3genE4ELNS1_11target_archE910ELNS1_3gpuE8ELNS1_3repE0EEENS1_36merge_oddeven_config_static_selectorELNS0_4arch9wavefront6targetE0EEEvSO_
    .private_segment_fixed_size: 0
    .sgpr_count:     0
    .sgpr_spill_count: 0
    .symbol:         _ZN7rocprim17ROCPRIM_400000_NS6detail17trampoline_kernelINS0_14default_configENS1_38merge_sort_block_merge_config_selectorIlNS0_10empty_typeEEEZZNS1_27merge_sort_block_merge_implIS3_PlPS5_mZN2at6native12_GLOBAL__N_124unique_dim_cuda_templateIN3c108BFloat16EEESt5tupleIJNSA_6TensorESH_SH_EERKSH_lbbbEUlllE_EE10hipError_tT0_T1_T2_jT3_P12ihipStream_tbPNSt15iterator_traitsISN_E10value_typeEPNST_ISO_E10value_typeEPSP_NS1_7vsmem_tEENKUlT_SN_SO_SP_E_clIS8_S8_S9_S9_EESM_S12_SN_SO_SP_EUlS12_E1_NS1_11comp_targetILNS1_3genE4ELNS1_11target_archE910ELNS1_3gpuE8ELNS1_3repE0EEENS1_36merge_oddeven_config_static_selectorELNS0_4arch9wavefront6targetE0EEEvSO_.kd
    .uniform_work_group_size: 1
    .uses_dynamic_stack: false
    .vgpr_count:     0
    .vgpr_spill_count: 0
    .wavefront_size: 32
  - .args:
      - .offset:         0
        .size:           64
        .value_kind:     by_value
    .group_segment_fixed_size: 0
    .kernarg_segment_align: 8
    .kernarg_segment_size: 64
    .language:       OpenCL C
    .language_version:
      - 2
      - 0
    .max_flat_workgroup_size: 256
    .name:           _ZN7rocprim17ROCPRIM_400000_NS6detail17trampoline_kernelINS0_14default_configENS1_38merge_sort_block_merge_config_selectorIlNS0_10empty_typeEEEZZNS1_27merge_sort_block_merge_implIS3_PlPS5_mZN2at6native12_GLOBAL__N_124unique_dim_cuda_templateIN3c108BFloat16EEESt5tupleIJNSA_6TensorESH_SH_EERKSH_lbbbEUlllE_EE10hipError_tT0_T1_T2_jT3_P12ihipStream_tbPNSt15iterator_traitsISN_E10value_typeEPNST_ISO_E10value_typeEPSP_NS1_7vsmem_tEENKUlT_SN_SO_SP_E_clIS8_S8_S9_S9_EESM_S12_SN_SO_SP_EUlS12_E1_NS1_11comp_targetILNS1_3genE3ELNS1_11target_archE908ELNS1_3gpuE7ELNS1_3repE0EEENS1_36merge_oddeven_config_static_selectorELNS0_4arch9wavefront6targetE0EEEvSO_
    .private_segment_fixed_size: 0
    .sgpr_count:     0
    .sgpr_spill_count: 0
    .symbol:         _ZN7rocprim17ROCPRIM_400000_NS6detail17trampoline_kernelINS0_14default_configENS1_38merge_sort_block_merge_config_selectorIlNS0_10empty_typeEEEZZNS1_27merge_sort_block_merge_implIS3_PlPS5_mZN2at6native12_GLOBAL__N_124unique_dim_cuda_templateIN3c108BFloat16EEESt5tupleIJNSA_6TensorESH_SH_EERKSH_lbbbEUlllE_EE10hipError_tT0_T1_T2_jT3_P12ihipStream_tbPNSt15iterator_traitsISN_E10value_typeEPNST_ISO_E10value_typeEPSP_NS1_7vsmem_tEENKUlT_SN_SO_SP_E_clIS8_S8_S9_S9_EESM_S12_SN_SO_SP_EUlS12_E1_NS1_11comp_targetILNS1_3genE3ELNS1_11target_archE908ELNS1_3gpuE7ELNS1_3repE0EEENS1_36merge_oddeven_config_static_selectorELNS0_4arch9wavefront6targetE0EEEvSO_.kd
    .uniform_work_group_size: 1
    .uses_dynamic_stack: false
    .vgpr_count:     0
    .vgpr_spill_count: 0
    .wavefront_size: 32
  - .args:
      - .offset:         0
        .size:           64
        .value_kind:     by_value
    .group_segment_fixed_size: 0
    .kernarg_segment_align: 8
    .kernarg_segment_size: 64
    .language:       OpenCL C
    .language_version:
      - 2
      - 0
    .max_flat_workgroup_size: 256
    .name:           _ZN7rocprim17ROCPRIM_400000_NS6detail17trampoline_kernelINS0_14default_configENS1_38merge_sort_block_merge_config_selectorIlNS0_10empty_typeEEEZZNS1_27merge_sort_block_merge_implIS3_PlPS5_mZN2at6native12_GLOBAL__N_124unique_dim_cuda_templateIN3c108BFloat16EEESt5tupleIJNSA_6TensorESH_SH_EERKSH_lbbbEUlllE_EE10hipError_tT0_T1_T2_jT3_P12ihipStream_tbPNSt15iterator_traitsISN_E10value_typeEPNST_ISO_E10value_typeEPSP_NS1_7vsmem_tEENKUlT_SN_SO_SP_E_clIS8_S8_S9_S9_EESM_S12_SN_SO_SP_EUlS12_E1_NS1_11comp_targetILNS1_3genE2ELNS1_11target_archE906ELNS1_3gpuE6ELNS1_3repE0EEENS1_36merge_oddeven_config_static_selectorELNS0_4arch9wavefront6targetE0EEEvSO_
    .private_segment_fixed_size: 0
    .sgpr_count:     0
    .sgpr_spill_count: 0
    .symbol:         _ZN7rocprim17ROCPRIM_400000_NS6detail17trampoline_kernelINS0_14default_configENS1_38merge_sort_block_merge_config_selectorIlNS0_10empty_typeEEEZZNS1_27merge_sort_block_merge_implIS3_PlPS5_mZN2at6native12_GLOBAL__N_124unique_dim_cuda_templateIN3c108BFloat16EEESt5tupleIJNSA_6TensorESH_SH_EERKSH_lbbbEUlllE_EE10hipError_tT0_T1_T2_jT3_P12ihipStream_tbPNSt15iterator_traitsISN_E10value_typeEPNST_ISO_E10value_typeEPSP_NS1_7vsmem_tEENKUlT_SN_SO_SP_E_clIS8_S8_S9_S9_EESM_S12_SN_SO_SP_EUlS12_E1_NS1_11comp_targetILNS1_3genE2ELNS1_11target_archE906ELNS1_3gpuE6ELNS1_3repE0EEENS1_36merge_oddeven_config_static_selectorELNS0_4arch9wavefront6targetE0EEEvSO_.kd
    .uniform_work_group_size: 1
    .uses_dynamic_stack: false
    .vgpr_count:     0
    .vgpr_spill_count: 0
    .wavefront_size: 32
  - .args:
      - .offset:         0
        .size:           64
        .value_kind:     by_value
    .group_segment_fixed_size: 0
    .kernarg_segment_align: 8
    .kernarg_segment_size: 64
    .language:       OpenCL C
    .language_version:
      - 2
      - 0
    .max_flat_workgroup_size: 256
    .name:           _ZN7rocprim17ROCPRIM_400000_NS6detail17trampoline_kernelINS0_14default_configENS1_38merge_sort_block_merge_config_selectorIlNS0_10empty_typeEEEZZNS1_27merge_sort_block_merge_implIS3_PlPS5_mZN2at6native12_GLOBAL__N_124unique_dim_cuda_templateIN3c108BFloat16EEESt5tupleIJNSA_6TensorESH_SH_EERKSH_lbbbEUlllE_EE10hipError_tT0_T1_T2_jT3_P12ihipStream_tbPNSt15iterator_traitsISN_E10value_typeEPNST_ISO_E10value_typeEPSP_NS1_7vsmem_tEENKUlT_SN_SO_SP_E_clIS8_S8_S9_S9_EESM_S12_SN_SO_SP_EUlS12_E1_NS1_11comp_targetILNS1_3genE9ELNS1_11target_archE1100ELNS1_3gpuE3ELNS1_3repE0EEENS1_36merge_oddeven_config_static_selectorELNS0_4arch9wavefront6targetE0EEEvSO_
    .private_segment_fixed_size: 0
    .sgpr_count:     0
    .sgpr_spill_count: 0
    .symbol:         _ZN7rocprim17ROCPRIM_400000_NS6detail17trampoline_kernelINS0_14default_configENS1_38merge_sort_block_merge_config_selectorIlNS0_10empty_typeEEEZZNS1_27merge_sort_block_merge_implIS3_PlPS5_mZN2at6native12_GLOBAL__N_124unique_dim_cuda_templateIN3c108BFloat16EEESt5tupleIJNSA_6TensorESH_SH_EERKSH_lbbbEUlllE_EE10hipError_tT0_T1_T2_jT3_P12ihipStream_tbPNSt15iterator_traitsISN_E10value_typeEPNST_ISO_E10value_typeEPSP_NS1_7vsmem_tEENKUlT_SN_SO_SP_E_clIS8_S8_S9_S9_EESM_S12_SN_SO_SP_EUlS12_E1_NS1_11comp_targetILNS1_3genE9ELNS1_11target_archE1100ELNS1_3gpuE3ELNS1_3repE0EEENS1_36merge_oddeven_config_static_selectorELNS0_4arch9wavefront6targetE0EEEvSO_.kd
    .uniform_work_group_size: 1
    .uses_dynamic_stack: false
    .vgpr_count:     0
    .vgpr_spill_count: 0
    .wavefront_size: 32
  - .args:
      - .offset:         0
        .size:           64
        .value_kind:     by_value
    .group_segment_fixed_size: 0
    .kernarg_segment_align: 8
    .kernarg_segment_size: 64
    .language:       OpenCL C
    .language_version:
      - 2
      - 0
    .max_flat_workgroup_size: 256
    .name:           _ZN7rocprim17ROCPRIM_400000_NS6detail17trampoline_kernelINS0_14default_configENS1_38merge_sort_block_merge_config_selectorIlNS0_10empty_typeEEEZZNS1_27merge_sort_block_merge_implIS3_PlPS5_mZN2at6native12_GLOBAL__N_124unique_dim_cuda_templateIN3c108BFloat16EEESt5tupleIJNSA_6TensorESH_SH_EERKSH_lbbbEUlllE_EE10hipError_tT0_T1_T2_jT3_P12ihipStream_tbPNSt15iterator_traitsISN_E10value_typeEPNST_ISO_E10value_typeEPSP_NS1_7vsmem_tEENKUlT_SN_SO_SP_E_clIS8_S8_S9_S9_EESM_S12_SN_SO_SP_EUlS12_E1_NS1_11comp_targetILNS1_3genE8ELNS1_11target_archE1030ELNS1_3gpuE2ELNS1_3repE0EEENS1_36merge_oddeven_config_static_selectorELNS0_4arch9wavefront6targetE0EEEvSO_
    .private_segment_fixed_size: 0
    .sgpr_count:     0
    .sgpr_spill_count: 0
    .symbol:         _ZN7rocprim17ROCPRIM_400000_NS6detail17trampoline_kernelINS0_14default_configENS1_38merge_sort_block_merge_config_selectorIlNS0_10empty_typeEEEZZNS1_27merge_sort_block_merge_implIS3_PlPS5_mZN2at6native12_GLOBAL__N_124unique_dim_cuda_templateIN3c108BFloat16EEESt5tupleIJNSA_6TensorESH_SH_EERKSH_lbbbEUlllE_EE10hipError_tT0_T1_T2_jT3_P12ihipStream_tbPNSt15iterator_traitsISN_E10value_typeEPNST_ISO_E10value_typeEPSP_NS1_7vsmem_tEENKUlT_SN_SO_SP_E_clIS8_S8_S9_S9_EESM_S12_SN_SO_SP_EUlS12_E1_NS1_11comp_targetILNS1_3genE8ELNS1_11target_archE1030ELNS1_3gpuE2ELNS1_3repE0EEENS1_36merge_oddeven_config_static_selectorELNS0_4arch9wavefront6targetE0EEEvSO_.kd
    .uniform_work_group_size: 1
    .uses_dynamic_stack: false
    .vgpr_count:     0
    .vgpr_spill_count: 0
    .wavefront_size: 32
  - .args:
      - .offset:         0
        .size:           64
        .value_kind:     by_value
    .group_segment_fixed_size: 2048
    .kernarg_segment_align: 8
    .kernarg_segment_size: 64
    .language:       OpenCL C
    .language_version:
      - 2
      - 0
    .max_flat_workgroup_size: 128
    .name:           _ZN7rocprim17ROCPRIM_400000_NS6detail17trampoline_kernelINS0_14default_configENS1_35adjacent_difference_config_selectorILb0ElEEZNS1_24adjacent_difference_implIS3_Lb0ELb0EPlS7_ZN2at6native12_GLOBAL__N_124unique_dim_cuda_templateIN3c108BFloat16EEESt5tupleIJNS8_6TensorESF_SF_EERKSF_lbbbEUlllE1_EE10hipError_tPvRmT2_T3_mT4_P12ihipStream_tbEUlT_E_NS1_11comp_targetILNS1_3genE0ELNS1_11target_archE4294967295ELNS1_3gpuE0ELNS1_3repE0EEENS1_30default_config_static_selectorELNS0_4arch9wavefront6targetE0EEEvT1_
    .private_segment_fixed_size: 0
    .sgpr_count:     26
    .sgpr_spill_count: 0
    .symbol:         _ZN7rocprim17ROCPRIM_400000_NS6detail17trampoline_kernelINS0_14default_configENS1_35adjacent_difference_config_selectorILb0ElEEZNS1_24adjacent_difference_implIS3_Lb0ELb0EPlS7_ZN2at6native12_GLOBAL__N_124unique_dim_cuda_templateIN3c108BFloat16EEESt5tupleIJNS8_6TensorESF_SF_EERKSF_lbbbEUlllE1_EE10hipError_tPvRmT2_T3_mT4_P12ihipStream_tbEUlT_E_NS1_11comp_targetILNS1_3genE0ELNS1_11target_archE4294967295ELNS1_3gpuE0ELNS1_3repE0EEENS1_30default_config_static_selectorELNS0_4arch9wavefront6targetE0EEEvT1_.kd
    .uniform_work_group_size: 1
    .uses_dynamic_stack: false
    .vgpr_count:     11
    .vgpr_spill_count: 0
    .wavefront_size: 32
  - .args:
      - .offset:         0
        .size:           64
        .value_kind:     by_value
    .group_segment_fixed_size: 0
    .kernarg_segment_align: 8
    .kernarg_segment_size: 64
    .language:       OpenCL C
    .language_version:
      - 2
      - 0
    .max_flat_workgroup_size: 128
    .name:           _ZN7rocprim17ROCPRIM_400000_NS6detail17trampoline_kernelINS0_14default_configENS1_35adjacent_difference_config_selectorILb0ElEEZNS1_24adjacent_difference_implIS3_Lb0ELb0EPlS7_ZN2at6native12_GLOBAL__N_124unique_dim_cuda_templateIN3c108BFloat16EEESt5tupleIJNS8_6TensorESF_SF_EERKSF_lbbbEUlllE1_EE10hipError_tPvRmT2_T3_mT4_P12ihipStream_tbEUlT_E_NS1_11comp_targetILNS1_3genE10ELNS1_11target_archE1201ELNS1_3gpuE5ELNS1_3repE0EEENS1_30default_config_static_selectorELNS0_4arch9wavefront6targetE0EEEvT1_
    .private_segment_fixed_size: 0
    .sgpr_count:     0
    .sgpr_spill_count: 0
    .symbol:         _ZN7rocprim17ROCPRIM_400000_NS6detail17trampoline_kernelINS0_14default_configENS1_35adjacent_difference_config_selectorILb0ElEEZNS1_24adjacent_difference_implIS3_Lb0ELb0EPlS7_ZN2at6native12_GLOBAL__N_124unique_dim_cuda_templateIN3c108BFloat16EEESt5tupleIJNS8_6TensorESF_SF_EERKSF_lbbbEUlllE1_EE10hipError_tPvRmT2_T3_mT4_P12ihipStream_tbEUlT_E_NS1_11comp_targetILNS1_3genE10ELNS1_11target_archE1201ELNS1_3gpuE5ELNS1_3repE0EEENS1_30default_config_static_selectorELNS0_4arch9wavefront6targetE0EEEvT1_.kd
    .uniform_work_group_size: 1
    .uses_dynamic_stack: false
    .vgpr_count:     0
    .vgpr_spill_count: 0
    .wavefront_size: 32
  - .args:
      - .offset:         0
        .size:           64
        .value_kind:     by_value
    .group_segment_fixed_size: 0
    .kernarg_segment_align: 8
    .kernarg_segment_size: 64
    .language:       OpenCL C
    .language_version:
      - 2
      - 0
    .max_flat_workgroup_size: 64
    .name:           _ZN7rocprim17ROCPRIM_400000_NS6detail17trampoline_kernelINS0_14default_configENS1_35adjacent_difference_config_selectorILb0ElEEZNS1_24adjacent_difference_implIS3_Lb0ELb0EPlS7_ZN2at6native12_GLOBAL__N_124unique_dim_cuda_templateIN3c108BFloat16EEESt5tupleIJNS8_6TensorESF_SF_EERKSF_lbbbEUlllE1_EE10hipError_tPvRmT2_T3_mT4_P12ihipStream_tbEUlT_E_NS1_11comp_targetILNS1_3genE5ELNS1_11target_archE942ELNS1_3gpuE9ELNS1_3repE0EEENS1_30default_config_static_selectorELNS0_4arch9wavefront6targetE0EEEvT1_
    .private_segment_fixed_size: 0
    .sgpr_count:     0
    .sgpr_spill_count: 0
    .symbol:         _ZN7rocprim17ROCPRIM_400000_NS6detail17trampoline_kernelINS0_14default_configENS1_35adjacent_difference_config_selectorILb0ElEEZNS1_24adjacent_difference_implIS3_Lb0ELb0EPlS7_ZN2at6native12_GLOBAL__N_124unique_dim_cuda_templateIN3c108BFloat16EEESt5tupleIJNS8_6TensorESF_SF_EERKSF_lbbbEUlllE1_EE10hipError_tPvRmT2_T3_mT4_P12ihipStream_tbEUlT_E_NS1_11comp_targetILNS1_3genE5ELNS1_11target_archE942ELNS1_3gpuE9ELNS1_3repE0EEENS1_30default_config_static_selectorELNS0_4arch9wavefront6targetE0EEEvT1_.kd
    .uniform_work_group_size: 1
    .uses_dynamic_stack: false
    .vgpr_count:     0
    .vgpr_spill_count: 0
    .wavefront_size: 32
  - .args:
      - .offset:         0
        .size:           64
        .value_kind:     by_value
    .group_segment_fixed_size: 0
    .kernarg_segment_align: 8
    .kernarg_segment_size: 64
    .language:       OpenCL C
    .language_version:
      - 2
      - 0
    .max_flat_workgroup_size: 256
    .name:           _ZN7rocprim17ROCPRIM_400000_NS6detail17trampoline_kernelINS0_14default_configENS1_35adjacent_difference_config_selectorILb0ElEEZNS1_24adjacent_difference_implIS3_Lb0ELb0EPlS7_ZN2at6native12_GLOBAL__N_124unique_dim_cuda_templateIN3c108BFloat16EEESt5tupleIJNS8_6TensorESF_SF_EERKSF_lbbbEUlllE1_EE10hipError_tPvRmT2_T3_mT4_P12ihipStream_tbEUlT_E_NS1_11comp_targetILNS1_3genE4ELNS1_11target_archE910ELNS1_3gpuE8ELNS1_3repE0EEENS1_30default_config_static_selectorELNS0_4arch9wavefront6targetE0EEEvT1_
    .private_segment_fixed_size: 0
    .sgpr_count:     0
    .sgpr_spill_count: 0
    .symbol:         _ZN7rocprim17ROCPRIM_400000_NS6detail17trampoline_kernelINS0_14default_configENS1_35adjacent_difference_config_selectorILb0ElEEZNS1_24adjacent_difference_implIS3_Lb0ELb0EPlS7_ZN2at6native12_GLOBAL__N_124unique_dim_cuda_templateIN3c108BFloat16EEESt5tupleIJNS8_6TensorESF_SF_EERKSF_lbbbEUlllE1_EE10hipError_tPvRmT2_T3_mT4_P12ihipStream_tbEUlT_E_NS1_11comp_targetILNS1_3genE4ELNS1_11target_archE910ELNS1_3gpuE8ELNS1_3repE0EEENS1_30default_config_static_selectorELNS0_4arch9wavefront6targetE0EEEvT1_.kd
    .uniform_work_group_size: 1
    .uses_dynamic_stack: false
    .vgpr_count:     0
    .vgpr_spill_count: 0
    .wavefront_size: 32
  - .args:
      - .offset:         0
        .size:           64
        .value_kind:     by_value
    .group_segment_fixed_size: 0
    .kernarg_segment_align: 8
    .kernarg_segment_size: 64
    .language:       OpenCL C
    .language_version:
      - 2
      - 0
    .max_flat_workgroup_size: 128
    .name:           _ZN7rocprim17ROCPRIM_400000_NS6detail17trampoline_kernelINS0_14default_configENS1_35adjacent_difference_config_selectorILb0ElEEZNS1_24adjacent_difference_implIS3_Lb0ELb0EPlS7_ZN2at6native12_GLOBAL__N_124unique_dim_cuda_templateIN3c108BFloat16EEESt5tupleIJNS8_6TensorESF_SF_EERKSF_lbbbEUlllE1_EE10hipError_tPvRmT2_T3_mT4_P12ihipStream_tbEUlT_E_NS1_11comp_targetILNS1_3genE3ELNS1_11target_archE908ELNS1_3gpuE7ELNS1_3repE0EEENS1_30default_config_static_selectorELNS0_4arch9wavefront6targetE0EEEvT1_
    .private_segment_fixed_size: 0
    .sgpr_count:     0
    .sgpr_spill_count: 0
    .symbol:         _ZN7rocprim17ROCPRIM_400000_NS6detail17trampoline_kernelINS0_14default_configENS1_35adjacent_difference_config_selectorILb0ElEEZNS1_24adjacent_difference_implIS3_Lb0ELb0EPlS7_ZN2at6native12_GLOBAL__N_124unique_dim_cuda_templateIN3c108BFloat16EEESt5tupleIJNS8_6TensorESF_SF_EERKSF_lbbbEUlllE1_EE10hipError_tPvRmT2_T3_mT4_P12ihipStream_tbEUlT_E_NS1_11comp_targetILNS1_3genE3ELNS1_11target_archE908ELNS1_3gpuE7ELNS1_3repE0EEENS1_30default_config_static_selectorELNS0_4arch9wavefront6targetE0EEEvT1_.kd
    .uniform_work_group_size: 1
    .uses_dynamic_stack: false
    .vgpr_count:     0
    .vgpr_spill_count: 0
    .wavefront_size: 32
  - .args:
      - .offset:         0
        .size:           64
        .value_kind:     by_value
    .group_segment_fixed_size: 0
    .kernarg_segment_align: 8
    .kernarg_segment_size: 64
    .language:       OpenCL C
    .language_version:
      - 2
      - 0
    .max_flat_workgroup_size: 128
    .name:           _ZN7rocprim17ROCPRIM_400000_NS6detail17trampoline_kernelINS0_14default_configENS1_35adjacent_difference_config_selectorILb0ElEEZNS1_24adjacent_difference_implIS3_Lb0ELb0EPlS7_ZN2at6native12_GLOBAL__N_124unique_dim_cuda_templateIN3c108BFloat16EEESt5tupleIJNS8_6TensorESF_SF_EERKSF_lbbbEUlllE1_EE10hipError_tPvRmT2_T3_mT4_P12ihipStream_tbEUlT_E_NS1_11comp_targetILNS1_3genE2ELNS1_11target_archE906ELNS1_3gpuE6ELNS1_3repE0EEENS1_30default_config_static_selectorELNS0_4arch9wavefront6targetE0EEEvT1_
    .private_segment_fixed_size: 0
    .sgpr_count:     0
    .sgpr_spill_count: 0
    .symbol:         _ZN7rocprim17ROCPRIM_400000_NS6detail17trampoline_kernelINS0_14default_configENS1_35adjacent_difference_config_selectorILb0ElEEZNS1_24adjacent_difference_implIS3_Lb0ELb0EPlS7_ZN2at6native12_GLOBAL__N_124unique_dim_cuda_templateIN3c108BFloat16EEESt5tupleIJNS8_6TensorESF_SF_EERKSF_lbbbEUlllE1_EE10hipError_tPvRmT2_T3_mT4_P12ihipStream_tbEUlT_E_NS1_11comp_targetILNS1_3genE2ELNS1_11target_archE906ELNS1_3gpuE6ELNS1_3repE0EEENS1_30default_config_static_selectorELNS0_4arch9wavefront6targetE0EEEvT1_.kd
    .uniform_work_group_size: 1
    .uses_dynamic_stack: false
    .vgpr_count:     0
    .vgpr_spill_count: 0
    .wavefront_size: 32
  - .args:
      - .offset:         0
        .size:           64
        .value_kind:     by_value
    .group_segment_fixed_size: 0
    .kernarg_segment_align: 8
    .kernarg_segment_size: 64
    .language:       OpenCL C
    .language_version:
      - 2
      - 0
    .max_flat_workgroup_size: 512
    .name:           _ZN7rocprim17ROCPRIM_400000_NS6detail17trampoline_kernelINS0_14default_configENS1_35adjacent_difference_config_selectorILb0ElEEZNS1_24adjacent_difference_implIS3_Lb0ELb0EPlS7_ZN2at6native12_GLOBAL__N_124unique_dim_cuda_templateIN3c108BFloat16EEESt5tupleIJNS8_6TensorESF_SF_EERKSF_lbbbEUlllE1_EE10hipError_tPvRmT2_T3_mT4_P12ihipStream_tbEUlT_E_NS1_11comp_targetILNS1_3genE9ELNS1_11target_archE1100ELNS1_3gpuE3ELNS1_3repE0EEENS1_30default_config_static_selectorELNS0_4arch9wavefront6targetE0EEEvT1_
    .private_segment_fixed_size: 0
    .sgpr_count:     0
    .sgpr_spill_count: 0
    .symbol:         _ZN7rocprim17ROCPRIM_400000_NS6detail17trampoline_kernelINS0_14default_configENS1_35adjacent_difference_config_selectorILb0ElEEZNS1_24adjacent_difference_implIS3_Lb0ELb0EPlS7_ZN2at6native12_GLOBAL__N_124unique_dim_cuda_templateIN3c108BFloat16EEESt5tupleIJNS8_6TensorESF_SF_EERKSF_lbbbEUlllE1_EE10hipError_tPvRmT2_T3_mT4_P12ihipStream_tbEUlT_E_NS1_11comp_targetILNS1_3genE9ELNS1_11target_archE1100ELNS1_3gpuE3ELNS1_3repE0EEENS1_30default_config_static_selectorELNS0_4arch9wavefront6targetE0EEEvT1_.kd
    .uniform_work_group_size: 1
    .uses_dynamic_stack: false
    .vgpr_count:     0
    .vgpr_spill_count: 0
    .wavefront_size: 32
  - .args:
      - .offset:         0
        .size:           64
        .value_kind:     by_value
    .group_segment_fixed_size: 0
    .kernarg_segment_align: 8
    .kernarg_segment_size: 64
    .language:       OpenCL C
    .language_version:
      - 2
      - 0
    .max_flat_workgroup_size: 1024
    .name:           _ZN7rocprim17ROCPRIM_400000_NS6detail17trampoline_kernelINS0_14default_configENS1_35adjacent_difference_config_selectorILb0ElEEZNS1_24adjacent_difference_implIS3_Lb0ELb0EPlS7_ZN2at6native12_GLOBAL__N_124unique_dim_cuda_templateIN3c108BFloat16EEESt5tupleIJNS8_6TensorESF_SF_EERKSF_lbbbEUlllE1_EE10hipError_tPvRmT2_T3_mT4_P12ihipStream_tbEUlT_E_NS1_11comp_targetILNS1_3genE8ELNS1_11target_archE1030ELNS1_3gpuE2ELNS1_3repE0EEENS1_30default_config_static_selectorELNS0_4arch9wavefront6targetE0EEEvT1_
    .private_segment_fixed_size: 0
    .sgpr_count:     0
    .sgpr_spill_count: 0
    .symbol:         _ZN7rocprim17ROCPRIM_400000_NS6detail17trampoline_kernelINS0_14default_configENS1_35adjacent_difference_config_selectorILb0ElEEZNS1_24adjacent_difference_implIS3_Lb0ELb0EPlS7_ZN2at6native12_GLOBAL__N_124unique_dim_cuda_templateIN3c108BFloat16EEESt5tupleIJNS8_6TensorESF_SF_EERKSF_lbbbEUlllE1_EE10hipError_tPvRmT2_T3_mT4_P12ihipStream_tbEUlT_E_NS1_11comp_targetILNS1_3genE8ELNS1_11target_archE1030ELNS1_3gpuE2ELNS1_3repE0EEENS1_30default_config_static_selectorELNS0_4arch9wavefront6targetE0EEEvT1_.kd
    .uniform_work_group_size: 1
    .uses_dynamic_stack: false
    .vgpr_count:     0
    .vgpr_spill_count: 0
    .wavefront_size: 32
  - .args:
      - .offset:         0
        .size:           56
        .value_kind:     by_value
      - .offset:         56
        .size:           4
        .value_kind:     hidden_block_count_x
      - .offset:         60
        .size:           4
        .value_kind:     hidden_block_count_y
      - .offset:         64
        .size:           4
        .value_kind:     hidden_block_count_z
      - .offset:         68
        .size:           2
        .value_kind:     hidden_group_size_x
      - .offset:         70
        .size:           2
        .value_kind:     hidden_group_size_y
      - .offset:         72
        .size:           2
        .value_kind:     hidden_group_size_z
      - .offset:         74
        .size:           2
        .value_kind:     hidden_remainder_x
      - .offset:         76
        .size:           2
        .value_kind:     hidden_remainder_y
      - .offset:         78
        .size:           2
        .value_kind:     hidden_remainder_z
      - .offset:         96
        .size:           8
        .value_kind:     hidden_global_offset_x
      - .offset:         104
        .size:           8
        .value_kind:     hidden_global_offset_y
      - .offset:         112
        .size:           8
        .value_kind:     hidden_global_offset_z
      - .offset:         120
        .size:           2
        .value_kind:     hidden_grid_dims
    .group_segment_fixed_size: 0
    .kernarg_segment_align: 8
    .kernarg_segment_size: 312
    .language:       OpenCL C
    .language_version:
      - 2
      - 0
    .max_flat_workgroup_size: 128
    .name:           _ZN7rocprim17ROCPRIM_400000_NS6detail17trampoline_kernelINS0_14default_configENS1_25transform_config_selectorIlLb0EEEZNS1_14transform_implILb0ES3_S5_NS0_18transform_iteratorINS0_17counting_iteratorImlEEZNS1_24adjacent_difference_implIS3_Lb1ELb0EPlSB_ZN2at6native12_GLOBAL__N_124unique_dim_cuda_templateIN3c108BFloat16EEESt5tupleIJNSC_6TensorESJ_SJ_EERKSJ_lbbbEUlllE1_EE10hipError_tPvRmT2_T3_mT4_P12ihipStream_tbEUlmE_lEESB_NS0_8identityIvEEEESO_SR_SS_mST_SV_bEUlT_E_NS1_11comp_targetILNS1_3genE0ELNS1_11target_archE4294967295ELNS1_3gpuE0ELNS1_3repE0EEENS1_30default_config_static_selectorELNS0_4arch9wavefront6targetE0EEEvT1_
    .private_segment_fixed_size: 0
    .sgpr_count:     16
    .sgpr_spill_count: 0
    .symbol:         _ZN7rocprim17ROCPRIM_400000_NS6detail17trampoline_kernelINS0_14default_configENS1_25transform_config_selectorIlLb0EEEZNS1_14transform_implILb0ES3_S5_NS0_18transform_iteratorINS0_17counting_iteratorImlEEZNS1_24adjacent_difference_implIS3_Lb1ELb0EPlSB_ZN2at6native12_GLOBAL__N_124unique_dim_cuda_templateIN3c108BFloat16EEESt5tupleIJNSC_6TensorESJ_SJ_EERKSJ_lbbbEUlllE1_EE10hipError_tPvRmT2_T3_mT4_P12ihipStream_tbEUlmE_lEESB_NS0_8identityIvEEEESO_SR_SS_mST_SV_bEUlT_E_NS1_11comp_targetILNS1_3genE0ELNS1_11target_archE4294967295ELNS1_3gpuE0ELNS1_3repE0EEENS1_30default_config_static_selectorELNS0_4arch9wavefront6targetE0EEEvT1_.kd
    .uniform_work_group_size: 1
    .uses_dynamic_stack: false
    .vgpr_count:     4
    .vgpr_spill_count: 0
    .wavefront_size: 32
  - .args:
      - .offset:         0
        .size:           56
        .value_kind:     by_value
    .group_segment_fixed_size: 0
    .kernarg_segment_align: 8
    .kernarg_segment_size: 56
    .language:       OpenCL C
    .language_version:
      - 2
      - 0
    .max_flat_workgroup_size: 512
    .name:           _ZN7rocprim17ROCPRIM_400000_NS6detail17trampoline_kernelINS0_14default_configENS1_25transform_config_selectorIlLb0EEEZNS1_14transform_implILb0ES3_S5_NS0_18transform_iteratorINS0_17counting_iteratorImlEEZNS1_24adjacent_difference_implIS3_Lb1ELb0EPlSB_ZN2at6native12_GLOBAL__N_124unique_dim_cuda_templateIN3c108BFloat16EEESt5tupleIJNSC_6TensorESJ_SJ_EERKSJ_lbbbEUlllE1_EE10hipError_tPvRmT2_T3_mT4_P12ihipStream_tbEUlmE_lEESB_NS0_8identityIvEEEESO_SR_SS_mST_SV_bEUlT_E_NS1_11comp_targetILNS1_3genE5ELNS1_11target_archE942ELNS1_3gpuE9ELNS1_3repE0EEENS1_30default_config_static_selectorELNS0_4arch9wavefront6targetE0EEEvT1_
    .private_segment_fixed_size: 0
    .sgpr_count:     0
    .sgpr_spill_count: 0
    .symbol:         _ZN7rocprim17ROCPRIM_400000_NS6detail17trampoline_kernelINS0_14default_configENS1_25transform_config_selectorIlLb0EEEZNS1_14transform_implILb0ES3_S5_NS0_18transform_iteratorINS0_17counting_iteratorImlEEZNS1_24adjacent_difference_implIS3_Lb1ELb0EPlSB_ZN2at6native12_GLOBAL__N_124unique_dim_cuda_templateIN3c108BFloat16EEESt5tupleIJNSC_6TensorESJ_SJ_EERKSJ_lbbbEUlllE1_EE10hipError_tPvRmT2_T3_mT4_P12ihipStream_tbEUlmE_lEESB_NS0_8identityIvEEEESO_SR_SS_mST_SV_bEUlT_E_NS1_11comp_targetILNS1_3genE5ELNS1_11target_archE942ELNS1_3gpuE9ELNS1_3repE0EEENS1_30default_config_static_selectorELNS0_4arch9wavefront6targetE0EEEvT1_.kd
    .uniform_work_group_size: 1
    .uses_dynamic_stack: false
    .vgpr_count:     0
    .vgpr_spill_count: 0
    .wavefront_size: 32
  - .args:
      - .offset:         0
        .size:           56
        .value_kind:     by_value
    .group_segment_fixed_size: 0
    .kernarg_segment_align: 8
    .kernarg_segment_size: 56
    .language:       OpenCL C
    .language_version:
      - 2
      - 0
    .max_flat_workgroup_size: 256
    .name:           _ZN7rocprim17ROCPRIM_400000_NS6detail17trampoline_kernelINS0_14default_configENS1_25transform_config_selectorIlLb0EEEZNS1_14transform_implILb0ES3_S5_NS0_18transform_iteratorINS0_17counting_iteratorImlEEZNS1_24adjacent_difference_implIS3_Lb1ELb0EPlSB_ZN2at6native12_GLOBAL__N_124unique_dim_cuda_templateIN3c108BFloat16EEESt5tupleIJNSC_6TensorESJ_SJ_EERKSJ_lbbbEUlllE1_EE10hipError_tPvRmT2_T3_mT4_P12ihipStream_tbEUlmE_lEESB_NS0_8identityIvEEEESO_SR_SS_mST_SV_bEUlT_E_NS1_11comp_targetILNS1_3genE4ELNS1_11target_archE910ELNS1_3gpuE8ELNS1_3repE0EEENS1_30default_config_static_selectorELNS0_4arch9wavefront6targetE0EEEvT1_
    .private_segment_fixed_size: 0
    .sgpr_count:     0
    .sgpr_spill_count: 0
    .symbol:         _ZN7rocprim17ROCPRIM_400000_NS6detail17trampoline_kernelINS0_14default_configENS1_25transform_config_selectorIlLb0EEEZNS1_14transform_implILb0ES3_S5_NS0_18transform_iteratorINS0_17counting_iteratorImlEEZNS1_24adjacent_difference_implIS3_Lb1ELb0EPlSB_ZN2at6native12_GLOBAL__N_124unique_dim_cuda_templateIN3c108BFloat16EEESt5tupleIJNSC_6TensorESJ_SJ_EERKSJ_lbbbEUlllE1_EE10hipError_tPvRmT2_T3_mT4_P12ihipStream_tbEUlmE_lEESB_NS0_8identityIvEEEESO_SR_SS_mST_SV_bEUlT_E_NS1_11comp_targetILNS1_3genE4ELNS1_11target_archE910ELNS1_3gpuE8ELNS1_3repE0EEENS1_30default_config_static_selectorELNS0_4arch9wavefront6targetE0EEEvT1_.kd
    .uniform_work_group_size: 1
    .uses_dynamic_stack: false
    .vgpr_count:     0
    .vgpr_spill_count: 0
    .wavefront_size: 32
  - .args:
      - .offset:         0
        .size:           56
        .value_kind:     by_value
    .group_segment_fixed_size: 0
    .kernarg_segment_align: 8
    .kernarg_segment_size: 56
    .language:       OpenCL C
    .language_version:
      - 2
      - 0
    .max_flat_workgroup_size: 128
    .name:           _ZN7rocprim17ROCPRIM_400000_NS6detail17trampoline_kernelINS0_14default_configENS1_25transform_config_selectorIlLb0EEEZNS1_14transform_implILb0ES3_S5_NS0_18transform_iteratorINS0_17counting_iteratorImlEEZNS1_24adjacent_difference_implIS3_Lb1ELb0EPlSB_ZN2at6native12_GLOBAL__N_124unique_dim_cuda_templateIN3c108BFloat16EEESt5tupleIJNSC_6TensorESJ_SJ_EERKSJ_lbbbEUlllE1_EE10hipError_tPvRmT2_T3_mT4_P12ihipStream_tbEUlmE_lEESB_NS0_8identityIvEEEESO_SR_SS_mST_SV_bEUlT_E_NS1_11comp_targetILNS1_3genE3ELNS1_11target_archE908ELNS1_3gpuE7ELNS1_3repE0EEENS1_30default_config_static_selectorELNS0_4arch9wavefront6targetE0EEEvT1_
    .private_segment_fixed_size: 0
    .sgpr_count:     0
    .sgpr_spill_count: 0
    .symbol:         _ZN7rocprim17ROCPRIM_400000_NS6detail17trampoline_kernelINS0_14default_configENS1_25transform_config_selectorIlLb0EEEZNS1_14transform_implILb0ES3_S5_NS0_18transform_iteratorINS0_17counting_iteratorImlEEZNS1_24adjacent_difference_implIS3_Lb1ELb0EPlSB_ZN2at6native12_GLOBAL__N_124unique_dim_cuda_templateIN3c108BFloat16EEESt5tupleIJNSC_6TensorESJ_SJ_EERKSJ_lbbbEUlllE1_EE10hipError_tPvRmT2_T3_mT4_P12ihipStream_tbEUlmE_lEESB_NS0_8identityIvEEEESO_SR_SS_mST_SV_bEUlT_E_NS1_11comp_targetILNS1_3genE3ELNS1_11target_archE908ELNS1_3gpuE7ELNS1_3repE0EEENS1_30default_config_static_selectorELNS0_4arch9wavefront6targetE0EEEvT1_.kd
    .uniform_work_group_size: 1
    .uses_dynamic_stack: false
    .vgpr_count:     0
    .vgpr_spill_count: 0
    .wavefront_size: 32
  - .args:
      - .offset:         0
        .size:           56
        .value_kind:     by_value
    .group_segment_fixed_size: 0
    .kernarg_segment_align: 8
    .kernarg_segment_size: 56
    .language:       OpenCL C
    .language_version:
      - 2
      - 0
    .max_flat_workgroup_size: 512
    .name:           _ZN7rocprim17ROCPRIM_400000_NS6detail17trampoline_kernelINS0_14default_configENS1_25transform_config_selectorIlLb0EEEZNS1_14transform_implILb0ES3_S5_NS0_18transform_iteratorINS0_17counting_iteratorImlEEZNS1_24adjacent_difference_implIS3_Lb1ELb0EPlSB_ZN2at6native12_GLOBAL__N_124unique_dim_cuda_templateIN3c108BFloat16EEESt5tupleIJNSC_6TensorESJ_SJ_EERKSJ_lbbbEUlllE1_EE10hipError_tPvRmT2_T3_mT4_P12ihipStream_tbEUlmE_lEESB_NS0_8identityIvEEEESO_SR_SS_mST_SV_bEUlT_E_NS1_11comp_targetILNS1_3genE2ELNS1_11target_archE906ELNS1_3gpuE6ELNS1_3repE0EEENS1_30default_config_static_selectorELNS0_4arch9wavefront6targetE0EEEvT1_
    .private_segment_fixed_size: 0
    .sgpr_count:     0
    .sgpr_spill_count: 0
    .symbol:         _ZN7rocprim17ROCPRIM_400000_NS6detail17trampoline_kernelINS0_14default_configENS1_25transform_config_selectorIlLb0EEEZNS1_14transform_implILb0ES3_S5_NS0_18transform_iteratorINS0_17counting_iteratorImlEEZNS1_24adjacent_difference_implIS3_Lb1ELb0EPlSB_ZN2at6native12_GLOBAL__N_124unique_dim_cuda_templateIN3c108BFloat16EEESt5tupleIJNSC_6TensorESJ_SJ_EERKSJ_lbbbEUlllE1_EE10hipError_tPvRmT2_T3_mT4_P12ihipStream_tbEUlmE_lEESB_NS0_8identityIvEEEESO_SR_SS_mST_SV_bEUlT_E_NS1_11comp_targetILNS1_3genE2ELNS1_11target_archE906ELNS1_3gpuE6ELNS1_3repE0EEENS1_30default_config_static_selectorELNS0_4arch9wavefront6targetE0EEEvT1_.kd
    .uniform_work_group_size: 1
    .uses_dynamic_stack: false
    .vgpr_count:     0
    .vgpr_spill_count: 0
    .wavefront_size: 32
  - .args:
      - .offset:         0
        .size:           56
        .value_kind:     by_value
    .group_segment_fixed_size: 0
    .kernarg_segment_align: 8
    .kernarg_segment_size: 56
    .language:       OpenCL C
    .language_version:
      - 2
      - 0
    .max_flat_workgroup_size: 1024
    .name:           _ZN7rocprim17ROCPRIM_400000_NS6detail17trampoline_kernelINS0_14default_configENS1_25transform_config_selectorIlLb0EEEZNS1_14transform_implILb0ES3_S5_NS0_18transform_iteratorINS0_17counting_iteratorImlEEZNS1_24adjacent_difference_implIS3_Lb1ELb0EPlSB_ZN2at6native12_GLOBAL__N_124unique_dim_cuda_templateIN3c108BFloat16EEESt5tupleIJNSC_6TensorESJ_SJ_EERKSJ_lbbbEUlllE1_EE10hipError_tPvRmT2_T3_mT4_P12ihipStream_tbEUlmE_lEESB_NS0_8identityIvEEEESO_SR_SS_mST_SV_bEUlT_E_NS1_11comp_targetILNS1_3genE10ELNS1_11target_archE1201ELNS1_3gpuE5ELNS1_3repE0EEENS1_30default_config_static_selectorELNS0_4arch9wavefront6targetE0EEEvT1_
    .private_segment_fixed_size: 0
    .sgpr_count:     0
    .sgpr_spill_count: 0
    .symbol:         _ZN7rocprim17ROCPRIM_400000_NS6detail17trampoline_kernelINS0_14default_configENS1_25transform_config_selectorIlLb0EEEZNS1_14transform_implILb0ES3_S5_NS0_18transform_iteratorINS0_17counting_iteratorImlEEZNS1_24adjacent_difference_implIS3_Lb1ELb0EPlSB_ZN2at6native12_GLOBAL__N_124unique_dim_cuda_templateIN3c108BFloat16EEESt5tupleIJNSC_6TensorESJ_SJ_EERKSJ_lbbbEUlllE1_EE10hipError_tPvRmT2_T3_mT4_P12ihipStream_tbEUlmE_lEESB_NS0_8identityIvEEEESO_SR_SS_mST_SV_bEUlT_E_NS1_11comp_targetILNS1_3genE10ELNS1_11target_archE1201ELNS1_3gpuE5ELNS1_3repE0EEENS1_30default_config_static_selectorELNS0_4arch9wavefront6targetE0EEEvT1_.kd
    .uniform_work_group_size: 1
    .uses_dynamic_stack: false
    .vgpr_count:     0
    .vgpr_spill_count: 0
    .wavefront_size: 32
  - .args:
      - .offset:         0
        .size:           56
        .value_kind:     by_value
    .group_segment_fixed_size: 0
    .kernarg_segment_align: 8
    .kernarg_segment_size: 56
    .language:       OpenCL C
    .language_version:
      - 2
      - 0
    .max_flat_workgroup_size: 512
    .name:           _ZN7rocprim17ROCPRIM_400000_NS6detail17trampoline_kernelINS0_14default_configENS1_25transform_config_selectorIlLb0EEEZNS1_14transform_implILb0ES3_S5_NS0_18transform_iteratorINS0_17counting_iteratorImlEEZNS1_24adjacent_difference_implIS3_Lb1ELb0EPlSB_ZN2at6native12_GLOBAL__N_124unique_dim_cuda_templateIN3c108BFloat16EEESt5tupleIJNSC_6TensorESJ_SJ_EERKSJ_lbbbEUlllE1_EE10hipError_tPvRmT2_T3_mT4_P12ihipStream_tbEUlmE_lEESB_NS0_8identityIvEEEESO_SR_SS_mST_SV_bEUlT_E_NS1_11comp_targetILNS1_3genE10ELNS1_11target_archE1200ELNS1_3gpuE4ELNS1_3repE0EEENS1_30default_config_static_selectorELNS0_4arch9wavefront6targetE0EEEvT1_
    .private_segment_fixed_size: 0
    .sgpr_count:     0
    .sgpr_spill_count: 0
    .symbol:         _ZN7rocprim17ROCPRIM_400000_NS6detail17trampoline_kernelINS0_14default_configENS1_25transform_config_selectorIlLb0EEEZNS1_14transform_implILb0ES3_S5_NS0_18transform_iteratorINS0_17counting_iteratorImlEEZNS1_24adjacent_difference_implIS3_Lb1ELb0EPlSB_ZN2at6native12_GLOBAL__N_124unique_dim_cuda_templateIN3c108BFloat16EEESt5tupleIJNSC_6TensorESJ_SJ_EERKSJ_lbbbEUlllE1_EE10hipError_tPvRmT2_T3_mT4_P12ihipStream_tbEUlmE_lEESB_NS0_8identityIvEEEESO_SR_SS_mST_SV_bEUlT_E_NS1_11comp_targetILNS1_3genE10ELNS1_11target_archE1200ELNS1_3gpuE4ELNS1_3repE0EEENS1_30default_config_static_selectorELNS0_4arch9wavefront6targetE0EEEvT1_.kd
    .uniform_work_group_size: 1
    .uses_dynamic_stack: false
    .vgpr_count:     0
    .vgpr_spill_count: 0
    .wavefront_size: 32
  - .args:
      - .offset:         0
        .size:           56
        .value_kind:     by_value
    .group_segment_fixed_size: 0
    .kernarg_segment_align: 8
    .kernarg_segment_size: 56
    .language:       OpenCL C
    .language_version:
      - 2
      - 0
    .max_flat_workgroup_size: 512
    .name:           _ZN7rocprim17ROCPRIM_400000_NS6detail17trampoline_kernelINS0_14default_configENS1_25transform_config_selectorIlLb0EEEZNS1_14transform_implILb0ES3_S5_NS0_18transform_iteratorINS0_17counting_iteratorImlEEZNS1_24adjacent_difference_implIS3_Lb1ELb0EPlSB_ZN2at6native12_GLOBAL__N_124unique_dim_cuda_templateIN3c108BFloat16EEESt5tupleIJNSC_6TensorESJ_SJ_EERKSJ_lbbbEUlllE1_EE10hipError_tPvRmT2_T3_mT4_P12ihipStream_tbEUlmE_lEESB_NS0_8identityIvEEEESO_SR_SS_mST_SV_bEUlT_E_NS1_11comp_targetILNS1_3genE9ELNS1_11target_archE1100ELNS1_3gpuE3ELNS1_3repE0EEENS1_30default_config_static_selectorELNS0_4arch9wavefront6targetE0EEEvT1_
    .private_segment_fixed_size: 0
    .sgpr_count:     0
    .sgpr_spill_count: 0
    .symbol:         _ZN7rocprim17ROCPRIM_400000_NS6detail17trampoline_kernelINS0_14default_configENS1_25transform_config_selectorIlLb0EEEZNS1_14transform_implILb0ES3_S5_NS0_18transform_iteratorINS0_17counting_iteratorImlEEZNS1_24adjacent_difference_implIS3_Lb1ELb0EPlSB_ZN2at6native12_GLOBAL__N_124unique_dim_cuda_templateIN3c108BFloat16EEESt5tupleIJNSC_6TensorESJ_SJ_EERKSJ_lbbbEUlllE1_EE10hipError_tPvRmT2_T3_mT4_P12ihipStream_tbEUlmE_lEESB_NS0_8identityIvEEEESO_SR_SS_mST_SV_bEUlT_E_NS1_11comp_targetILNS1_3genE9ELNS1_11target_archE1100ELNS1_3gpuE3ELNS1_3repE0EEENS1_30default_config_static_selectorELNS0_4arch9wavefront6targetE0EEEvT1_.kd
    .uniform_work_group_size: 1
    .uses_dynamic_stack: false
    .vgpr_count:     0
    .vgpr_spill_count: 0
    .wavefront_size: 32
  - .args:
      - .offset:         0
        .size:           56
        .value_kind:     by_value
    .group_segment_fixed_size: 0
    .kernarg_segment_align: 8
    .kernarg_segment_size: 56
    .language:       OpenCL C
    .language_version:
      - 2
      - 0
    .max_flat_workgroup_size: 512
    .name:           _ZN7rocprim17ROCPRIM_400000_NS6detail17trampoline_kernelINS0_14default_configENS1_25transform_config_selectorIlLb0EEEZNS1_14transform_implILb0ES3_S5_NS0_18transform_iteratorINS0_17counting_iteratorImlEEZNS1_24adjacent_difference_implIS3_Lb1ELb0EPlSB_ZN2at6native12_GLOBAL__N_124unique_dim_cuda_templateIN3c108BFloat16EEESt5tupleIJNSC_6TensorESJ_SJ_EERKSJ_lbbbEUlllE1_EE10hipError_tPvRmT2_T3_mT4_P12ihipStream_tbEUlmE_lEESB_NS0_8identityIvEEEESO_SR_SS_mST_SV_bEUlT_E_NS1_11comp_targetILNS1_3genE8ELNS1_11target_archE1030ELNS1_3gpuE2ELNS1_3repE0EEENS1_30default_config_static_selectorELNS0_4arch9wavefront6targetE0EEEvT1_
    .private_segment_fixed_size: 0
    .sgpr_count:     0
    .sgpr_spill_count: 0
    .symbol:         _ZN7rocprim17ROCPRIM_400000_NS6detail17trampoline_kernelINS0_14default_configENS1_25transform_config_selectorIlLb0EEEZNS1_14transform_implILb0ES3_S5_NS0_18transform_iteratorINS0_17counting_iteratorImlEEZNS1_24adjacent_difference_implIS3_Lb1ELb0EPlSB_ZN2at6native12_GLOBAL__N_124unique_dim_cuda_templateIN3c108BFloat16EEESt5tupleIJNSC_6TensorESJ_SJ_EERKSJ_lbbbEUlllE1_EE10hipError_tPvRmT2_T3_mT4_P12ihipStream_tbEUlmE_lEESB_NS0_8identityIvEEEESO_SR_SS_mST_SV_bEUlT_E_NS1_11comp_targetILNS1_3genE8ELNS1_11target_archE1030ELNS1_3gpuE2ELNS1_3repE0EEENS1_30default_config_static_selectorELNS0_4arch9wavefront6targetE0EEEvT1_.kd
    .uniform_work_group_size: 1
    .uses_dynamic_stack: false
    .vgpr_count:     0
    .vgpr_spill_count: 0
    .wavefront_size: 32
  - .args:
      - .offset:         0
        .size:           64
        .value_kind:     by_value
    .group_segment_fixed_size: 8448
    .kernarg_segment_align: 8
    .kernarg_segment_size: 64
    .language:       OpenCL C
    .language_version:
      - 2
      - 0
    .max_flat_workgroup_size: 512
    .name:           _ZN7rocprim17ROCPRIM_400000_NS6detail17trampoline_kernelINS0_14default_configENS1_35adjacent_difference_config_selectorILb1ElEEZNS1_24adjacent_difference_implIS3_Lb1ELb0EPlS7_ZN2at6native12_GLOBAL__N_124unique_dim_cuda_templateIN3c108BFloat16EEESt5tupleIJNS8_6TensorESF_SF_EERKSF_lbbbEUlllE1_EE10hipError_tPvRmT2_T3_mT4_P12ihipStream_tbEUlT_E_NS1_11comp_targetILNS1_3genE0ELNS1_11target_archE4294967295ELNS1_3gpuE0ELNS1_3repE0EEENS1_30default_config_static_selectorELNS0_4arch9wavefront6targetE0EEEvT1_
    .private_segment_fixed_size: 0
    .sgpr_count:     31
    .sgpr_spill_count: 0
    .symbol:         _ZN7rocprim17ROCPRIM_400000_NS6detail17trampoline_kernelINS0_14default_configENS1_35adjacent_difference_config_selectorILb1ElEEZNS1_24adjacent_difference_implIS3_Lb1ELb0EPlS7_ZN2at6native12_GLOBAL__N_124unique_dim_cuda_templateIN3c108BFloat16EEESt5tupleIJNS8_6TensorESF_SF_EERKSF_lbbbEUlllE1_EE10hipError_tPvRmT2_T3_mT4_P12ihipStream_tbEUlT_E_NS1_11comp_targetILNS1_3genE0ELNS1_11target_archE4294967295ELNS1_3gpuE0ELNS1_3repE0EEENS1_30default_config_static_selectorELNS0_4arch9wavefront6targetE0EEEvT1_.kd
    .uniform_work_group_size: 1
    .uses_dynamic_stack: false
    .vgpr_count:     16
    .vgpr_spill_count: 0
    .wavefront_size: 32
  - .args:
      - .offset:         0
        .size:           64
        .value_kind:     by_value
    .group_segment_fixed_size: 0
    .kernarg_segment_align: 8
    .kernarg_segment_size: 64
    .language:       OpenCL C
    .language_version:
      - 2
      - 0
    .max_flat_workgroup_size: 32
    .name:           _ZN7rocprim17ROCPRIM_400000_NS6detail17trampoline_kernelINS0_14default_configENS1_35adjacent_difference_config_selectorILb1ElEEZNS1_24adjacent_difference_implIS3_Lb1ELb0EPlS7_ZN2at6native12_GLOBAL__N_124unique_dim_cuda_templateIN3c108BFloat16EEESt5tupleIJNS8_6TensorESF_SF_EERKSF_lbbbEUlllE1_EE10hipError_tPvRmT2_T3_mT4_P12ihipStream_tbEUlT_E_NS1_11comp_targetILNS1_3genE10ELNS1_11target_archE1201ELNS1_3gpuE5ELNS1_3repE0EEENS1_30default_config_static_selectorELNS0_4arch9wavefront6targetE0EEEvT1_
    .private_segment_fixed_size: 0
    .sgpr_count:     0
    .sgpr_spill_count: 0
    .symbol:         _ZN7rocprim17ROCPRIM_400000_NS6detail17trampoline_kernelINS0_14default_configENS1_35adjacent_difference_config_selectorILb1ElEEZNS1_24adjacent_difference_implIS3_Lb1ELb0EPlS7_ZN2at6native12_GLOBAL__N_124unique_dim_cuda_templateIN3c108BFloat16EEESt5tupleIJNS8_6TensorESF_SF_EERKSF_lbbbEUlllE1_EE10hipError_tPvRmT2_T3_mT4_P12ihipStream_tbEUlT_E_NS1_11comp_targetILNS1_3genE10ELNS1_11target_archE1201ELNS1_3gpuE5ELNS1_3repE0EEENS1_30default_config_static_selectorELNS0_4arch9wavefront6targetE0EEEvT1_.kd
    .uniform_work_group_size: 1
    .uses_dynamic_stack: false
    .vgpr_count:     0
    .vgpr_spill_count: 0
    .wavefront_size: 32
  - .args:
      - .offset:         0
        .size:           64
        .value_kind:     by_value
    .group_segment_fixed_size: 0
    .kernarg_segment_align: 8
    .kernarg_segment_size: 64
    .language:       OpenCL C
    .language_version:
      - 2
      - 0
    .max_flat_workgroup_size: 256
    .name:           _ZN7rocprim17ROCPRIM_400000_NS6detail17trampoline_kernelINS0_14default_configENS1_35adjacent_difference_config_selectorILb1ElEEZNS1_24adjacent_difference_implIS3_Lb1ELb0EPlS7_ZN2at6native12_GLOBAL__N_124unique_dim_cuda_templateIN3c108BFloat16EEESt5tupleIJNS8_6TensorESF_SF_EERKSF_lbbbEUlllE1_EE10hipError_tPvRmT2_T3_mT4_P12ihipStream_tbEUlT_E_NS1_11comp_targetILNS1_3genE5ELNS1_11target_archE942ELNS1_3gpuE9ELNS1_3repE0EEENS1_30default_config_static_selectorELNS0_4arch9wavefront6targetE0EEEvT1_
    .private_segment_fixed_size: 0
    .sgpr_count:     0
    .sgpr_spill_count: 0
    .symbol:         _ZN7rocprim17ROCPRIM_400000_NS6detail17trampoline_kernelINS0_14default_configENS1_35adjacent_difference_config_selectorILb1ElEEZNS1_24adjacent_difference_implIS3_Lb1ELb0EPlS7_ZN2at6native12_GLOBAL__N_124unique_dim_cuda_templateIN3c108BFloat16EEESt5tupleIJNS8_6TensorESF_SF_EERKSF_lbbbEUlllE1_EE10hipError_tPvRmT2_T3_mT4_P12ihipStream_tbEUlT_E_NS1_11comp_targetILNS1_3genE5ELNS1_11target_archE942ELNS1_3gpuE9ELNS1_3repE0EEENS1_30default_config_static_selectorELNS0_4arch9wavefront6targetE0EEEvT1_.kd
    .uniform_work_group_size: 1
    .uses_dynamic_stack: false
    .vgpr_count:     0
    .vgpr_spill_count: 0
    .wavefront_size: 32
  - .args:
      - .offset:         0
        .size:           64
        .value_kind:     by_value
    .group_segment_fixed_size: 0
    .kernarg_segment_align: 8
    .kernarg_segment_size: 64
    .language:       OpenCL C
    .language_version:
      - 2
      - 0
    .max_flat_workgroup_size: 512
    .name:           _ZN7rocprim17ROCPRIM_400000_NS6detail17trampoline_kernelINS0_14default_configENS1_35adjacent_difference_config_selectorILb1ElEEZNS1_24adjacent_difference_implIS3_Lb1ELb0EPlS7_ZN2at6native12_GLOBAL__N_124unique_dim_cuda_templateIN3c108BFloat16EEESt5tupleIJNS8_6TensorESF_SF_EERKSF_lbbbEUlllE1_EE10hipError_tPvRmT2_T3_mT4_P12ihipStream_tbEUlT_E_NS1_11comp_targetILNS1_3genE4ELNS1_11target_archE910ELNS1_3gpuE8ELNS1_3repE0EEENS1_30default_config_static_selectorELNS0_4arch9wavefront6targetE0EEEvT1_
    .private_segment_fixed_size: 0
    .sgpr_count:     0
    .sgpr_spill_count: 0
    .symbol:         _ZN7rocprim17ROCPRIM_400000_NS6detail17trampoline_kernelINS0_14default_configENS1_35adjacent_difference_config_selectorILb1ElEEZNS1_24adjacent_difference_implIS3_Lb1ELb0EPlS7_ZN2at6native12_GLOBAL__N_124unique_dim_cuda_templateIN3c108BFloat16EEESt5tupleIJNS8_6TensorESF_SF_EERKSF_lbbbEUlllE1_EE10hipError_tPvRmT2_T3_mT4_P12ihipStream_tbEUlT_E_NS1_11comp_targetILNS1_3genE4ELNS1_11target_archE910ELNS1_3gpuE8ELNS1_3repE0EEENS1_30default_config_static_selectorELNS0_4arch9wavefront6targetE0EEEvT1_.kd
    .uniform_work_group_size: 1
    .uses_dynamic_stack: false
    .vgpr_count:     0
    .vgpr_spill_count: 0
    .wavefront_size: 32
  - .args:
      - .offset:         0
        .size:           64
        .value_kind:     by_value
    .group_segment_fixed_size: 0
    .kernarg_segment_align: 8
    .kernarg_segment_size: 64
    .language:       OpenCL C
    .language_version:
      - 2
      - 0
    .max_flat_workgroup_size: 512
    .name:           _ZN7rocprim17ROCPRIM_400000_NS6detail17trampoline_kernelINS0_14default_configENS1_35adjacent_difference_config_selectorILb1ElEEZNS1_24adjacent_difference_implIS3_Lb1ELb0EPlS7_ZN2at6native12_GLOBAL__N_124unique_dim_cuda_templateIN3c108BFloat16EEESt5tupleIJNS8_6TensorESF_SF_EERKSF_lbbbEUlllE1_EE10hipError_tPvRmT2_T3_mT4_P12ihipStream_tbEUlT_E_NS1_11comp_targetILNS1_3genE3ELNS1_11target_archE908ELNS1_3gpuE7ELNS1_3repE0EEENS1_30default_config_static_selectorELNS0_4arch9wavefront6targetE0EEEvT1_
    .private_segment_fixed_size: 0
    .sgpr_count:     0
    .sgpr_spill_count: 0
    .symbol:         _ZN7rocprim17ROCPRIM_400000_NS6detail17trampoline_kernelINS0_14default_configENS1_35adjacent_difference_config_selectorILb1ElEEZNS1_24adjacent_difference_implIS3_Lb1ELb0EPlS7_ZN2at6native12_GLOBAL__N_124unique_dim_cuda_templateIN3c108BFloat16EEESt5tupleIJNS8_6TensorESF_SF_EERKSF_lbbbEUlllE1_EE10hipError_tPvRmT2_T3_mT4_P12ihipStream_tbEUlT_E_NS1_11comp_targetILNS1_3genE3ELNS1_11target_archE908ELNS1_3gpuE7ELNS1_3repE0EEENS1_30default_config_static_selectorELNS0_4arch9wavefront6targetE0EEEvT1_.kd
    .uniform_work_group_size: 1
    .uses_dynamic_stack: false
    .vgpr_count:     0
    .vgpr_spill_count: 0
    .wavefront_size: 32
  - .args:
      - .offset:         0
        .size:           64
        .value_kind:     by_value
    .group_segment_fixed_size: 0
    .kernarg_segment_align: 8
    .kernarg_segment_size: 64
    .language:       OpenCL C
    .language_version:
      - 2
      - 0
    .max_flat_workgroup_size: 128
    .name:           _ZN7rocprim17ROCPRIM_400000_NS6detail17trampoline_kernelINS0_14default_configENS1_35adjacent_difference_config_selectorILb1ElEEZNS1_24adjacent_difference_implIS3_Lb1ELb0EPlS7_ZN2at6native12_GLOBAL__N_124unique_dim_cuda_templateIN3c108BFloat16EEESt5tupleIJNS8_6TensorESF_SF_EERKSF_lbbbEUlllE1_EE10hipError_tPvRmT2_T3_mT4_P12ihipStream_tbEUlT_E_NS1_11comp_targetILNS1_3genE2ELNS1_11target_archE906ELNS1_3gpuE6ELNS1_3repE0EEENS1_30default_config_static_selectorELNS0_4arch9wavefront6targetE0EEEvT1_
    .private_segment_fixed_size: 0
    .sgpr_count:     0
    .sgpr_spill_count: 0
    .symbol:         _ZN7rocprim17ROCPRIM_400000_NS6detail17trampoline_kernelINS0_14default_configENS1_35adjacent_difference_config_selectorILb1ElEEZNS1_24adjacent_difference_implIS3_Lb1ELb0EPlS7_ZN2at6native12_GLOBAL__N_124unique_dim_cuda_templateIN3c108BFloat16EEESt5tupleIJNS8_6TensorESF_SF_EERKSF_lbbbEUlllE1_EE10hipError_tPvRmT2_T3_mT4_P12ihipStream_tbEUlT_E_NS1_11comp_targetILNS1_3genE2ELNS1_11target_archE906ELNS1_3gpuE6ELNS1_3repE0EEENS1_30default_config_static_selectorELNS0_4arch9wavefront6targetE0EEEvT1_.kd
    .uniform_work_group_size: 1
    .uses_dynamic_stack: false
    .vgpr_count:     0
    .vgpr_spill_count: 0
    .wavefront_size: 32
  - .args:
      - .offset:         0
        .size:           64
        .value_kind:     by_value
    .group_segment_fixed_size: 0
    .kernarg_segment_align: 8
    .kernarg_segment_size: 64
    .language:       OpenCL C
    .language_version:
      - 2
      - 0
    .max_flat_workgroup_size: 128
    .name:           _ZN7rocprim17ROCPRIM_400000_NS6detail17trampoline_kernelINS0_14default_configENS1_35adjacent_difference_config_selectorILb1ElEEZNS1_24adjacent_difference_implIS3_Lb1ELb0EPlS7_ZN2at6native12_GLOBAL__N_124unique_dim_cuda_templateIN3c108BFloat16EEESt5tupleIJNS8_6TensorESF_SF_EERKSF_lbbbEUlllE1_EE10hipError_tPvRmT2_T3_mT4_P12ihipStream_tbEUlT_E_NS1_11comp_targetILNS1_3genE9ELNS1_11target_archE1100ELNS1_3gpuE3ELNS1_3repE0EEENS1_30default_config_static_selectorELNS0_4arch9wavefront6targetE0EEEvT1_
    .private_segment_fixed_size: 0
    .sgpr_count:     0
    .sgpr_spill_count: 0
    .symbol:         _ZN7rocprim17ROCPRIM_400000_NS6detail17trampoline_kernelINS0_14default_configENS1_35adjacent_difference_config_selectorILb1ElEEZNS1_24adjacent_difference_implIS3_Lb1ELb0EPlS7_ZN2at6native12_GLOBAL__N_124unique_dim_cuda_templateIN3c108BFloat16EEESt5tupleIJNS8_6TensorESF_SF_EERKSF_lbbbEUlllE1_EE10hipError_tPvRmT2_T3_mT4_P12ihipStream_tbEUlT_E_NS1_11comp_targetILNS1_3genE9ELNS1_11target_archE1100ELNS1_3gpuE3ELNS1_3repE0EEENS1_30default_config_static_selectorELNS0_4arch9wavefront6targetE0EEEvT1_.kd
    .uniform_work_group_size: 1
    .uses_dynamic_stack: false
    .vgpr_count:     0
    .vgpr_spill_count: 0
    .wavefront_size: 32
  - .args:
      - .offset:         0
        .size:           64
        .value_kind:     by_value
    .group_segment_fixed_size: 0
    .kernarg_segment_align: 8
    .kernarg_segment_size: 64
    .language:       OpenCL C
    .language_version:
      - 2
      - 0
    .max_flat_workgroup_size: 32
    .name:           _ZN7rocprim17ROCPRIM_400000_NS6detail17trampoline_kernelINS0_14default_configENS1_35adjacent_difference_config_selectorILb1ElEEZNS1_24adjacent_difference_implIS3_Lb1ELb0EPlS7_ZN2at6native12_GLOBAL__N_124unique_dim_cuda_templateIN3c108BFloat16EEESt5tupleIJNS8_6TensorESF_SF_EERKSF_lbbbEUlllE1_EE10hipError_tPvRmT2_T3_mT4_P12ihipStream_tbEUlT_E_NS1_11comp_targetILNS1_3genE8ELNS1_11target_archE1030ELNS1_3gpuE2ELNS1_3repE0EEENS1_30default_config_static_selectorELNS0_4arch9wavefront6targetE0EEEvT1_
    .private_segment_fixed_size: 0
    .sgpr_count:     0
    .sgpr_spill_count: 0
    .symbol:         _ZN7rocprim17ROCPRIM_400000_NS6detail17trampoline_kernelINS0_14default_configENS1_35adjacent_difference_config_selectorILb1ElEEZNS1_24adjacent_difference_implIS3_Lb1ELb0EPlS7_ZN2at6native12_GLOBAL__N_124unique_dim_cuda_templateIN3c108BFloat16EEESt5tupleIJNS8_6TensorESF_SF_EERKSF_lbbbEUlllE1_EE10hipError_tPvRmT2_T3_mT4_P12ihipStream_tbEUlT_E_NS1_11comp_targetILNS1_3genE8ELNS1_11target_archE1030ELNS1_3gpuE2ELNS1_3repE0EEENS1_30default_config_static_selectorELNS0_4arch9wavefront6targetE0EEEvT1_.kd
    .uniform_work_group_size: 1
    .uses_dynamic_stack: false
    .vgpr_count:     0
    .vgpr_spill_count: 0
    .wavefront_size: 32
  - .args:
      - .offset:         0
        .size:           120
        .value_kind:     by_value
    .group_segment_fixed_size: 28680
    .kernarg_segment_align: 8
    .kernarg_segment_size: 120
    .language:       OpenCL C
    .language_version:
      - 2
      - 0
    .max_flat_workgroup_size: 512
    .name:           _ZN7rocprim17ROCPRIM_400000_NS6detail17trampoline_kernelINS0_14default_configENS1_25partition_config_selectorILNS1_17partition_subalgoE8ElNS0_10empty_typeEbEEZZNS1_14partition_implILS5_8ELb0ES3_jPlPS6_PKS6_NS0_5tupleIJS9_S6_EEENSD_IJSA_SA_EEENS0_18inequality_wrapperIZN2at6native12_GLOBAL__N_124unique_dim_cuda_templateIN3c108BFloat16EEESt5tupleIJNSH_6TensorESO_SO_EERKSO_lbbbEUlllE0_EEPmJS6_EEE10hipError_tPvRmT3_T4_T5_T6_T7_T9_mT8_P12ihipStream_tbDpT10_ENKUlT_T0_E_clISt17integral_constantIbLb0EES1E_EEDaS19_S1A_EUlS19_E_NS1_11comp_targetILNS1_3genE0ELNS1_11target_archE4294967295ELNS1_3gpuE0ELNS1_3repE0EEENS1_30default_config_static_selectorELNS0_4arch9wavefront6targetE0EEEvT1_
    .private_segment_fixed_size: 0
    .sgpr_count:     38
    .sgpr_spill_count: 0
    .symbol:         _ZN7rocprim17ROCPRIM_400000_NS6detail17trampoline_kernelINS0_14default_configENS1_25partition_config_selectorILNS1_17partition_subalgoE8ElNS0_10empty_typeEbEEZZNS1_14partition_implILS5_8ELb0ES3_jPlPS6_PKS6_NS0_5tupleIJS9_S6_EEENSD_IJSA_SA_EEENS0_18inequality_wrapperIZN2at6native12_GLOBAL__N_124unique_dim_cuda_templateIN3c108BFloat16EEESt5tupleIJNSH_6TensorESO_SO_EERKSO_lbbbEUlllE0_EEPmJS6_EEE10hipError_tPvRmT3_T4_T5_T6_T7_T9_mT8_P12ihipStream_tbDpT10_ENKUlT_T0_E_clISt17integral_constantIbLb0EES1E_EEDaS19_S1A_EUlS19_E_NS1_11comp_targetILNS1_3genE0ELNS1_11target_archE4294967295ELNS1_3gpuE0ELNS1_3repE0EEENS1_30default_config_static_selectorELNS0_4arch9wavefront6targetE0EEEvT1_.kd
    .uniform_work_group_size: 1
    .uses_dynamic_stack: false
    .vgpr_count:     54
    .vgpr_spill_count: 0
    .wavefront_size: 32
  - .args:
      - .offset:         0
        .size:           120
        .value_kind:     by_value
    .group_segment_fixed_size: 0
    .kernarg_segment_align: 8
    .kernarg_segment_size: 120
    .language:       OpenCL C
    .language_version:
      - 2
      - 0
    .max_flat_workgroup_size: 512
    .name:           _ZN7rocprim17ROCPRIM_400000_NS6detail17trampoline_kernelINS0_14default_configENS1_25partition_config_selectorILNS1_17partition_subalgoE8ElNS0_10empty_typeEbEEZZNS1_14partition_implILS5_8ELb0ES3_jPlPS6_PKS6_NS0_5tupleIJS9_S6_EEENSD_IJSA_SA_EEENS0_18inequality_wrapperIZN2at6native12_GLOBAL__N_124unique_dim_cuda_templateIN3c108BFloat16EEESt5tupleIJNSH_6TensorESO_SO_EERKSO_lbbbEUlllE0_EEPmJS6_EEE10hipError_tPvRmT3_T4_T5_T6_T7_T9_mT8_P12ihipStream_tbDpT10_ENKUlT_T0_E_clISt17integral_constantIbLb0EES1E_EEDaS19_S1A_EUlS19_E_NS1_11comp_targetILNS1_3genE5ELNS1_11target_archE942ELNS1_3gpuE9ELNS1_3repE0EEENS1_30default_config_static_selectorELNS0_4arch9wavefront6targetE0EEEvT1_
    .private_segment_fixed_size: 0
    .sgpr_count:     0
    .sgpr_spill_count: 0
    .symbol:         _ZN7rocprim17ROCPRIM_400000_NS6detail17trampoline_kernelINS0_14default_configENS1_25partition_config_selectorILNS1_17partition_subalgoE8ElNS0_10empty_typeEbEEZZNS1_14partition_implILS5_8ELb0ES3_jPlPS6_PKS6_NS0_5tupleIJS9_S6_EEENSD_IJSA_SA_EEENS0_18inequality_wrapperIZN2at6native12_GLOBAL__N_124unique_dim_cuda_templateIN3c108BFloat16EEESt5tupleIJNSH_6TensorESO_SO_EERKSO_lbbbEUlllE0_EEPmJS6_EEE10hipError_tPvRmT3_T4_T5_T6_T7_T9_mT8_P12ihipStream_tbDpT10_ENKUlT_T0_E_clISt17integral_constantIbLb0EES1E_EEDaS19_S1A_EUlS19_E_NS1_11comp_targetILNS1_3genE5ELNS1_11target_archE942ELNS1_3gpuE9ELNS1_3repE0EEENS1_30default_config_static_selectorELNS0_4arch9wavefront6targetE0EEEvT1_.kd
    .uniform_work_group_size: 1
    .uses_dynamic_stack: false
    .vgpr_count:     0
    .vgpr_spill_count: 0
    .wavefront_size: 32
  - .args:
      - .offset:         0
        .size:           120
        .value_kind:     by_value
    .group_segment_fixed_size: 0
    .kernarg_segment_align: 8
    .kernarg_segment_size: 120
    .language:       OpenCL C
    .language_version:
      - 2
      - 0
    .max_flat_workgroup_size: 256
    .name:           _ZN7rocprim17ROCPRIM_400000_NS6detail17trampoline_kernelINS0_14default_configENS1_25partition_config_selectorILNS1_17partition_subalgoE8ElNS0_10empty_typeEbEEZZNS1_14partition_implILS5_8ELb0ES3_jPlPS6_PKS6_NS0_5tupleIJS9_S6_EEENSD_IJSA_SA_EEENS0_18inequality_wrapperIZN2at6native12_GLOBAL__N_124unique_dim_cuda_templateIN3c108BFloat16EEESt5tupleIJNSH_6TensorESO_SO_EERKSO_lbbbEUlllE0_EEPmJS6_EEE10hipError_tPvRmT3_T4_T5_T6_T7_T9_mT8_P12ihipStream_tbDpT10_ENKUlT_T0_E_clISt17integral_constantIbLb0EES1E_EEDaS19_S1A_EUlS19_E_NS1_11comp_targetILNS1_3genE4ELNS1_11target_archE910ELNS1_3gpuE8ELNS1_3repE0EEENS1_30default_config_static_selectorELNS0_4arch9wavefront6targetE0EEEvT1_
    .private_segment_fixed_size: 0
    .sgpr_count:     0
    .sgpr_spill_count: 0
    .symbol:         _ZN7rocprim17ROCPRIM_400000_NS6detail17trampoline_kernelINS0_14default_configENS1_25partition_config_selectorILNS1_17partition_subalgoE8ElNS0_10empty_typeEbEEZZNS1_14partition_implILS5_8ELb0ES3_jPlPS6_PKS6_NS0_5tupleIJS9_S6_EEENSD_IJSA_SA_EEENS0_18inequality_wrapperIZN2at6native12_GLOBAL__N_124unique_dim_cuda_templateIN3c108BFloat16EEESt5tupleIJNSH_6TensorESO_SO_EERKSO_lbbbEUlllE0_EEPmJS6_EEE10hipError_tPvRmT3_T4_T5_T6_T7_T9_mT8_P12ihipStream_tbDpT10_ENKUlT_T0_E_clISt17integral_constantIbLb0EES1E_EEDaS19_S1A_EUlS19_E_NS1_11comp_targetILNS1_3genE4ELNS1_11target_archE910ELNS1_3gpuE8ELNS1_3repE0EEENS1_30default_config_static_selectorELNS0_4arch9wavefront6targetE0EEEvT1_.kd
    .uniform_work_group_size: 1
    .uses_dynamic_stack: false
    .vgpr_count:     0
    .vgpr_spill_count: 0
    .wavefront_size: 32
  - .args:
      - .offset:         0
        .size:           120
        .value_kind:     by_value
    .group_segment_fixed_size: 0
    .kernarg_segment_align: 8
    .kernarg_segment_size: 120
    .language:       OpenCL C
    .language_version:
      - 2
      - 0
    .max_flat_workgroup_size: 512
    .name:           _ZN7rocprim17ROCPRIM_400000_NS6detail17trampoline_kernelINS0_14default_configENS1_25partition_config_selectorILNS1_17partition_subalgoE8ElNS0_10empty_typeEbEEZZNS1_14partition_implILS5_8ELb0ES3_jPlPS6_PKS6_NS0_5tupleIJS9_S6_EEENSD_IJSA_SA_EEENS0_18inequality_wrapperIZN2at6native12_GLOBAL__N_124unique_dim_cuda_templateIN3c108BFloat16EEESt5tupleIJNSH_6TensorESO_SO_EERKSO_lbbbEUlllE0_EEPmJS6_EEE10hipError_tPvRmT3_T4_T5_T6_T7_T9_mT8_P12ihipStream_tbDpT10_ENKUlT_T0_E_clISt17integral_constantIbLb0EES1E_EEDaS19_S1A_EUlS19_E_NS1_11comp_targetILNS1_3genE3ELNS1_11target_archE908ELNS1_3gpuE7ELNS1_3repE0EEENS1_30default_config_static_selectorELNS0_4arch9wavefront6targetE0EEEvT1_
    .private_segment_fixed_size: 0
    .sgpr_count:     0
    .sgpr_spill_count: 0
    .symbol:         _ZN7rocprim17ROCPRIM_400000_NS6detail17trampoline_kernelINS0_14default_configENS1_25partition_config_selectorILNS1_17partition_subalgoE8ElNS0_10empty_typeEbEEZZNS1_14partition_implILS5_8ELb0ES3_jPlPS6_PKS6_NS0_5tupleIJS9_S6_EEENSD_IJSA_SA_EEENS0_18inequality_wrapperIZN2at6native12_GLOBAL__N_124unique_dim_cuda_templateIN3c108BFloat16EEESt5tupleIJNSH_6TensorESO_SO_EERKSO_lbbbEUlllE0_EEPmJS6_EEE10hipError_tPvRmT3_T4_T5_T6_T7_T9_mT8_P12ihipStream_tbDpT10_ENKUlT_T0_E_clISt17integral_constantIbLb0EES1E_EEDaS19_S1A_EUlS19_E_NS1_11comp_targetILNS1_3genE3ELNS1_11target_archE908ELNS1_3gpuE7ELNS1_3repE0EEENS1_30default_config_static_selectorELNS0_4arch9wavefront6targetE0EEEvT1_.kd
    .uniform_work_group_size: 1
    .uses_dynamic_stack: false
    .vgpr_count:     0
    .vgpr_spill_count: 0
    .wavefront_size: 32
  - .args:
      - .offset:         0
        .size:           120
        .value_kind:     by_value
    .group_segment_fixed_size: 0
    .kernarg_segment_align: 8
    .kernarg_segment_size: 120
    .language:       OpenCL C
    .language_version:
      - 2
      - 0
    .max_flat_workgroup_size: 256
    .name:           _ZN7rocprim17ROCPRIM_400000_NS6detail17trampoline_kernelINS0_14default_configENS1_25partition_config_selectorILNS1_17partition_subalgoE8ElNS0_10empty_typeEbEEZZNS1_14partition_implILS5_8ELb0ES3_jPlPS6_PKS6_NS0_5tupleIJS9_S6_EEENSD_IJSA_SA_EEENS0_18inequality_wrapperIZN2at6native12_GLOBAL__N_124unique_dim_cuda_templateIN3c108BFloat16EEESt5tupleIJNSH_6TensorESO_SO_EERKSO_lbbbEUlllE0_EEPmJS6_EEE10hipError_tPvRmT3_T4_T5_T6_T7_T9_mT8_P12ihipStream_tbDpT10_ENKUlT_T0_E_clISt17integral_constantIbLb0EES1E_EEDaS19_S1A_EUlS19_E_NS1_11comp_targetILNS1_3genE2ELNS1_11target_archE906ELNS1_3gpuE6ELNS1_3repE0EEENS1_30default_config_static_selectorELNS0_4arch9wavefront6targetE0EEEvT1_
    .private_segment_fixed_size: 0
    .sgpr_count:     0
    .sgpr_spill_count: 0
    .symbol:         _ZN7rocprim17ROCPRIM_400000_NS6detail17trampoline_kernelINS0_14default_configENS1_25partition_config_selectorILNS1_17partition_subalgoE8ElNS0_10empty_typeEbEEZZNS1_14partition_implILS5_8ELb0ES3_jPlPS6_PKS6_NS0_5tupleIJS9_S6_EEENSD_IJSA_SA_EEENS0_18inequality_wrapperIZN2at6native12_GLOBAL__N_124unique_dim_cuda_templateIN3c108BFloat16EEESt5tupleIJNSH_6TensorESO_SO_EERKSO_lbbbEUlllE0_EEPmJS6_EEE10hipError_tPvRmT3_T4_T5_T6_T7_T9_mT8_P12ihipStream_tbDpT10_ENKUlT_T0_E_clISt17integral_constantIbLb0EES1E_EEDaS19_S1A_EUlS19_E_NS1_11comp_targetILNS1_3genE2ELNS1_11target_archE906ELNS1_3gpuE6ELNS1_3repE0EEENS1_30default_config_static_selectorELNS0_4arch9wavefront6targetE0EEEvT1_.kd
    .uniform_work_group_size: 1
    .uses_dynamic_stack: false
    .vgpr_count:     0
    .vgpr_spill_count: 0
    .wavefront_size: 32
  - .args:
      - .offset:         0
        .size:           120
        .value_kind:     by_value
    .group_segment_fixed_size: 0
    .kernarg_segment_align: 8
    .kernarg_segment_size: 120
    .language:       OpenCL C
    .language_version:
      - 2
      - 0
    .max_flat_workgroup_size: 384
    .name:           _ZN7rocprim17ROCPRIM_400000_NS6detail17trampoline_kernelINS0_14default_configENS1_25partition_config_selectorILNS1_17partition_subalgoE8ElNS0_10empty_typeEbEEZZNS1_14partition_implILS5_8ELb0ES3_jPlPS6_PKS6_NS0_5tupleIJS9_S6_EEENSD_IJSA_SA_EEENS0_18inequality_wrapperIZN2at6native12_GLOBAL__N_124unique_dim_cuda_templateIN3c108BFloat16EEESt5tupleIJNSH_6TensorESO_SO_EERKSO_lbbbEUlllE0_EEPmJS6_EEE10hipError_tPvRmT3_T4_T5_T6_T7_T9_mT8_P12ihipStream_tbDpT10_ENKUlT_T0_E_clISt17integral_constantIbLb0EES1E_EEDaS19_S1A_EUlS19_E_NS1_11comp_targetILNS1_3genE10ELNS1_11target_archE1200ELNS1_3gpuE4ELNS1_3repE0EEENS1_30default_config_static_selectorELNS0_4arch9wavefront6targetE0EEEvT1_
    .private_segment_fixed_size: 0
    .sgpr_count:     0
    .sgpr_spill_count: 0
    .symbol:         _ZN7rocprim17ROCPRIM_400000_NS6detail17trampoline_kernelINS0_14default_configENS1_25partition_config_selectorILNS1_17partition_subalgoE8ElNS0_10empty_typeEbEEZZNS1_14partition_implILS5_8ELb0ES3_jPlPS6_PKS6_NS0_5tupleIJS9_S6_EEENSD_IJSA_SA_EEENS0_18inequality_wrapperIZN2at6native12_GLOBAL__N_124unique_dim_cuda_templateIN3c108BFloat16EEESt5tupleIJNSH_6TensorESO_SO_EERKSO_lbbbEUlllE0_EEPmJS6_EEE10hipError_tPvRmT3_T4_T5_T6_T7_T9_mT8_P12ihipStream_tbDpT10_ENKUlT_T0_E_clISt17integral_constantIbLb0EES1E_EEDaS19_S1A_EUlS19_E_NS1_11comp_targetILNS1_3genE10ELNS1_11target_archE1200ELNS1_3gpuE4ELNS1_3repE0EEENS1_30default_config_static_selectorELNS0_4arch9wavefront6targetE0EEEvT1_.kd
    .uniform_work_group_size: 1
    .uses_dynamic_stack: false
    .vgpr_count:     0
    .vgpr_spill_count: 0
    .wavefront_size: 32
  - .args:
      - .offset:         0
        .size:           120
        .value_kind:     by_value
    .group_segment_fixed_size: 0
    .kernarg_segment_align: 8
    .kernarg_segment_size: 120
    .language:       OpenCL C
    .language_version:
      - 2
      - 0
    .max_flat_workgroup_size: 512
    .name:           _ZN7rocprim17ROCPRIM_400000_NS6detail17trampoline_kernelINS0_14default_configENS1_25partition_config_selectorILNS1_17partition_subalgoE8ElNS0_10empty_typeEbEEZZNS1_14partition_implILS5_8ELb0ES3_jPlPS6_PKS6_NS0_5tupleIJS9_S6_EEENSD_IJSA_SA_EEENS0_18inequality_wrapperIZN2at6native12_GLOBAL__N_124unique_dim_cuda_templateIN3c108BFloat16EEESt5tupleIJNSH_6TensorESO_SO_EERKSO_lbbbEUlllE0_EEPmJS6_EEE10hipError_tPvRmT3_T4_T5_T6_T7_T9_mT8_P12ihipStream_tbDpT10_ENKUlT_T0_E_clISt17integral_constantIbLb0EES1E_EEDaS19_S1A_EUlS19_E_NS1_11comp_targetILNS1_3genE9ELNS1_11target_archE1100ELNS1_3gpuE3ELNS1_3repE0EEENS1_30default_config_static_selectorELNS0_4arch9wavefront6targetE0EEEvT1_
    .private_segment_fixed_size: 0
    .sgpr_count:     0
    .sgpr_spill_count: 0
    .symbol:         _ZN7rocprim17ROCPRIM_400000_NS6detail17trampoline_kernelINS0_14default_configENS1_25partition_config_selectorILNS1_17partition_subalgoE8ElNS0_10empty_typeEbEEZZNS1_14partition_implILS5_8ELb0ES3_jPlPS6_PKS6_NS0_5tupleIJS9_S6_EEENSD_IJSA_SA_EEENS0_18inequality_wrapperIZN2at6native12_GLOBAL__N_124unique_dim_cuda_templateIN3c108BFloat16EEESt5tupleIJNSH_6TensorESO_SO_EERKSO_lbbbEUlllE0_EEPmJS6_EEE10hipError_tPvRmT3_T4_T5_T6_T7_T9_mT8_P12ihipStream_tbDpT10_ENKUlT_T0_E_clISt17integral_constantIbLb0EES1E_EEDaS19_S1A_EUlS19_E_NS1_11comp_targetILNS1_3genE9ELNS1_11target_archE1100ELNS1_3gpuE3ELNS1_3repE0EEENS1_30default_config_static_selectorELNS0_4arch9wavefront6targetE0EEEvT1_.kd
    .uniform_work_group_size: 1
    .uses_dynamic_stack: false
    .vgpr_count:     0
    .vgpr_spill_count: 0
    .wavefront_size: 32
  - .args:
      - .offset:         0
        .size:           120
        .value_kind:     by_value
    .group_segment_fixed_size: 0
    .kernarg_segment_align: 8
    .kernarg_segment_size: 120
    .language:       OpenCL C
    .language_version:
      - 2
      - 0
    .max_flat_workgroup_size: 512
    .name:           _ZN7rocprim17ROCPRIM_400000_NS6detail17trampoline_kernelINS0_14default_configENS1_25partition_config_selectorILNS1_17partition_subalgoE8ElNS0_10empty_typeEbEEZZNS1_14partition_implILS5_8ELb0ES3_jPlPS6_PKS6_NS0_5tupleIJS9_S6_EEENSD_IJSA_SA_EEENS0_18inequality_wrapperIZN2at6native12_GLOBAL__N_124unique_dim_cuda_templateIN3c108BFloat16EEESt5tupleIJNSH_6TensorESO_SO_EERKSO_lbbbEUlllE0_EEPmJS6_EEE10hipError_tPvRmT3_T4_T5_T6_T7_T9_mT8_P12ihipStream_tbDpT10_ENKUlT_T0_E_clISt17integral_constantIbLb0EES1E_EEDaS19_S1A_EUlS19_E_NS1_11comp_targetILNS1_3genE8ELNS1_11target_archE1030ELNS1_3gpuE2ELNS1_3repE0EEENS1_30default_config_static_selectorELNS0_4arch9wavefront6targetE0EEEvT1_
    .private_segment_fixed_size: 0
    .sgpr_count:     0
    .sgpr_spill_count: 0
    .symbol:         _ZN7rocprim17ROCPRIM_400000_NS6detail17trampoline_kernelINS0_14default_configENS1_25partition_config_selectorILNS1_17partition_subalgoE8ElNS0_10empty_typeEbEEZZNS1_14partition_implILS5_8ELb0ES3_jPlPS6_PKS6_NS0_5tupleIJS9_S6_EEENSD_IJSA_SA_EEENS0_18inequality_wrapperIZN2at6native12_GLOBAL__N_124unique_dim_cuda_templateIN3c108BFloat16EEESt5tupleIJNSH_6TensorESO_SO_EERKSO_lbbbEUlllE0_EEPmJS6_EEE10hipError_tPvRmT3_T4_T5_T6_T7_T9_mT8_P12ihipStream_tbDpT10_ENKUlT_T0_E_clISt17integral_constantIbLb0EES1E_EEDaS19_S1A_EUlS19_E_NS1_11comp_targetILNS1_3genE8ELNS1_11target_archE1030ELNS1_3gpuE2ELNS1_3repE0EEENS1_30default_config_static_selectorELNS0_4arch9wavefront6targetE0EEEvT1_.kd
    .uniform_work_group_size: 1
    .uses_dynamic_stack: false
    .vgpr_count:     0
    .vgpr_spill_count: 0
    .wavefront_size: 32
  - .args:
      - .offset:         0
        .size:           136
        .value_kind:     by_value
    .group_segment_fixed_size: 0
    .kernarg_segment_align: 8
    .kernarg_segment_size: 136
    .language:       OpenCL C
    .language_version:
      - 2
      - 0
    .max_flat_workgroup_size: 512
    .name:           _ZN7rocprim17ROCPRIM_400000_NS6detail17trampoline_kernelINS0_14default_configENS1_25partition_config_selectorILNS1_17partition_subalgoE8ElNS0_10empty_typeEbEEZZNS1_14partition_implILS5_8ELb0ES3_jPlPS6_PKS6_NS0_5tupleIJS9_S6_EEENSD_IJSA_SA_EEENS0_18inequality_wrapperIZN2at6native12_GLOBAL__N_124unique_dim_cuda_templateIN3c108BFloat16EEESt5tupleIJNSH_6TensorESO_SO_EERKSO_lbbbEUlllE0_EEPmJS6_EEE10hipError_tPvRmT3_T4_T5_T6_T7_T9_mT8_P12ihipStream_tbDpT10_ENKUlT_T0_E_clISt17integral_constantIbLb1EES1E_EEDaS19_S1A_EUlS19_E_NS1_11comp_targetILNS1_3genE0ELNS1_11target_archE4294967295ELNS1_3gpuE0ELNS1_3repE0EEENS1_30default_config_static_selectorELNS0_4arch9wavefront6targetE0EEEvT1_
    .private_segment_fixed_size: 0
    .sgpr_count:     0
    .sgpr_spill_count: 0
    .symbol:         _ZN7rocprim17ROCPRIM_400000_NS6detail17trampoline_kernelINS0_14default_configENS1_25partition_config_selectorILNS1_17partition_subalgoE8ElNS0_10empty_typeEbEEZZNS1_14partition_implILS5_8ELb0ES3_jPlPS6_PKS6_NS0_5tupleIJS9_S6_EEENSD_IJSA_SA_EEENS0_18inequality_wrapperIZN2at6native12_GLOBAL__N_124unique_dim_cuda_templateIN3c108BFloat16EEESt5tupleIJNSH_6TensorESO_SO_EERKSO_lbbbEUlllE0_EEPmJS6_EEE10hipError_tPvRmT3_T4_T5_T6_T7_T9_mT8_P12ihipStream_tbDpT10_ENKUlT_T0_E_clISt17integral_constantIbLb1EES1E_EEDaS19_S1A_EUlS19_E_NS1_11comp_targetILNS1_3genE0ELNS1_11target_archE4294967295ELNS1_3gpuE0ELNS1_3repE0EEENS1_30default_config_static_selectorELNS0_4arch9wavefront6targetE0EEEvT1_.kd
    .uniform_work_group_size: 1
    .uses_dynamic_stack: false
    .vgpr_count:     0
    .vgpr_spill_count: 0
    .wavefront_size: 32
  - .args:
      - .offset:         0
        .size:           136
        .value_kind:     by_value
    .group_segment_fixed_size: 0
    .kernarg_segment_align: 8
    .kernarg_segment_size: 136
    .language:       OpenCL C
    .language_version:
      - 2
      - 0
    .max_flat_workgroup_size: 512
    .name:           _ZN7rocprim17ROCPRIM_400000_NS6detail17trampoline_kernelINS0_14default_configENS1_25partition_config_selectorILNS1_17partition_subalgoE8ElNS0_10empty_typeEbEEZZNS1_14partition_implILS5_8ELb0ES3_jPlPS6_PKS6_NS0_5tupleIJS9_S6_EEENSD_IJSA_SA_EEENS0_18inequality_wrapperIZN2at6native12_GLOBAL__N_124unique_dim_cuda_templateIN3c108BFloat16EEESt5tupleIJNSH_6TensorESO_SO_EERKSO_lbbbEUlllE0_EEPmJS6_EEE10hipError_tPvRmT3_T4_T5_T6_T7_T9_mT8_P12ihipStream_tbDpT10_ENKUlT_T0_E_clISt17integral_constantIbLb1EES1E_EEDaS19_S1A_EUlS19_E_NS1_11comp_targetILNS1_3genE5ELNS1_11target_archE942ELNS1_3gpuE9ELNS1_3repE0EEENS1_30default_config_static_selectorELNS0_4arch9wavefront6targetE0EEEvT1_
    .private_segment_fixed_size: 0
    .sgpr_count:     0
    .sgpr_spill_count: 0
    .symbol:         _ZN7rocprim17ROCPRIM_400000_NS6detail17trampoline_kernelINS0_14default_configENS1_25partition_config_selectorILNS1_17partition_subalgoE8ElNS0_10empty_typeEbEEZZNS1_14partition_implILS5_8ELb0ES3_jPlPS6_PKS6_NS0_5tupleIJS9_S6_EEENSD_IJSA_SA_EEENS0_18inequality_wrapperIZN2at6native12_GLOBAL__N_124unique_dim_cuda_templateIN3c108BFloat16EEESt5tupleIJNSH_6TensorESO_SO_EERKSO_lbbbEUlllE0_EEPmJS6_EEE10hipError_tPvRmT3_T4_T5_T6_T7_T9_mT8_P12ihipStream_tbDpT10_ENKUlT_T0_E_clISt17integral_constantIbLb1EES1E_EEDaS19_S1A_EUlS19_E_NS1_11comp_targetILNS1_3genE5ELNS1_11target_archE942ELNS1_3gpuE9ELNS1_3repE0EEENS1_30default_config_static_selectorELNS0_4arch9wavefront6targetE0EEEvT1_.kd
    .uniform_work_group_size: 1
    .uses_dynamic_stack: false
    .vgpr_count:     0
    .vgpr_spill_count: 0
    .wavefront_size: 32
  - .args:
      - .offset:         0
        .size:           136
        .value_kind:     by_value
    .group_segment_fixed_size: 0
    .kernarg_segment_align: 8
    .kernarg_segment_size: 136
    .language:       OpenCL C
    .language_version:
      - 2
      - 0
    .max_flat_workgroup_size: 256
    .name:           _ZN7rocprim17ROCPRIM_400000_NS6detail17trampoline_kernelINS0_14default_configENS1_25partition_config_selectorILNS1_17partition_subalgoE8ElNS0_10empty_typeEbEEZZNS1_14partition_implILS5_8ELb0ES3_jPlPS6_PKS6_NS0_5tupleIJS9_S6_EEENSD_IJSA_SA_EEENS0_18inequality_wrapperIZN2at6native12_GLOBAL__N_124unique_dim_cuda_templateIN3c108BFloat16EEESt5tupleIJNSH_6TensorESO_SO_EERKSO_lbbbEUlllE0_EEPmJS6_EEE10hipError_tPvRmT3_T4_T5_T6_T7_T9_mT8_P12ihipStream_tbDpT10_ENKUlT_T0_E_clISt17integral_constantIbLb1EES1E_EEDaS19_S1A_EUlS19_E_NS1_11comp_targetILNS1_3genE4ELNS1_11target_archE910ELNS1_3gpuE8ELNS1_3repE0EEENS1_30default_config_static_selectorELNS0_4arch9wavefront6targetE0EEEvT1_
    .private_segment_fixed_size: 0
    .sgpr_count:     0
    .sgpr_spill_count: 0
    .symbol:         _ZN7rocprim17ROCPRIM_400000_NS6detail17trampoline_kernelINS0_14default_configENS1_25partition_config_selectorILNS1_17partition_subalgoE8ElNS0_10empty_typeEbEEZZNS1_14partition_implILS5_8ELb0ES3_jPlPS6_PKS6_NS0_5tupleIJS9_S6_EEENSD_IJSA_SA_EEENS0_18inequality_wrapperIZN2at6native12_GLOBAL__N_124unique_dim_cuda_templateIN3c108BFloat16EEESt5tupleIJNSH_6TensorESO_SO_EERKSO_lbbbEUlllE0_EEPmJS6_EEE10hipError_tPvRmT3_T4_T5_T6_T7_T9_mT8_P12ihipStream_tbDpT10_ENKUlT_T0_E_clISt17integral_constantIbLb1EES1E_EEDaS19_S1A_EUlS19_E_NS1_11comp_targetILNS1_3genE4ELNS1_11target_archE910ELNS1_3gpuE8ELNS1_3repE0EEENS1_30default_config_static_selectorELNS0_4arch9wavefront6targetE0EEEvT1_.kd
    .uniform_work_group_size: 1
    .uses_dynamic_stack: false
    .vgpr_count:     0
    .vgpr_spill_count: 0
    .wavefront_size: 32
  - .args:
      - .offset:         0
        .size:           136
        .value_kind:     by_value
    .group_segment_fixed_size: 0
    .kernarg_segment_align: 8
    .kernarg_segment_size: 136
    .language:       OpenCL C
    .language_version:
      - 2
      - 0
    .max_flat_workgroup_size: 512
    .name:           _ZN7rocprim17ROCPRIM_400000_NS6detail17trampoline_kernelINS0_14default_configENS1_25partition_config_selectorILNS1_17partition_subalgoE8ElNS0_10empty_typeEbEEZZNS1_14partition_implILS5_8ELb0ES3_jPlPS6_PKS6_NS0_5tupleIJS9_S6_EEENSD_IJSA_SA_EEENS0_18inequality_wrapperIZN2at6native12_GLOBAL__N_124unique_dim_cuda_templateIN3c108BFloat16EEESt5tupleIJNSH_6TensorESO_SO_EERKSO_lbbbEUlllE0_EEPmJS6_EEE10hipError_tPvRmT3_T4_T5_T6_T7_T9_mT8_P12ihipStream_tbDpT10_ENKUlT_T0_E_clISt17integral_constantIbLb1EES1E_EEDaS19_S1A_EUlS19_E_NS1_11comp_targetILNS1_3genE3ELNS1_11target_archE908ELNS1_3gpuE7ELNS1_3repE0EEENS1_30default_config_static_selectorELNS0_4arch9wavefront6targetE0EEEvT1_
    .private_segment_fixed_size: 0
    .sgpr_count:     0
    .sgpr_spill_count: 0
    .symbol:         _ZN7rocprim17ROCPRIM_400000_NS6detail17trampoline_kernelINS0_14default_configENS1_25partition_config_selectorILNS1_17partition_subalgoE8ElNS0_10empty_typeEbEEZZNS1_14partition_implILS5_8ELb0ES3_jPlPS6_PKS6_NS0_5tupleIJS9_S6_EEENSD_IJSA_SA_EEENS0_18inequality_wrapperIZN2at6native12_GLOBAL__N_124unique_dim_cuda_templateIN3c108BFloat16EEESt5tupleIJNSH_6TensorESO_SO_EERKSO_lbbbEUlllE0_EEPmJS6_EEE10hipError_tPvRmT3_T4_T5_T6_T7_T9_mT8_P12ihipStream_tbDpT10_ENKUlT_T0_E_clISt17integral_constantIbLb1EES1E_EEDaS19_S1A_EUlS19_E_NS1_11comp_targetILNS1_3genE3ELNS1_11target_archE908ELNS1_3gpuE7ELNS1_3repE0EEENS1_30default_config_static_selectorELNS0_4arch9wavefront6targetE0EEEvT1_.kd
    .uniform_work_group_size: 1
    .uses_dynamic_stack: false
    .vgpr_count:     0
    .vgpr_spill_count: 0
    .wavefront_size: 32
  - .args:
      - .offset:         0
        .size:           136
        .value_kind:     by_value
    .group_segment_fixed_size: 0
    .kernarg_segment_align: 8
    .kernarg_segment_size: 136
    .language:       OpenCL C
    .language_version:
      - 2
      - 0
    .max_flat_workgroup_size: 256
    .name:           _ZN7rocprim17ROCPRIM_400000_NS6detail17trampoline_kernelINS0_14default_configENS1_25partition_config_selectorILNS1_17partition_subalgoE8ElNS0_10empty_typeEbEEZZNS1_14partition_implILS5_8ELb0ES3_jPlPS6_PKS6_NS0_5tupleIJS9_S6_EEENSD_IJSA_SA_EEENS0_18inequality_wrapperIZN2at6native12_GLOBAL__N_124unique_dim_cuda_templateIN3c108BFloat16EEESt5tupleIJNSH_6TensorESO_SO_EERKSO_lbbbEUlllE0_EEPmJS6_EEE10hipError_tPvRmT3_T4_T5_T6_T7_T9_mT8_P12ihipStream_tbDpT10_ENKUlT_T0_E_clISt17integral_constantIbLb1EES1E_EEDaS19_S1A_EUlS19_E_NS1_11comp_targetILNS1_3genE2ELNS1_11target_archE906ELNS1_3gpuE6ELNS1_3repE0EEENS1_30default_config_static_selectorELNS0_4arch9wavefront6targetE0EEEvT1_
    .private_segment_fixed_size: 0
    .sgpr_count:     0
    .sgpr_spill_count: 0
    .symbol:         _ZN7rocprim17ROCPRIM_400000_NS6detail17trampoline_kernelINS0_14default_configENS1_25partition_config_selectorILNS1_17partition_subalgoE8ElNS0_10empty_typeEbEEZZNS1_14partition_implILS5_8ELb0ES3_jPlPS6_PKS6_NS0_5tupleIJS9_S6_EEENSD_IJSA_SA_EEENS0_18inequality_wrapperIZN2at6native12_GLOBAL__N_124unique_dim_cuda_templateIN3c108BFloat16EEESt5tupleIJNSH_6TensorESO_SO_EERKSO_lbbbEUlllE0_EEPmJS6_EEE10hipError_tPvRmT3_T4_T5_T6_T7_T9_mT8_P12ihipStream_tbDpT10_ENKUlT_T0_E_clISt17integral_constantIbLb1EES1E_EEDaS19_S1A_EUlS19_E_NS1_11comp_targetILNS1_3genE2ELNS1_11target_archE906ELNS1_3gpuE6ELNS1_3repE0EEENS1_30default_config_static_selectorELNS0_4arch9wavefront6targetE0EEEvT1_.kd
    .uniform_work_group_size: 1
    .uses_dynamic_stack: false
    .vgpr_count:     0
    .vgpr_spill_count: 0
    .wavefront_size: 32
  - .args:
      - .offset:         0
        .size:           136
        .value_kind:     by_value
    .group_segment_fixed_size: 0
    .kernarg_segment_align: 8
    .kernarg_segment_size: 136
    .language:       OpenCL C
    .language_version:
      - 2
      - 0
    .max_flat_workgroup_size: 384
    .name:           _ZN7rocprim17ROCPRIM_400000_NS6detail17trampoline_kernelINS0_14default_configENS1_25partition_config_selectorILNS1_17partition_subalgoE8ElNS0_10empty_typeEbEEZZNS1_14partition_implILS5_8ELb0ES3_jPlPS6_PKS6_NS0_5tupleIJS9_S6_EEENSD_IJSA_SA_EEENS0_18inequality_wrapperIZN2at6native12_GLOBAL__N_124unique_dim_cuda_templateIN3c108BFloat16EEESt5tupleIJNSH_6TensorESO_SO_EERKSO_lbbbEUlllE0_EEPmJS6_EEE10hipError_tPvRmT3_T4_T5_T6_T7_T9_mT8_P12ihipStream_tbDpT10_ENKUlT_T0_E_clISt17integral_constantIbLb1EES1E_EEDaS19_S1A_EUlS19_E_NS1_11comp_targetILNS1_3genE10ELNS1_11target_archE1200ELNS1_3gpuE4ELNS1_3repE0EEENS1_30default_config_static_selectorELNS0_4arch9wavefront6targetE0EEEvT1_
    .private_segment_fixed_size: 0
    .sgpr_count:     0
    .sgpr_spill_count: 0
    .symbol:         _ZN7rocprim17ROCPRIM_400000_NS6detail17trampoline_kernelINS0_14default_configENS1_25partition_config_selectorILNS1_17partition_subalgoE8ElNS0_10empty_typeEbEEZZNS1_14partition_implILS5_8ELb0ES3_jPlPS6_PKS6_NS0_5tupleIJS9_S6_EEENSD_IJSA_SA_EEENS0_18inequality_wrapperIZN2at6native12_GLOBAL__N_124unique_dim_cuda_templateIN3c108BFloat16EEESt5tupleIJNSH_6TensorESO_SO_EERKSO_lbbbEUlllE0_EEPmJS6_EEE10hipError_tPvRmT3_T4_T5_T6_T7_T9_mT8_P12ihipStream_tbDpT10_ENKUlT_T0_E_clISt17integral_constantIbLb1EES1E_EEDaS19_S1A_EUlS19_E_NS1_11comp_targetILNS1_3genE10ELNS1_11target_archE1200ELNS1_3gpuE4ELNS1_3repE0EEENS1_30default_config_static_selectorELNS0_4arch9wavefront6targetE0EEEvT1_.kd
    .uniform_work_group_size: 1
    .uses_dynamic_stack: false
    .vgpr_count:     0
    .vgpr_spill_count: 0
    .wavefront_size: 32
  - .args:
      - .offset:         0
        .size:           136
        .value_kind:     by_value
    .group_segment_fixed_size: 0
    .kernarg_segment_align: 8
    .kernarg_segment_size: 136
    .language:       OpenCL C
    .language_version:
      - 2
      - 0
    .max_flat_workgroup_size: 512
    .name:           _ZN7rocprim17ROCPRIM_400000_NS6detail17trampoline_kernelINS0_14default_configENS1_25partition_config_selectorILNS1_17partition_subalgoE8ElNS0_10empty_typeEbEEZZNS1_14partition_implILS5_8ELb0ES3_jPlPS6_PKS6_NS0_5tupleIJS9_S6_EEENSD_IJSA_SA_EEENS0_18inequality_wrapperIZN2at6native12_GLOBAL__N_124unique_dim_cuda_templateIN3c108BFloat16EEESt5tupleIJNSH_6TensorESO_SO_EERKSO_lbbbEUlllE0_EEPmJS6_EEE10hipError_tPvRmT3_T4_T5_T6_T7_T9_mT8_P12ihipStream_tbDpT10_ENKUlT_T0_E_clISt17integral_constantIbLb1EES1E_EEDaS19_S1A_EUlS19_E_NS1_11comp_targetILNS1_3genE9ELNS1_11target_archE1100ELNS1_3gpuE3ELNS1_3repE0EEENS1_30default_config_static_selectorELNS0_4arch9wavefront6targetE0EEEvT1_
    .private_segment_fixed_size: 0
    .sgpr_count:     0
    .sgpr_spill_count: 0
    .symbol:         _ZN7rocprim17ROCPRIM_400000_NS6detail17trampoline_kernelINS0_14default_configENS1_25partition_config_selectorILNS1_17partition_subalgoE8ElNS0_10empty_typeEbEEZZNS1_14partition_implILS5_8ELb0ES3_jPlPS6_PKS6_NS0_5tupleIJS9_S6_EEENSD_IJSA_SA_EEENS0_18inequality_wrapperIZN2at6native12_GLOBAL__N_124unique_dim_cuda_templateIN3c108BFloat16EEESt5tupleIJNSH_6TensorESO_SO_EERKSO_lbbbEUlllE0_EEPmJS6_EEE10hipError_tPvRmT3_T4_T5_T6_T7_T9_mT8_P12ihipStream_tbDpT10_ENKUlT_T0_E_clISt17integral_constantIbLb1EES1E_EEDaS19_S1A_EUlS19_E_NS1_11comp_targetILNS1_3genE9ELNS1_11target_archE1100ELNS1_3gpuE3ELNS1_3repE0EEENS1_30default_config_static_selectorELNS0_4arch9wavefront6targetE0EEEvT1_.kd
    .uniform_work_group_size: 1
    .uses_dynamic_stack: false
    .vgpr_count:     0
    .vgpr_spill_count: 0
    .wavefront_size: 32
  - .args:
      - .offset:         0
        .size:           136
        .value_kind:     by_value
    .group_segment_fixed_size: 0
    .kernarg_segment_align: 8
    .kernarg_segment_size: 136
    .language:       OpenCL C
    .language_version:
      - 2
      - 0
    .max_flat_workgroup_size: 512
    .name:           _ZN7rocprim17ROCPRIM_400000_NS6detail17trampoline_kernelINS0_14default_configENS1_25partition_config_selectorILNS1_17partition_subalgoE8ElNS0_10empty_typeEbEEZZNS1_14partition_implILS5_8ELb0ES3_jPlPS6_PKS6_NS0_5tupleIJS9_S6_EEENSD_IJSA_SA_EEENS0_18inequality_wrapperIZN2at6native12_GLOBAL__N_124unique_dim_cuda_templateIN3c108BFloat16EEESt5tupleIJNSH_6TensorESO_SO_EERKSO_lbbbEUlllE0_EEPmJS6_EEE10hipError_tPvRmT3_T4_T5_T6_T7_T9_mT8_P12ihipStream_tbDpT10_ENKUlT_T0_E_clISt17integral_constantIbLb1EES1E_EEDaS19_S1A_EUlS19_E_NS1_11comp_targetILNS1_3genE8ELNS1_11target_archE1030ELNS1_3gpuE2ELNS1_3repE0EEENS1_30default_config_static_selectorELNS0_4arch9wavefront6targetE0EEEvT1_
    .private_segment_fixed_size: 0
    .sgpr_count:     0
    .sgpr_spill_count: 0
    .symbol:         _ZN7rocprim17ROCPRIM_400000_NS6detail17trampoline_kernelINS0_14default_configENS1_25partition_config_selectorILNS1_17partition_subalgoE8ElNS0_10empty_typeEbEEZZNS1_14partition_implILS5_8ELb0ES3_jPlPS6_PKS6_NS0_5tupleIJS9_S6_EEENSD_IJSA_SA_EEENS0_18inequality_wrapperIZN2at6native12_GLOBAL__N_124unique_dim_cuda_templateIN3c108BFloat16EEESt5tupleIJNSH_6TensorESO_SO_EERKSO_lbbbEUlllE0_EEPmJS6_EEE10hipError_tPvRmT3_T4_T5_T6_T7_T9_mT8_P12ihipStream_tbDpT10_ENKUlT_T0_E_clISt17integral_constantIbLb1EES1E_EEDaS19_S1A_EUlS19_E_NS1_11comp_targetILNS1_3genE8ELNS1_11target_archE1030ELNS1_3gpuE2ELNS1_3repE0EEENS1_30default_config_static_selectorELNS0_4arch9wavefront6targetE0EEEvT1_.kd
    .uniform_work_group_size: 1
    .uses_dynamic_stack: false
    .vgpr_count:     0
    .vgpr_spill_count: 0
    .wavefront_size: 32
  - .args:
      - .offset:         0
        .size:           120
        .value_kind:     by_value
    .group_segment_fixed_size: 0
    .kernarg_segment_align: 8
    .kernarg_segment_size: 120
    .language:       OpenCL C
    .language_version:
      - 2
      - 0
    .max_flat_workgroup_size: 512
    .name:           _ZN7rocprim17ROCPRIM_400000_NS6detail17trampoline_kernelINS0_14default_configENS1_25partition_config_selectorILNS1_17partition_subalgoE8ElNS0_10empty_typeEbEEZZNS1_14partition_implILS5_8ELb0ES3_jPlPS6_PKS6_NS0_5tupleIJS9_S6_EEENSD_IJSA_SA_EEENS0_18inequality_wrapperIZN2at6native12_GLOBAL__N_124unique_dim_cuda_templateIN3c108BFloat16EEESt5tupleIJNSH_6TensorESO_SO_EERKSO_lbbbEUlllE0_EEPmJS6_EEE10hipError_tPvRmT3_T4_T5_T6_T7_T9_mT8_P12ihipStream_tbDpT10_ENKUlT_T0_E_clISt17integral_constantIbLb1EES1D_IbLb0EEEEDaS19_S1A_EUlS19_E_NS1_11comp_targetILNS1_3genE0ELNS1_11target_archE4294967295ELNS1_3gpuE0ELNS1_3repE0EEENS1_30default_config_static_selectorELNS0_4arch9wavefront6targetE0EEEvT1_
    .private_segment_fixed_size: 0
    .sgpr_count:     0
    .sgpr_spill_count: 0
    .symbol:         _ZN7rocprim17ROCPRIM_400000_NS6detail17trampoline_kernelINS0_14default_configENS1_25partition_config_selectorILNS1_17partition_subalgoE8ElNS0_10empty_typeEbEEZZNS1_14partition_implILS5_8ELb0ES3_jPlPS6_PKS6_NS0_5tupleIJS9_S6_EEENSD_IJSA_SA_EEENS0_18inequality_wrapperIZN2at6native12_GLOBAL__N_124unique_dim_cuda_templateIN3c108BFloat16EEESt5tupleIJNSH_6TensorESO_SO_EERKSO_lbbbEUlllE0_EEPmJS6_EEE10hipError_tPvRmT3_T4_T5_T6_T7_T9_mT8_P12ihipStream_tbDpT10_ENKUlT_T0_E_clISt17integral_constantIbLb1EES1D_IbLb0EEEEDaS19_S1A_EUlS19_E_NS1_11comp_targetILNS1_3genE0ELNS1_11target_archE4294967295ELNS1_3gpuE0ELNS1_3repE0EEENS1_30default_config_static_selectorELNS0_4arch9wavefront6targetE0EEEvT1_.kd
    .uniform_work_group_size: 1
    .uses_dynamic_stack: false
    .vgpr_count:     0
    .vgpr_spill_count: 0
    .wavefront_size: 32
  - .args:
      - .offset:         0
        .size:           120
        .value_kind:     by_value
    .group_segment_fixed_size: 0
    .kernarg_segment_align: 8
    .kernarg_segment_size: 120
    .language:       OpenCL C
    .language_version:
      - 2
      - 0
    .max_flat_workgroup_size: 512
    .name:           _ZN7rocprim17ROCPRIM_400000_NS6detail17trampoline_kernelINS0_14default_configENS1_25partition_config_selectorILNS1_17partition_subalgoE8ElNS0_10empty_typeEbEEZZNS1_14partition_implILS5_8ELb0ES3_jPlPS6_PKS6_NS0_5tupleIJS9_S6_EEENSD_IJSA_SA_EEENS0_18inequality_wrapperIZN2at6native12_GLOBAL__N_124unique_dim_cuda_templateIN3c108BFloat16EEESt5tupleIJNSH_6TensorESO_SO_EERKSO_lbbbEUlllE0_EEPmJS6_EEE10hipError_tPvRmT3_T4_T5_T6_T7_T9_mT8_P12ihipStream_tbDpT10_ENKUlT_T0_E_clISt17integral_constantIbLb1EES1D_IbLb0EEEEDaS19_S1A_EUlS19_E_NS1_11comp_targetILNS1_3genE5ELNS1_11target_archE942ELNS1_3gpuE9ELNS1_3repE0EEENS1_30default_config_static_selectorELNS0_4arch9wavefront6targetE0EEEvT1_
    .private_segment_fixed_size: 0
    .sgpr_count:     0
    .sgpr_spill_count: 0
    .symbol:         _ZN7rocprim17ROCPRIM_400000_NS6detail17trampoline_kernelINS0_14default_configENS1_25partition_config_selectorILNS1_17partition_subalgoE8ElNS0_10empty_typeEbEEZZNS1_14partition_implILS5_8ELb0ES3_jPlPS6_PKS6_NS0_5tupleIJS9_S6_EEENSD_IJSA_SA_EEENS0_18inequality_wrapperIZN2at6native12_GLOBAL__N_124unique_dim_cuda_templateIN3c108BFloat16EEESt5tupleIJNSH_6TensorESO_SO_EERKSO_lbbbEUlllE0_EEPmJS6_EEE10hipError_tPvRmT3_T4_T5_T6_T7_T9_mT8_P12ihipStream_tbDpT10_ENKUlT_T0_E_clISt17integral_constantIbLb1EES1D_IbLb0EEEEDaS19_S1A_EUlS19_E_NS1_11comp_targetILNS1_3genE5ELNS1_11target_archE942ELNS1_3gpuE9ELNS1_3repE0EEENS1_30default_config_static_selectorELNS0_4arch9wavefront6targetE0EEEvT1_.kd
    .uniform_work_group_size: 1
    .uses_dynamic_stack: false
    .vgpr_count:     0
    .vgpr_spill_count: 0
    .wavefront_size: 32
  - .args:
      - .offset:         0
        .size:           120
        .value_kind:     by_value
    .group_segment_fixed_size: 0
    .kernarg_segment_align: 8
    .kernarg_segment_size: 120
    .language:       OpenCL C
    .language_version:
      - 2
      - 0
    .max_flat_workgroup_size: 256
    .name:           _ZN7rocprim17ROCPRIM_400000_NS6detail17trampoline_kernelINS0_14default_configENS1_25partition_config_selectorILNS1_17partition_subalgoE8ElNS0_10empty_typeEbEEZZNS1_14partition_implILS5_8ELb0ES3_jPlPS6_PKS6_NS0_5tupleIJS9_S6_EEENSD_IJSA_SA_EEENS0_18inequality_wrapperIZN2at6native12_GLOBAL__N_124unique_dim_cuda_templateIN3c108BFloat16EEESt5tupleIJNSH_6TensorESO_SO_EERKSO_lbbbEUlllE0_EEPmJS6_EEE10hipError_tPvRmT3_T4_T5_T6_T7_T9_mT8_P12ihipStream_tbDpT10_ENKUlT_T0_E_clISt17integral_constantIbLb1EES1D_IbLb0EEEEDaS19_S1A_EUlS19_E_NS1_11comp_targetILNS1_3genE4ELNS1_11target_archE910ELNS1_3gpuE8ELNS1_3repE0EEENS1_30default_config_static_selectorELNS0_4arch9wavefront6targetE0EEEvT1_
    .private_segment_fixed_size: 0
    .sgpr_count:     0
    .sgpr_spill_count: 0
    .symbol:         _ZN7rocprim17ROCPRIM_400000_NS6detail17trampoline_kernelINS0_14default_configENS1_25partition_config_selectorILNS1_17partition_subalgoE8ElNS0_10empty_typeEbEEZZNS1_14partition_implILS5_8ELb0ES3_jPlPS6_PKS6_NS0_5tupleIJS9_S6_EEENSD_IJSA_SA_EEENS0_18inequality_wrapperIZN2at6native12_GLOBAL__N_124unique_dim_cuda_templateIN3c108BFloat16EEESt5tupleIJNSH_6TensorESO_SO_EERKSO_lbbbEUlllE0_EEPmJS6_EEE10hipError_tPvRmT3_T4_T5_T6_T7_T9_mT8_P12ihipStream_tbDpT10_ENKUlT_T0_E_clISt17integral_constantIbLb1EES1D_IbLb0EEEEDaS19_S1A_EUlS19_E_NS1_11comp_targetILNS1_3genE4ELNS1_11target_archE910ELNS1_3gpuE8ELNS1_3repE0EEENS1_30default_config_static_selectorELNS0_4arch9wavefront6targetE0EEEvT1_.kd
    .uniform_work_group_size: 1
    .uses_dynamic_stack: false
    .vgpr_count:     0
    .vgpr_spill_count: 0
    .wavefront_size: 32
  - .args:
      - .offset:         0
        .size:           120
        .value_kind:     by_value
    .group_segment_fixed_size: 0
    .kernarg_segment_align: 8
    .kernarg_segment_size: 120
    .language:       OpenCL C
    .language_version:
      - 2
      - 0
    .max_flat_workgroup_size: 512
    .name:           _ZN7rocprim17ROCPRIM_400000_NS6detail17trampoline_kernelINS0_14default_configENS1_25partition_config_selectorILNS1_17partition_subalgoE8ElNS0_10empty_typeEbEEZZNS1_14partition_implILS5_8ELb0ES3_jPlPS6_PKS6_NS0_5tupleIJS9_S6_EEENSD_IJSA_SA_EEENS0_18inequality_wrapperIZN2at6native12_GLOBAL__N_124unique_dim_cuda_templateIN3c108BFloat16EEESt5tupleIJNSH_6TensorESO_SO_EERKSO_lbbbEUlllE0_EEPmJS6_EEE10hipError_tPvRmT3_T4_T5_T6_T7_T9_mT8_P12ihipStream_tbDpT10_ENKUlT_T0_E_clISt17integral_constantIbLb1EES1D_IbLb0EEEEDaS19_S1A_EUlS19_E_NS1_11comp_targetILNS1_3genE3ELNS1_11target_archE908ELNS1_3gpuE7ELNS1_3repE0EEENS1_30default_config_static_selectorELNS0_4arch9wavefront6targetE0EEEvT1_
    .private_segment_fixed_size: 0
    .sgpr_count:     0
    .sgpr_spill_count: 0
    .symbol:         _ZN7rocprim17ROCPRIM_400000_NS6detail17trampoline_kernelINS0_14default_configENS1_25partition_config_selectorILNS1_17partition_subalgoE8ElNS0_10empty_typeEbEEZZNS1_14partition_implILS5_8ELb0ES3_jPlPS6_PKS6_NS0_5tupleIJS9_S6_EEENSD_IJSA_SA_EEENS0_18inequality_wrapperIZN2at6native12_GLOBAL__N_124unique_dim_cuda_templateIN3c108BFloat16EEESt5tupleIJNSH_6TensorESO_SO_EERKSO_lbbbEUlllE0_EEPmJS6_EEE10hipError_tPvRmT3_T4_T5_T6_T7_T9_mT8_P12ihipStream_tbDpT10_ENKUlT_T0_E_clISt17integral_constantIbLb1EES1D_IbLb0EEEEDaS19_S1A_EUlS19_E_NS1_11comp_targetILNS1_3genE3ELNS1_11target_archE908ELNS1_3gpuE7ELNS1_3repE0EEENS1_30default_config_static_selectorELNS0_4arch9wavefront6targetE0EEEvT1_.kd
    .uniform_work_group_size: 1
    .uses_dynamic_stack: false
    .vgpr_count:     0
    .vgpr_spill_count: 0
    .wavefront_size: 32
  - .args:
      - .offset:         0
        .size:           120
        .value_kind:     by_value
    .group_segment_fixed_size: 0
    .kernarg_segment_align: 8
    .kernarg_segment_size: 120
    .language:       OpenCL C
    .language_version:
      - 2
      - 0
    .max_flat_workgroup_size: 256
    .name:           _ZN7rocprim17ROCPRIM_400000_NS6detail17trampoline_kernelINS0_14default_configENS1_25partition_config_selectorILNS1_17partition_subalgoE8ElNS0_10empty_typeEbEEZZNS1_14partition_implILS5_8ELb0ES3_jPlPS6_PKS6_NS0_5tupleIJS9_S6_EEENSD_IJSA_SA_EEENS0_18inequality_wrapperIZN2at6native12_GLOBAL__N_124unique_dim_cuda_templateIN3c108BFloat16EEESt5tupleIJNSH_6TensorESO_SO_EERKSO_lbbbEUlllE0_EEPmJS6_EEE10hipError_tPvRmT3_T4_T5_T6_T7_T9_mT8_P12ihipStream_tbDpT10_ENKUlT_T0_E_clISt17integral_constantIbLb1EES1D_IbLb0EEEEDaS19_S1A_EUlS19_E_NS1_11comp_targetILNS1_3genE2ELNS1_11target_archE906ELNS1_3gpuE6ELNS1_3repE0EEENS1_30default_config_static_selectorELNS0_4arch9wavefront6targetE0EEEvT1_
    .private_segment_fixed_size: 0
    .sgpr_count:     0
    .sgpr_spill_count: 0
    .symbol:         _ZN7rocprim17ROCPRIM_400000_NS6detail17trampoline_kernelINS0_14default_configENS1_25partition_config_selectorILNS1_17partition_subalgoE8ElNS0_10empty_typeEbEEZZNS1_14partition_implILS5_8ELb0ES3_jPlPS6_PKS6_NS0_5tupleIJS9_S6_EEENSD_IJSA_SA_EEENS0_18inequality_wrapperIZN2at6native12_GLOBAL__N_124unique_dim_cuda_templateIN3c108BFloat16EEESt5tupleIJNSH_6TensorESO_SO_EERKSO_lbbbEUlllE0_EEPmJS6_EEE10hipError_tPvRmT3_T4_T5_T6_T7_T9_mT8_P12ihipStream_tbDpT10_ENKUlT_T0_E_clISt17integral_constantIbLb1EES1D_IbLb0EEEEDaS19_S1A_EUlS19_E_NS1_11comp_targetILNS1_3genE2ELNS1_11target_archE906ELNS1_3gpuE6ELNS1_3repE0EEENS1_30default_config_static_selectorELNS0_4arch9wavefront6targetE0EEEvT1_.kd
    .uniform_work_group_size: 1
    .uses_dynamic_stack: false
    .vgpr_count:     0
    .vgpr_spill_count: 0
    .wavefront_size: 32
  - .args:
      - .offset:         0
        .size:           120
        .value_kind:     by_value
    .group_segment_fixed_size: 0
    .kernarg_segment_align: 8
    .kernarg_segment_size: 120
    .language:       OpenCL C
    .language_version:
      - 2
      - 0
    .max_flat_workgroup_size: 384
    .name:           _ZN7rocprim17ROCPRIM_400000_NS6detail17trampoline_kernelINS0_14default_configENS1_25partition_config_selectorILNS1_17partition_subalgoE8ElNS0_10empty_typeEbEEZZNS1_14partition_implILS5_8ELb0ES3_jPlPS6_PKS6_NS0_5tupleIJS9_S6_EEENSD_IJSA_SA_EEENS0_18inequality_wrapperIZN2at6native12_GLOBAL__N_124unique_dim_cuda_templateIN3c108BFloat16EEESt5tupleIJNSH_6TensorESO_SO_EERKSO_lbbbEUlllE0_EEPmJS6_EEE10hipError_tPvRmT3_T4_T5_T6_T7_T9_mT8_P12ihipStream_tbDpT10_ENKUlT_T0_E_clISt17integral_constantIbLb1EES1D_IbLb0EEEEDaS19_S1A_EUlS19_E_NS1_11comp_targetILNS1_3genE10ELNS1_11target_archE1200ELNS1_3gpuE4ELNS1_3repE0EEENS1_30default_config_static_selectorELNS0_4arch9wavefront6targetE0EEEvT1_
    .private_segment_fixed_size: 0
    .sgpr_count:     0
    .sgpr_spill_count: 0
    .symbol:         _ZN7rocprim17ROCPRIM_400000_NS6detail17trampoline_kernelINS0_14default_configENS1_25partition_config_selectorILNS1_17partition_subalgoE8ElNS0_10empty_typeEbEEZZNS1_14partition_implILS5_8ELb0ES3_jPlPS6_PKS6_NS0_5tupleIJS9_S6_EEENSD_IJSA_SA_EEENS0_18inequality_wrapperIZN2at6native12_GLOBAL__N_124unique_dim_cuda_templateIN3c108BFloat16EEESt5tupleIJNSH_6TensorESO_SO_EERKSO_lbbbEUlllE0_EEPmJS6_EEE10hipError_tPvRmT3_T4_T5_T6_T7_T9_mT8_P12ihipStream_tbDpT10_ENKUlT_T0_E_clISt17integral_constantIbLb1EES1D_IbLb0EEEEDaS19_S1A_EUlS19_E_NS1_11comp_targetILNS1_3genE10ELNS1_11target_archE1200ELNS1_3gpuE4ELNS1_3repE0EEENS1_30default_config_static_selectorELNS0_4arch9wavefront6targetE0EEEvT1_.kd
    .uniform_work_group_size: 1
    .uses_dynamic_stack: false
    .vgpr_count:     0
    .vgpr_spill_count: 0
    .wavefront_size: 32
  - .args:
      - .offset:         0
        .size:           120
        .value_kind:     by_value
    .group_segment_fixed_size: 0
    .kernarg_segment_align: 8
    .kernarg_segment_size: 120
    .language:       OpenCL C
    .language_version:
      - 2
      - 0
    .max_flat_workgroup_size: 512
    .name:           _ZN7rocprim17ROCPRIM_400000_NS6detail17trampoline_kernelINS0_14default_configENS1_25partition_config_selectorILNS1_17partition_subalgoE8ElNS0_10empty_typeEbEEZZNS1_14partition_implILS5_8ELb0ES3_jPlPS6_PKS6_NS0_5tupleIJS9_S6_EEENSD_IJSA_SA_EEENS0_18inequality_wrapperIZN2at6native12_GLOBAL__N_124unique_dim_cuda_templateIN3c108BFloat16EEESt5tupleIJNSH_6TensorESO_SO_EERKSO_lbbbEUlllE0_EEPmJS6_EEE10hipError_tPvRmT3_T4_T5_T6_T7_T9_mT8_P12ihipStream_tbDpT10_ENKUlT_T0_E_clISt17integral_constantIbLb1EES1D_IbLb0EEEEDaS19_S1A_EUlS19_E_NS1_11comp_targetILNS1_3genE9ELNS1_11target_archE1100ELNS1_3gpuE3ELNS1_3repE0EEENS1_30default_config_static_selectorELNS0_4arch9wavefront6targetE0EEEvT1_
    .private_segment_fixed_size: 0
    .sgpr_count:     0
    .sgpr_spill_count: 0
    .symbol:         _ZN7rocprim17ROCPRIM_400000_NS6detail17trampoline_kernelINS0_14default_configENS1_25partition_config_selectorILNS1_17partition_subalgoE8ElNS0_10empty_typeEbEEZZNS1_14partition_implILS5_8ELb0ES3_jPlPS6_PKS6_NS0_5tupleIJS9_S6_EEENSD_IJSA_SA_EEENS0_18inequality_wrapperIZN2at6native12_GLOBAL__N_124unique_dim_cuda_templateIN3c108BFloat16EEESt5tupleIJNSH_6TensorESO_SO_EERKSO_lbbbEUlllE0_EEPmJS6_EEE10hipError_tPvRmT3_T4_T5_T6_T7_T9_mT8_P12ihipStream_tbDpT10_ENKUlT_T0_E_clISt17integral_constantIbLb1EES1D_IbLb0EEEEDaS19_S1A_EUlS19_E_NS1_11comp_targetILNS1_3genE9ELNS1_11target_archE1100ELNS1_3gpuE3ELNS1_3repE0EEENS1_30default_config_static_selectorELNS0_4arch9wavefront6targetE0EEEvT1_.kd
    .uniform_work_group_size: 1
    .uses_dynamic_stack: false
    .vgpr_count:     0
    .vgpr_spill_count: 0
    .wavefront_size: 32
  - .args:
      - .offset:         0
        .size:           120
        .value_kind:     by_value
    .group_segment_fixed_size: 0
    .kernarg_segment_align: 8
    .kernarg_segment_size: 120
    .language:       OpenCL C
    .language_version:
      - 2
      - 0
    .max_flat_workgroup_size: 512
    .name:           _ZN7rocprim17ROCPRIM_400000_NS6detail17trampoline_kernelINS0_14default_configENS1_25partition_config_selectorILNS1_17partition_subalgoE8ElNS0_10empty_typeEbEEZZNS1_14partition_implILS5_8ELb0ES3_jPlPS6_PKS6_NS0_5tupleIJS9_S6_EEENSD_IJSA_SA_EEENS0_18inequality_wrapperIZN2at6native12_GLOBAL__N_124unique_dim_cuda_templateIN3c108BFloat16EEESt5tupleIJNSH_6TensorESO_SO_EERKSO_lbbbEUlllE0_EEPmJS6_EEE10hipError_tPvRmT3_T4_T5_T6_T7_T9_mT8_P12ihipStream_tbDpT10_ENKUlT_T0_E_clISt17integral_constantIbLb1EES1D_IbLb0EEEEDaS19_S1A_EUlS19_E_NS1_11comp_targetILNS1_3genE8ELNS1_11target_archE1030ELNS1_3gpuE2ELNS1_3repE0EEENS1_30default_config_static_selectorELNS0_4arch9wavefront6targetE0EEEvT1_
    .private_segment_fixed_size: 0
    .sgpr_count:     0
    .sgpr_spill_count: 0
    .symbol:         _ZN7rocprim17ROCPRIM_400000_NS6detail17trampoline_kernelINS0_14default_configENS1_25partition_config_selectorILNS1_17partition_subalgoE8ElNS0_10empty_typeEbEEZZNS1_14partition_implILS5_8ELb0ES3_jPlPS6_PKS6_NS0_5tupleIJS9_S6_EEENSD_IJSA_SA_EEENS0_18inequality_wrapperIZN2at6native12_GLOBAL__N_124unique_dim_cuda_templateIN3c108BFloat16EEESt5tupleIJNSH_6TensorESO_SO_EERKSO_lbbbEUlllE0_EEPmJS6_EEE10hipError_tPvRmT3_T4_T5_T6_T7_T9_mT8_P12ihipStream_tbDpT10_ENKUlT_T0_E_clISt17integral_constantIbLb1EES1D_IbLb0EEEEDaS19_S1A_EUlS19_E_NS1_11comp_targetILNS1_3genE8ELNS1_11target_archE1030ELNS1_3gpuE2ELNS1_3repE0EEENS1_30default_config_static_selectorELNS0_4arch9wavefront6targetE0EEEvT1_.kd
    .uniform_work_group_size: 1
    .uses_dynamic_stack: false
    .vgpr_count:     0
    .vgpr_spill_count: 0
    .wavefront_size: 32
  - .args:
      - .offset:         0
        .size:           136
        .value_kind:     by_value
    .group_segment_fixed_size: 28680
    .kernarg_segment_align: 8
    .kernarg_segment_size: 136
    .language:       OpenCL C
    .language_version:
      - 2
      - 0
    .max_flat_workgroup_size: 512
    .name:           _ZN7rocprim17ROCPRIM_400000_NS6detail17trampoline_kernelINS0_14default_configENS1_25partition_config_selectorILNS1_17partition_subalgoE8ElNS0_10empty_typeEbEEZZNS1_14partition_implILS5_8ELb0ES3_jPlPS6_PKS6_NS0_5tupleIJS9_S6_EEENSD_IJSA_SA_EEENS0_18inequality_wrapperIZN2at6native12_GLOBAL__N_124unique_dim_cuda_templateIN3c108BFloat16EEESt5tupleIJNSH_6TensorESO_SO_EERKSO_lbbbEUlllE0_EEPmJS6_EEE10hipError_tPvRmT3_T4_T5_T6_T7_T9_mT8_P12ihipStream_tbDpT10_ENKUlT_T0_E_clISt17integral_constantIbLb0EES1D_IbLb1EEEEDaS19_S1A_EUlS19_E_NS1_11comp_targetILNS1_3genE0ELNS1_11target_archE4294967295ELNS1_3gpuE0ELNS1_3repE0EEENS1_30default_config_static_selectorELNS0_4arch9wavefront6targetE0EEEvT1_
    .private_segment_fixed_size: 0
    .sgpr_count:     38
    .sgpr_spill_count: 0
    .symbol:         _ZN7rocprim17ROCPRIM_400000_NS6detail17trampoline_kernelINS0_14default_configENS1_25partition_config_selectorILNS1_17partition_subalgoE8ElNS0_10empty_typeEbEEZZNS1_14partition_implILS5_8ELb0ES3_jPlPS6_PKS6_NS0_5tupleIJS9_S6_EEENSD_IJSA_SA_EEENS0_18inequality_wrapperIZN2at6native12_GLOBAL__N_124unique_dim_cuda_templateIN3c108BFloat16EEESt5tupleIJNSH_6TensorESO_SO_EERKSO_lbbbEUlllE0_EEPmJS6_EEE10hipError_tPvRmT3_T4_T5_T6_T7_T9_mT8_P12ihipStream_tbDpT10_ENKUlT_T0_E_clISt17integral_constantIbLb0EES1D_IbLb1EEEEDaS19_S1A_EUlS19_E_NS1_11comp_targetILNS1_3genE0ELNS1_11target_archE4294967295ELNS1_3gpuE0ELNS1_3repE0EEENS1_30default_config_static_selectorELNS0_4arch9wavefront6targetE0EEEvT1_.kd
    .uniform_work_group_size: 1
    .uses_dynamic_stack: false
    .vgpr_count:     53
    .vgpr_spill_count: 0
    .wavefront_size: 32
  - .args:
      - .offset:         0
        .size:           136
        .value_kind:     by_value
    .group_segment_fixed_size: 0
    .kernarg_segment_align: 8
    .kernarg_segment_size: 136
    .language:       OpenCL C
    .language_version:
      - 2
      - 0
    .max_flat_workgroup_size: 512
    .name:           _ZN7rocprim17ROCPRIM_400000_NS6detail17trampoline_kernelINS0_14default_configENS1_25partition_config_selectorILNS1_17partition_subalgoE8ElNS0_10empty_typeEbEEZZNS1_14partition_implILS5_8ELb0ES3_jPlPS6_PKS6_NS0_5tupleIJS9_S6_EEENSD_IJSA_SA_EEENS0_18inequality_wrapperIZN2at6native12_GLOBAL__N_124unique_dim_cuda_templateIN3c108BFloat16EEESt5tupleIJNSH_6TensorESO_SO_EERKSO_lbbbEUlllE0_EEPmJS6_EEE10hipError_tPvRmT3_T4_T5_T6_T7_T9_mT8_P12ihipStream_tbDpT10_ENKUlT_T0_E_clISt17integral_constantIbLb0EES1D_IbLb1EEEEDaS19_S1A_EUlS19_E_NS1_11comp_targetILNS1_3genE5ELNS1_11target_archE942ELNS1_3gpuE9ELNS1_3repE0EEENS1_30default_config_static_selectorELNS0_4arch9wavefront6targetE0EEEvT1_
    .private_segment_fixed_size: 0
    .sgpr_count:     0
    .sgpr_spill_count: 0
    .symbol:         _ZN7rocprim17ROCPRIM_400000_NS6detail17trampoline_kernelINS0_14default_configENS1_25partition_config_selectorILNS1_17partition_subalgoE8ElNS0_10empty_typeEbEEZZNS1_14partition_implILS5_8ELb0ES3_jPlPS6_PKS6_NS0_5tupleIJS9_S6_EEENSD_IJSA_SA_EEENS0_18inequality_wrapperIZN2at6native12_GLOBAL__N_124unique_dim_cuda_templateIN3c108BFloat16EEESt5tupleIJNSH_6TensorESO_SO_EERKSO_lbbbEUlllE0_EEPmJS6_EEE10hipError_tPvRmT3_T4_T5_T6_T7_T9_mT8_P12ihipStream_tbDpT10_ENKUlT_T0_E_clISt17integral_constantIbLb0EES1D_IbLb1EEEEDaS19_S1A_EUlS19_E_NS1_11comp_targetILNS1_3genE5ELNS1_11target_archE942ELNS1_3gpuE9ELNS1_3repE0EEENS1_30default_config_static_selectorELNS0_4arch9wavefront6targetE0EEEvT1_.kd
    .uniform_work_group_size: 1
    .uses_dynamic_stack: false
    .vgpr_count:     0
    .vgpr_spill_count: 0
    .wavefront_size: 32
  - .args:
      - .offset:         0
        .size:           136
        .value_kind:     by_value
    .group_segment_fixed_size: 0
    .kernarg_segment_align: 8
    .kernarg_segment_size: 136
    .language:       OpenCL C
    .language_version:
      - 2
      - 0
    .max_flat_workgroup_size: 256
    .name:           _ZN7rocprim17ROCPRIM_400000_NS6detail17trampoline_kernelINS0_14default_configENS1_25partition_config_selectorILNS1_17partition_subalgoE8ElNS0_10empty_typeEbEEZZNS1_14partition_implILS5_8ELb0ES3_jPlPS6_PKS6_NS0_5tupleIJS9_S6_EEENSD_IJSA_SA_EEENS0_18inequality_wrapperIZN2at6native12_GLOBAL__N_124unique_dim_cuda_templateIN3c108BFloat16EEESt5tupleIJNSH_6TensorESO_SO_EERKSO_lbbbEUlllE0_EEPmJS6_EEE10hipError_tPvRmT3_T4_T5_T6_T7_T9_mT8_P12ihipStream_tbDpT10_ENKUlT_T0_E_clISt17integral_constantIbLb0EES1D_IbLb1EEEEDaS19_S1A_EUlS19_E_NS1_11comp_targetILNS1_3genE4ELNS1_11target_archE910ELNS1_3gpuE8ELNS1_3repE0EEENS1_30default_config_static_selectorELNS0_4arch9wavefront6targetE0EEEvT1_
    .private_segment_fixed_size: 0
    .sgpr_count:     0
    .sgpr_spill_count: 0
    .symbol:         _ZN7rocprim17ROCPRIM_400000_NS6detail17trampoline_kernelINS0_14default_configENS1_25partition_config_selectorILNS1_17partition_subalgoE8ElNS0_10empty_typeEbEEZZNS1_14partition_implILS5_8ELb0ES3_jPlPS6_PKS6_NS0_5tupleIJS9_S6_EEENSD_IJSA_SA_EEENS0_18inequality_wrapperIZN2at6native12_GLOBAL__N_124unique_dim_cuda_templateIN3c108BFloat16EEESt5tupleIJNSH_6TensorESO_SO_EERKSO_lbbbEUlllE0_EEPmJS6_EEE10hipError_tPvRmT3_T4_T5_T6_T7_T9_mT8_P12ihipStream_tbDpT10_ENKUlT_T0_E_clISt17integral_constantIbLb0EES1D_IbLb1EEEEDaS19_S1A_EUlS19_E_NS1_11comp_targetILNS1_3genE4ELNS1_11target_archE910ELNS1_3gpuE8ELNS1_3repE0EEENS1_30default_config_static_selectorELNS0_4arch9wavefront6targetE0EEEvT1_.kd
    .uniform_work_group_size: 1
    .uses_dynamic_stack: false
    .vgpr_count:     0
    .vgpr_spill_count: 0
    .wavefront_size: 32
  - .args:
      - .offset:         0
        .size:           136
        .value_kind:     by_value
    .group_segment_fixed_size: 0
    .kernarg_segment_align: 8
    .kernarg_segment_size: 136
    .language:       OpenCL C
    .language_version:
      - 2
      - 0
    .max_flat_workgroup_size: 512
    .name:           _ZN7rocprim17ROCPRIM_400000_NS6detail17trampoline_kernelINS0_14default_configENS1_25partition_config_selectorILNS1_17partition_subalgoE8ElNS0_10empty_typeEbEEZZNS1_14partition_implILS5_8ELb0ES3_jPlPS6_PKS6_NS0_5tupleIJS9_S6_EEENSD_IJSA_SA_EEENS0_18inequality_wrapperIZN2at6native12_GLOBAL__N_124unique_dim_cuda_templateIN3c108BFloat16EEESt5tupleIJNSH_6TensorESO_SO_EERKSO_lbbbEUlllE0_EEPmJS6_EEE10hipError_tPvRmT3_T4_T5_T6_T7_T9_mT8_P12ihipStream_tbDpT10_ENKUlT_T0_E_clISt17integral_constantIbLb0EES1D_IbLb1EEEEDaS19_S1A_EUlS19_E_NS1_11comp_targetILNS1_3genE3ELNS1_11target_archE908ELNS1_3gpuE7ELNS1_3repE0EEENS1_30default_config_static_selectorELNS0_4arch9wavefront6targetE0EEEvT1_
    .private_segment_fixed_size: 0
    .sgpr_count:     0
    .sgpr_spill_count: 0
    .symbol:         _ZN7rocprim17ROCPRIM_400000_NS6detail17trampoline_kernelINS0_14default_configENS1_25partition_config_selectorILNS1_17partition_subalgoE8ElNS0_10empty_typeEbEEZZNS1_14partition_implILS5_8ELb0ES3_jPlPS6_PKS6_NS0_5tupleIJS9_S6_EEENSD_IJSA_SA_EEENS0_18inequality_wrapperIZN2at6native12_GLOBAL__N_124unique_dim_cuda_templateIN3c108BFloat16EEESt5tupleIJNSH_6TensorESO_SO_EERKSO_lbbbEUlllE0_EEPmJS6_EEE10hipError_tPvRmT3_T4_T5_T6_T7_T9_mT8_P12ihipStream_tbDpT10_ENKUlT_T0_E_clISt17integral_constantIbLb0EES1D_IbLb1EEEEDaS19_S1A_EUlS19_E_NS1_11comp_targetILNS1_3genE3ELNS1_11target_archE908ELNS1_3gpuE7ELNS1_3repE0EEENS1_30default_config_static_selectorELNS0_4arch9wavefront6targetE0EEEvT1_.kd
    .uniform_work_group_size: 1
    .uses_dynamic_stack: false
    .vgpr_count:     0
    .vgpr_spill_count: 0
    .wavefront_size: 32
  - .args:
      - .offset:         0
        .size:           136
        .value_kind:     by_value
    .group_segment_fixed_size: 0
    .kernarg_segment_align: 8
    .kernarg_segment_size: 136
    .language:       OpenCL C
    .language_version:
      - 2
      - 0
    .max_flat_workgroup_size: 256
    .name:           _ZN7rocprim17ROCPRIM_400000_NS6detail17trampoline_kernelINS0_14default_configENS1_25partition_config_selectorILNS1_17partition_subalgoE8ElNS0_10empty_typeEbEEZZNS1_14partition_implILS5_8ELb0ES3_jPlPS6_PKS6_NS0_5tupleIJS9_S6_EEENSD_IJSA_SA_EEENS0_18inequality_wrapperIZN2at6native12_GLOBAL__N_124unique_dim_cuda_templateIN3c108BFloat16EEESt5tupleIJNSH_6TensorESO_SO_EERKSO_lbbbEUlllE0_EEPmJS6_EEE10hipError_tPvRmT3_T4_T5_T6_T7_T9_mT8_P12ihipStream_tbDpT10_ENKUlT_T0_E_clISt17integral_constantIbLb0EES1D_IbLb1EEEEDaS19_S1A_EUlS19_E_NS1_11comp_targetILNS1_3genE2ELNS1_11target_archE906ELNS1_3gpuE6ELNS1_3repE0EEENS1_30default_config_static_selectorELNS0_4arch9wavefront6targetE0EEEvT1_
    .private_segment_fixed_size: 0
    .sgpr_count:     0
    .sgpr_spill_count: 0
    .symbol:         _ZN7rocprim17ROCPRIM_400000_NS6detail17trampoline_kernelINS0_14default_configENS1_25partition_config_selectorILNS1_17partition_subalgoE8ElNS0_10empty_typeEbEEZZNS1_14partition_implILS5_8ELb0ES3_jPlPS6_PKS6_NS0_5tupleIJS9_S6_EEENSD_IJSA_SA_EEENS0_18inequality_wrapperIZN2at6native12_GLOBAL__N_124unique_dim_cuda_templateIN3c108BFloat16EEESt5tupleIJNSH_6TensorESO_SO_EERKSO_lbbbEUlllE0_EEPmJS6_EEE10hipError_tPvRmT3_T4_T5_T6_T7_T9_mT8_P12ihipStream_tbDpT10_ENKUlT_T0_E_clISt17integral_constantIbLb0EES1D_IbLb1EEEEDaS19_S1A_EUlS19_E_NS1_11comp_targetILNS1_3genE2ELNS1_11target_archE906ELNS1_3gpuE6ELNS1_3repE0EEENS1_30default_config_static_selectorELNS0_4arch9wavefront6targetE0EEEvT1_.kd
    .uniform_work_group_size: 1
    .uses_dynamic_stack: false
    .vgpr_count:     0
    .vgpr_spill_count: 0
    .wavefront_size: 32
  - .args:
      - .offset:         0
        .size:           136
        .value_kind:     by_value
    .group_segment_fixed_size: 0
    .kernarg_segment_align: 8
    .kernarg_segment_size: 136
    .language:       OpenCL C
    .language_version:
      - 2
      - 0
    .max_flat_workgroup_size: 384
    .name:           _ZN7rocprim17ROCPRIM_400000_NS6detail17trampoline_kernelINS0_14default_configENS1_25partition_config_selectorILNS1_17partition_subalgoE8ElNS0_10empty_typeEbEEZZNS1_14partition_implILS5_8ELb0ES3_jPlPS6_PKS6_NS0_5tupleIJS9_S6_EEENSD_IJSA_SA_EEENS0_18inequality_wrapperIZN2at6native12_GLOBAL__N_124unique_dim_cuda_templateIN3c108BFloat16EEESt5tupleIJNSH_6TensorESO_SO_EERKSO_lbbbEUlllE0_EEPmJS6_EEE10hipError_tPvRmT3_T4_T5_T6_T7_T9_mT8_P12ihipStream_tbDpT10_ENKUlT_T0_E_clISt17integral_constantIbLb0EES1D_IbLb1EEEEDaS19_S1A_EUlS19_E_NS1_11comp_targetILNS1_3genE10ELNS1_11target_archE1200ELNS1_3gpuE4ELNS1_3repE0EEENS1_30default_config_static_selectorELNS0_4arch9wavefront6targetE0EEEvT1_
    .private_segment_fixed_size: 0
    .sgpr_count:     0
    .sgpr_spill_count: 0
    .symbol:         _ZN7rocprim17ROCPRIM_400000_NS6detail17trampoline_kernelINS0_14default_configENS1_25partition_config_selectorILNS1_17partition_subalgoE8ElNS0_10empty_typeEbEEZZNS1_14partition_implILS5_8ELb0ES3_jPlPS6_PKS6_NS0_5tupleIJS9_S6_EEENSD_IJSA_SA_EEENS0_18inequality_wrapperIZN2at6native12_GLOBAL__N_124unique_dim_cuda_templateIN3c108BFloat16EEESt5tupleIJNSH_6TensorESO_SO_EERKSO_lbbbEUlllE0_EEPmJS6_EEE10hipError_tPvRmT3_T4_T5_T6_T7_T9_mT8_P12ihipStream_tbDpT10_ENKUlT_T0_E_clISt17integral_constantIbLb0EES1D_IbLb1EEEEDaS19_S1A_EUlS19_E_NS1_11comp_targetILNS1_3genE10ELNS1_11target_archE1200ELNS1_3gpuE4ELNS1_3repE0EEENS1_30default_config_static_selectorELNS0_4arch9wavefront6targetE0EEEvT1_.kd
    .uniform_work_group_size: 1
    .uses_dynamic_stack: false
    .vgpr_count:     0
    .vgpr_spill_count: 0
    .wavefront_size: 32
  - .args:
      - .offset:         0
        .size:           136
        .value_kind:     by_value
    .group_segment_fixed_size: 0
    .kernarg_segment_align: 8
    .kernarg_segment_size: 136
    .language:       OpenCL C
    .language_version:
      - 2
      - 0
    .max_flat_workgroup_size: 512
    .name:           _ZN7rocprim17ROCPRIM_400000_NS6detail17trampoline_kernelINS0_14default_configENS1_25partition_config_selectorILNS1_17partition_subalgoE8ElNS0_10empty_typeEbEEZZNS1_14partition_implILS5_8ELb0ES3_jPlPS6_PKS6_NS0_5tupleIJS9_S6_EEENSD_IJSA_SA_EEENS0_18inequality_wrapperIZN2at6native12_GLOBAL__N_124unique_dim_cuda_templateIN3c108BFloat16EEESt5tupleIJNSH_6TensorESO_SO_EERKSO_lbbbEUlllE0_EEPmJS6_EEE10hipError_tPvRmT3_T4_T5_T6_T7_T9_mT8_P12ihipStream_tbDpT10_ENKUlT_T0_E_clISt17integral_constantIbLb0EES1D_IbLb1EEEEDaS19_S1A_EUlS19_E_NS1_11comp_targetILNS1_3genE9ELNS1_11target_archE1100ELNS1_3gpuE3ELNS1_3repE0EEENS1_30default_config_static_selectorELNS0_4arch9wavefront6targetE0EEEvT1_
    .private_segment_fixed_size: 0
    .sgpr_count:     0
    .sgpr_spill_count: 0
    .symbol:         _ZN7rocprim17ROCPRIM_400000_NS6detail17trampoline_kernelINS0_14default_configENS1_25partition_config_selectorILNS1_17partition_subalgoE8ElNS0_10empty_typeEbEEZZNS1_14partition_implILS5_8ELb0ES3_jPlPS6_PKS6_NS0_5tupleIJS9_S6_EEENSD_IJSA_SA_EEENS0_18inequality_wrapperIZN2at6native12_GLOBAL__N_124unique_dim_cuda_templateIN3c108BFloat16EEESt5tupleIJNSH_6TensorESO_SO_EERKSO_lbbbEUlllE0_EEPmJS6_EEE10hipError_tPvRmT3_T4_T5_T6_T7_T9_mT8_P12ihipStream_tbDpT10_ENKUlT_T0_E_clISt17integral_constantIbLb0EES1D_IbLb1EEEEDaS19_S1A_EUlS19_E_NS1_11comp_targetILNS1_3genE9ELNS1_11target_archE1100ELNS1_3gpuE3ELNS1_3repE0EEENS1_30default_config_static_selectorELNS0_4arch9wavefront6targetE0EEEvT1_.kd
    .uniform_work_group_size: 1
    .uses_dynamic_stack: false
    .vgpr_count:     0
    .vgpr_spill_count: 0
    .wavefront_size: 32
  - .args:
      - .offset:         0
        .size:           136
        .value_kind:     by_value
    .group_segment_fixed_size: 0
    .kernarg_segment_align: 8
    .kernarg_segment_size: 136
    .language:       OpenCL C
    .language_version:
      - 2
      - 0
    .max_flat_workgroup_size: 512
    .name:           _ZN7rocprim17ROCPRIM_400000_NS6detail17trampoline_kernelINS0_14default_configENS1_25partition_config_selectorILNS1_17partition_subalgoE8ElNS0_10empty_typeEbEEZZNS1_14partition_implILS5_8ELb0ES3_jPlPS6_PKS6_NS0_5tupleIJS9_S6_EEENSD_IJSA_SA_EEENS0_18inequality_wrapperIZN2at6native12_GLOBAL__N_124unique_dim_cuda_templateIN3c108BFloat16EEESt5tupleIJNSH_6TensorESO_SO_EERKSO_lbbbEUlllE0_EEPmJS6_EEE10hipError_tPvRmT3_T4_T5_T6_T7_T9_mT8_P12ihipStream_tbDpT10_ENKUlT_T0_E_clISt17integral_constantIbLb0EES1D_IbLb1EEEEDaS19_S1A_EUlS19_E_NS1_11comp_targetILNS1_3genE8ELNS1_11target_archE1030ELNS1_3gpuE2ELNS1_3repE0EEENS1_30default_config_static_selectorELNS0_4arch9wavefront6targetE0EEEvT1_
    .private_segment_fixed_size: 0
    .sgpr_count:     0
    .sgpr_spill_count: 0
    .symbol:         _ZN7rocprim17ROCPRIM_400000_NS6detail17trampoline_kernelINS0_14default_configENS1_25partition_config_selectorILNS1_17partition_subalgoE8ElNS0_10empty_typeEbEEZZNS1_14partition_implILS5_8ELb0ES3_jPlPS6_PKS6_NS0_5tupleIJS9_S6_EEENSD_IJSA_SA_EEENS0_18inequality_wrapperIZN2at6native12_GLOBAL__N_124unique_dim_cuda_templateIN3c108BFloat16EEESt5tupleIJNSH_6TensorESO_SO_EERKSO_lbbbEUlllE0_EEPmJS6_EEE10hipError_tPvRmT3_T4_T5_T6_T7_T9_mT8_P12ihipStream_tbDpT10_ENKUlT_T0_E_clISt17integral_constantIbLb0EES1D_IbLb1EEEEDaS19_S1A_EUlS19_E_NS1_11comp_targetILNS1_3genE8ELNS1_11target_archE1030ELNS1_3gpuE2ELNS1_3repE0EEENS1_30default_config_static_selectorELNS0_4arch9wavefront6targetE0EEEvT1_.kd
    .uniform_work_group_size: 1
    .uses_dynamic_stack: false
    .vgpr_count:     0
    .vgpr_spill_count: 0
    .wavefront_size: 32
  - .args:
      - .offset:         0
        .size:           120
        .value_kind:     by_value
    .group_segment_fixed_size: 5128
    .kernarg_segment_align: 8
    .kernarg_segment_size: 120
    .language:       OpenCL C
    .language_version:
      - 2
      - 0
    .max_flat_workgroup_size: 128
    .name:           _ZN7rocprim17ROCPRIM_400000_NS6detail17trampoline_kernelINS0_14default_configENS1_25partition_config_selectorILNS1_17partition_subalgoE9EllbEEZZNS1_14partition_implILS5_9ELb0ES3_jPlS8_PNS0_10empty_typeENS0_5tupleIJS8_S9_EEENSB_IJS8_SA_EEENS0_18inequality_wrapperIZN2at6native12_GLOBAL__N_124unique_dim_cuda_templateIN3c108BFloat16EEESt5tupleIJNSF_6TensorESM_SM_EERKSM_lbbbEUlllE0_EEPmJS9_EEE10hipError_tPvRmT3_T4_T5_T6_T7_T9_mT8_P12ihipStream_tbDpT10_ENKUlT_T0_E_clISt17integral_constantIbLb0EES1C_EEDaS17_S18_EUlS17_E_NS1_11comp_targetILNS1_3genE0ELNS1_11target_archE4294967295ELNS1_3gpuE0ELNS1_3repE0EEENS1_30default_config_static_selectorELNS0_4arch9wavefront6targetE0EEEvT1_
    .private_segment_fixed_size: 0
    .sgpr_count:     34
    .sgpr_spill_count: 0
    .symbol:         _ZN7rocprim17ROCPRIM_400000_NS6detail17trampoline_kernelINS0_14default_configENS1_25partition_config_selectorILNS1_17partition_subalgoE9EllbEEZZNS1_14partition_implILS5_9ELb0ES3_jPlS8_PNS0_10empty_typeENS0_5tupleIJS8_S9_EEENSB_IJS8_SA_EEENS0_18inequality_wrapperIZN2at6native12_GLOBAL__N_124unique_dim_cuda_templateIN3c108BFloat16EEESt5tupleIJNSF_6TensorESM_SM_EERKSM_lbbbEUlllE0_EEPmJS9_EEE10hipError_tPvRmT3_T4_T5_T6_T7_T9_mT8_P12ihipStream_tbDpT10_ENKUlT_T0_E_clISt17integral_constantIbLb0EES1C_EEDaS17_S18_EUlS17_E_NS1_11comp_targetILNS1_3genE0ELNS1_11target_archE4294967295ELNS1_3gpuE0ELNS1_3repE0EEENS1_30default_config_static_selectorELNS0_4arch9wavefront6targetE0EEEvT1_.kd
    .uniform_work_group_size: 1
    .uses_dynamic_stack: false
    .vgpr_count:     56
    .vgpr_spill_count: 0
    .wavefront_size: 32
  - .args:
      - .offset:         0
        .size:           120
        .value_kind:     by_value
    .group_segment_fixed_size: 0
    .kernarg_segment_align: 8
    .kernarg_segment_size: 120
    .language:       OpenCL C
    .language_version:
      - 2
      - 0
    .max_flat_workgroup_size: 512
    .name:           _ZN7rocprim17ROCPRIM_400000_NS6detail17trampoline_kernelINS0_14default_configENS1_25partition_config_selectorILNS1_17partition_subalgoE9EllbEEZZNS1_14partition_implILS5_9ELb0ES3_jPlS8_PNS0_10empty_typeENS0_5tupleIJS8_S9_EEENSB_IJS8_SA_EEENS0_18inequality_wrapperIZN2at6native12_GLOBAL__N_124unique_dim_cuda_templateIN3c108BFloat16EEESt5tupleIJNSF_6TensorESM_SM_EERKSM_lbbbEUlllE0_EEPmJS9_EEE10hipError_tPvRmT3_T4_T5_T6_T7_T9_mT8_P12ihipStream_tbDpT10_ENKUlT_T0_E_clISt17integral_constantIbLb0EES1C_EEDaS17_S18_EUlS17_E_NS1_11comp_targetILNS1_3genE5ELNS1_11target_archE942ELNS1_3gpuE9ELNS1_3repE0EEENS1_30default_config_static_selectorELNS0_4arch9wavefront6targetE0EEEvT1_
    .private_segment_fixed_size: 0
    .sgpr_count:     0
    .sgpr_spill_count: 0
    .symbol:         _ZN7rocprim17ROCPRIM_400000_NS6detail17trampoline_kernelINS0_14default_configENS1_25partition_config_selectorILNS1_17partition_subalgoE9EllbEEZZNS1_14partition_implILS5_9ELb0ES3_jPlS8_PNS0_10empty_typeENS0_5tupleIJS8_S9_EEENSB_IJS8_SA_EEENS0_18inequality_wrapperIZN2at6native12_GLOBAL__N_124unique_dim_cuda_templateIN3c108BFloat16EEESt5tupleIJNSF_6TensorESM_SM_EERKSM_lbbbEUlllE0_EEPmJS9_EEE10hipError_tPvRmT3_T4_T5_T6_T7_T9_mT8_P12ihipStream_tbDpT10_ENKUlT_T0_E_clISt17integral_constantIbLb0EES1C_EEDaS17_S18_EUlS17_E_NS1_11comp_targetILNS1_3genE5ELNS1_11target_archE942ELNS1_3gpuE9ELNS1_3repE0EEENS1_30default_config_static_selectorELNS0_4arch9wavefront6targetE0EEEvT1_.kd
    .uniform_work_group_size: 1
    .uses_dynamic_stack: false
    .vgpr_count:     0
    .vgpr_spill_count: 0
    .wavefront_size: 32
  - .args:
      - .offset:         0
        .size:           120
        .value_kind:     by_value
    .group_segment_fixed_size: 0
    .kernarg_segment_align: 8
    .kernarg_segment_size: 120
    .language:       OpenCL C
    .language_version:
      - 2
      - 0
    .max_flat_workgroup_size: 128
    .name:           _ZN7rocprim17ROCPRIM_400000_NS6detail17trampoline_kernelINS0_14default_configENS1_25partition_config_selectorILNS1_17partition_subalgoE9EllbEEZZNS1_14partition_implILS5_9ELb0ES3_jPlS8_PNS0_10empty_typeENS0_5tupleIJS8_S9_EEENSB_IJS8_SA_EEENS0_18inequality_wrapperIZN2at6native12_GLOBAL__N_124unique_dim_cuda_templateIN3c108BFloat16EEESt5tupleIJNSF_6TensorESM_SM_EERKSM_lbbbEUlllE0_EEPmJS9_EEE10hipError_tPvRmT3_T4_T5_T6_T7_T9_mT8_P12ihipStream_tbDpT10_ENKUlT_T0_E_clISt17integral_constantIbLb0EES1C_EEDaS17_S18_EUlS17_E_NS1_11comp_targetILNS1_3genE4ELNS1_11target_archE910ELNS1_3gpuE8ELNS1_3repE0EEENS1_30default_config_static_selectorELNS0_4arch9wavefront6targetE0EEEvT1_
    .private_segment_fixed_size: 0
    .sgpr_count:     0
    .sgpr_spill_count: 0
    .symbol:         _ZN7rocprim17ROCPRIM_400000_NS6detail17trampoline_kernelINS0_14default_configENS1_25partition_config_selectorILNS1_17partition_subalgoE9EllbEEZZNS1_14partition_implILS5_9ELb0ES3_jPlS8_PNS0_10empty_typeENS0_5tupleIJS8_S9_EEENSB_IJS8_SA_EEENS0_18inequality_wrapperIZN2at6native12_GLOBAL__N_124unique_dim_cuda_templateIN3c108BFloat16EEESt5tupleIJNSF_6TensorESM_SM_EERKSM_lbbbEUlllE0_EEPmJS9_EEE10hipError_tPvRmT3_T4_T5_T6_T7_T9_mT8_P12ihipStream_tbDpT10_ENKUlT_T0_E_clISt17integral_constantIbLb0EES1C_EEDaS17_S18_EUlS17_E_NS1_11comp_targetILNS1_3genE4ELNS1_11target_archE910ELNS1_3gpuE8ELNS1_3repE0EEENS1_30default_config_static_selectorELNS0_4arch9wavefront6targetE0EEEvT1_.kd
    .uniform_work_group_size: 1
    .uses_dynamic_stack: false
    .vgpr_count:     0
    .vgpr_spill_count: 0
    .wavefront_size: 32
  - .args:
      - .offset:         0
        .size:           120
        .value_kind:     by_value
    .group_segment_fixed_size: 0
    .kernarg_segment_align: 8
    .kernarg_segment_size: 120
    .language:       OpenCL C
    .language_version:
      - 2
      - 0
    .max_flat_workgroup_size: 128
    .name:           _ZN7rocprim17ROCPRIM_400000_NS6detail17trampoline_kernelINS0_14default_configENS1_25partition_config_selectorILNS1_17partition_subalgoE9EllbEEZZNS1_14partition_implILS5_9ELb0ES3_jPlS8_PNS0_10empty_typeENS0_5tupleIJS8_S9_EEENSB_IJS8_SA_EEENS0_18inequality_wrapperIZN2at6native12_GLOBAL__N_124unique_dim_cuda_templateIN3c108BFloat16EEESt5tupleIJNSF_6TensorESM_SM_EERKSM_lbbbEUlllE0_EEPmJS9_EEE10hipError_tPvRmT3_T4_T5_T6_T7_T9_mT8_P12ihipStream_tbDpT10_ENKUlT_T0_E_clISt17integral_constantIbLb0EES1C_EEDaS17_S18_EUlS17_E_NS1_11comp_targetILNS1_3genE3ELNS1_11target_archE908ELNS1_3gpuE7ELNS1_3repE0EEENS1_30default_config_static_selectorELNS0_4arch9wavefront6targetE0EEEvT1_
    .private_segment_fixed_size: 0
    .sgpr_count:     0
    .sgpr_spill_count: 0
    .symbol:         _ZN7rocprim17ROCPRIM_400000_NS6detail17trampoline_kernelINS0_14default_configENS1_25partition_config_selectorILNS1_17partition_subalgoE9EllbEEZZNS1_14partition_implILS5_9ELb0ES3_jPlS8_PNS0_10empty_typeENS0_5tupleIJS8_S9_EEENSB_IJS8_SA_EEENS0_18inequality_wrapperIZN2at6native12_GLOBAL__N_124unique_dim_cuda_templateIN3c108BFloat16EEESt5tupleIJNSF_6TensorESM_SM_EERKSM_lbbbEUlllE0_EEPmJS9_EEE10hipError_tPvRmT3_T4_T5_T6_T7_T9_mT8_P12ihipStream_tbDpT10_ENKUlT_T0_E_clISt17integral_constantIbLb0EES1C_EEDaS17_S18_EUlS17_E_NS1_11comp_targetILNS1_3genE3ELNS1_11target_archE908ELNS1_3gpuE7ELNS1_3repE0EEENS1_30default_config_static_selectorELNS0_4arch9wavefront6targetE0EEEvT1_.kd
    .uniform_work_group_size: 1
    .uses_dynamic_stack: false
    .vgpr_count:     0
    .vgpr_spill_count: 0
    .wavefront_size: 32
  - .args:
      - .offset:         0
        .size:           120
        .value_kind:     by_value
    .group_segment_fixed_size: 0
    .kernarg_segment_align: 8
    .kernarg_segment_size: 120
    .language:       OpenCL C
    .language_version:
      - 2
      - 0
    .max_flat_workgroup_size: 192
    .name:           _ZN7rocprim17ROCPRIM_400000_NS6detail17trampoline_kernelINS0_14default_configENS1_25partition_config_selectorILNS1_17partition_subalgoE9EllbEEZZNS1_14partition_implILS5_9ELb0ES3_jPlS8_PNS0_10empty_typeENS0_5tupleIJS8_S9_EEENSB_IJS8_SA_EEENS0_18inequality_wrapperIZN2at6native12_GLOBAL__N_124unique_dim_cuda_templateIN3c108BFloat16EEESt5tupleIJNSF_6TensorESM_SM_EERKSM_lbbbEUlllE0_EEPmJS9_EEE10hipError_tPvRmT3_T4_T5_T6_T7_T9_mT8_P12ihipStream_tbDpT10_ENKUlT_T0_E_clISt17integral_constantIbLb0EES1C_EEDaS17_S18_EUlS17_E_NS1_11comp_targetILNS1_3genE2ELNS1_11target_archE906ELNS1_3gpuE6ELNS1_3repE0EEENS1_30default_config_static_selectorELNS0_4arch9wavefront6targetE0EEEvT1_
    .private_segment_fixed_size: 0
    .sgpr_count:     0
    .sgpr_spill_count: 0
    .symbol:         _ZN7rocprim17ROCPRIM_400000_NS6detail17trampoline_kernelINS0_14default_configENS1_25partition_config_selectorILNS1_17partition_subalgoE9EllbEEZZNS1_14partition_implILS5_9ELb0ES3_jPlS8_PNS0_10empty_typeENS0_5tupleIJS8_S9_EEENSB_IJS8_SA_EEENS0_18inequality_wrapperIZN2at6native12_GLOBAL__N_124unique_dim_cuda_templateIN3c108BFloat16EEESt5tupleIJNSF_6TensorESM_SM_EERKSM_lbbbEUlllE0_EEPmJS9_EEE10hipError_tPvRmT3_T4_T5_T6_T7_T9_mT8_P12ihipStream_tbDpT10_ENKUlT_T0_E_clISt17integral_constantIbLb0EES1C_EEDaS17_S18_EUlS17_E_NS1_11comp_targetILNS1_3genE2ELNS1_11target_archE906ELNS1_3gpuE6ELNS1_3repE0EEENS1_30default_config_static_selectorELNS0_4arch9wavefront6targetE0EEEvT1_.kd
    .uniform_work_group_size: 1
    .uses_dynamic_stack: false
    .vgpr_count:     0
    .vgpr_spill_count: 0
    .wavefront_size: 32
  - .args:
      - .offset:         0
        .size:           120
        .value_kind:     by_value
    .group_segment_fixed_size: 0
    .kernarg_segment_align: 8
    .kernarg_segment_size: 120
    .language:       OpenCL C
    .language_version:
      - 2
      - 0
    .max_flat_workgroup_size: 384
    .name:           _ZN7rocprim17ROCPRIM_400000_NS6detail17trampoline_kernelINS0_14default_configENS1_25partition_config_selectorILNS1_17partition_subalgoE9EllbEEZZNS1_14partition_implILS5_9ELb0ES3_jPlS8_PNS0_10empty_typeENS0_5tupleIJS8_S9_EEENSB_IJS8_SA_EEENS0_18inequality_wrapperIZN2at6native12_GLOBAL__N_124unique_dim_cuda_templateIN3c108BFloat16EEESt5tupleIJNSF_6TensorESM_SM_EERKSM_lbbbEUlllE0_EEPmJS9_EEE10hipError_tPvRmT3_T4_T5_T6_T7_T9_mT8_P12ihipStream_tbDpT10_ENKUlT_T0_E_clISt17integral_constantIbLb0EES1C_EEDaS17_S18_EUlS17_E_NS1_11comp_targetILNS1_3genE10ELNS1_11target_archE1200ELNS1_3gpuE4ELNS1_3repE0EEENS1_30default_config_static_selectorELNS0_4arch9wavefront6targetE0EEEvT1_
    .private_segment_fixed_size: 0
    .sgpr_count:     0
    .sgpr_spill_count: 0
    .symbol:         _ZN7rocprim17ROCPRIM_400000_NS6detail17trampoline_kernelINS0_14default_configENS1_25partition_config_selectorILNS1_17partition_subalgoE9EllbEEZZNS1_14partition_implILS5_9ELb0ES3_jPlS8_PNS0_10empty_typeENS0_5tupleIJS8_S9_EEENSB_IJS8_SA_EEENS0_18inequality_wrapperIZN2at6native12_GLOBAL__N_124unique_dim_cuda_templateIN3c108BFloat16EEESt5tupleIJNSF_6TensorESM_SM_EERKSM_lbbbEUlllE0_EEPmJS9_EEE10hipError_tPvRmT3_T4_T5_T6_T7_T9_mT8_P12ihipStream_tbDpT10_ENKUlT_T0_E_clISt17integral_constantIbLb0EES1C_EEDaS17_S18_EUlS17_E_NS1_11comp_targetILNS1_3genE10ELNS1_11target_archE1200ELNS1_3gpuE4ELNS1_3repE0EEENS1_30default_config_static_selectorELNS0_4arch9wavefront6targetE0EEEvT1_.kd
    .uniform_work_group_size: 1
    .uses_dynamic_stack: false
    .vgpr_count:     0
    .vgpr_spill_count: 0
    .wavefront_size: 32
  - .args:
      - .offset:         0
        .size:           120
        .value_kind:     by_value
    .group_segment_fixed_size: 0
    .kernarg_segment_align: 8
    .kernarg_segment_size: 120
    .language:       OpenCL C
    .language_version:
      - 2
      - 0
    .max_flat_workgroup_size: 512
    .name:           _ZN7rocprim17ROCPRIM_400000_NS6detail17trampoline_kernelINS0_14default_configENS1_25partition_config_selectorILNS1_17partition_subalgoE9EllbEEZZNS1_14partition_implILS5_9ELb0ES3_jPlS8_PNS0_10empty_typeENS0_5tupleIJS8_S9_EEENSB_IJS8_SA_EEENS0_18inequality_wrapperIZN2at6native12_GLOBAL__N_124unique_dim_cuda_templateIN3c108BFloat16EEESt5tupleIJNSF_6TensorESM_SM_EERKSM_lbbbEUlllE0_EEPmJS9_EEE10hipError_tPvRmT3_T4_T5_T6_T7_T9_mT8_P12ihipStream_tbDpT10_ENKUlT_T0_E_clISt17integral_constantIbLb0EES1C_EEDaS17_S18_EUlS17_E_NS1_11comp_targetILNS1_3genE9ELNS1_11target_archE1100ELNS1_3gpuE3ELNS1_3repE0EEENS1_30default_config_static_selectorELNS0_4arch9wavefront6targetE0EEEvT1_
    .private_segment_fixed_size: 0
    .sgpr_count:     0
    .sgpr_spill_count: 0
    .symbol:         _ZN7rocprim17ROCPRIM_400000_NS6detail17trampoline_kernelINS0_14default_configENS1_25partition_config_selectorILNS1_17partition_subalgoE9EllbEEZZNS1_14partition_implILS5_9ELb0ES3_jPlS8_PNS0_10empty_typeENS0_5tupleIJS8_S9_EEENSB_IJS8_SA_EEENS0_18inequality_wrapperIZN2at6native12_GLOBAL__N_124unique_dim_cuda_templateIN3c108BFloat16EEESt5tupleIJNSF_6TensorESM_SM_EERKSM_lbbbEUlllE0_EEPmJS9_EEE10hipError_tPvRmT3_T4_T5_T6_T7_T9_mT8_P12ihipStream_tbDpT10_ENKUlT_T0_E_clISt17integral_constantIbLb0EES1C_EEDaS17_S18_EUlS17_E_NS1_11comp_targetILNS1_3genE9ELNS1_11target_archE1100ELNS1_3gpuE3ELNS1_3repE0EEENS1_30default_config_static_selectorELNS0_4arch9wavefront6targetE0EEEvT1_.kd
    .uniform_work_group_size: 1
    .uses_dynamic_stack: false
    .vgpr_count:     0
    .vgpr_spill_count: 0
    .wavefront_size: 32
  - .args:
      - .offset:         0
        .size:           120
        .value_kind:     by_value
    .group_segment_fixed_size: 0
    .kernarg_segment_align: 8
    .kernarg_segment_size: 120
    .language:       OpenCL C
    .language_version:
      - 2
      - 0
    .max_flat_workgroup_size: 512
    .name:           _ZN7rocprim17ROCPRIM_400000_NS6detail17trampoline_kernelINS0_14default_configENS1_25partition_config_selectorILNS1_17partition_subalgoE9EllbEEZZNS1_14partition_implILS5_9ELb0ES3_jPlS8_PNS0_10empty_typeENS0_5tupleIJS8_S9_EEENSB_IJS8_SA_EEENS0_18inequality_wrapperIZN2at6native12_GLOBAL__N_124unique_dim_cuda_templateIN3c108BFloat16EEESt5tupleIJNSF_6TensorESM_SM_EERKSM_lbbbEUlllE0_EEPmJS9_EEE10hipError_tPvRmT3_T4_T5_T6_T7_T9_mT8_P12ihipStream_tbDpT10_ENKUlT_T0_E_clISt17integral_constantIbLb0EES1C_EEDaS17_S18_EUlS17_E_NS1_11comp_targetILNS1_3genE8ELNS1_11target_archE1030ELNS1_3gpuE2ELNS1_3repE0EEENS1_30default_config_static_selectorELNS0_4arch9wavefront6targetE0EEEvT1_
    .private_segment_fixed_size: 0
    .sgpr_count:     0
    .sgpr_spill_count: 0
    .symbol:         _ZN7rocprim17ROCPRIM_400000_NS6detail17trampoline_kernelINS0_14default_configENS1_25partition_config_selectorILNS1_17partition_subalgoE9EllbEEZZNS1_14partition_implILS5_9ELb0ES3_jPlS8_PNS0_10empty_typeENS0_5tupleIJS8_S9_EEENSB_IJS8_SA_EEENS0_18inequality_wrapperIZN2at6native12_GLOBAL__N_124unique_dim_cuda_templateIN3c108BFloat16EEESt5tupleIJNSF_6TensorESM_SM_EERKSM_lbbbEUlllE0_EEPmJS9_EEE10hipError_tPvRmT3_T4_T5_T6_T7_T9_mT8_P12ihipStream_tbDpT10_ENKUlT_T0_E_clISt17integral_constantIbLb0EES1C_EEDaS17_S18_EUlS17_E_NS1_11comp_targetILNS1_3genE8ELNS1_11target_archE1030ELNS1_3gpuE2ELNS1_3repE0EEENS1_30default_config_static_selectorELNS0_4arch9wavefront6targetE0EEEvT1_.kd
    .uniform_work_group_size: 1
    .uses_dynamic_stack: false
    .vgpr_count:     0
    .vgpr_spill_count: 0
    .wavefront_size: 32
  - .args:
      - .offset:         0
        .size:           136
        .value_kind:     by_value
    .group_segment_fixed_size: 0
    .kernarg_segment_align: 8
    .kernarg_segment_size: 136
    .language:       OpenCL C
    .language_version:
      - 2
      - 0
    .max_flat_workgroup_size: 128
    .name:           _ZN7rocprim17ROCPRIM_400000_NS6detail17trampoline_kernelINS0_14default_configENS1_25partition_config_selectorILNS1_17partition_subalgoE9EllbEEZZNS1_14partition_implILS5_9ELb0ES3_jPlS8_PNS0_10empty_typeENS0_5tupleIJS8_S9_EEENSB_IJS8_SA_EEENS0_18inequality_wrapperIZN2at6native12_GLOBAL__N_124unique_dim_cuda_templateIN3c108BFloat16EEESt5tupleIJNSF_6TensorESM_SM_EERKSM_lbbbEUlllE0_EEPmJS9_EEE10hipError_tPvRmT3_T4_T5_T6_T7_T9_mT8_P12ihipStream_tbDpT10_ENKUlT_T0_E_clISt17integral_constantIbLb1EES1C_EEDaS17_S18_EUlS17_E_NS1_11comp_targetILNS1_3genE0ELNS1_11target_archE4294967295ELNS1_3gpuE0ELNS1_3repE0EEENS1_30default_config_static_selectorELNS0_4arch9wavefront6targetE0EEEvT1_
    .private_segment_fixed_size: 0
    .sgpr_count:     0
    .sgpr_spill_count: 0
    .symbol:         _ZN7rocprim17ROCPRIM_400000_NS6detail17trampoline_kernelINS0_14default_configENS1_25partition_config_selectorILNS1_17partition_subalgoE9EllbEEZZNS1_14partition_implILS5_9ELb0ES3_jPlS8_PNS0_10empty_typeENS0_5tupleIJS8_S9_EEENSB_IJS8_SA_EEENS0_18inequality_wrapperIZN2at6native12_GLOBAL__N_124unique_dim_cuda_templateIN3c108BFloat16EEESt5tupleIJNSF_6TensorESM_SM_EERKSM_lbbbEUlllE0_EEPmJS9_EEE10hipError_tPvRmT3_T4_T5_T6_T7_T9_mT8_P12ihipStream_tbDpT10_ENKUlT_T0_E_clISt17integral_constantIbLb1EES1C_EEDaS17_S18_EUlS17_E_NS1_11comp_targetILNS1_3genE0ELNS1_11target_archE4294967295ELNS1_3gpuE0ELNS1_3repE0EEENS1_30default_config_static_selectorELNS0_4arch9wavefront6targetE0EEEvT1_.kd
    .uniform_work_group_size: 1
    .uses_dynamic_stack: false
    .vgpr_count:     0
    .vgpr_spill_count: 0
    .wavefront_size: 32
  - .args:
      - .offset:         0
        .size:           136
        .value_kind:     by_value
    .group_segment_fixed_size: 0
    .kernarg_segment_align: 8
    .kernarg_segment_size: 136
    .language:       OpenCL C
    .language_version:
      - 2
      - 0
    .max_flat_workgroup_size: 512
    .name:           _ZN7rocprim17ROCPRIM_400000_NS6detail17trampoline_kernelINS0_14default_configENS1_25partition_config_selectorILNS1_17partition_subalgoE9EllbEEZZNS1_14partition_implILS5_9ELb0ES3_jPlS8_PNS0_10empty_typeENS0_5tupleIJS8_S9_EEENSB_IJS8_SA_EEENS0_18inequality_wrapperIZN2at6native12_GLOBAL__N_124unique_dim_cuda_templateIN3c108BFloat16EEESt5tupleIJNSF_6TensorESM_SM_EERKSM_lbbbEUlllE0_EEPmJS9_EEE10hipError_tPvRmT3_T4_T5_T6_T7_T9_mT8_P12ihipStream_tbDpT10_ENKUlT_T0_E_clISt17integral_constantIbLb1EES1C_EEDaS17_S18_EUlS17_E_NS1_11comp_targetILNS1_3genE5ELNS1_11target_archE942ELNS1_3gpuE9ELNS1_3repE0EEENS1_30default_config_static_selectorELNS0_4arch9wavefront6targetE0EEEvT1_
    .private_segment_fixed_size: 0
    .sgpr_count:     0
    .sgpr_spill_count: 0
    .symbol:         _ZN7rocprim17ROCPRIM_400000_NS6detail17trampoline_kernelINS0_14default_configENS1_25partition_config_selectorILNS1_17partition_subalgoE9EllbEEZZNS1_14partition_implILS5_9ELb0ES3_jPlS8_PNS0_10empty_typeENS0_5tupleIJS8_S9_EEENSB_IJS8_SA_EEENS0_18inequality_wrapperIZN2at6native12_GLOBAL__N_124unique_dim_cuda_templateIN3c108BFloat16EEESt5tupleIJNSF_6TensorESM_SM_EERKSM_lbbbEUlllE0_EEPmJS9_EEE10hipError_tPvRmT3_T4_T5_T6_T7_T9_mT8_P12ihipStream_tbDpT10_ENKUlT_T0_E_clISt17integral_constantIbLb1EES1C_EEDaS17_S18_EUlS17_E_NS1_11comp_targetILNS1_3genE5ELNS1_11target_archE942ELNS1_3gpuE9ELNS1_3repE0EEENS1_30default_config_static_selectorELNS0_4arch9wavefront6targetE0EEEvT1_.kd
    .uniform_work_group_size: 1
    .uses_dynamic_stack: false
    .vgpr_count:     0
    .vgpr_spill_count: 0
    .wavefront_size: 32
  - .args:
      - .offset:         0
        .size:           136
        .value_kind:     by_value
    .group_segment_fixed_size: 0
    .kernarg_segment_align: 8
    .kernarg_segment_size: 136
    .language:       OpenCL C
    .language_version:
      - 2
      - 0
    .max_flat_workgroup_size: 128
    .name:           _ZN7rocprim17ROCPRIM_400000_NS6detail17trampoline_kernelINS0_14default_configENS1_25partition_config_selectorILNS1_17partition_subalgoE9EllbEEZZNS1_14partition_implILS5_9ELb0ES3_jPlS8_PNS0_10empty_typeENS0_5tupleIJS8_S9_EEENSB_IJS8_SA_EEENS0_18inequality_wrapperIZN2at6native12_GLOBAL__N_124unique_dim_cuda_templateIN3c108BFloat16EEESt5tupleIJNSF_6TensorESM_SM_EERKSM_lbbbEUlllE0_EEPmJS9_EEE10hipError_tPvRmT3_T4_T5_T6_T7_T9_mT8_P12ihipStream_tbDpT10_ENKUlT_T0_E_clISt17integral_constantIbLb1EES1C_EEDaS17_S18_EUlS17_E_NS1_11comp_targetILNS1_3genE4ELNS1_11target_archE910ELNS1_3gpuE8ELNS1_3repE0EEENS1_30default_config_static_selectorELNS0_4arch9wavefront6targetE0EEEvT1_
    .private_segment_fixed_size: 0
    .sgpr_count:     0
    .sgpr_spill_count: 0
    .symbol:         _ZN7rocprim17ROCPRIM_400000_NS6detail17trampoline_kernelINS0_14default_configENS1_25partition_config_selectorILNS1_17partition_subalgoE9EllbEEZZNS1_14partition_implILS5_9ELb0ES3_jPlS8_PNS0_10empty_typeENS0_5tupleIJS8_S9_EEENSB_IJS8_SA_EEENS0_18inequality_wrapperIZN2at6native12_GLOBAL__N_124unique_dim_cuda_templateIN3c108BFloat16EEESt5tupleIJNSF_6TensorESM_SM_EERKSM_lbbbEUlllE0_EEPmJS9_EEE10hipError_tPvRmT3_T4_T5_T6_T7_T9_mT8_P12ihipStream_tbDpT10_ENKUlT_T0_E_clISt17integral_constantIbLb1EES1C_EEDaS17_S18_EUlS17_E_NS1_11comp_targetILNS1_3genE4ELNS1_11target_archE910ELNS1_3gpuE8ELNS1_3repE0EEENS1_30default_config_static_selectorELNS0_4arch9wavefront6targetE0EEEvT1_.kd
    .uniform_work_group_size: 1
    .uses_dynamic_stack: false
    .vgpr_count:     0
    .vgpr_spill_count: 0
    .wavefront_size: 32
  - .args:
      - .offset:         0
        .size:           136
        .value_kind:     by_value
    .group_segment_fixed_size: 0
    .kernarg_segment_align: 8
    .kernarg_segment_size: 136
    .language:       OpenCL C
    .language_version:
      - 2
      - 0
    .max_flat_workgroup_size: 128
    .name:           _ZN7rocprim17ROCPRIM_400000_NS6detail17trampoline_kernelINS0_14default_configENS1_25partition_config_selectorILNS1_17partition_subalgoE9EllbEEZZNS1_14partition_implILS5_9ELb0ES3_jPlS8_PNS0_10empty_typeENS0_5tupleIJS8_S9_EEENSB_IJS8_SA_EEENS0_18inequality_wrapperIZN2at6native12_GLOBAL__N_124unique_dim_cuda_templateIN3c108BFloat16EEESt5tupleIJNSF_6TensorESM_SM_EERKSM_lbbbEUlllE0_EEPmJS9_EEE10hipError_tPvRmT3_T4_T5_T6_T7_T9_mT8_P12ihipStream_tbDpT10_ENKUlT_T0_E_clISt17integral_constantIbLb1EES1C_EEDaS17_S18_EUlS17_E_NS1_11comp_targetILNS1_3genE3ELNS1_11target_archE908ELNS1_3gpuE7ELNS1_3repE0EEENS1_30default_config_static_selectorELNS0_4arch9wavefront6targetE0EEEvT1_
    .private_segment_fixed_size: 0
    .sgpr_count:     0
    .sgpr_spill_count: 0
    .symbol:         _ZN7rocprim17ROCPRIM_400000_NS6detail17trampoline_kernelINS0_14default_configENS1_25partition_config_selectorILNS1_17partition_subalgoE9EllbEEZZNS1_14partition_implILS5_9ELb0ES3_jPlS8_PNS0_10empty_typeENS0_5tupleIJS8_S9_EEENSB_IJS8_SA_EEENS0_18inequality_wrapperIZN2at6native12_GLOBAL__N_124unique_dim_cuda_templateIN3c108BFloat16EEESt5tupleIJNSF_6TensorESM_SM_EERKSM_lbbbEUlllE0_EEPmJS9_EEE10hipError_tPvRmT3_T4_T5_T6_T7_T9_mT8_P12ihipStream_tbDpT10_ENKUlT_T0_E_clISt17integral_constantIbLb1EES1C_EEDaS17_S18_EUlS17_E_NS1_11comp_targetILNS1_3genE3ELNS1_11target_archE908ELNS1_3gpuE7ELNS1_3repE0EEENS1_30default_config_static_selectorELNS0_4arch9wavefront6targetE0EEEvT1_.kd
    .uniform_work_group_size: 1
    .uses_dynamic_stack: false
    .vgpr_count:     0
    .vgpr_spill_count: 0
    .wavefront_size: 32
  - .args:
      - .offset:         0
        .size:           136
        .value_kind:     by_value
    .group_segment_fixed_size: 0
    .kernarg_segment_align: 8
    .kernarg_segment_size: 136
    .language:       OpenCL C
    .language_version:
      - 2
      - 0
    .max_flat_workgroup_size: 192
    .name:           _ZN7rocprim17ROCPRIM_400000_NS6detail17trampoline_kernelINS0_14default_configENS1_25partition_config_selectorILNS1_17partition_subalgoE9EllbEEZZNS1_14partition_implILS5_9ELb0ES3_jPlS8_PNS0_10empty_typeENS0_5tupleIJS8_S9_EEENSB_IJS8_SA_EEENS0_18inequality_wrapperIZN2at6native12_GLOBAL__N_124unique_dim_cuda_templateIN3c108BFloat16EEESt5tupleIJNSF_6TensorESM_SM_EERKSM_lbbbEUlllE0_EEPmJS9_EEE10hipError_tPvRmT3_T4_T5_T6_T7_T9_mT8_P12ihipStream_tbDpT10_ENKUlT_T0_E_clISt17integral_constantIbLb1EES1C_EEDaS17_S18_EUlS17_E_NS1_11comp_targetILNS1_3genE2ELNS1_11target_archE906ELNS1_3gpuE6ELNS1_3repE0EEENS1_30default_config_static_selectorELNS0_4arch9wavefront6targetE0EEEvT1_
    .private_segment_fixed_size: 0
    .sgpr_count:     0
    .sgpr_spill_count: 0
    .symbol:         _ZN7rocprim17ROCPRIM_400000_NS6detail17trampoline_kernelINS0_14default_configENS1_25partition_config_selectorILNS1_17partition_subalgoE9EllbEEZZNS1_14partition_implILS5_9ELb0ES3_jPlS8_PNS0_10empty_typeENS0_5tupleIJS8_S9_EEENSB_IJS8_SA_EEENS0_18inequality_wrapperIZN2at6native12_GLOBAL__N_124unique_dim_cuda_templateIN3c108BFloat16EEESt5tupleIJNSF_6TensorESM_SM_EERKSM_lbbbEUlllE0_EEPmJS9_EEE10hipError_tPvRmT3_T4_T5_T6_T7_T9_mT8_P12ihipStream_tbDpT10_ENKUlT_T0_E_clISt17integral_constantIbLb1EES1C_EEDaS17_S18_EUlS17_E_NS1_11comp_targetILNS1_3genE2ELNS1_11target_archE906ELNS1_3gpuE6ELNS1_3repE0EEENS1_30default_config_static_selectorELNS0_4arch9wavefront6targetE0EEEvT1_.kd
    .uniform_work_group_size: 1
    .uses_dynamic_stack: false
    .vgpr_count:     0
    .vgpr_spill_count: 0
    .wavefront_size: 32
  - .args:
      - .offset:         0
        .size:           136
        .value_kind:     by_value
    .group_segment_fixed_size: 0
    .kernarg_segment_align: 8
    .kernarg_segment_size: 136
    .language:       OpenCL C
    .language_version:
      - 2
      - 0
    .max_flat_workgroup_size: 384
    .name:           _ZN7rocprim17ROCPRIM_400000_NS6detail17trampoline_kernelINS0_14default_configENS1_25partition_config_selectorILNS1_17partition_subalgoE9EllbEEZZNS1_14partition_implILS5_9ELb0ES3_jPlS8_PNS0_10empty_typeENS0_5tupleIJS8_S9_EEENSB_IJS8_SA_EEENS0_18inequality_wrapperIZN2at6native12_GLOBAL__N_124unique_dim_cuda_templateIN3c108BFloat16EEESt5tupleIJNSF_6TensorESM_SM_EERKSM_lbbbEUlllE0_EEPmJS9_EEE10hipError_tPvRmT3_T4_T5_T6_T7_T9_mT8_P12ihipStream_tbDpT10_ENKUlT_T0_E_clISt17integral_constantIbLb1EES1C_EEDaS17_S18_EUlS17_E_NS1_11comp_targetILNS1_3genE10ELNS1_11target_archE1200ELNS1_3gpuE4ELNS1_3repE0EEENS1_30default_config_static_selectorELNS0_4arch9wavefront6targetE0EEEvT1_
    .private_segment_fixed_size: 0
    .sgpr_count:     0
    .sgpr_spill_count: 0
    .symbol:         _ZN7rocprim17ROCPRIM_400000_NS6detail17trampoline_kernelINS0_14default_configENS1_25partition_config_selectorILNS1_17partition_subalgoE9EllbEEZZNS1_14partition_implILS5_9ELb0ES3_jPlS8_PNS0_10empty_typeENS0_5tupleIJS8_S9_EEENSB_IJS8_SA_EEENS0_18inequality_wrapperIZN2at6native12_GLOBAL__N_124unique_dim_cuda_templateIN3c108BFloat16EEESt5tupleIJNSF_6TensorESM_SM_EERKSM_lbbbEUlllE0_EEPmJS9_EEE10hipError_tPvRmT3_T4_T5_T6_T7_T9_mT8_P12ihipStream_tbDpT10_ENKUlT_T0_E_clISt17integral_constantIbLb1EES1C_EEDaS17_S18_EUlS17_E_NS1_11comp_targetILNS1_3genE10ELNS1_11target_archE1200ELNS1_3gpuE4ELNS1_3repE0EEENS1_30default_config_static_selectorELNS0_4arch9wavefront6targetE0EEEvT1_.kd
    .uniform_work_group_size: 1
    .uses_dynamic_stack: false
    .vgpr_count:     0
    .vgpr_spill_count: 0
    .wavefront_size: 32
  - .args:
      - .offset:         0
        .size:           136
        .value_kind:     by_value
    .group_segment_fixed_size: 0
    .kernarg_segment_align: 8
    .kernarg_segment_size: 136
    .language:       OpenCL C
    .language_version:
      - 2
      - 0
    .max_flat_workgroup_size: 512
    .name:           _ZN7rocprim17ROCPRIM_400000_NS6detail17trampoline_kernelINS0_14default_configENS1_25partition_config_selectorILNS1_17partition_subalgoE9EllbEEZZNS1_14partition_implILS5_9ELb0ES3_jPlS8_PNS0_10empty_typeENS0_5tupleIJS8_S9_EEENSB_IJS8_SA_EEENS0_18inequality_wrapperIZN2at6native12_GLOBAL__N_124unique_dim_cuda_templateIN3c108BFloat16EEESt5tupleIJNSF_6TensorESM_SM_EERKSM_lbbbEUlllE0_EEPmJS9_EEE10hipError_tPvRmT3_T4_T5_T6_T7_T9_mT8_P12ihipStream_tbDpT10_ENKUlT_T0_E_clISt17integral_constantIbLb1EES1C_EEDaS17_S18_EUlS17_E_NS1_11comp_targetILNS1_3genE9ELNS1_11target_archE1100ELNS1_3gpuE3ELNS1_3repE0EEENS1_30default_config_static_selectorELNS0_4arch9wavefront6targetE0EEEvT1_
    .private_segment_fixed_size: 0
    .sgpr_count:     0
    .sgpr_spill_count: 0
    .symbol:         _ZN7rocprim17ROCPRIM_400000_NS6detail17trampoline_kernelINS0_14default_configENS1_25partition_config_selectorILNS1_17partition_subalgoE9EllbEEZZNS1_14partition_implILS5_9ELb0ES3_jPlS8_PNS0_10empty_typeENS0_5tupleIJS8_S9_EEENSB_IJS8_SA_EEENS0_18inequality_wrapperIZN2at6native12_GLOBAL__N_124unique_dim_cuda_templateIN3c108BFloat16EEESt5tupleIJNSF_6TensorESM_SM_EERKSM_lbbbEUlllE0_EEPmJS9_EEE10hipError_tPvRmT3_T4_T5_T6_T7_T9_mT8_P12ihipStream_tbDpT10_ENKUlT_T0_E_clISt17integral_constantIbLb1EES1C_EEDaS17_S18_EUlS17_E_NS1_11comp_targetILNS1_3genE9ELNS1_11target_archE1100ELNS1_3gpuE3ELNS1_3repE0EEENS1_30default_config_static_selectorELNS0_4arch9wavefront6targetE0EEEvT1_.kd
    .uniform_work_group_size: 1
    .uses_dynamic_stack: false
    .vgpr_count:     0
    .vgpr_spill_count: 0
    .wavefront_size: 32
  - .args:
      - .offset:         0
        .size:           136
        .value_kind:     by_value
    .group_segment_fixed_size: 0
    .kernarg_segment_align: 8
    .kernarg_segment_size: 136
    .language:       OpenCL C
    .language_version:
      - 2
      - 0
    .max_flat_workgroup_size: 512
    .name:           _ZN7rocprim17ROCPRIM_400000_NS6detail17trampoline_kernelINS0_14default_configENS1_25partition_config_selectorILNS1_17partition_subalgoE9EllbEEZZNS1_14partition_implILS5_9ELb0ES3_jPlS8_PNS0_10empty_typeENS0_5tupleIJS8_S9_EEENSB_IJS8_SA_EEENS0_18inequality_wrapperIZN2at6native12_GLOBAL__N_124unique_dim_cuda_templateIN3c108BFloat16EEESt5tupleIJNSF_6TensorESM_SM_EERKSM_lbbbEUlllE0_EEPmJS9_EEE10hipError_tPvRmT3_T4_T5_T6_T7_T9_mT8_P12ihipStream_tbDpT10_ENKUlT_T0_E_clISt17integral_constantIbLb1EES1C_EEDaS17_S18_EUlS17_E_NS1_11comp_targetILNS1_3genE8ELNS1_11target_archE1030ELNS1_3gpuE2ELNS1_3repE0EEENS1_30default_config_static_selectorELNS0_4arch9wavefront6targetE0EEEvT1_
    .private_segment_fixed_size: 0
    .sgpr_count:     0
    .sgpr_spill_count: 0
    .symbol:         _ZN7rocprim17ROCPRIM_400000_NS6detail17trampoline_kernelINS0_14default_configENS1_25partition_config_selectorILNS1_17partition_subalgoE9EllbEEZZNS1_14partition_implILS5_9ELb0ES3_jPlS8_PNS0_10empty_typeENS0_5tupleIJS8_S9_EEENSB_IJS8_SA_EEENS0_18inequality_wrapperIZN2at6native12_GLOBAL__N_124unique_dim_cuda_templateIN3c108BFloat16EEESt5tupleIJNSF_6TensorESM_SM_EERKSM_lbbbEUlllE0_EEPmJS9_EEE10hipError_tPvRmT3_T4_T5_T6_T7_T9_mT8_P12ihipStream_tbDpT10_ENKUlT_T0_E_clISt17integral_constantIbLb1EES1C_EEDaS17_S18_EUlS17_E_NS1_11comp_targetILNS1_3genE8ELNS1_11target_archE1030ELNS1_3gpuE2ELNS1_3repE0EEENS1_30default_config_static_selectorELNS0_4arch9wavefront6targetE0EEEvT1_.kd
    .uniform_work_group_size: 1
    .uses_dynamic_stack: false
    .vgpr_count:     0
    .vgpr_spill_count: 0
    .wavefront_size: 32
  - .args:
      - .offset:         0
        .size:           120
        .value_kind:     by_value
    .group_segment_fixed_size: 0
    .kernarg_segment_align: 8
    .kernarg_segment_size: 120
    .language:       OpenCL C
    .language_version:
      - 2
      - 0
    .max_flat_workgroup_size: 128
    .name:           _ZN7rocprim17ROCPRIM_400000_NS6detail17trampoline_kernelINS0_14default_configENS1_25partition_config_selectorILNS1_17partition_subalgoE9EllbEEZZNS1_14partition_implILS5_9ELb0ES3_jPlS8_PNS0_10empty_typeENS0_5tupleIJS8_S9_EEENSB_IJS8_SA_EEENS0_18inequality_wrapperIZN2at6native12_GLOBAL__N_124unique_dim_cuda_templateIN3c108BFloat16EEESt5tupleIJNSF_6TensorESM_SM_EERKSM_lbbbEUlllE0_EEPmJS9_EEE10hipError_tPvRmT3_T4_T5_T6_T7_T9_mT8_P12ihipStream_tbDpT10_ENKUlT_T0_E_clISt17integral_constantIbLb1EES1B_IbLb0EEEEDaS17_S18_EUlS17_E_NS1_11comp_targetILNS1_3genE0ELNS1_11target_archE4294967295ELNS1_3gpuE0ELNS1_3repE0EEENS1_30default_config_static_selectorELNS0_4arch9wavefront6targetE0EEEvT1_
    .private_segment_fixed_size: 0
    .sgpr_count:     0
    .sgpr_spill_count: 0
    .symbol:         _ZN7rocprim17ROCPRIM_400000_NS6detail17trampoline_kernelINS0_14default_configENS1_25partition_config_selectorILNS1_17partition_subalgoE9EllbEEZZNS1_14partition_implILS5_9ELb0ES3_jPlS8_PNS0_10empty_typeENS0_5tupleIJS8_S9_EEENSB_IJS8_SA_EEENS0_18inequality_wrapperIZN2at6native12_GLOBAL__N_124unique_dim_cuda_templateIN3c108BFloat16EEESt5tupleIJNSF_6TensorESM_SM_EERKSM_lbbbEUlllE0_EEPmJS9_EEE10hipError_tPvRmT3_T4_T5_T6_T7_T9_mT8_P12ihipStream_tbDpT10_ENKUlT_T0_E_clISt17integral_constantIbLb1EES1B_IbLb0EEEEDaS17_S18_EUlS17_E_NS1_11comp_targetILNS1_3genE0ELNS1_11target_archE4294967295ELNS1_3gpuE0ELNS1_3repE0EEENS1_30default_config_static_selectorELNS0_4arch9wavefront6targetE0EEEvT1_.kd
    .uniform_work_group_size: 1
    .uses_dynamic_stack: false
    .vgpr_count:     0
    .vgpr_spill_count: 0
    .wavefront_size: 32
  - .args:
      - .offset:         0
        .size:           120
        .value_kind:     by_value
    .group_segment_fixed_size: 0
    .kernarg_segment_align: 8
    .kernarg_segment_size: 120
    .language:       OpenCL C
    .language_version:
      - 2
      - 0
    .max_flat_workgroup_size: 512
    .name:           _ZN7rocprim17ROCPRIM_400000_NS6detail17trampoline_kernelINS0_14default_configENS1_25partition_config_selectorILNS1_17partition_subalgoE9EllbEEZZNS1_14partition_implILS5_9ELb0ES3_jPlS8_PNS0_10empty_typeENS0_5tupleIJS8_S9_EEENSB_IJS8_SA_EEENS0_18inequality_wrapperIZN2at6native12_GLOBAL__N_124unique_dim_cuda_templateIN3c108BFloat16EEESt5tupleIJNSF_6TensorESM_SM_EERKSM_lbbbEUlllE0_EEPmJS9_EEE10hipError_tPvRmT3_T4_T5_T6_T7_T9_mT8_P12ihipStream_tbDpT10_ENKUlT_T0_E_clISt17integral_constantIbLb1EES1B_IbLb0EEEEDaS17_S18_EUlS17_E_NS1_11comp_targetILNS1_3genE5ELNS1_11target_archE942ELNS1_3gpuE9ELNS1_3repE0EEENS1_30default_config_static_selectorELNS0_4arch9wavefront6targetE0EEEvT1_
    .private_segment_fixed_size: 0
    .sgpr_count:     0
    .sgpr_spill_count: 0
    .symbol:         _ZN7rocprim17ROCPRIM_400000_NS6detail17trampoline_kernelINS0_14default_configENS1_25partition_config_selectorILNS1_17partition_subalgoE9EllbEEZZNS1_14partition_implILS5_9ELb0ES3_jPlS8_PNS0_10empty_typeENS0_5tupleIJS8_S9_EEENSB_IJS8_SA_EEENS0_18inequality_wrapperIZN2at6native12_GLOBAL__N_124unique_dim_cuda_templateIN3c108BFloat16EEESt5tupleIJNSF_6TensorESM_SM_EERKSM_lbbbEUlllE0_EEPmJS9_EEE10hipError_tPvRmT3_T4_T5_T6_T7_T9_mT8_P12ihipStream_tbDpT10_ENKUlT_T0_E_clISt17integral_constantIbLb1EES1B_IbLb0EEEEDaS17_S18_EUlS17_E_NS1_11comp_targetILNS1_3genE5ELNS1_11target_archE942ELNS1_3gpuE9ELNS1_3repE0EEENS1_30default_config_static_selectorELNS0_4arch9wavefront6targetE0EEEvT1_.kd
    .uniform_work_group_size: 1
    .uses_dynamic_stack: false
    .vgpr_count:     0
    .vgpr_spill_count: 0
    .wavefront_size: 32
  - .args:
      - .offset:         0
        .size:           120
        .value_kind:     by_value
    .group_segment_fixed_size: 0
    .kernarg_segment_align: 8
    .kernarg_segment_size: 120
    .language:       OpenCL C
    .language_version:
      - 2
      - 0
    .max_flat_workgroup_size: 128
    .name:           _ZN7rocprim17ROCPRIM_400000_NS6detail17trampoline_kernelINS0_14default_configENS1_25partition_config_selectorILNS1_17partition_subalgoE9EllbEEZZNS1_14partition_implILS5_9ELb0ES3_jPlS8_PNS0_10empty_typeENS0_5tupleIJS8_S9_EEENSB_IJS8_SA_EEENS0_18inequality_wrapperIZN2at6native12_GLOBAL__N_124unique_dim_cuda_templateIN3c108BFloat16EEESt5tupleIJNSF_6TensorESM_SM_EERKSM_lbbbEUlllE0_EEPmJS9_EEE10hipError_tPvRmT3_T4_T5_T6_T7_T9_mT8_P12ihipStream_tbDpT10_ENKUlT_T0_E_clISt17integral_constantIbLb1EES1B_IbLb0EEEEDaS17_S18_EUlS17_E_NS1_11comp_targetILNS1_3genE4ELNS1_11target_archE910ELNS1_3gpuE8ELNS1_3repE0EEENS1_30default_config_static_selectorELNS0_4arch9wavefront6targetE0EEEvT1_
    .private_segment_fixed_size: 0
    .sgpr_count:     0
    .sgpr_spill_count: 0
    .symbol:         _ZN7rocprim17ROCPRIM_400000_NS6detail17trampoline_kernelINS0_14default_configENS1_25partition_config_selectorILNS1_17partition_subalgoE9EllbEEZZNS1_14partition_implILS5_9ELb0ES3_jPlS8_PNS0_10empty_typeENS0_5tupleIJS8_S9_EEENSB_IJS8_SA_EEENS0_18inequality_wrapperIZN2at6native12_GLOBAL__N_124unique_dim_cuda_templateIN3c108BFloat16EEESt5tupleIJNSF_6TensorESM_SM_EERKSM_lbbbEUlllE0_EEPmJS9_EEE10hipError_tPvRmT3_T4_T5_T6_T7_T9_mT8_P12ihipStream_tbDpT10_ENKUlT_T0_E_clISt17integral_constantIbLb1EES1B_IbLb0EEEEDaS17_S18_EUlS17_E_NS1_11comp_targetILNS1_3genE4ELNS1_11target_archE910ELNS1_3gpuE8ELNS1_3repE0EEENS1_30default_config_static_selectorELNS0_4arch9wavefront6targetE0EEEvT1_.kd
    .uniform_work_group_size: 1
    .uses_dynamic_stack: false
    .vgpr_count:     0
    .vgpr_spill_count: 0
    .wavefront_size: 32
  - .args:
      - .offset:         0
        .size:           120
        .value_kind:     by_value
    .group_segment_fixed_size: 0
    .kernarg_segment_align: 8
    .kernarg_segment_size: 120
    .language:       OpenCL C
    .language_version:
      - 2
      - 0
    .max_flat_workgroup_size: 128
    .name:           _ZN7rocprim17ROCPRIM_400000_NS6detail17trampoline_kernelINS0_14default_configENS1_25partition_config_selectorILNS1_17partition_subalgoE9EllbEEZZNS1_14partition_implILS5_9ELb0ES3_jPlS8_PNS0_10empty_typeENS0_5tupleIJS8_S9_EEENSB_IJS8_SA_EEENS0_18inequality_wrapperIZN2at6native12_GLOBAL__N_124unique_dim_cuda_templateIN3c108BFloat16EEESt5tupleIJNSF_6TensorESM_SM_EERKSM_lbbbEUlllE0_EEPmJS9_EEE10hipError_tPvRmT3_T4_T5_T6_T7_T9_mT8_P12ihipStream_tbDpT10_ENKUlT_T0_E_clISt17integral_constantIbLb1EES1B_IbLb0EEEEDaS17_S18_EUlS17_E_NS1_11comp_targetILNS1_3genE3ELNS1_11target_archE908ELNS1_3gpuE7ELNS1_3repE0EEENS1_30default_config_static_selectorELNS0_4arch9wavefront6targetE0EEEvT1_
    .private_segment_fixed_size: 0
    .sgpr_count:     0
    .sgpr_spill_count: 0
    .symbol:         _ZN7rocprim17ROCPRIM_400000_NS6detail17trampoline_kernelINS0_14default_configENS1_25partition_config_selectorILNS1_17partition_subalgoE9EllbEEZZNS1_14partition_implILS5_9ELb0ES3_jPlS8_PNS0_10empty_typeENS0_5tupleIJS8_S9_EEENSB_IJS8_SA_EEENS0_18inequality_wrapperIZN2at6native12_GLOBAL__N_124unique_dim_cuda_templateIN3c108BFloat16EEESt5tupleIJNSF_6TensorESM_SM_EERKSM_lbbbEUlllE0_EEPmJS9_EEE10hipError_tPvRmT3_T4_T5_T6_T7_T9_mT8_P12ihipStream_tbDpT10_ENKUlT_T0_E_clISt17integral_constantIbLb1EES1B_IbLb0EEEEDaS17_S18_EUlS17_E_NS1_11comp_targetILNS1_3genE3ELNS1_11target_archE908ELNS1_3gpuE7ELNS1_3repE0EEENS1_30default_config_static_selectorELNS0_4arch9wavefront6targetE0EEEvT1_.kd
    .uniform_work_group_size: 1
    .uses_dynamic_stack: false
    .vgpr_count:     0
    .vgpr_spill_count: 0
    .wavefront_size: 32
  - .args:
      - .offset:         0
        .size:           120
        .value_kind:     by_value
    .group_segment_fixed_size: 0
    .kernarg_segment_align: 8
    .kernarg_segment_size: 120
    .language:       OpenCL C
    .language_version:
      - 2
      - 0
    .max_flat_workgroup_size: 192
    .name:           _ZN7rocprim17ROCPRIM_400000_NS6detail17trampoline_kernelINS0_14default_configENS1_25partition_config_selectorILNS1_17partition_subalgoE9EllbEEZZNS1_14partition_implILS5_9ELb0ES3_jPlS8_PNS0_10empty_typeENS0_5tupleIJS8_S9_EEENSB_IJS8_SA_EEENS0_18inequality_wrapperIZN2at6native12_GLOBAL__N_124unique_dim_cuda_templateIN3c108BFloat16EEESt5tupleIJNSF_6TensorESM_SM_EERKSM_lbbbEUlllE0_EEPmJS9_EEE10hipError_tPvRmT3_T4_T5_T6_T7_T9_mT8_P12ihipStream_tbDpT10_ENKUlT_T0_E_clISt17integral_constantIbLb1EES1B_IbLb0EEEEDaS17_S18_EUlS17_E_NS1_11comp_targetILNS1_3genE2ELNS1_11target_archE906ELNS1_3gpuE6ELNS1_3repE0EEENS1_30default_config_static_selectorELNS0_4arch9wavefront6targetE0EEEvT1_
    .private_segment_fixed_size: 0
    .sgpr_count:     0
    .sgpr_spill_count: 0
    .symbol:         _ZN7rocprim17ROCPRIM_400000_NS6detail17trampoline_kernelINS0_14default_configENS1_25partition_config_selectorILNS1_17partition_subalgoE9EllbEEZZNS1_14partition_implILS5_9ELb0ES3_jPlS8_PNS0_10empty_typeENS0_5tupleIJS8_S9_EEENSB_IJS8_SA_EEENS0_18inequality_wrapperIZN2at6native12_GLOBAL__N_124unique_dim_cuda_templateIN3c108BFloat16EEESt5tupleIJNSF_6TensorESM_SM_EERKSM_lbbbEUlllE0_EEPmJS9_EEE10hipError_tPvRmT3_T4_T5_T6_T7_T9_mT8_P12ihipStream_tbDpT10_ENKUlT_T0_E_clISt17integral_constantIbLb1EES1B_IbLb0EEEEDaS17_S18_EUlS17_E_NS1_11comp_targetILNS1_3genE2ELNS1_11target_archE906ELNS1_3gpuE6ELNS1_3repE0EEENS1_30default_config_static_selectorELNS0_4arch9wavefront6targetE0EEEvT1_.kd
    .uniform_work_group_size: 1
    .uses_dynamic_stack: false
    .vgpr_count:     0
    .vgpr_spill_count: 0
    .wavefront_size: 32
  - .args:
      - .offset:         0
        .size:           120
        .value_kind:     by_value
    .group_segment_fixed_size: 0
    .kernarg_segment_align: 8
    .kernarg_segment_size: 120
    .language:       OpenCL C
    .language_version:
      - 2
      - 0
    .max_flat_workgroup_size: 384
    .name:           _ZN7rocprim17ROCPRIM_400000_NS6detail17trampoline_kernelINS0_14default_configENS1_25partition_config_selectorILNS1_17partition_subalgoE9EllbEEZZNS1_14partition_implILS5_9ELb0ES3_jPlS8_PNS0_10empty_typeENS0_5tupleIJS8_S9_EEENSB_IJS8_SA_EEENS0_18inequality_wrapperIZN2at6native12_GLOBAL__N_124unique_dim_cuda_templateIN3c108BFloat16EEESt5tupleIJNSF_6TensorESM_SM_EERKSM_lbbbEUlllE0_EEPmJS9_EEE10hipError_tPvRmT3_T4_T5_T6_T7_T9_mT8_P12ihipStream_tbDpT10_ENKUlT_T0_E_clISt17integral_constantIbLb1EES1B_IbLb0EEEEDaS17_S18_EUlS17_E_NS1_11comp_targetILNS1_3genE10ELNS1_11target_archE1200ELNS1_3gpuE4ELNS1_3repE0EEENS1_30default_config_static_selectorELNS0_4arch9wavefront6targetE0EEEvT1_
    .private_segment_fixed_size: 0
    .sgpr_count:     0
    .sgpr_spill_count: 0
    .symbol:         _ZN7rocprim17ROCPRIM_400000_NS6detail17trampoline_kernelINS0_14default_configENS1_25partition_config_selectorILNS1_17partition_subalgoE9EllbEEZZNS1_14partition_implILS5_9ELb0ES3_jPlS8_PNS0_10empty_typeENS0_5tupleIJS8_S9_EEENSB_IJS8_SA_EEENS0_18inequality_wrapperIZN2at6native12_GLOBAL__N_124unique_dim_cuda_templateIN3c108BFloat16EEESt5tupleIJNSF_6TensorESM_SM_EERKSM_lbbbEUlllE0_EEPmJS9_EEE10hipError_tPvRmT3_T4_T5_T6_T7_T9_mT8_P12ihipStream_tbDpT10_ENKUlT_T0_E_clISt17integral_constantIbLb1EES1B_IbLb0EEEEDaS17_S18_EUlS17_E_NS1_11comp_targetILNS1_3genE10ELNS1_11target_archE1200ELNS1_3gpuE4ELNS1_3repE0EEENS1_30default_config_static_selectorELNS0_4arch9wavefront6targetE0EEEvT1_.kd
    .uniform_work_group_size: 1
    .uses_dynamic_stack: false
    .vgpr_count:     0
    .vgpr_spill_count: 0
    .wavefront_size: 32
  - .args:
      - .offset:         0
        .size:           120
        .value_kind:     by_value
    .group_segment_fixed_size: 0
    .kernarg_segment_align: 8
    .kernarg_segment_size: 120
    .language:       OpenCL C
    .language_version:
      - 2
      - 0
    .max_flat_workgroup_size: 512
    .name:           _ZN7rocprim17ROCPRIM_400000_NS6detail17trampoline_kernelINS0_14default_configENS1_25partition_config_selectorILNS1_17partition_subalgoE9EllbEEZZNS1_14partition_implILS5_9ELb0ES3_jPlS8_PNS0_10empty_typeENS0_5tupleIJS8_S9_EEENSB_IJS8_SA_EEENS0_18inequality_wrapperIZN2at6native12_GLOBAL__N_124unique_dim_cuda_templateIN3c108BFloat16EEESt5tupleIJNSF_6TensorESM_SM_EERKSM_lbbbEUlllE0_EEPmJS9_EEE10hipError_tPvRmT3_T4_T5_T6_T7_T9_mT8_P12ihipStream_tbDpT10_ENKUlT_T0_E_clISt17integral_constantIbLb1EES1B_IbLb0EEEEDaS17_S18_EUlS17_E_NS1_11comp_targetILNS1_3genE9ELNS1_11target_archE1100ELNS1_3gpuE3ELNS1_3repE0EEENS1_30default_config_static_selectorELNS0_4arch9wavefront6targetE0EEEvT1_
    .private_segment_fixed_size: 0
    .sgpr_count:     0
    .sgpr_spill_count: 0
    .symbol:         _ZN7rocprim17ROCPRIM_400000_NS6detail17trampoline_kernelINS0_14default_configENS1_25partition_config_selectorILNS1_17partition_subalgoE9EllbEEZZNS1_14partition_implILS5_9ELb0ES3_jPlS8_PNS0_10empty_typeENS0_5tupleIJS8_S9_EEENSB_IJS8_SA_EEENS0_18inequality_wrapperIZN2at6native12_GLOBAL__N_124unique_dim_cuda_templateIN3c108BFloat16EEESt5tupleIJNSF_6TensorESM_SM_EERKSM_lbbbEUlllE0_EEPmJS9_EEE10hipError_tPvRmT3_T4_T5_T6_T7_T9_mT8_P12ihipStream_tbDpT10_ENKUlT_T0_E_clISt17integral_constantIbLb1EES1B_IbLb0EEEEDaS17_S18_EUlS17_E_NS1_11comp_targetILNS1_3genE9ELNS1_11target_archE1100ELNS1_3gpuE3ELNS1_3repE0EEENS1_30default_config_static_selectorELNS0_4arch9wavefront6targetE0EEEvT1_.kd
    .uniform_work_group_size: 1
    .uses_dynamic_stack: false
    .vgpr_count:     0
    .vgpr_spill_count: 0
    .wavefront_size: 32
  - .args:
      - .offset:         0
        .size:           120
        .value_kind:     by_value
    .group_segment_fixed_size: 0
    .kernarg_segment_align: 8
    .kernarg_segment_size: 120
    .language:       OpenCL C
    .language_version:
      - 2
      - 0
    .max_flat_workgroup_size: 512
    .name:           _ZN7rocprim17ROCPRIM_400000_NS6detail17trampoline_kernelINS0_14default_configENS1_25partition_config_selectorILNS1_17partition_subalgoE9EllbEEZZNS1_14partition_implILS5_9ELb0ES3_jPlS8_PNS0_10empty_typeENS0_5tupleIJS8_S9_EEENSB_IJS8_SA_EEENS0_18inequality_wrapperIZN2at6native12_GLOBAL__N_124unique_dim_cuda_templateIN3c108BFloat16EEESt5tupleIJNSF_6TensorESM_SM_EERKSM_lbbbEUlllE0_EEPmJS9_EEE10hipError_tPvRmT3_T4_T5_T6_T7_T9_mT8_P12ihipStream_tbDpT10_ENKUlT_T0_E_clISt17integral_constantIbLb1EES1B_IbLb0EEEEDaS17_S18_EUlS17_E_NS1_11comp_targetILNS1_3genE8ELNS1_11target_archE1030ELNS1_3gpuE2ELNS1_3repE0EEENS1_30default_config_static_selectorELNS0_4arch9wavefront6targetE0EEEvT1_
    .private_segment_fixed_size: 0
    .sgpr_count:     0
    .sgpr_spill_count: 0
    .symbol:         _ZN7rocprim17ROCPRIM_400000_NS6detail17trampoline_kernelINS0_14default_configENS1_25partition_config_selectorILNS1_17partition_subalgoE9EllbEEZZNS1_14partition_implILS5_9ELb0ES3_jPlS8_PNS0_10empty_typeENS0_5tupleIJS8_S9_EEENSB_IJS8_SA_EEENS0_18inequality_wrapperIZN2at6native12_GLOBAL__N_124unique_dim_cuda_templateIN3c108BFloat16EEESt5tupleIJNSF_6TensorESM_SM_EERKSM_lbbbEUlllE0_EEPmJS9_EEE10hipError_tPvRmT3_T4_T5_T6_T7_T9_mT8_P12ihipStream_tbDpT10_ENKUlT_T0_E_clISt17integral_constantIbLb1EES1B_IbLb0EEEEDaS17_S18_EUlS17_E_NS1_11comp_targetILNS1_3genE8ELNS1_11target_archE1030ELNS1_3gpuE2ELNS1_3repE0EEENS1_30default_config_static_selectorELNS0_4arch9wavefront6targetE0EEEvT1_.kd
    .uniform_work_group_size: 1
    .uses_dynamic_stack: false
    .vgpr_count:     0
    .vgpr_spill_count: 0
    .wavefront_size: 32
  - .args:
      - .offset:         0
        .size:           136
        .value_kind:     by_value
    .group_segment_fixed_size: 5128
    .kernarg_segment_align: 8
    .kernarg_segment_size: 136
    .language:       OpenCL C
    .language_version:
      - 2
      - 0
    .max_flat_workgroup_size: 128
    .name:           _ZN7rocprim17ROCPRIM_400000_NS6detail17trampoline_kernelINS0_14default_configENS1_25partition_config_selectorILNS1_17partition_subalgoE9EllbEEZZNS1_14partition_implILS5_9ELb0ES3_jPlS8_PNS0_10empty_typeENS0_5tupleIJS8_S9_EEENSB_IJS8_SA_EEENS0_18inequality_wrapperIZN2at6native12_GLOBAL__N_124unique_dim_cuda_templateIN3c108BFloat16EEESt5tupleIJNSF_6TensorESM_SM_EERKSM_lbbbEUlllE0_EEPmJS9_EEE10hipError_tPvRmT3_T4_T5_T6_T7_T9_mT8_P12ihipStream_tbDpT10_ENKUlT_T0_E_clISt17integral_constantIbLb0EES1B_IbLb1EEEEDaS17_S18_EUlS17_E_NS1_11comp_targetILNS1_3genE0ELNS1_11target_archE4294967295ELNS1_3gpuE0ELNS1_3repE0EEENS1_30default_config_static_selectorELNS0_4arch9wavefront6targetE0EEEvT1_
    .private_segment_fixed_size: 0
    .sgpr_count:     38
    .sgpr_spill_count: 0
    .symbol:         _ZN7rocprim17ROCPRIM_400000_NS6detail17trampoline_kernelINS0_14default_configENS1_25partition_config_selectorILNS1_17partition_subalgoE9EllbEEZZNS1_14partition_implILS5_9ELb0ES3_jPlS8_PNS0_10empty_typeENS0_5tupleIJS8_S9_EEENSB_IJS8_SA_EEENS0_18inequality_wrapperIZN2at6native12_GLOBAL__N_124unique_dim_cuda_templateIN3c108BFloat16EEESt5tupleIJNSF_6TensorESM_SM_EERKSM_lbbbEUlllE0_EEPmJS9_EEE10hipError_tPvRmT3_T4_T5_T6_T7_T9_mT8_P12ihipStream_tbDpT10_ENKUlT_T0_E_clISt17integral_constantIbLb0EES1B_IbLb1EEEEDaS17_S18_EUlS17_E_NS1_11comp_targetILNS1_3genE0ELNS1_11target_archE4294967295ELNS1_3gpuE0ELNS1_3repE0EEENS1_30default_config_static_selectorELNS0_4arch9wavefront6targetE0EEEvT1_.kd
    .uniform_work_group_size: 1
    .uses_dynamic_stack: false
    .vgpr_count:     55
    .vgpr_spill_count: 0
    .wavefront_size: 32
  - .args:
      - .offset:         0
        .size:           136
        .value_kind:     by_value
    .group_segment_fixed_size: 0
    .kernarg_segment_align: 8
    .kernarg_segment_size: 136
    .language:       OpenCL C
    .language_version:
      - 2
      - 0
    .max_flat_workgroup_size: 512
    .name:           _ZN7rocprim17ROCPRIM_400000_NS6detail17trampoline_kernelINS0_14default_configENS1_25partition_config_selectorILNS1_17partition_subalgoE9EllbEEZZNS1_14partition_implILS5_9ELb0ES3_jPlS8_PNS0_10empty_typeENS0_5tupleIJS8_S9_EEENSB_IJS8_SA_EEENS0_18inequality_wrapperIZN2at6native12_GLOBAL__N_124unique_dim_cuda_templateIN3c108BFloat16EEESt5tupleIJNSF_6TensorESM_SM_EERKSM_lbbbEUlllE0_EEPmJS9_EEE10hipError_tPvRmT3_T4_T5_T6_T7_T9_mT8_P12ihipStream_tbDpT10_ENKUlT_T0_E_clISt17integral_constantIbLb0EES1B_IbLb1EEEEDaS17_S18_EUlS17_E_NS1_11comp_targetILNS1_3genE5ELNS1_11target_archE942ELNS1_3gpuE9ELNS1_3repE0EEENS1_30default_config_static_selectorELNS0_4arch9wavefront6targetE0EEEvT1_
    .private_segment_fixed_size: 0
    .sgpr_count:     0
    .sgpr_spill_count: 0
    .symbol:         _ZN7rocprim17ROCPRIM_400000_NS6detail17trampoline_kernelINS0_14default_configENS1_25partition_config_selectorILNS1_17partition_subalgoE9EllbEEZZNS1_14partition_implILS5_9ELb0ES3_jPlS8_PNS0_10empty_typeENS0_5tupleIJS8_S9_EEENSB_IJS8_SA_EEENS0_18inequality_wrapperIZN2at6native12_GLOBAL__N_124unique_dim_cuda_templateIN3c108BFloat16EEESt5tupleIJNSF_6TensorESM_SM_EERKSM_lbbbEUlllE0_EEPmJS9_EEE10hipError_tPvRmT3_T4_T5_T6_T7_T9_mT8_P12ihipStream_tbDpT10_ENKUlT_T0_E_clISt17integral_constantIbLb0EES1B_IbLb1EEEEDaS17_S18_EUlS17_E_NS1_11comp_targetILNS1_3genE5ELNS1_11target_archE942ELNS1_3gpuE9ELNS1_3repE0EEENS1_30default_config_static_selectorELNS0_4arch9wavefront6targetE0EEEvT1_.kd
    .uniform_work_group_size: 1
    .uses_dynamic_stack: false
    .vgpr_count:     0
    .vgpr_spill_count: 0
    .wavefront_size: 32
  - .args:
      - .offset:         0
        .size:           136
        .value_kind:     by_value
    .group_segment_fixed_size: 0
    .kernarg_segment_align: 8
    .kernarg_segment_size: 136
    .language:       OpenCL C
    .language_version:
      - 2
      - 0
    .max_flat_workgroup_size: 128
    .name:           _ZN7rocprim17ROCPRIM_400000_NS6detail17trampoline_kernelINS0_14default_configENS1_25partition_config_selectorILNS1_17partition_subalgoE9EllbEEZZNS1_14partition_implILS5_9ELb0ES3_jPlS8_PNS0_10empty_typeENS0_5tupleIJS8_S9_EEENSB_IJS8_SA_EEENS0_18inequality_wrapperIZN2at6native12_GLOBAL__N_124unique_dim_cuda_templateIN3c108BFloat16EEESt5tupleIJNSF_6TensorESM_SM_EERKSM_lbbbEUlllE0_EEPmJS9_EEE10hipError_tPvRmT3_T4_T5_T6_T7_T9_mT8_P12ihipStream_tbDpT10_ENKUlT_T0_E_clISt17integral_constantIbLb0EES1B_IbLb1EEEEDaS17_S18_EUlS17_E_NS1_11comp_targetILNS1_3genE4ELNS1_11target_archE910ELNS1_3gpuE8ELNS1_3repE0EEENS1_30default_config_static_selectorELNS0_4arch9wavefront6targetE0EEEvT1_
    .private_segment_fixed_size: 0
    .sgpr_count:     0
    .sgpr_spill_count: 0
    .symbol:         _ZN7rocprim17ROCPRIM_400000_NS6detail17trampoline_kernelINS0_14default_configENS1_25partition_config_selectorILNS1_17partition_subalgoE9EllbEEZZNS1_14partition_implILS5_9ELb0ES3_jPlS8_PNS0_10empty_typeENS0_5tupleIJS8_S9_EEENSB_IJS8_SA_EEENS0_18inequality_wrapperIZN2at6native12_GLOBAL__N_124unique_dim_cuda_templateIN3c108BFloat16EEESt5tupleIJNSF_6TensorESM_SM_EERKSM_lbbbEUlllE0_EEPmJS9_EEE10hipError_tPvRmT3_T4_T5_T6_T7_T9_mT8_P12ihipStream_tbDpT10_ENKUlT_T0_E_clISt17integral_constantIbLb0EES1B_IbLb1EEEEDaS17_S18_EUlS17_E_NS1_11comp_targetILNS1_3genE4ELNS1_11target_archE910ELNS1_3gpuE8ELNS1_3repE0EEENS1_30default_config_static_selectorELNS0_4arch9wavefront6targetE0EEEvT1_.kd
    .uniform_work_group_size: 1
    .uses_dynamic_stack: false
    .vgpr_count:     0
    .vgpr_spill_count: 0
    .wavefront_size: 32
  - .args:
      - .offset:         0
        .size:           136
        .value_kind:     by_value
    .group_segment_fixed_size: 0
    .kernarg_segment_align: 8
    .kernarg_segment_size: 136
    .language:       OpenCL C
    .language_version:
      - 2
      - 0
    .max_flat_workgroup_size: 128
    .name:           _ZN7rocprim17ROCPRIM_400000_NS6detail17trampoline_kernelINS0_14default_configENS1_25partition_config_selectorILNS1_17partition_subalgoE9EllbEEZZNS1_14partition_implILS5_9ELb0ES3_jPlS8_PNS0_10empty_typeENS0_5tupleIJS8_S9_EEENSB_IJS8_SA_EEENS0_18inequality_wrapperIZN2at6native12_GLOBAL__N_124unique_dim_cuda_templateIN3c108BFloat16EEESt5tupleIJNSF_6TensorESM_SM_EERKSM_lbbbEUlllE0_EEPmJS9_EEE10hipError_tPvRmT3_T4_T5_T6_T7_T9_mT8_P12ihipStream_tbDpT10_ENKUlT_T0_E_clISt17integral_constantIbLb0EES1B_IbLb1EEEEDaS17_S18_EUlS17_E_NS1_11comp_targetILNS1_3genE3ELNS1_11target_archE908ELNS1_3gpuE7ELNS1_3repE0EEENS1_30default_config_static_selectorELNS0_4arch9wavefront6targetE0EEEvT1_
    .private_segment_fixed_size: 0
    .sgpr_count:     0
    .sgpr_spill_count: 0
    .symbol:         _ZN7rocprim17ROCPRIM_400000_NS6detail17trampoline_kernelINS0_14default_configENS1_25partition_config_selectorILNS1_17partition_subalgoE9EllbEEZZNS1_14partition_implILS5_9ELb0ES3_jPlS8_PNS0_10empty_typeENS0_5tupleIJS8_S9_EEENSB_IJS8_SA_EEENS0_18inequality_wrapperIZN2at6native12_GLOBAL__N_124unique_dim_cuda_templateIN3c108BFloat16EEESt5tupleIJNSF_6TensorESM_SM_EERKSM_lbbbEUlllE0_EEPmJS9_EEE10hipError_tPvRmT3_T4_T5_T6_T7_T9_mT8_P12ihipStream_tbDpT10_ENKUlT_T0_E_clISt17integral_constantIbLb0EES1B_IbLb1EEEEDaS17_S18_EUlS17_E_NS1_11comp_targetILNS1_3genE3ELNS1_11target_archE908ELNS1_3gpuE7ELNS1_3repE0EEENS1_30default_config_static_selectorELNS0_4arch9wavefront6targetE0EEEvT1_.kd
    .uniform_work_group_size: 1
    .uses_dynamic_stack: false
    .vgpr_count:     0
    .vgpr_spill_count: 0
    .wavefront_size: 32
  - .args:
      - .offset:         0
        .size:           136
        .value_kind:     by_value
    .group_segment_fixed_size: 0
    .kernarg_segment_align: 8
    .kernarg_segment_size: 136
    .language:       OpenCL C
    .language_version:
      - 2
      - 0
    .max_flat_workgroup_size: 192
    .name:           _ZN7rocprim17ROCPRIM_400000_NS6detail17trampoline_kernelINS0_14default_configENS1_25partition_config_selectorILNS1_17partition_subalgoE9EllbEEZZNS1_14partition_implILS5_9ELb0ES3_jPlS8_PNS0_10empty_typeENS0_5tupleIJS8_S9_EEENSB_IJS8_SA_EEENS0_18inequality_wrapperIZN2at6native12_GLOBAL__N_124unique_dim_cuda_templateIN3c108BFloat16EEESt5tupleIJNSF_6TensorESM_SM_EERKSM_lbbbEUlllE0_EEPmJS9_EEE10hipError_tPvRmT3_T4_T5_T6_T7_T9_mT8_P12ihipStream_tbDpT10_ENKUlT_T0_E_clISt17integral_constantIbLb0EES1B_IbLb1EEEEDaS17_S18_EUlS17_E_NS1_11comp_targetILNS1_3genE2ELNS1_11target_archE906ELNS1_3gpuE6ELNS1_3repE0EEENS1_30default_config_static_selectorELNS0_4arch9wavefront6targetE0EEEvT1_
    .private_segment_fixed_size: 0
    .sgpr_count:     0
    .sgpr_spill_count: 0
    .symbol:         _ZN7rocprim17ROCPRIM_400000_NS6detail17trampoline_kernelINS0_14default_configENS1_25partition_config_selectorILNS1_17partition_subalgoE9EllbEEZZNS1_14partition_implILS5_9ELb0ES3_jPlS8_PNS0_10empty_typeENS0_5tupleIJS8_S9_EEENSB_IJS8_SA_EEENS0_18inequality_wrapperIZN2at6native12_GLOBAL__N_124unique_dim_cuda_templateIN3c108BFloat16EEESt5tupleIJNSF_6TensorESM_SM_EERKSM_lbbbEUlllE0_EEPmJS9_EEE10hipError_tPvRmT3_T4_T5_T6_T7_T9_mT8_P12ihipStream_tbDpT10_ENKUlT_T0_E_clISt17integral_constantIbLb0EES1B_IbLb1EEEEDaS17_S18_EUlS17_E_NS1_11comp_targetILNS1_3genE2ELNS1_11target_archE906ELNS1_3gpuE6ELNS1_3repE0EEENS1_30default_config_static_selectorELNS0_4arch9wavefront6targetE0EEEvT1_.kd
    .uniform_work_group_size: 1
    .uses_dynamic_stack: false
    .vgpr_count:     0
    .vgpr_spill_count: 0
    .wavefront_size: 32
  - .args:
      - .offset:         0
        .size:           136
        .value_kind:     by_value
    .group_segment_fixed_size: 0
    .kernarg_segment_align: 8
    .kernarg_segment_size: 136
    .language:       OpenCL C
    .language_version:
      - 2
      - 0
    .max_flat_workgroup_size: 384
    .name:           _ZN7rocprim17ROCPRIM_400000_NS6detail17trampoline_kernelINS0_14default_configENS1_25partition_config_selectorILNS1_17partition_subalgoE9EllbEEZZNS1_14partition_implILS5_9ELb0ES3_jPlS8_PNS0_10empty_typeENS0_5tupleIJS8_S9_EEENSB_IJS8_SA_EEENS0_18inequality_wrapperIZN2at6native12_GLOBAL__N_124unique_dim_cuda_templateIN3c108BFloat16EEESt5tupleIJNSF_6TensorESM_SM_EERKSM_lbbbEUlllE0_EEPmJS9_EEE10hipError_tPvRmT3_T4_T5_T6_T7_T9_mT8_P12ihipStream_tbDpT10_ENKUlT_T0_E_clISt17integral_constantIbLb0EES1B_IbLb1EEEEDaS17_S18_EUlS17_E_NS1_11comp_targetILNS1_3genE10ELNS1_11target_archE1200ELNS1_3gpuE4ELNS1_3repE0EEENS1_30default_config_static_selectorELNS0_4arch9wavefront6targetE0EEEvT1_
    .private_segment_fixed_size: 0
    .sgpr_count:     0
    .sgpr_spill_count: 0
    .symbol:         _ZN7rocprim17ROCPRIM_400000_NS6detail17trampoline_kernelINS0_14default_configENS1_25partition_config_selectorILNS1_17partition_subalgoE9EllbEEZZNS1_14partition_implILS5_9ELb0ES3_jPlS8_PNS0_10empty_typeENS0_5tupleIJS8_S9_EEENSB_IJS8_SA_EEENS0_18inequality_wrapperIZN2at6native12_GLOBAL__N_124unique_dim_cuda_templateIN3c108BFloat16EEESt5tupleIJNSF_6TensorESM_SM_EERKSM_lbbbEUlllE0_EEPmJS9_EEE10hipError_tPvRmT3_T4_T5_T6_T7_T9_mT8_P12ihipStream_tbDpT10_ENKUlT_T0_E_clISt17integral_constantIbLb0EES1B_IbLb1EEEEDaS17_S18_EUlS17_E_NS1_11comp_targetILNS1_3genE10ELNS1_11target_archE1200ELNS1_3gpuE4ELNS1_3repE0EEENS1_30default_config_static_selectorELNS0_4arch9wavefront6targetE0EEEvT1_.kd
    .uniform_work_group_size: 1
    .uses_dynamic_stack: false
    .vgpr_count:     0
    .vgpr_spill_count: 0
    .wavefront_size: 32
  - .args:
      - .offset:         0
        .size:           136
        .value_kind:     by_value
    .group_segment_fixed_size: 0
    .kernarg_segment_align: 8
    .kernarg_segment_size: 136
    .language:       OpenCL C
    .language_version:
      - 2
      - 0
    .max_flat_workgroup_size: 512
    .name:           _ZN7rocprim17ROCPRIM_400000_NS6detail17trampoline_kernelINS0_14default_configENS1_25partition_config_selectorILNS1_17partition_subalgoE9EllbEEZZNS1_14partition_implILS5_9ELb0ES3_jPlS8_PNS0_10empty_typeENS0_5tupleIJS8_S9_EEENSB_IJS8_SA_EEENS0_18inequality_wrapperIZN2at6native12_GLOBAL__N_124unique_dim_cuda_templateIN3c108BFloat16EEESt5tupleIJNSF_6TensorESM_SM_EERKSM_lbbbEUlllE0_EEPmJS9_EEE10hipError_tPvRmT3_T4_T5_T6_T7_T9_mT8_P12ihipStream_tbDpT10_ENKUlT_T0_E_clISt17integral_constantIbLb0EES1B_IbLb1EEEEDaS17_S18_EUlS17_E_NS1_11comp_targetILNS1_3genE9ELNS1_11target_archE1100ELNS1_3gpuE3ELNS1_3repE0EEENS1_30default_config_static_selectorELNS0_4arch9wavefront6targetE0EEEvT1_
    .private_segment_fixed_size: 0
    .sgpr_count:     0
    .sgpr_spill_count: 0
    .symbol:         _ZN7rocprim17ROCPRIM_400000_NS6detail17trampoline_kernelINS0_14default_configENS1_25partition_config_selectorILNS1_17partition_subalgoE9EllbEEZZNS1_14partition_implILS5_9ELb0ES3_jPlS8_PNS0_10empty_typeENS0_5tupleIJS8_S9_EEENSB_IJS8_SA_EEENS0_18inequality_wrapperIZN2at6native12_GLOBAL__N_124unique_dim_cuda_templateIN3c108BFloat16EEESt5tupleIJNSF_6TensorESM_SM_EERKSM_lbbbEUlllE0_EEPmJS9_EEE10hipError_tPvRmT3_T4_T5_T6_T7_T9_mT8_P12ihipStream_tbDpT10_ENKUlT_T0_E_clISt17integral_constantIbLb0EES1B_IbLb1EEEEDaS17_S18_EUlS17_E_NS1_11comp_targetILNS1_3genE9ELNS1_11target_archE1100ELNS1_3gpuE3ELNS1_3repE0EEENS1_30default_config_static_selectorELNS0_4arch9wavefront6targetE0EEEvT1_.kd
    .uniform_work_group_size: 1
    .uses_dynamic_stack: false
    .vgpr_count:     0
    .vgpr_spill_count: 0
    .wavefront_size: 32
  - .args:
      - .offset:         0
        .size:           136
        .value_kind:     by_value
    .group_segment_fixed_size: 0
    .kernarg_segment_align: 8
    .kernarg_segment_size: 136
    .language:       OpenCL C
    .language_version:
      - 2
      - 0
    .max_flat_workgroup_size: 512
    .name:           _ZN7rocprim17ROCPRIM_400000_NS6detail17trampoline_kernelINS0_14default_configENS1_25partition_config_selectorILNS1_17partition_subalgoE9EllbEEZZNS1_14partition_implILS5_9ELb0ES3_jPlS8_PNS0_10empty_typeENS0_5tupleIJS8_S9_EEENSB_IJS8_SA_EEENS0_18inequality_wrapperIZN2at6native12_GLOBAL__N_124unique_dim_cuda_templateIN3c108BFloat16EEESt5tupleIJNSF_6TensorESM_SM_EERKSM_lbbbEUlllE0_EEPmJS9_EEE10hipError_tPvRmT3_T4_T5_T6_T7_T9_mT8_P12ihipStream_tbDpT10_ENKUlT_T0_E_clISt17integral_constantIbLb0EES1B_IbLb1EEEEDaS17_S18_EUlS17_E_NS1_11comp_targetILNS1_3genE8ELNS1_11target_archE1030ELNS1_3gpuE2ELNS1_3repE0EEENS1_30default_config_static_selectorELNS0_4arch9wavefront6targetE0EEEvT1_
    .private_segment_fixed_size: 0
    .sgpr_count:     0
    .sgpr_spill_count: 0
    .symbol:         _ZN7rocprim17ROCPRIM_400000_NS6detail17trampoline_kernelINS0_14default_configENS1_25partition_config_selectorILNS1_17partition_subalgoE9EllbEEZZNS1_14partition_implILS5_9ELb0ES3_jPlS8_PNS0_10empty_typeENS0_5tupleIJS8_S9_EEENSB_IJS8_SA_EEENS0_18inequality_wrapperIZN2at6native12_GLOBAL__N_124unique_dim_cuda_templateIN3c108BFloat16EEESt5tupleIJNSF_6TensorESM_SM_EERKSM_lbbbEUlllE0_EEPmJS9_EEE10hipError_tPvRmT3_T4_T5_T6_T7_T9_mT8_P12ihipStream_tbDpT10_ENKUlT_T0_E_clISt17integral_constantIbLb0EES1B_IbLb1EEEEDaS17_S18_EUlS17_E_NS1_11comp_targetILNS1_3genE8ELNS1_11target_archE1030ELNS1_3gpuE2ELNS1_3repE0EEENS1_30default_config_static_selectorELNS0_4arch9wavefront6targetE0EEEvT1_.kd
    .uniform_work_group_size: 1
    .uses_dynamic_stack: false
    .vgpr_count:     0
    .vgpr_spill_count: 0
    .wavefront_size: 32
  - .args:
      - .offset:         0
        .size:           72
        .value_kind:     by_value
      - .offset:         72
        .size:           4
        .value_kind:     hidden_block_count_x
      - .offset:         76
        .size:           4
        .value_kind:     hidden_block_count_y
      - .offset:         80
        .size:           4
        .value_kind:     hidden_block_count_z
      - .offset:         84
        .size:           2
        .value_kind:     hidden_group_size_x
      - .offset:         86
        .size:           2
        .value_kind:     hidden_group_size_y
      - .offset:         88
        .size:           2
        .value_kind:     hidden_group_size_z
      - .offset:         90
        .size:           2
        .value_kind:     hidden_remainder_x
      - .offset:         92
        .size:           2
        .value_kind:     hidden_remainder_y
      - .offset:         94
        .size:           2
        .value_kind:     hidden_remainder_z
      - .offset:         112
        .size:           8
        .value_kind:     hidden_global_offset_x
      - .offset:         120
        .size:           8
        .value_kind:     hidden_global_offset_y
      - .offset:         128
        .size:           8
        .value_kind:     hidden_global_offset_z
      - .offset:         136
        .size:           2
        .value_kind:     hidden_grid_dims
      - .offset:         152
        .size:           8
        .value_kind:     hidden_hostcall_buffer
      - .offset:         160
        .size:           8
        .value_kind:     hidden_multigrid_sync_arg
      - .offset:         168
        .size:           8
        .value_kind:     hidden_heap_v1
      - .offset:         176
        .size:           8
        .value_kind:     hidden_default_queue
      - .offset:         184
        .size:           8
        .value_kind:     hidden_completion_action
      - .offset:         272
        .size:           8
        .value_kind:     hidden_queue_ptr
    .group_segment_fixed_size: 16896
    .kernarg_segment_align: 8
    .kernarg_segment_size: 328
    .language:       OpenCL C
    .language_version:
      - 2
      - 0
    .max_flat_workgroup_size: 256
    .name:           _ZN7rocprim17ROCPRIM_400000_NS6detail17trampoline_kernelINS0_14default_configENS1_37merge_sort_block_sort_config_selectorIlNS0_10empty_typeEEEZNS1_21merge_sort_block_sortIS3_PlS8_PS5_S9_ZN2at6native12_GLOBAL__N_124unique_dim_cuda_templateIN3c104HalfEEESt5tupleIJNSA_6TensorESH_SH_EERKSH_lbbbEUlllE_EE10hipError_tT0_T1_T2_T3_mRjT4_P12ihipStream_tbNS1_7vsmem_tEEUlT_E_NS1_11comp_targetILNS1_3genE0ELNS1_11target_archE4294967295ELNS1_3gpuE0ELNS1_3repE0EEENS1_30default_config_static_selectorELNS0_4arch9wavefront6targetE0EEEvSO_
    .private_segment_fixed_size: 0
    .sgpr_count:     46
    .sgpr_spill_count: 0
    .symbol:         _ZN7rocprim17ROCPRIM_400000_NS6detail17trampoline_kernelINS0_14default_configENS1_37merge_sort_block_sort_config_selectorIlNS0_10empty_typeEEEZNS1_21merge_sort_block_sortIS3_PlS8_PS5_S9_ZN2at6native12_GLOBAL__N_124unique_dim_cuda_templateIN3c104HalfEEESt5tupleIJNSA_6TensorESH_SH_EERKSH_lbbbEUlllE_EE10hipError_tT0_T1_T2_T3_mRjT4_P12ihipStream_tbNS1_7vsmem_tEEUlT_E_NS1_11comp_targetILNS1_3genE0ELNS1_11target_archE4294967295ELNS1_3gpuE0ELNS1_3repE0EEENS1_30default_config_static_selectorELNS0_4arch9wavefront6targetE0EEEvSO_.kd
    .uniform_work_group_size: 1
    .uses_dynamic_stack: false
    .vgpr_count:     120
    .vgpr_spill_count: 0
    .wavefront_size: 32
  - .args:
      - .offset:         0
        .size:           72
        .value_kind:     by_value
    .group_segment_fixed_size: 0
    .kernarg_segment_align: 8
    .kernarg_segment_size: 72
    .language:       OpenCL C
    .language_version:
      - 2
      - 0
    .max_flat_workgroup_size: 256
    .name:           _ZN7rocprim17ROCPRIM_400000_NS6detail17trampoline_kernelINS0_14default_configENS1_37merge_sort_block_sort_config_selectorIlNS0_10empty_typeEEEZNS1_21merge_sort_block_sortIS3_PlS8_PS5_S9_ZN2at6native12_GLOBAL__N_124unique_dim_cuda_templateIN3c104HalfEEESt5tupleIJNSA_6TensorESH_SH_EERKSH_lbbbEUlllE_EE10hipError_tT0_T1_T2_T3_mRjT4_P12ihipStream_tbNS1_7vsmem_tEEUlT_E_NS1_11comp_targetILNS1_3genE5ELNS1_11target_archE942ELNS1_3gpuE9ELNS1_3repE0EEENS1_30default_config_static_selectorELNS0_4arch9wavefront6targetE0EEEvSO_
    .private_segment_fixed_size: 0
    .sgpr_count:     0
    .sgpr_spill_count: 0
    .symbol:         _ZN7rocprim17ROCPRIM_400000_NS6detail17trampoline_kernelINS0_14default_configENS1_37merge_sort_block_sort_config_selectorIlNS0_10empty_typeEEEZNS1_21merge_sort_block_sortIS3_PlS8_PS5_S9_ZN2at6native12_GLOBAL__N_124unique_dim_cuda_templateIN3c104HalfEEESt5tupleIJNSA_6TensorESH_SH_EERKSH_lbbbEUlllE_EE10hipError_tT0_T1_T2_T3_mRjT4_P12ihipStream_tbNS1_7vsmem_tEEUlT_E_NS1_11comp_targetILNS1_3genE5ELNS1_11target_archE942ELNS1_3gpuE9ELNS1_3repE0EEENS1_30default_config_static_selectorELNS0_4arch9wavefront6targetE0EEEvSO_.kd
    .uniform_work_group_size: 1
    .uses_dynamic_stack: false
    .vgpr_count:     0
    .vgpr_spill_count: 0
    .wavefront_size: 32
  - .args:
      - .offset:         0
        .size:           72
        .value_kind:     by_value
    .group_segment_fixed_size: 0
    .kernarg_segment_align: 8
    .kernarg_segment_size: 72
    .language:       OpenCL C
    .language_version:
      - 2
      - 0
    .max_flat_workgroup_size: 256
    .name:           _ZN7rocprim17ROCPRIM_400000_NS6detail17trampoline_kernelINS0_14default_configENS1_37merge_sort_block_sort_config_selectorIlNS0_10empty_typeEEEZNS1_21merge_sort_block_sortIS3_PlS8_PS5_S9_ZN2at6native12_GLOBAL__N_124unique_dim_cuda_templateIN3c104HalfEEESt5tupleIJNSA_6TensorESH_SH_EERKSH_lbbbEUlllE_EE10hipError_tT0_T1_T2_T3_mRjT4_P12ihipStream_tbNS1_7vsmem_tEEUlT_E_NS1_11comp_targetILNS1_3genE4ELNS1_11target_archE910ELNS1_3gpuE8ELNS1_3repE0EEENS1_30default_config_static_selectorELNS0_4arch9wavefront6targetE0EEEvSO_
    .private_segment_fixed_size: 0
    .sgpr_count:     0
    .sgpr_spill_count: 0
    .symbol:         _ZN7rocprim17ROCPRIM_400000_NS6detail17trampoline_kernelINS0_14default_configENS1_37merge_sort_block_sort_config_selectorIlNS0_10empty_typeEEEZNS1_21merge_sort_block_sortIS3_PlS8_PS5_S9_ZN2at6native12_GLOBAL__N_124unique_dim_cuda_templateIN3c104HalfEEESt5tupleIJNSA_6TensorESH_SH_EERKSH_lbbbEUlllE_EE10hipError_tT0_T1_T2_T3_mRjT4_P12ihipStream_tbNS1_7vsmem_tEEUlT_E_NS1_11comp_targetILNS1_3genE4ELNS1_11target_archE910ELNS1_3gpuE8ELNS1_3repE0EEENS1_30default_config_static_selectorELNS0_4arch9wavefront6targetE0EEEvSO_.kd
    .uniform_work_group_size: 1
    .uses_dynamic_stack: false
    .vgpr_count:     0
    .vgpr_spill_count: 0
    .wavefront_size: 32
  - .args:
      - .offset:         0
        .size:           72
        .value_kind:     by_value
    .group_segment_fixed_size: 0
    .kernarg_segment_align: 8
    .kernarg_segment_size: 72
    .language:       OpenCL C
    .language_version:
      - 2
      - 0
    .max_flat_workgroup_size: 256
    .name:           _ZN7rocprim17ROCPRIM_400000_NS6detail17trampoline_kernelINS0_14default_configENS1_37merge_sort_block_sort_config_selectorIlNS0_10empty_typeEEEZNS1_21merge_sort_block_sortIS3_PlS8_PS5_S9_ZN2at6native12_GLOBAL__N_124unique_dim_cuda_templateIN3c104HalfEEESt5tupleIJNSA_6TensorESH_SH_EERKSH_lbbbEUlllE_EE10hipError_tT0_T1_T2_T3_mRjT4_P12ihipStream_tbNS1_7vsmem_tEEUlT_E_NS1_11comp_targetILNS1_3genE3ELNS1_11target_archE908ELNS1_3gpuE7ELNS1_3repE0EEENS1_30default_config_static_selectorELNS0_4arch9wavefront6targetE0EEEvSO_
    .private_segment_fixed_size: 0
    .sgpr_count:     0
    .sgpr_spill_count: 0
    .symbol:         _ZN7rocprim17ROCPRIM_400000_NS6detail17trampoline_kernelINS0_14default_configENS1_37merge_sort_block_sort_config_selectorIlNS0_10empty_typeEEEZNS1_21merge_sort_block_sortIS3_PlS8_PS5_S9_ZN2at6native12_GLOBAL__N_124unique_dim_cuda_templateIN3c104HalfEEESt5tupleIJNSA_6TensorESH_SH_EERKSH_lbbbEUlllE_EE10hipError_tT0_T1_T2_T3_mRjT4_P12ihipStream_tbNS1_7vsmem_tEEUlT_E_NS1_11comp_targetILNS1_3genE3ELNS1_11target_archE908ELNS1_3gpuE7ELNS1_3repE0EEENS1_30default_config_static_selectorELNS0_4arch9wavefront6targetE0EEEvSO_.kd
    .uniform_work_group_size: 1
    .uses_dynamic_stack: false
    .vgpr_count:     0
    .vgpr_spill_count: 0
    .wavefront_size: 32
  - .args:
      - .offset:         0
        .size:           72
        .value_kind:     by_value
    .group_segment_fixed_size: 0
    .kernarg_segment_align: 8
    .kernarg_segment_size: 72
    .language:       OpenCL C
    .language_version:
      - 2
      - 0
    .max_flat_workgroup_size: 256
    .name:           _ZN7rocprim17ROCPRIM_400000_NS6detail17trampoline_kernelINS0_14default_configENS1_37merge_sort_block_sort_config_selectorIlNS0_10empty_typeEEEZNS1_21merge_sort_block_sortIS3_PlS8_PS5_S9_ZN2at6native12_GLOBAL__N_124unique_dim_cuda_templateIN3c104HalfEEESt5tupleIJNSA_6TensorESH_SH_EERKSH_lbbbEUlllE_EE10hipError_tT0_T1_T2_T3_mRjT4_P12ihipStream_tbNS1_7vsmem_tEEUlT_E_NS1_11comp_targetILNS1_3genE2ELNS1_11target_archE906ELNS1_3gpuE6ELNS1_3repE0EEENS1_30default_config_static_selectorELNS0_4arch9wavefront6targetE0EEEvSO_
    .private_segment_fixed_size: 0
    .sgpr_count:     0
    .sgpr_spill_count: 0
    .symbol:         _ZN7rocprim17ROCPRIM_400000_NS6detail17trampoline_kernelINS0_14default_configENS1_37merge_sort_block_sort_config_selectorIlNS0_10empty_typeEEEZNS1_21merge_sort_block_sortIS3_PlS8_PS5_S9_ZN2at6native12_GLOBAL__N_124unique_dim_cuda_templateIN3c104HalfEEESt5tupleIJNSA_6TensorESH_SH_EERKSH_lbbbEUlllE_EE10hipError_tT0_T1_T2_T3_mRjT4_P12ihipStream_tbNS1_7vsmem_tEEUlT_E_NS1_11comp_targetILNS1_3genE2ELNS1_11target_archE906ELNS1_3gpuE6ELNS1_3repE0EEENS1_30default_config_static_selectorELNS0_4arch9wavefront6targetE0EEEvSO_.kd
    .uniform_work_group_size: 1
    .uses_dynamic_stack: false
    .vgpr_count:     0
    .vgpr_spill_count: 0
    .wavefront_size: 32
  - .args:
      - .offset:         0
        .size:           72
        .value_kind:     by_value
    .group_segment_fixed_size: 0
    .kernarg_segment_align: 8
    .kernarg_segment_size: 72
    .language:       OpenCL C
    .language_version:
      - 2
      - 0
    .max_flat_workgroup_size: 256
    .name:           _ZN7rocprim17ROCPRIM_400000_NS6detail17trampoline_kernelINS0_14default_configENS1_37merge_sort_block_sort_config_selectorIlNS0_10empty_typeEEEZNS1_21merge_sort_block_sortIS3_PlS8_PS5_S9_ZN2at6native12_GLOBAL__N_124unique_dim_cuda_templateIN3c104HalfEEESt5tupleIJNSA_6TensorESH_SH_EERKSH_lbbbEUlllE_EE10hipError_tT0_T1_T2_T3_mRjT4_P12ihipStream_tbNS1_7vsmem_tEEUlT_E_NS1_11comp_targetILNS1_3genE10ELNS1_11target_archE1201ELNS1_3gpuE5ELNS1_3repE0EEENS1_30default_config_static_selectorELNS0_4arch9wavefront6targetE0EEEvSO_
    .private_segment_fixed_size: 0
    .sgpr_count:     0
    .sgpr_spill_count: 0
    .symbol:         _ZN7rocprim17ROCPRIM_400000_NS6detail17trampoline_kernelINS0_14default_configENS1_37merge_sort_block_sort_config_selectorIlNS0_10empty_typeEEEZNS1_21merge_sort_block_sortIS3_PlS8_PS5_S9_ZN2at6native12_GLOBAL__N_124unique_dim_cuda_templateIN3c104HalfEEESt5tupleIJNSA_6TensorESH_SH_EERKSH_lbbbEUlllE_EE10hipError_tT0_T1_T2_T3_mRjT4_P12ihipStream_tbNS1_7vsmem_tEEUlT_E_NS1_11comp_targetILNS1_3genE10ELNS1_11target_archE1201ELNS1_3gpuE5ELNS1_3repE0EEENS1_30default_config_static_selectorELNS0_4arch9wavefront6targetE0EEEvSO_.kd
    .uniform_work_group_size: 1
    .uses_dynamic_stack: false
    .vgpr_count:     0
    .vgpr_spill_count: 0
    .wavefront_size: 32
  - .args:
      - .offset:         0
        .size:           72
        .value_kind:     by_value
    .group_segment_fixed_size: 0
    .kernarg_segment_align: 8
    .kernarg_segment_size: 72
    .language:       OpenCL C
    .language_version:
      - 2
      - 0
    .max_flat_workgroup_size: 512
    .name:           _ZN7rocprim17ROCPRIM_400000_NS6detail17trampoline_kernelINS0_14default_configENS1_37merge_sort_block_sort_config_selectorIlNS0_10empty_typeEEEZNS1_21merge_sort_block_sortIS3_PlS8_PS5_S9_ZN2at6native12_GLOBAL__N_124unique_dim_cuda_templateIN3c104HalfEEESt5tupleIJNSA_6TensorESH_SH_EERKSH_lbbbEUlllE_EE10hipError_tT0_T1_T2_T3_mRjT4_P12ihipStream_tbNS1_7vsmem_tEEUlT_E_NS1_11comp_targetILNS1_3genE10ELNS1_11target_archE1200ELNS1_3gpuE4ELNS1_3repE0EEENS1_30default_config_static_selectorELNS0_4arch9wavefront6targetE0EEEvSO_
    .private_segment_fixed_size: 0
    .sgpr_count:     0
    .sgpr_spill_count: 0
    .symbol:         _ZN7rocprim17ROCPRIM_400000_NS6detail17trampoline_kernelINS0_14default_configENS1_37merge_sort_block_sort_config_selectorIlNS0_10empty_typeEEEZNS1_21merge_sort_block_sortIS3_PlS8_PS5_S9_ZN2at6native12_GLOBAL__N_124unique_dim_cuda_templateIN3c104HalfEEESt5tupleIJNSA_6TensorESH_SH_EERKSH_lbbbEUlllE_EE10hipError_tT0_T1_T2_T3_mRjT4_P12ihipStream_tbNS1_7vsmem_tEEUlT_E_NS1_11comp_targetILNS1_3genE10ELNS1_11target_archE1200ELNS1_3gpuE4ELNS1_3repE0EEENS1_30default_config_static_selectorELNS0_4arch9wavefront6targetE0EEEvSO_.kd
    .uniform_work_group_size: 1
    .uses_dynamic_stack: false
    .vgpr_count:     0
    .vgpr_spill_count: 0
    .wavefront_size: 32
  - .args:
      - .offset:         0
        .size:           72
        .value_kind:     by_value
    .group_segment_fixed_size: 0
    .kernarg_segment_align: 8
    .kernarg_segment_size: 72
    .language:       OpenCL C
    .language_version:
      - 2
      - 0
    .max_flat_workgroup_size: 256
    .name:           _ZN7rocprim17ROCPRIM_400000_NS6detail17trampoline_kernelINS0_14default_configENS1_37merge_sort_block_sort_config_selectorIlNS0_10empty_typeEEEZNS1_21merge_sort_block_sortIS3_PlS8_PS5_S9_ZN2at6native12_GLOBAL__N_124unique_dim_cuda_templateIN3c104HalfEEESt5tupleIJNSA_6TensorESH_SH_EERKSH_lbbbEUlllE_EE10hipError_tT0_T1_T2_T3_mRjT4_P12ihipStream_tbNS1_7vsmem_tEEUlT_E_NS1_11comp_targetILNS1_3genE9ELNS1_11target_archE1100ELNS1_3gpuE3ELNS1_3repE0EEENS1_30default_config_static_selectorELNS0_4arch9wavefront6targetE0EEEvSO_
    .private_segment_fixed_size: 0
    .sgpr_count:     0
    .sgpr_spill_count: 0
    .symbol:         _ZN7rocprim17ROCPRIM_400000_NS6detail17trampoline_kernelINS0_14default_configENS1_37merge_sort_block_sort_config_selectorIlNS0_10empty_typeEEEZNS1_21merge_sort_block_sortIS3_PlS8_PS5_S9_ZN2at6native12_GLOBAL__N_124unique_dim_cuda_templateIN3c104HalfEEESt5tupleIJNSA_6TensorESH_SH_EERKSH_lbbbEUlllE_EE10hipError_tT0_T1_T2_T3_mRjT4_P12ihipStream_tbNS1_7vsmem_tEEUlT_E_NS1_11comp_targetILNS1_3genE9ELNS1_11target_archE1100ELNS1_3gpuE3ELNS1_3repE0EEENS1_30default_config_static_selectorELNS0_4arch9wavefront6targetE0EEEvSO_.kd
    .uniform_work_group_size: 1
    .uses_dynamic_stack: false
    .vgpr_count:     0
    .vgpr_spill_count: 0
    .wavefront_size: 32
  - .args:
      - .offset:         0
        .size:           72
        .value_kind:     by_value
    .group_segment_fixed_size: 0
    .kernarg_segment_align: 8
    .kernarg_segment_size: 72
    .language:       OpenCL C
    .language_version:
      - 2
      - 0
    .max_flat_workgroup_size: 256
    .name:           _ZN7rocprim17ROCPRIM_400000_NS6detail17trampoline_kernelINS0_14default_configENS1_37merge_sort_block_sort_config_selectorIlNS0_10empty_typeEEEZNS1_21merge_sort_block_sortIS3_PlS8_PS5_S9_ZN2at6native12_GLOBAL__N_124unique_dim_cuda_templateIN3c104HalfEEESt5tupleIJNSA_6TensorESH_SH_EERKSH_lbbbEUlllE_EE10hipError_tT0_T1_T2_T3_mRjT4_P12ihipStream_tbNS1_7vsmem_tEEUlT_E_NS1_11comp_targetILNS1_3genE8ELNS1_11target_archE1030ELNS1_3gpuE2ELNS1_3repE0EEENS1_30default_config_static_selectorELNS0_4arch9wavefront6targetE0EEEvSO_
    .private_segment_fixed_size: 0
    .sgpr_count:     0
    .sgpr_spill_count: 0
    .symbol:         _ZN7rocprim17ROCPRIM_400000_NS6detail17trampoline_kernelINS0_14default_configENS1_37merge_sort_block_sort_config_selectorIlNS0_10empty_typeEEEZNS1_21merge_sort_block_sortIS3_PlS8_PS5_S9_ZN2at6native12_GLOBAL__N_124unique_dim_cuda_templateIN3c104HalfEEESt5tupleIJNSA_6TensorESH_SH_EERKSH_lbbbEUlllE_EE10hipError_tT0_T1_T2_T3_mRjT4_P12ihipStream_tbNS1_7vsmem_tEEUlT_E_NS1_11comp_targetILNS1_3genE8ELNS1_11target_archE1030ELNS1_3gpuE2ELNS1_3repE0EEENS1_30default_config_static_selectorELNS0_4arch9wavefront6targetE0EEEvSO_.kd
    .uniform_work_group_size: 1
    .uses_dynamic_stack: false
    .vgpr_count:     0
    .vgpr_spill_count: 0
    .wavefront_size: 32
  - .args:
      - .offset:         0
        .size:           56
        .value_kind:     by_value
    .group_segment_fixed_size: 0
    .kernarg_segment_align: 8
    .kernarg_segment_size: 56
    .language:       OpenCL C
    .language_version:
      - 2
      - 0
    .max_flat_workgroup_size: 128
    .name:           _ZN7rocprim17ROCPRIM_400000_NS6detail17trampoline_kernelINS0_14default_configENS1_38merge_sort_block_merge_config_selectorIlNS0_10empty_typeEEEZZNS1_27merge_sort_block_merge_implIS3_PlPS5_mZN2at6native12_GLOBAL__N_124unique_dim_cuda_templateIN3c104HalfEEESt5tupleIJNSA_6TensorESH_SH_EERKSH_lbbbEUlllE_EE10hipError_tT0_T1_T2_jT3_P12ihipStream_tbPNSt15iterator_traitsISN_E10value_typeEPNST_ISO_E10value_typeEPSP_NS1_7vsmem_tEENKUlT_SN_SO_SP_E_clIS8_S8_S9_S9_EESM_S12_SN_SO_SP_EUlS12_E_NS1_11comp_targetILNS1_3genE0ELNS1_11target_archE4294967295ELNS1_3gpuE0ELNS1_3repE0EEENS1_48merge_mergepath_partition_config_static_selectorELNS0_4arch9wavefront6targetE0EEEvSO_
    .private_segment_fixed_size: 0
    .sgpr_count:     23
    .sgpr_spill_count: 0
    .symbol:         _ZN7rocprim17ROCPRIM_400000_NS6detail17trampoline_kernelINS0_14default_configENS1_38merge_sort_block_merge_config_selectorIlNS0_10empty_typeEEEZZNS1_27merge_sort_block_merge_implIS3_PlPS5_mZN2at6native12_GLOBAL__N_124unique_dim_cuda_templateIN3c104HalfEEESt5tupleIJNSA_6TensorESH_SH_EERKSH_lbbbEUlllE_EE10hipError_tT0_T1_T2_jT3_P12ihipStream_tbPNSt15iterator_traitsISN_E10value_typeEPNST_ISO_E10value_typeEPSP_NS1_7vsmem_tEENKUlT_SN_SO_SP_E_clIS8_S8_S9_S9_EESM_S12_SN_SO_SP_EUlS12_E_NS1_11comp_targetILNS1_3genE0ELNS1_11target_archE4294967295ELNS1_3gpuE0ELNS1_3repE0EEENS1_48merge_mergepath_partition_config_static_selectorELNS0_4arch9wavefront6targetE0EEEvSO_.kd
    .uniform_work_group_size: 1
    .uses_dynamic_stack: false
    .vgpr_count:     22
    .vgpr_spill_count: 0
    .wavefront_size: 32
  - .args:
      - .offset:         0
        .size:           56
        .value_kind:     by_value
    .group_segment_fixed_size: 0
    .kernarg_segment_align: 8
    .kernarg_segment_size: 56
    .language:       OpenCL C
    .language_version:
      - 2
      - 0
    .max_flat_workgroup_size: 128
    .name:           _ZN7rocprim17ROCPRIM_400000_NS6detail17trampoline_kernelINS0_14default_configENS1_38merge_sort_block_merge_config_selectorIlNS0_10empty_typeEEEZZNS1_27merge_sort_block_merge_implIS3_PlPS5_mZN2at6native12_GLOBAL__N_124unique_dim_cuda_templateIN3c104HalfEEESt5tupleIJNSA_6TensorESH_SH_EERKSH_lbbbEUlllE_EE10hipError_tT0_T1_T2_jT3_P12ihipStream_tbPNSt15iterator_traitsISN_E10value_typeEPNST_ISO_E10value_typeEPSP_NS1_7vsmem_tEENKUlT_SN_SO_SP_E_clIS8_S8_S9_S9_EESM_S12_SN_SO_SP_EUlS12_E_NS1_11comp_targetILNS1_3genE10ELNS1_11target_archE1201ELNS1_3gpuE5ELNS1_3repE0EEENS1_48merge_mergepath_partition_config_static_selectorELNS0_4arch9wavefront6targetE0EEEvSO_
    .private_segment_fixed_size: 0
    .sgpr_count:     0
    .sgpr_spill_count: 0
    .symbol:         _ZN7rocprim17ROCPRIM_400000_NS6detail17trampoline_kernelINS0_14default_configENS1_38merge_sort_block_merge_config_selectorIlNS0_10empty_typeEEEZZNS1_27merge_sort_block_merge_implIS3_PlPS5_mZN2at6native12_GLOBAL__N_124unique_dim_cuda_templateIN3c104HalfEEESt5tupleIJNSA_6TensorESH_SH_EERKSH_lbbbEUlllE_EE10hipError_tT0_T1_T2_jT3_P12ihipStream_tbPNSt15iterator_traitsISN_E10value_typeEPNST_ISO_E10value_typeEPSP_NS1_7vsmem_tEENKUlT_SN_SO_SP_E_clIS8_S8_S9_S9_EESM_S12_SN_SO_SP_EUlS12_E_NS1_11comp_targetILNS1_3genE10ELNS1_11target_archE1201ELNS1_3gpuE5ELNS1_3repE0EEENS1_48merge_mergepath_partition_config_static_selectorELNS0_4arch9wavefront6targetE0EEEvSO_.kd
    .uniform_work_group_size: 1
    .uses_dynamic_stack: false
    .vgpr_count:     0
    .vgpr_spill_count: 0
    .wavefront_size: 32
  - .args:
      - .offset:         0
        .size:           56
        .value_kind:     by_value
    .group_segment_fixed_size: 0
    .kernarg_segment_align: 8
    .kernarg_segment_size: 56
    .language:       OpenCL C
    .language_version:
      - 2
      - 0
    .max_flat_workgroup_size: 128
    .name:           _ZN7rocprim17ROCPRIM_400000_NS6detail17trampoline_kernelINS0_14default_configENS1_38merge_sort_block_merge_config_selectorIlNS0_10empty_typeEEEZZNS1_27merge_sort_block_merge_implIS3_PlPS5_mZN2at6native12_GLOBAL__N_124unique_dim_cuda_templateIN3c104HalfEEESt5tupleIJNSA_6TensorESH_SH_EERKSH_lbbbEUlllE_EE10hipError_tT0_T1_T2_jT3_P12ihipStream_tbPNSt15iterator_traitsISN_E10value_typeEPNST_ISO_E10value_typeEPSP_NS1_7vsmem_tEENKUlT_SN_SO_SP_E_clIS8_S8_S9_S9_EESM_S12_SN_SO_SP_EUlS12_E_NS1_11comp_targetILNS1_3genE5ELNS1_11target_archE942ELNS1_3gpuE9ELNS1_3repE0EEENS1_48merge_mergepath_partition_config_static_selectorELNS0_4arch9wavefront6targetE0EEEvSO_
    .private_segment_fixed_size: 0
    .sgpr_count:     0
    .sgpr_spill_count: 0
    .symbol:         _ZN7rocprim17ROCPRIM_400000_NS6detail17trampoline_kernelINS0_14default_configENS1_38merge_sort_block_merge_config_selectorIlNS0_10empty_typeEEEZZNS1_27merge_sort_block_merge_implIS3_PlPS5_mZN2at6native12_GLOBAL__N_124unique_dim_cuda_templateIN3c104HalfEEESt5tupleIJNSA_6TensorESH_SH_EERKSH_lbbbEUlllE_EE10hipError_tT0_T1_T2_jT3_P12ihipStream_tbPNSt15iterator_traitsISN_E10value_typeEPNST_ISO_E10value_typeEPSP_NS1_7vsmem_tEENKUlT_SN_SO_SP_E_clIS8_S8_S9_S9_EESM_S12_SN_SO_SP_EUlS12_E_NS1_11comp_targetILNS1_3genE5ELNS1_11target_archE942ELNS1_3gpuE9ELNS1_3repE0EEENS1_48merge_mergepath_partition_config_static_selectorELNS0_4arch9wavefront6targetE0EEEvSO_.kd
    .uniform_work_group_size: 1
    .uses_dynamic_stack: false
    .vgpr_count:     0
    .vgpr_spill_count: 0
    .wavefront_size: 32
  - .args:
      - .offset:         0
        .size:           56
        .value_kind:     by_value
    .group_segment_fixed_size: 0
    .kernarg_segment_align: 8
    .kernarg_segment_size: 56
    .language:       OpenCL C
    .language_version:
      - 2
      - 0
    .max_flat_workgroup_size: 128
    .name:           _ZN7rocprim17ROCPRIM_400000_NS6detail17trampoline_kernelINS0_14default_configENS1_38merge_sort_block_merge_config_selectorIlNS0_10empty_typeEEEZZNS1_27merge_sort_block_merge_implIS3_PlPS5_mZN2at6native12_GLOBAL__N_124unique_dim_cuda_templateIN3c104HalfEEESt5tupleIJNSA_6TensorESH_SH_EERKSH_lbbbEUlllE_EE10hipError_tT0_T1_T2_jT3_P12ihipStream_tbPNSt15iterator_traitsISN_E10value_typeEPNST_ISO_E10value_typeEPSP_NS1_7vsmem_tEENKUlT_SN_SO_SP_E_clIS8_S8_S9_S9_EESM_S12_SN_SO_SP_EUlS12_E_NS1_11comp_targetILNS1_3genE4ELNS1_11target_archE910ELNS1_3gpuE8ELNS1_3repE0EEENS1_48merge_mergepath_partition_config_static_selectorELNS0_4arch9wavefront6targetE0EEEvSO_
    .private_segment_fixed_size: 0
    .sgpr_count:     0
    .sgpr_spill_count: 0
    .symbol:         _ZN7rocprim17ROCPRIM_400000_NS6detail17trampoline_kernelINS0_14default_configENS1_38merge_sort_block_merge_config_selectorIlNS0_10empty_typeEEEZZNS1_27merge_sort_block_merge_implIS3_PlPS5_mZN2at6native12_GLOBAL__N_124unique_dim_cuda_templateIN3c104HalfEEESt5tupleIJNSA_6TensorESH_SH_EERKSH_lbbbEUlllE_EE10hipError_tT0_T1_T2_jT3_P12ihipStream_tbPNSt15iterator_traitsISN_E10value_typeEPNST_ISO_E10value_typeEPSP_NS1_7vsmem_tEENKUlT_SN_SO_SP_E_clIS8_S8_S9_S9_EESM_S12_SN_SO_SP_EUlS12_E_NS1_11comp_targetILNS1_3genE4ELNS1_11target_archE910ELNS1_3gpuE8ELNS1_3repE0EEENS1_48merge_mergepath_partition_config_static_selectorELNS0_4arch9wavefront6targetE0EEEvSO_.kd
    .uniform_work_group_size: 1
    .uses_dynamic_stack: false
    .vgpr_count:     0
    .vgpr_spill_count: 0
    .wavefront_size: 32
  - .args:
      - .offset:         0
        .size:           56
        .value_kind:     by_value
    .group_segment_fixed_size: 0
    .kernarg_segment_align: 8
    .kernarg_segment_size: 56
    .language:       OpenCL C
    .language_version:
      - 2
      - 0
    .max_flat_workgroup_size: 128
    .name:           _ZN7rocprim17ROCPRIM_400000_NS6detail17trampoline_kernelINS0_14default_configENS1_38merge_sort_block_merge_config_selectorIlNS0_10empty_typeEEEZZNS1_27merge_sort_block_merge_implIS3_PlPS5_mZN2at6native12_GLOBAL__N_124unique_dim_cuda_templateIN3c104HalfEEESt5tupleIJNSA_6TensorESH_SH_EERKSH_lbbbEUlllE_EE10hipError_tT0_T1_T2_jT3_P12ihipStream_tbPNSt15iterator_traitsISN_E10value_typeEPNST_ISO_E10value_typeEPSP_NS1_7vsmem_tEENKUlT_SN_SO_SP_E_clIS8_S8_S9_S9_EESM_S12_SN_SO_SP_EUlS12_E_NS1_11comp_targetILNS1_3genE3ELNS1_11target_archE908ELNS1_3gpuE7ELNS1_3repE0EEENS1_48merge_mergepath_partition_config_static_selectorELNS0_4arch9wavefront6targetE0EEEvSO_
    .private_segment_fixed_size: 0
    .sgpr_count:     0
    .sgpr_spill_count: 0
    .symbol:         _ZN7rocprim17ROCPRIM_400000_NS6detail17trampoline_kernelINS0_14default_configENS1_38merge_sort_block_merge_config_selectorIlNS0_10empty_typeEEEZZNS1_27merge_sort_block_merge_implIS3_PlPS5_mZN2at6native12_GLOBAL__N_124unique_dim_cuda_templateIN3c104HalfEEESt5tupleIJNSA_6TensorESH_SH_EERKSH_lbbbEUlllE_EE10hipError_tT0_T1_T2_jT3_P12ihipStream_tbPNSt15iterator_traitsISN_E10value_typeEPNST_ISO_E10value_typeEPSP_NS1_7vsmem_tEENKUlT_SN_SO_SP_E_clIS8_S8_S9_S9_EESM_S12_SN_SO_SP_EUlS12_E_NS1_11comp_targetILNS1_3genE3ELNS1_11target_archE908ELNS1_3gpuE7ELNS1_3repE0EEENS1_48merge_mergepath_partition_config_static_selectorELNS0_4arch9wavefront6targetE0EEEvSO_.kd
    .uniform_work_group_size: 1
    .uses_dynamic_stack: false
    .vgpr_count:     0
    .vgpr_spill_count: 0
    .wavefront_size: 32
  - .args:
      - .offset:         0
        .size:           56
        .value_kind:     by_value
    .group_segment_fixed_size: 0
    .kernarg_segment_align: 8
    .kernarg_segment_size: 56
    .language:       OpenCL C
    .language_version:
      - 2
      - 0
    .max_flat_workgroup_size: 128
    .name:           _ZN7rocprim17ROCPRIM_400000_NS6detail17trampoline_kernelINS0_14default_configENS1_38merge_sort_block_merge_config_selectorIlNS0_10empty_typeEEEZZNS1_27merge_sort_block_merge_implIS3_PlPS5_mZN2at6native12_GLOBAL__N_124unique_dim_cuda_templateIN3c104HalfEEESt5tupleIJNSA_6TensorESH_SH_EERKSH_lbbbEUlllE_EE10hipError_tT0_T1_T2_jT3_P12ihipStream_tbPNSt15iterator_traitsISN_E10value_typeEPNST_ISO_E10value_typeEPSP_NS1_7vsmem_tEENKUlT_SN_SO_SP_E_clIS8_S8_S9_S9_EESM_S12_SN_SO_SP_EUlS12_E_NS1_11comp_targetILNS1_3genE2ELNS1_11target_archE906ELNS1_3gpuE6ELNS1_3repE0EEENS1_48merge_mergepath_partition_config_static_selectorELNS0_4arch9wavefront6targetE0EEEvSO_
    .private_segment_fixed_size: 0
    .sgpr_count:     0
    .sgpr_spill_count: 0
    .symbol:         _ZN7rocprim17ROCPRIM_400000_NS6detail17trampoline_kernelINS0_14default_configENS1_38merge_sort_block_merge_config_selectorIlNS0_10empty_typeEEEZZNS1_27merge_sort_block_merge_implIS3_PlPS5_mZN2at6native12_GLOBAL__N_124unique_dim_cuda_templateIN3c104HalfEEESt5tupleIJNSA_6TensorESH_SH_EERKSH_lbbbEUlllE_EE10hipError_tT0_T1_T2_jT3_P12ihipStream_tbPNSt15iterator_traitsISN_E10value_typeEPNST_ISO_E10value_typeEPSP_NS1_7vsmem_tEENKUlT_SN_SO_SP_E_clIS8_S8_S9_S9_EESM_S12_SN_SO_SP_EUlS12_E_NS1_11comp_targetILNS1_3genE2ELNS1_11target_archE906ELNS1_3gpuE6ELNS1_3repE0EEENS1_48merge_mergepath_partition_config_static_selectorELNS0_4arch9wavefront6targetE0EEEvSO_.kd
    .uniform_work_group_size: 1
    .uses_dynamic_stack: false
    .vgpr_count:     0
    .vgpr_spill_count: 0
    .wavefront_size: 32
  - .args:
      - .offset:         0
        .size:           56
        .value_kind:     by_value
    .group_segment_fixed_size: 0
    .kernarg_segment_align: 8
    .kernarg_segment_size: 56
    .language:       OpenCL C
    .language_version:
      - 2
      - 0
    .max_flat_workgroup_size: 128
    .name:           _ZN7rocprim17ROCPRIM_400000_NS6detail17trampoline_kernelINS0_14default_configENS1_38merge_sort_block_merge_config_selectorIlNS0_10empty_typeEEEZZNS1_27merge_sort_block_merge_implIS3_PlPS5_mZN2at6native12_GLOBAL__N_124unique_dim_cuda_templateIN3c104HalfEEESt5tupleIJNSA_6TensorESH_SH_EERKSH_lbbbEUlllE_EE10hipError_tT0_T1_T2_jT3_P12ihipStream_tbPNSt15iterator_traitsISN_E10value_typeEPNST_ISO_E10value_typeEPSP_NS1_7vsmem_tEENKUlT_SN_SO_SP_E_clIS8_S8_S9_S9_EESM_S12_SN_SO_SP_EUlS12_E_NS1_11comp_targetILNS1_3genE9ELNS1_11target_archE1100ELNS1_3gpuE3ELNS1_3repE0EEENS1_48merge_mergepath_partition_config_static_selectorELNS0_4arch9wavefront6targetE0EEEvSO_
    .private_segment_fixed_size: 0
    .sgpr_count:     0
    .sgpr_spill_count: 0
    .symbol:         _ZN7rocprim17ROCPRIM_400000_NS6detail17trampoline_kernelINS0_14default_configENS1_38merge_sort_block_merge_config_selectorIlNS0_10empty_typeEEEZZNS1_27merge_sort_block_merge_implIS3_PlPS5_mZN2at6native12_GLOBAL__N_124unique_dim_cuda_templateIN3c104HalfEEESt5tupleIJNSA_6TensorESH_SH_EERKSH_lbbbEUlllE_EE10hipError_tT0_T1_T2_jT3_P12ihipStream_tbPNSt15iterator_traitsISN_E10value_typeEPNST_ISO_E10value_typeEPSP_NS1_7vsmem_tEENKUlT_SN_SO_SP_E_clIS8_S8_S9_S9_EESM_S12_SN_SO_SP_EUlS12_E_NS1_11comp_targetILNS1_3genE9ELNS1_11target_archE1100ELNS1_3gpuE3ELNS1_3repE0EEENS1_48merge_mergepath_partition_config_static_selectorELNS0_4arch9wavefront6targetE0EEEvSO_.kd
    .uniform_work_group_size: 1
    .uses_dynamic_stack: false
    .vgpr_count:     0
    .vgpr_spill_count: 0
    .wavefront_size: 32
  - .args:
      - .offset:         0
        .size:           56
        .value_kind:     by_value
    .group_segment_fixed_size: 0
    .kernarg_segment_align: 8
    .kernarg_segment_size: 56
    .language:       OpenCL C
    .language_version:
      - 2
      - 0
    .max_flat_workgroup_size: 128
    .name:           _ZN7rocprim17ROCPRIM_400000_NS6detail17trampoline_kernelINS0_14default_configENS1_38merge_sort_block_merge_config_selectorIlNS0_10empty_typeEEEZZNS1_27merge_sort_block_merge_implIS3_PlPS5_mZN2at6native12_GLOBAL__N_124unique_dim_cuda_templateIN3c104HalfEEESt5tupleIJNSA_6TensorESH_SH_EERKSH_lbbbEUlllE_EE10hipError_tT0_T1_T2_jT3_P12ihipStream_tbPNSt15iterator_traitsISN_E10value_typeEPNST_ISO_E10value_typeEPSP_NS1_7vsmem_tEENKUlT_SN_SO_SP_E_clIS8_S8_S9_S9_EESM_S12_SN_SO_SP_EUlS12_E_NS1_11comp_targetILNS1_3genE8ELNS1_11target_archE1030ELNS1_3gpuE2ELNS1_3repE0EEENS1_48merge_mergepath_partition_config_static_selectorELNS0_4arch9wavefront6targetE0EEEvSO_
    .private_segment_fixed_size: 0
    .sgpr_count:     0
    .sgpr_spill_count: 0
    .symbol:         _ZN7rocprim17ROCPRIM_400000_NS6detail17trampoline_kernelINS0_14default_configENS1_38merge_sort_block_merge_config_selectorIlNS0_10empty_typeEEEZZNS1_27merge_sort_block_merge_implIS3_PlPS5_mZN2at6native12_GLOBAL__N_124unique_dim_cuda_templateIN3c104HalfEEESt5tupleIJNSA_6TensorESH_SH_EERKSH_lbbbEUlllE_EE10hipError_tT0_T1_T2_jT3_P12ihipStream_tbPNSt15iterator_traitsISN_E10value_typeEPNST_ISO_E10value_typeEPSP_NS1_7vsmem_tEENKUlT_SN_SO_SP_E_clIS8_S8_S9_S9_EESM_S12_SN_SO_SP_EUlS12_E_NS1_11comp_targetILNS1_3genE8ELNS1_11target_archE1030ELNS1_3gpuE2ELNS1_3repE0EEENS1_48merge_mergepath_partition_config_static_selectorELNS0_4arch9wavefront6targetE0EEEvSO_.kd
    .uniform_work_group_size: 1
    .uses_dynamic_stack: false
    .vgpr_count:     0
    .vgpr_spill_count: 0
    .wavefront_size: 32
  - .args:
      - .offset:         0
        .size:           88
        .value_kind:     by_value
      - .offset:         88
        .size:           4
        .value_kind:     hidden_block_count_x
      - .offset:         92
        .size:           4
        .value_kind:     hidden_block_count_y
      - .offset:         96
        .size:           4
        .value_kind:     hidden_block_count_z
      - .offset:         100
        .size:           2
        .value_kind:     hidden_group_size_x
      - .offset:         102
        .size:           2
        .value_kind:     hidden_group_size_y
      - .offset:         104
        .size:           2
        .value_kind:     hidden_group_size_z
      - .offset:         106
        .size:           2
        .value_kind:     hidden_remainder_x
      - .offset:         108
        .size:           2
        .value_kind:     hidden_remainder_y
      - .offset:         110
        .size:           2
        .value_kind:     hidden_remainder_z
      - .offset:         128
        .size:           8
        .value_kind:     hidden_global_offset_x
      - .offset:         136
        .size:           8
        .value_kind:     hidden_global_offset_y
      - .offset:         144
        .size:           8
        .value_kind:     hidden_global_offset_z
      - .offset:         152
        .size:           2
        .value_kind:     hidden_grid_dims
    .group_segment_fixed_size: 8448
    .kernarg_segment_align: 8
    .kernarg_segment_size: 344
    .language:       OpenCL C
    .language_version:
      - 2
      - 0
    .max_flat_workgroup_size: 128
    .name:           _ZN7rocprim17ROCPRIM_400000_NS6detail17trampoline_kernelINS0_14default_configENS1_38merge_sort_block_merge_config_selectorIlNS0_10empty_typeEEEZZNS1_27merge_sort_block_merge_implIS3_PlPS5_mZN2at6native12_GLOBAL__N_124unique_dim_cuda_templateIN3c104HalfEEESt5tupleIJNSA_6TensorESH_SH_EERKSH_lbbbEUlllE_EE10hipError_tT0_T1_T2_jT3_P12ihipStream_tbPNSt15iterator_traitsISN_E10value_typeEPNST_ISO_E10value_typeEPSP_NS1_7vsmem_tEENKUlT_SN_SO_SP_E_clIS8_S8_S9_S9_EESM_S12_SN_SO_SP_EUlS12_E0_NS1_11comp_targetILNS1_3genE0ELNS1_11target_archE4294967295ELNS1_3gpuE0ELNS1_3repE0EEENS1_38merge_mergepath_config_static_selectorELNS0_4arch9wavefront6targetE0EEEvSO_
    .private_segment_fixed_size: 0
    .sgpr_count:     33
    .sgpr_spill_count: 0
    .symbol:         _ZN7rocprim17ROCPRIM_400000_NS6detail17trampoline_kernelINS0_14default_configENS1_38merge_sort_block_merge_config_selectorIlNS0_10empty_typeEEEZZNS1_27merge_sort_block_merge_implIS3_PlPS5_mZN2at6native12_GLOBAL__N_124unique_dim_cuda_templateIN3c104HalfEEESt5tupleIJNSA_6TensorESH_SH_EERKSH_lbbbEUlllE_EE10hipError_tT0_T1_T2_jT3_P12ihipStream_tbPNSt15iterator_traitsISN_E10value_typeEPNST_ISO_E10value_typeEPSP_NS1_7vsmem_tEENKUlT_SN_SO_SP_E_clIS8_S8_S9_S9_EESM_S12_SN_SO_SP_EUlS12_E0_NS1_11comp_targetILNS1_3genE0ELNS1_11target_archE4294967295ELNS1_3gpuE0ELNS1_3repE0EEENS1_38merge_mergepath_config_static_selectorELNS0_4arch9wavefront6targetE0EEEvSO_.kd
    .uniform_work_group_size: 1
    .uses_dynamic_stack: false
    .vgpr_count:     40
    .vgpr_spill_count: 0
    .wavefront_size: 32
  - .args:
      - .offset:         0
        .size:           88
        .value_kind:     by_value
    .group_segment_fixed_size: 0
    .kernarg_segment_align: 8
    .kernarg_segment_size: 88
    .language:       OpenCL C
    .language_version:
      - 2
      - 0
    .max_flat_workgroup_size: 512
    .name:           _ZN7rocprim17ROCPRIM_400000_NS6detail17trampoline_kernelINS0_14default_configENS1_38merge_sort_block_merge_config_selectorIlNS0_10empty_typeEEEZZNS1_27merge_sort_block_merge_implIS3_PlPS5_mZN2at6native12_GLOBAL__N_124unique_dim_cuda_templateIN3c104HalfEEESt5tupleIJNSA_6TensorESH_SH_EERKSH_lbbbEUlllE_EE10hipError_tT0_T1_T2_jT3_P12ihipStream_tbPNSt15iterator_traitsISN_E10value_typeEPNST_ISO_E10value_typeEPSP_NS1_7vsmem_tEENKUlT_SN_SO_SP_E_clIS8_S8_S9_S9_EESM_S12_SN_SO_SP_EUlS12_E0_NS1_11comp_targetILNS1_3genE10ELNS1_11target_archE1201ELNS1_3gpuE5ELNS1_3repE0EEENS1_38merge_mergepath_config_static_selectorELNS0_4arch9wavefront6targetE0EEEvSO_
    .private_segment_fixed_size: 0
    .sgpr_count:     0
    .sgpr_spill_count: 0
    .symbol:         _ZN7rocprim17ROCPRIM_400000_NS6detail17trampoline_kernelINS0_14default_configENS1_38merge_sort_block_merge_config_selectorIlNS0_10empty_typeEEEZZNS1_27merge_sort_block_merge_implIS3_PlPS5_mZN2at6native12_GLOBAL__N_124unique_dim_cuda_templateIN3c104HalfEEESt5tupleIJNSA_6TensorESH_SH_EERKSH_lbbbEUlllE_EE10hipError_tT0_T1_T2_jT3_P12ihipStream_tbPNSt15iterator_traitsISN_E10value_typeEPNST_ISO_E10value_typeEPSP_NS1_7vsmem_tEENKUlT_SN_SO_SP_E_clIS8_S8_S9_S9_EESM_S12_SN_SO_SP_EUlS12_E0_NS1_11comp_targetILNS1_3genE10ELNS1_11target_archE1201ELNS1_3gpuE5ELNS1_3repE0EEENS1_38merge_mergepath_config_static_selectorELNS0_4arch9wavefront6targetE0EEEvSO_.kd
    .uniform_work_group_size: 1
    .uses_dynamic_stack: false
    .vgpr_count:     0
    .vgpr_spill_count: 0
    .wavefront_size: 32
  - .args:
      - .offset:         0
        .size:           88
        .value_kind:     by_value
    .group_segment_fixed_size: 0
    .kernarg_segment_align: 8
    .kernarg_segment_size: 88
    .language:       OpenCL C
    .language_version:
      - 2
      - 0
    .max_flat_workgroup_size: 128
    .name:           _ZN7rocprim17ROCPRIM_400000_NS6detail17trampoline_kernelINS0_14default_configENS1_38merge_sort_block_merge_config_selectorIlNS0_10empty_typeEEEZZNS1_27merge_sort_block_merge_implIS3_PlPS5_mZN2at6native12_GLOBAL__N_124unique_dim_cuda_templateIN3c104HalfEEESt5tupleIJNSA_6TensorESH_SH_EERKSH_lbbbEUlllE_EE10hipError_tT0_T1_T2_jT3_P12ihipStream_tbPNSt15iterator_traitsISN_E10value_typeEPNST_ISO_E10value_typeEPSP_NS1_7vsmem_tEENKUlT_SN_SO_SP_E_clIS8_S8_S9_S9_EESM_S12_SN_SO_SP_EUlS12_E0_NS1_11comp_targetILNS1_3genE5ELNS1_11target_archE942ELNS1_3gpuE9ELNS1_3repE0EEENS1_38merge_mergepath_config_static_selectorELNS0_4arch9wavefront6targetE0EEEvSO_
    .private_segment_fixed_size: 0
    .sgpr_count:     0
    .sgpr_spill_count: 0
    .symbol:         _ZN7rocprim17ROCPRIM_400000_NS6detail17trampoline_kernelINS0_14default_configENS1_38merge_sort_block_merge_config_selectorIlNS0_10empty_typeEEEZZNS1_27merge_sort_block_merge_implIS3_PlPS5_mZN2at6native12_GLOBAL__N_124unique_dim_cuda_templateIN3c104HalfEEESt5tupleIJNSA_6TensorESH_SH_EERKSH_lbbbEUlllE_EE10hipError_tT0_T1_T2_jT3_P12ihipStream_tbPNSt15iterator_traitsISN_E10value_typeEPNST_ISO_E10value_typeEPSP_NS1_7vsmem_tEENKUlT_SN_SO_SP_E_clIS8_S8_S9_S9_EESM_S12_SN_SO_SP_EUlS12_E0_NS1_11comp_targetILNS1_3genE5ELNS1_11target_archE942ELNS1_3gpuE9ELNS1_3repE0EEENS1_38merge_mergepath_config_static_selectorELNS0_4arch9wavefront6targetE0EEEvSO_.kd
    .uniform_work_group_size: 1
    .uses_dynamic_stack: false
    .vgpr_count:     0
    .vgpr_spill_count: 0
    .wavefront_size: 32
  - .args:
      - .offset:         0
        .size:           88
        .value_kind:     by_value
    .group_segment_fixed_size: 0
    .kernarg_segment_align: 8
    .kernarg_segment_size: 88
    .language:       OpenCL C
    .language_version:
      - 2
      - 0
    .max_flat_workgroup_size: 256
    .name:           _ZN7rocprim17ROCPRIM_400000_NS6detail17trampoline_kernelINS0_14default_configENS1_38merge_sort_block_merge_config_selectorIlNS0_10empty_typeEEEZZNS1_27merge_sort_block_merge_implIS3_PlPS5_mZN2at6native12_GLOBAL__N_124unique_dim_cuda_templateIN3c104HalfEEESt5tupleIJNSA_6TensorESH_SH_EERKSH_lbbbEUlllE_EE10hipError_tT0_T1_T2_jT3_P12ihipStream_tbPNSt15iterator_traitsISN_E10value_typeEPNST_ISO_E10value_typeEPSP_NS1_7vsmem_tEENKUlT_SN_SO_SP_E_clIS8_S8_S9_S9_EESM_S12_SN_SO_SP_EUlS12_E0_NS1_11comp_targetILNS1_3genE4ELNS1_11target_archE910ELNS1_3gpuE8ELNS1_3repE0EEENS1_38merge_mergepath_config_static_selectorELNS0_4arch9wavefront6targetE0EEEvSO_
    .private_segment_fixed_size: 0
    .sgpr_count:     0
    .sgpr_spill_count: 0
    .symbol:         _ZN7rocprim17ROCPRIM_400000_NS6detail17trampoline_kernelINS0_14default_configENS1_38merge_sort_block_merge_config_selectorIlNS0_10empty_typeEEEZZNS1_27merge_sort_block_merge_implIS3_PlPS5_mZN2at6native12_GLOBAL__N_124unique_dim_cuda_templateIN3c104HalfEEESt5tupleIJNSA_6TensorESH_SH_EERKSH_lbbbEUlllE_EE10hipError_tT0_T1_T2_jT3_P12ihipStream_tbPNSt15iterator_traitsISN_E10value_typeEPNST_ISO_E10value_typeEPSP_NS1_7vsmem_tEENKUlT_SN_SO_SP_E_clIS8_S8_S9_S9_EESM_S12_SN_SO_SP_EUlS12_E0_NS1_11comp_targetILNS1_3genE4ELNS1_11target_archE910ELNS1_3gpuE8ELNS1_3repE0EEENS1_38merge_mergepath_config_static_selectorELNS0_4arch9wavefront6targetE0EEEvSO_.kd
    .uniform_work_group_size: 1
    .uses_dynamic_stack: false
    .vgpr_count:     0
    .vgpr_spill_count: 0
    .wavefront_size: 32
  - .args:
      - .offset:         0
        .size:           88
        .value_kind:     by_value
    .group_segment_fixed_size: 0
    .kernarg_segment_align: 8
    .kernarg_segment_size: 88
    .language:       OpenCL C
    .language_version:
      - 2
      - 0
    .max_flat_workgroup_size: 128
    .name:           _ZN7rocprim17ROCPRIM_400000_NS6detail17trampoline_kernelINS0_14default_configENS1_38merge_sort_block_merge_config_selectorIlNS0_10empty_typeEEEZZNS1_27merge_sort_block_merge_implIS3_PlPS5_mZN2at6native12_GLOBAL__N_124unique_dim_cuda_templateIN3c104HalfEEESt5tupleIJNSA_6TensorESH_SH_EERKSH_lbbbEUlllE_EE10hipError_tT0_T1_T2_jT3_P12ihipStream_tbPNSt15iterator_traitsISN_E10value_typeEPNST_ISO_E10value_typeEPSP_NS1_7vsmem_tEENKUlT_SN_SO_SP_E_clIS8_S8_S9_S9_EESM_S12_SN_SO_SP_EUlS12_E0_NS1_11comp_targetILNS1_3genE3ELNS1_11target_archE908ELNS1_3gpuE7ELNS1_3repE0EEENS1_38merge_mergepath_config_static_selectorELNS0_4arch9wavefront6targetE0EEEvSO_
    .private_segment_fixed_size: 0
    .sgpr_count:     0
    .sgpr_spill_count: 0
    .symbol:         _ZN7rocprim17ROCPRIM_400000_NS6detail17trampoline_kernelINS0_14default_configENS1_38merge_sort_block_merge_config_selectorIlNS0_10empty_typeEEEZZNS1_27merge_sort_block_merge_implIS3_PlPS5_mZN2at6native12_GLOBAL__N_124unique_dim_cuda_templateIN3c104HalfEEESt5tupleIJNSA_6TensorESH_SH_EERKSH_lbbbEUlllE_EE10hipError_tT0_T1_T2_jT3_P12ihipStream_tbPNSt15iterator_traitsISN_E10value_typeEPNST_ISO_E10value_typeEPSP_NS1_7vsmem_tEENKUlT_SN_SO_SP_E_clIS8_S8_S9_S9_EESM_S12_SN_SO_SP_EUlS12_E0_NS1_11comp_targetILNS1_3genE3ELNS1_11target_archE908ELNS1_3gpuE7ELNS1_3repE0EEENS1_38merge_mergepath_config_static_selectorELNS0_4arch9wavefront6targetE0EEEvSO_.kd
    .uniform_work_group_size: 1
    .uses_dynamic_stack: false
    .vgpr_count:     0
    .vgpr_spill_count: 0
    .wavefront_size: 32
  - .args:
      - .offset:         0
        .size:           88
        .value_kind:     by_value
    .group_segment_fixed_size: 0
    .kernarg_segment_align: 8
    .kernarg_segment_size: 88
    .language:       OpenCL C
    .language_version:
      - 2
      - 0
    .max_flat_workgroup_size: 256
    .name:           _ZN7rocprim17ROCPRIM_400000_NS6detail17trampoline_kernelINS0_14default_configENS1_38merge_sort_block_merge_config_selectorIlNS0_10empty_typeEEEZZNS1_27merge_sort_block_merge_implIS3_PlPS5_mZN2at6native12_GLOBAL__N_124unique_dim_cuda_templateIN3c104HalfEEESt5tupleIJNSA_6TensorESH_SH_EERKSH_lbbbEUlllE_EE10hipError_tT0_T1_T2_jT3_P12ihipStream_tbPNSt15iterator_traitsISN_E10value_typeEPNST_ISO_E10value_typeEPSP_NS1_7vsmem_tEENKUlT_SN_SO_SP_E_clIS8_S8_S9_S9_EESM_S12_SN_SO_SP_EUlS12_E0_NS1_11comp_targetILNS1_3genE2ELNS1_11target_archE906ELNS1_3gpuE6ELNS1_3repE0EEENS1_38merge_mergepath_config_static_selectorELNS0_4arch9wavefront6targetE0EEEvSO_
    .private_segment_fixed_size: 0
    .sgpr_count:     0
    .sgpr_spill_count: 0
    .symbol:         _ZN7rocprim17ROCPRIM_400000_NS6detail17trampoline_kernelINS0_14default_configENS1_38merge_sort_block_merge_config_selectorIlNS0_10empty_typeEEEZZNS1_27merge_sort_block_merge_implIS3_PlPS5_mZN2at6native12_GLOBAL__N_124unique_dim_cuda_templateIN3c104HalfEEESt5tupleIJNSA_6TensorESH_SH_EERKSH_lbbbEUlllE_EE10hipError_tT0_T1_T2_jT3_P12ihipStream_tbPNSt15iterator_traitsISN_E10value_typeEPNST_ISO_E10value_typeEPSP_NS1_7vsmem_tEENKUlT_SN_SO_SP_E_clIS8_S8_S9_S9_EESM_S12_SN_SO_SP_EUlS12_E0_NS1_11comp_targetILNS1_3genE2ELNS1_11target_archE906ELNS1_3gpuE6ELNS1_3repE0EEENS1_38merge_mergepath_config_static_selectorELNS0_4arch9wavefront6targetE0EEEvSO_.kd
    .uniform_work_group_size: 1
    .uses_dynamic_stack: false
    .vgpr_count:     0
    .vgpr_spill_count: 0
    .wavefront_size: 32
  - .args:
      - .offset:         0
        .size:           88
        .value_kind:     by_value
    .group_segment_fixed_size: 0
    .kernarg_segment_align: 8
    .kernarg_segment_size: 88
    .language:       OpenCL C
    .language_version:
      - 2
      - 0
    .max_flat_workgroup_size: 512
    .name:           _ZN7rocprim17ROCPRIM_400000_NS6detail17trampoline_kernelINS0_14default_configENS1_38merge_sort_block_merge_config_selectorIlNS0_10empty_typeEEEZZNS1_27merge_sort_block_merge_implIS3_PlPS5_mZN2at6native12_GLOBAL__N_124unique_dim_cuda_templateIN3c104HalfEEESt5tupleIJNSA_6TensorESH_SH_EERKSH_lbbbEUlllE_EE10hipError_tT0_T1_T2_jT3_P12ihipStream_tbPNSt15iterator_traitsISN_E10value_typeEPNST_ISO_E10value_typeEPSP_NS1_7vsmem_tEENKUlT_SN_SO_SP_E_clIS8_S8_S9_S9_EESM_S12_SN_SO_SP_EUlS12_E0_NS1_11comp_targetILNS1_3genE9ELNS1_11target_archE1100ELNS1_3gpuE3ELNS1_3repE0EEENS1_38merge_mergepath_config_static_selectorELNS0_4arch9wavefront6targetE0EEEvSO_
    .private_segment_fixed_size: 0
    .sgpr_count:     0
    .sgpr_spill_count: 0
    .symbol:         _ZN7rocprim17ROCPRIM_400000_NS6detail17trampoline_kernelINS0_14default_configENS1_38merge_sort_block_merge_config_selectorIlNS0_10empty_typeEEEZZNS1_27merge_sort_block_merge_implIS3_PlPS5_mZN2at6native12_GLOBAL__N_124unique_dim_cuda_templateIN3c104HalfEEESt5tupleIJNSA_6TensorESH_SH_EERKSH_lbbbEUlllE_EE10hipError_tT0_T1_T2_jT3_P12ihipStream_tbPNSt15iterator_traitsISN_E10value_typeEPNST_ISO_E10value_typeEPSP_NS1_7vsmem_tEENKUlT_SN_SO_SP_E_clIS8_S8_S9_S9_EESM_S12_SN_SO_SP_EUlS12_E0_NS1_11comp_targetILNS1_3genE9ELNS1_11target_archE1100ELNS1_3gpuE3ELNS1_3repE0EEENS1_38merge_mergepath_config_static_selectorELNS0_4arch9wavefront6targetE0EEEvSO_.kd
    .uniform_work_group_size: 1
    .uses_dynamic_stack: false
    .vgpr_count:     0
    .vgpr_spill_count: 0
    .wavefront_size: 32
  - .args:
      - .offset:         0
        .size:           88
        .value_kind:     by_value
    .group_segment_fixed_size: 0
    .kernarg_segment_align: 8
    .kernarg_segment_size: 88
    .language:       OpenCL C
    .language_version:
      - 2
      - 0
    .max_flat_workgroup_size: 1024
    .name:           _ZN7rocprim17ROCPRIM_400000_NS6detail17trampoline_kernelINS0_14default_configENS1_38merge_sort_block_merge_config_selectorIlNS0_10empty_typeEEEZZNS1_27merge_sort_block_merge_implIS3_PlPS5_mZN2at6native12_GLOBAL__N_124unique_dim_cuda_templateIN3c104HalfEEESt5tupleIJNSA_6TensorESH_SH_EERKSH_lbbbEUlllE_EE10hipError_tT0_T1_T2_jT3_P12ihipStream_tbPNSt15iterator_traitsISN_E10value_typeEPNST_ISO_E10value_typeEPSP_NS1_7vsmem_tEENKUlT_SN_SO_SP_E_clIS8_S8_S9_S9_EESM_S12_SN_SO_SP_EUlS12_E0_NS1_11comp_targetILNS1_3genE8ELNS1_11target_archE1030ELNS1_3gpuE2ELNS1_3repE0EEENS1_38merge_mergepath_config_static_selectorELNS0_4arch9wavefront6targetE0EEEvSO_
    .private_segment_fixed_size: 0
    .sgpr_count:     0
    .sgpr_spill_count: 0
    .symbol:         _ZN7rocprim17ROCPRIM_400000_NS6detail17trampoline_kernelINS0_14default_configENS1_38merge_sort_block_merge_config_selectorIlNS0_10empty_typeEEEZZNS1_27merge_sort_block_merge_implIS3_PlPS5_mZN2at6native12_GLOBAL__N_124unique_dim_cuda_templateIN3c104HalfEEESt5tupleIJNSA_6TensorESH_SH_EERKSH_lbbbEUlllE_EE10hipError_tT0_T1_T2_jT3_P12ihipStream_tbPNSt15iterator_traitsISN_E10value_typeEPNST_ISO_E10value_typeEPSP_NS1_7vsmem_tEENKUlT_SN_SO_SP_E_clIS8_S8_S9_S9_EESM_S12_SN_SO_SP_EUlS12_E0_NS1_11comp_targetILNS1_3genE8ELNS1_11target_archE1030ELNS1_3gpuE2ELNS1_3repE0EEENS1_38merge_mergepath_config_static_selectorELNS0_4arch9wavefront6targetE0EEEvSO_.kd
    .uniform_work_group_size: 1
    .uses_dynamic_stack: false
    .vgpr_count:     0
    .vgpr_spill_count: 0
    .wavefront_size: 32
  - .args:
      - .offset:         0
        .size:           64
        .value_kind:     by_value
    .group_segment_fixed_size: 0
    .kernarg_segment_align: 8
    .kernarg_segment_size: 64
    .language:       OpenCL C
    .language_version:
      - 2
      - 0
    .max_flat_workgroup_size: 256
    .name:           _ZN7rocprim17ROCPRIM_400000_NS6detail17trampoline_kernelINS0_14default_configENS1_38merge_sort_block_merge_config_selectorIlNS0_10empty_typeEEEZZNS1_27merge_sort_block_merge_implIS3_PlPS5_mZN2at6native12_GLOBAL__N_124unique_dim_cuda_templateIN3c104HalfEEESt5tupleIJNSA_6TensorESH_SH_EERKSH_lbbbEUlllE_EE10hipError_tT0_T1_T2_jT3_P12ihipStream_tbPNSt15iterator_traitsISN_E10value_typeEPNST_ISO_E10value_typeEPSP_NS1_7vsmem_tEENKUlT_SN_SO_SP_E_clIS8_S8_S9_S9_EESM_S12_SN_SO_SP_EUlS12_E1_NS1_11comp_targetILNS1_3genE0ELNS1_11target_archE4294967295ELNS1_3gpuE0ELNS1_3repE0EEENS1_36merge_oddeven_config_static_selectorELNS0_4arch9wavefront6targetE0EEEvSO_
    .private_segment_fixed_size: 0
    .sgpr_count:     30
    .sgpr_spill_count: 0
    .symbol:         _ZN7rocprim17ROCPRIM_400000_NS6detail17trampoline_kernelINS0_14default_configENS1_38merge_sort_block_merge_config_selectorIlNS0_10empty_typeEEEZZNS1_27merge_sort_block_merge_implIS3_PlPS5_mZN2at6native12_GLOBAL__N_124unique_dim_cuda_templateIN3c104HalfEEESt5tupleIJNSA_6TensorESH_SH_EERKSH_lbbbEUlllE_EE10hipError_tT0_T1_T2_jT3_P12ihipStream_tbPNSt15iterator_traitsISN_E10value_typeEPNST_ISO_E10value_typeEPSP_NS1_7vsmem_tEENKUlT_SN_SO_SP_E_clIS8_S8_S9_S9_EESM_S12_SN_SO_SP_EUlS12_E1_NS1_11comp_targetILNS1_3genE0ELNS1_11target_archE4294967295ELNS1_3gpuE0ELNS1_3repE0EEENS1_36merge_oddeven_config_static_selectorELNS0_4arch9wavefront6targetE0EEEvSO_.kd
    .uniform_work_group_size: 1
    .uses_dynamic_stack: false
    .vgpr_count:     17
    .vgpr_spill_count: 0
    .wavefront_size: 32
  - .args:
      - .offset:         0
        .size:           64
        .value_kind:     by_value
    .group_segment_fixed_size: 0
    .kernarg_segment_align: 8
    .kernarg_segment_size: 64
    .language:       OpenCL C
    .language_version:
      - 2
      - 0
    .max_flat_workgroup_size: 256
    .name:           _ZN7rocprim17ROCPRIM_400000_NS6detail17trampoline_kernelINS0_14default_configENS1_38merge_sort_block_merge_config_selectorIlNS0_10empty_typeEEEZZNS1_27merge_sort_block_merge_implIS3_PlPS5_mZN2at6native12_GLOBAL__N_124unique_dim_cuda_templateIN3c104HalfEEESt5tupleIJNSA_6TensorESH_SH_EERKSH_lbbbEUlllE_EE10hipError_tT0_T1_T2_jT3_P12ihipStream_tbPNSt15iterator_traitsISN_E10value_typeEPNST_ISO_E10value_typeEPSP_NS1_7vsmem_tEENKUlT_SN_SO_SP_E_clIS8_S8_S9_S9_EESM_S12_SN_SO_SP_EUlS12_E1_NS1_11comp_targetILNS1_3genE10ELNS1_11target_archE1201ELNS1_3gpuE5ELNS1_3repE0EEENS1_36merge_oddeven_config_static_selectorELNS0_4arch9wavefront6targetE0EEEvSO_
    .private_segment_fixed_size: 0
    .sgpr_count:     0
    .sgpr_spill_count: 0
    .symbol:         _ZN7rocprim17ROCPRIM_400000_NS6detail17trampoline_kernelINS0_14default_configENS1_38merge_sort_block_merge_config_selectorIlNS0_10empty_typeEEEZZNS1_27merge_sort_block_merge_implIS3_PlPS5_mZN2at6native12_GLOBAL__N_124unique_dim_cuda_templateIN3c104HalfEEESt5tupleIJNSA_6TensorESH_SH_EERKSH_lbbbEUlllE_EE10hipError_tT0_T1_T2_jT3_P12ihipStream_tbPNSt15iterator_traitsISN_E10value_typeEPNST_ISO_E10value_typeEPSP_NS1_7vsmem_tEENKUlT_SN_SO_SP_E_clIS8_S8_S9_S9_EESM_S12_SN_SO_SP_EUlS12_E1_NS1_11comp_targetILNS1_3genE10ELNS1_11target_archE1201ELNS1_3gpuE5ELNS1_3repE0EEENS1_36merge_oddeven_config_static_selectorELNS0_4arch9wavefront6targetE0EEEvSO_.kd
    .uniform_work_group_size: 1
    .uses_dynamic_stack: false
    .vgpr_count:     0
    .vgpr_spill_count: 0
    .wavefront_size: 32
  - .args:
      - .offset:         0
        .size:           64
        .value_kind:     by_value
    .group_segment_fixed_size: 0
    .kernarg_segment_align: 8
    .kernarg_segment_size: 64
    .language:       OpenCL C
    .language_version:
      - 2
      - 0
    .max_flat_workgroup_size: 256
    .name:           _ZN7rocprim17ROCPRIM_400000_NS6detail17trampoline_kernelINS0_14default_configENS1_38merge_sort_block_merge_config_selectorIlNS0_10empty_typeEEEZZNS1_27merge_sort_block_merge_implIS3_PlPS5_mZN2at6native12_GLOBAL__N_124unique_dim_cuda_templateIN3c104HalfEEESt5tupleIJNSA_6TensorESH_SH_EERKSH_lbbbEUlllE_EE10hipError_tT0_T1_T2_jT3_P12ihipStream_tbPNSt15iterator_traitsISN_E10value_typeEPNST_ISO_E10value_typeEPSP_NS1_7vsmem_tEENKUlT_SN_SO_SP_E_clIS8_S8_S9_S9_EESM_S12_SN_SO_SP_EUlS12_E1_NS1_11comp_targetILNS1_3genE5ELNS1_11target_archE942ELNS1_3gpuE9ELNS1_3repE0EEENS1_36merge_oddeven_config_static_selectorELNS0_4arch9wavefront6targetE0EEEvSO_
    .private_segment_fixed_size: 0
    .sgpr_count:     0
    .sgpr_spill_count: 0
    .symbol:         _ZN7rocprim17ROCPRIM_400000_NS6detail17trampoline_kernelINS0_14default_configENS1_38merge_sort_block_merge_config_selectorIlNS0_10empty_typeEEEZZNS1_27merge_sort_block_merge_implIS3_PlPS5_mZN2at6native12_GLOBAL__N_124unique_dim_cuda_templateIN3c104HalfEEESt5tupleIJNSA_6TensorESH_SH_EERKSH_lbbbEUlllE_EE10hipError_tT0_T1_T2_jT3_P12ihipStream_tbPNSt15iterator_traitsISN_E10value_typeEPNST_ISO_E10value_typeEPSP_NS1_7vsmem_tEENKUlT_SN_SO_SP_E_clIS8_S8_S9_S9_EESM_S12_SN_SO_SP_EUlS12_E1_NS1_11comp_targetILNS1_3genE5ELNS1_11target_archE942ELNS1_3gpuE9ELNS1_3repE0EEENS1_36merge_oddeven_config_static_selectorELNS0_4arch9wavefront6targetE0EEEvSO_.kd
    .uniform_work_group_size: 1
    .uses_dynamic_stack: false
    .vgpr_count:     0
    .vgpr_spill_count: 0
    .wavefront_size: 32
  - .args:
      - .offset:         0
        .size:           64
        .value_kind:     by_value
    .group_segment_fixed_size: 0
    .kernarg_segment_align: 8
    .kernarg_segment_size: 64
    .language:       OpenCL C
    .language_version:
      - 2
      - 0
    .max_flat_workgroup_size: 256
    .name:           _ZN7rocprim17ROCPRIM_400000_NS6detail17trampoline_kernelINS0_14default_configENS1_38merge_sort_block_merge_config_selectorIlNS0_10empty_typeEEEZZNS1_27merge_sort_block_merge_implIS3_PlPS5_mZN2at6native12_GLOBAL__N_124unique_dim_cuda_templateIN3c104HalfEEESt5tupleIJNSA_6TensorESH_SH_EERKSH_lbbbEUlllE_EE10hipError_tT0_T1_T2_jT3_P12ihipStream_tbPNSt15iterator_traitsISN_E10value_typeEPNST_ISO_E10value_typeEPSP_NS1_7vsmem_tEENKUlT_SN_SO_SP_E_clIS8_S8_S9_S9_EESM_S12_SN_SO_SP_EUlS12_E1_NS1_11comp_targetILNS1_3genE4ELNS1_11target_archE910ELNS1_3gpuE8ELNS1_3repE0EEENS1_36merge_oddeven_config_static_selectorELNS0_4arch9wavefront6targetE0EEEvSO_
    .private_segment_fixed_size: 0
    .sgpr_count:     0
    .sgpr_spill_count: 0
    .symbol:         _ZN7rocprim17ROCPRIM_400000_NS6detail17trampoline_kernelINS0_14default_configENS1_38merge_sort_block_merge_config_selectorIlNS0_10empty_typeEEEZZNS1_27merge_sort_block_merge_implIS3_PlPS5_mZN2at6native12_GLOBAL__N_124unique_dim_cuda_templateIN3c104HalfEEESt5tupleIJNSA_6TensorESH_SH_EERKSH_lbbbEUlllE_EE10hipError_tT0_T1_T2_jT3_P12ihipStream_tbPNSt15iterator_traitsISN_E10value_typeEPNST_ISO_E10value_typeEPSP_NS1_7vsmem_tEENKUlT_SN_SO_SP_E_clIS8_S8_S9_S9_EESM_S12_SN_SO_SP_EUlS12_E1_NS1_11comp_targetILNS1_3genE4ELNS1_11target_archE910ELNS1_3gpuE8ELNS1_3repE0EEENS1_36merge_oddeven_config_static_selectorELNS0_4arch9wavefront6targetE0EEEvSO_.kd
    .uniform_work_group_size: 1
    .uses_dynamic_stack: false
    .vgpr_count:     0
    .vgpr_spill_count: 0
    .wavefront_size: 32
  - .args:
      - .offset:         0
        .size:           64
        .value_kind:     by_value
    .group_segment_fixed_size: 0
    .kernarg_segment_align: 8
    .kernarg_segment_size: 64
    .language:       OpenCL C
    .language_version:
      - 2
      - 0
    .max_flat_workgroup_size: 256
    .name:           _ZN7rocprim17ROCPRIM_400000_NS6detail17trampoline_kernelINS0_14default_configENS1_38merge_sort_block_merge_config_selectorIlNS0_10empty_typeEEEZZNS1_27merge_sort_block_merge_implIS3_PlPS5_mZN2at6native12_GLOBAL__N_124unique_dim_cuda_templateIN3c104HalfEEESt5tupleIJNSA_6TensorESH_SH_EERKSH_lbbbEUlllE_EE10hipError_tT0_T1_T2_jT3_P12ihipStream_tbPNSt15iterator_traitsISN_E10value_typeEPNST_ISO_E10value_typeEPSP_NS1_7vsmem_tEENKUlT_SN_SO_SP_E_clIS8_S8_S9_S9_EESM_S12_SN_SO_SP_EUlS12_E1_NS1_11comp_targetILNS1_3genE3ELNS1_11target_archE908ELNS1_3gpuE7ELNS1_3repE0EEENS1_36merge_oddeven_config_static_selectorELNS0_4arch9wavefront6targetE0EEEvSO_
    .private_segment_fixed_size: 0
    .sgpr_count:     0
    .sgpr_spill_count: 0
    .symbol:         _ZN7rocprim17ROCPRIM_400000_NS6detail17trampoline_kernelINS0_14default_configENS1_38merge_sort_block_merge_config_selectorIlNS0_10empty_typeEEEZZNS1_27merge_sort_block_merge_implIS3_PlPS5_mZN2at6native12_GLOBAL__N_124unique_dim_cuda_templateIN3c104HalfEEESt5tupleIJNSA_6TensorESH_SH_EERKSH_lbbbEUlllE_EE10hipError_tT0_T1_T2_jT3_P12ihipStream_tbPNSt15iterator_traitsISN_E10value_typeEPNST_ISO_E10value_typeEPSP_NS1_7vsmem_tEENKUlT_SN_SO_SP_E_clIS8_S8_S9_S9_EESM_S12_SN_SO_SP_EUlS12_E1_NS1_11comp_targetILNS1_3genE3ELNS1_11target_archE908ELNS1_3gpuE7ELNS1_3repE0EEENS1_36merge_oddeven_config_static_selectorELNS0_4arch9wavefront6targetE0EEEvSO_.kd
    .uniform_work_group_size: 1
    .uses_dynamic_stack: false
    .vgpr_count:     0
    .vgpr_spill_count: 0
    .wavefront_size: 32
  - .args:
      - .offset:         0
        .size:           64
        .value_kind:     by_value
    .group_segment_fixed_size: 0
    .kernarg_segment_align: 8
    .kernarg_segment_size: 64
    .language:       OpenCL C
    .language_version:
      - 2
      - 0
    .max_flat_workgroup_size: 256
    .name:           _ZN7rocprim17ROCPRIM_400000_NS6detail17trampoline_kernelINS0_14default_configENS1_38merge_sort_block_merge_config_selectorIlNS0_10empty_typeEEEZZNS1_27merge_sort_block_merge_implIS3_PlPS5_mZN2at6native12_GLOBAL__N_124unique_dim_cuda_templateIN3c104HalfEEESt5tupleIJNSA_6TensorESH_SH_EERKSH_lbbbEUlllE_EE10hipError_tT0_T1_T2_jT3_P12ihipStream_tbPNSt15iterator_traitsISN_E10value_typeEPNST_ISO_E10value_typeEPSP_NS1_7vsmem_tEENKUlT_SN_SO_SP_E_clIS8_S8_S9_S9_EESM_S12_SN_SO_SP_EUlS12_E1_NS1_11comp_targetILNS1_3genE2ELNS1_11target_archE906ELNS1_3gpuE6ELNS1_3repE0EEENS1_36merge_oddeven_config_static_selectorELNS0_4arch9wavefront6targetE0EEEvSO_
    .private_segment_fixed_size: 0
    .sgpr_count:     0
    .sgpr_spill_count: 0
    .symbol:         _ZN7rocprim17ROCPRIM_400000_NS6detail17trampoline_kernelINS0_14default_configENS1_38merge_sort_block_merge_config_selectorIlNS0_10empty_typeEEEZZNS1_27merge_sort_block_merge_implIS3_PlPS5_mZN2at6native12_GLOBAL__N_124unique_dim_cuda_templateIN3c104HalfEEESt5tupleIJNSA_6TensorESH_SH_EERKSH_lbbbEUlllE_EE10hipError_tT0_T1_T2_jT3_P12ihipStream_tbPNSt15iterator_traitsISN_E10value_typeEPNST_ISO_E10value_typeEPSP_NS1_7vsmem_tEENKUlT_SN_SO_SP_E_clIS8_S8_S9_S9_EESM_S12_SN_SO_SP_EUlS12_E1_NS1_11comp_targetILNS1_3genE2ELNS1_11target_archE906ELNS1_3gpuE6ELNS1_3repE0EEENS1_36merge_oddeven_config_static_selectorELNS0_4arch9wavefront6targetE0EEEvSO_.kd
    .uniform_work_group_size: 1
    .uses_dynamic_stack: false
    .vgpr_count:     0
    .vgpr_spill_count: 0
    .wavefront_size: 32
  - .args:
      - .offset:         0
        .size:           64
        .value_kind:     by_value
    .group_segment_fixed_size: 0
    .kernarg_segment_align: 8
    .kernarg_segment_size: 64
    .language:       OpenCL C
    .language_version:
      - 2
      - 0
    .max_flat_workgroup_size: 256
    .name:           _ZN7rocprim17ROCPRIM_400000_NS6detail17trampoline_kernelINS0_14default_configENS1_38merge_sort_block_merge_config_selectorIlNS0_10empty_typeEEEZZNS1_27merge_sort_block_merge_implIS3_PlPS5_mZN2at6native12_GLOBAL__N_124unique_dim_cuda_templateIN3c104HalfEEESt5tupleIJNSA_6TensorESH_SH_EERKSH_lbbbEUlllE_EE10hipError_tT0_T1_T2_jT3_P12ihipStream_tbPNSt15iterator_traitsISN_E10value_typeEPNST_ISO_E10value_typeEPSP_NS1_7vsmem_tEENKUlT_SN_SO_SP_E_clIS8_S8_S9_S9_EESM_S12_SN_SO_SP_EUlS12_E1_NS1_11comp_targetILNS1_3genE9ELNS1_11target_archE1100ELNS1_3gpuE3ELNS1_3repE0EEENS1_36merge_oddeven_config_static_selectorELNS0_4arch9wavefront6targetE0EEEvSO_
    .private_segment_fixed_size: 0
    .sgpr_count:     0
    .sgpr_spill_count: 0
    .symbol:         _ZN7rocprim17ROCPRIM_400000_NS6detail17trampoline_kernelINS0_14default_configENS1_38merge_sort_block_merge_config_selectorIlNS0_10empty_typeEEEZZNS1_27merge_sort_block_merge_implIS3_PlPS5_mZN2at6native12_GLOBAL__N_124unique_dim_cuda_templateIN3c104HalfEEESt5tupleIJNSA_6TensorESH_SH_EERKSH_lbbbEUlllE_EE10hipError_tT0_T1_T2_jT3_P12ihipStream_tbPNSt15iterator_traitsISN_E10value_typeEPNST_ISO_E10value_typeEPSP_NS1_7vsmem_tEENKUlT_SN_SO_SP_E_clIS8_S8_S9_S9_EESM_S12_SN_SO_SP_EUlS12_E1_NS1_11comp_targetILNS1_3genE9ELNS1_11target_archE1100ELNS1_3gpuE3ELNS1_3repE0EEENS1_36merge_oddeven_config_static_selectorELNS0_4arch9wavefront6targetE0EEEvSO_.kd
    .uniform_work_group_size: 1
    .uses_dynamic_stack: false
    .vgpr_count:     0
    .vgpr_spill_count: 0
    .wavefront_size: 32
  - .args:
      - .offset:         0
        .size:           64
        .value_kind:     by_value
    .group_segment_fixed_size: 0
    .kernarg_segment_align: 8
    .kernarg_segment_size: 64
    .language:       OpenCL C
    .language_version:
      - 2
      - 0
    .max_flat_workgroup_size: 256
    .name:           _ZN7rocprim17ROCPRIM_400000_NS6detail17trampoline_kernelINS0_14default_configENS1_38merge_sort_block_merge_config_selectorIlNS0_10empty_typeEEEZZNS1_27merge_sort_block_merge_implIS3_PlPS5_mZN2at6native12_GLOBAL__N_124unique_dim_cuda_templateIN3c104HalfEEESt5tupleIJNSA_6TensorESH_SH_EERKSH_lbbbEUlllE_EE10hipError_tT0_T1_T2_jT3_P12ihipStream_tbPNSt15iterator_traitsISN_E10value_typeEPNST_ISO_E10value_typeEPSP_NS1_7vsmem_tEENKUlT_SN_SO_SP_E_clIS8_S8_S9_S9_EESM_S12_SN_SO_SP_EUlS12_E1_NS1_11comp_targetILNS1_3genE8ELNS1_11target_archE1030ELNS1_3gpuE2ELNS1_3repE0EEENS1_36merge_oddeven_config_static_selectorELNS0_4arch9wavefront6targetE0EEEvSO_
    .private_segment_fixed_size: 0
    .sgpr_count:     0
    .sgpr_spill_count: 0
    .symbol:         _ZN7rocprim17ROCPRIM_400000_NS6detail17trampoline_kernelINS0_14default_configENS1_38merge_sort_block_merge_config_selectorIlNS0_10empty_typeEEEZZNS1_27merge_sort_block_merge_implIS3_PlPS5_mZN2at6native12_GLOBAL__N_124unique_dim_cuda_templateIN3c104HalfEEESt5tupleIJNSA_6TensorESH_SH_EERKSH_lbbbEUlllE_EE10hipError_tT0_T1_T2_jT3_P12ihipStream_tbPNSt15iterator_traitsISN_E10value_typeEPNST_ISO_E10value_typeEPSP_NS1_7vsmem_tEENKUlT_SN_SO_SP_E_clIS8_S8_S9_S9_EESM_S12_SN_SO_SP_EUlS12_E1_NS1_11comp_targetILNS1_3genE8ELNS1_11target_archE1030ELNS1_3gpuE2ELNS1_3repE0EEENS1_36merge_oddeven_config_static_selectorELNS0_4arch9wavefront6targetE0EEEvSO_.kd
    .uniform_work_group_size: 1
    .uses_dynamic_stack: false
    .vgpr_count:     0
    .vgpr_spill_count: 0
    .wavefront_size: 32
  - .args:
      - .offset:         0
        .size:           64
        .value_kind:     by_value
    .group_segment_fixed_size: 2048
    .kernarg_segment_align: 8
    .kernarg_segment_size: 64
    .language:       OpenCL C
    .language_version:
      - 2
      - 0
    .max_flat_workgroup_size: 128
    .name:           _ZN7rocprim17ROCPRIM_400000_NS6detail17trampoline_kernelINS0_14default_configENS1_35adjacent_difference_config_selectorILb0ElEEZNS1_24adjacent_difference_implIS3_Lb0ELb0EPlS7_ZN2at6native12_GLOBAL__N_124unique_dim_cuda_templateIN3c104HalfEEESt5tupleIJNS8_6TensorESF_SF_EERKSF_lbbbEUlllE1_EE10hipError_tPvRmT2_T3_mT4_P12ihipStream_tbEUlT_E_NS1_11comp_targetILNS1_3genE0ELNS1_11target_archE4294967295ELNS1_3gpuE0ELNS1_3repE0EEENS1_30default_config_static_selectorELNS0_4arch9wavefront6targetE0EEEvT1_
    .private_segment_fixed_size: 0
    .sgpr_count:     26
    .sgpr_spill_count: 0
    .symbol:         _ZN7rocprim17ROCPRIM_400000_NS6detail17trampoline_kernelINS0_14default_configENS1_35adjacent_difference_config_selectorILb0ElEEZNS1_24adjacent_difference_implIS3_Lb0ELb0EPlS7_ZN2at6native12_GLOBAL__N_124unique_dim_cuda_templateIN3c104HalfEEESt5tupleIJNS8_6TensorESF_SF_EERKSF_lbbbEUlllE1_EE10hipError_tPvRmT2_T3_mT4_P12ihipStream_tbEUlT_E_NS1_11comp_targetILNS1_3genE0ELNS1_11target_archE4294967295ELNS1_3gpuE0ELNS1_3repE0EEENS1_30default_config_static_selectorELNS0_4arch9wavefront6targetE0EEEvT1_.kd
    .uniform_work_group_size: 1
    .uses_dynamic_stack: false
    .vgpr_count:     11
    .vgpr_spill_count: 0
    .wavefront_size: 32
  - .args:
      - .offset:         0
        .size:           64
        .value_kind:     by_value
    .group_segment_fixed_size: 0
    .kernarg_segment_align: 8
    .kernarg_segment_size: 64
    .language:       OpenCL C
    .language_version:
      - 2
      - 0
    .max_flat_workgroup_size: 128
    .name:           _ZN7rocprim17ROCPRIM_400000_NS6detail17trampoline_kernelINS0_14default_configENS1_35adjacent_difference_config_selectorILb0ElEEZNS1_24adjacent_difference_implIS3_Lb0ELb0EPlS7_ZN2at6native12_GLOBAL__N_124unique_dim_cuda_templateIN3c104HalfEEESt5tupleIJNS8_6TensorESF_SF_EERKSF_lbbbEUlllE1_EE10hipError_tPvRmT2_T3_mT4_P12ihipStream_tbEUlT_E_NS1_11comp_targetILNS1_3genE10ELNS1_11target_archE1201ELNS1_3gpuE5ELNS1_3repE0EEENS1_30default_config_static_selectorELNS0_4arch9wavefront6targetE0EEEvT1_
    .private_segment_fixed_size: 0
    .sgpr_count:     0
    .sgpr_spill_count: 0
    .symbol:         _ZN7rocprim17ROCPRIM_400000_NS6detail17trampoline_kernelINS0_14default_configENS1_35adjacent_difference_config_selectorILb0ElEEZNS1_24adjacent_difference_implIS3_Lb0ELb0EPlS7_ZN2at6native12_GLOBAL__N_124unique_dim_cuda_templateIN3c104HalfEEESt5tupleIJNS8_6TensorESF_SF_EERKSF_lbbbEUlllE1_EE10hipError_tPvRmT2_T3_mT4_P12ihipStream_tbEUlT_E_NS1_11comp_targetILNS1_3genE10ELNS1_11target_archE1201ELNS1_3gpuE5ELNS1_3repE0EEENS1_30default_config_static_selectorELNS0_4arch9wavefront6targetE0EEEvT1_.kd
    .uniform_work_group_size: 1
    .uses_dynamic_stack: false
    .vgpr_count:     0
    .vgpr_spill_count: 0
    .wavefront_size: 32
  - .args:
      - .offset:         0
        .size:           64
        .value_kind:     by_value
    .group_segment_fixed_size: 0
    .kernarg_segment_align: 8
    .kernarg_segment_size: 64
    .language:       OpenCL C
    .language_version:
      - 2
      - 0
    .max_flat_workgroup_size: 64
    .name:           _ZN7rocprim17ROCPRIM_400000_NS6detail17trampoline_kernelINS0_14default_configENS1_35adjacent_difference_config_selectorILb0ElEEZNS1_24adjacent_difference_implIS3_Lb0ELb0EPlS7_ZN2at6native12_GLOBAL__N_124unique_dim_cuda_templateIN3c104HalfEEESt5tupleIJNS8_6TensorESF_SF_EERKSF_lbbbEUlllE1_EE10hipError_tPvRmT2_T3_mT4_P12ihipStream_tbEUlT_E_NS1_11comp_targetILNS1_3genE5ELNS1_11target_archE942ELNS1_3gpuE9ELNS1_3repE0EEENS1_30default_config_static_selectorELNS0_4arch9wavefront6targetE0EEEvT1_
    .private_segment_fixed_size: 0
    .sgpr_count:     0
    .sgpr_spill_count: 0
    .symbol:         _ZN7rocprim17ROCPRIM_400000_NS6detail17trampoline_kernelINS0_14default_configENS1_35adjacent_difference_config_selectorILb0ElEEZNS1_24adjacent_difference_implIS3_Lb0ELb0EPlS7_ZN2at6native12_GLOBAL__N_124unique_dim_cuda_templateIN3c104HalfEEESt5tupleIJNS8_6TensorESF_SF_EERKSF_lbbbEUlllE1_EE10hipError_tPvRmT2_T3_mT4_P12ihipStream_tbEUlT_E_NS1_11comp_targetILNS1_3genE5ELNS1_11target_archE942ELNS1_3gpuE9ELNS1_3repE0EEENS1_30default_config_static_selectorELNS0_4arch9wavefront6targetE0EEEvT1_.kd
    .uniform_work_group_size: 1
    .uses_dynamic_stack: false
    .vgpr_count:     0
    .vgpr_spill_count: 0
    .wavefront_size: 32
  - .args:
      - .offset:         0
        .size:           64
        .value_kind:     by_value
    .group_segment_fixed_size: 0
    .kernarg_segment_align: 8
    .kernarg_segment_size: 64
    .language:       OpenCL C
    .language_version:
      - 2
      - 0
    .max_flat_workgroup_size: 256
    .name:           _ZN7rocprim17ROCPRIM_400000_NS6detail17trampoline_kernelINS0_14default_configENS1_35adjacent_difference_config_selectorILb0ElEEZNS1_24adjacent_difference_implIS3_Lb0ELb0EPlS7_ZN2at6native12_GLOBAL__N_124unique_dim_cuda_templateIN3c104HalfEEESt5tupleIJNS8_6TensorESF_SF_EERKSF_lbbbEUlllE1_EE10hipError_tPvRmT2_T3_mT4_P12ihipStream_tbEUlT_E_NS1_11comp_targetILNS1_3genE4ELNS1_11target_archE910ELNS1_3gpuE8ELNS1_3repE0EEENS1_30default_config_static_selectorELNS0_4arch9wavefront6targetE0EEEvT1_
    .private_segment_fixed_size: 0
    .sgpr_count:     0
    .sgpr_spill_count: 0
    .symbol:         _ZN7rocprim17ROCPRIM_400000_NS6detail17trampoline_kernelINS0_14default_configENS1_35adjacent_difference_config_selectorILb0ElEEZNS1_24adjacent_difference_implIS3_Lb0ELb0EPlS7_ZN2at6native12_GLOBAL__N_124unique_dim_cuda_templateIN3c104HalfEEESt5tupleIJNS8_6TensorESF_SF_EERKSF_lbbbEUlllE1_EE10hipError_tPvRmT2_T3_mT4_P12ihipStream_tbEUlT_E_NS1_11comp_targetILNS1_3genE4ELNS1_11target_archE910ELNS1_3gpuE8ELNS1_3repE0EEENS1_30default_config_static_selectorELNS0_4arch9wavefront6targetE0EEEvT1_.kd
    .uniform_work_group_size: 1
    .uses_dynamic_stack: false
    .vgpr_count:     0
    .vgpr_spill_count: 0
    .wavefront_size: 32
  - .args:
      - .offset:         0
        .size:           64
        .value_kind:     by_value
    .group_segment_fixed_size: 0
    .kernarg_segment_align: 8
    .kernarg_segment_size: 64
    .language:       OpenCL C
    .language_version:
      - 2
      - 0
    .max_flat_workgroup_size: 128
    .name:           _ZN7rocprim17ROCPRIM_400000_NS6detail17trampoline_kernelINS0_14default_configENS1_35adjacent_difference_config_selectorILb0ElEEZNS1_24adjacent_difference_implIS3_Lb0ELb0EPlS7_ZN2at6native12_GLOBAL__N_124unique_dim_cuda_templateIN3c104HalfEEESt5tupleIJNS8_6TensorESF_SF_EERKSF_lbbbEUlllE1_EE10hipError_tPvRmT2_T3_mT4_P12ihipStream_tbEUlT_E_NS1_11comp_targetILNS1_3genE3ELNS1_11target_archE908ELNS1_3gpuE7ELNS1_3repE0EEENS1_30default_config_static_selectorELNS0_4arch9wavefront6targetE0EEEvT1_
    .private_segment_fixed_size: 0
    .sgpr_count:     0
    .sgpr_spill_count: 0
    .symbol:         _ZN7rocprim17ROCPRIM_400000_NS6detail17trampoline_kernelINS0_14default_configENS1_35adjacent_difference_config_selectorILb0ElEEZNS1_24adjacent_difference_implIS3_Lb0ELb0EPlS7_ZN2at6native12_GLOBAL__N_124unique_dim_cuda_templateIN3c104HalfEEESt5tupleIJNS8_6TensorESF_SF_EERKSF_lbbbEUlllE1_EE10hipError_tPvRmT2_T3_mT4_P12ihipStream_tbEUlT_E_NS1_11comp_targetILNS1_3genE3ELNS1_11target_archE908ELNS1_3gpuE7ELNS1_3repE0EEENS1_30default_config_static_selectorELNS0_4arch9wavefront6targetE0EEEvT1_.kd
    .uniform_work_group_size: 1
    .uses_dynamic_stack: false
    .vgpr_count:     0
    .vgpr_spill_count: 0
    .wavefront_size: 32
  - .args:
      - .offset:         0
        .size:           64
        .value_kind:     by_value
    .group_segment_fixed_size: 0
    .kernarg_segment_align: 8
    .kernarg_segment_size: 64
    .language:       OpenCL C
    .language_version:
      - 2
      - 0
    .max_flat_workgroup_size: 128
    .name:           _ZN7rocprim17ROCPRIM_400000_NS6detail17trampoline_kernelINS0_14default_configENS1_35adjacent_difference_config_selectorILb0ElEEZNS1_24adjacent_difference_implIS3_Lb0ELb0EPlS7_ZN2at6native12_GLOBAL__N_124unique_dim_cuda_templateIN3c104HalfEEESt5tupleIJNS8_6TensorESF_SF_EERKSF_lbbbEUlllE1_EE10hipError_tPvRmT2_T3_mT4_P12ihipStream_tbEUlT_E_NS1_11comp_targetILNS1_3genE2ELNS1_11target_archE906ELNS1_3gpuE6ELNS1_3repE0EEENS1_30default_config_static_selectorELNS0_4arch9wavefront6targetE0EEEvT1_
    .private_segment_fixed_size: 0
    .sgpr_count:     0
    .sgpr_spill_count: 0
    .symbol:         _ZN7rocprim17ROCPRIM_400000_NS6detail17trampoline_kernelINS0_14default_configENS1_35adjacent_difference_config_selectorILb0ElEEZNS1_24adjacent_difference_implIS3_Lb0ELb0EPlS7_ZN2at6native12_GLOBAL__N_124unique_dim_cuda_templateIN3c104HalfEEESt5tupleIJNS8_6TensorESF_SF_EERKSF_lbbbEUlllE1_EE10hipError_tPvRmT2_T3_mT4_P12ihipStream_tbEUlT_E_NS1_11comp_targetILNS1_3genE2ELNS1_11target_archE906ELNS1_3gpuE6ELNS1_3repE0EEENS1_30default_config_static_selectorELNS0_4arch9wavefront6targetE0EEEvT1_.kd
    .uniform_work_group_size: 1
    .uses_dynamic_stack: false
    .vgpr_count:     0
    .vgpr_spill_count: 0
    .wavefront_size: 32
  - .args:
      - .offset:         0
        .size:           64
        .value_kind:     by_value
    .group_segment_fixed_size: 0
    .kernarg_segment_align: 8
    .kernarg_segment_size: 64
    .language:       OpenCL C
    .language_version:
      - 2
      - 0
    .max_flat_workgroup_size: 512
    .name:           _ZN7rocprim17ROCPRIM_400000_NS6detail17trampoline_kernelINS0_14default_configENS1_35adjacent_difference_config_selectorILb0ElEEZNS1_24adjacent_difference_implIS3_Lb0ELb0EPlS7_ZN2at6native12_GLOBAL__N_124unique_dim_cuda_templateIN3c104HalfEEESt5tupleIJNS8_6TensorESF_SF_EERKSF_lbbbEUlllE1_EE10hipError_tPvRmT2_T3_mT4_P12ihipStream_tbEUlT_E_NS1_11comp_targetILNS1_3genE9ELNS1_11target_archE1100ELNS1_3gpuE3ELNS1_3repE0EEENS1_30default_config_static_selectorELNS0_4arch9wavefront6targetE0EEEvT1_
    .private_segment_fixed_size: 0
    .sgpr_count:     0
    .sgpr_spill_count: 0
    .symbol:         _ZN7rocprim17ROCPRIM_400000_NS6detail17trampoline_kernelINS0_14default_configENS1_35adjacent_difference_config_selectorILb0ElEEZNS1_24adjacent_difference_implIS3_Lb0ELb0EPlS7_ZN2at6native12_GLOBAL__N_124unique_dim_cuda_templateIN3c104HalfEEESt5tupleIJNS8_6TensorESF_SF_EERKSF_lbbbEUlllE1_EE10hipError_tPvRmT2_T3_mT4_P12ihipStream_tbEUlT_E_NS1_11comp_targetILNS1_3genE9ELNS1_11target_archE1100ELNS1_3gpuE3ELNS1_3repE0EEENS1_30default_config_static_selectorELNS0_4arch9wavefront6targetE0EEEvT1_.kd
    .uniform_work_group_size: 1
    .uses_dynamic_stack: false
    .vgpr_count:     0
    .vgpr_spill_count: 0
    .wavefront_size: 32
  - .args:
      - .offset:         0
        .size:           64
        .value_kind:     by_value
    .group_segment_fixed_size: 0
    .kernarg_segment_align: 8
    .kernarg_segment_size: 64
    .language:       OpenCL C
    .language_version:
      - 2
      - 0
    .max_flat_workgroup_size: 1024
    .name:           _ZN7rocprim17ROCPRIM_400000_NS6detail17trampoline_kernelINS0_14default_configENS1_35adjacent_difference_config_selectorILb0ElEEZNS1_24adjacent_difference_implIS3_Lb0ELb0EPlS7_ZN2at6native12_GLOBAL__N_124unique_dim_cuda_templateIN3c104HalfEEESt5tupleIJNS8_6TensorESF_SF_EERKSF_lbbbEUlllE1_EE10hipError_tPvRmT2_T3_mT4_P12ihipStream_tbEUlT_E_NS1_11comp_targetILNS1_3genE8ELNS1_11target_archE1030ELNS1_3gpuE2ELNS1_3repE0EEENS1_30default_config_static_selectorELNS0_4arch9wavefront6targetE0EEEvT1_
    .private_segment_fixed_size: 0
    .sgpr_count:     0
    .sgpr_spill_count: 0
    .symbol:         _ZN7rocprim17ROCPRIM_400000_NS6detail17trampoline_kernelINS0_14default_configENS1_35adjacent_difference_config_selectorILb0ElEEZNS1_24adjacent_difference_implIS3_Lb0ELb0EPlS7_ZN2at6native12_GLOBAL__N_124unique_dim_cuda_templateIN3c104HalfEEESt5tupleIJNS8_6TensorESF_SF_EERKSF_lbbbEUlllE1_EE10hipError_tPvRmT2_T3_mT4_P12ihipStream_tbEUlT_E_NS1_11comp_targetILNS1_3genE8ELNS1_11target_archE1030ELNS1_3gpuE2ELNS1_3repE0EEENS1_30default_config_static_selectorELNS0_4arch9wavefront6targetE0EEEvT1_.kd
    .uniform_work_group_size: 1
    .uses_dynamic_stack: false
    .vgpr_count:     0
    .vgpr_spill_count: 0
    .wavefront_size: 32
  - .args:
      - .offset:         0
        .size:           56
        .value_kind:     by_value
      - .offset:         56
        .size:           4
        .value_kind:     hidden_block_count_x
      - .offset:         60
        .size:           4
        .value_kind:     hidden_block_count_y
      - .offset:         64
        .size:           4
        .value_kind:     hidden_block_count_z
      - .offset:         68
        .size:           2
        .value_kind:     hidden_group_size_x
      - .offset:         70
        .size:           2
        .value_kind:     hidden_group_size_y
      - .offset:         72
        .size:           2
        .value_kind:     hidden_group_size_z
      - .offset:         74
        .size:           2
        .value_kind:     hidden_remainder_x
      - .offset:         76
        .size:           2
        .value_kind:     hidden_remainder_y
      - .offset:         78
        .size:           2
        .value_kind:     hidden_remainder_z
      - .offset:         96
        .size:           8
        .value_kind:     hidden_global_offset_x
      - .offset:         104
        .size:           8
        .value_kind:     hidden_global_offset_y
      - .offset:         112
        .size:           8
        .value_kind:     hidden_global_offset_z
      - .offset:         120
        .size:           2
        .value_kind:     hidden_grid_dims
    .group_segment_fixed_size: 0
    .kernarg_segment_align: 8
    .kernarg_segment_size: 312
    .language:       OpenCL C
    .language_version:
      - 2
      - 0
    .max_flat_workgroup_size: 128
    .name:           _ZN7rocprim17ROCPRIM_400000_NS6detail17trampoline_kernelINS0_14default_configENS1_25transform_config_selectorIlLb0EEEZNS1_14transform_implILb0ES3_S5_NS0_18transform_iteratorINS0_17counting_iteratorImlEEZNS1_24adjacent_difference_implIS3_Lb1ELb0EPlSB_ZN2at6native12_GLOBAL__N_124unique_dim_cuda_templateIN3c104HalfEEESt5tupleIJNSC_6TensorESJ_SJ_EERKSJ_lbbbEUlllE1_EE10hipError_tPvRmT2_T3_mT4_P12ihipStream_tbEUlmE_lEESB_NS0_8identityIvEEEESO_SR_SS_mST_SV_bEUlT_E_NS1_11comp_targetILNS1_3genE0ELNS1_11target_archE4294967295ELNS1_3gpuE0ELNS1_3repE0EEENS1_30default_config_static_selectorELNS0_4arch9wavefront6targetE0EEEvT1_
    .private_segment_fixed_size: 0
    .sgpr_count:     16
    .sgpr_spill_count: 0
    .symbol:         _ZN7rocprim17ROCPRIM_400000_NS6detail17trampoline_kernelINS0_14default_configENS1_25transform_config_selectorIlLb0EEEZNS1_14transform_implILb0ES3_S5_NS0_18transform_iteratorINS0_17counting_iteratorImlEEZNS1_24adjacent_difference_implIS3_Lb1ELb0EPlSB_ZN2at6native12_GLOBAL__N_124unique_dim_cuda_templateIN3c104HalfEEESt5tupleIJNSC_6TensorESJ_SJ_EERKSJ_lbbbEUlllE1_EE10hipError_tPvRmT2_T3_mT4_P12ihipStream_tbEUlmE_lEESB_NS0_8identityIvEEEESO_SR_SS_mST_SV_bEUlT_E_NS1_11comp_targetILNS1_3genE0ELNS1_11target_archE4294967295ELNS1_3gpuE0ELNS1_3repE0EEENS1_30default_config_static_selectorELNS0_4arch9wavefront6targetE0EEEvT1_.kd
    .uniform_work_group_size: 1
    .uses_dynamic_stack: false
    .vgpr_count:     4
    .vgpr_spill_count: 0
    .wavefront_size: 32
  - .args:
      - .offset:         0
        .size:           56
        .value_kind:     by_value
    .group_segment_fixed_size: 0
    .kernarg_segment_align: 8
    .kernarg_segment_size: 56
    .language:       OpenCL C
    .language_version:
      - 2
      - 0
    .max_flat_workgroup_size: 512
    .name:           _ZN7rocprim17ROCPRIM_400000_NS6detail17trampoline_kernelINS0_14default_configENS1_25transform_config_selectorIlLb0EEEZNS1_14transform_implILb0ES3_S5_NS0_18transform_iteratorINS0_17counting_iteratorImlEEZNS1_24adjacent_difference_implIS3_Lb1ELb0EPlSB_ZN2at6native12_GLOBAL__N_124unique_dim_cuda_templateIN3c104HalfEEESt5tupleIJNSC_6TensorESJ_SJ_EERKSJ_lbbbEUlllE1_EE10hipError_tPvRmT2_T3_mT4_P12ihipStream_tbEUlmE_lEESB_NS0_8identityIvEEEESO_SR_SS_mST_SV_bEUlT_E_NS1_11comp_targetILNS1_3genE5ELNS1_11target_archE942ELNS1_3gpuE9ELNS1_3repE0EEENS1_30default_config_static_selectorELNS0_4arch9wavefront6targetE0EEEvT1_
    .private_segment_fixed_size: 0
    .sgpr_count:     0
    .sgpr_spill_count: 0
    .symbol:         _ZN7rocprim17ROCPRIM_400000_NS6detail17trampoline_kernelINS0_14default_configENS1_25transform_config_selectorIlLb0EEEZNS1_14transform_implILb0ES3_S5_NS0_18transform_iteratorINS0_17counting_iteratorImlEEZNS1_24adjacent_difference_implIS3_Lb1ELb0EPlSB_ZN2at6native12_GLOBAL__N_124unique_dim_cuda_templateIN3c104HalfEEESt5tupleIJNSC_6TensorESJ_SJ_EERKSJ_lbbbEUlllE1_EE10hipError_tPvRmT2_T3_mT4_P12ihipStream_tbEUlmE_lEESB_NS0_8identityIvEEEESO_SR_SS_mST_SV_bEUlT_E_NS1_11comp_targetILNS1_3genE5ELNS1_11target_archE942ELNS1_3gpuE9ELNS1_3repE0EEENS1_30default_config_static_selectorELNS0_4arch9wavefront6targetE0EEEvT1_.kd
    .uniform_work_group_size: 1
    .uses_dynamic_stack: false
    .vgpr_count:     0
    .vgpr_spill_count: 0
    .wavefront_size: 32
  - .args:
      - .offset:         0
        .size:           56
        .value_kind:     by_value
    .group_segment_fixed_size: 0
    .kernarg_segment_align: 8
    .kernarg_segment_size: 56
    .language:       OpenCL C
    .language_version:
      - 2
      - 0
    .max_flat_workgroup_size: 256
    .name:           _ZN7rocprim17ROCPRIM_400000_NS6detail17trampoline_kernelINS0_14default_configENS1_25transform_config_selectorIlLb0EEEZNS1_14transform_implILb0ES3_S5_NS0_18transform_iteratorINS0_17counting_iteratorImlEEZNS1_24adjacent_difference_implIS3_Lb1ELb0EPlSB_ZN2at6native12_GLOBAL__N_124unique_dim_cuda_templateIN3c104HalfEEESt5tupleIJNSC_6TensorESJ_SJ_EERKSJ_lbbbEUlllE1_EE10hipError_tPvRmT2_T3_mT4_P12ihipStream_tbEUlmE_lEESB_NS0_8identityIvEEEESO_SR_SS_mST_SV_bEUlT_E_NS1_11comp_targetILNS1_3genE4ELNS1_11target_archE910ELNS1_3gpuE8ELNS1_3repE0EEENS1_30default_config_static_selectorELNS0_4arch9wavefront6targetE0EEEvT1_
    .private_segment_fixed_size: 0
    .sgpr_count:     0
    .sgpr_spill_count: 0
    .symbol:         _ZN7rocprim17ROCPRIM_400000_NS6detail17trampoline_kernelINS0_14default_configENS1_25transform_config_selectorIlLb0EEEZNS1_14transform_implILb0ES3_S5_NS0_18transform_iteratorINS0_17counting_iteratorImlEEZNS1_24adjacent_difference_implIS3_Lb1ELb0EPlSB_ZN2at6native12_GLOBAL__N_124unique_dim_cuda_templateIN3c104HalfEEESt5tupleIJNSC_6TensorESJ_SJ_EERKSJ_lbbbEUlllE1_EE10hipError_tPvRmT2_T3_mT4_P12ihipStream_tbEUlmE_lEESB_NS0_8identityIvEEEESO_SR_SS_mST_SV_bEUlT_E_NS1_11comp_targetILNS1_3genE4ELNS1_11target_archE910ELNS1_3gpuE8ELNS1_3repE0EEENS1_30default_config_static_selectorELNS0_4arch9wavefront6targetE0EEEvT1_.kd
    .uniform_work_group_size: 1
    .uses_dynamic_stack: false
    .vgpr_count:     0
    .vgpr_spill_count: 0
    .wavefront_size: 32
  - .args:
      - .offset:         0
        .size:           56
        .value_kind:     by_value
    .group_segment_fixed_size: 0
    .kernarg_segment_align: 8
    .kernarg_segment_size: 56
    .language:       OpenCL C
    .language_version:
      - 2
      - 0
    .max_flat_workgroup_size: 128
    .name:           _ZN7rocprim17ROCPRIM_400000_NS6detail17trampoline_kernelINS0_14default_configENS1_25transform_config_selectorIlLb0EEEZNS1_14transform_implILb0ES3_S5_NS0_18transform_iteratorINS0_17counting_iteratorImlEEZNS1_24adjacent_difference_implIS3_Lb1ELb0EPlSB_ZN2at6native12_GLOBAL__N_124unique_dim_cuda_templateIN3c104HalfEEESt5tupleIJNSC_6TensorESJ_SJ_EERKSJ_lbbbEUlllE1_EE10hipError_tPvRmT2_T3_mT4_P12ihipStream_tbEUlmE_lEESB_NS0_8identityIvEEEESO_SR_SS_mST_SV_bEUlT_E_NS1_11comp_targetILNS1_3genE3ELNS1_11target_archE908ELNS1_3gpuE7ELNS1_3repE0EEENS1_30default_config_static_selectorELNS0_4arch9wavefront6targetE0EEEvT1_
    .private_segment_fixed_size: 0
    .sgpr_count:     0
    .sgpr_spill_count: 0
    .symbol:         _ZN7rocprim17ROCPRIM_400000_NS6detail17trampoline_kernelINS0_14default_configENS1_25transform_config_selectorIlLb0EEEZNS1_14transform_implILb0ES3_S5_NS0_18transform_iteratorINS0_17counting_iteratorImlEEZNS1_24adjacent_difference_implIS3_Lb1ELb0EPlSB_ZN2at6native12_GLOBAL__N_124unique_dim_cuda_templateIN3c104HalfEEESt5tupleIJNSC_6TensorESJ_SJ_EERKSJ_lbbbEUlllE1_EE10hipError_tPvRmT2_T3_mT4_P12ihipStream_tbEUlmE_lEESB_NS0_8identityIvEEEESO_SR_SS_mST_SV_bEUlT_E_NS1_11comp_targetILNS1_3genE3ELNS1_11target_archE908ELNS1_3gpuE7ELNS1_3repE0EEENS1_30default_config_static_selectorELNS0_4arch9wavefront6targetE0EEEvT1_.kd
    .uniform_work_group_size: 1
    .uses_dynamic_stack: false
    .vgpr_count:     0
    .vgpr_spill_count: 0
    .wavefront_size: 32
  - .args:
      - .offset:         0
        .size:           56
        .value_kind:     by_value
    .group_segment_fixed_size: 0
    .kernarg_segment_align: 8
    .kernarg_segment_size: 56
    .language:       OpenCL C
    .language_version:
      - 2
      - 0
    .max_flat_workgroup_size: 512
    .name:           _ZN7rocprim17ROCPRIM_400000_NS6detail17trampoline_kernelINS0_14default_configENS1_25transform_config_selectorIlLb0EEEZNS1_14transform_implILb0ES3_S5_NS0_18transform_iteratorINS0_17counting_iteratorImlEEZNS1_24adjacent_difference_implIS3_Lb1ELb0EPlSB_ZN2at6native12_GLOBAL__N_124unique_dim_cuda_templateIN3c104HalfEEESt5tupleIJNSC_6TensorESJ_SJ_EERKSJ_lbbbEUlllE1_EE10hipError_tPvRmT2_T3_mT4_P12ihipStream_tbEUlmE_lEESB_NS0_8identityIvEEEESO_SR_SS_mST_SV_bEUlT_E_NS1_11comp_targetILNS1_3genE2ELNS1_11target_archE906ELNS1_3gpuE6ELNS1_3repE0EEENS1_30default_config_static_selectorELNS0_4arch9wavefront6targetE0EEEvT1_
    .private_segment_fixed_size: 0
    .sgpr_count:     0
    .sgpr_spill_count: 0
    .symbol:         _ZN7rocprim17ROCPRIM_400000_NS6detail17trampoline_kernelINS0_14default_configENS1_25transform_config_selectorIlLb0EEEZNS1_14transform_implILb0ES3_S5_NS0_18transform_iteratorINS0_17counting_iteratorImlEEZNS1_24adjacent_difference_implIS3_Lb1ELb0EPlSB_ZN2at6native12_GLOBAL__N_124unique_dim_cuda_templateIN3c104HalfEEESt5tupleIJNSC_6TensorESJ_SJ_EERKSJ_lbbbEUlllE1_EE10hipError_tPvRmT2_T3_mT4_P12ihipStream_tbEUlmE_lEESB_NS0_8identityIvEEEESO_SR_SS_mST_SV_bEUlT_E_NS1_11comp_targetILNS1_3genE2ELNS1_11target_archE906ELNS1_3gpuE6ELNS1_3repE0EEENS1_30default_config_static_selectorELNS0_4arch9wavefront6targetE0EEEvT1_.kd
    .uniform_work_group_size: 1
    .uses_dynamic_stack: false
    .vgpr_count:     0
    .vgpr_spill_count: 0
    .wavefront_size: 32
  - .args:
      - .offset:         0
        .size:           56
        .value_kind:     by_value
    .group_segment_fixed_size: 0
    .kernarg_segment_align: 8
    .kernarg_segment_size: 56
    .language:       OpenCL C
    .language_version:
      - 2
      - 0
    .max_flat_workgroup_size: 1024
    .name:           _ZN7rocprim17ROCPRIM_400000_NS6detail17trampoline_kernelINS0_14default_configENS1_25transform_config_selectorIlLb0EEEZNS1_14transform_implILb0ES3_S5_NS0_18transform_iteratorINS0_17counting_iteratorImlEEZNS1_24adjacent_difference_implIS3_Lb1ELb0EPlSB_ZN2at6native12_GLOBAL__N_124unique_dim_cuda_templateIN3c104HalfEEESt5tupleIJNSC_6TensorESJ_SJ_EERKSJ_lbbbEUlllE1_EE10hipError_tPvRmT2_T3_mT4_P12ihipStream_tbEUlmE_lEESB_NS0_8identityIvEEEESO_SR_SS_mST_SV_bEUlT_E_NS1_11comp_targetILNS1_3genE10ELNS1_11target_archE1201ELNS1_3gpuE5ELNS1_3repE0EEENS1_30default_config_static_selectorELNS0_4arch9wavefront6targetE0EEEvT1_
    .private_segment_fixed_size: 0
    .sgpr_count:     0
    .sgpr_spill_count: 0
    .symbol:         _ZN7rocprim17ROCPRIM_400000_NS6detail17trampoline_kernelINS0_14default_configENS1_25transform_config_selectorIlLb0EEEZNS1_14transform_implILb0ES3_S5_NS0_18transform_iteratorINS0_17counting_iteratorImlEEZNS1_24adjacent_difference_implIS3_Lb1ELb0EPlSB_ZN2at6native12_GLOBAL__N_124unique_dim_cuda_templateIN3c104HalfEEESt5tupleIJNSC_6TensorESJ_SJ_EERKSJ_lbbbEUlllE1_EE10hipError_tPvRmT2_T3_mT4_P12ihipStream_tbEUlmE_lEESB_NS0_8identityIvEEEESO_SR_SS_mST_SV_bEUlT_E_NS1_11comp_targetILNS1_3genE10ELNS1_11target_archE1201ELNS1_3gpuE5ELNS1_3repE0EEENS1_30default_config_static_selectorELNS0_4arch9wavefront6targetE0EEEvT1_.kd
    .uniform_work_group_size: 1
    .uses_dynamic_stack: false
    .vgpr_count:     0
    .vgpr_spill_count: 0
    .wavefront_size: 32
  - .args:
      - .offset:         0
        .size:           56
        .value_kind:     by_value
    .group_segment_fixed_size: 0
    .kernarg_segment_align: 8
    .kernarg_segment_size: 56
    .language:       OpenCL C
    .language_version:
      - 2
      - 0
    .max_flat_workgroup_size: 512
    .name:           _ZN7rocprim17ROCPRIM_400000_NS6detail17trampoline_kernelINS0_14default_configENS1_25transform_config_selectorIlLb0EEEZNS1_14transform_implILb0ES3_S5_NS0_18transform_iteratorINS0_17counting_iteratorImlEEZNS1_24adjacent_difference_implIS3_Lb1ELb0EPlSB_ZN2at6native12_GLOBAL__N_124unique_dim_cuda_templateIN3c104HalfEEESt5tupleIJNSC_6TensorESJ_SJ_EERKSJ_lbbbEUlllE1_EE10hipError_tPvRmT2_T3_mT4_P12ihipStream_tbEUlmE_lEESB_NS0_8identityIvEEEESO_SR_SS_mST_SV_bEUlT_E_NS1_11comp_targetILNS1_3genE10ELNS1_11target_archE1200ELNS1_3gpuE4ELNS1_3repE0EEENS1_30default_config_static_selectorELNS0_4arch9wavefront6targetE0EEEvT1_
    .private_segment_fixed_size: 0
    .sgpr_count:     0
    .sgpr_spill_count: 0
    .symbol:         _ZN7rocprim17ROCPRIM_400000_NS6detail17trampoline_kernelINS0_14default_configENS1_25transform_config_selectorIlLb0EEEZNS1_14transform_implILb0ES3_S5_NS0_18transform_iteratorINS0_17counting_iteratorImlEEZNS1_24adjacent_difference_implIS3_Lb1ELb0EPlSB_ZN2at6native12_GLOBAL__N_124unique_dim_cuda_templateIN3c104HalfEEESt5tupleIJNSC_6TensorESJ_SJ_EERKSJ_lbbbEUlllE1_EE10hipError_tPvRmT2_T3_mT4_P12ihipStream_tbEUlmE_lEESB_NS0_8identityIvEEEESO_SR_SS_mST_SV_bEUlT_E_NS1_11comp_targetILNS1_3genE10ELNS1_11target_archE1200ELNS1_3gpuE4ELNS1_3repE0EEENS1_30default_config_static_selectorELNS0_4arch9wavefront6targetE0EEEvT1_.kd
    .uniform_work_group_size: 1
    .uses_dynamic_stack: false
    .vgpr_count:     0
    .vgpr_spill_count: 0
    .wavefront_size: 32
  - .args:
      - .offset:         0
        .size:           56
        .value_kind:     by_value
    .group_segment_fixed_size: 0
    .kernarg_segment_align: 8
    .kernarg_segment_size: 56
    .language:       OpenCL C
    .language_version:
      - 2
      - 0
    .max_flat_workgroup_size: 512
    .name:           _ZN7rocprim17ROCPRIM_400000_NS6detail17trampoline_kernelINS0_14default_configENS1_25transform_config_selectorIlLb0EEEZNS1_14transform_implILb0ES3_S5_NS0_18transform_iteratorINS0_17counting_iteratorImlEEZNS1_24adjacent_difference_implIS3_Lb1ELb0EPlSB_ZN2at6native12_GLOBAL__N_124unique_dim_cuda_templateIN3c104HalfEEESt5tupleIJNSC_6TensorESJ_SJ_EERKSJ_lbbbEUlllE1_EE10hipError_tPvRmT2_T3_mT4_P12ihipStream_tbEUlmE_lEESB_NS0_8identityIvEEEESO_SR_SS_mST_SV_bEUlT_E_NS1_11comp_targetILNS1_3genE9ELNS1_11target_archE1100ELNS1_3gpuE3ELNS1_3repE0EEENS1_30default_config_static_selectorELNS0_4arch9wavefront6targetE0EEEvT1_
    .private_segment_fixed_size: 0
    .sgpr_count:     0
    .sgpr_spill_count: 0
    .symbol:         _ZN7rocprim17ROCPRIM_400000_NS6detail17trampoline_kernelINS0_14default_configENS1_25transform_config_selectorIlLb0EEEZNS1_14transform_implILb0ES3_S5_NS0_18transform_iteratorINS0_17counting_iteratorImlEEZNS1_24adjacent_difference_implIS3_Lb1ELb0EPlSB_ZN2at6native12_GLOBAL__N_124unique_dim_cuda_templateIN3c104HalfEEESt5tupleIJNSC_6TensorESJ_SJ_EERKSJ_lbbbEUlllE1_EE10hipError_tPvRmT2_T3_mT4_P12ihipStream_tbEUlmE_lEESB_NS0_8identityIvEEEESO_SR_SS_mST_SV_bEUlT_E_NS1_11comp_targetILNS1_3genE9ELNS1_11target_archE1100ELNS1_3gpuE3ELNS1_3repE0EEENS1_30default_config_static_selectorELNS0_4arch9wavefront6targetE0EEEvT1_.kd
    .uniform_work_group_size: 1
    .uses_dynamic_stack: false
    .vgpr_count:     0
    .vgpr_spill_count: 0
    .wavefront_size: 32
  - .args:
      - .offset:         0
        .size:           56
        .value_kind:     by_value
    .group_segment_fixed_size: 0
    .kernarg_segment_align: 8
    .kernarg_segment_size: 56
    .language:       OpenCL C
    .language_version:
      - 2
      - 0
    .max_flat_workgroup_size: 512
    .name:           _ZN7rocprim17ROCPRIM_400000_NS6detail17trampoline_kernelINS0_14default_configENS1_25transform_config_selectorIlLb0EEEZNS1_14transform_implILb0ES3_S5_NS0_18transform_iteratorINS0_17counting_iteratorImlEEZNS1_24adjacent_difference_implIS3_Lb1ELb0EPlSB_ZN2at6native12_GLOBAL__N_124unique_dim_cuda_templateIN3c104HalfEEESt5tupleIJNSC_6TensorESJ_SJ_EERKSJ_lbbbEUlllE1_EE10hipError_tPvRmT2_T3_mT4_P12ihipStream_tbEUlmE_lEESB_NS0_8identityIvEEEESO_SR_SS_mST_SV_bEUlT_E_NS1_11comp_targetILNS1_3genE8ELNS1_11target_archE1030ELNS1_3gpuE2ELNS1_3repE0EEENS1_30default_config_static_selectorELNS0_4arch9wavefront6targetE0EEEvT1_
    .private_segment_fixed_size: 0
    .sgpr_count:     0
    .sgpr_spill_count: 0
    .symbol:         _ZN7rocprim17ROCPRIM_400000_NS6detail17trampoline_kernelINS0_14default_configENS1_25transform_config_selectorIlLb0EEEZNS1_14transform_implILb0ES3_S5_NS0_18transform_iteratorINS0_17counting_iteratorImlEEZNS1_24adjacent_difference_implIS3_Lb1ELb0EPlSB_ZN2at6native12_GLOBAL__N_124unique_dim_cuda_templateIN3c104HalfEEESt5tupleIJNSC_6TensorESJ_SJ_EERKSJ_lbbbEUlllE1_EE10hipError_tPvRmT2_T3_mT4_P12ihipStream_tbEUlmE_lEESB_NS0_8identityIvEEEESO_SR_SS_mST_SV_bEUlT_E_NS1_11comp_targetILNS1_3genE8ELNS1_11target_archE1030ELNS1_3gpuE2ELNS1_3repE0EEENS1_30default_config_static_selectorELNS0_4arch9wavefront6targetE0EEEvT1_.kd
    .uniform_work_group_size: 1
    .uses_dynamic_stack: false
    .vgpr_count:     0
    .vgpr_spill_count: 0
    .wavefront_size: 32
  - .args:
      - .offset:         0
        .size:           64
        .value_kind:     by_value
    .group_segment_fixed_size: 8448
    .kernarg_segment_align: 8
    .kernarg_segment_size: 64
    .language:       OpenCL C
    .language_version:
      - 2
      - 0
    .max_flat_workgroup_size: 512
    .name:           _ZN7rocprim17ROCPRIM_400000_NS6detail17trampoline_kernelINS0_14default_configENS1_35adjacent_difference_config_selectorILb1ElEEZNS1_24adjacent_difference_implIS3_Lb1ELb0EPlS7_ZN2at6native12_GLOBAL__N_124unique_dim_cuda_templateIN3c104HalfEEESt5tupleIJNS8_6TensorESF_SF_EERKSF_lbbbEUlllE1_EE10hipError_tPvRmT2_T3_mT4_P12ihipStream_tbEUlT_E_NS1_11comp_targetILNS1_3genE0ELNS1_11target_archE4294967295ELNS1_3gpuE0ELNS1_3repE0EEENS1_30default_config_static_selectorELNS0_4arch9wavefront6targetE0EEEvT1_
    .private_segment_fixed_size: 0
    .sgpr_count:     31
    .sgpr_spill_count: 0
    .symbol:         _ZN7rocprim17ROCPRIM_400000_NS6detail17trampoline_kernelINS0_14default_configENS1_35adjacent_difference_config_selectorILb1ElEEZNS1_24adjacent_difference_implIS3_Lb1ELb0EPlS7_ZN2at6native12_GLOBAL__N_124unique_dim_cuda_templateIN3c104HalfEEESt5tupleIJNS8_6TensorESF_SF_EERKSF_lbbbEUlllE1_EE10hipError_tPvRmT2_T3_mT4_P12ihipStream_tbEUlT_E_NS1_11comp_targetILNS1_3genE0ELNS1_11target_archE4294967295ELNS1_3gpuE0ELNS1_3repE0EEENS1_30default_config_static_selectorELNS0_4arch9wavefront6targetE0EEEvT1_.kd
    .uniform_work_group_size: 1
    .uses_dynamic_stack: false
    .vgpr_count:     16
    .vgpr_spill_count: 0
    .wavefront_size: 32
  - .args:
      - .offset:         0
        .size:           64
        .value_kind:     by_value
    .group_segment_fixed_size: 0
    .kernarg_segment_align: 8
    .kernarg_segment_size: 64
    .language:       OpenCL C
    .language_version:
      - 2
      - 0
    .max_flat_workgroup_size: 32
    .name:           _ZN7rocprim17ROCPRIM_400000_NS6detail17trampoline_kernelINS0_14default_configENS1_35adjacent_difference_config_selectorILb1ElEEZNS1_24adjacent_difference_implIS3_Lb1ELb0EPlS7_ZN2at6native12_GLOBAL__N_124unique_dim_cuda_templateIN3c104HalfEEESt5tupleIJNS8_6TensorESF_SF_EERKSF_lbbbEUlllE1_EE10hipError_tPvRmT2_T3_mT4_P12ihipStream_tbEUlT_E_NS1_11comp_targetILNS1_3genE10ELNS1_11target_archE1201ELNS1_3gpuE5ELNS1_3repE0EEENS1_30default_config_static_selectorELNS0_4arch9wavefront6targetE0EEEvT1_
    .private_segment_fixed_size: 0
    .sgpr_count:     0
    .sgpr_spill_count: 0
    .symbol:         _ZN7rocprim17ROCPRIM_400000_NS6detail17trampoline_kernelINS0_14default_configENS1_35adjacent_difference_config_selectorILb1ElEEZNS1_24adjacent_difference_implIS3_Lb1ELb0EPlS7_ZN2at6native12_GLOBAL__N_124unique_dim_cuda_templateIN3c104HalfEEESt5tupleIJNS8_6TensorESF_SF_EERKSF_lbbbEUlllE1_EE10hipError_tPvRmT2_T3_mT4_P12ihipStream_tbEUlT_E_NS1_11comp_targetILNS1_3genE10ELNS1_11target_archE1201ELNS1_3gpuE5ELNS1_3repE0EEENS1_30default_config_static_selectorELNS0_4arch9wavefront6targetE0EEEvT1_.kd
    .uniform_work_group_size: 1
    .uses_dynamic_stack: false
    .vgpr_count:     0
    .vgpr_spill_count: 0
    .wavefront_size: 32
  - .args:
      - .offset:         0
        .size:           64
        .value_kind:     by_value
    .group_segment_fixed_size: 0
    .kernarg_segment_align: 8
    .kernarg_segment_size: 64
    .language:       OpenCL C
    .language_version:
      - 2
      - 0
    .max_flat_workgroup_size: 256
    .name:           _ZN7rocprim17ROCPRIM_400000_NS6detail17trampoline_kernelINS0_14default_configENS1_35adjacent_difference_config_selectorILb1ElEEZNS1_24adjacent_difference_implIS3_Lb1ELb0EPlS7_ZN2at6native12_GLOBAL__N_124unique_dim_cuda_templateIN3c104HalfEEESt5tupleIJNS8_6TensorESF_SF_EERKSF_lbbbEUlllE1_EE10hipError_tPvRmT2_T3_mT4_P12ihipStream_tbEUlT_E_NS1_11comp_targetILNS1_3genE5ELNS1_11target_archE942ELNS1_3gpuE9ELNS1_3repE0EEENS1_30default_config_static_selectorELNS0_4arch9wavefront6targetE0EEEvT1_
    .private_segment_fixed_size: 0
    .sgpr_count:     0
    .sgpr_spill_count: 0
    .symbol:         _ZN7rocprim17ROCPRIM_400000_NS6detail17trampoline_kernelINS0_14default_configENS1_35adjacent_difference_config_selectorILb1ElEEZNS1_24adjacent_difference_implIS3_Lb1ELb0EPlS7_ZN2at6native12_GLOBAL__N_124unique_dim_cuda_templateIN3c104HalfEEESt5tupleIJNS8_6TensorESF_SF_EERKSF_lbbbEUlllE1_EE10hipError_tPvRmT2_T3_mT4_P12ihipStream_tbEUlT_E_NS1_11comp_targetILNS1_3genE5ELNS1_11target_archE942ELNS1_3gpuE9ELNS1_3repE0EEENS1_30default_config_static_selectorELNS0_4arch9wavefront6targetE0EEEvT1_.kd
    .uniform_work_group_size: 1
    .uses_dynamic_stack: false
    .vgpr_count:     0
    .vgpr_spill_count: 0
    .wavefront_size: 32
  - .args:
      - .offset:         0
        .size:           64
        .value_kind:     by_value
    .group_segment_fixed_size: 0
    .kernarg_segment_align: 8
    .kernarg_segment_size: 64
    .language:       OpenCL C
    .language_version:
      - 2
      - 0
    .max_flat_workgroup_size: 512
    .name:           _ZN7rocprim17ROCPRIM_400000_NS6detail17trampoline_kernelINS0_14default_configENS1_35adjacent_difference_config_selectorILb1ElEEZNS1_24adjacent_difference_implIS3_Lb1ELb0EPlS7_ZN2at6native12_GLOBAL__N_124unique_dim_cuda_templateIN3c104HalfEEESt5tupleIJNS8_6TensorESF_SF_EERKSF_lbbbEUlllE1_EE10hipError_tPvRmT2_T3_mT4_P12ihipStream_tbEUlT_E_NS1_11comp_targetILNS1_3genE4ELNS1_11target_archE910ELNS1_3gpuE8ELNS1_3repE0EEENS1_30default_config_static_selectorELNS0_4arch9wavefront6targetE0EEEvT1_
    .private_segment_fixed_size: 0
    .sgpr_count:     0
    .sgpr_spill_count: 0
    .symbol:         _ZN7rocprim17ROCPRIM_400000_NS6detail17trampoline_kernelINS0_14default_configENS1_35adjacent_difference_config_selectorILb1ElEEZNS1_24adjacent_difference_implIS3_Lb1ELb0EPlS7_ZN2at6native12_GLOBAL__N_124unique_dim_cuda_templateIN3c104HalfEEESt5tupleIJNS8_6TensorESF_SF_EERKSF_lbbbEUlllE1_EE10hipError_tPvRmT2_T3_mT4_P12ihipStream_tbEUlT_E_NS1_11comp_targetILNS1_3genE4ELNS1_11target_archE910ELNS1_3gpuE8ELNS1_3repE0EEENS1_30default_config_static_selectorELNS0_4arch9wavefront6targetE0EEEvT1_.kd
    .uniform_work_group_size: 1
    .uses_dynamic_stack: false
    .vgpr_count:     0
    .vgpr_spill_count: 0
    .wavefront_size: 32
  - .args:
      - .offset:         0
        .size:           64
        .value_kind:     by_value
    .group_segment_fixed_size: 0
    .kernarg_segment_align: 8
    .kernarg_segment_size: 64
    .language:       OpenCL C
    .language_version:
      - 2
      - 0
    .max_flat_workgroup_size: 512
    .name:           _ZN7rocprim17ROCPRIM_400000_NS6detail17trampoline_kernelINS0_14default_configENS1_35adjacent_difference_config_selectorILb1ElEEZNS1_24adjacent_difference_implIS3_Lb1ELb0EPlS7_ZN2at6native12_GLOBAL__N_124unique_dim_cuda_templateIN3c104HalfEEESt5tupleIJNS8_6TensorESF_SF_EERKSF_lbbbEUlllE1_EE10hipError_tPvRmT2_T3_mT4_P12ihipStream_tbEUlT_E_NS1_11comp_targetILNS1_3genE3ELNS1_11target_archE908ELNS1_3gpuE7ELNS1_3repE0EEENS1_30default_config_static_selectorELNS0_4arch9wavefront6targetE0EEEvT1_
    .private_segment_fixed_size: 0
    .sgpr_count:     0
    .sgpr_spill_count: 0
    .symbol:         _ZN7rocprim17ROCPRIM_400000_NS6detail17trampoline_kernelINS0_14default_configENS1_35adjacent_difference_config_selectorILb1ElEEZNS1_24adjacent_difference_implIS3_Lb1ELb0EPlS7_ZN2at6native12_GLOBAL__N_124unique_dim_cuda_templateIN3c104HalfEEESt5tupleIJNS8_6TensorESF_SF_EERKSF_lbbbEUlllE1_EE10hipError_tPvRmT2_T3_mT4_P12ihipStream_tbEUlT_E_NS1_11comp_targetILNS1_3genE3ELNS1_11target_archE908ELNS1_3gpuE7ELNS1_3repE0EEENS1_30default_config_static_selectorELNS0_4arch9wavefront6targetE0EEEvT1_.kd
    .uniform_work_group_size: 1
    .uses_dynamic_stack: false
    .vgpr_count:     0
    .vgpr_spill_count: 0
    .wavefront_size: 32
  - .args:
      - .offset:         0
        .size:           64
        .value_kind:     by_value
    .group_segment_fixed_size: 0
    .kernarg_segment_align: 8
    .kernarg_segment_size: 64
    .language:       OpenCL C
    .language_version:
      - 2
      - 0
    .max_flat_workgroup_size: 128
    .name:           _ZN7rocprim17ROCPRIM_400000_NS6detail17trampoline_kernelINS0_14default_configENS1_35adjacent_difference_config_selectorILb1ElEEZNS1_24adjacent_difference_implIS3_Lb1ELb0EPlS7_ZN2at6native12_GLOBAL__N_124unique_dim_cuda_templateIN3c104HalfEEESt5tupleIJNS8_6TensorESF_SF_EERKSF_lbbbEUlllE1_EE10hipError_tPvRmT2_T3_mT4_P12ihipStream_tbEUlT_E_NS1_11comp_targetILNS1_3genE2ELNS1_11target_archE906ELNS1_3gpuE6ELNS1_3repE0EEENS1_30default_config_static_selectorELNS0_4arch9wavefront6targetE0EEEvT1_
    .private_segment_fixed_size: 0
    .sgpr_count:     0
    .sgpr_spill_count: 0
    .symbol:         _ZN7rocprim17ROCPRIM_400000_NS6detail17trampoline_kernelINS0_14default_configENS1_35adjacent_difference_config_selectorILb1ElEEZNS1_24adjacent_difference_implIS3_Lb1ELb0EPlS7_ZN2at6native12_GLOBAL__N_124unique_dim_cuda_templateIN3c104HalfEEESt5tupleIJNS8_6TensorESF_SF_EERKSF_lbbbEUlllE1_EE10hipError_tPvRmT2_T3_mT4_P12ihipStream_tbEUlT_E_NS1_11comp_targetILNS1_3genE2ELNS1_11target_archE906ELNS1_3gpuE6ELNS1_3repE0EEENS1_30default_config_static_selectorELNS0_4arch9wavefront6targetE0EEEvT1_.kd
    .uniform_work_group_size: 1
    .uses_dynamic_stack: false
    .vgpr_count:     0
    .vgpr_spill_count: 0
    .wavefront_size: 32
  - .args:
      - .offset:         0
        .size:           64
        .value_kind:     by_value
    .group_segment_fixed_size: 0
    .kernarg_segment_align: 8
    .kernarg_segment_size: 64
    .language:       OpenCL C
    .language_version:
      - 2
      - 0
    .max_flat_workgroup_size: 128
    .name:           _ZN7rocprim17ROCPRIM_400000_NS6detail17trampoline_kernelINS0_14default_configENS1_35adjacent_difference_config_selectorILb1ElEEZNS1_24adjacent_difference_implIS3_Lb1ELb0EPlS7_ZN2at6native12_GLOBAL__N_124unique_dim_cuda_templateIN3c104HalfEEESt5tupleIJNS8_6TensorESF_SF_EERKSF_lbbbEUlllE1_EE10hipError_tPvRmT2_T3_mT4_P12ihipStream_tbEUlT_E_NS1_11comp_targetILNS1_3genE9ELNS1_11target_archE1100ELNS1_3gpuE3ELNS1_3repE0EEENS1_30default_config_static_selectorELNS0_4arch9wavefront6targetE0EEEvT1_
    .private_segment_fixed_size: 0
    .sgpr_count:     0
    .sgpr_spill_count: 0
    .symbol:         _ZN7rocprim17ROCPRIM_400000_NS6detail17trampoline_kernelINS0_14default_configENS1_35adjacent_difference_config_selectorILb1ElEEZNS1_24adjacent_difference_implIS3_Lb1ELb0EPlS7_ZN2at6native12_GLOBAL__N_124unique_dim_cuda_templateIN3c104HalfEEESt5tupleIJNS8_6TensorESF_SF_EERKSF_lbbbEUlllE1_EE10hipError_tPvRmT2_T3_mT4_P12ihipStream_tbEUlT_E_NS1_11comp_targetILNS1_3genE9ELNS1_11target_archE1100ELNS1_3gpuE3ELNS1_3repE0EEENS1_30default_config_static_selectorELNS0_4arch9wavefront6targetE0EEEvT1_.kd
    .uniform_work_group_size: 1
    .uses_dynamic_stack: false
    .vgpr_count:     0
    .vgpr_spill_count: 0
    .wavefront_size: 32
  - .args:
      - .offset:         0
        .size:           64
        .value_kind:     by_value
    .group_segment_fixed_size: 0
    .kernarg_segment_align: 8
    .kernarg_segment_size: 64
    .language:       OpenCL C
    .language_version:
      - 2
      - 0
    .max_flat_workgroup_size: 32
    .name:           _ZN7rocprim17ROCPRIM_400000_NS6detail17trampoline_kernelINS0_14default_configENS1_35adjacent_difference_config_selectorILb1ElEEZNS1_24adjacent_difference_implIS3_Lb1ELb0EPlS7_ZN2at6native12_GLOBAL__N_124unique_dim_cuda_templateIN3c104HalfEEESt5tupleIJNS8_6TensorESF_SF_EERKSF_lbbbEUlllE1_EE10hipError_tPvRmT2_T3_mT4_P12ihipStream_tbEUlT_E_NS1_11comp_targetILNS1_3genE8ELNS1_11target_archE1030ELNS1_3gpuE2ELNS1_3repE0EEENS1_30default_config_static_selectorELNS0_4arch9wavefront6targetE0EEEvT1_
    .private_segment_fixed_size: 0
    .sgpr_count:     0
    .sgpr_spill_count: 0
    .symbol:         _ZN7rocprim17ROCPRIM_400000_NS6detail17trampoline_kernelINS0_14default_configENS1_35adjacent_difference_config_selectorILb1ElEEZNS1_24adjacent_difference_implIS3_Lb1ELb0EPlS7_ZN2at6native12_GLOBAL__N_124unique_dim_cuda_templateIN3c104HalfEEESt5tupleIJNS8_6TensorESF_SF_EERKSF_lbbbEUlllE1_EE10hipError_tPvRmT2_T3_mT4_P12ihipStream_tbEUlT_E_NS1_11comp_targetILNS1_3genE8ELNS1_11target_archE1030ELNS1_3gpuE2ELNS1_3repE0EEENS1_30default_config_static_selectorELNS0_4arch9wavefront6targetE0EEEvT1_.kd
    .uniform_work_group_size: 1
    .uses_dynamic_stack: false
    .vgpr_count:     0
    .vgpr_spill_count: 0
    .wavefront_size: 32
  - .args:
      - .offset:         0
        .size:           120
        .value_kind:     by_value
    .group_segment_fixed_size: 28680
    .kernarg_segment_align: 8
    .kernarg_segment_size: 120
    .language:       OpenCL C
    .language_version:
      - 2
      - 0
    .max_flat_workgroup_size: 512
    .name:           _ZN7rocprim17ROCPRIM_400000_NS6detail17trampoline_kernelINS0_14default_configENS1_25partition_config_selectorILNS1_17partition_subalgoE8ElNS0_10empty_typeEbEEZZNS1_14partition_implILS5_8ELb0ES3_jPlPS6_PKS6_NS0_5tupleIJS9_S6_EEENSD_IJSA_SA_EEENS0_18inequality_wrapperIZN2at6native12_GLOBAL__N_124unique_dim_cuda_templateIN3c104HalfEEESt5tupleIJNSH_6TensorESO_SO_EERKSO_lbbbEUlllE0_EEPmJS6_EEE10hipError_tPvRmT3_T4_T5_T6_T7_T9_mT8_P12ihipStream_tbDpT10_ENKUlT_T0_E_clISt17integral_constantIbLb0EES1E_EEDaS19_S1A_EUlS19_E_NS1_11comp_targetILNS1_3genE0ELNS1_11target_archE4294967295ELNS1_3gpuE0ELNS1_3repE0EEENS1_30default_config_static_selectorELNS0_4arch9wavefront6targetE0EEEvT1_
    .private_segment_fixed_size: 0
    .sgpr_count:     38
    .sgpr_spill_count: 0
    .symbol:         _ZN7rocprim17ROCPRIM_400000_NS6detail17trampoline_kernelINS0_14default_configENS1_25partition_config_selectorILNS1_17partition_subalgoE8ElNS0_10empty_typeEbEEZZNS1_14partition_implILS5_8ELb0ES3_jPlPS6_PKS6_NS0_5tupleIJS9_S6_EEENSD_IJSA_SA_EEENS0_18inequality_wrapperIZN2at6native12_GLOBAL__N_124unique_dim_cuda_templateIN3c104HalfEEESt5tupleIJNSH_6TensorESO_SO_EERKSO_lbbbEUlllE0_EEPmJS6_EEE10hipError_tPvRmT3_T4_T5_T6_T7_T9_mT8_P12ihipStream_tbDpT10_ENKUlT_T0_E_clISt17integral_constantIbLb0EES1E_EEDaS19_S1A_EUlS19_E_NS1_11comp_targetILNS1_3genE0ELNS1_11target_archE4294967295ELNS1_3gpuE0ELNS1_3repE0EEENS1_30default_config_static_selectorELNS0_4arch9wavefront6targetE0EEEvT1_.kd
    .uniform_work_group_size: 1
    .uses_dynamic_stack: false
    .vgpr_count:     54
    .vgpr_spill_count: 0
    .wavefront_size: 32
  - .args:
      - .offset:         0
        .size:           120
        .value_kind:     by_value
    .group_segment_fixed_size: 0
    .kernarg_segment_align: 8
    .kernarg_segment_size: 120
    .language:       OpenCL C
    .language_version:
      - 2
      - 0
    .max_flat_workgroup_size: 512
    .name:           _ZN7rocprim17ROCPRIM_400000_NS6detail17trampoline_kernelINS0_14default_configENS1_25partition_config_selectorILNS1_17partition_subalgoE8ElNS0_10empty_typeEbEEZZNS1_14partition_implILS5_8ELb0ES3_jPlPS6_PKS6_NS0_5tupleIJS9_S6_EEENSD_IJSA_SA_EEENS0_18inequality_wrapperIZN2at6native12_GLOBAL__N_124unique_dim_cuda_templateIN3c104HalfEEESt5tupleIJNSH_6TensorESO_SO_EERKSO_lbbbEUlllE0_EEPmJS6_EEE10hipError_tPvRmT3_T4_T5_T6_T7_T9_mT8_P12ihipStream_tbDpT10_ENKUlT_T0_E_clISt17integral_constantIbLb0EES1E_EEDaS19_S1A_EUlS19_E_NS1_11comp_targetILNS1_3genE5ELNS1_11target_archE942ELNS1_3gpuE9ELNS1_3repE0EEENS1_30default_config_static_selectorELNS0_4arch9wavefront6targetE0EEEvT1_
    .private_segment_fixed_size: 0
    .sgpr_count:     0
    .sgpr_spill_count: 0
    .symbol:         _ZN7rocprim17ROCPRIM_400000_NS6detail17trampoline_kernelINS0_14default_configENS1_25partition_config_selectorILNS1_17partition_subalgoE8ElNS0_10empty_typeEbEEZZNS1_14partition_implILS5_8ELb0ES3_jPlPS6_PKS6_NS0_5tupleIJS9_S6_EEENSD_IJSA_SA_EEENS0_18inequality_wrapperIZN2at6native12_GLOBAL__N_124unique_dim_cuda_templateIN3c104HalfEEESt5tupleIJNSH_6TensorESO_SO_EERKSO_lbbbEUlllE0_EEPmJS6_EEE10hipError_tPvRmT3_T4_T5_T6_T7_T9_mT8_P12ihipStream_tbDpT10_ENKUlT_T0_E_clISt17integral_constantIbLb0EES1E_EEDaS19_S1A_EUlS19_E_NS1_11comp_targetILNS1_3genE5ELNS1_11target_archE942ELNS1_3gpuE9ELNS1_3repE0EEENS1_30default_config_static_selectorELNS0_4arch9wavefront6targetE0EEEvT1_.kd
    .uniform_work_group_size: 1
    .uses_dynamic_stack: false
    .vgpr_count:     0
    .vgpr_spill_count: 0
    .wavefront_size: 32
  - .args:
      - .offset:         0
        .size:           120
        .value_kind:     by_value
    .group_segment_fixed_size: 0
    .kernarg_segment_align: 8
    .kernarg_segment_size: 120
    .language:       OpenCL C
    .language_version:
      - 2
      - 0
    .max_flat_workgroup_size: 256
    .name:           _ZN7rocprim17ROCPRIM_400000_NS6detail17trampoline_kernelINS0_14default_configENS1_25partition_config_selectorILNS1_17partition_subalgoE8ElNS0_10empty_typeEbEEZZNS1_14partition_implILS5_8ELb0ES3_jPlPS6_PKS6_NS0_5tupleIJS9_S6_EEENSD_IJSA_SA_EEENS0_18inequality_wrapperIZN2at6native12_GLOBAL__N_124unique_dim_cuda_templateIN3c104HalfEEESt5tupleIJNSH_6TensorESO_SO_EERKSO_lbbbEUlllE0_EEPmJS6_EEE10hipError_tPvRmT3_T4_T5_T6_T7_T9_mT8_P12ihipStream_tbDpT10_ENKUlT_T0_E_clISt17integral_constantIbLb0EES1E_EEDaS19_S1A_EUlS19_E_NS1_11comp_targetILNS1_3genE4ELNS1_11target_archE910ELNS1_3gpuE8ELNS1_3repE0EEENS1_30default_config_static_selectorELNS0_4arch9wavefront6targetE0EEEvT1_
    .private_segment_fixed_size: 0
    .sgpr_count:     0
    .sgpr_spill_count: 0
    .symbol:         _ZN7rocprim17ROCPRIM_400000_NS6detail17trampoline_kernelINS0_14default_configENS1_25partition_config_selectorILNS1_17partition_subalgoE8ElNS0_10empty_typeEbEEZZNS1_14partition_implILS5_8ELb0ES3_jPlPS6_PKS6_NS0_5tupleIJS9_S6_EEENSD_IJSA_SA_EEENS0_18inequality_wrapperIZN2at6native12_GLOBAL__N_124unique_dim_cuda_templateIN3c104HalfEEESt5tupleIJNSH_6TensorESO_SO_EERKSO_lbbbEUlllE0_EEPmJS6_EEE10hipError_tPvRmT3_T4_T5_T6_T7_T9_mT8_P12ihipStream_tbDpT10_ENKUlT_T0_E_clISt17integral_constantIbLb0EES1E_EEDaS19_S1A_EUlS19_E_NS1_11comp_targetILNS1_3genE4ELNS1_11target_archE910ELNS1_3gpuE8ELNS1_3repE0EEENS1_30default_config_static_selectorELNS0_4arch9wavefront6targetE0EEEvT1_.kd
    .uniform_work_group_size: 1
    .uses_dynamic_stack: false
    .vgpr_count:     0
    .vgpr_spill_count: 0
    .wavefront_size: 32
  - .args:
      - .offset:         0
        .size:           120
        .value_kind:     by_value
    .group_segment_fixed_size: 0
    .kernarg_segment_align: 8
    .kernarg_segment_size: 120
    .language:       OpenCL C
    .language_version:
      - 2
      - 0
    .max_flat_workgroup_size: 512
    .name:           _ZN7rocprim17ROCPRIM_400000_NS6detail17trampoline_kernelINS0_14default_configENS1_25partition_config_selectorILNS1_17partition_subalgoE8ElNS0_10empty_typeEbEEZZNS1_14partition_implILS5_8ELb0ES3_jPlPS6_PKS6_NS0_5tupleIJS9_S6_EEENSD_IJSA_SA_EEENS0_18inequality_wrapperIZN2at6native12_GLOBAL__N_124unique_dim_cuda_templateIN3c104HalfEEESt5tupleIJNSH_6TensorESO_SO_EERKSO_lbbbEUlllE0_EEPmJS6_EEE10hipError_tPvRmT3_T4_T5_T6_T7_T9_mT8_P12ihipStream_tbDpT10_ENKUlT_T0_E_clISt17integral_constantIbLb0EES1E_EEDaS19_S1A_EUlS19_E_NS1_11comp_targetILNS1_3genE3ELNS1_11target_archE908ELNS1_3gpuE7ELNS1_3repE0EEENS1_30default_config_static_selectorELNS0_4arch9wavefront6targetE0EEEvT1_
    .private_segment_fixed_size: 0
    .sgpr_count:     0
    .sgpr_spill_count: 0
    .symbol:         _ZN7rocprim17ROCPRIM_400000_NS6detail17trampoline_kernelINS0_14default_configENS1_25partition_config_selectorILNS1_17partition_subalgoE8ElNS0_10empty_typeEbEEZZNS1_14partition_implILS5_8ELb0ES3_jPlPS6_PKS6_NS0_5tupleIJS9_S6_EEENSD_IJSA_SA_EEENS0_18inequality_wrapperIZN2at6native12_GLOBAL__N_124unique_dim_cuda_templateIN3c104HalfEEESt5tupleIJNSH_6TensorESO_SO_EERKSO_lbbbEUlllE0_EEPmJS6_EEE10hipError_tPvRmT3_T4_T5_T6_T7_T9_mT8_P12ihipStream_tbDpT10_ENKUlT_T0_E_clISt17integral_constantIbLb0EES1E_EEDaS19_S1A_EUlS19_E_NS1_11comp_targetILNS1_3genE3ELNS1_11target_archE908ELNS1_3gpuE7ELNS1_3repE0EEENS1_30default_config_static_selectorELNS0_4arch9wavefront6targetE0EEEvT1_.kd
    .uniform_work_group_size: 1
    .uses_dynamic_stack: false
    .vgpr_count:     0
    .vgpr_spill_count: 0
    .wavefront_size: 32
  - .args:
      - .offset:         0
        .size:           120
        .value_kind:     by_value
    .group_segment_fixed_size: 0
    .kernarg_segment_align: 8
    .kernarg_segment_size: 120
    .language:       OpenCL C
    .language_version:
      - 2
      - 0
    .max_flat_workgroup_size: 256
    .name:           _ZN7rocprim17ROCPRIM_400000_NS6detail17trampoline_kernelINS0_14default_configENS1_25partition_config_selectorILNS1_17partition_subalgoE8ElNS0_10empty_typeEbEEZZNS1_14partition_implILS5_8ELb0ES3_jPlPS6_PKS6_NS0_5tupleIJS9_S6_EEENSD_IJSA_SA_EEENS0_18inequality_wrapperIZN2at6native12_GLOBAL__N_124unique_dim_cuda_templateIN3c104HalfEEESt5tupleIJNSH_6TensorESO_SO_EERKSO_lbbbEUlllE0_EEPmJS6_EEE10hipError_tPvRmT3_T4_T5_T6_T7_T9_mT8_P12ihipStream_tbDpT10_ENKUlT_T0_E_clISt17integral_constantIbLb0EES1E_EEDaS19_S1A_EUlS19_E_NS1_11comp_targetILNS1_3genE2ELNS1_11target_archE906ELNS1_3gpuE6ELNS1_3repE0EEENS1_30default_config_static_selectorELNS0_4arch9wavefront6targetE0EEEvT1_
    .private_segment_fixed_size: 0
    .sgpr_count:     0
    .sgpr_spill_count: 0
    .symbol:         _ZN7rocprim17ROCPRIM_400000_NS6detail17trampoline_kernelINS0_14default_configENS1_25partition_config_selectorILNS1_17partition_subalgoE8ElNS0_10empty_typeEbEEZZNS1_14partition_implILS5_8ELb0ES3_jPlPS6_PKS6_NS0_5tupleIJS9_S6_EEENSD_IJSA_SA_EEENS0_18inequality_wrapperIZN2at6native12_GLOBAL__N_124unique_dim_cuda_templateIN3c104HalfEEESt5tupleIJNSH_6TensorESO_SO_EERKSO_lbbbEUlllE0_EEPmJS6_EEE10hipError_tPvRmT3_T4_T5_T6_T7_T9_mT8_P12ihipStream_tbDpT10_ENKUlT_T0_E_clISt17integral_constantIbLb0EES1E_EEDaS19_S1A_EUlS19_E_NS1_11comp_targetILNS1_3genE2ELNS1_11target_archE906ELNS1_3gpuE6ELNS1_3repE0EEENS1_30default_config_static_selectorELNS0_4arch9wavefront6targetE0EEEvT1_.kd
    .uniform_work_group_size: 1
    .uses_dynamic_stack: false
    .vgpr_count:     0
    .vgpr_spill_count: 0
    .wavefront_size: 32
  - .args:
      - .offset:         0
        .size:           120
        .value_kind:     by_value
    .group_segment_fixed_size: 0
    .kernarg_segment_align: 8
    .kernarg_segment_size: 120
    .language:       OpenCL C
    .language_version:
      - 2
      - 0
    .max_flat_workgroup_size: 384
    .name:           _ZN7rocprim17ROCPRIM_400000_NS6detail17trampoline_kernelINS0_14default_configENS1_25partition_config_selectorILNS1_17partition_subalgoE8ElNS0_10empty_typeEbEEZZNS1_14partition_implILS5_8ELb0ES3_jPlPS6_PKS6_NS0_5tupleIJS9_S6_EEENSD_IJSA_SA_EEENS0_18inequality_wrapperIZN2at6native12_GLOBAL__N_124unique_dim_cuda_templateIN3c104HalfEEESt5tupleIJNSH_6TensorESO_SO_EERKSO_lbbbEUlllE0_EEPmJS6_EEE10hipError_tPvRmT3_T4_T5_T6_T7_T9_mT8_P12ihipStream_tbDpT10_ENKUlT_T0_E_clISt17integral_constantIbLb0EES1E_EEDaS19_S1A_EUlS19_E_NS1_11comp_targetILNS1_3genE10ELNS1_11target_archE1200ELNS1_3gpuE4ELNS1_3repE0EEENS1_30default_config_static_selectorELNS0_4arch9wavefront6targetE0EEEvT1_
    .private_segment_fixed_size: 0
    .sgpr_count:     0
    .sgpr_spill_count: 0
    .symbol:         _ZN7rocprim17ROCPRIM_400000_NS6detail17trampoline_kernelINS0_14default_configENS1_25partition_config_selectorILNS1_17partition_subalgoE8ElNS0_10empty_typeEbEEZZNS1_14partition_implILS5_8ELb0ES3_jPlPS6_PKS6_NS0_5tupleIJS9_S6_EEENSD_IJSA_SA_EEENS0_18inequality_wrapperIZN2at6native12_GLOBAL__N_124unique_dim_cuda_templateIN3c104HalfEEESt5tupleIJNSH_6TensorESO_SO_EERKSO_lbbbEUlllE0_EEPmJS6_EEE10hipError_tPvRmT3_T4_T5_T6_T7_T9_mT8_P12ihipStream_tbDpT10_ENKUlT_T0_E_clISt17integral_constantIbLb0EES1E_EEDaS19_S1A_EUlS19_E_NS1_11comp_targetILNS1_3genE10ELNS1_11target_archE1200ELNS1_3gpuE4ELNS1_3repE0EEENS1_30default_config_static_selectorELNS0_4arch9wavefront6targetE0EEEvT1_.kd
    .uniform_work_group_size: 1
    .uses_dynamic_stack: false
    .vgpr_count:     0
    .vgpr_spill_count: 0
    .wavefront_size: 32
  - .args:
      - .offset:         0
        .size:           120
        .value_kind:     by_value
    .group_segment_fixed_size: 0
    .kernarg_segment_align: 8
    .kernarg_segment_size: 120
    .language:       OpenCL C
    .language_version:
      - 2
      - 0
    .max_flat_workgroup_size: 512
    .name:           _ZN7rocprim17ROCPRIM_400000_NS6detail17trampoline_kernelINS0_14default_configENS1_25partition_config_selectorILNS1_17partition_subalgoE8ElNS0_10empty_typeEbEEZZNS1_14partition_implILS5_8ELb0ES3_jPlPS6_PKS6_NS0_5tupleIJS9_S6_EEENSD_IJSA_SA_EEENS0_18inequality_wrapperIZN2at6native12_GLOBAL__N_124unique_dim_cuda_templateIN3c104HalfEEESt5tupleIJNSH_6TensorESO_SO_EERKSO_lbbbEUlllE0_EEPmJS6_EEE10hipError_tPvRmT3_T4_T5_T6_T7_T9_mT8_P12ihipStream_tbDpT10_ENKUlT_T0_E_clISt17integral_constantIbLb0EES1E_EEDaS19_S1A_EUlS19_E_NS1_11comp_targetILNS1_3genE9ELNS1_11target_archE1100ELNS1_3gpuE3ELNS1_3repE0EEENS1_30default_config_static_selectorELNS0_4arch9wavefront6targetE0EEEvT1_
    .private_segment_fixed_size: 0
    .sgpr_count:     0
    .sgpr_spill_count: 0
    .symbol:         _ZN7rocprim17ROCPRIM_400000_NS6detail17trampoline_kernelINS0_14default_configENS1_25partition_config_selectorILNS1_17partition_subalgoE8ElNS0_10empty_typeEbEEZZNS1_14partition_implILS5_8ELb0ES3_jPlPS6_PKS6_NS0_5tupleIJS9_S6_EEENSD_IJSA_SA_EEENS0_18inequality_wrapperIZN2at6native12_GLOBAL__N_124unique_dim_cuda_templateIN3c104HalfEEESt5tupleIJNSH_6TensorESO_SO_EERKSO_lbbbEUlllE0_EEPmJS6_EEE10hipError_tPvRmT3_T4_T5_T6_T7_T9_mT8_P12ihipStream_tbDpT10_ENKUlT_T0_E_clISt17integral_constantIbLb0EES1E_EEDaS19_S1A_EUlS19_E_NS1_11comp_targetILNS1_3genE9ELNS1_11target_archE1100ELNS1_3gpuE3ELNS1_3repE0EEENS1_30default_config_static_selectorELNS0_4arch9wavefront6targetE0EEEvT1_.kd
    .uniform_work_group_size: 1
    .uses_dynamic_stack: false
    .vgpr_count:     0
    .vgpr_spill_count: 0
    .wavefront_size: 32
  - .args:
      - .offset:         0
        .size:           120
        .value_kind:     by_value
    .group_segment_fixed_size: 0
    .kernarg_segment_align: 8
    .kernarg_segment_size: 120
    .language:       OpenCL C
    .language_version:
      - 2
      - 0
    .max_flat_workgroup_size: 512
    .name:           _ZN7rocprim17ROCPRIM_400000_NS6detail17trampoline_kernelINS0_14default_configENS1_25partition_config_selectorILNS1_17partition_subalgoE8ElNS0_10empty_typeEbEEZZNS1_14partition_implILS5_8ELb0ES3_jPlPS6_PKS6_NS0_5tupleIJS9_S6_EEENSD_IJSA_SA_EEENS0_18inequality_wrapperIZN2at6native12_GLOBAL__N_124unique_dim_cuda_templateIN3c104HalfEEESt5tupleIJNSH_6TensorESO_SO_EERKSO_lbbbEUlllE0_EEPmJS6_EEE10hipError_tPvRmT3_T4_T5_T6_T7_T9_mT8_P12ihipStream_tbDpT10_ENKUlT_T0_E_clISt17integral_constantIbLb0EES1E_EEDaS19_S1A_EUlS19_E_NS1_11comp_targetILNS1_3genE8ELNS1_11target_archE1030ELNS1_3gpuE2ELNS1_3repE0EEENS1_30default_config_static_selectorELNS0_4arch9wavefront6targetE0EEEvT1_
    .private_segment_fixed_size: 0
    .sgpr_count:     0
    .sgpr_spill_count: 0
    .symbol:         _ZN7rocprim17ROCPRIM_400000_NS6detail17trampoline_kernelINS0_14default_configENS1_25partition_config_selectorILNS1_17partition_subalgoE8ElNS0_10empty_typeEbEEZZNS1_14partition_implILS5_8ELb0ES3_jPlPS6_PKS6_NS0_5tupleIJS9_S6_EEENSD_IJSA_SA_EEENS0_18inequality_wrapperIZN2at6native12_GLOBAL__N_124unique_dim_cuda_templateIN3c104HalfEEESt5tupleIJNSH_6TensorESO_SO_EERKSO_lbbbEUlllE0_EEPmJS6_EEE10hipError_tPvRmT3_T4_T5_T6_T7_T9_mT8_P12ihipStream_tbDpT10_ENKUlT_T0_E_clISt17integral_constantIbLb0EES1E_EEDaS19_S1A_EUlS19_E_NS1_11comp_targetILNS1_3genE8ELNS1_11target_archE1030ELNS1_3gpuE2ELNS1_3repE0EEENS1_30default_config_static_selectorELNS0_4arch9wavefront6targetE0EEEvT1_.kd
    .uniform_work_group_size: 1
    .uses_dynamic_stack: false
    .vgpr_count:     0
    .vgpr_spill_count: 0
    .wavefront_size: 32
  - .args:
      - .offset:         0
        .size:           136
        .value_kind:     by_value
    .group_segment_fixed_size: 0
    .kernarg_segment_align: 8
    .kernarg_segment_size: 136
    .language:       OpenCL C
    .language_version:
      - 2
      - 0
    .max_flat_workgroup_size: 512
    .name:           _ZN7rocprim17ROCPRIM_400000_NS6detail17trampoline_kernelINS0_14default_configENS1_25partition_config_selectorILNS1_17partition_subalgoE8ElNS0_10empty_typeEbEEZZNS1_14partition_implILS5_8ELb0ES3_jPlPS6_PKS6_NS0_5tupleIJS9_S6_EEENSD_IJSA_SA_EEENS0_18inequality_wrapperIZN2at6native12_GLOBAL__N_124unique_dim_cuda_templateIN3c104HalfEEESt5tupleIJNSH_6TensorESO_SO_EERKSO_lbbbEUlllE0_EEPmJS6_EEE10hipError_tPvRmT3_T4_T5_T6_T7_T9_mT8_P12ihipStream_tbDpT10_ENKUlT_T0_E_clISt17integral_constantIbLb1EES1E_EEDaS19_S1A_EUlS19_E_NS1_11comp_targetILNS1_3genE0ELNS1_11target_archE4294967295ELNS1_3gpuE0ELNS1_3repE0EEENS1_30default_config_static_selectorELNS0_4arch9wavefront6targetE0EEEvT1_
    .private_segment_fixed_size: 0
    .sgpr_count:     0
    .sgpr_spill_count: 0
    .symbol:         _ZN7rocprim17ROCPRIM_400000_NS6detail17trampoline_kernelINS0_14default_configENS1_25partition_config_selectorILNS1_17partition_subalgoE8ElNS0_10empty_typeEbEEZZNS1_14partition_implILS5_8ELb0ES3_jPlPS6_PKS6_NS0_5tupleIJS9_S6_EEENSD_IJSA_SA_EEENS0_18inequality_wrapperIZN2at6native12_GLOBAL__N_124unique_dim_cuda_templateIN3c104HalfEEESt5tupleIJNSH_6TensorESO_SO_EERKSO_lbbbEUlllE0_EEPmJS6_EEE10hipError_tPvRmT3_T4_T5_T6_T7_T9_mT8_P12ihipStream_tbDpT10_ENKUlT_T0_E_clISt17integral_constantIbLb1EES1E_EEDaS19_S1A_EUlS19_E_NS1_11comp_targetILNS1_3genE0ELNS1_11target_archE4294967295ELNS1_3gpuE0ELNS1_3repE0EEENS1_30default_config_static_selectorELNS0_4arch9wavefront6targetE0EEEvT1_.kd
    .uniform_work_group_size: 1
    .uses_dynamic_stack: false
    .vgpr_count:     0
    .vgpr_spill_count: 0
    .wavefront_size: 32
  - .args:
      - .offset:         0
        .size:           136
        .value_kind:     by_value
    .group_segment_fixed_size: 0
    .kernarg_segment_align: 8
    .kernarg_segment_size: 136
    .language:       OpenCL C
    .language_version:
      - 2
      - 0
    .max_flat_workgroup_size: 512
    .name:           _ZN7rocprim17ROCPRIM_400000_NS6detail17trampoline_kernelINS0_14default_configENS1_25partition_config_selectorILNS1_17partition_subalgoE8ElNS0_10empty_typeEbEEZZNS1_14partition_implILS5_8ELb0ES3_jPlPS6_PKS6_NS0_5tupleIJS9_S6_EEENSD_IJSA_SA_EEENS0_18inequality_wrapperIZN2at6native12_GLOBAL__N_124unique_dim_cuda_templateIN3c104HalfEEESt5tupleIJNSH_6TensorESO_SO_EERKSO_lbbbEUlllE0_EEPmJS6_EEE10hipError_tPvRmT3_T4_T5_T6_T7_T9_mT8_P12ihipStream_tbDpT10_ENKUlT_T0_E_clISt17integral_constantIbLb1EES1E_EEDaS19_S1A_EUlS19_E_NS1_11comp_targetILNS1_3genE5ELNS1_11target_archE942ELNS1_3gpuE9ELNS1_3repE0EEENS1_30default_config_static_selectorELNS0_4arch9wavefront6targetE0EEEvT1_
    .private_segment_fixed_size: 0
    .sgpr_count:     0
    .sgpr_spill_count: 0
    .symbol:         _ZN7rocprim17ROCPRIM_400000_NS6detail17trampoline_kernelINS0_14default_configENS1_25partition_config_selectorILNS1_17partition_subalgoE8ElNS0_10empty_typeEbEEZZNS1_14partition_implILS5_8ELb0ES3_jPlPS6_PKS6_NS0_5tupleIJS9_S6_EEENSD_IJSA_SA_EEENS0_18inequality_wrapperIZN2at6native12_GLOBAL__N_124unique_dim_cuda_templateIN3c104HalfEEESt5tupleIJNSH_6TensorESO_SO_EERKSO_lbbbEUlllE0_EEPmJS6_EEE10hipError_tPvRmT3_T4_T5_T6_T7_T9_mT8_P12ihipStream_tbDpT10_ENKUlT_T0_E_clISt17integral_constantIbLb1EES1E_EEDaS19_S1A_EUlS19_E_NS1_11comp_targetILNS1_3genE5ELNS1_11target_archE942ELNS1_3gpuE9ELNS1_3repE0EEENS1_30default_config_static_selectorELNS0_4arch9wavefront6targetE0EEEvT1_.kd
    .uniform_work_group_size: 1
    .uses_dynamic_stack: false
    .vgpr_count:     0
    .vgpr_spill_count: 0
    .wavefront_size: 32
  - .args:
      - .offset:         0
        .size:           136
        .value_kind:     by_value
    .group_segment_fixed_size: 0
    .kernarg_segment_align: 8
    .kernarg_segment_size: 136
    .language:       OpenCL C
    .language_version:
      - 2
      - 0
    .max_flat_workgroup_size: 256
    .name:           _ZN7rocprim17ROCPRIM_400000_NS6detail17trampoline_kernelINS0_14default_configENS1_25partition_config_selectorILNS1_17partition_subalgoE8ElNS0_10empty_typeEbEEZZNS1_14partition_implILS5_8ELb0ES3_jPlPS6_PKS6_NS0_5tupleIJS9_S6_EEENSD_IJSA_SA_EEENS0_18inequality_wrapperIZN2at6native12_GLOBAL__N_124unique_dim_cuda_templateIN3c104HalfEEESt5tupleIJNSH_6TensorESO_SO_EERKSO_lbbbEUlllE0_EEPmJS6_EEE10hipError_tPvRmT3_T4_T5_T6_T7_T9_mT8_P12ihipStream_tbDpT10_ENKUlT_T0_E_clISt17integral_constantIbLb1EES1E_EEDaS19_S1A_EUlS19_E_NS1_11comp_targetILNS1_3genE4ELNS1_11target_archE910ELNS1_3gpuE8ELNS1_3repE0EEENS1_30default_config_static_selectorELNS0_4arch9wavefront6targetE0EEEvT1_
    .private_segment_fixed_size: 0
    .sgpr_count:     0
    .sgpr_spill_count: 0
    .symbol:         _ZN7rocprim17ROCPRIM_400000_NS6detail17trampoline_kernelINS0_14default_configENS1_25partition_config_selectorILNS1_17partition_subalgoE8ElNS0_10empty_typeEbEEZZNS1_14partition_implILS5_8ELb0ES3_jPlPS6_PKS6_NS0_5tupleIJS9_S6_EEENSD_IJSA_SA_EEENS0_18inequality_wrapperIZN2at6native12_GLOBAL__N_124unique_dim_cuda_templateIN3c104HalfEEESt5tupleIJNSH_6TensorESO_SO_EERKSO_lbbbEUlllE0_EEPmJS6_EEE10hipError_tPvRmT3_T4_T5_T6_T7_T9_mT8_P12ihipStream_tbDpT10_ENKUlT_T0_E_clISt17integral_constantIbLb1EES1E_EEDaS19_S1A_EUlS19_E_NS1_11comp_targetILNS1_3genE4ELNS1_11target_archE910ELNS1_3gpuE8ELNS1_3repE0EEENS1_30default_config_static_selectorELNS0_4arch9wavefront6targetE0EEEvT1_.kd
    .uniform_work_group_size: 1
    .uses_dynamic_stack: false
    .vgpr_count:     0
    .vgpr_spill_count: 0
    .wavefront_size: 32
  - .args:
      - .offset:         0
        .size:           136
        .value_kind:     by_value
    .group_segment_fixed_size: 0
    .kernarg_segment_align: 8
    .kernarg_segment_size: 136
    .language:       OpenCL C
    .language_version:
      - 2
      - 0
    .max_flat_workgroup_size: 512
    .name:           _ZN7rocprim17ROCPRIM_400000_NS6detail17trampoline_kernelINS0_14default_configENS1_25partition_config_selectorILNS1_17partition_subalgoE8ElNS0_10empty_typeEbEEZZNS1_14partition_implILS5_8ELb0ES3_jPlPS6_PKS6_NS0_5tupleIJS9_S6_EEENSD_IJSA_SA_EEENS0_18inequality_wrapperIZN2at6native12_GLOBAL__N_124unique_dim_cuda_templateIN3c104HalfEEESt5tupleIJNSH_6TensorESO_SO_EERKSO_lbbbEUlllE0_EEPmJS6_EEE10hipError_tPvRmT3_T4_T5_T6_T7_T9_mT8_P12ihipStream_tbDpT10_ENKUlT_T0_E_clISt17integral_constantIbLb1EES1E_EEDaS19_S1A_EUlS19_E_NS1_11comp_targetILNS1_3genE3ELNS1_11target_archE908ELNS1_3gpuE7ELNS1_3repE0EEENS1_30default_config_static_selectorELNS0_4arch9wavefront6targetE0EEEvT1_
    .private_segment_fixed_size: 0
    .sgpr_count:     0
    .sgpr_spill_count: 0
    .symbol:         _ZN7rocprim17ROCPRIM_400000_NS6detail17trampoline_kernelINS0_14default_configENS1_25partition_config_selectorILNS1_17partition_subalgoE8ElNS0_10empty_typeEbEEZZNS1_14partition_implILS5_8ELb0ES3_jPlPS6_PKS6_NS0_5tupleIJS9_S6_EEENSD_IJSA_SA_EEENS0_18inequality_wrapperIZN2at6native12_GLOBAL__N_124unique_dim_cuda_templateIN3c104HalfEEESt5tupleIJNSH_6TensorESO_SO_EERKSO_lbbbEUlllE0_EEPmJS6_EEE10hipError_tPvRmT3_T4_T5_T6_T7_T9_mT8_P12ihipStream_tbDpT10_ENKUlT_T0_E_clISt17integral_constantIbLb1EES1E_EEDaS19_S1A_EUlS19_E_NS1_11comp_targetILNS1_3genE3ELNS1_11target_archE908ELNS1_3gpuE7ELNS1_3repE0EEENS1_30default_config_static_selectorELNS0_4arch9wavefront6targetE0EEEvT1_.kd
    .uniform_work_group_size: 1
    .uses_dynamic_stack: false
    .vgpr_count:     0
    .vgpr_spill_count: 0
    .wavefront_size: 32
  - .args:
      - .offset:         0
        .size:           136
        .value_kind:     by_value
    .group_segment_fixed_size: 0
    .kernarg_segment_align: 8
    .kernarg_segment_size: 136
    .language:       OpenCL C
    .language_version:
      - 2
      - 0
    .max_flat_workgroup_size: 256
    .name:           _ZN7rocprim17ROCPRIM_400000_NS6detail17trampoline_kernelINS0_14default_configENS1_25partition_config_selectorILNS1_17partition_subalgoE8ElNS0_10empty_typeEbEEZZNS1_14partition_implILS5_8ELb0ES3_jPlPS6_PKS6_NS0_5tupleIJS9_S6_EEENSD_IJSA_SA_EEENS0_18inequality_wrapperIZN2at6native12_GLOBAL__N_124unique_dim_cuda_templateIN3c104HalfEEESt5tupleIJNSH_6TensorESO_SO_EERKSO_lbbbEUlllE0_EEPmJS6_EEE10hipError_tPvRmT3_T4_T5_T6_T7_T9_mT8_P12ihipStream_tbDpT10_ENKUlT_T0_E_clISt17integral_constantIbLb1EES1E_EEDaS19_S1A_EUlS19_E_NS1_11comp_targetILNS1_3genE2ELNS1_11target_archE906ELNS1_3gpuE6ELNS1_3repE0EEENS1_30default_config_static_selectorELNS0_4arch9wavefront6targetE0EEEvT1_
    .private_segment_fixed_size: 0
    .sgpr_count:     0
    .sgpr_spill_count: 0
    .symbol:         _ZN7rocprim17ROCPRIM_400000_NS6detail17trampoline_kernelINS0_14default_configENS1_25partition_config_selectorILNS1_17partition_subalgoE8ElNS0_10empty_typeEbEEZZNS1_14partition_implILS5_8ELb0ES3_jPlPS6_PKS6_NS0_5tupleIJS9_S6_EEENSD_IJSA_SA_EEENS0_18inequality_wrapperIZN2at6native12_GLOBAL__N_124unique_dim_cuda_templateIN3c104HalfEEESt5tupleIJNSH_6TensorESO_SO_EERKSO_lbbbEUlllE0_EEPmJS6_EEE10hipError_tPvRmT3_T4_T5_T6_T7_T9_mT8_P12ihipStream_tbDpT10_ENKUlT_T0_E_clISt17integral_constantIbLb1EES1E_EEDaS19_S1A_EUlS19_E_NS1_11comp_targetILNS1_3genE2ELNS1_11target_archE906ELNS1_3gpuE6ELNS1_3repE0EEENS1_30default_config_static_selectorELNS0_4arch9wavefront6targetE0EEEvT1_.kd
    .uniform_work_group_size: 1
    .uses_dynamic_stack: false
    .vgpr_count:     0
    .vgpr_spill_count: 0
    .wavefront_size: 32
  - .args:
      - .offset:         0
        .size:           136
        .value_kind:     by_value
    .group_segment_fixed_size: 0
    .kernarg_segment_align: 8
    .kernarg_segment_size: 136
    .language:       OpenCL C
    .language_version:
      - 2
      - 0
    .max_flat_workgroup_size: 384
    .name:           _ZN7rocprim17ROCPRIM_400000_NS6detail17trampoline_kernelINS0_14default_configENS1_25partition_config_selectorILNS1_17partition_subalgoE8ElNS0_10empty_typeEbEEZZNS1_14partition_implILS5_8ELb0ES3_jPlPS6_PKS6_NS0_5tupleIJS9_S6_EEENSD_IJSA_SA_EEENS0_18inequality_wrapperIZN2at6native12_GLOBAL__N_124unique_dim_cuda_templateIN3c104HalfEEESt5tupleIJNSH_6TensorESO_SO_EERKSO_lbbbEUlllE0_EEPmJS6_EEE10hipError_tPvRmT3_T4_T5_T6_T7_T9_mT8_P12ihipStream_tbDpT10_ENKUlT_T0_E_clISt17integral_constantIbLb1EES1E_EEDaS19_S1A_EUlS19_E_NS1_11comp_targetILNS1_3genE10ELNS1_11target_archE1200ELNS1_3gpuE4ELNS1_3repE0EEENS1_30default_config_static_selectorELNS0_4arch9wavefront6targetE0EEEvT1_
    .private_segment_fixed_size: 0
    .sgpr_count:     0
    .sgpr_spill_count: 0
    .symbol:         _ZN7rocprim17ROCPRIM_400000_NS6detail17trampoline_kernelINS0_14default_configENS1_25partition_config_selectorILNS1_17partition_subalgoE8ElNS0_10empty_typeEbEEZZNS1_14partition_implILS5_8ELb0ES3_jPlPS6_PKS6_NS0_5tupleIJS9_S6_EEENSD_IJSA_SA_EEENS0_18inequality_wrapperIZN2at6native12_GLOBAL__N_124unique_dim_cuda_templateIN3c104HalfEEESt5tupleIJNSH_6TensorESO_SO_EERKSO_lbbbEUlllE0_EEPmJS6_EEE10hipError_tPvRmT3_T4_T5_T6_T7_T9_mT8_P12ihipStream_tbDpT10_ENKUlT_T0_E_clISt17integral_constantIbLb1EES1E_EEDaS19_S1A_EUlS19_E_NS1_11comp_targetILNS1_3genE10ELNS1_11target_archE1200ELNS1_3gpuE4ELNS1_3repE0EEENS1_30default_config_static_selectorELNS0_4arch9wavefront6targetE0EEEvT1_.kd
    .uniform_work_group_size: 1
    .uses_dynamic_stack: false
    .vgpr_count:     0
    .vgpr_spill_count: 0
    .wavefront_size: 32
  - .args:
      - .offset:         0
        .size:           136
        .value_kind:     by_value
    .group_segment_fixed_size: 0
    .kernarg_segment_align: 8
    .kernarg_segment_size: 136
    .language:       OpenCL C
    .language_version:
      - 2
      - 0
    .max_flat_workgroup_size: 512
    .name:           _ZN7rocprim17ROCPRIM_400000_NS6detail17trampoline_kernelINS0_14default_configENS1_25partition_config_selectorILNS1_17partition_subalgoE8ElNS0_10empty_typeEbEEZZNS1_14partition_implILS5_8ELb0ES3_jPlPS6_PKS6_NS0_5tupleIJS9_S6_EEENSD_IJSA_SA_EEENS0_18inequality_wrapperIZN2at6native12_GLOBAL__N_124unique_dim_cuda_templateIN3c104HalfEEESt5tupleIJNSH_6TensorESO_SO_EERKSO_lbbbEUlllE0_EEPmJS6_EEE10hipError_tPvRmT3_T4_T5_T6_T7_T9_mT8_P12ihipStream_tbDpT10_ENKUlT_T0_E_clISt17integral_constantIbLb1EES1E_EEDaS19_S1A_EUlS19_E_NS1_11comp_targetILNS1_3genE9ELNS1_11target_archE1100ELNS1_3gpuE3ELNS1_3repE0EEENS1_30default_config_static_selectorELNS0_4arch9wavefront6targetE0EEEvT1_
    .private_segment_fixed_size: 0
    .sgpr_count:     0
    .sgpr_spill_count: 0
    .symbol:         _ZN7rocprim17ROCPRIM_400000_NS6detail17trampoline_kernelINS0_14default_configENS1_25partition_config_selectorILNS1_17partition_subalgoE8ElNS0_10empty_typeEbEEZZNS1_14partition_implILS5_8ELb0ES3_jPlPS6_PKS6_NS0_5tupleIJS9_S6_EEENSD_IJSA_SA_EEENS0_18inequality_wrapperIZN2at6native12_GLOBAL__N_124unique_dim_cuda_templateIN3c104HalfEEESt5tupleIJNSH_6TensorESO_SO_EERKSO_lbbbEUlllE0_EEPmJS6_EEE10hipError_tPvRmT3_T4_T5_T6_T7_T9_mT8_P12ihipStream_tbDpT10_ENKUlT_T0_E_clISt17integral_constantIbLb1EES1E_EEDaS19_S1A_EUlS19_E_NS1_11comp_targetILNS1_3genE9ELNS1_11target_archE1100ELNS1_3gpuE3ELNS1_3repE0EEENS1_30default_config_static_selectorELNS0_4arch9wavefront6targetE0EEEvT1_.kd
    .uniform_work_group_size: 1
    .uses_dynamic_stack: false
    .vgpr_count:     0
    .vgpr_spill_count: 0
    .wavefront_size: 32
  - .args:
      - .offset:         0
        .size:           136
        .value_kind:     by_value
    .group_segment_fixed_size: 0
    .kernarg_segment_align: 8
    .kernarg_segment_size: 136
    .language:       OpenCL C
    .language_version:
      - 2
      - 0
    .max_flat_workgroup_size: 512
    .name:           _ZN7rocprim17ROCPRIM_400000_NS6detail17trampoline_kernelINS0_14default_configENS1_25partition_config_selectorILNS1_17partition_subalgoE8ElNS0_10empty_typeEbEEZZNS1_14partition_implILS5_8ELb0ES3_jPlPS6_PKS6_NS0_5tupleIJS9_S6_EEENSD_IJSA_SA_EEENS0_18inequality_wrapperIZN2at6native12_GLOBAL__N_124unique_dim_cuda_templateIN3c104HalfEEESt5tupleIJNSH_6TensorESO_SO_EERKSO_lbbbEUlllE0_EEPmJS6_EEE10hipError_tPvRmT3_T4_T5_T6_T7_T9_mT8_P12ihipStream_tbDpT10_ENKUlT_T0_E_clISt17integral_constantIbLb1EES1E_EEDaS19_S1A_EUlS19_E_NS1_11comp_targetILNS1_3genE8ELNS1_11target_archE1030ELNS1_3gpuE2ELNS1_3repE0EEENS1_30default_config_static_selectorELNS0_4arch9wavefront6targetE0EEEvT1_
    .private_segment_fixed_size: 0
    .sgpr_count:     0
    .sgpr_spill_count: 0
    .symbol:         _ZN7rocprim17ROCPRIM_400000_NS6detail17trampoline_kernelINS0_14default_configENS1_25partition_config_selectorILNS1_17partition_subalgoE8ElNS0_10empty_typeEbEEZZNS1_14partition_implILS5_8ELb0ES3_jPlPS6_PKS6_NS0_5tupleIJS9_S6_EEENSD_IJSA_SA_EEENS0_18inequality_wrapperIZN2at6native12_GLOBAL__N_124unique_dim_cuda_templateIN3c104HalfEEESt5tupleIJNSH_6TensorESO_SO_EERKSO_lbbbEUlllE0_EEPmJS6_EEE10hipError_tPvRmT3_T4_T5_T6_T7_T9_mT8_P12ihipStream_tbDpT10_ENKUlT_T0_E_clISt17integral_constantIbLb1EES1E_EEDaS19_S1A_EUlS19_E_NS1_11comp_targetILNS1_3genE8ELNS1_11target_archE1030ELNS1_3gpuE2ELNS1_3repE0EEENS1_30default_config_static_selectorELNS0_4arch9wavefront6targetE0EEEvT1_.kd
    .uniform_work_group_size: 1
    .uses_dynamic_stack: false
    .vgpr_count:     0
    .vgpr_spill_count: 0
    .wavefront_size: 32
  - .args:
      - .offset:         0
        .size:           120
        .value_kind:     by_value
    .group_segment_fixed_size: 0
    .kernarg_segment_align: 8
    .kernarg_segment_size: 120
    .language:       OpenCL C
    .language_version:
      - 2
      - 0
    .max_flat_workgroup_size: 512
    .name:           _ZN7rocprim17ROCPRIM_400000_NS6detail17trampoline_kernelINS0_14default_configENS1_25partition_config_selectorILNS1_17partition_subalgoE8ElNS0_10empty_typeEbEEZZNS1_14partition_implILS5_8ELb0ES3_jPlPS6_PKS6_NS0_5tupleIJS9_S6_EEENSD_IJSA_SA_EEENS0_18inequality_wrapperIZN2at6native12_GLOBAL__N_124unique_dim_cuda_templateIN3c104HalfEEESt5tupleIJNSH_6TensorESO_SO_EERKSO_lbbbEUlllE0_EEPmJS6_EEE10hipError_tPvRmT3_T4_T5_T6_T7_T9_mT8_P12ihipStream_tbDpT10_ENKUlT_T0_E_clISt17integral_constantIbLb1EES1D_IbLb0EEEEDaS19_S1A_EUlS19_E_NS1_11comp_targetILNS1_3genE0ELNS1_11target_archE4294967295ELNS1_3gpuE0ELNS1_3repE0EEENS1_30default_config_static_selectorELNS0_4arch9wavefront6targetE0EEEvT1_
    .private_segment_fixed_size: 0
    .sgpr_count:     0
    .sgpr_spill_count: 0
    .symbol:         _ZN7rocprim17ROCPRIM_400000_NS6detail17trampoline_kernelINS0_14default_configENS1_25partition_config_selectorILNS1_17partition_subalgoE8ElNS0_10empty_typeEbEEZZNS1_14partition_implILS5_8ELb0ES3_jPlPS6_PKS6_NS0_5tupleIJS9_S6_EEENSD_IJSA_SA_EEENS0_18inequality_wrapperIZN2at6native12_GLOBAL__N_124unique_dim_cuda_templateIN3c104HalfEEESt5tupleIJNSH_6TensorESO_SO_EERKSO_lbbbEUlllE0_EEPmJS6_EEE10hipError_tPvRmT3_T4_T5_T6_T7_T9_mT8_P12ihipStream_tbDpT10_ENKUlT_T0_E_clISt17integral_constantIbLb1EES1D_IbLb0EEEEDaS19_S1A_EUlS19_E_NS1_11comp_targetILNS1_3genE0ELNS1_11target_archE4294967295ELNS1_3gpuE0ELNS1_3repE0EEENS1_30default_config_static_selectorELNS0_4arch9wavefront6targetE0EEEvT1_.kd
    .uniform_work_group_size: 1
    .uses_dynamic_stack: false
    .vgpr_count:     0
    .vgpr_spill_count: 0
    .wavefront_size: 32
  - .args:
      - .offset:         0
        .size:           120
        .value_kind:     by_value
    .group_segment_fixed_size: 0
    .kernarg_segment_align: 8
    .kernarg_segment_size: 120
    .language:       OpenCL C
    .language_version:
      - 2
      - 0
    .max_flat_workgroup_size: 512
    .name:           _ZN7rocprim17ROCPRIM_400000_NS6detail17trampoline_kernelINS0_14default_configENS1_25partition_config_selectorILNS1_17partition_subalgoE8ElNS0_10empty_typeEbEEZZNS1_14partition_implILS5_8ELb0ES3_jPlPS6_PKS6_NS0_5tupleIJS9_S6_EEENSD_IJSA_SA_EEENS0_18inequality_wrapperIZN2at6native12_GLOBAL__N_124unique_dim_cuda_templateIN3c104HalfEEESt5tupleIJNSH_6TensorESO_SO_EERKSO_lbbbEUlllE0_EEPmJS6_EEE10hipError_tPvRmT3_T4_T5_T6_T7_T9_mT8_P12ihipStream_tbDpT10_ENKUlT_T0_E_clISt17integral_constantIbLb1EES1D_IbLb0EEEEDaS19_S1A_EUlS19_E_NS1_11comp_targetILNS1_3genE5ELNS1_11target_archE942ELNS1_3gpuE9ELNS1_3repE0EEENS1_30default_config_static_selectorELNS0_4arch9wavefront6targetE0EEEvT1_
    .private_segment_fixed_size: 0
    .sgpr_count:     0
    .sgpr_spill_count: 0
    .symbol:         _ZN7rocprim17ROCPRIM_400000_NS6detail17trampoline_kernelINS0_14default_configENS1_25partition_config_selectorILNS1_17partition_subalgoE8ElNS0_10empty_typeEbEEZZNS1_14partition_implILS5_8ELb0ES3_jPlPS6_PKS6_NS0_5tupleIJS9_S6_EEENSD_IJSA_SA_EEENS0_18inequality_wrapperIZN2at6native12_GLOBAL__N_124unique_dim_cuda_templateIN3c104HalfEEESt5tupleIJNSH_6TensorESO_SO_EERKSO_lbbbEUlllE0_EEPmJS6_EEE10hipError_tPvRmT3_T4_T5_T6_T7_T9_mT8_P12ihipStream_tbDpT10_ENKUlT_T0_E_clISt17integral_constantIbLb1EES1D_IbLb0EEEEDaS19_S1A_EUlS19_E_NS1_11comp_targetILNS1_3genE5ELNS1_11target_archE942ELNS1_3gpuE9ELNS1_3repE0EEENS1_30default_config_static_selectorELNS0_4arch9wavefront6targetE0EEEvT1_.kd
    .uniform_work_group_size: 1
    .uses_dynamic_stack: false
    .vgpr_count:     0
    .vgpr_spill_count: 0
    .wavefront_size: 32
  - .args:
      - .offset:         0
        .size:           120
        .value_kind:     by_value
    .group_segment_fixed_size: 0
    .kernarg_segment_align: 8
    .kernarg_segment_size: 120
    .language:       OpenCL C
    .language_version:
      - 2
      - 0
    .max_flat_workgroup_size: 256
    .name:           _ZN7rocprim17ROCPRIM_400000_NS6detail17trampoline_kernelINS0_14default_configENS1_25partition_config_selectorILNS1_17partition_subalgoE8ElNS0_10empty_typeEbEEZZNS1_14partition_implILS5_8ELb0ES3_jPlPS6_PKS6_NS0_5tupleIJS9_S6_EEENSD_IJSA_SA_EEENS0_18inequality_wrapperIZN2at6native12_GLOBAL__N_124unique_dim_cuda_templateIN3c104HalfEEESt5tupleIJNSH_6TensorESO_SO_EERKSO_lbbbEUlllE0_EEPmJS6_EEE10hipError_tPvRmT3_T4_T5_T6_T7_T9_mT8_P12ihipStream_tbDpT10_ENKUlT_T0_E_clISt17integral_constantIbLb1EES1D_IbLb0EEEEDaS19_S1A_EUlS19_E_NS1_11comp_targetILNS1_3genE4ELNS1_11target_archE910ELNS1_3gpuE8ELNS1_3repE0EEENS1_30default_config_static_selectorELNS0_4arch9wavefront6targetE0EEEvT1_
    .private_segment_fixed_size: 0
    .sgpr_count:     0
    .sgpr_spill_count: 0
    .symbol:         _ZN7rocprim17ROCPRIM_400000_NS6detail17trampoline_kernelINS0_14default_configENS1_25partition_config_selectorILNS1_17partition_subalgoE8ElNS0_10empty_typeEbEEZZNS1_14partition_implILS5_8ELb0ES3_jPlPS6_PKS6_NS0_5tupleIJS9_S6_EEENSD_IJSA_SA_EEENS0_18inequality_wrapperIZN2at6native12_GLOBAL__N_124unique_dim_cuda_templateIN3c104HalfEEESt5tupleIJNSH_6TensorESO_SO_EERKSO_lbbbEUlllE0_EEPmJS6_EEE10hipError_tPvRmT3_T4_T5_T6_T7_T9_mT8_P12ihipStream_tbDpT10_ENKUlT_T0_E_clISt17integral_constantIbLb1EES1D_IbLb0EEEEDaS19_S1A_EUlS19_E_NS1_11comp_targetILNS1_3genE4ELNS1_11target_archE910ELNS1_3gpuE8ELNS1_3repE0EEENS1_30default_config_static_selectorELNS0_4arch9wavefront6targetE0EEEvT1_.kd
    .uniform_work_group_size: 1
    .uses_dynamic_stack: false
    .vgpr_count:     0
    .vgpr_spill_count: 0
    .wavefront_size: 32
  - .args:
      - .offset:         0
        .size:           120
        .value_kind:     by_value
    .group_segment_fixed_size: 0
    .kernarg_segment_align: 8
    .kernarg_segment_size: 120
    .language:       OpenCL C
    .language_version:
      - 2
      - 0
    .max_flat_workgroup_size: 512
    .name:           _ZN7rocprim17ROCPRIM_400000_NS6detail17trampoline_kernelINS0_14default_configENS1_25partition_config_selectorILNS1_17partition_subalgoE8ElNS0_10empty_typeEbEEZZNS1_14partition_implILS5_8ELb0ES3_jPlPS6_PKS6_NS0_5tupleIJS9_S6_EEENSD_IJSA_SA_EEENS0_18inequality_wrapperIZN2at6native12_GLOBAL__N_124unique_dim_cuda_templateIN3c104HalfEEESt5tupleIJNSH_6TensorESO_SO_EERKSO_lbbbEUlllE0_EEPmJS6_EEE10hipError_tPvRmT3_T4_T5_T6_T7_T9_mT8_P12ihipStream_tbDpT10_ENKUlT_T0_E_clISt17integral_constantIbLb1EES1D_IbLb0EEEEDaS19_S1A_EUlS19_E_NS1_11comp_targetILNS1_3genE3ELNS1_11target_archE908ELNS1_3gpuE7ELNS1_3repE0EEENS1_30default_config_static_selectorELNS0_4arch9wavefront6targetE0EEEvT1_
    .private_segment_fixed_size: 0
    .sgpr_count:     0
    .sgpr_spill_count: 0
    .symbol:         _ZN7rocprim17ROCPRIM_400000_NS6detail17trampoline_kernelINS0_14default_configENS1_25partition_config_selectorILNS1_17partition_subalgoE8ElNS0_10empty_typeEbEEZZNS1_14partition_implILS5_8ELb0ES3_jPlPS6_PKS6_NS0_5tupleIJS9_S6_EEENSD_IJSA_SA_EEENS0_18inequality_wrapperIZN2at6native12_GLOBAL__N_124unique_dim_cuda_templateIN3c104HalfEEESt5tupleIJNSH_6TensorESO_SO_EERKSO_lbbbEUlllE0_EEPmJS6_EEE10hipError_tPvRmT3_T4_T5_T6_T7_T9_mT8_P12ihipStream_tbDpT10_ENKUlT_T0_E_clISt17integral_constantIbLb1EES1D_IbLb0EEEEDaS19_S1A_EUlS19_E_NS1_11comp_targetILNS1_3genE3ELNS1_11target_archE908ELNS1_3gpuE7ELNS1_3repE0EEENS1_30default_config_static_selectorELNS0_4arch9wavefront6targetE0EEEvT1_.kd
    .uniform_work_group_size: 1
    .uses_dynamic_stack: false
    .vgpr_count:     0
    .vgpr_spill_count: 0
    .wavefront_size: 32
  - .args:
      - .offset:         0
        .size:           120
        .value_kind:     by_value
    .group_segment_fixed_size: 0
    .kernarg_segment_align: 8
    .kernarg_segment_size: 120
    .language:       OpenCL C
    .language_version:
      - 2
      - 0
    .max_flat_workgroup_size: 256
    .name:           _ZN7rocprim17ROCPRIM_400000_NS6detail17trampoline_kernelINS0_14default_configENS1_25partition_config_selectorILNS1_17partition_subalgoE8ElNS0_10empty_typeEbEEZZNS1_14partition_implILS5_8ELb0ES3_jPlPS6_PKS6_NS0_5tupleIJS9_S6_EEENSD_IJSA_SA_EEENS0_18inequality_wrapperIZN2at6native12_GLOBAL__N_124unique_dim_cuda_templateIN3c104HalfEEESt5tupleIJNSH_6TensorESO_SO_EERKSO_lbbbEUlllE0_EEPmJS6_EEE10hipError_tPvRmT3_T4_T5_T6_T7_T9_mT8_P12ihipStream_tbDpT10_ENKUlT_T0_E_clISt17integral_constantIbLb1EES1D_IbLb0EEEEDaS19_S1A_EUlS19_E_NS1_11comp_targetILNS1_3genE2ELNS1_11target_archE906ELNS1_3gpuE6ELNS1_3repE0EEENS1_30default_config_static_selectorELNS0_4arch9wavefront6targetE0EEEvT1_
    .private_segment_fixed_size: 0
    .sgpr_count:     0
    .sgpr_spill_count: 0
    .symbol:         _ZN7rocprim17ROCPRIM_400000_NS6detail17trampoline_kernelINS0_14default_configENS1_25partition_config_selectorILNS1_17partition_subalgoE8ElNS0_10empty_typeEbEEZZNS1_14partition_implILS5_8ELb0ES3_jPlPS6_PKS6_NS0_5tupleIJS9_S6_EEENSD_IJSA_SA_EEENS0_18inequality_wrapperIZN2at6native12_GLOBAL__N_124unique_dim_cuda_templateIN3c104HalfEEESt5tupleIJNSH_6TensorESO_SO_EERKSO_lbbbEUlllE0_EEPmJS6_EEE10hipError_tPvRmT3_T4_T5_T6_T7_T9_mT8_P12ihipStream_tbDpT10_ENKUlT_T0_E_clISt17integral_constantIbLb1EES1D_IbLb0EEEEDaS19_S1A_EUlS19_E_NS1_11comp_targetILNS1_3genE2ELNS1_11target_archE906ELNS1_3gpuE6ELNS1_3repE0EEENS1_30default_config_static_selectorELNS0_4arch9wavefront6targetE0EEEvT1_.kd
    .uniform_work_group_size: 1
    .uses_dynamic_stack: false
    .vgpr_count:     0
    .vgpr_spill_count: 0
    .wavefront_size: 32
  - .args:
      - .offset:         0
        .size:           120
        .value_kind:     by_value
    .group_segment_fixed_size: 0
    .kernarg_segment_align: 8
    .kernarg_segment_size: 120
    .language:       OpenCL C
    .language_version:
      - 2
      - 0
    .max_flat_workgroup_size: 384
    .name:           _ZN7rocprim17ROCPRIM_400000_NS6detail17trampoline_kernelINS0_14default_configENS1_25partition_config_selectorILNS1_17partition_subalgoE8ElNS0_10empty_typeEbEEZZNS1_14partition_implILS5_8ELb0ES3_jPlPS6_PKS6_NS0_5tupleIJS9_S6_EEENSD_IJSA_SA_EEENS0_18inequality_wrapperIZN2at6native12_GLOBAL__N_124unique_dim_cuda_templateIN3c104HalfEEESt5tupleIJNSH_6TensorESO_SO_EERKSO_lbbbEUlllE0_EEPmJS6_EEE10hipError_tPvRmT3_T4_T5_T6_T7_T9_mT8_P12ihipStream_tbDpT10_ENKUlT_T0_E_clISt17integral_constantIbLb1EES1D_IbLb0EEEEDaS19_S1A_EUlS19_E_NS1_11comp_targetILNS1_3genE10ELNS1_11target_archE1200ELNS1_3gpuE4ELNS1_3repE0EEENS1_30default_config_static_selectorELNS0_4arch9wavefront6targetE0EEEvT1_
    .private_segment_fixed_size: 0
    .sgpr_count:     0
    .sgpr_spill_count: 0
    .symbol:         _ZN7rocprim17ROCPRIM_400000_NS6detail17trampoline_kernelINS0_14default_configENS1_25partition_config_selectorILNS1_17partition_subalgoE8ElNS0_10empty_typeEbEEZZNS1_14partition_implILS5_8ELb0ES3_jPlPS6_PKS6_NS0_5tupleIJS9_S6_EEENSD_IJSA_SA_EEENS0_18inequality_wrapperIZN2at6native12_GLOBAL__N_124unique_dim_cuda_templateIN3c104HalfEEESt5tupleIJNSH_6TensorESO_SO_EERKSO_lbbbEUlllE0_EEPmJS6_EEE10hipError_tPvRmT3_T4_T5_T6_T7_T9_mT8_P12ihipStream_tbDpT10_ENKUlT_T0_E_clISt17integral_constantIbLb1EES1D_IbLb0EEEEDaS19_S1A_EUlS19_E_NS1_11comp_targetILNS1_3genE10ELNS1_11target_archE1200ELNS1_3gpuE4ELNS1_3repE0EEENS1_30default_config_static_selectorELNS0_4arch9wavefront6targetE0EEEvT1_.kd
    .uniform_work_group_size: 1
    .uses_dynamic_stack: false
    .vgpr_count:     0
    .vgpr_spill_count: 0
    .wavefront_size: 32
  - .args:
      - .offset:         0
        .size:           120
        .value_kind:     by_value
    .group_segment_fixed_size: 0
    .kernarg_segment_align: 8
    .kernarg_segment_size: 120
    .language:       OpenCL C
    .language_version:
      - 2
      - 0
    .max_flat_workgroup_size: 512
    .name:           _ZN7rocprim17ROCPRIM_400000_NS6detail17trampoline_kernelINS0_14default_configENS1_25partition_config_selectorILNS1_17partition_subalgoE8ElNS0_10empty_typeEbEEZZNS1_14partition_implILS5_8ELb0ES3_jPlPS6_PKS6_NS0_5tupleIJS9_S6_EEENSD_IJSA_SA_EEENS0_18inequality_wrapperIZN2at6native12_GLOBAL__N_124unique_dim_cuda_templateIN3c104HalfEEESt5tupleIJNSH_6TensorESO_SO_EERKSO_lbbbEUlllE0_EEPmJS6_EEE10hipError_tPvRmT3_T4_T5_T6_T7_T9_mT8_P12ihipStream_tbDpT10_ENKUlT_T0_E_clISt17integral_constantIbLb1EES1D_IbLb0EEEEDaS19_S1A_EUlS19_E_NS1_11comp_targetILNS1_3genE9ELNS1_11target_archE1100ELNS1_3gpuE3ELNS1_3repE0EEENS1_30default_config_static_selectorELNS0_4arch9wavefront6targetE0EEEvT1_
    .private_segment_fixed_size: 0
    .sgpr_count:     0
    .sgpr_spill_count: 0
    .symbol:         _ZN7rocprim17ROCPRIM_400000_NS6detail17trampoline_kernelINS0_14default_configENS1_25partition_config_selectorILNS1_17partition_subalgoE8ElNS0_10empty_typeEbEEZZNS1_14partition_implILS5_8ELb0ES3_jPlPS6_PKS6_NS0_5tupleIJS9_S6_EEENSD_IJSA_SA_EEENS0_18inequality_wrapperIZN2at6native12_GLOBAL__N_124unique_dim_cuda_templateIN3c104HalfEEESt5tupleIJNSH_6TensorESO_SO_EERKSO_lbbbEUlllE0_EEPmJS6_EEE10hipError_tPvRmT3_T4_T5_T6_T7_T9_mT8_P12ihipStream_tbDpT10_ENKUlT_T0_E_clISt17integral_constantIbLb1EES1D_IbLb0EEEEDaS19_S1A_EUlS19_E_NS1_11comp_targetILNS1_3genE9ELNS1_11target_archE1100ELNS1_3gpuE3ELNS1_3repE0EEENS1_30default_config_static_selectorELNS0_4arch9wavefront6targetE0EEEvT1_.kd
    .uniform_work_group_size: 1
    .uses_dynamic_stack: false
    .vgpr_count:     0
    .vgpr_spill_count: 0
    .wavefront_size: 32
  - .args:
      - .offset:         0
        .size:           120
        .value_kind:     by_value
    .group_segment_fixed_size: 0
    .kernarg_segment_align: 8
    .kernarg_segment_size: 120
    .language:       OpenCL C
    .language_version:
      - 2
      - 0
    .max_flat_workgroup_size: 512
    .name:           _ZN7rocprim17ROCPRIM_400000_NS6detail17trampoline_kernelINS0_14default_configENS1_25partition_config_selectorILNS1_17partition_subalgoE8ElNS0_10empty_typeEbEEZZNS1_14partition_implILS5_8ELb0ES3_jPlPS6_PKS6_NS0_5tupleIJS9_S6_EEENSD_IJSA_SA_EEENS0_18inequality_wrapperIZN2at6native12_GLOBAL__N_124unique_dim_cuda_templateIN3c104HalfEEESt5tupleIJNSH_6TensorESO_SO_EERKSO_lbbbEUlllE0_EEPmJS6_EEE10hipError_tPvRmT3_T4_T5_T6_T7_T9_mT8_P12ihipStream_tbDpT10_ENKUlT_T0_E_clISt17integral_constantIbLb1EES1D_IbLb0EEEEDaS19_S1A_EUlS19_E_NS1_11comp_targetILNS1_3genE8ELNS1_11target_archE1030ELNS1_3gpuE2ELNS1_3repE0EEENS1_30default_config_static_selectorELNS0_4arch9wavefront6targetE0EEEvT1_
    .private_segment_fixed_size: 0
    .sgpr_count:     0
    .sgpr_spill_count: 0
    .symbol:         _ZN7rocprim17ROCPRIM_400000_NS6detail17trampoline_kernelINS0_14default_configENS1_25partition_config_selectorILNS1_17partition_subalgoE8ElNS0_10empty_typeEbEEZZNS1_14partition_implILS5_8ELb0ES3_jPlPS6_PKS6_NS0_5tupleIJS9_S6_EEENSD_IJSA_SA_EEENS0_18inequality_wrapperIZN2at6native12_GLOBAL__N_124unique_dim_cuda_templateIN3c104HalfEEESt5tupleIJNSH_6TensorESO_SO_EERKSO_lbbbEUlllE0_EEPmJS6_EEE10hipError_tPvRmT3_T4_T5_T6_T7_T9_mT8_P12ihipStream_tbDpT10_ENKUlT_T0_E_clISt17integral_constantIbLb1EES1D_IbLb0EEEEDaS19_S1A_EUlS19_E_NS1_11comp_targetILNS1_3genE8ELNS1_11target_archE1030ELNS1_3gpuE2ELNS1_3repE0EEENS1_30default_config_static_selectorELNS0_4arch9wavefront6targetE0EEEvT1_.kd
    .uniform_work_group_size: 1
    .uses_dynamic_stack: false
    .vgpr_count:     0
    .vgpr_spill_count: 0
    .wavefront_size: 32
  - .args:
      - .offset:         0
        .size:           136
        .value_kind:     by_value
    .group_segment_fixed_size: 28680
    .kernarg_segment_align: 8
    .kernarg_segment_size: 136
    .language:       OpenCL C
    .language_version:
      - 2
      - 0
    .max_flat_workgroup_size: 512
    .name:           _ZN7rocprim17ROCPRIM_400000_NS6detail17trampoline_kernelINS0_14default_configENS1_25partition_config_selectorILNS1_17partition_subalgoE8ElNS0_10empty_typeEbEEZZNS1_14partition_implILS5_8ELb0ES3_jPlPS6_PKS6_NS0_5tupleIJS9_S6_EEENSD_IJSA_SA_EEENS0_18inequality_wrapperIZN2at6native12_GLOBAL__N_124unique_dim_cuda_templateIN3c104HalfEEESt5tupleIJNSH_6TensorESO_SO_EERKSO_lbbbEUlllE0_EEPmJS6_EEE10hipError_tPvRmT3_T4_T5_T6_T7_T9_mT8_P12ihipStream_tbDpT10_ENKUlT_T0_E_clISt17integral_constantIbLb0EES1D_IbLb1EEEEDaS19_S1A_EUlS19_E_NS1_11comp_targetILNS1_3genE0ELNS1_11target_archE4294967295ELNS1_3gpuE0ELNS1_3repE0EEENS1_30default_config_static_selectorELNS0_4arch9wavefront6targetE0EEEvT1_
    .private_segment_fixed_size: 0
    .sgpr_count:     38
    .sgpr_spill_count: 0
    .symbol:         _ZN7rocprim17ROCPRIM_400000_NS6detail17trampoline_kernelINS0_14default_configENS1_25partition_config_selectorILNS1_17partition_subalgoE8ElNS0_10empty_typeEbEEZZNS1_14partition_implILS5_8ELb0ES3_jPlPS6_PKS6_NS0_5tupleIJS9_S6_EEENSD_IJSA_SA_EEENS0_18inequality_wrapperIZN2at6native12_GLOBAL__N_124unique_dim_cuda_templateIN3c104HalfEEESt5tupleIJNSH_6TensorESO_SO_EERKSO_lbbbEUlllE0_EEPmJS6_EEE10hipError_tPvRmT3_T4_T5_T6_T7_T9_mT8_P12ihipStream_tbDpT10_ENKUlT_T0_E_clISt17integral_constantIbLb0EES1D_IbLb1EEEEDaS19_S1A_EUlS19_E_NS1_11comp_targetILNS1_3genE0ELNS1_11target_archE4294967295ELNS1_3gpuE0ELNS1_3repE0EEENS1_30default_config_static_selectorELNS0_4arch9wavefront6targetE0EEEvT1_.kd
    .uniform_work_group_size: 1
    .uses_dynamic_stack: false
    .vgpr_count:     53
    .vgpr_spill_count: 0
    .wavefront_size: 32
  - .args:
      - .offset:         0
        .size:           136
        .value_kind:     by_value
    .group_segment_fixed_size: 0
    .kernarg_segment_align: 8
    .kernarg_segment_size: 136
    .language:       OpenCL C
    .language_version:
      - 2
      - 0
    .max_flat_workgroup_size: 512
    .name:           _ZN7rocprim17ROCPRIM_400000_NS6detail17trampoline_kernelINS0_14default_configENS1_25partition_config_selectorILNS1_17partition_subalgoE8ElNS0_10empty_typeEbEEZZNS1_14partition_implILS5_8ELb0ES3_jPlPS6_PKS6_NS0_5tupleIJS9_S6_EEENSD_IJSA_SA_EEENS0_18inequality_wrapperIZN2at6native12_GLOBAL__N_124unique_dim_cuda_templateIN3c104HalfEEESt5tupleIJNSH_6TensorESO_SO_EERKSO_lbbbEUlllE0_EEPmJS6_EEE10hipError_tPvRmT3_T4_T5_T6_T7_T9_mT8_P12ihipStream_tbDpT10_ENKUlT_T0_E_clISt17integral_constantIbLb0EES1D_IbLb1EEEEDaS19_S1A_EUlS19_E_NS1_11comp_targetILNS1_3genE5ELNS1_11target_archE942ELNS1_3gpuE9ELNS1_3repE0EEENS1_30default_config_static_selectorELNS0_4arch9wavefront6targetE0EEEvT1_
    .private_segment_fixed_size: 0
    .sgpr_count:     0
    .sgpr_spill_count: 0
    .symbol:         _ZN7rocprim17ROCPRIM_400000_NS6detail17trampoline_kernelINS0_14default_configENS1_25partition_config_selectorILNS1_17partition_subalgoE8ElNS0_10empty_typeEbEEZZNS1_14partition_implILS5_8ELb0ES3_jPlPS6_PKS6_NS0_5tupleIJS9_S6_EEENSD_IJSA_SA_EEENS0_18inequality_wrapperIZN2at6native12_GLOBAL__N_124unique_dim_cuda_templateIN3c104HalfEEESt5tupleIJNSH_6TensorESO_SO_EERKSO_lbbbEUlllE0_EEPmJS6_EEE10hipError_tPvRmT3_T4_T5_T6_T7_T9_mT8_P12ihipStream_tbDpT10_ENKUlT_T0_E_clISt17integral_constantIbLb0EES1D_IbLb1EEEEDaS19_S1A_EUlS19_E_NS1_11comp_targetILNS1_3genE5ELNS1_11target_archE942ELNS1_3gpuE9ELNS1_3repE0EEENS1_30default_config_static_selectorELNS0_4arch9wavefront6targetE0EEEvT1_.kd
    .uniform_work_group_size: 1
    .uses_dynamic_stack: false
    .vgpr_count:     0
    .vgpr_spill_count: 0
    .wavefront_size: 32
  - .args:
      - .offset:         0
        .size:           136
        .value_kind:     by_value
    .group_segment_fixed_size: 0
    .kernarg_segment_align: 8
    .kernarg_segment_size: 136
    .language:       OpenCL C
    .language_version:
      - 2
      - 0
    .max_flat_workgroup_size: 256
    .name:           _ZN7rocprim17ROCPRIM_400000_NS6detail17trampoline_kernelINS0_14default_configENS1_25partition_config_selectorILNS1_17partition_subalgoE8ElNS0_10empty_typeEbEEZZNS1_14partition_implILS5_8ELb0ES3_jPlPS6_PKS6_NS0_5tupleIJS9_S6_EEENSD_IJSA_SA_EEENS0_18inequality_wrapperIZN2at6native12_GLOBAL__N_124unique_dim_cuda_templateIN3c104HalfEEESt5tupleIJNSH_6TensorESO_SO_EERKSO_lbbbEUlllE0_EEPmJS6_EEE10hipError_tPvRmT3_T4_T5_T6_T7_T9_mT8_P12ihipStream_tbDpT10_ENKUlT_T0_E_clISt17integral_constantIbLb0EES1D_IbLb1EEEEDaS19_S1A_EUlS19_E_NS1_11comp_targetILNS1_3genE4ELNS1_11target_archE910ELNS1_3gpuE8ELNS1_3repE0EEENS1_30default_config_static_selectorELNS0_4arch9wavefront6targetE0EEEvT1_
    .private_segment_fixed_size: 0
    .sgpr_count:     0
    .sgpr_spill_count: 0
    .symbol:         _ZN7rocprim17ROCPRIM_400000_NS6detail17trampoline_kernelINS0_14default_configENS1_25partition_config_selectorILNS1_17partition_subalgoE8ElNS0_10empty_typeEbEEZZNS1_14partition_implILS5_8ELb0ES3_jPlPS6_PKS6_NS0_5tupleIJS9_S6_EEENSD_IJSA_SA_EEENS0_18inequality_wrapperIZN2at6native12_GLOBAL__N_124unique_dim_cuda_templateIN3c104HalfEEESt5tupleIJNSH_6TensorESO_SO_EERKSO_lbbbEUlllE0_EEPmJS6_EEE10hipError_tPvRmT3_T4_T5_T6_T7_T9_mT8_P12ihipStream_tbDpT10_ENKUlT_T0_E_clISt17integral_constantIbLb0EES1D_IbLb1EEEEDaS19_S1A_EUlS19_E_NS1_11comp_targetILNS1_3genE4ELNS1_11target_archE910ELNS1_3gpuE8ELNS1_3repE0EEENS1_30default_config_static_selectorELNS0_4arch9wavefront6targetE0EEEvT1_.kd
    .uniform_work_group_size: 1
    .uses_dynamic_stack: false
    .vgpr_count:     0
    .vgpr_spill_count: 0
    .wavefront_size: 32
  - .args:
      - .offset:         0
        .size:           136
        .value_kind:     by_value
    .group_segment_fixed_size: 0
    .kernarg_segment_align: 8
    .kernarg_segment_size: 136
    .language:       OpenCL C
    .language_version:
      - 2
      - 0
    .max_flat_workgroup_size: 512
    .name:           _ZN7rocprim17ROCPRIM_400000_NS6detail17trampoline_kernelINS0_14default_configENS1_25partition_config_selectorILNS1_17partition_subalgoE8ElNS0_10empty_typeEbEEZZNS1_14partition_implILS5_8ELb0ES3_jPlPS6_PKS6_NS0_5tupleIJS9_S6_EEENSD_IJSA_SA_EEENS0_18inequality_wrapperIZN2at6native12_GLOBAL__N_124unique_dim_cuda_templateIN3c104HalfEEESt5tupleIJNSH_6TensorESO_SO_EERKSO_lbbbEUlllE0_EEPmJS6_EEE10hipError_tPvRmT3_T4_T5_T6_T7_T9_mT8_P12ihipStream_tbDpT10_ENKUlT_T0_E_clISt17integral_constantIbLb0EES1D_IbLb1EEEEDaS19_S1A_EUlS19_E_NS1_11comp_targetILNS1_3genE3ELNS1_11target_archE908ELNS1_3gpuE7ELNS1_3repE0EEENS1_30default_config_static_selectorELNS0_4arch9wavefront6targetE0EEEvT1_
    .private_segment_fixed_size: 0
    .sgpr_count:     0
    .sgpr_spill_count: 0
    .symbol:         _ZN7rocprim17ROCPRIM_400000_NS6detail17trampoline_kernelINS0_14default_configENS1_25partition_config_selectorILNS1_17partition_subalgoE8ElNS0_10empty_typeEbEEZZNS1_14partition_implILS5_8ELb0ES3_jPlPS6_PKS6_NS0_5tupleIJS9_S6_EEENSD_IJSA_SA_EEENS0_18inequality_wrapperIZN2at6native12_GLOBAL__N_124unique_dim_cuda_templateIN3c104HalfEEESt5tupleIJNSH_6TensorESO_SO_EERKSO_lbbbEUlllE0_EEPmJS6_EEE10hipError_tPvRmT3_T4_T5_T6_T7_T9_mT8_P12ihipStream_tbDpT10_ENKUlT_T0_E_clISt17integral_constantIbLb0EES1D_IbLb1EEEEDaS19_S1A_EUlS19_E_NS1_11comp_targetILNS1_3genE3ELNS1_11target_archE908ELNS1_3gpuE7ELNS1_3repE0EEENS1_30default_config_static_selectorELNS0_4arch9wavefront6targetE0EEEvT1_.kd
    .uniform_work_group_size: 1
    .uses_dynamic_stack: false
    .vgpr_count:     0
    .vgpr_spill_count: 0
    .wavefront_size: 32
  - .args:
      - .offset:         0
        .size:           136
        .value_kind:     by_value
    .group_segment_fixed_size: 0
    .kernarg_segment_align: 8
    .kernarg_segment_size: 136
    .language:       OpenCL C
    .language_version:
      - 2
      - 0
    .max_flat_workgroup_size: 256
    .name:           _ZN7rocprim17ROCPRIM_400000_NS6detail17trampoline_kernelINS0_14default_configENS1_25partition_config_selectorILNS1_17partition_subalgoE8ElNS0_10empty_typeEbEEZZNS1_14partition_implILS5_8ELb0ES3_jPlPS6_PKS6_NS0_5tupleIJS9_S6_EEENSD_IJSA_SA_EEENS0_18inequality_wrapperIZN2at6native12_GLOBAL__N_124unique_dim_cuda_templateIN3c104HalfEEESt5tupleIJNSH_6TensorESO_SO_EERKSO_lbbbEUlllE0_EEPmJS6_EEE10hipError_tPvRmT3_T4_T5_T6_T7_T9_mT8_P12ihipStream_tbDpT10_ENKUlT_T0_E_clISt17integral_constantIbLb0EES1D_IbLb1EEEEDaS19_S1A_EUlS19_E_NS1_11comp_targetILNS1_3genE2ELNS1_11target_archE906ELNS1_3gpuE6ELNS1_3repE0EEENS1_30default_config_static_selectorELNS0_4arch9wavefront6targetE0EEEvT1_
    .private_segment_fixed_size: 0
    .sgpr_count:     0
    .sgpr_spill_count: 0
    .symbol:         _ZN7rocprim17ROCPRIM_400000_NS6detail17trampoline_kernelINS0_14default_configENS1_25partition_config_selectorILNS1_17partition_subalgoE8ElNS0_10empty_typeEbEEZZNS1_14partition_implILS5_8ELb0ES3_jPlPS6_PKS6_NS0_5tupleIJS9_S6_EEENSD_IJSA_SA_EEENS0_18inequality_wrapperIZN2at6native12_GLOBAL__N_124unique_dim_cuda_templateIN3c104HalfEEESt5tupleIJNSH_6TensorESO_SO_EERKSO_lbbbEUlllE0_EEPmJS6_EEE10hipError_tPvRmT3_T4_T5_T6_T7_T9_mT8_P12ihipStream_tbDpT10_ENKUlT_T0_E_clISt17integral_constantIbLb0EES1D_IbLb1EEEEDaS19_S1A_EUlS19_E_NS1_11comp_targetILNS1_3genE2ELNS1_11target_archE906ELNS1_3gpuE6ELNS1_3repE0EEENS1_30default_config_static_selectorELNS0_4arch9wavefront6targetE0EEEvT1_.kd
    .uniform_work_group_size: 1
    .uses_dynamic_stack: false
    .vgpr_count:     0
    .vgpr_spill_count: 0
    .wavefront_size: 32
  - .args:
      - .offset:         0
        .size:           136
        .value_kind:     by_value
    .group_segment_fixed_size: 0
    .kernarg_segment_align: 8
    .kernarg_segment_size: 136
    .language:       OpenCL C
    .language_version:
      - 2
      - 0
    .max_flat_workgroup_size: 384
    .name:           _ZN7rocprim17ROCPRIM_400000_NS6detail17trampoline_kernelINS0_14default_configENS1_25partition_config_selectorILNS1_17partition_subalgoE8ElNS0_10empty_typeEbEEZZNS1_14partition_implILS5_8ELb0ES3_jPlPS6_PKS6_NS0_5tupleIJS9_S6_EEENSD_IJSA_SA_EEENS0_18inequality_wrapperIZN2at6native12_GLOBAL__N_124unique_dim_cuda_templateIN3c104HalfEEESt5tupleIJNSH_6TensorESO_SO_EERKSO_lbbbEUlllE0_EEPmJS6_EEE10hipError_tPvRmT3_T4_T5_T6_T7_T9_mT8_P12ihipStream_tbDpT10_ENKUlT_T0_E_clISt17integral_constantIbLb0EES1D_IbLb1EEEEDaS19_S1A_EUlS19_E_NS1_11comp_targetILNS1_3genE10ELNS1_11target_archE1200ELNS1_3gpuE4ELNS1_3repE0EEENS1_30default_config_static_selectorELNS0_4arch9wavefront6targetE0EEEvT1_
    .private_segment_fixed_size: 0
    .sgpr_count:     0
    .sgpr_spill_count: 0
    .symbol:         _ZN7rocprim17ROCPRIM_400000_NS6detail17trampoline_kernelINS0_14default_configENS1_25partition_config_selectorILNS1_17partition_subalgoE8ElNS0_10empty_typeEbEEZZNS1_14partition_implILS5_8ELb0ES3_jPlPS6_PKS6_NS0_5tupleIJS9_S6_EEENSD_IJSA_SA_EEENS0_18inequality_wrapperIZN2at6native12_GLOBAL__N_124unique_dim_cuda_templateIN3c104HalfEEESt5tupleIJNSH_6TensorESO_SO_EERKSO_lbbbEUlllE0_EEPmJS6_EEE10hipError_tPvRmT3_T4_T5_T6_T7_T9_mT8_P12ihipStream_tbDpT10_ENKUlT_T0_E_clISt17integral_constantIbLb0EES1D_IbLb1EEEEDaS19_S1A_EUlS19_E_NS1_11comp_targetILNS1_3genE10ELNS1_11target_archE1200ELNS1_3gpuE4ELNS1_3repE0EEENS1_30default_config_static_selectorELNS0_4arch9wavefront6targetE0EEEvT1_.kd
    .uniform_work_group_size: 1
    .uses_dynamic_stack: false
    .vgpr_count:     0
    .vgpr_spill_count: 0
    .wavefront_size: 32
  - .args:
      - .offset:         0
        .size:           136
        .value_kind:     by_value
    .group_segment_fixed_size: 0
    .kernarg_segment_align: 8
    .kernarg_segment_size: 136
    .language:       OpenCL C
    .language_version:
      - 2
      - 0
    .max_flat_workgroup_size: 512
    .name:           _ZN7rocprim17ROCPRIM_400000_NS6detail17trampoline_kernelINS0_14default_configENS1_25partition_config_selectorILNS1_17partition_subalgoE8ElNS0_10empty_typeEbEEZZNS1_14partition_implILS5_8ELb0ES3_jPlPS6_PKS6_NS0_5tupleIJS9_S6_EEENSD_IJSA_SA_EEENS0_18inequality_wrapperIZN2at6native12_GLOBAL__N_124unique_dim_cuda_templateIN3c104HalfEEESt5tupleIJNSH_6TensorESO_SO_EERKSO_lbbbEUlllE0_EEPmJS6_EEE10hipError_tPvRmT3_T4_T5_T6_T7_T9_mT8_P12ihipStream_tbDpT10_ENKUlT_T0_E_clISt17integral_constantIbLb0EES1D_IbLb1EEEEDaS19_S1A_EUlS19_E_NS1_11comp_targetILNS1_3genE9ELNS1_11target_archE1100ELNS1_3gpuE3ELNS1_3repE0EEENS1_30default_config_static_selectorELNS0_4arch9wavefront6targetE0EEEvT1_
    .private_segment_fixed_size: 0
    .sgpr_count:     0
    .sgpr_spill_count: 0
    .symbol:         _ZN7rocprim17ROCPRIM_400000_NS6detail17trampoline_kernelINS0_14default_configENS1_25partition_config_selectorILNS1_17partition_subalgoE8ElNS0_10empty_typeEbEEZZNS1_14partition_implILS5_8ELb0ES3_jPlPS6_PKS6_NS0_5tupleIJS9_S6_EEENSD_IJSA_SA_EEENS0_18inequality_wrapperIZN2at6native12_GLOBAL__N_124unique_dim_cuda_templateIN3c104HalfEEESt5tupleIJNSH_6TensorESO_SO_EERKSO_lbbbEUlllE0_EEPmJS6_EEE10hipError_tPvRmT3_T4_T5_T6_T7_T9_mT8_P12ihipStream_tbDpT10_ENKUlT_T0_E_clISt17integral_constantIbLb0EES1D_IbLb1EEEEDaS19_S1A_EUlS19_E_NS1_11comp_targetILNS1_3genE9ELNS1_11target_archE1100ELNS1_3gpuE3ELNS1_3repE0EEENS1_30default_config_static_selectorELNS0_4arch9wavefront6targetE0EEEvT1_.kd
    .uniform_work_group_size: 1
    .uses_dynamic_stack: false
    .vgpr_count:     0
    .vgpr_spill_count: 0
    .wavefront_size: 32
  - .args:
      - .offset:         0
        .size:           136
        .value_kind:     by_value
    .group_segment_fixed_size: 0
    .kernarg_segment_align: 8
    .kernarg_segment_size: 136
    .language:       OpenCL C
    .language_version:
      - 2
      - 0
    .max_flat_workgroup_size: 512
    .name:           _ZN7rocprim17ROCPRIM_400000_NS6detail17trampoline_kernelINS0_14default_configENS1_25partition_config_selectorILNS1_17partition_subalgoE8ElNS0_10empty_typeEbEEZZNS1_14partition_implILS5_8ELb0ES3_jPlPS6_PKS6_NS0_5tupleIJS9_S6_EEENSD_IJSA_SA_EEENS0_18inequality_wrapperIZN2at6native12_GLOBAL__N_124unique_dim_cuda_templateIN3c104HalfEEESt5tupleIJNSH_6TensorESO_SO_EERKSO_lbbbEUlllE0_EEPmJS6_EEE10hipError_tPvRmT3_T4_T5_T6_T7_T9_mT8_P12ihipStream_tbDpT10_ENKUlT_T0_E_clISt17integral_constantIbLb0EES1D_IbLb1EEEEDaS19_S1A_EUlS19_E_NS1_11comp_targetILNS1_3genE8ELNS1_11target_archE1030ELNS1_3gpuE2ELNS1_3repE0EEENS1_30default_config_static_selectorELNS0_4arch9wavefront6targetE0EEEvT1_
    .private_segment_fixed_size: 0
    .sgpr_count:     0
    .sgpr_spill_count: 0
    .symbol:         _ZN7rocprim17ROCPRIM_400000_NS6detail17trampoline_kernelINS0_14default_configENS1_25partition_config_selectorILNS1_17partition_subalgoE8ElNS0_10empty_typeEbEEZZNS1_14partition_implILS5_8ELb0ES3_jPlPS6_PKS6_NS0_5tupleIJS9_S6_EEENSD_IJSA_SA_EEENS0_18inequality_wrapperIZN2at6native12_GLOBAL__N_124unique_dim_cuda_templateIN3c104HalfEEESt5tupleIJNSH_6TensorESO_SO_EERKSO_lbbbEUlllE0_EEPmJS6_EEE10hipError_tPvRmT3_T4_T5_T6_T7_T9_mT8_P12ihipStream_tbDpT10_ENKUlT_T0_E_clISt17integral_constantIbLb0EES1D_IbLb1EEEEDaS19_S1A_EUlS19_E_NS1_11comp_targetILNS1_3genE8ELNS1_11target_archE1030ELNS1_3gpuE2ELNS1_3repE0EEENS1_30default_config_static_selectorELNS0_4arch9wavefront6targetE0EEEvT1_.kd
    .uniform_work_group_size: 1
    .uses_dynamic_stack: false
    .vgpr_count:     0
    .vgpr_spill_count: 0
    .wavefront_size: 32
  - .args:
      - .offset:         0
        .size:           120
        .value_kind:     by_value
    .group_segment_fixed_size: 5128
    .kernarg_segment_align: 8
    .kernarg_segment_size: 120
    .language:       OpenCL C
    .language_version:
      - 2
      - 0
    .max_flat_workgroup_size: 128
    .name:           _ZN7rocprim17ROCPRIM_400000_NS6detail17trampoline_kernelINS0_14default_configENS1_25partition_config_selectorILNS1_17partition_subalgoE9EllbEEZZNS1_14partition_implILS5_9ELb0ES3_jPlS8_PNS0_10empty_typeENS0_5tupleIJS8_S9_EEENSB_IJS8_SA_EEENS0_18inequality_wrapperIZN2at6native12_GLOBAL__N_124unique_dim_cuda_templateIN3c104HalfEEESt5tupleIJNSF_6TensorESM_SM_EERKSM_lbbbEUlllE0_EEPmJS9_EEE10hipError_tPvRmT3_T4_T5_T6_T7_T9_mT8_P12ihipStream_tbDpT10_ENKUlT_T0_E_clISt17integral_constantIbLb0EES1C_EEDaS17_S18_EUlS17_E_NS1_11comp_targetILNS1_3genE0ELNS1_11target_archE4294967295ELNS1_3gpuE0ELNS1_3repE0EEENS1_30default_config_static_selectorELNS0_4arch9wavefront6targetE0EEEvT1_
    .private_segment_fixed_size: 0
    .sgpr_count:     34
    .sgpr_spill_count: 0
    .symbol:         _ZN7rocprim17ROCPRIM_400000_NS6detail17trampoline_kernelINS0_14default_configENS1_25partition_config_selectorILNS1_17partition_subalgoE9EllbEEZZNS1_14partition_implILS5_9ELb0ES3_jPlS8_PNS0_10empty_typeENS0_5tupleIJS8_S9_EEENSB_IJS8_SA_EEENS0_18inequality_wrapperIZN2at6native12_GLOBAL__N_124unique_dim_cuda_templateIN3c104HalfEEESt5tupleIJNSF_6TensorESM_SM_EERKSM_lbbbEUlllE0_EEPmJS9_EEE10hipError_tPvRmT3_T4_T5_T6_T7_T9_mT8_P12ihipStream_tbDpT10_ENKUlT_T0_E_clISt17integral_constantIbLb0EES1C_EEDaS17_S18_EUlS17_E_NS1_11comp_targetILNS1_3genE0ELNS1_11target_archE4294967295ELNS1_3gpuE0ELNS1_3repE0EEENS1_30default_config_static_selectorELNS0_4arch9wavefront6targetE0EEEvT1_.kd
    .uniform_work_group_size: 1
    .uses_dynamic_stack: false
    .vgpr_count:     56
    .vgpr_spill_count: 0
    .wavefront_size: 32
  - .args:
      - .offset:         0
        .size:           120
        .value_kind:     by_value
    .group_segment_fixed_size: 0
    .kernarg_segment_align: 8
    .kernarg_segment_size: 120
    .language:       OpenCL C
    .language_version:
      - 2
      - 0
    .max_flat_workgroup_size: 512
    .name:           _ZN7rocprim17ROCPRIM_400000_NS6detail17trampoline_kernelINS0_14default_configENS1_25partition_config_selectorILNS1_17partition_subalgoE9EllbEEZZNS1_14partition_implILS5_9ELb0ES3_jPlS8_PNS0_10empty_typeENS0_5tupleIJS8_S9_EEENSB_IJS8_SA_EEENS0_18inequality_wrapperIZN2at6native12_GLOBAL__N_124unique_dim_cuda_templateIN3c104HalfEEESt5tupleIJNSF_6TensorESM_SM_EERKSM_lbbbEUlllE0_EEPmJS9_EEE10hipError_tPvRmT3_T4_T5_T6_T7_T9_mT8_P12ihipStream_tbDpT10_ENKUlT_T0_E_clISt17integral_constantIbLb0EES1C_EEDaS17_S18_EUlS17_E_NS1_11comp_targetILNS1_3genE5ELNS1_11target_archE942ELNS1_3gpuE9ELNS1_3repE0EEENS1_30default_config_static_selectorELNS0_4arch9wavefront6targetE0EEEvT1_
    .private_segment_fixed_size: 0
    .sgpr_count:     0
    .sgpr_spill_count: 0
    .symbol:         _ZN7rocprim17ROCPRIM_400000_NS6detail17trampoline_kernelINS0_14default_configENS1_25partition_config_selectorILNS1_17partition_subalgoE9EllbEEZZNS1_14partition_implILS5_9ELb0ES3_jPlS8_PNS0_10empty_typeENS0_5tupleIJS8_S9_EEENSB_IJS8_SA_EEENS0_18inequality_wrapperIZN2at6native12_GLOBAL__N_124unique_dim_cuda_templateIN3c104HalfEEESt5tupleIJNSF_6TensorESM_SM_EERKSM_lbbbEUlllE0_EEPmJS9_EEE10hipError_tPvRmT3_T4_T5_T6_T7_T9_mT8_P12ihipStream_tbDpT10_ENKUlT_T0_E_clISt17integral_constantIbLb0EES1C_EEDaS17_S18_EUlS17_E_NS1_11comp_targetILNS1_3genE5ELNS1_11target_archE942ELNS1_3gpuE9ELNS1_3repE0EEENS1_30default_config_static_selectorELNS0_4arch9wavefront6targetE0EEEvT1_.kd
    .uniform_work_group_size: 1
    .uses_dynamic_stack: false
    .vgpr_count:     0
    .vgpr_spill_count: 0
    .wavefront_size: 32
  - .args:
      - .offset:         0
        .size:           120
        .value_kind:     by_value
    .group_segment_fixed_size: 0
    .kernarg_segment_align: 8
    .kernarg_segment_size: 120
    .language:       OpenCL C
    .language_version:
      - 2
      - 0
    .max_flat_workgroup_size: 128
    .name:           _ZN7rocprim17ROCPRIM_400000_NS6detail17trampoline_kernelINS0_14default_configENS1_25partition_config_selectorILNS1_17partition_subalgoE9EllbEEZZNS1_14partition_implILS5_9ELb0ES3_jPlS8_PNS0_10empty_typeENS0_5tupleIJS8_S9_EEENSB_IJS8_SA_EEENS0_18inequality_wrapperIZN2at6native12_GLOBAL__N_124unique_dim_cuda_templateIN3c104HalfEEESt5tupleIJNSF_6TensorESM_SM_EERKSM_lbbbEUlllE0_EEPmJS9_EEE10hipError_tPvRmT3_T4_T5_T6_T7_T9_mT8_P12ihipStream_tbDpT10_ENKUlT_T0_E_clISt17integral_constantIbLb0EES1C_EEDaS17_S18_EUlS17_E_NS1_11comp_targetILNS1_3genE4ELNS1_11target_archE910ELNS1_3gpuE8ELNS1_3repE0EEENS1_30default_config_static_selectorELNS0_4arch9wavefront6targetE0EEEvT1_
    .private_segment_fixed_size: 0
    .sgpr_count:     0
    .sgpr_spill_count: 0
    .symbol:         _ZN7rocprim17ROCPRIM_400000_NS6detail17trampoline_kernelINS0_14default_configENS1_25partition_config_selectorILNS1_17partition_subalgoE9EllbEEZZNS1_14partition_implILS5_9ELb0ES3_jPlS8_PNS0_10empty_typeENS0_5tupleIJS8_S9_EEENSB_IJS8_SA_EEENS0_18inequality_wrapperIZN2at6native12_GLOBAL__N_124unique_dim_cuda_templateIN3c104HalfEEESt5tupleIJNSF_6TensorESM_SM_EERKSM_lbbbEUlllE0_EEPmJS9_EEE10hipError_tPvRmT3_T4_T5_T6_T7_T9_mT8_P12ihipStream_tbDpT10_ENKUlT_T0_E_clISt17integral_constantIbLb0EES1C_EEDaS17_S18_EUlS17_E_NS1_11comp_targetILNS1_3genE4ELNS1_11target_archE910ELNS1_3gpuE8ELNS1_3repE0EEENS1_30default_config_static_selectorELNS0_4arch9wavefront6targetE0EEEvT1_.kd
    .uniform_work_group_size: 1
    .uses_dynamic_stack: false
    .vgpr_count:     0
    .vgpr_spill_count: 0
    .wavefront_size: 32
  - .args:
      - .offset:         0
        .size:           120
        .value_kind:     by_value
    .group_segment_fixed_size: 0
    .kernarg_segment_align: 8
    .kernarg_segment_size: 120
    .language:       OpenCL C
    .language_version:
      - 2
      - 0
    .max_flat_workgroup_size: 128
    .name:           _ZN7rocprim17ROCPRIM_400000_NS6detail17trampoline_kernelINS0_14default_configENS1_25partition_config_selectorILNS1_17partition_subalgoE9EllbEEZZNS1_14partition_implILS5_9ELb0ES3_jPlS8_PNS0_10empty_typeENS0_5tupleIJS8_S9_EEENSB_IJS8_SA_EEENS0_18inequality_wrapperIZN2at6native12_GLOBAL__N_124unique_dim_cuda_templateIN3c104HalfEEESt5tupleIJNSF_6TensorESM_SM_EERKSM_lbbbEUlllE0_EEPmJS9_EEE10hipError_tPvRmT3_T4_T5_T6_T7_T9_mT8_P12ihipStream_tbDpT10_ENKUlT_T0_E_clISt17integral_constantIbLb0EES1C_EEDaS17_S18_EUlS17_E_NS1_11comp_targetILNS1_3genE3ELNS1_11target_archE908ELNS1_3gpuE7ELNS1_3repE0EEENS1_30default_config_static_selectorELNS0_4arch9wavefront6targetE0EEEvT1_
    .private_segment_fixed_size: 0
    .sgpr_count:     0
    .sgpr_spill_count: 0
    .symbol:         _ZN7rocprim17ROCPRIM_400000_NS6detail17trampoline_kernelINS0_14default_configENS1_25partition_config_selectorILNS1_17partition_subalgoE9EllbEEZZNS1_14partition_implILS5_9ELb0ES3_jPlS8_PNS0_10empty_typeENS0_5tupleIJS8_S9_EEENSB_IJS8_SA_EEENS0_18inequality_wrapperIZN2at6native12_GLOBAL__N_124unique_dim_cuda_templateIN3c104HalfEEESt5tupleIJNSF_6TensorESM_SM_EERKSM_lbbbEUlllE0_EEPmJS9_EEE10hipError_tPvRmT3_T4_T5_T6_T7_T9_mT8_P12ihipStream_tbDpT10_ENKUlT_T0_E_clISt17integral_constantIbLb0EES1C_EEDaS17_S18_EUlS17_E_NS1_11comp_targetILNS1_3genE3ELNS1_11target_archE908ELNS1_3gpuE7ELNS1_3repE0EEENS1_30default_config_static_selectorELNS0_4arch9wavefront6targetE0EEEvT1_.kd
    .uniform_work_group_size: 1
    .uses_dynamic_stack: false
    .vgpr_count:     0
    .vgpr_spill_count: 0
    .wavefront_size: 32
  - .args:
      - .offset:         0
        .size:           120
        .value_kind:     by_value
    .group_segment_fixed_size: 0
    .kernarg_segment_align: 8
    .kernarg_segment_size: 120
    .language:       OpenCL C
    .language_version:
      - 2
      - 0
    .max_flat_workgroup_size: 192
    .name:           _ZN7rocprim17ROCPRIM_400000_NS6detail17trampoline_kernelINS0_14default_configENS1_25partition_config_selectorILNS1_17partition_subalgoE9EllbEEZZNS1_14partition_implILS5_9ELb0ES3_jPlS8_PNS0_10empty_typeENS0_5tupleIJS8_S9_EEENSB_IJS8_SA_EEENS0_18inequality_wrapperIZN2at6native12_GLOBAL__N_124unique_dim_cuda_templateIN3c104HalfEEESt5tupleIJNSF_6TensorESM_SM_EERKSM_lbbbEUlllE0_EEPmJS9_EEE10hipError_tPvRmT3_T4_T5_T6_T7_T9_mT8_P12ihipStream_tbDpT10_ENKUlT_T0_E_clISt17integral_constantIbLb0EES1C_EEDaS17_S18_EUlS17_E_NS1_11comp_targetILNS1_3genE2ELNS1_11target_archE906ELNS1_3gpuE6ELNS1_3repE0EEENS1_30default_config_static_selectorELNS0_4arch9wavefront6targetE0EEEvT1_
    .private_segment_fixed_size: 0
    .sgpr_count:     0
    .sgpr_spill_count: 0
    .symbol:         _ZN7rocprim17ROCPRIM_400000_NS6detail17trampoline_kernelINS0_14default_configENS1_25partition_config_selectorILNS1_17partition_subalgoE9EllbEEZZNS1_14partition_implILS5_9ELb0ES3_jPlS8_PNS0_10empty_typeENS0_5tupleIJS8_S9_EEENSB_IJS8_SA_EEENS0_18inequality_wrapperIZN2at6native12_GLOBAL__N_124unique_dim_cuda_templateIN3c104HalfEEESt5tupleIJNSF_6TensorESM_SM_EERKSM_lbbbEUlllE0_EEPmJS9_EEE10hipError_tPvRmT3_T4_T5_T6_T7_T9_mT8_P12ihipStream_tbDpT10_ENKUlT_T0_E_clISt17integral_constantIbLb0EES1C_EEDaS17_S18_EUlS17_E_NS1_11comp_targetILNS1_3genE2ELNS1_11target_archE906ELNS1_3gpuE6ELNS1_3repE0EEENS1_30default_config_static_selectorELNS0_4arch9wavefront6targetE0EEEvT1_.kd
    .uniform_work_group_size: 1
    .uses_dynamic_stack: false
    .vgpr_count:     0
    .vgpr_spill_count: 0
    .wavefront_size: 32
  - .args:
      - .offset:         0
        .size:           120
        .value_kind:     by_value
    .group_segment_fixed_size: 0
    .kernarg_segment_align: 8
    .kernarg_segment_size: 120
    .language:       OpenCL C
    .language_version:
      - 2
      - 0
    .max_flat_workgroup_size: 384
    .name:           _ZN7rocprim17ROCPRIM_400000_NS6detail17trampoline_kernelINS0_14default_configENS1_25partition_config_selectorILNS1_17partition_subalgoE9EllbEEZZNS1_14partition_implILS5_9ELb0ES3_jPlS8_PNS0_10empty_typeENS0_5tupleIJS8_S9_EEENSB_IJS8_SA_EEENS0_18inequality_wrapperIZN2at6native12_GLOBAL__N_124unique_dim_cuda_templateIN3c104HalfEEESt5tupleIJNSF_6TensorESM_SM_EERKSM_lbbbEUlllE0_EEPmJS9_EEE10hipError_tPvRmT3_T4_T5_T6_T7_T9_mT8_P12ihipStream_tbDpT10_ENKUlT_T0_E_clISt17integral_constantIbLb0EES1C_EEDaS17_S18_EUlS17_E_NS1_11comp_targetILNS1_3genE10ELNS1_11target_archE1200ELNS1_3gpuE4ELNS1_3repE0EEENS1_30default_config_static_selectorELNS0_4arch9wavefront6targetE0EEEvT1_
    .private_segment_fixed_size: 0
    .sgpr_count:     0
    .sgpr_spill_count: 0
    .symbol:         _ZN7rocprim17ROCPRIM_400000_NS6detail17trampoline_kernelINS0_14default_configENS1_25partition_config_selectorILNS1_17partition_subalgoE9EllbEEZZNS1_14partition_implILS5_9ELb0ES3_jPlS8_PNS0_10empty_typeENS0_5tupleIJS8_S9_EEENSB_IJS8_SA_EEENS0_18inequality_wrapperIZN2at6native12_GLOBAL__N_124unique_dim_cuda_templateIN3c104HalfEEESt5tupleIJNSF_6TensorESM_SM_EERKSM_lbbbEUlllE0_EEPmJS9_EEE10hipError_tPvRmT3_T4_T5_T6_T7_T9_mT8_P12ihipStream_tbDpT10_ENKUlT_T0_E_clISt17integral_constantIbLb0EES1C_EEDaS17_S18_EUlS17_E_NS1_11comp_targetILNS1_3genE10ELNS1_11target_archE1200ELNS1_3gpuE4ELNS1_3repE0EEENS1_30default_config_static_selectorELNS0_4arch9wavefront6targetE0EEEvT1_.kd
    .uniform_work_group_size: 1
    .uses_dynamic_stack: false
    .vgpr_count:     0
    .vgpr_spill_count: 0
    .wavefront_size: 32
  - .args:
      - .offset:         0
        .size:           120
        .value_kind:     by_value
    .group_segment_fixed_size: 0
    .kernarg_segment_align: 8
    .kernarg_segment_size: 120
    .language:       OpenCL C
    .language_version:
      - 2
      - 0
    .max_flat_workgroup_size: 512
    .name:           _ZN7rocprim17ROCPRIM_400000_NS6detail17trampoline_kernelINS0_14default_configENS1_25partition_config_selectorILNS1_17partition_subalgoE9EllbEEZZNS1_14partition_implILS5_9ELb0ES3_jPlS8_PNS0_10empty_typeENS0_5tupleIJS8_S9_EEENSB_IJS8_SA_EEENS0_18inequality_wrapperIZN2at6native12_GLOBAL__N_124unique_dim_cuda_templateIN3c104HalfEEESt5tupleIJNSF_6TensorESM_SM_EERKSM_lbbbEUlllE0_EEPmJS9_EEE10hipError_tPvRmT3_T4_T5_T6_T7_T9_mT8_P12ihipStream_tbDpT10_ENKUlT_T0_E_clISt17integral_constantIbLb0EES1C_EEDaS17_S18_EUlS17_E_NS1_11comp_targetILNS1_3genE9ELNS1_11target_archE1100ELNS1_3gpuE3ELNS1_3repE0EEENS1_30default_config_static_selectorELNS0_4arch9wavefront6targetE0EEEvT1_
    .private_segment_fixed_size: 0
    .sgpr_count:     0
    .sgpr_spill_count: 0
    .symbol:         _ZN7rocprim17ROCPRIM_400000_NS6detail17trampoline_kernelINS0_14default_configENS1_25partition_config_selectorILNS1_17partition_subalgoE9EllbEEZZNS1_14partition_implILS5_9ELb0ES3_jPlS8_PNS0_10empty_typeENS0_5tupleIJS8_S9_EEENSB_IJS8_SA_EEENS0_18inequality_wrapperIZN2at6native12_GLOBAL__N_124unique_dim_cuda_templateIN3c104HalfEEESt5tupleIJNSF_6TensorESM_SM_EERKSM_lbbbEUlllE0_EEPmJS9_EEE10hipError_tPvRmT3_T4_T5_T6_T7_T9_mT8_P12ihipStream_tbDpT10_ENKUlT_T0_E_clISt17integral_constantIbLb0EES1C_EEDaS17_S18_EUlS17_E_NS1_11comp_targetILNS1_3genE9ELNS1_11target_archE1100ELNS1_3gpuE3ELNS1_3repE0EEENS1_30default_config_static_selectorELNS0_4arch9wavefront6targetE0EEEvT1_.kd
    .uniform_work_group_size: 1
    .uses_dynamic_stack: false
    .vgpr_count:     0
    .vgpr_spill_count: 0
    .wavefront_size: 32
  - .args:
      - .offset:         0
        .size:           120
        .value_kind:     by_value
    .group_segment_fixed_size: 0
    .kernarg_segment_align: 8
    .kernarg_segment_size: 120
    .language:       OpenCL C
    .language_version:
      - 2
      - 0
    .max_flat_workgroup_size: 512
    .name:           _ZN7rocprim17ROCPRIM_400000_NS6detail17trampoline_kernelINS0_14default_configENS1_25partition_config_selectorILNS1_17partition_subalgoE9EllbEEZZNS1_14partition_implILS5_9ELb0ES3_jPlS8_PNS0_10empty_typeENS0_5tupleIJS8_S9_EEENSB_IJS8_SA_EEENS0_18inequality_wrapperIZN2at6native12_GLOBAL__N_124unique_dim_cuda_templateIN3c104HalfEEESt5tupleIJNSF_6TensorESM_SM_EERKSM_lbbbEUlllE0_EEPmJS9_EEE10hipError_tPvRmT3_T4_T5_T6_T7_T9_mT8_P12ihipStream_tbDpT10_ENKUlT_T0_E_clISt17integral_constantIbLb0EES1C_EEDaS17_S18_EUlS17_E_NS1_11comp_targetILNS1_3genE8ELNS1_11target_archE1030ELNS1_3gpuE2ELNS1_3repE0EEENS1_30default_config_static_selectorELNS0_4arch9wavefront6targetE0EEEvT1_
    .private_segment_fixed_size: 0
    .sgpr_count:     0
    .sgpr_spill_count: 0
    .symbol:         _ZN7rocprim17ROCPRIM_400000_NS6detail17trampoline_kernelINS0_14default_configENS1_25partition_config_selectorILNS1_17partition_subalgoE9EllbEEZZNS1_14partition_implILS5_9ELb0ES3_jPlS8_PNS0_10empty_typeENS0_5tupleIJS8_S9_EEENSB_IJS8_SA_EEENS0_18inequality_wrapperIZN2at6native12_GLOBAL__N_124unique_dim_cuda_templateIN3c104HalfEEESt5tupleIJNSF_6TensorESM_SM_EERKSM_lbbbEUlllE0_EEPmJS9_EEE10hipError_tPvRmT3_T4_T5_T6_T7_T9_mT8_P12ihipStream_tbDpT10_ENKUlT_T0_E_clISt17integral_constantIbLb0EES1C_EEDaS17_S18_EUlS17_E_NS1_11comp_targetILNS1_3genE8ELNS1_11target_archE1030ELNS1_3gpuE2ELNS1_3repE0EEENS1_30default_config_static_selectorELNS0_4arch9wavefront6targetE0EEEvT1_.kd
    .uniform_work_group_size: 1
    .uses_dynamic_stack: false
    .vgpr_count:     0
    .vgpr_spill_count: 0
    .wavefront_size: 32
  - .args:
      - .offset:         0
        .size:           136
        .value_kind:     by_value
    .group_segment_fixed_size: 0
    .kernarg_segment_align: 8
    .kernarg_segment_size: 136
    .language:       OpenCL C
    .language_version:
      - 2
      - 0
    .max_flat_workgroup_size: 128
    .name:           _ZN7rocprim17ROCPRIM_400000_NS6detail17trampoline_kernelINS0_14default_configENS1_25partition_config_selectorILNS1_17partition_subalgoE9EllbEEZZNS1_14partition_implILS5_9ELb0ES3_jPlS8_PNS0_10empty_typeENS0_5tupleIJS8_S9_EEENSB_IJS8_SA_EEENS0_18inequality_wrapperIZN2at6native12_GLOBAL__N_124unique_dim_cuda_templateIN3c104HalfEEESt5tupleIJNSF_6TensorESM_SM_EERKSM_lbbbEUlllE0_EEPmJS9_EEE10hipError_tPvRmT3_T4_T5_T6_T7_T9_mT8_P12ihipStream_tbDpT10_ENKUlT_T0_E_clISt17integral_constantIbLb1EES1C_EEDaS17_S18_EUlS17_E_NS1_11comp_targetILNS1_3genE0ELNS1_11target_archE4294967295ELNS1_3gpuE0ELNS1_3repE0EEENS1_30default_config_static_selectorELNS0_4arch9wavefront6targetE0EEEvT1_
    .private_segment_fixed_size: 0
    .sgpr_count:     0
    .sgpr_spill_count: 0
    .symbol:         _ZN7rocprim17ROCPRIM_400000_NS6detail17trampoline_kernelINS0_14default_configENS1_25partition_config_selectorILNS1_17partition_subalgoE9EllbEEZZNS1_14partition_implILS5_9ELb0ES3_jPlS8_PNS0_10empty_typeENS0_5tupleIJS8_S9_EEENSB_IJS8_SA_EEENS0_18inequality_wrapperIZN2at6native12_GLOBAL__N_124unique_dim_cuda_templateIN3c104HalfEEESt5tupleIJNSF_6TensorESM_SM_EERKSM_lbbbEUlllE0_EEPmJS9_EEE10hipError_tPvRmT3_T4_T5_T6_T7_T9_mT8_P12ihipStream_tbDpT10_ENKUlT_T0_E_clISt17integral_constantIbLb1EES1C_EEDaS17_S18_EUlS17_E_NS1_11comp_targetILNS1_3genE0ELNS1_11target_archE4294967295ELNS1_3gpuE0ELNS1_3repE0EEENS1_30default_config_static_selectorELNS0_4arch9wavefront6targetE0EEEvT1_.kd
    .uniform_work_group_size: 1
    .uses_dynamic_stack: false
    .vgpr_count:     0
    .vgpr_spill_count: 0
    .wavefront_size: 32
  - .args:
      - .offset:         0
        .size:           136
        .value_kind:     by_value
    .group_segment_fixed_size: 0
    .kernarg_segment_align: 8
    .kernarg_segment_size: 136
    .language:       OpenCL C
    .language_version:
      - 2
      - 0
    .max_flat_workgroup_size: 512
    .name:           _ZN7rocprim17ROCPRIM_400000_NS6detail17trampoline_kernelINS0_14default_configENS1_25partition_config_selectorILNS1_17partition_subalgoE9EllbEEZZNS1_14partition_implILS5_9ELb0ES3_jPlS8_PNS0_10empty_typeENS0_5tupleIJS8_S9_EEENSB_IJS8_SA_EEENS0_18inequality_wrapperIZN2at6native12_GLOBAL__N_124unique_dim_cuda_templateIN3c104HalfEEESt5tupleIJNSF_6TensorESM_SM_EERKSM_lbbbEUlllE0_EEPmJS9_EEE10hipError_tPvRmT3_T4_T5_T6_T7_T9_mT8_P12ihipStream_tbDpT10_ENKUlT_T0_E_clISt17integral_constantIbLb1EES1C_EEDaS17_S18_EUlS17_E_NS1_11comp_targetILNS1_3genE5ELNS1_11target_archE942ELNS1_3gpuE9ELNS1_3repE0EEENS1_30default_config_static_selectorELNS0_4arch9wavefront6targetE0EEEvT1_
    .private_segment_fixed_size: 0
    .sgpr_count:     0
    .sgpr_spill_count: 0
    .symbol:         _ZN7rocprim17ROCPRIM_400000_NS6detail17trampoline_kernelINS0_14default_configENS1_25partition_config_selectorILNS1_17partition_subalgoE9EllbEEZZNS1_14partition_implILS5_9ELb0ES3_jPlS8_PNS0_10empty_typeENS0_5tupleIJS8_S9_EEENSB_IJS8_SA_EEENS0_18inequality_wrapperIZN2at6native12_GLOBAL__N_124unique_dim_cuda_templateIN3c104HalfEEESt5tupleIJNSF_6TensorESM_SM_EERKSM_lbbbEUlllE0_EEPmJS9_EEE10hipError_tPvRmT3_T4_T5_T6_T7_T9_mT8_P12ihipStream_tbDpT10_ENKUlT_T0_E_clISt17integral_constantIbLb1EES1C_EEDaS17_S18_EUlS17_E_NS1_11comp_targetILNS1_3genE5ELNS1_11target_archE942ELNS1_3gpuE9ELNS1_3repE0EEENS1_30default_config_static_selectorELNS0_4arch9wavefront6targetE0EEEvT1_.kd
    .uniform_work_group_size: 1
    .uses_dynamic_stack: false
    .vgpr_count:     0
    .vgpr_spill_count: 0
    .wavefront_size: 32
  - .args:
      - .offset:         0
        .size:           136
        .value_kind:     by_value
    .group_segment_fixed_size: 0
    .kernarg_segment_align: 8
    .kernarg_segment_size: 136
    .language:       OpenCL C
    .language_version:
      - 2
      - 0
    .max_flat_workgroup_size: 128
    .name:           _ZN7rocprim17ROCPRIM_400000_NS6detail17trampoline_kernelINS0_14default_configENS1_25partition_config_selectorILNS1_17partition_subalgoE9EllbEEZZNS1_14partition_implILS5_9ELb0ES3_jPlS8_PNS0_10empty_typeENS0_5tupleIJS8_S9_EEENSB_IJS8_SA_EEENS0_18inequality_wrapperIZN2at6native12_GLOBAL__N_124unique_dim_cuda_templateIN3c104HalfEEESt5tupleIJNSF_6TensorESM_SM_EERKSM_lbbbEUlllE0_EEPmJS9_EEE10hipError_tPvRmT3_T4_T5_T6_T7_T9_mT8_P12ihipStream_tbDpT10_ENKUlT_T0_E_clISt17integral_constantIbLb1EES1C_EEDaS17_S18_EUlS17_E_NS1_11comp_targetILNS1_3genE4ELNS1_11target_archE910ELNS1_3gpuE8ELNS1_3repE0EEENS1_30default_config_static_selectorELNS0_4arch9wavefront6targetE0EEEvT1_
    .private_segment_fixed_size: 0
    .sgpr_count:     0
    .sgpr_spill_count: 0
    .symbol:         _ZN7rocprim17ROCPRIM_400000_NS6detail17trampoline_kernelINS0_14default_configENS1_25partition_config_selectorILNS1_17partition_subalgoE9EllbEEZZNS1_14partition_implILS5_9ELb0ES3_jPlS8_PNS0_10empty_typeENS0_5tupleIJS8_S9_EEENSB_IJS8_SA_EEENS0_18inequality_wrapperIZN2at6native12_GLOBAL__N_124unique_dim_cuda_templateIN3c104HalfEEESt5tupleIJNSF_6TensorESM_SM_EERKSM_lbbbEUlllE0_EEPmJS9_EEE10hipError_tPvRmT3_T4_T5_T6_T7_T9_mT8_P12ihipStream_tbDpT10_ENKUlT_T0_E_clISt17integral_constantIbLb1EES1C_EEDaS17_S18_EUlS17_E_NS1_11comp_targetILNS1_3genE4ELNS1_11target_archE910ELNS1_3gpuE8ELNS1_3repE0EEENS1_30default_config_static_selectorELNS0_4arch9wavefront6targetE0EEEvT1_.kd
    .uniform_work_group_size: 1
    .uses_dynamic_stack: false
    .vgpr_count:     0
    .vgpr_spill_count: 0
    .wavefront_size: 32
  - .args:
      - .offset:         0
        .size:           136
        .value_kind:     by_value
    .group_segment_fixed_size: 0
    .kernarg_segment_align: 8
    .kernarg_segment_size: 136
    .language:       OpenCL C
    .language_version:
      - 2
      - 0
    .max_flat_workgroup_size: 128
    .name:           _ZN7rocprim17ROCPRIM_400000_NS6detail17trampoline_kernelINS0_14default_configENS1_25partition_config_selectorILNS1_17partition_subalgoE9EllbEEZZNS1_14partition_implILS5_9ELb0ES3_jPlS8_PNS0_10empty_typeENS0_5tupleIJS8_S9_EEENSB_IJS8_SA_EEENS0_18inequality_wrapperIZN2at6native12_GLOBAL__N_124unique_dim_cuda_templateIN3c104HalfEEESt5tupleIJNSF_6TensorESM_SM_EERKSM_lbbbEUlllE0_EEPmJS9_EEE10hipError_tPvRmT3_T4_T5_T6_T7_T9_mT8_P12ihipStream_tbDpT10_ENKUlT_T0_E_clISt17integral_constantIbLb1EES1C_EEDaS17_S18_EUlS17_E_NS1_11comp_targetILNS1_3genE3ELNS1_11target_archE908ELNS1_3gpuE7ELNS1_3repE0EEENS1_30default_config_static_selectorELNS0_4arch9wavefront6targetE0EEEvT1_
    .private_segment_fixed_size: 0
    .sgpr_count:     0
    .sgpr_spill_count: 0
    .symbol:         _ZN7rocprim17ROCPRIM_400000_NS6detail17trampoline_kernelINS0_14default_configENS1_25partition_config_selectorILNS1_17partition_subalgoE9EllbEEZZNS1_14partition_implILS5_9ELb0ES3_jPlS8_PNS0_10empty_typeENS0_5tupleIJS8_S9_EEENSB_IJS8_SA_EEENS0_18inequality_wrapperIZN2at6native12_GLOBAL__N_124unique_dim_cuda_templateIN3c104HalfEEESt5tupleIJNSF_6TensorESM_SM_EERKSM_lbbbEUlllE0_EEPmJS9_EEE10hipError_tPvRmT3_T4_T5_T6_T7_T9_mT8_P12ihipStream_tbDpT10_ENKUlT_T0_E_clISt17integral_constantIbLb1EES1C_EEDaS17_S18_EUlS17_E_NS1_11comp_targetILNS1_3genE3ELNS1_11target_archE908ELNS1_3gpuE7ELNS1_3repE0EEENS1_30default_config_static_selectorELNS0_4arch9wavefront6targetE0EEEvT1_.kd
    .uniform_work_group_size: 1
    .uses_dynamic_stack: false
    .vgpr_count:     0
    .vgpr_spill_count: 0
    .wavefront_size: 32
  - .args:
      - .offset:         0
        .size:           136
        .value_kind:     by_value
    .group_segment_fixed_size: 0
    .kernarg_segment_align: 8
    .kernarg_segment_size: 136
    .language:       OpenCL C
    .language_version:
      - 2
      - 0
    .max_flat_workgroup_size: 192
    .name:           _ZN7rocprim17ROCPRIM_400000_NS6detail17trampoline_kernelINS0_14default_configENS1_25partition_config_selectorILNS1_17partition_subalgoE9EllbEEZZNS1_14partition_implILS5_9ELb0ES3_jPlS8_PNS0_10empty_typeENS0_5tupleIJS8_S9_EEENSB_IJS8_SA_EEENS0_18inequality_wrapperIZN2at6native12_GLOBAL__N_124unique_dim_cuda_templateIN3c104HalfEEESt5tupleIJNSF_6TensorESM_SM_EERKSM_lbbbEUlllE0_EEPmJS9_EEE10hipError_tPvRmT3_T4_T5_T6_T7_T9_mT8_P12ihipStream_tbDpT10_ENKUlT_T0_E_clISt17integral_constantIbLb1EES1C_EEDaS17_S18_EUlS17_E_NS1_11comp_targetILNS1_3genE2ELNS1_11target_archE906ELNS1_3gpuE6ELNS1_3repE0EEENS1_30default_config_static_selectorELNS0_4arch9wavefront6targetE0EEEvT1_
    .private_segment_fixed_size: 0
    .sgpr_count:     0
    .sgpr_spill_count: 0
    .symbol:         _ZN7rocprim17ROCPRIM_400000_NS6detail17trampoline_kernelINS0_14default_configENS1_25partition_config_selectorILNS1_17partition_subalgoE9EllbEEZZNS1_14partition_implILS5_9ELb0ES3_jPlS8_PNS0_10empty_typeENS0_5tupleIJS8_S9_EEENSB_IJS8_SA_EEENS0_18inequality_wrapperIZN2at6native12_GLOBAL__N_124unique_dim_cuda_templateIN3c104HalfEEESt5tupleIJNSF_6TensorESM_SM_EERKSM_lbbbEUlllE0_EEPmJS9_EEE10hipError_tPvRmT3_T4_T5_T6_T7_T9_mT8_P12ihipStream_tbDpT10_ENKUlT_T0_E_clISt17integral_constantIbLb1EES1C_EEDaS17_S18_EUlS17_E_NS1_11comp_targetILNS1_3genE2ELNS1_11target_archE906ELNS1_3gpuE6ELNS1_3repE0EEENS1_30default_config_static_selectorELNS0_4arch9wavefront6targetE0EEEvT1_.kd
    .uniform_work_group_size: 1
    .uses_dynamic_stack: false
    .vgpr_count:     0
    .vgpr_spill_count: 0
    .wavefront_size: 32
  - .args:
      - .offset:         0
        .size:           136
        .value_kind:     by_value
    .group_segment_fixed_size: 0
    .kernarg_segment_align: 8
    .kernarg_segment_size: 136
    .language:       OpenCL C
    .language_version:
      - 2
      - 0
    .max_flat_workgroup_size: 384
    .name:           _ZN7rocprim17ROCPRIM_400000_NS6detail17trampoline_kernelINS0_14default_configENS1_25partition_config_selectorILNS1_17partition_subalgoE9EllbEEZZNS1_14partition_implILS5_9ELb0ES3_jPlS8_PNS0_10empty_typeENS0_5tupleIJS8_S9_EEENSB_IJS8_SA_EEENS0_18inequality_wrapperIZN2at6native12_GLOBAL__N_124unique_dim_cuda_templateIN3c104HalfEEESt5tupleIJNSF_6TensorESM_SM_EERKSM_lbbbEUlllE0_EEPmJS9_EEE10hipError_tPvRmT3_T4_T5_T6_T7_T9_mT8_P12ihipStream_tbDpT10_ENKUlT_T0_E_clISt17integral_constantIbLb1EES1C_EEDaS17_S18_EUlS17_E_NS1_11comp_targetILNS1_3genE10ELNS1_11target_archE1200ELNS1_3gpuE4ELNS1_3repE0EEENS1_30default_config_static_selectorELNS0_4arch9wavefront6targetE0EEEvT1_
    .private_segment_fixed_size: 0
    .sgpr_count:     0
    .sgpr_spill_count: 0
    .symbol:         _ZN7rocprim17ROCPRIM_400000_NS6detail17trampoline_kernelINS0_14default_configENS1_25partition_config_selectorILNS1_17partition_subalgoE9EllbEEZZNS1_14partition_implILS5_9ELb0ES3_jPlS8_PNS0_10empty_typeENS0_5tupleIJS8_S9_EEENSB_IJS8_SA_EEENS0_18inequality_wrapperIZN2at6native12_GLOBAL__N_124unique_dim_cuda_templateIN3c104HalfEEESt5tupleIJNSF_6TensorESM_SM_EERKSM_lbbbEUlllE0_EEPmJS9_EEE10hipError_tPvRmT3_T4_T5_T6_T7_T9_mT8_P12ihipStream_tbDpT10_ENKUlT_T0_E_clISt17integral_constantIbLb1EES1C_EEDaS17_S18_EUlS17_E_NS1_11comp_targetILNS1_3genE10ELNS1_11target_archE1200ELNS1_3gpuE4ELNS1_3repE0EEENS1_30default_config_static_selectorELNS0_4arch9wavefront6targetE0EEEvT1_.kd
    .uniform_work_group_size: 1
    .uses_dynamic_stack: false
    .vgpr_count:     0
    .vgpr_spill_count: 0
    .wavefront_size: 32
  - .args:
      - .offset:         0
        .size:           136
        .value_kind:     by_value
    .group_segment_fixed_size: 0
    .kernarg_segment_align: 8
    .kernarg_segment_size: 136
    .language:       OpenCL C
    .language_version:
      - 2
      - 0
    .max_flat_workgroup_size: 512
    .name:           _ZN7rocprim17ROCPRIM_400000_NS6detail17trampoline_kernelINS0_14default_configENS1_25partition_config_selectorILNS1_17partition_subalgoE9EllbEEZZNS1_14partition_implILS5_9ELb0ES3_jPlS8_PNS0_10empty_typeENS0_5tupleIJS8_S9_EEENSB_IJS8_SA_EEENS0_18inequality_wrapperIZN2at6native12_GLOBAL__N_124unique_dim_cuda_templateIN3c104HalfEEESt5tupleIJNSF_6TensorESM_SM_EERKSM_lbbbEUlllE0_EEPmJS9_EEE10hipError_tPvRmT3_T4_T5_T6_T7_T9_mT8_P12ihipStream_tbDpT10_ENKUlT_T0_E_clISt17integral_constantIbLb1EES1C_EEDaS17_S18_EUlS17_E_NS1_11comp_targetILNS1_3genE9ELNS1_11target_archE1100ELNS1_3gpuE3ELNS1_3repE0EEENS1_30default_config_static_selectorELNS0_4arch9wavefront6targetE0EEEvT1_
    .private_segment_fixed_size: 0
    .sgpr_count:     0
    .sgpr_spill_count: 0
    .symbol:         _ZN7rocprim17ROCPRIM_400000_NS6detail17trampoline_kernelINS0_14default_configENS1_25partition_config_selectorILNS1_17partition_subalgoE9EllbEEZZNS1_14partition_implILS5_9ELb0ES3_jPlS8_PNS0_10empty_typeENS0_5tupleIJS8_S9_EEENSB_IJS8_SA_EEENS0_18inequality_wrapperIZN2at6native12_GLOBAL__N_124unique_dim_cuda_templateIN3c104HalfEEESt5tupleIJNSF_6TensorESM_SM_EERKSM_lbbbEUlllE0_EEPmJS9_EEE10hipError_tPvRmT3_T4_T5_T6_T7_T9_mT8_P12ihipStream_tbDpT10_ENKUlT_T0_E_clISt17integral_constantIbLb1EES1C_EEDaS17_S18_EUlS17_E_NS1_11comp_targetILNS1_3genE9ELNS1_11target_archE1100ELNS1_3gpuE3ELNS1_3repE0EEENS1_30default_config_static_selectorELNS0_4arch9wavefront6targetE0EEEvT1_.kd
    .uniform_work_group_size: 1
    .uses_dynamic_stack: false
    .vgpr_count:     0
    .vgpr_spill_count: 0
    .wavefront_size: 32
  - .args:
      - .offset:         0
        .size:           136
        .value_kind:     by_value
    .group_segment_fixed_size: 0
    .kernarg_segment_align: 8
    .kernarg_segment_size: 136
    .language:       OpenCL C
    .language_version:
      - 2
      - 0
    .max_flat_workgroup_size: 512
    .name:           _ZN7rocprim17ROCPRIM_400000_NS6detail17trampoline_kernelINS0_14default_configENS1_25partition_config_selectorILNS1_17partition_subalgoE9EllbEEZZNS1_14partition_implILS5_9ELb0ES3_jPlS8_PNS0_10empty_typeENS0_5tupleIJS8_S9_EEENSB_IJS8_SA_EEENS0_18inequality_wrapperIZN2at6native12_GLOBAL__N_124unique_dim_cuda_templateIN3c104HalfEEESt5tupleIJNSF_6TensorESM_SM_EERKSM_lbbbEUlllE0_EEPmJS9_EEE10hipError_tPvRmT3_T4_T5_T6_T7_T9_mT8_P12ihipStream_tbDpT10_ENKUlT_T0_E_clISt17integral_constantIbLb1EES1C_EEDaS17_S18_EUlS17_E_NS1_11comp_targetILNS1_3genE8ELNS1_11target_archE1030ELNS1_3gpuE2ELNS1_3repE0EEENS1_30default_config_static_selectorELNS0_4arch9wavefront6targetE0EEEvT1_
    .private_segment_fixed_size: 0
    .sgpr_count:     0
    .sgpr_spill_count: 0
    .symbol:         _ZN7rocprim17ROCPRIM_400000_NS6detail17trampoline_kernelINS0_14default_configENS1_25partition_config_selectorILNS1_17partition_subalgoE9EllbEEZZNS1_14partition_implILS5_9ELb0ES3_jPlS8_PNS0_10empty_typeENS0_5tupleIJS8_S9_EEENSB_IJS8_SA_EEENS0_18inequality_wrapperIZN2at6native12_GLOBAL__N_124unique_dim_cuda_templateIN3c104HalfEEESt5tupleIJNSF_6TensorESM_SM_EERKSM_lbbbEUlllE0_EEPmJS9_EEE10hipError_tPvRmT3_T4_T5_T6_T7_T9_mT8_P12ihipStream_tbDpT10_ENKUlT_T0_E_clISt17integral_constantIbLb1EES1C_EEDaS17_S18_EUlS17_E_NS1_11comp_targetILNS1_3genE8ELNS1_11target_archE1030ELNS1_3gpuE2ELNS1_3repE0EEENS1_30default_config_static_selectorELNS0_4arch9wavefront6targetE0EEEvT1_.kd
    .uniform_work_group_size: 1
    .uses_dynamic_stack: false
    .vgpr_count:     0
    .vgpr_spill_count: 0
    .wavefront_size: 32
  - .args:
      - .offset:         0
        .size:           120
        .value_kind:     by_value
    .group_segment_fixed_size: 0
    .kernarg_segment_align: 8
    .kernarg_segment_size: 120
    .language:       OpenCL C
    .language_version:
      - 2
      - 0
    .max_flat_workgroup_size: 128
    .name:           _ZN7rocprim17ROCPRIM_400000_NS6detail17trampoline_kernelINS0_14default_configENS1_25partition_config_selectorILNS1_17partition_subalgoE9EllbEEZZNS1_14partition_implILS5_9ELb0ES3_jPlS8_PNS0_10empty_typeENS0_5tupleIJS8_S9_EEENSB_IJS8_SA_EEENS0_18inequality_wrapperIZN2at6native12_GLOBAL__N_124unique_dim_cuda_templateIN3c104HalfEEESt5tupleIJNSF_6TensorESM_SM_EERKSM_lbbbEUlllE0_EEPmJS9_EEE10hipError_tPvRmT3_T4_T5_T6_T7_T9_mT8_P12ihipStream_tbDpT10_ENKUlT_T0_E_clISt17integral_constantIbLb1EES1B_IbLb0EEEEDaS17_S18_EUlS17_E_NS1_11comp_targetILNS1_3genE0ELNS1_11target_archE4294967295ELNS1_3gpuE0ELNS1_3repE0EEENS1_30default_config_static_selectorELNS0_4arch9wavefront6targetE0EEEvT1_
    .private_segment_fixed_size: 0
    .sgpr_count:     0
    .sgpr_spill_count: 0
    .symbol:         _ZN7rocprim17ROCPRIM_400000_NS6detail17trampoline_kernelINS0_14default_configENS1_25partition_config_selectorILNS1_17partition_subalgoE9EllbEEZZNS1_14partition_implILS5_9ELb0ES3_jPlS8_PNS0_10empty_typeENS0_5tupleIJS8_S9_EEENSB_IJS8_SA_EEENS0_18inequality_wrapperIZN2at6native12_GLOBAL__N_124unique_dim_cuda_templateIN3c104HalfEEESt5tupleIJNSF_6TensorESM_SM_EERKSM_lbbbEUlllE0_EEPmJS9_EEE10hipError_tPvRmT3_T4_T5_T6_T7_T9_mT8_P12ihipStream_tbDpT10_ENKUlT_T0_E_clISt17integral_constantIbLb1EES1B_IbLb0EEEEDaS17_S18_EUlS17_E_NS1_11comp_targetILNS1_3genE0ELNS1_11target_archE4294967295ELNS1_3gpuE0ELNS1_3repE0EEENS1_30default_config_static_selectorELNS0_4arch9wavefront6targetE0EEEvT1_.kd
    .uniform_work_group_size: 1
    .uses_dynamic_stack: false
    .vgpr_count:     0
    .vgpr_spill_count: 0
    .wavefront_size: 32
  - .args:
      - .offset:         0
        .size:           120
        .value_kind:     by_value
    .group_segment_fixed_size: 0
    .kernarg_segment_align: 8
    .kernarg_segment_size: 120
    .language:       OpenCL C
    .language_version:
      - 2
      - 0
    .max_flat_workgroup_size: 512
    .name:           _ZN7rocprim17ROCPRIM_400000_NS6detail17trampoline_kernelINS0_14default_configENS1_25partition_config_selectorILNS1_17partition_subalgoE9EllbEEZZNS1_14partition_implILS5_9ELb0ES3_jPlS8_PNS0_10empty_typeENS0_5tupleIJS8_S9_EEENSB_IJS8_SA_EEENS0_18inequality_wrapperIZN2at6native12_GLOBAL__N_124unique_dim_cuda_templateIN3c104HalfEEESt5tupleIJNSF_6TensorESM_SM_EERKSM_lbbbEUlllE0_EEPmJS9_EEE10hipError_tPvRmT3_T4_T5_T6_T7_T9_mT8_P12ihipStream_tbDpT10_ENKUlT_T0_E_clISt17integral_constantIbLb1EES1B_IbLb0EEEEDaS17_S18_EUlS17_E_NS1_11comp_targetILNS1_3genE5ELNS1_11target_archE942ELNS1_3gpuE9ELNS1_3repE0EEENS1_30default_config_static_selectorELNS0_4arch9wavefront6targetE0EEEvT1_
    .private_segment_fixed_size: 0
    .sgpr_count:     0
    .sgpr_spill_count: 0
    .symbol:         _ZN7rocprim17ROCPRIM_400000_NS6detail17trampoline_kernelINS0_14default_configENS1_25partition_config_selectorILNS1_17partition_subalgoE9EllbEEZZNS1_14partition_implILS5_9ELb0ES3_jPlS8_PNS0_10empty_typeENS0_5tupleIJS8_S9_EEENSB_IJS8_SA_EEENS0_18inequality_wrapperIZN2at6native12_GLOBAL__N_124unique_dim_cuda_templateIN3c104HalfEEESt5tupleIJNSF_6TensorESM_SM_EERKSM_lbbbEUlllE0_EEPmJS9_EEE10hipError_tPvRmT3_T4_T5_T6_T7_T9_mT8_P12ihipStream_tbDpT10_ENKUlT_T0_E_clISt17integral_constantIbLb1EES1B_IbLb0EEEEDaS17_S18_EUlS17_E_NS1_11comp_targetILNS1_3genE5ELNS1_11target_archE942ELNS1_3gpuE9ELNS1_3repE0EEENS1_30default_config_static_selectorELNS0_4arch9wavefront6targetE0EEEvT1_.kd
    .uniform_work_group_size: 1
    .uses_dynamic_stack: false
    .vgpr_count:     0
    .vgpr_spill_count: 0
    .wavefront_size: 32
  - .args:
      - .offset:         0
        .size:           120
        .value_kind:     by_value
    .group_segment_fixed_size: 0
    .kernarg_segment_align: 8
    .kernarg_segment_size: 120
    .language:       OpenCL C
    .language_version:
      - 2
      - 0
    .max_flat_workgroup_size: 128
    .name:           _ZN7rocprim17ROCPRIM_400000_NS6detail17trampoline_kernelINS0_14default_configENS1_25partition_config_selectorILNS1_17partition_subalgoE9EllbEEZZNS1_14partition_implILS5_9ELb0ES3_jPlS8_PNS0_10empty_typeENS0_5tupleIJS8_S9_EEENSB_IJS8_SA_EEENS0_18inequality_wrapperIZN2at6native12_GLOBAL__N_124unique_dim_cuda_templateIN3c104HalfEEESt5tupleIJNSF_6TensorESM_SM_EERKSM_lbbbEUlllE0_EEPmJS9_EEE10hipError_tPvRmT3_T4_T5_T6_T7_T9_mT8_P12ihipStream_tbDpT10_ENKUlT_T0_E_clISt17integral_constantIbLb1EES1B_IbLb0EEEEDaS17_S18_EUlS17_E_NS1_11comp_targetILNS1_3genE4ELNS1_11target_archE910ELNS1_3gpuE8ELNS1_3repE0EEENS1_30default_config_static_selectorELNS0_4arch9wavefront6targetE0EEEvT1_
    .private_segment_fixed_size: 0
    .sgpr_count:     0
    .sgpr_spill_count: 0
    .symbol:         _ZN7rocprim17ROCPRIM_400000_NS6detail17trampoline_kernelINS0_14default_configENS1_25partition_config_selectorILNS1_17partition_subalgoE9EllbEEZZNS1_14partition_implILS5_9ELb0ES3_jPlS8_PNS0_10empty_typeENS0_5tupleIJS8_S9_EEENSB_IJS8_SA_EEENS0_18inequality_wrapperIZN2at6native12_GLOBAL__N_124unique_dim_cuda_templateIN3c104HalfEEESt5tupleIJNSF_6TensorESM_SM_EERKSM_lbbbEUlllE0_EEPmJS9_EEE10hipError_tPvRmT3_T4_T5_T6_T7_T9_mT8_P12ihipStream_tbDpT10_ENKUlT_T0_E_clISt17integral_constantIbLb1EES1B_IbLb0EEEEDaS17_S18_EUlS17_E_NS1_11comp_targetILNS1_3genE4ELNS1_11target_archE910ELNS1_3gpuE8ELNS1_3repE0EEENS1_30default_config_static_selectorELNS0_4arch9wavefront6targetE0EEEvT1_.kd
    .uniform_work_group_size: 1
    .uses_dynamic_stack: false
    .vgpr_count:     0
    .vgpr_spill_count: 0
    .wavefront_size: 32
  - .args:
      - .offset:         0
        .size:           120
        .value_kind:     by_value
    .group_segment_fixed_size: 0
    .kernarg_segment_align: 8
    .kernarg_segment_size: 120
    .language:       OpenCL C
    .language_version:
      - 2
      - 0
    .max_flat_workgroup_size: 128
    .name:           _ZN7rocprim17ROCPRIM_400000_NS6detail17trampoline_kernelINS0_14default_configENS1_25partition_config_selectorILNS1_17partition_subalgoE9EllbEEZZNS1_14partition_implILS5_9ELb0ES3_jPlS8_PNS0_10empty_typeENS0_5tupleIJS8_S9_EEENSB_IJS8_SA_EEENS0_18inequality_wrapperIZN2at6native12_GLOBAL__N_124unique_dim_cuda_templateIN3c104HalfEEESt5tupleIJNSF_6TensorESM_SM_EERKSM_lbbbEUlllE0_EEPmJS9_EEE10hipError_tPvRmT3_T4_T5_T6_T7_T9_mT8_P12ihipStream_tbDpT10_ENKUlT_T0_E_clISt17integral_constantIbLb1EES1B_IbLb0EEEEDaS17_S18_EUlS17_E_NS1_11comp_targetILNS1_3genE3ELNS1_11target_archE908ELNS1_3gpuE7ELNS1_3repE0EEENS1_30default_config_static_selectorELNS0_4arch9wavefront6targetE0EEEvT1_
    .private_segment_fixed_size: 0
    .sgpr_count:     0
    .sgpr_spill_count: 0
    .symbol:         _ZN7rocprim17ROCPRIM_400000_NS6detail17trampoline_kernelINS0_14default_configENS1_25partition_config_selectorILNS1_17partition_subalgoE9EllbEEZZNS1_14partition_implILS5_9ELb0ES3_jPlS8_PNS0_10empty_typeENS0_5tupleIJS8_S9_EEENSB_IJS8_SA_EEENS0_18inequality_wrapperIZN2at6native12_GLOBAL__N_124unique_dim_cuda_templateIN3c104HalfEEESt5tupleIJNSF_6TensorESM_SM_EERKSM_lbbbEUlllE0_EEPmJS9_EEE10hipError_tPvRmT3_T4_T5_T6_T7_T9_mT8_P12ihipStream_tbDpT10_ENKUlT_T0_E_clISt17integral_constantIbLb1EES1B_IbLb0EEEEDaS17_S18_EUlS17_E_NS1_11comp_targetILNS1_3genE3ELNS1_11target_archE908ELNS1_3gpuE7ELNS1_3repE0EEENS1_30default_config_static_selectorELNS0_4arch9wavefront6targetE0EEEvT1_.kd
    .uniform_work_group_size: 1
    .uses_dynamic_stack: false
    .vgpr_count:     0
    .vgpr_spill_count: 0
    .wavefront_size: 32
  - .args:
      - .offset:         0
        .size:           120
        .value_kind:     by_value
    .group_segment_fixed_size: 0
    .kernarg_segment_align: 8
    .kernarg_segment_size: 120
    .language:       OpenCL C
    .language_version:
      - 2
      - 0
    .max_flat_workgroup_size: 192
    .name:           _ZN7rocprim17ROCPRIM_400000_NS6detail17trampoline_kernelINS0_14default_configENS1_25partition_config_selectorILNS1_17partition_subalgoE9EllbEEZZNS1_14partition_implILS5_9ELb0ES3_jPlS8_PNS0_10empty_typeENS0_5tupleIJS8_S9_EEENSB_IJS8_SA_EEENS0_18inequality_wrapperIZN2at6native12_GLOBAL__N_124unique_dim_cuda_templateIN3c104HalfEEESt5tupleIJNSF_6TensorESM_SM_EERKSM_lbbbEUlllE0_EEPmJS9_EEE10hipError_tPvRmT3_T4_T5_T6_T7_T9_mT8_P12ihipStream_tbDpT10_ENKUlT_T0_E_clISt17integral_constantIbLb1EES1B_IbLb0EEEEDaS17_S18_EUlS17_E_NS1_11comp_targetILNS1_3genE2ELNS1_11target_archE906ELNS1_3gpuE6ELNS1_3repE0EEENS1_30default_config_static_selectorELNS0_4arch9wavefront6targetE0EEEvT1_
    .private_segment_fixed_size: 0
    .sgpr_count:     0
    .sgpr_spill_count: 0
    .symbol:         _ZN7rocprim17ROCPRIM_400000_NS6detail17trampoline_kernelINS0_14default_configENS1_25partition_config_selectorILNS1_17partition_subalgoE9EllbEEZZNS1_14partition_implILS5_9ELb0ES3_jPlS8_PNS0_10empty_typeENS0_5tupleIJS8_S9_EEENSB_IJS8_SA_EEENS0_18inequality_wrapperIZN2at6native12_GLOBAL__N_124unique_dim_cuda_templateIN3c104HalfEEESt5tupleIJNSF_6TensorESM_SM_EERKSM_lbbbEUlllE0_EEPmJS9_EEE10hipError_tPvRmT3_T4_T5_T6_T7_T9_mT8_P12ihipStream_tbDpT10_ENKUlT_T0_E_clISt17integral_constantIbLb1EES1B_IbLb0EEEEDaS17_S18_EUlS17_E_NS1_11comp_targetILNS1_3genE2ELNS1_11target_archE906ELNS1_3gpuE6ELNS1_3repE0EEENS1_30default_config_static_selectorELNS0_4arch9wavefront6targetE0EEEvT1_.kd
    .uniform_work_group_size: 1
    .uses_dynamic_stack: false
    .vgpr_count:     0
    .vgpr_spill_count: 0
    .wavefront_size: 32
  - .args:
      - .offset:         0
        .size:           120
        .value_kind:     by_value
    .group_segment_fixed_size: 0
    .kernarg_segment_align: 8
    .kernarg_segment_size: 120
    .language:       OpenCL C
    .language_version:
      - 2
      - 0
    .max_flat_workgroup_size: 384
    .name:           _ZN7rocprim17ROCPRIM_400000_NS6detail17trampoline_kernelINS0_14default_configENS1_25partition_config_selectorILNS1_17partition_subalgoE9EllbEEZZNS1_14partition_implILS5_9ELb0ES3_jPlS8_PNS0_10empty_typeENS0_5tupleIJS8_S9_EEENSB_IJS8_SA_EEENS0_18inequality_wrapperIZN2at6native12_GLOBAL__N_124unique_dim_cuda_templateIN3c104HalfEEESt5tupleIJNSF_6TensorESM_SM_EERKSM_lbbbEUlllE0_EEPmJS9_EEE10hipError_tPvRmT3_T4_T5_T6_T7_T9_mT8_P12ihipStream_tbDpT10_ENKUlT_T0_E_clISt17integral_constantIbLb1EES1B_IbLb0EEEEDaS17_S18_EUlS17_E_NS1_11comp_targetILNS1_3genE10ELNS1_11target_archE1200ELNS1_3gpuE4ELNS1_3repE0EEENS1_30default_config_static_selectorELNS0_4arch9wavefront6targetE0EEEvT1_
    .private_segment_fixed_size: 0
    .sgpr_count:     0
    .sgpr_spill_count: 0
    .symbol:         _ZN7rocprim17ROCPRIM_400000_NS6detail17trampoline_kernelINS0_14default_configENS1_25partition_config_selectorILNS1_17partition_subalgoE9EllbEEZZNS1_14partition_implILS5_9ELb0ES3_jPlS8_PNS0_10empty_typeENS0_5tupleIJS8_S9_EEENSB_IJS8_SA_EEENS0_18inequality_wrapperIZN2at6native12_GLOBAL__N_124unique_dim_cuda_templateIN3c104HalfEEESt5tupleIJNSF_6TensorESM_SM_EERKSM_lbbbEUlllE0_EEPmJS9_EEE10hipError_tPvRmT3_T4_T5_T6_T7_T9_mT8_P12ihipStream_tbDpT10_ENKUlT_T0_E_clISt17integral_constantIbLb1EES1B_IbLb0EEEEDaS17_S18_EUlS17_E_NS1_11comp_targetILNS1_3genE10ELNS1_11target_archE1200ELNS1_3gpuE4ELNS1_3repE0EEENS1_30default_config_static_selectorELNS0_4arch9wavefront6targetE0EEEvT1_.kd
    .uniform_work_group_size: 1
    .uses_dynamic_stack: false
    .vgpr_count:     0
    .vgpr_spill_count: 0
    .wavefront_size: 32
  - .args:
      - .offset:         0
        .size:           120
        .value_kind:     by_value
    .group_segment_fixed_size: 0
    .kernarg_segment_align: 8
    .kernarg_segment_size: 120
    .language:       OpenCL C
    .language_version:
      - 2
      - 0
    .max_flat_workgroup_size: 512
    .name:           _ZN7rocprim17ROCPRIM_400000_NS6detail17trampoline_kernelINS0_14default_configENS1_25partition_config_selectorILNS1_17partition_subalgoE9EllbEEZZNS1_14partition_implILS5_9ELb0ES3_jPlS8_PNS0_10empty_typeENS0_5tupleIJS8_S9_EEENSB_IJS8_SA_EEENS0_18inequality_wrapperIZN2at6native12_GLOBAL__N_124unique_dim_cuda_templateIN3c104HalfEEESt5tupleIJNSF_6TensorESM_SM_EERKSM_lbbbEUlllE0_EEPmJS9_EEE10hipError_tPvRmT3_T4_T5_T6_T7_T9_mT8_P12ihipStream_tbDpT10_ENKUlT_T0_E_clISt17integral_constantIbLb1EES1B_IbLb0EEEEDaS17_S18_EUlS17_E_NS1_11comp_targetILNS1_3genE9ELNS1_11target_archE1100ELNS1_3gpuE3ELNS1_3repE0EEENS1_30default_config_static_selectorELNS0_4arch9wavefront6targetE0EEEvT1_
    .private_segment_fixed_size: 0
    .sgpr_count:     0
    .sgpr_spill_count: 0
    .symbol:         _ZN7rocprim17ROCPRIM_400000_NS6detail17trampoline_kernelINS0_14default_configENS1_25partition_config_selectorILNS1_17partition_subalgoE9EllbEEZZNS1_14partition_implILS5_9ELb0ES3_jPlS8_PNS0_10empty_typeENS0_5tupleIJS8_S9_EEENSB_IJS8_SA_EEENS0_18inequality_wrapperIZN2at6native12_GLOBAL__N_124unique_dim_cuda_templateIN3c104HalfEEESt5tupleIJNSF_6TensorESM_SM_EERKSM_lbbbEUlllE0_EEPmJS9_EEE10hipError_tPvRmT3_T4_T5_T6_T7_T9_mT8_P12ihipStream_tbDpT10_ENKUlT_T0_E_clISt17integral_constantIbLb1EES1B_IbLb0EEEEDaS17_S18_EUlS17_E_NS1_11comp_targetILNS1_3genE9ELNS1_11target_archE1100ELNS1_3gpuE3ELNS1_3repE0EEENS1_30default_config_static_selectorELNS0_4arch9wavefront6targetE0EEEvT1_.kd
    .uniform_work_group_size: 1
    .uses_dynamic_stack: false
    .vgpr_count:     0
    .vgpr_spill_count: 0
    .wavefront_size: 32
  - .args:
      - .offset:         0
        .size:           120
        .value_kind:     by_value
    .group_segment_fixed_size: 0
    .kernarg_segment_align: 8
    .kernarg_segment_size: 120
    .language:       OpenCL C
    .language_version:
      - 2
      - 0
    .max_flat_workgroup_size: 512
    .name:           _ZN7rocprim17ROCPRIM_400000_NS6detail17trampoline_kernelINS0_14default_configENS1_25partition_config_selectorILNS1_17partition_subalgoE9EllbEEZZNS1_14partition_implILS5_9ELb0ES3_jPlS8_PNS0_10empty_typeENS0_5tupleIJS8_S9_EEENSB_IJS8_SA_EEENS0_18inequality_wrapperIZN2at6native12_GLOBAL__N_124unique_dim_cuda_templateIN3c104HalfEEESt5tupleIJNSF_6TensorESM_SM_EERKSM_lbbbEUlllE0_EEPmJS9_EEE10hipError_tPvRmT3_T4_T5_T6_T7_T9_mT8_P12ihipStream_tbDpT10_ENKUlT_T0_E_clISt17integral_constantIbLb1EES1B_IbLb0EEEEDaS17_S18_EUlS17_E_NS1_11comp_targetILNS1_3genE8ELNS1_11target_archE1030ELNS1_3gpuE2ELNS1_3repE0EEENS1_30default_config_static_selectorELNS0_4arch9wavefront6targetE0EEEvT1_
    .private_segment_fixed_size: 0
    .sgpr_count:     0
    .sgpr_spill_count: 0
    .symbol:         _ZN7rocprim17ROCPRIM_400000_NS6detail17trampoline_kernelINS0_14default_configENS1_25partition_config_selectorILNS1_17partition_subalgoE9EllbEEZZNS1_14partition_implILS5_9ELb0ES3_jPlS8_PNS0_10empty_typeENS0_5tupleIJS8_S9_EEENSB_IJS8_SA_EEENS0_18inequality_wrapperIZN2at6native12_GLOBAL__N_124unique_dim_cuda_templateIN3c104HalfEEESt5tupleIJNSF_6TensorESM_SM_EERKSM_lbbbEUlllE0_EEPmJS9_EEE10hipError_tPvRmT3_T4_T5_T6_T7_T9_mT8_P12ihipStream_tbDpT10_ENKUlT_T0_E_clISt17integral_constantIbLb1EES1B_IbLb0EEEEDaS17_S18_EUlS17_E_NS1_11comp_targetILNS1_3genE8ELNS1_11target_archE1030ELNS1_3gpuE2ELNS1_3repE0EEENS1_30default_config_static_selectorELNS0_4arch9wavefront6targetE0EEEvT1_.kd
    .uniform_work_group_size: 1
    .uses_dynamic_stack: false
    .vgpr_count:     0
    .vgpr_spill_count: 0
    .wavefront_size: 32
  - .args:
      - .offset:         0
        .size:           136
        .value_kind:     by_value
    .group_segment_fixed_size: 5128
    .kernarg_segment_align: 8
    .kernarg_segment_size: 136
    .language:       OpenCL C
    .language_version:
      - 2
      - 0
    .max_flat_workgroup_size: 128
    .name:           _ZN7rocprim17ROCPRIM_400000_NS6detail17trampoline_kernelINS0_14default_configENS1_25partition_config_selectorILNS1_17partition_subalgoE9EllbEEZZNS1_14partition_implILS5_9ELb0ES3_jPlS8_PNS0_10empty_typeENS0_5tupleIJS8_S9_EEENSB_IJS8_SA_EEENS0_18inequality_wrapperIZN2at6native12_GLOBAL__N_124unique_dim_cuda_templateIN3c104HalfEEESt5tupleIJNSF_6TensorESM_SM_EERKSM_lbbbEUlllE0_EEPmJS9_EEE10hipError_tPvRmT3_T4_T5_T6_T7_T9_mT8_P12ihipStream_tbDpT10_ENKUlT_T0_E_clISt17integral_constantIbLb0EES1B_IbLb1EEEEDaS17_S18_EUlS17_E_NS1_11comp_targetILNS1_3genE0ELNS1_11target_archE4294967295ELNS1_3gpuE0ELNS1_3repE0EEENS1_30default_config_static_selectorELNS0_4arch9wavefront6targetE0EEEvT1_
    .private_segment_fixed_size: 0
    .sgpr_count:     38
    .sgpr_spill_count: 0
    .symbol:         _ZN7rocprim17ROCPRIM_400000_NS6detail17trampoline_kernelINS0_14default_configENS1_25partition_config_selectorILNS1_17partition_subalgoE9EllbEEZZNS1_14partition_implILS5_9ELb0ES3_jPlS8_PNS0_10empty_typeENS0_5tupleIJS8_S9_EEENSB_IJS8_SA_EEENS0_18inequality_wrapperIZN2at6native12_GLOBAL__N_124unique_dim_cuda_templateIN3c104HalfEEESt5tupleIJNSF_6TensorESM_SM_EERKSM_lbbbEUlllE0_EEPmJS9_EEE10hipError_tPvRmT3_T4_T5_T6_T7_T9_mT8_P12ihipStream_tbDpT10_ENKUlT_T0_E_clISt17integral_constantIbLb0EES1B_IbLb1EEEEDaS17_S18_EUlS17_E_NS1_11comp_targetILNS1_3genE0ELNS1_11target_archE4294967295ELNS1_3gpuE0ELNS1_3repE0EEENS1_30default_config_static_selectorELNS0_4arch9wavefront6targetE0EEEvT1_.kd
    .uniform_work_group_size: 1
    .uses_dynamic_stack: false
    .vgpr_count:     55
    .vgpr_spill_count: 0
    .wavefront_size: 32
  - .args:
      - .offset:         0
        .size:           136
        .value_kind:     by_value
    .group_segment_fixed_size: 0
    .kernarg_segment_align: 8
    .kernarg_segment_size: 136
    .language:       OpenCL C
    .language_version:
      - 2
      - 0
    .max_flat_workgroup_size: 512
    .name:           _ZN7rocprim17ROCPRIM_400000_NS6detail17trampoline_kernelINS0_14default_configENS1_25partition_config_selectorILNS1_17partition_subalgoE9EllbEEZZNS1_14partition_implILS5_9ELb0ES3_jPlS8_PNS0_10empty_typeENS0_5tupleIJS8_S9_EEENSB_IJS8_SA_EEENS0_18inequality_wrapperIZN2at6native12_GLOBAL__N_124unique_dim_cuda_templateIN3c104HalfEEESt5tupleIJNSF_6TensorESM_SM_EERKSM_lbbbEUlllE0_EEPmJS9_EEE10hipError_tPvRmT3_T4_T5_T6_T7_T9_mT8_P12ihipStream_tbDpT10_ENKUlT_T0_E_clISt17integral_constantIbLb0EES1B_IbLb1EEEEDaS17_S18_EUlS17_E_NS1_11comp_targetILNS1_3genE5ELNS1_11target_archE942ELNS1_3gpuE9ELNS1_3repE0EEENS1_30default_config_static_selectorELNS0_4arch9wavefront6targetE0EEEvT1_
    .private_segment_fixed_size: 0
    .sgpr_count:     0
    .sgpr_spill_count: 0
    .symbol:         _ZN7rocprim17ROCPRIM_400000_NS6detail17trampoline_kernelINS0_14default_configENS1_25partition_config_selectorILNS1_17partition_subalgoE9EllbEEZZNS1_14partition_implILS5_9ELb0ES3_jPlS8_PNS0_10empty_typeENS0_5tupleIJS8_S9_EEENSB_IJS8_SA_EEENS0_18inequality_wrapperIZN2at6native12_GLOBAL__N_124unique_dim_cuda_templateIN3c104HalfEEESt5tupleIJNSF_6TensorESM_SM_EERKSM_lbbbEUlllE0_EEPmJS9_EEE10hipError_tPvRmT3_T4_T5_T6_T7_T9_mT8_P12ihipStream_tbDpT10_ENKUlT_T0_E_clISt17integral_constantIbLb0EES1B_IbLb1EEEEDaS17_S18_EUlS17_E_NS1_11comp_targetILNS1_3genE5ELNS1_11target_archE942ELNS1_3gpuE9ELNS1_3repE0EEENS1_30default_config_static_selectorELNS0_4arch9wavefront6targetE0EEEvT1_.kd
    .uniform_work_group_size: 1
    .uses_dynamic_stack: false
    .vgpr_count:     0
    .vgpr_spill_count: 0
    .wavefront_size: 32
  - .args:
      - .offset:         0
        .size:           136
        .value_kind:     by_value
    .group_segment_fixed_size: 0
    .kernarg_segment_align: 8
    .kernarg_segment_size: 136
    .language:       OpenCL C
    .language_version:
      - 2
      - 0
    .max_flat_workgroup_size: 128
    .name:           _ZN7rocprim17ROCPRIM_400000_NS6detail17trampoline_kernelINS0_14default_configENS1_25partition_config_selectorILNS1_17partition_subalgoE9EllbEEZZNS1_14partition_implILS5_9ELb0ES3_jPlS8_PNS0_10empty_typeENS0_5tupleIJS8_S9_EEENSB_IJS8_SA_EEENS0_18inequality_wrapperIZN2at6native12_GLOBAL__N_124unique_dim_cuda_templateIN3c104HalfEEESt5tupleIJNSF_6TensorESM_SM_EERKSM_lbbbEUlllE0_EEPmJS9_EEE10hipError_tPvRmT3_T4_T5_T6_T7_T9_mT8_P12ihipStream_tbDpT10_ENKUlT_T0_E_clISt17integral_constantIbLb0EES1B_IbLb1EEEEDaS17_S18_EUlS17_E_NS1_11comp_targetILNS1_3genE4ELNS1_11target_archE910ELNS1_3gpuE8ELNS1_3repE0EEENS1_30default_config_static_selectorELNS0_4arch9wavefront6targetE0EEEvT1_
    .private_segment_fixed_size: 0
    .sgpr_count:     0
    .sgpr_spill_count: 0
    .symbol:         _ZN7rocprim17ROCPRIM_400000_NS6detail17trampoline_kernelINS0_14default_configENS1_25partition_config_selectorILNS1_17partition_subalgoE9EllbEEZZNS1_14partition_implILS5_9ELb0ES3_jPlS8_PNS0_10empty_typeENS0_5tupleIJS8_S9_EEENSB_IJS8_SA_EEENS0_18inequality_wrapperIZN2at6native12_GLOBAL__N_124unique_dim_cuda_templateIN3c104HalfEEESt5tupleIJNSF_6TensorESM_SM_EERKSM_lbbbEUlllE0_EEPmJS9_EEE10hipError_tPvRmT3_T4_T5_T6_T7_T9_mT8_P12ihipStream_tbDpT10_ENKUlT_T0_E_clISt17integral_constantIbLb0EES1B_IbLb1EEEEDaS17_S18_EUlS17_E_NS1_11comp_targetILNS1_3genE4ELNS1_11target_archE910ELNS1_3gpuE8ELNS1_3repE0EEENS1_30default_config_static_selectorELNS0_4arch9wavefront6targetE0EEEvT1_.kd
    .uniform_work_group_size: 1
    .uses_dynamic_stack: false
    .vgpr_count:     0
    .vgpr_spill_count: 0
    .wavefront_size: 32
  - .args:
      - .offset:         0
        .size:           136
        .value_kind:     by_value
    .group_segment_fixed_size: 0
    .kernarg_segment_align: 8
    .kernarg_segment_size: 136
    .language:       OpenCL C
    .language_version:
      - 2
      - 0
    .max_flat_workgroup_size: 128
    .name:           _ZN7rocprim17ROCPRIM_400000_NS6detail17trampoline_kernelINS0_14default_configENS1_25partition_config_selectorILNS1_17partition_subalgoE9EllbEEZZNS1_14partition_implILS5_9ELb0ES3_jPlS8_PNS0_10empty_typeENS0_5tupleIJS8_S9_EEENSB_IJS8_SA_EEENS0_18inequality_wrapperIZN2at6native12_GLOBAL__N_124unique_dim_cuda_templateIN3c104HalfEEESt5tupleIJNSF_6TensorESM_SM_EERKSM_lbbbEUlllE0_EEPmJS9_EEE10hipError_tPvRmT3_T4_T5_T6_T7_T9_mT8_P12ihipStream_tbDpT10_ENKUlT_T0_E_clISt17integral_constantIbLb0EES1B_IbLb1EEEEDaS17_S18_EUlS17_E_NS1_11comp_targetILNS1_3genE3ELNS1_11target_archE908ELNS1_3gpuE7ELNS1_3repE0EEENS1_30default_config_static_selectorELNS0_4arch9wavefront6targetE0EEEvT1_
    .private_segment_fixed_size: 0
    .sgpr_count:     0
    .sgpr_spill_count: 0
    .symbol:         _ZN7rocprim17ROCPRIM_400000_NS6detail17trampoline_kernelINS0_14default_configENS1_25partition_config_selectorILNS1_17partition_subalgoE9EllbEEZZNS1_14partition_implILS5_9ELb0ES3_jPlS8_PNS0_10empty_typeENS0_5tupleIJS8_S9_EEENSB_IJS8_SA_EEENS0_18inequality_wrapperIZN2at6native12_GLOBAL__N_124unique_dim_cuda_templateIN3c104HalfEEESt5tupleIJNSF_6TensorESM_SM_EERKSM_lbbbEUlllE0_EEPmJS9_EEE10hipError_tPvRmT3_T4_T5_T6_T7_T9_mT8_P12ihipStream_tbDpT10_ENKUlT_T0_E_clISt17integral_constantIbLb0EES1B_IbLb1EEEEDaS17_S18_EUlS17_E_NS1_11comp_targetILNS1_3genE3ELNS1_11target_archE908ELNS1_3gpuE7ELNS1_3repE0EEENS1_30default_config_static_selectorELNS0_4arch9wavefront6targetE0EEEvT1_.kd
    .uniform_work_group_size: 1
    .uses_dynamic_stack: false
    .vgpr_count:     0
    .vgpr_spill_count: 0
    .wavefront_size: 32
  - .args:
      - .offset:         0
        .size:           136
        .value_kind:     by_value
    .group_segment_fixed_size: 0
    .kernarg_segment_align: 8
    .kernarg_segment_size: 136
    .language:       OpenCL C
    .language_version:
      - 2
      - 0
    .max_flat_workgroup_size: 192
    .name:           _ZN7rocprim17ROCPRIM_400000_NS6detail17trampoline_kernelINS0_14default_configENS1_25partition_config_selectorILNS1_17partition_subalgoE9EllbEEZZNS1_14partition_implILS5_9ELb0ES3_jPlS8_PNS0_10empty_typeENS0_5tupleIJS8_S9_EEENSB_IJS8_SA_EEENS0_18inequality_wrapperIZN2at6native12_GLOBAL__N_124unique_dim_cuda_templateIN3c104HalfEEESt5tupleIJNSF_6TensorESM_SM_EERKSM_lbbbEUlllE0_EEPmJS9_EEE10hipError_tPvRmT3_T4_T5_T6_T7_T9_mT8_P12ihipStream_tbDpT10_ENKUlT_T0_E_clISt17integral_constantIbLb0EES1B_IbLb1EEEEDaS17_S18_EUlS17_E_NS1_11comp_targetILNS1_3genE2ELNS1_11target_archE906ELNS1_3gpuE6ELNS1_3repE0EEENS1_30default_config_static_selectorELNS0_4arch9wavefront6targetE0EEEvT1_
    .private_segment_fixed_size: 0
    .sgpr_count:     0
    .sgpr_spill_count: 0
    .symbol:         _ZN7rocprim17ROCPRIM_400000_NS6detail17trampoline_kernelINS0_14default_configENS1_25partition_config_selectorILNS1_17partition_subalgoE9EllbEEZZNS1_14partition_implILS5_9ELb0ES3_jPlS8_PNS0_10empty_typeENS0_5tupleIJS8_S9_EEENSB_IJS8_SA_EEENS0_18inequality_wrapperIZN2at6native12_GLOBAL__N_124unique_dim_cuda_templateIN3c104HalfEEESt5tupleIJNSF_6TensorESM_SM_EERKSM_lbbbEUlllE0_EEPmJS9_EEE10hipError_tPvRmT3_T4_T5_T6_T7_T9_mT8_P12ihipStream_tbDpT10_ENKUlT_T0_E_clISt17integral_constantIbLb0EES1B_IbLb1EEEEDaS17_S18_EUlS17_E_NS1_11comp_targetILNS1_3genE2ELNS1_11target_archE906ELNS1_3gpuE6ELNS1_3repE0EEENS1_30default_config_static_selectorELNS0_4arch9wavefront6targetE0EEEvT1_.kd
    .uniform_work_group_size: 1
    .uses_dynamic_stack: false
    .vgpr_count:     0
    .vgpr_spill_count: 0
    .wavefront_size: 32
  - .args:
      - .offset:         0
        .size:           136
        .value_kind:     by_value
    .group_segment_fixed_size: 0
    .kernarg_segment_align: 8
    .kernarg_segment_size: 136
    .language:       OpenCL C
    .language_version:
      - 2
      - 0
    .max_flat_workgroup_size: 384
    .name:           _ZN7rocprim17ROCPRIM_400000_NS6detail17trampoline_kernelINS0_14default_configENS1_25partition_config_selectorILNS1_17partition_subalgoE9EllbEEZZNS1_14partition_implILS5_9ELb0ES3_jPlS8_PNS0_10empty_typeENS0_5tupleIJS8_S9_EEENSB_IJS8_SA_EEENS0_18inequality_wrapperIZN2at6native12_GLOBAL__N_124unique_dim_cuda_templateIN3c104HalfEEESt5tupleIJNSF_6TensorESM_SM_EERKSM_lbbbEUlllE0_EEPmJS9_EEE10hipError_tPvRmT3_T4_T5_T6_T7_T9_mT8_P12ihipStream_tbDpT10_ENKUlT_T0_E_clISt17integral_constantIbLb0EES1B_IbLb1EEEEDaS17_S18_EUlS17_E_NS1_11comp_targetILNS1_3genE10ELNS1_11target_archE1200ELNS1_3gpuE4ELNS1_3repE0EEENS1_30default_config_static_selectorELNS0_4arch9wavefront6targetE0EEEvT1_
    .private_segment_fixed_size: 0
    .sgpr_count:     0
    .sgpr_spill_count: 0
    .symbol:         _ZN7rocprim17ROCPRIM_400000_NS6detail17trampoline_kernelINS0_14default_configENS1_25partition_config_selectorILNS1_17partition_subalgoE9EllbEEZZNS1_14partition_implILS5_9ELb0ES3_jPlS8_PNS0_10empty_typeENS0_5tupleIJS8_S9_EEENSB_IJS8_SA_EEENS0_18inequality_wrapperIZN2at6native12_GLOBAL__N_124unique_dim_cuda_templateIN3c104HalfEEESt5tupleIJNSF_6TensorESM_SM_EERKSM_lbbbEUlllE0_EEPmJS9_EEE10hipError_tPvRmT3_T4_T5_T6_T7_T9_mT8_P12ihipStream_tbDpT10_ENKUlT_T0_E_clISt17integral_constantIbLb0EES1B_IbLb1EEEEDaS17_S18_EUlS17_E_NS1_11comp_targetILNS1_3genE10ELNS1_11target_archE1200ELNS1_3gpuE4ELNS1_3repE0EEENS1_30default_config_static_selectorELNS0_4arch9wavefront6targetE0EEEvT1_.kd
    .uniform_work_group_size: 1
    .uses_dynamic_stack: false
    .vgpr_count:     0
    .vgpr_spill_count: 0
    .wavefront_size: 32
  - .args:
      - .offset:         0
        .size:           136
        .value_kind:     by_value
    .group_segment_fixed_size: 0
    .kernarg_segment_align: 8
    .kernarg_segment_size: 136
    .language:       OpenCL C
    .language_version:
      - 2
      - 0
    .max_flat_workgroup_size: 512
    .name:           _ZN7rocprim17ROCPRIM_400000_NS6detail17trampoline_kernelINS0_14default_configENS1_25partition_config_selectorILNS1_17partition_subalgoE9EllbEEZZNS1_14partition_implILS5_9ELb0ES3_jPlS8_PNS0_10empty_typeENS0_5tupleIJS8_S9_EEENSB_IJS8_SA_EEENS0_18inequality_wrapperIZN2at6native12_GLOBAL__N_124unique_dim_cuda_templateIN3c104HalfEEESt5tupleIJNSF_6TensorESM_SM_EERKSM_lbbbEUlllE0_EEPmJS9_EEE10hipError_tPvRmT3_T4_T5_T6_T7_T9_mT8_P12ihipStream_tbDpT10_ENKUlT_T0_E_clISt17integral_constantIbLb0EES1B_IbLb1EEEEDaS17_S18_EUlS17_E_NS1_11comp_targetILNS1_3genE9ELNS1_11target_archE1100ELNS1_3gpuE3ELNS1_3repE0EEENS1_30default_config_static_selectorELNS0_4arch9wavefront6targetE0EEEvT1_
    .private_segment_fixed_size: 0
    .sgpr_count:     0
    .sgpr_spill_count: 0
    .symbol:         _ZN7rocprim17ROCPRIM_400000_NS6detail17trampoline_kernelINS0_14default_configENS1_25partition_config_selectorILNS1_17partition_subalgoE9EllbEEZZNS1_14partition_implILS5_9ELb0ES3_jPlS8_PNS0_10empty_typeENS0_5tupleIJS8_S9_EEENSB_IJS8_SA_EEENS0_18inequality_wrapperIZN2at6native12_GLOBAL__N_124unique_dim_cuda_templateIN3c104HalfEEESt5tupleIJNSF_6TensorESM_SM_EERKSM_lbbbEUlllE0_EEPmJS9_EEE10hipError_tPvRmT3_T4_T5_T6_T7_T9_mT8_P12ihipStream_tbDpT10_ENKUlT_T0_E_clISt17integral_constantIbLb0EES1B_IbLb1EEEEDaS17_S18_EUlS17_E_NS1_11comp_targetILNS1_3genE9ELNS1_11target_archE1100ELNS1_3gpuE3ELNS1_3repE0EEENS1_30default_config_static_selectorELNS0_4arch9wavefront6targetE0EEEvT1_.kd
    .uniform_work_group_size: 1
    .uses_dynamic_stack: false
    .vgpr_count:     0
    .vgpr_spill_count: 0
    .wavefront_size: 32
  - .args:
      - .offset:         0
        .size:           136
        .value_kind:     by_value
    .group_segment_fixed_size: 0
    .kernarg_segment_align: 8
    .kernarg_segment_size: 136
    .language:       OpenCL C
    .language_version:
      - 2
      - 0
    .max_flat_workgroup_size: 512
    .name:           _ZN7rocprim17ROCPRIM_400000_NS6detail17trampoline_kernelINS0_14default_configENS1_25partition_config_selectorILNS1_17partition_subalgoE9EllbEEZZNS1_14partition_implILS5_9ELb0ES3_jPlS8_PNS0_10empty_typeENS0_5tupleIJS8_S9_EEENSB_IJS8_SA_EEENS0_18inequality_wrapperIZN2at6native12_GLOBAL__N_124unique_dim_cuda_templateIN3c104HalfEEESt5tupleIJNSF_6TensorESM_SM_EERKSM_lbbbEUlllE0_EEPmJS9_EEE10hipError_tPvRmT3_T4_T5_T6_T7_T9_mT8_P12ihipStream_tbDpT10_ENKUlT_T0_E_clISt17integral_constantIbLb0EES1B_IbLb1EEEEDaS17_S18_EUlS17_E_NS1_11comp_targetILNS1_3genE8ELNS1_11target_archE1030ELNS1_3gpuE2ELNS1_3repE0EEENS1_30default_config_static_selectorELNS0_4arch9wavefront6targetE0EEEvT1_
    .private_segment_fixed_size: 0
    .sgpr_count:     0
    .sgpr_spill_count: 0
    .symbol:         _ZN7rocprim17ROCPRIM_400000_NS6detail17trampoline_kernelINS0_14default_configENS1_25partition_config_selectorILNS1_17partition_subalgoE9EllbEEZZNS1_14partition_implILS5_9ELb0ES3_jPlS8_PNS0_10empty_typeENS0_5tupleIJS8_S9_EEENSB_IJS8_SA_EEENS0_18inequality_wrapperIZN2at6native12_GLOBAL__N_124unique_dim_cuda_templateIN3c104HalfEEESt5tupleIJNSF_6TensorESM_SM_EERKSM_lbbbEUlllE0_EEPmJS9_EEE10hipError_tPvRmT3_T4_T5_T6_T7_T9_mT8_P12ihipStream_tbDpT10_ENKUlT_T0_E_clISt17integral_constantIbLb0EES1B_IbLb1EEEEDaS17_S18_EUlS17_E_NS1_11comp_targetILNS1_3genE8ELNS1_11target_archE1030ELNS1_3gpuE2ELNS1_3repE0EEENS1_30default_config_static_selectorELNS0_4arch9wavefront6targetE0EEEvT1_.kd
    .uniform_work_group_size: 1
    .uses_dynamic_stack: false
    .vgpr_count:     0
    .vgpr_spill_count: 0
    .wavefront_size: 32
  - .args:
      - .offset:         0
        .size:           72
        .value_kind:     by_value
      - .offset:         72
        .size:           4
        .value_kind:     hidden_block_count_x
      - .offset:         76
        .size:           4
        .value_kind:     hidden_block_count_y
      - .offset:         80
        .size:           4
        .value_kind:     hidden_block_count_z
      - .offset:         84
        .size:           2
        .value_kind:     hidden_group_size_x
      - .offset:         86
        .size:           2
        .value_kind:     hidden_group_size_y
      - .offset:         88
        .size:           2
        .value_kind:     hidden_group_size_z
      - .offset:         90
        .size:           2
        .value_kind:     hidden_remainder_x
      - .offset:         92
        .size:           2
        .value_kind:     hidden_remainder_y
      - .offset:         94
        .size:           2
        .value_kind:     hidden_remainder_z
      - .offset:         112
        .size:           8
        .value_kind:     hidden_global_offset_x
      - .offset:         120
        .size:           8
        .value_kind:     hidden_global_offset_y
      - .offset:         128
        .size:           8
        .value_kind:     hidden_global_offset_z
      - .offset:         136
        .size:           2
        .value_kind:     hidden_grid_dims
    .group_segment_fixed_size: 16896
    .kernarg_segment_align: 8
    .kernarg_segment_size: 328
    .language:       OpenCL C
    .language_version:
      - 2
      - 0
    .max_flat_workgroup_size: 256
    .name:           _ZN7rocprim17ROCPRIM_400000_NS6detail17trampoline_kernelINS0_14default_configENS1_37merge_sort_block_sort_config_selectorIlNS0_10empty_typeEEEZNS1_21merge_sort_block_sortIS3_PlS8_PS5_S9_ZN2at6native12_GLOBAL__N_124unique_dim_cuda_templateItEESt5tupleIJNSA_6TensorESF_SF_EERKSF_lbbbEUlllE_EE10hipError_tT0_T1_T2_T3_mRjT4_P12ihipStream_tbNS1_7vsmem_tEEUlT_E_NS1_11comp_targetILNS1_3genE0ELNS1_11target_archE4294967295ELNS1_3gpuE0ELNS1_3repE0EEENS1_30default_config_static_selectorELNS0_4arch9wavefront6targetE0EEEvSM_
    .private_segment_fixed_size: 0
    .sgpr_count:     41
    .sgpr_spill_count: 0
    .symbol:         _ZN7rocprim17ROCPRIM_400000_NS6detail17trampoline_kernelINS0_14default_configENS1_37merge_sort_block_sort_config_selectorIlNS0_10empty_typeEEEZNS1_21merge_sort_block_sortIS3_PlS8_PS5_S9_ZN2at6native12_GLOBAL__N_124unique_dim_cuda_templateItEESt5tupleIJNSA_6TensorESF_SF_EERKSF_lbbbEUlllE_EE10hipError_tT0_T1_T2_T3_mRjT4_P12ihipStream_tbNS1_7vsmem_tEEUlT_E_NS1_11comp_targetILNS1_3genE0ELNS1_11target_archE4294967295ELNS1_3gpuE0ELNS1_3repE0EEENS1_30default_config_static_selectorELNS0_4arch9wavefront6targetE0EEEvSM_.kd
    .uniform_work_group_size: 1
    .uses_dynamic_stack: false
    .vgpr_count:     56
    .vgpr_spill_count: 0
    .wavefront_size: 32
  - .args:
      - .offset:         0
        .size:           72
        .value_kind:     by_value
    .group_segment_fixed_size: 0
    .kernarg_segment_align: 8
    .kernarg_segment_size: 72
    .language:       OpenCL C
    .language_version:
      - 2
      - 0
    .max_flat_workgroup_size: 256
    .name:           _ZN7rocprim17ROCPRIM_400000_NS6detail17trampoline_kernelINS0_14default_configENS1_37merge_sort_block_sort_config_selectorIlNS0_10empty_typeEEEZNS1_21merge_sort_block_sortIS3_PlS8_PS5_S9_ZN2at6native12_GLOBAL__N_124unique_dim_cuda_templateItEESt5tupleIJNSA_6TensorESF_SF_EERKSF_lbbbEUlllE_EE10hipError_tT0_T1_T2_T3_mRjT4_P12ihipStream_tbNS1_7vsmem_tEEUlT_E_NS1_11comp_targetILNS1_3genE5ELNS1_11target_archE942ELNS1_3gpuE9ELNS1_3repE0EEENS1_30default_config_static_selectorELNS0_4arch9wavefront6targetE0EEEvSM_
    .private_segment_fixed_size: 0
    .sgpr_count:     0
    .sgpr_spill_count: 0
    .symbol:         _ZN7rocprim17ROCPRIM_400000_NS6detail17trampoline_kernelINS0_14default_configENS1_37merge_sort_block_sort_config_selectorIlNS0_10empty_typeEEEZNS1_21merge_sort_block_sortIS3_PlS8_PS5_S9_ZN2at6native12_GLOBAL__N_124unique_dim_cuda_templateItEESt5tupleIJNSA_6TensorESF_SF_EERKSF_lbbbEUlllE_EE10hipError_tT0_T1_T2_T3_mRjT4_P12ihipStream_tbNS1_7vsmem_tEEUlT_E_NS1_11comp_targetILNS1_3genE5ELNS1_11target_archE942ELNS1_3gpuE9ELNS1_3repE0EEENS1_30default_config_static_selectorELNS0_4arch9wavefront6targetE0EEEvSM_.kd
    .uniform_work_group_size: 1
    .uses_dynamic_stack: false
    .vgpr_count:     0
    .vgpr_spill_count: 0
    .wavefront_size: 32
  - .args:
      - .offset:         0
        .size:           72
        .value_kind:     by_value
    .group_segment_fixed_size: 0
    .kernarg_segment_align: 8
    .kernarg_segment_size: 72
    .language:       OpenCL C
    .language_version:
      - 2
      - 0
    .max_flat_workgroup_size: 256
    .name:           _ZN7rocprim17ROCPRIM_400000_NS6detail17trampoline_kernelINS0_14default_configENS1_37merge_sort_block_sort_config_selectorIlNS0_10empty_typeEEEZNS1_21merge_sort_block_sortIS3_PlS8_PS5_S9_ZN2at6native12_GLOBAL__N_124unique_dim_cuda_templateItEESt5tupleIJNSA_6TensorESF_SF_EERKSF_lbbbEUlllE_EE10hipError_tT0_T1_T2_T3_mRjT4_P12ihipStream_tbNS1_7vsmem_tEEUlT_E_NS1_11comp_targetILNS1_3genE4ELNS1_11target_archE910ELNS1_3gpuE8ELNS1_3repE0EEENS1_30default_config_static_selectorELNS0_4arch9wavefront6targetE0EEEvSM_
    .private_segment_fixed_size: 0
    .sgpr_count:     0
    .sgpr_spill_count: 0
    .symbol:         _ZN7rocprim17ROCPRIM_400000_NS6detail17trampoline_kernelINS0_14default_configENS1_37merge_sort_block_sort_config_selectorIlNS0_10empty_typeEEEZNS1_21merge_sort_block_sortIS3_PlS8_PS5_S9_ZN2at6native12_GLOBAL__N_124unique_dim_cuda_templateItEESt5tupleIJNSA_6TensorESF_SF_EERKSF_lbbbEUlllE_EE10hipError_tT0_T1_T2_T3_mRjT4_P12ihipStream_tbNS1_7vsmem_tEEUlT_E_NS1_11comp_targetILNS1_3genE4ELNS1_11target_archE910ELNS1_3gpuE8ELNS1_3repE0EEENS1_30default_config_static_selectorELNS0_4arch9wavefront6targetE0EEEvSM_.kd
    .uniform_work_group_size: 1
    .uses_dynamic_stack: false
    .vgpr_count:     0
    .vgpr_spill_count: 0
    .wavefront_size: 32
  - .args:
      - .offset:         0
        .size:           72
        .value_kind:     by_value
    .group_segment_fixed_size: 0
    .kernarg_segment_align: 8
    .kernarg_segment_size: 72
    .language:       OpenCL C
    .language_version:
      - 2
      - 0
    .max_flat_workgroup_size: 256
    .name:           _ZN7rocprim17ROCPRIM_400000_NS6detail17trampoline_kernelINS0_14default_configENS1_37merge_sort_block_sort_config_selectorIlNS0_10empty_typeEEEZNS1_21merge_sort_block_sortIS3_PlS8_PS5_S9_ZN2at6native12_GLOBAL__N_124unique_dim_cuda_templateItEESt5tupleIJNSA_6TensorESF_SF_EERKSF_lbbbEUlllE_EE10hipError_tT0_T1_T2_T3_mRjT4_P12ihipStream_tbNS1_7vsmem_tEEUlT_E_NS1_11comp_targetILNS1_3genE3ELNS1_11target_archE908ELNS1_3gpuE7ELNS1_3repE0EEENS1_30default_config_static_selectorELNS0_4arch9wavefront6targetE0EEEvSM_
    .private_segment_fixed_size: 0
    .sgpr_count:     0
    .sgpr_spill_count: 0
    .symbol:         _ZN7rocprim17ROCPRIM_400000_NS6detail17trampoline_kernelINS0_14default_configENS1_37merge_sort_block_sort_config_selectorIlNS0_10empty_typeEEEZNS1_21merge_sort_block_sortIS3_PlS8_PS5_S9_ZN2at6native12_GLOBAL__N_124unique_dim_cuda_templateItEESt5tupleIJNSA_6TensorESF_SF_EERKSF_lbbbEUlllE_EE10hipError_tT0_T1_T2_T3_mRjT4_P12ihipStream_tbNS1_7vsmem_tEEUlT_E_NS1_11comp_targetILNS1_3genE3ELNS1_11target_archE908ELNS1_3gpuE7ELNS1_3repE0EEENS1_30default_config_static_selectorELNS0_4arch9wavefront6targetE0EEEvSM_.kd
    .uniform_work_group_size: 1
    .uses_dynamic_stack: false
    .vgpr_count:     0
    .vgpr_spill_count: 0
    .wavefront_size: 32
  - .args:
      - .offset:         0
        .size:           72
        .value_kind:     by_value
    .group_segment_fixed_size: 0
    .kernarg_segment_align: 8
    .kernarg_segment_size: 72
    .language:       OpenCL C
    .language_version:
      - 2
      - 0
    .max_flat_workgroup_size: 256
    .name:           _ZN7rocprim17ROCPRIM_400000_NS6detail17trampoline_kernelINS0_14default_configENS1_37merge_sort_block_sort_config_selectorIlNS0_10empty_typeEEEZNS1_21merge_sort_block_sortIS3_PlS8_PS5_S9_ZN2at6native12_GLOBAL__N_124unique_dim_cuda_templateItEESt5tupleIJNSA_6TensorESF_SF_EERKSF_lbbbEUlllE_EE10hipError_tT0_T1_T2_T3_mRjT4_P12ihipStream_tbNS1_7vsmem_tEEUlT_E_NS1_11comp_targetILNS1_3genE2ELNS1_11target_archE906ELNS1_3gpuE6ELNS1_3repE0EEENS1_30default_config_static_selectorELNS0_4arch9wavefront6targetE0EEEvSM_
    .private_segment_fixed_size: 0
    .sgpr_count:     0
    .sgpr_spill_count: 0
    .symbol:         _ZN7rocprim17ROCPRIM_400000_NS6detail17trampoline_kernelINS0_14default_configENS1_37merge_sort_block_sort_config_selectorIlNS0_10empty_typeEEEZNS1_21merge_sort_block_sortIS3_PlS8_PS5_S9_ZN2at6native12_GLOBAL__N_124unique_dim_cuda_templateItEESt5tupleIJNSA_6TensorESF_SF_EERKSF_lbbbEUlllE_EE10hipError_tT0_T1_T2_T3_mRjT4_P12ihipStream_tbNS1_7vsmem_tEEUlT_E_NS1_11comp_targetILNS1_3genE2ELNS1_11target_archE906ELNS1_3gpuE6ELNS1_3repE0EEENS1_30default_config_static_selectorELNS0_4arch9wavefront6targetE0EEEvSM_.kd
    .uniform_work_group_size: 1
    .uses_dynamic_stack: false
    .vgpr_count:     0
    .vgpr_spill_count: 0
    .wavefront_size: 32
  - .args:
      - .offset:         0
        .size:           72
        .value_kind:     by_value
    .group_segment_fixed_size: 0
    .kernarg_segment_align: 8
    .kernarg_segment_size: 72
    .language:       OpenCL C
    .language_version:
      - 2
      - 0
    .max_flat_workgroup_size: 256
    .name:           _ZN7rocprim17ROCPRIM_400000_NS6detail17trampoline_kernelINS0_14default_configENS1_37merge_sort_block_sort_config_selectorIlNS0_10empty_typeEEEZNS1_21merge_sort_block_sortIS3_PlS8_PS5_S9_ZN2at6native12_GLOBAL__N_124unique_dim_cuda_templateItEESt5tupleIJNSA_6TensorESF_SF_EERKSF_lbbbEUlllE_EE10hipError_tT0_T1_T2_T3_mRjT4_P12ihipStream_tbNS1_7vsmem_tEEUlT_E_NS1_11comp_targetILNS1_3genE10ELNS1_11target_archE1201ELNS1_3gpuE5ELNS1_3repE0EEENS1_30default_config_static_selectorELNS0_4arch9wavefront6targetE0EEEvSM_
    .private_segment_fixed_size: 0
    .sgpr_count:     0
    .sgpr_spill_count: 0
    .symbol:         _ZN7rocprim17ROCPRIM_400000_NS6detail17trampoline_kernelINS0_14default_configENS1_37merge_sort_block_sort_config_selectorIlNS0_10empty_typeEEEZNS1_21merge_sort_block_sortIS3_PlS8_PS5_S9_ZN2at6native12_GLOBAL__N_124unique_dim_cuda_templateItEESt5tupleIJNSA_6TensorESF_SF_EERKSF_lbbbEUlllE_EE10hipError_tT0_T1_T2_T3_mRjT4_P12ihipStream_tbNS1_7vsmem_tEEUlT_E_NS1_11comp_targetILNS1_3genE10ELNS1_11target_archE1201ELNS1_3gpuE5ELNS1_3repE0EEENS1_30default_config_static_selectorELNS0_4arch9wavefront6targetE0EEEvSM_.kd
    .uniform_work_group_size: 1
    .uses_dynamic_stack: false
    .vgpr_count:     0
    .vgpr_spill_count: 0
    .wavefront_size: 32
  - .args:
      - .offset:         0
        .size:           72
        .value_kind:     by_value
    .group_segment_fixed_size: 0
    .kernarg_segment_align: 8
    .kernarg_segment_size: 72
    .language:       OpenCL C
    .language_version:
      - 2
      - 0
    .max_flat_workgroup_size: 512
    .name:           _ZN7rocprim17ROCPRIM_400000_NS6detail17trampoline_kernelINS0_14default_configENS1_37merge_sort_block_sort_config_selectorIlNS0_10empty_typeEEEZNS1_21merge_sort_block_sortIS3_PlS8_PS5_S9_ZN2at6native12_GLOBAL__N_124unique_dim_cuda_templateItEESt5tupleIJNSA_6TensorESF_SF_EERKSF_lbbbEUlllE_EE10hipError_tT0_T1_T2_T3_mRjT4_P12ihipStream_tbNS1_7vsmem_tEEUlT_E_NS1_11comp_targetILNS1_3genE10ELNS1_11target_archE1200ELNS1_3gpuE4ELNS1_3repE0EEENS1_30default_config_static_selectorELNS0_4arch9wavefront6targetE0EEEvSM_
    .private_segment_fixed_size: 0
    .sgpr_count:     0
    .sgpr_spill_count: 0
    .symbol:         _ZN7rocprim17ROCPRIM_400000_NS6detail17trampoline_kernelINS0_14default_configENS1_37merge_sort_block_sort_config_selectorIlNS0_10empty_typeEEEZNS1_21merge_sort_block_sortIS3_PlS8_PS5_S9_ZN2at6native12_GLOBAL__N_124unique_dim_cuda_templateItEESt5tupleIJNSA_6TensorESF_SF_EERKSF_lbbbEUlllE_EE10hipError_tT0_T1_T2_T3_mRjT4_P12ihipStream_tbNS1_7vsmem_tEEUlT_E_NS1_11comp_targetILNS1_3genE10ELNS1_11target_archE1200ELNS1_3gpuE4ELNS1_3repE0EEENS1_30default_config_static_selectorELNS0_4arch9wavefront6targetE0EEEvSM_.kd
    .uniform_work_group_size: 1
    .uses_dynamic_stack: false
    .vgpr_count:     0
    .vgpr_spill_count: 0
    .wavefront_size: 32
  - .args:
      - .offset:         0
        .size:           72
        .value_kind:     by_value
    .group_segment_fixed_size: 0
    .kernarg_segment_align: 8
    .kernarg_segment_size: 72
    .language:       OpenCL C
    .language_version:
      - 2
      - 0
    .max_flat_workgroup_size: 256
    .name:           _ZN7rocprim17ROCPRIM_400000_NS6detail17trampoline_kernelINS0_14default_configENS1_37merge_sort_block_sort_config_selectorIlNS0_10empty_typeEEEZNS1_21merge_sort_block_sortIS3_PlS8_PS5_S9_ZN2at6native12_GLOBAL__N_124unique_dim_cuda_templateItEESt5tupleIJNSA_6TensorESF_SF_EERKSF_lbbbEUlllE_EE10hipError_tT0_T1_T2_T3_mRjT4_P12ihipStream_tbNS1_7vsmem_tEEUlT_E_NS1_11comp_targetILNS1_3genE9ELNS1_11target_archE1100ELNS1_3gpuE3ELNS1_3repE0EEENS1_30default_config_static_selectorELNS0_4arch9wavefront6targetE0EEEvSM_
    .private_segment_fixed_size: 0
    .sgpr_count:     0
    .sgpr_spill_count: 0
    .symbol:         _ZN7rocprim17ROCPRIM_400000_NS6detail17trampoline_kernelINS0_14default_configENS1_37merge_sort_block_sort_config_selectorIlNS0_10empty_typeEEEZNS1_21merge_sort_block_sortIS3_PlS8_PS5_S9_ZN2at6native12_GLOBAL__N_124unique_dim_cuda_templateItEESt5tupleIJNSA_6TensorESF_SF_EERKSF_lbbbEUlllE_EE10hipError_tT0_T1_T2_T3_mRjT4_P12ihipStream_tbNS1_7vsmem_tEEUlT_E_NS1_11comp_targetILNS1_3genE9ELNS1_11target_archE1100ELNS1_3gpuE3ELNS1_3repE0EEENS1_30default_config_static_selectorELNS0_4arch9wavefront6targetE0EEEvSM_.kd
    .uniform_work_group_size: 1
    .uses_dynamic_stack: false
    .vgpr_count:     0
    .vgpr_spill_count: 0
    .wavefront_size: 32
  - .args:
      - .offset:         0
        .size:           72
        .value_kind:     by_value
    .group_segment_fixed_size: 0
    .kernarg_segment_align: 8
    .kernarg_segment_size: 72
    .language:       OpenCL C
    .language_version:
      - 2
      - 0
    .max_flat_workgroup_size: 256
    .name:           _ZN7rocprim17ROCPRIM_400000_NS6detail17trampoline_kernelINS0_14default_configENS1_37merge_sort_block_sort_config_selectorIlNS0_10empty_typeEEEZNS1_21merge_sort_block_sortIS3_PlS8_PS5_S9_ZN2at6native12_GLOBAL__N_124unique_dim_cuda_templateItEESt5tupleIJNSA_6TensorESF_SF_EERKSF_lbbbEUlllE_EE10hipError_tT0_T1_T2_T3_mRjT4_P12ihipStream_tbNS1_7vsmem_tEEUlT_E_NS1_11comp_targetILNS1_3genE8ELNS1_11target_archE1030ELNS1_3gpuE2ELNS1_3repE0EEENS1_30default_config_static_selectorELNS0_4arch9wavefront6targetE0EEEvSM_
    .private_segment_fixed_size: 0
    .sgpr_count:     0
    .sgpr_spill_count: 0
    .symbol:         _ZN7rocprim17ROCPRIM_400000_NS6detail17trampoline_kernelINS0_14default_configENS1_37merge_sort_block_sort_config_selectorIlNS0_10empty_typeEEEZNS1_21merge_sort_block_sortIS3_PlS8_PS5_S9_ZN2at6native12_GLOBAL__N_124unique_dim_cuda_templateItEESt5tupleIJNSA_6TensorESF_SF_EERKSF_lbbbEUlllE_EE10hipError_tT0_T1_T2_T3_mRjT4_P12ihipStream_tbNS1_7vsmem_tEEUlT_E_NS1_11comp_targetILNS1_3genE8ELNS1_11target_archE1030ELNS1_3gpuE2ELNS1_3repE0EEENS1_30default_config_static_selectorELNS0_4arch9wavefront6targetE0EEEvSM_.kd
    .uniform_work_group_size: 1
    .uses_dynamic_stack: false
    .vgpr_count:     0
    .vgpr_spill_count: 0
    .wavefront_size: 32
  - .args:
      - .offset:         0
        .size:           56
        .value_kind:     by_value
    .group_segment_fixed_size: 0
    .kernarg_segment_align: 8
    .kernarg_segment_size: 56
    .language:       OpenCL C
    .language_version:
      - 2
      - 0
    .max_flat_workgroup_size: 128
    .name:           _ZN7rocprim17ROCPRIM_400000_NS6detail17trampoline_kernelINS0_14default_configENS1_38merge_sort_block_merge_config_selectorIlNS0_10empty_typeEEEZZNS1_27merge_sort_block_merge_implIS3_PlPS5_mZN2at6native12_GLOBAL__N_124unique_dim_cuda_templateItEESt5tupleIJNSA_6TensorESF_SF_EERKSF_lbbbEUlllE_EE10hipError_tT0_T1_T2_jT3_P12ihipStream_tbPNSt15iterator_traitsISL_E10value_typeEPNSR_ISM_E10value_typeEPSN_NS1_7vsmem_tEENKUlT_SL_SM_SN_E_clIS8_S8_S9_S9_EESK_S10_SL_SM_SN_EUlS10_E_NS1_11comp_targetILNS1_3genE0ELNS1_11target_archE4294967295ELNS1_3gpuE0ELNS1_3repE0EEENS1_48merge_mergepath_partition_config_static_selectorELNS0_4arch9wavefront6targetE0EEEvSM_
    .private_segment_fixed_size: 0
    .sgpr_count:     22
    .sgpr_spill_count: 0
    .symbol:         _ZN7rocprim17ROCPRIM_400000_NS6detail17trampoline_kernelINS0_14default_configENS1_38merge_sort_block_merge_config_selectorIlNS0_10empty_typeEEEZZNS1_27merge_sort_block_merge_implIS3_PlPS5_mZN2at6native12_GLOBAL__N_124unique_dim_cuda_templateItEESt5tupleIJNSA_6TensorESF_SF_EERKSF_lbbbEUlllE_EE10hipError_tT0_T1_T2_jT3_P12ihipStream_tbPNSt15iterator_traitsISL_E10value_typeEPNSR_ISM_E10value_typeEPSN_NS1_7vsmem_tEENKUlT_SL_SM_SN_E_clIS8_S8_S9_S9_EESK_S10_SL_SM_SN_EUlS10_E_NS1_11comp_targetILNS1_3genE0ELNS1_11target_archE4294967295ELNS1_3gpuE0ELNS1_3repE0EEENS1_48merge_mergepath_partition_config_static_selectorELNS0_4arch9wavefront6targetE0EEEvSM_.kd
    .uniform_work_group_size: 1
    .uses_dynamic_stack: false
    .vgpr_count:     22
    .vgpr_spill_count: 0
    .wavefront_size: 32
  - .args:
      - .offset:         0
        .size:           56
        .value_kind:     by_value
    .group_segment_fixed_size: 0
    .kernarg_segment_align: 8
    .kernarg_segment_size: 56
    .language:       OpenCL C
    .language_version:
      - 2
      - 0
    .max_flat_workgroup_size: 128
    .name:           _ZN7rocprim17ROCPRIM_400000_NS6detail17trampoline_kernelINS0_14default_configENS1_38merge_sort_block_merge_config_selectorIlNS0_10empty_typeEEEZZNS1_27merge_sort_block_merge_implIS3_PlPS5_mZN2at6native12_GLOBAL__N_124unique_dim_cuda_templateItEESt5tupleIJNSA_6TensorESF_SF_EERKSF_lbbbEUlllE_EE10hipError_tT0_T1_T2_jT3_P12ihipStream_tbPNSt15iterator_traitsISL_E10value_typeEPNSR_ISM_E10value_typeEPSN_NS1_7vsmem_tEENKUlT_SL_SM_SN_E_clIS8_S8_S9_S9_EESK_S10_SL_SM_SN_EUlS10_E_NS1_11comp_targetILNS1_3genE10ELNS1_11target_archE1201ELNS1_3gpuE5ELNS1_3repE0EEENS1_48merge_mergepath_partition_config_static_selectorELNS0_4arch9wavefront6targetE0EEEvSM_
    .private_segment_fixed_size: 0
    .sgpr_count:     0
    .sgpr_spill_count: 0
    .symbol:         _ZN7rocprim17ROCPRIM_400000_NS6detail17trampoline_kernelINS0_14default_configENS1_38merge_sort_block_merge_config_selectorIlNS0_10empty_typeEEEZZNS1_27merge_sort_block_merge_implIS3_PlPS5_mZN2at6native12_GLOBAL__N_124unique_dim_cuda_templateItEESt5tupleIJNSA_6TensorESF_SF_EERKSF_lbbbEUlllE_EE10hipError_tT0_T1_T2_jT3_P12ihipStream_tbPNSt15iterator_traitsISL_E10value_typeEPNSR_ISM_E10value_typeEPSN_NS1_7vsmem_tEENKUlT_SL_SM_SN_E_clIS8_S8_S9_S9_EESK_S10_SL_SM_SN_EUlS10_E_NS1_11comp_targetILNS1_3genE10ELNS1_11target_archE1201ELNS1_3gpuE5ELNS1_3repE0EEENS1_48merge_mergepath_partition_config_static_selectorELNS0_4arch9wavefront6targetE0EEEvSM_.kd
    .uniform_work_group_size: 1
    .uses_dynamic_stack: false
    .vgpr_count:     0
    .vgpr_spill_count: 0
    .wavefront_size: 32
  - .args:
      - .offset:         0
        .size:           56
        .value_kind:     by_value
    .group_segment_fixed_size: 0
    .kernarg_segment_align: 8
    .kernarg_segment_size: 56
    .language:       OpenCL C
    .language_version:
      - 2
      - 0
    .max_flat_workgroup_size: 128
    .name:           _ZN7rocprim17ROCPRIM_400000_NS6detail17trampoline_kernelINS0_14default_configENS1_38merge_sort_block_merge_config_selectorIlNS0_10empty_typeEEEZZNS1_27merge_sort_block_merge_implIS3_PlPS5_mZN2at6native12_GLOBAL__N_124unique_dim_cuda_templateItEESt5tupleIJNSA_6TensorESF_SF_EERKSF_lbbbEUlllE_EE10hipError_tT0_T1_T2_jT3_P12ihipStream_tbPNSt15iterator_traitsISL_E10value_typeEPNSR_ISM_E10value_typeEPSN_NS1_7vsmem_tEENKUlT_SL_SM_SN_E_clIS8_S8_S9_S9_EESK_S10_SL_SM_SN_EUlS10_E_NS1_11comp_targetILNS1_3genE5ELNS1_11target_archE942ELNS1_3gpuE9ELNS1_3repE0EEENS1_48merge_mergepath_partition_config_static_selectorELNS0_4arch9wavefront6targetE0EEEvSM_
    .private_segment_fixed_size: 0
    .sgpr_count:     0
    .sgpr_spill_count: 0
    .symbol:         _ZN7rocprim17ROCPRIM_400000_NS6detail17trampoline_kernelINS0_14default_configENS1_38merge_sort_block_merge_config_selectorIlNS0_10empty_typeEEEZZNS1_27merge_sort_block_merge_implIS3_PlPS5_mZN2at6native12_GLOBAL__N_124unique_dim_cuda_templateItEESt5tupleIJNSA_6TensorESF_SF_EERKSF_lbbbEUlllE_EE10hipError_tT0_T1_T2_jT3_P12ihipStream_tbPNSt15iterator_traitsISL_E10value_typeEPNSR_ISM_E10value_typeEPSN_NS1_7vsmem_tEENKUlT_SL_SM_SN_E_clIS8_S8_S9_S9_EESK_S10_SL_SM_SN_EUlS10_E_NS1_11comp_targetILNS1_3genE5ELNS1_11target_archE942ELNS1_3gpuE9ELNS1_3repE0EEENS1_48merge_mergepath_partition_config_static_selectorELNS0_4arch9wavefront6targetE0EEEvSM_.kd
    .uniform_work_group_size: 1
    .uses_dynamic_stack: false
    .vgpr_count:     0
    .vgpr_spill_count: 0
    .wavefront_size: 32
  - .args:
      - .offset:         0
        .size:           56
        .value_kind:     by_value
    .group_segment_fixed_size: 0
    .kernarg_segment_align: 8
    .kernarg_segment_size: 56
    .language:       OpenCL C
    .language_version:
      - 2
      - 0
    .max_flat_workgroup_size: 128
    .name:           _ZN7rocprim17ROCPRIM_400000_NS6detail17trampoline_kernelINS0_14default_configENS1_38merge_sort_block_merge_config_selectorIlNS0_10empty_typeEEEZZNS1_27merge_sort_block_merge_implIS3_PlPS5_mZN2at6native12_GLOBAL__N_124unique_dim_cuda_templateItEESt5tupleIJNSA_6TensorESF_SF_EERKSF_lbbbEUlllE_EE10hipError_tT0_T1_T2_jT3_P12ihipStream_tbPNSt15iterator_traitsISL_E10value_typeEPNSR_ISM_E10value_typeEPSN_NS1_7vsmem_tEENKUlT_SL_SM_SN_E_clIS8_S8_S9_S9_EESK_S10_SL_SM_SN_EUlS10_E_NS1_11comp_targetILNS1_3genE4ELNS1_11target_archE910ELNS1_3gpuE8ELNS1_3repE0EEENS1_48merge_mergepath_partition_config_static_selectorELNS0_4arch9wavefront6targetE0EEEvSM_
    .private_segment_fixed_size: 0
    .sgpr_count:     0
    .sgpr_spill_count: 0
    .symbol:         _ZN7rocprim17ROCPRIM_400000_NS6detail17trampoline_kernelINS0_14default_configENS1_38merge_sort_block_merge_config_selectorIlNS0_10empty_typeEEEZZNS1_27merge_sort_block_merge_implIS3_PlPS5_mZN2at6native12_GLOBAL__N_124unique_dim_cuda_templateItEESt5tupleIJNSA_6TensorESF_SF_EERKSF_lbbbEUlllE_EE10hipError_tT0_T1_T2_jT3_P12ihipStream_tbPNSt15iterator_traitsISL_E10value_typeEPNSR_ISM_E10value_typeEPSN_NS1_7vsmem_tEENKUlT_SL_SM_SN_E_clIS8_S8_S9_S9_EESK_S10_SL_SM_SN_EUlS10_E_NS1_11comp_targetILNS1_3genE4ELNS1_11target_archE910ELNS1_3gpuE8ELNS1_3repE0EEENS1_48merge_mergepath_partition_config_static_selectorELNS0_4arch9wavefront6targetE0EEEvSM_.kd
    .uniform_work_group_size: 1
    .uses_dynamic_stack: false
    .vgpr_count:     0
    .vgpr_spill_count: 0
    .wavefront_size: 32
  - .args:
      - .offset:         0
        .size:           56
        .value_kind:     by_value
    .group_segment_fixed_size: 0
    .kernarg_segment_align: 8
    .kernarg_segment_size: 56
    .language:       OpenCL C
    .language_version:
      - 2
      - 0
    .max_flat_workgroup_size: 128
    .name:           _ZN7rocprim17ROCPRIM_400000_NS6detail17trampoline_kernelINS0_14default_configENS1_38merge_sort_block_merge_config_selectorIlNS0_10empty_typeEEEZZNS1_27merge_sort_block_merge_implIS3_PlPS5_mZN2at6native12_GLOBAL__N_124unique_dim_cuda_templateItEESt5tupleIJNSA_6TensorESF_SF_EERKSF_lbbbEUlllE_EE10hipError_tT0_T1_T2_jT3_P12ihipStream_tbPNSt15iterator_traitsISL_E10value_typeEPNSR_ISM_E10value_typeEPSN_NS1_7vsmem_tEENKUlT_SL_SM_SN_E_clIS8_S8_S9_S9_EESK_S10_SL_SM_SN_EUlS10_E_NS1_11comp_targetILNS1_3genE3ELNS1_11target_archE908ELNS1_3gpuE7ELNS1_3repE0EEENS1_48merge_mergepath_partition_config_static_selectorELNS0_4arch9wavefront6targetE0EEEvSM_
    .private_segment_fixed_size: 0
    .sgpr_count:     0
    .sgpr_spill_count: 0
    .symbol:         _ZN7rocprim17ROCPRIM_400000_NS6detail17trampoline_kernelINS0_14default_configENS1_38merge_sort_block_merge_config_selectorIlNS0_10empty_typeEEEZZNS1_27merge_sort_block_merge_implIS3_PlPS5_mZN2at6native12_GLOBAL__N_124unique_dim_cuda_templateItEESt5tupleIJNSA_6TensorESF_SF_EERKSF_lbbbEUlllE_EE10hipError_tT0_T1_T2_jT3_P12ihipStream_tbPNSt15iterator_traitsISL_E10value_typeEPNSR_ISM_E10value_typeEPSN_NS1_7vsmem_tEENKUlT_SL_SM_SN_E_clIS8_S8_S9_S9_EESK_S10_SL_SM_SN_EUlS10_E_NS1_11comp_targetILNS1_3genE3ELNS1_11target_archE908ELNS1_3gpuE7ELNS1_3repE0EEENS1_48merge_mergepath_partition_config_static_selectorELNS0_4arch9wavefront6targetE0EEEvSM_.kd
    .uniform_work_group_size: 1
    .uses_dynamic_stack: false
    .vgpr_count:     0
    .vgpr_spill_count: 0
    .wavefront_size: 32
  - .args:
      - .offset:         0
        .size:           56
        .value_kind:     by_value
    .group_segment_fixed_size: 0
    .kernarg_segment_align: 8
    .kernarg_segment_size: 56
    .language:       OpenCL C
    .language_version:
      - 2
      - 0
    .max_flat_workgroup_size: 128
    .name:           _ZN7rocprim17ROCPRIM_400000_NS6detail17trampoline_kernelINS0_14default_configENS1_38merge_sort_block_merge_config_selectorIlNS0_10empty_typeEEEZZNS1_27merge_sort_block_merge_implIS3_PlPS5_mZN2at6native12_GLOBAL__N_124unique_dim_cuda_templateItEESt5tupleIJNSA_6TensorESF_SF_EERKSF_lbbbEUlllE_EE10hipError_tT0_T1_T2_jT3_P12ihipStream_tbPNSt15iterator_traitsISL_E10value_typeEPNSR_ISM_E10value_typeEPSN_NS1_7vsmem_tEENKUlT_SL_SM_SN_E_clIS8_S8_S9_S9_EESK_S10_SL_SM_SN_EUlS10_E_NS1_11comp_targetILNS1_3genE2ELNS1_11target_archE906ELNS1_3gpuE6ELNS1_3repE0EEENS1_48merge_mergepath_partition_config_static_selectorELNS0_4arch9wavefront6targetE0EEEvSM_
    .private_segment_fixed_size: 0
    .sgpr_count:     0
    .sgpr_spill_count: 0
    .symbol:         _ZN7rocprim17ROCPRIM_400000_NS6detail17trampoline_kernelINS0_14default_configENS1_38merge_sort_block_merge_config_selectorIlNS0_10empty_typeEEEZZNS1_27merge_sort_block_merge_implIS3_PlPS5_mZN2at6native12_GLOBAL__N_124unique_dim_cuda_templateItEESt5tupleIJNSA_6TensorESF_SF_EERKSF_lbbbEUlllE_EE10hipError_tT0_T1_T2_jT3_P12ihipStream_tbPNSt15iterator_traitsISL_E10value_typeEPNSR_ISM_E10value_typeEPSN_NS1_7vsmem_tEENKUlT_SL_SM_SN_E_clIS8_S8_S9_S9_EESK_S10_SL_SM_SN_EUlS10_E_NS1_11comp_targetILNS1_3genE2ELNS1_11target_archE906ELNS1_3gpuE6ELNS1_3repE0EEENS1_48merge_mergepath_partition_config_static_selectorELNS0_4arch9wavefront6targetE0EEEvSM_.kd
    .uniform_work_group_size: 1
    .uses_dynamic_stack: false
    .vgpr_count:     0
    .vgpr_spill_count: 0
    .wavefront_size: 32
  - .args:
      - .offset:         0
        .size:           56
        .value_kind:     by_value
    .group_segment_fixed_size: 0
    .kernarg_segment_align: 8
    .kernarg_segment_size: 56
    .language:       OpenCL C
    .language_version:
      - 2
      - 0
    .max_flat_workgroup_size: 128
    .name:           _ZN7rocprim17ROCPRIM_400000_NS6detail17trampoline_kernelINS0_14default_configENS1_38merge_sort_block_merge_config_selectorIlNS0_10empty_typeEEEZZNS1_27merge_sort_block_merge_implIS3_PlPS5_mZN2at6native12_GLOBAL__N_124unique_dim_cuda_templateItEESt5tupleIJNSA_6TensorESF_SF_EERKSF_lbbbEUlllE_EE10hipError_tT0_T1_T2_jT3_P12ihipStream_tbPNSt15iterator_traitsISL_E10value_typeEPNSR_ISM_E10value_typeEPSN_NS1_7vsmem_tEENKUlT_SL_SM_SN_E_clIS8_S8_S9_S9_EESK_S10_SL_SM_SN_EUlS10_E_NS1_11comp_targetILNS1_3genE9ELNS1_11target_archE1100ELNS1_3gpuE3ELNS1_3repE0EEENS1_48merge_mergepath_partition_config_static_selectorELNS0_4arch9wavefront6targetE0EEEvSM_
    .private_segment_fixed_size: 0
    .sgpr_count:     0
    .sgpr_spill_count: 0
    .symbol:         _ZN7rocprim17ROCPRIM_400000_NS6detail17trampoline_kernelINS0_14default_configENS1_38merge_sort_block_merge_config_selectorIlNS0_10empty_typeEEEZZNS1_27merge_sort_block_merge_implIS3_PlPS5_mZN2at6native12_GLOBAL__N_124unique_dim_cuda_templateItEESt5tupleIJNSA_6TensorESF_SF_EERKSF_lbbbEUlllE_EE10hipError_tT0_T1_T2_jT3_P12ihipStream_tbPNSt15iterator_traitsISL_E10value_typeEPNSR_ISM_E10value_typeEPSN_NS1_7vsmem_tEENKUlT_SL_SM_SN_E_clIS8_S8_S9_S9_EESK_S10_SL_SM_SN_EUlS10_E_NS1_11comp_targetILNS1_3genE9ELNS1_11target_archE1100ELNS1_3gpuE3ELNS1_3repE0EEENS1_48merge_mergepath_partition_config_static_selectorELNS0_4arch9wavefront6targetE0EEEvSM_.kd
    .uniform_work_group_size: 1
    .uses_dynamic_stack: false
    .vgpr_count:     0
    .vgpr_spill_count: 0
    .wavefront_size: 32
  - .args:
      - .offset:         0
        .size:           56
        .value_kind:     by_value
    .group_segment_fixed_size: 0
    .kernarg_segment_align: 8
    .kernarg_segment_size: 56
    .language:       OpenCL C
    .language_version:
      - 2
      - 0
    .max_flat_workgroup_size: 128
    .name:           _ZN7rocprim17ROCPRIM_400000_NS6detail17trampoline_kernelINS0_14default_configENS1_38merge_sort_block_merge_config_selectorIlNS0_10empty_typeEEEZZNS1_27merge_sort_block_merge_implIS3_PlPS5_mZN2at6native12_GLOBAL__N_124unique_dim_cuda_templateItEESt5tupleIJNSA_6TensorESF_SF_EERKSF_lbbbEUlllE_EE10hipError_tT0_T1_T2_jT3_P12ihipStream_tbPNSt15iterator_traitsISL_E10value_typeEPNSR_ISM_E10value_typeEPSN_NS1_7vsmem_tEENKUlT_SL_SM_SN_E_clIS8_S8_S9_S9_EESK_S10_SL_SM_SN_EUlS10_E_NS1_11comp_targetILNS1_3genE8ELNS1_11target_archE1030ELNS1_3gpuE2ELNS1_3repE0EEENS1_48merge_mergepath_partition_config_static_selectorELNS0_4arch9wavefront6targetE0EEEvSM_
    .private_segment_fixed_size: 0
    .sgpr_count:     0
    .sgpr_spill_count: 0
    .symbol:         _ZN7rocprim17ROCPRIM_400000_NS6detail17trampoline_kernelINS0_14default_configENS1_38merge_sort_block_merge_config_selectorIlNS0_10empty_typeEEEZZNS1_27merge_sort_block_merge_implIS3_PlPS5_mZN2at6native12_GLOBAL__N_124unique_dim_cuda_templateItEESt5tupleIJNSA_6TensorESF_SF_EERKSF_lbbbEUlllE_EE10hipError_tT0_T1_T2_jT3_P12ihipStream_tbPNSt15iterator_traitsISL_E10value_typeEPNSR_ISM_E10value_typeEPSN_NS1_7vsmem_tEENKUlT_SL_SM_SN_E_clIS8_S8_S9_S9_EESK_S10_SL_SM_SN_EUlS10_E_NS1_11comp_targetILNS1_3genE8ELNS1_11target_archE1030ELNS1_3gpuE2ELNS1_3repE0EEENS1_48merge_mergepath_partition_config_static_selectorELNS0_4arch9wavefront6targetE0EEEvSM_.kd
    .uniform_work_group_size: 1
    .uses_dynamic_stack: false
    .vgpr_count:     0
    .vgpr_spill_count: 0
    .wavefront_size: 32
  - .args:
      - .offset:         0
        .size:           88
        .value_kind:     by_value
      - .offset:         88
        .size:           4
        .value_kind:     hidden_block_count_x
      - .offset:         92
        .size:           4
        .value_kind:     hidden_block_count_y
      - .offset:         96
        .size:           4
        .value_kind:     hidden_block_count_z
      - .offset:         100
        .size:           2
        .value_kind:     hidden_group_size_x
      - .offset:         102
        .size:           2
        .value_kind:     hidden_group_size_y
      - .offset:         104
        .size:           2
        .value_kind:     hidden_group_size_z
      - .offset:         106
        .size:           2
        .value_kind:     hidden_remainder_x
      - .offset:         108
        .size:           2
        .value_kind:     hidden_remainder_y
      - .offset:         110
        .size:           2
        .value_kind:     hidden_remainder_z
      - .offset:         128
        .size:           8
        .value_kind:     hidden_global_offset_x
      - .offset:         136
        .size:           8
        .value_kind:     hidden_global_offset_y
      - .offset:         144
        .size:           8
        .value_kind:     hidden_global_offset_z
      - .offset:         152
        .size:           2
        .value_kind:     hidden_grid_dims
    .group_segment_fixed_size: 8448
    .kernarg_segment_align: 8
    .kernarg_segment_size: 344
    .language:       OpenCL C
    .language_version:
      - 2
      - 0
    .max_flat_workgroup_size: 128
    .name:           _ZN7rocprim17ROCPRIM_400000_NS6detail17trampoline_kernelINS0_14default_configENS1_38merge_sort_block_merge_config_selectorIlNS0_10empty_typeEEEZZNS1_27merge_sort_block_merge_implIS3_PlPS5_mZN2at6native12_GLOBAL__N_124unique_dim_cuda_templateItEESt5tupleIJNSA_6TensorESF_SF_EERKSF_lbbbEUlllE_EE10hipError_tT0_T1_T2_jT3_P12ihipStream_tbPNSt15iterator_traitsISL_E10value_typeEPNSR_ISM_E10value_typeEPSN_NS1_7vsmem_tEENKUlT_SL_SM_SN_E_clIS8_S8_S9_S9_EESK_S10_SL_SM_SN_EUlS10_E0_NS1_11comp_targetILNS1_3genE0ELNS1_11target_archE4294967295ELNS1_3gpuE0ELNS1_3repE0EEENS1_38merge_mergepath_config_static_selectorELNS0_4arch9wavefront6targetE0EEEvSM_
    .private_segment_fixed_size: 0
    .sgpr_count:     33
    .sgpr_spill_count: 0
    .symbol:         _ZN7rocprim17ROCPRIM_400000_NS6detail17trampoline_kernelINS0_14default_configENS1_38merge_sort_block_merge_config_selectorIlNS0_10empty_typeEEEZZNS1_27merge_sort_block_merge_implIS3_PlPS5_mZN2at6native12_GLOBAL__N_124unique_dim_cuda_templateItEESt5tupleIJNSA_6TensorESF_SF_EERKSF_lbbbEUlllE_EE10hipError_tT0_T1_T2_jT3_P12ihipStream_tbPNSt15iterator_traitsISL_E10value_typeEPNSR_ISM_E10value_typeEPSN_NS1_7vsmem_tEENKUlT_SL_SM_SN_E_clIS8_S8_S9_S9_EESK_S10_SL_SM_SN_EUlS10_E0_NS1_11comp_targetILNS1_3genE0ELNS1_11target_archE4294967295ELNS1_3gpuE0ELNS1_3repE0EEENS1_38merge_mergepath_config_static_selectorELNS0_4arch9wavefront6targetE0EEEvSM_.kd
    .uniform_work_group_size: 1
    .uses_dynamic_stack: false
    .vgpr_count:     40
    .vgpr_spill_count: 0
    .wavefront_size: 32
  - .args:
      - .offset:         0
        .size:           88
        .value_kind:     by_value
    .group_segment_fixed_size: 0
    .kernarg_segment_align: 8
    .kernarg_segment_size: 88
    .language:       OpenCL C
    .language_version:
      - 2
      - 0
    .max_flat_workgroup_size: 512
    .name:           _ZN7rocprim17ROCPRIM_400000_NS6detail17trampoline_kernelINS0_14default_configENS1_38merge_sort_block_merge_config_selectorIlNS0_10empty_typeEEEZZNS1_27merge_sort_block_merge_implIS3_PlPS5_mZN2at6native12_GLOBAL__N_124unique_dim_cuda_templateItEESt5tupleIJNSA_6TensorESF_SF_EERKSF_lbbbEUlllE_EE10hipError_tT0_T1_T2_jT3_P12ihipStream_tbPNSt15iterator_traitsISL_E10value_typeEPNSR_ISM_E10value_typeEPSN_NS1_7vsmem_tEENKUlT_SL_SM_SN_E_clIS8_S8_S9_S9_EESK_S10_SL_SM_SN_EUlS10_E0_NS1_11comp_targetILNS1_3genE10ELNS1_11target_archE1201ELNS1_3gpuE5ELNS1_3repE0EEENS1_38merge_mergepath_config_static_selectorELNS0_4arch9wavefront6targetE0EEEvSM_
    .private_segment_fixed_size: 0
    .sgpr_count:     0
    .sgpr_spill_count: 0
    .symbol:         _ZN7rocprim17ROCPRIM_400000_NS6detail17trampoline_kernelINS0_14default_configENS1_38merge_sort_block_merge_config_selectorIlNS0_10empty_typeEEEZZNS1_27merge_sort_block_merge_implIS3_PlPS5_mZN2at6native12_GLOBAL__N_124unique_dim_cuda_templateItEESt5tupleIJNSA_6TensorESF_SF_EERKSF_lbbbEUlllE_EE10hipError_tT0_T1_T2_jT3_P12ihipStream_tbPNSt15iterator_traitsISL_E10value_typeEPNSR_ISM_E10value_typeEPSN_NS1_7vsmem_tEENKUlT_SL_SM_SN_E_clIS8_S8_S9_S9_EESK_S10_SL_SM_SN_EUlS10_E0_NS1_11comp_targetILNS1_3genE10ELNS1_11target_archE1201ELNS1_3gpuE5ELNS1_3repE0EEENS1_38merge_mergepath_config_static_selectorELNS0_4arch9wavefront6targetE0EEEvSM_.kd
    .uniform_work_group_size: 1
    .uses_dynamic_stack: false
    .vgpr_count:     0
    .vgpr_spill_count: 0
    .wavefront_size: 32
  - .args:
      - .offset:         0
        .size:           88
        .value_kind:     by_value
    .group_segment_fixed_size: 0
    .kernarg_segment_align: 8
    .kernarg_segment_size: 88
    .language:       OpenCL C
    .language_version:
      - 2
      - 0
    .max_flat_workgroup_size: 128
    .name:           _ZN7rocprim17ROCPRIM_400000_NS6detail17trampoline_kernelINS0_14default_configENS1_38merge_sort_block_merge_config_selectorIlNS0_10empty_typeEEEZZNS1_27merge_sort_block_merge_implIS3_PlPS5_mZN2at6native12_GLOBAL__N_124unique_dim_cuda_templateItEESt5tupleIJNSA_6TensorESF_SF_EERKSF_lbbbEUlllE_EE10hipError_tT0_T1_T2_jT3_P12ihipStream_tbPNSt15iterator_traitsISL_E10value_typeEPNSR_ISM_E10value_typeEPSN_NS1_7vsmem_tEENKUlT_SL_SM_SN_E_clIS8_S8_S9_S9_EESK_S10_SL_SM_SN_EUlS10_E0_NS1_11comp_targetILNS1_3genE5ELNS1_11target_archE942ELNS1_3gpuE9ELNS1_3repE0EEENS1_38merge_mergepath_config_static_selectorELNS0_4arch9wavefront6targetE0EEEvSM_
    .private_segment_fixed_size: 0
    .sgpr_count:     0
    .sgpr_spill_count: 0
    .symbol:         _ZN7rocprim17ROCPRIM_400000_NS6detail17trampoline_kernelINS0_14default_configENS1_38merge_sort_block_merge_config_selectorIlNS0_10empty_typeEEEZZNS1_27merge_sort_block_merge_implIS3_PlPS5_mZN2at6native12_GLOBAL__N_124unique_dim_cuda_templateItEESt5tupleIJNSA_6TensorESF_SF_EERKSF_lbbbEUlllE_EE10hipError_tT0_T1_T2_jT3_P12ihipStream_tbPNSt15iterator_traitsISL_E10value_typeEPNSR_ISM_E10value_typeEPSN_NS1_7vsmem_tEENKUlT_SL_SM_SN_E_clIS8_S8_S9_S9_EESK_S10_SL_SM_SN_EUlS10_E0_NS1_11comp_targetILNS1_3genE5ELNS1_11target_archE942ELNS1_3gpuE9ELNS1_3repE0EEENS1_38merge_mergepath_config_static_selectorELNS0_4arch9wavefront6targetE0EEEvSM_.kd
    .uniform_work_group_size: 1
    .uses_dynamic_stack: false
    .vgpr_count:     0
    .vgpr_spill_count: 0
    .wavefront_size: 32
  - .args:
      - .offset:         0
        .size:           88
        .value_kind:     by_value
    .group_segment_fixed_size: 0
    .kernarg_segment_align: 8
    .kernarg_segment_size: 88
    .language:       OpenCL C
    .language_version:
      - 2
      - 0
    .max_flat_workgroup_size: 256
    .name:           _ZN7rocprim17ROCPRIM_400000_NS6detail17trampoline_kernelINS0_14default_configENS1_38merge_sort_block_merge_config_selectorIlNS0_10empty_typeEEEZZNS1_27merge_sort_block_merge_implIS3_PlPS5_mZN2at6native12_GLOBAL__N_124unique_dim_cuda_templateItEESt5tupleIJNSA_6TensorESF_SF_EERKSF_lbbbEUlllE_EE10hipError_tT0_T1_T2_jT3_P12ihipStream_tbPNSt15iterator_traitsISL_E10value_typeEPNSR_ISM_E10value_typeEPSN_NS1_7vsmem_tEENKUlT_SL_SM_SN_E_clIS8_S8_S9_S9_EESK_S10_SL_SM_SN_EUlS10_E0_NS1_11comp_targetILNS1_3genE4ELNS1_11target_archE910ELNS1_3gpuE8ELNS1_3repE0EEENS1_38merge_mergepath_config_static_selectorELNS0_4arch9wavefront6targetE0EEEvSM_
    .private_segment_fixed_size: 0
    .sgpr_count:     0
    .sgpr_spill_count: 0
    .symbol:         _ZN7rocprim17ROCPRIM_400000_NS6detail17trampoline_kernelINS0_14default_configENS1_38merge_sort_block_merge_config_selectorIlNS0_10empty_typeEEEZZNS1_27merge_sort_block_merge_implIS3_PlPS5_mZN2at6native12_GLOBAL__N_124unique_dim_cuda_templateItEESt5tupleIJNSA_6TensorESF_SF_EERKSF_lbbbEUlllE_EE10hipError_tT0_T1_T2_jT3_P12ihipStream_tbPNSt15iterator_traitsISL_E10value_typeEPNSR_ISM_E10value_typeEPSN_NS1_7vsmem_tEENKUlT_SL_SM_SN_E_clIS8_S8_S9_S9_EESK_S10_SL_SM_SN_EUlS10_E0_NS1_11comp_targetILNS1_3genE4ELNS1_11target_archE910ELNS1_3gpuE8ELNS1_3repE0EEENS1_38merge_mergepath_config_static_selectorELNS0_4arch9wavefront6targetE0EEEvSM_.kd
    .uniform_work_group_size: 1
    .uses_dynamic_stack: false
    .vgpr_count:     0
    .vgpr_spill_count: 0
    .wavefront_size: 32
  - .args:
      - .offset:         0
        .size:           88
        .value_kind:     by_value
    .group_segment_fixed_size: 0
    .kernarg_segment_align: 8
    .kernarg_segment_size: 88
    .language:       OpenCL C
    .language_version:
      - 2
      - 0
    .max_flat_workgroup_size: 128
    .name:           _ZN7rocprim17ROCPRIM_400000_NS6detail17trampoline_kernelINS0_14default_configENS1_38merge_sort_block_merge_config_selectorIlNS0_10empty_typeEEEZZNS1_27merge_sort_block_merge_implIS3_PlPS5_mZN2at6native12_GLOBAL__N_124unique_dim_cuda_templateItEESt5tupleIJNSA_6TensorESF_SF_EERKSF_lbbbEUlllE_EE10hipError_tT0_T1_T2_jT3_P12ihipStream_tbPNSt15iterator_traitsISL_E10value_typeEPNSR_ISM_E10value_typeEPSN_NS1_7vsmem_tEENKUlT_SL_SM_SN_E_clIS8_S8_S9_S9_EESK_S10_SL_SM_SN_EUlS10_E0_NS1_11comp_targetILNS1_3genE3ELNS1_11target_archE908ELNS1_3gpuE7ELNS1_3repE0EEENS1_38merge_mergepath_config_static_selectorELNS0_4arch9wavefront6targetE0EEEvSM_
    .private_segment_fixed_size: 0
    .sgpr_count:     0
    .sgpr_spill_count: 0
    .symbol:         _ZN7rocprim17ROCPRIM_400000_NS6detail17trampoline_kernelINS0_14default_configENS1_38merge_sort_block_merge_config_selectorIlNS0_10empty_typeEEEZZNS1_27merge_sort_block_merge_implIS3_PlPS5_mZN2at6native12_GLOBAL__N_124unique_dim_cuda_templateItEESt5tupleIJNSA_6TensorESF_SF_EERKSF_lbbbEUlllE_EE10hipError_tT0_T1_T2_jT3_P12ihipStream_tbPNSt15iterator_traitsISL_E10value_typeEPNSR_ISM_E10value_typeEPSN_NS1_7vsmem_tEENKUlT_SL_SM_SN_E_clIS8_S8_S9_S9_EESK_S10_SL_SM_SN_EUlS10_E0_NS1_11comp_targetILNS1_3genE3ELNS1_11target_archE908ELNS1_3gpuE7ELNS1_3repE0EEENS1_38merge_mergepath_config_static_selectorELNS0_4arch9wavefront6targetE0EEEvSM_.kd
    .uniform_work_group_size: 1
    .uses_dynamic_stack: false
    .vgpr_count:     0
    .vgpr_spill_count: 0
    .wavefront_size: 32
  - .args:
      - .offset:         0
        .size:           88
        .value_kind:     by_value
    .group_segment_fixed_size: 0
    .kernarg_segment_align: 8
    .kernarg_segment_size: 88
    .language:       OpenCL C
    .language_version:
      - 2
      - 0
    .max_flat_workgroup_size: 256
    .name:           _ZN7rocprim17ROCPRIM_400000_NS6detail17trampoline_kernelINS0_14default_configENS1_38merge_sort_block_merge_config_selectorIlNS0_10empty_typeEEEZZNS1_27merge_sort_block_merge_implIS3_PlPS5_mZN2at6native12_GLOBAL__N_124unique_dim_cuda_templateItEESt5tupleIJNSA_6TensorESF_SF_EERKSF_lbbbEUlllE_EE10hipError_tT0_T1_T2_jT3_P12ihipStream_tbPNSt15iterator_traitsISL_E10value_typeEPNSR_ISM_E10value_typeEPSN_NS1_7vsmem_tEENKUlT_SL_SM_SN_E_clIS8_S8_S9_S9_EESK_S10_SL_SM_SN_EUlS10_E0_NS1_11comp_targetILNS1_3genE2ELNS1_11target_archE906ELNS1_3gpuE6ELNS1_3repE0EEENS1_38merge_mergepath_config_static_selectorELNS0_4arch9wavefront6targetE0EEEvSM_
    .private_segment_fixed_size: 0
    .sgpr_count:     0
    .sgpr_spill_count: 0
    .symbol:         _ZN7rocprim17ROCPRIM_400000_NS6detail17trampoline_kernelINS0_14default_configENS1_38merge_sort_block_merge_config_selectorIlNS0_10empty_typeEEEZZNS1_27merge_sort_block_merge_implIS3_PlPS5_mZN2at6native12_GLOBAL__N_124unique_dim_cuda_templateItEESt5tupleIJNSA_6TensorESF_SF_EERKSF_lbbbEUlllE_EE10hipError_tT0_T1_T2_jT3_P12ihipStream_tbPNSt15iterator_traitsISL_E10value_typeEPNSR_ISM_E10value_typeEPSN_NS1_7vsmem_tEENKUlT_SL_SM_SN_E_clIS8_S8_S9_S9_EESK_S10_SL_SM_SN_EUlS10_E0_NS1_11comp_targetILNS1_3genE2ELNS1_11target_archE906ELNS1_3gpuE6ELNS1_3repE0EEENS1_38merge_mergepath_config_static_selectorELNS0_4arch9wavefront6targetE0EEEvSM_.kd
    .uniform_work_group_size: 1
    .uses_dynamic_stack: false
    .vgpr_count:     0
    .vgpr_spill_count: 0
    .wavefront_size: 32
  - .args:
      - .offset:         0
        .size:           88
        .value_kind:     by_value
    .group_segment_fixed_size: 0
    .kernarg_segment_align: 8
    .kernarg_segment_size: 88
    .language:       OpenCL C
    .language_version:
      - 2
      - 0
    .max_flat_workgroup_size: 512
    .name:           _ZN7rocprim17ROCPRIM_400000_NS6detail17trampoline_kernelINS0_14default_configENS1_38merge_sort_block_merge_config_selectorIlNS0_10empty_typeEEEZZNS1_27merge_sort_block_merge_implIS3_PlPS5_mZN2at6native12_GLOBAL__N_124unique_dim_cuda_templateItEESt5tupleIJNSA_6TensorESF_SF_EERKSF_lbbbEUlllE_EE10hipError_tT0_T1_T2_jT3_P12ihipStream_tbPNSt15iterator_traitsISL_E10value_typeEPNSR_ISM_E10value_typeEPSN_NS1_7vsmem_tEENKUlT_SL_SM_SN_E_clIS8_S8_S9_S9_EESK_S10_SL_SM_SN_EUlS10_E0_NS1_11comp_targetILNS1_3genE9ELNS1_11target_archE1100ELNS1_3gpuE3ELNS1_3repE0EEENS1_38merge_mergepath_config_static_selectorELNS0_4arch9wavefront6targetE0EEEvSM_
    .private_segment_fixed_size: 0
    .sgpr_count:     0
    .sgpr_spill_count: 0
    .symbol:         _ZN7rocprim17ROCPRIM_400000_NS6detail17trampoline_kernelINS0_14default_configENS1_38merge_sort_block_merge_config_selectorIlNS0_10empty_typeEEEZZNS1_27merge_sort_block_merge_implIS3_PlPS5_mZN2at6native12_GLOBAL__N_124unique_dim_cuda_templateItEESt5tupleIJNSA_6TensorESF_SF_EERKSF_lbbbEUlllE_EE10hipError_tT0_T1_T2_jT3_P12ihipStream_tbPNSt15iterator_traitsISL_E10value_typeEPNSR_ISM_E10value_typeEPSN_NS1_7vsmem_tEENKUlT_SL_SM_SN_E_clIS8_S8_S9_S9_EESK_S10_SL_SM_SN_EUlS10_E0_NS1_11comp_targetILNS1_3genE9ELNS1_11target_archE1100ELNS1_3gpuE3ELNS1_3repE0EEENS1_38merge_mergepath_config_static_selectorELNS0_4arch9wavefront6targetE0EEEvSM_.kd
    .uniform_work_group_size: 1
    .uses_dynamic_stack: false
    .vgpr_count:     0
    .vgpr_spill_count: 0
    .wavefront_size: 32
  - .args:
      - .offset:         0
        .size:           88
        .value_kind:     by_value
    .group_segment_fixed_size: 0
    .kernarg_segment_align: 8
    .kernarg_segment_size: 88
    .language:       OpenCL C
    .language_version:
      - 2
      - 0
    .max_flat_workgroup_size: 1024
    .name:           _ZN7rocprim17ROCPRIM_400000_NS6detail17trampoline_kernelINS0_14default_configENS1_38merge_sort_block_merge_config_selectorIlNS0_10empty_typeEEEZZNS1_27merge_sort_block_merge_implIS3_PlPS5_mZN2at6native12_GLOBAL__N_124unique_dim_cuda_templateItEESt5tupleIJNSA_6TensorESF_SF_EERKSF_lbbbEUlllE_EE10hipError_tT0_T1_T2_jT3_P12ihipStream_tbPNSt15iterator_traitsISL_E10value_typeEPNSR_ISM_E10value_typeEPSN_NS1_7vsmem_tEENKUlT_SL_SM_SN_E_clIS8_S8_S9_S9_EESK_S10_SL_SM_SN_EUlS10_E0_NS1_11comp_targetILNS1_3genE8ELNS1_11target_archE1030ELNS1_3gpuE2ELNS1_3repE0EEENS1_38merge_mergepath_config_static_selectorELNS0_4arch9wavefront6targetE0EEEvSM_
    .private_segment_fixed_size: 0
    .sgpr_count:     0
    .sgpr_spill_count: 0
    .symbol:         _ZN7rocprim17ROCPRIM_400000_NS6detail17trampoline_kernelINS0_14default_configENS1_38merge_sort_block_merge_config_selectorIlNS0_10empty_typeEEEZZNS1_27merge_sort_block_merge_implIS3_PlPS5_mZN2at6native12_GLOBAL__N_124unique_dim_cuda_templateItEESt5tupleIJNSA_6TensorESF_SF_EERKSF_lbbbEUlllE_EE10hipError_tT0_T1_T2_jT3_P12ihipStream_tbPNSt15iterator_traitsISL_E10value_typeEPNSR_ISM_E10value_typeEPSN_NS1_7vsmem_tEENKUlT_SL_SM_SN_E_clIS8_S8_S9_S9_EESK_S10_SL_SM_SN_EUlS10_E0_NS1_11comp_targetILNS1_3genE8ELNS1_11target_archE1030ELNS1_3gpuE2ELNS1_3repE0EEENS1_38merge_mergepath_config_static_selectorELNS0_4arch9wavefront6targetE0EEEvSM_.kd
    .uniform_work_group_size: 1
    .uses_dynamic_stack: false
    .vgpr_count:     0
    .vgpr_spill_count: 0
    .wavefront_size: 32
  - .args:
      - .offset:         0
        .size:           64
        .value_kind:     by_value
    .group_segment_fixed_size: 0
    .kernarg_segment_align: 8
    .kernarg_segment_size: 64
    .language:       OpenCL C
    .language_version:
      - 2
      - 0
    .max_flat_workgroup_size: 256
    .name:           _ZN7rocprim17ROCPRIM_400000_NS6detail17trampoline_kernelINS0_14default_configENS1_38merge_sort_block_merge_config_selectorIlNS0_10empty_typeEEEZZNS1_27merge_sort_block_merge_implIS3_PlPS5_mZN2at6native12_GLOBAL__N_124unique_dim_cuda_templateItEESt5tupleIJNSA_6TensorESF_SF_EERKSF_lbbbEUlllE_EE10hipError_tT0_T1_T2_jT3_P12ihipStream_tbPNSt15iterator_traitsISL_E10value_typeEPNSR_ISM_E10value_typeEPSN_NS1_7vsmem_tEENKUlT_SL_SM_SN_E_clIS8_S8_S9_S9_EESK_S10_SL_SM_SN_EUlS10_E1_NS1_11comp_targetILNS1_3genE0ELNS1_11target_archE4294967295ELNS1_3gpuE0ELNS1_3repE0EEENS1_36merge_oddeven_config_static_selectorELNS0_4arch9wavefront6targetE0EEEvSM_
    .private_segment_fixed_size: 0
    .sgpr_count:     29
    .sgpr_spill_count: 0
    .symbol:         _ZN7rocprim17ROCPRIM_400000_NS6detail17trampoline_kernelINS0_14default_configENS1_38merge_sort_block_merge_config_selectorIlNS0_10empty_typeEEEZZNS1_27merge_sort_block_merge_implIS3_PlPS5_mZN2at6native12_GLOBAL__N_124unique_dim_cuda_templateItEESt5tupleIJNSA_6TensorESF_SF_EERKSF_lbbbEUlllE_EE10hipError_tT0_T1_T2_jT3_P12ihipStream_tbPNSt15iterator_traitsISL_E10value_typeEPNSR_ISM_E10value_typeEPSN_NS1_7vsmem_tEENKUlT_SL_SM_SN_E_clIS8_S8_S9_S9_EESK_S10_SL_SM_SN_EUlS10_E1_NS1_11comp_targetILNS1_3genE0ELNS1_11target_archE4294967295ELNS1_3gpuE0ELNS1_3repE0EEENS1_36merge_oddeven_config_static_selectorELNS0_4arch9wavefront6targetE0EEEvSM_.kd
    .uniform_work_group_size: 1
    .uses_dynamic_stack: false
    .vgpr_count:     17
    .vgpr_spill_count: 0
    .wavefront_size: 32
  - .args:
      - .offset:         0
        .size:           64
        .value_kind:     by_value
    .group_segment_fixed_size: 0
    .kernarg_segment_align: 8
    .kernarg_segment_size: 64
    .language:       OpenCL C
    .language_version:
      - 2
      - 0
    .max_flat_workgroup_size: 256
    .name:           _ZN7rocprim17ROCPRIM_400000_NS6detail17trampoline_kernelINS0_14default_configENS1_38merge_sort_block_merge_config_selectorIlNS0_10empty_typeEEEZZNS1_27merge_sort_block_merge_implIS3_PlPS5_mZN2at6native12_GLOBAL__N_124unique_dim_cuda_templateItEESt5tupleIJNSA_6TensorESF_SF_EERKSF_lbbbEUlllE_EE10hipError_tT0_T1_T2_jT3_P12ihipStream_tbPNSt15iterator_traitsISL_E10value_typeEPNSR_ISM_E10value_typeEPSN_NS1_7vsmem_tEENKUlT_SL_SM_SN_E_clIS8_S8_S9_S9_EESK_S10_SL_SM_SN_EUlS10_E1_NS1_11comp_targetILNS1_3genE10ELNS1_11target_archE1201ELNS1_3gpuE5ELNS1_3repE0EEENS1_36merge_oddeven_config_static_selectorELNS0_4arch9wavefront6targetE0EEEvSM_
    .private_segment_fixed_size: 0
    .sgpr_count:     0
    .sgpr_spill_count: 0
    .symbol:         _ZN7rocprim17ROCPRIM_400000_NS6detail17trampoline_kernelINS0_14default_configENS1_38merge_sort_block_merge_config_selectorIlNS0_10empty_typeEEEZZNS1_27merge_sort_block_merge_implIS3_PlPS5_mZN2at6native12_GLOBAL__N_124unique_dim_cuda_templateItEESt5tupleIJNSA_6TensorESF_SF_EERKSF_lbbbEUlllE_EE10hipError_tT0_T1_T2_jT3_P12ihipStream_tbPNSt15iterator_traitsISL_E10value_typeEPNSR_ISM_E10value_typeEPSN_NS1_7vsmem_tEENKUlT_SL_SM_SN_E_clIS8_S8_S9_S9_EESK_S10_SL_SM_SN_EUlS10_E1_NS1_11comp_targetILNS1_3genE10ELNS1_11target_archE1201ELNS1_3gpuE5ELNS1_3repE0EEENS1_36merge_oddeven_config_static_selectorELNS0_4arch9wavefront6targetE0EEEvSM_.kd
    .uniform_work_group_size: 1
    .uses_dynamic_stack: false
    .vgpr_count:     0
    .vgpr_spill_count: 0
    .wavefront_size: 32
  - .args:
      - .offset:         0
        .size:           64
        .value_kind:     by_value
    .group_segment_fixed_size: 0
    .kernarg_segment_align: 8
    .kernarg_segment_size: 64
    .language:       OpenCL C
    .language_version:
      - 2
      - 0
    .max_flat_workgroup_size: 256
    .name:           _ZN7rocprim17ROCPRIM_400000_NS6detail17trampoline_kernelINS0_14default_configENS1_38merge_sort_block_merge_config_selectorIlNS0_10empty_typeEEEZZNS1_27merge_sort_block_merge_implIS3_PlPS5_mZN2at6native12_GLOBAL__N_124unique_dim_cuda_templateItEESt5tupleIJNSA_6TensorESF_SF_EERKSF_lbbbEUlllE_EE10hipError_tT0_T1_T2_jT3_P12ihipStream_tbPNSt15iterator_traitsISL_E10value_typeEPNSR_ISM_E10value_typeEPSN_NS1_7vsmem_tEENKUlT_SL_SM_SN_E_clIS8_S8_S9_S9_EESK_S10_SL_SM_SN_EUlS10_E1_NS1_11comp_targetILNS1_3genE5ELNS1_11target_archE942ELNS1_3gpuE9ELNS1_3repE0EEENS1_36merge_oddeven_config_static_selectorELNS0_4arch9wavefront6targetE0EEEvSM_
    .private_segment_fixed_size: 0
    .sgpr_count:     0
    .sgpr_spill_count: 0
    .symbol:         _ZN7rocprim17ROCPRIM_400000_NS6detail17trampoline_kernelINS0_14default_configENS1_38merge_sort_block_merge_config_selectorIlNS0_10empty_typeEEEZZNS1_27merge_sort_block_merge_implIS3_PlPS5_mZN2at6native12_GLOBAL__N_124unique_dim_cuda_templateItEESt5tupleIJNSA_6TensorESF_SF_EERKSF_lbbbEUlllE_EE10hipError_tT0_T1_T2_jT3_P12ihipStream_tbPNSt15iterator_traitsISL_E10value_typeEPNSR_ISM_E10value_typeEPSN_NS1_7vsmem_tEENKUlT_SL_SM_SN_E_clIS8_S8_S9_S9_EESK_S10_SL_SM_SN_EUlS10_E1_NS1_11comp_targetILNS1_3genE5ELNS1_11target_archE942ELNS1_3gpuE9ELNS1_3repE0EEENS1_36merge_oddeven_config_static_selectorELNS0_4arch9wavefront6targetE0EEEvSM_.kd
    .uniform_work_group_size: 1
    .uses_dynamic_stack: false
    .vgpr_count:     0
    .vgpr_spill_count: 0
    .wavefront_size: 32
  - .args:
      - .offset:         0
        .size:           64
        .value_kind:     by_value
    .group_segment_fixed_size: 0
    .kernarg_segment_align: 8
    .kernarg_segment_size: 64
    .language:       OpenCL C
    .language_version:
      - 2
      - 0
    .max_flat_workgroup_size: 256
    .name:           _ZN7rocprim17ROCPRIM_400000_NS6detail17trampoline_kernelINS0_14default_configENS1_38merge_sort_block_merge_config_selectorIlNS0_10empty_typeEEEZZNS1_27merge_sort_block_merge_implIS3_PlPS5_mZN2at6native12_GLOBAL__N_124unique_dim_cuda_templateItEESt5tupleIJNSA_6TensorESF_SF_EERKSF_lbbbEUlllE_EE10hipError_tT0_T1_T2_jT3_P12ihipStream_tbPNSt15iterator_traitsISL_E10value_typeEPNSR_ISM_E10value_typeEPSN_NS1_7vsmem_tEENKUlT_SL_SM_SN_E_clIS8_S8_S9_S9_EESK_S10_SL_SM_SN_EUlS10_E1_NS1_11comp_targetILNS1_3genE4ELNS1_11target_archE910ELNS1_3gpuE8ELNS1_3repE0EEENS1_36merge_oddeven_config_static_selectorELNS0_4arch9wavefront6targetE0EEEvSM_
    .private_segment_fixed_size: 0
    .sgpr_count:     0
    .sgpr_spill_count: 0
    .symbol:         _ZN7rocprim17ROCPRIM_400000_NS6detail17trampoline_kernelINS0_14default_configENS1_38merge_sort_block_merge_config_selectorIlNS0_10empty_typeEEEZZNS1_27merge_sort_block_merge_implIS3_PlPS5_mZN2at6native12_GLOBAL__N_124unique_dim_cuda_templateItEESt5tupleIJNSA_6TensorESF_SF_EERKSF_lbbbEUlllE_EE10hipError_tT0_T1_T2_jT3_P12ihipStream_tbPNSt15iterator_traitsISL_E10value_typeEPNSR_ISM_E10value_typeEPSN_NS1_7vsmem_tEENKUlT_SL_SM_SN_E_clIS8_S8_S9_S9_EESK_S10_SL_SM_SN_EUlS10_E1_NS1_11comp_targetILNS1_3genE4ELNS1_11target_archE910ELNS1_3gpuE8ELNS1_3repE0EEENS1_36merge_oddeven_config_static_selectorELNS0_4arch9wavefront6targetE0EEEvSM_.kd
    .uniform_work_group_size: 1
    .uses_dynamic_stack: false
    .vgpr_count:     0
    .vgpr_spill_count: 0
    .wavefront_size: 32
  - .args:
      - .offset:         0
        .size:           64
        .value_kind:     by_value
    .group_segment_fixed_size: 0
    .kernarg_segment_align: 8
    .kernarg_segment_size: 64
    .language:       OpenCL C
    .language_version:
      - 2
      - 0
    .max_flat_workgroup_size: 256
    .name:           _ZN7rocprim17ROCPRIM_400000_NS6detail17trampoline_kernelINS0_14default_configENS1_38merge_sort_block_merge_config_selectorIlNS0_10empty_typeEEEZZNS1_27merge_sort_block_merge_implIS3_PlPS5_mZN2at6native12_GLOBAL__N_124unique_dim_cuda_templateItEESt5tupleIJNSA_6TensorESF_SF_EERKSF_lbbbEUlllE_EE10hipError_tT0_T1_T2_jT3_P12ihipStream_tbPNSt15iterator_traitsISL_E10value_typeEPNSR_ISM_E10value_typeEPSN_NS1_7vsmem_tEENKUlT_SL_SM_SN_E_clIS8_S8_S9_S9_EESK_S10_SL_SM_SN_EUlS10_E1_NS1_11comp_targetILNS1_3genE3ELNS1_11target_archE908ELNS1_3gpuE7ELNS1_3repE0EEENS1_36merge_oddeven_config_static_selectorELNS0_4arch9wavefront6targetE0EEEvSM_
    .private_segment_fixed_size: 0
    .sgpr_count:     0
    .sgpr_spill_count: 0
    .symbol:         _ZN7rocprim17ROCPRIM_400000_NS6detail17trampoline_kernelINS0_14default_configENS1_38merge_sort_block_merge_config_selectorIlNS0_10empty_typeEEEZZNS1_27merge_sort_block_merge_implIS3_PlPS5_mZN2at6native12_GLOBAL__N_124unique_dim_cuda_templateItEESt5tupleIJNSA_6TensorESF_SF_EERKSF_lbbbEUlllE_EE10hipError_tT0_T1_T2_jT3_P12ihipStream_tbPNSt15iterator_traitsISL_E10value_typeEPNSR_ISM_E10value_typeEPSN_NS1_7vsmem_tEENKUlT_SL_SM_SN_E_clIS8_S8_S9_S9_EESK_S10_SL_SM_SN_EUlS10_E1_NS1_11comp_targetILNS1_3genE3ELNS1_11target_archE908ELNS1_3gpuE7ELNS1_3repE0EEENS1_36merge_oddeven_config_static_selectorELNS0_4arch9wavefront6targetE0EEEvSM_.kd
    .uniform_work_group_size: 1
    .uses_dynamic_stack: false
    .vgpr_count:     0
    .vgpr_spill_count: 0
    .wavefront_size: 32
  - .args:
      - .offset:         0
        .size:           64
        .value_kind:     by_value
    .group_segment_fixed_size: 0
    .kernarg_segment_align: 8
    .kernarg_segment_size: 64
    .language:       OpenCL C
    .language_version:
      - 2
      - 0
    .max_flat_workgroup_size: 256
    .name:           _ZN7rocprim17ROCPRIM_400000_NS6detail17trampoline_kernelINS0_14default_configENS1_38merge_sort_block_merge_config_selectorIlNS0_10empty_typeEEEZZNS1_27merge_sort_block_merge_implIS3_PlPS5_mZN2at6native12_GLOBAL__N_124unique_dim_cuda_templateItEESt5tupleIJNSA_6TensorESF_SF_EERKSF_lbbbEUlllE_EE10hipError_tT0_T1_T2_jT3_P12ihipStream_tbPNSt15iterator_traitsISL_E10value_typeEPNSR_ISM_E10value_typeEPSN_NS1_7vsmem_tEENKUlT_SL_SM_SN_E_clIS8_S8_S9_S9_EESK_S10_SL_SM_SN_EUlS10_E1_NS1_11comp_targetILNS1_3genE2ELNS1_11target_archE906ELNS1_3gpuE6ELNS1_3repE0EEENS1_36merge_oddeven_config_static_selectorELNS0_4arch9wavefront6targetE0EEEvSM_
    .private_segment_fixed_size: 0
    .sgpr_count:     0
    .sgpr_spill_count: 0
    .symbol:         _ZN7rocprim17ROCPRIM_400000_NS6detail17trampoline_kernelINS0_14default_configENS1_38merge_sort_block_merge_config_selectorIlNS0_10empty_typeEEEZZNS1_27merge_sort_block_merge_implIS3_PlPS5_mZN2at6native12_GLOBAL__N_124unique_dim_cuda_templateItEESt5tupleIJNSA_6TensorESF_SF_EERKSF_lbbbEUlllE_EE10hipError_tT0_T1_T2_jT3_P12ihipStream_tbPNSt15iterator_traitsISL_E10value_typeEPNSR_ISM_E10value_typeEPSN_NS1_7vsmem_tEENKUlT_SL_SM_SN_E_clIS8_S8_S9_S9_EESK_S10_SL_SM_SN_EUlS10_E1_NS1_11comp_targetILNS1_3genE2ELNS1_11target_archE906ELNS1_3gpuE6ELNS1_3repE0EEENS1_36merge_oddeven_config_static_selectorELNS0_4arch9wavefront6targetE0EEEvSM_.kd
    .uniform_work_group_size: 1
    .uses_dynamic_stack: false
    .vgpr_count:     0
    .vgpr_spill_count: 0
    .wavefront_size: 32
  - .args:
      - .offset:         0
        .size:           64
        .value_kind:     by_value
    .group_segment_fixed_size: 0
    .kernarg_segment_align: 8
    .kernarg_segment_size: 64
    .language:       OpenCL C
    .language_version:
      - 2
      - 0
    .max_flat_workgroup_size: 256
    .name:           _ZN7rocprim17ROCPRIM_400000_NS6detail17trampoline_kernelINS0_14default_configENS1_38merge_sort_block_merge_config_selectorIlNS0_10empty_typeEEEZZNS1_27merge_sort_block_merge_implIS3_PlPS5_mZN2at6native12_GLOBAL__N_124unique_dim_cuda_templateItEESt5tupleIJNSA_6TensorESF_SF_EERKSF_lbbbEUlllE_EE10hipError_tT0_T1_T2_jT3_P12ihipStream_tbPNSt15iterator_traitsISL_E10value_typeEPNSR_ISM_E10value_typeEPSN_NS1_7vsmem_tEENKUlT_SL_SM_SN_E_clIS8_S8_S9_S9_EESK_S10_SL_SM_SN_EUlS10_E1_NS1_11comp_targetILNS1_3genE9ELNS1_11target_archE1100ELNS1_3gpuE3ELNS1_3repE0EEENS1_36merge_oddeven_config_static_selectorELNS0_4arch9wavefront6targetE0EEEvSM_
    .private_segment_fixed_size: 0
    .sgpr_count:     0
    .sgpr_spill_count: 0
    .symbol:         _ZN7rocprim17ROCPRIM_400000_NS6detail17trampoline_kernelINS0_14default_configENS1_38merge_sort_block_merge_config_selectorIlNS0_10empty_typeEEEZZNS1_27merge_sort_block_merge_implIS3_PlPS5_mZN2at6native12_GLOBAL__N_124unique_dim_cuda_templateItEESt5tupleIJNSA_6TensorESF_SF_EERKSF_lbbbEUlllE_EE10hipError_tT0_T1_T2_jT3_P12ihipStream_tbPNSt15iterator_traitsISL_E10value_typeEPNSR_ISM_E10value_typeEPSN_NS1_7vsmem_tEENKUlT_SL_SM_SN_E_clIS8_S8_S9_S9_EESK_S10_SL_SM_SN_EUlS10_E1_NS1_11comp_targetILNS1_3genE9ELNS1_11target_archE1100ELNS1_3gpuE3ELNS1_3repE0EEENS1_36merge_oddeven_config_static_selectorELNS0_4arch9wavefront6targetE0EEEvSM_.kd
    .uniform_work_group_size: 1
    .uses_dynamic_stack: false
    .vgpr_count:     0
    .vgpr_spill_count: 0
    .wavefront_size: 32
  - .args:
      - .offset:         0
        .size:           64
        .value_kind:     by_value
    .group_segment_fixed_size: 0
    .kernarg_segment_align: 8
    .kernarg_segment_size: 64
    .language:       OpenCL C
    .language_version:
      - 2
      - 0
    .max_flat_workgroup_size: 256
    .name:           _ZN7rocprim17ROCPRIM_400000_NS6detail17trampoline_kernelINS0_14default_configENS1_38merge_sort_block_merge_config_selectorIlNS0_10empty_typeEEEZZNS1_27merge_sort_block_merge_implIS3_PlPS5_mZN2at6native12_GLOBAL__N_124unique_dim_cuda_templateItEESt5tupleIJNSA_6TensorESF_SF_EERKSF_lbbbEUlllE_EE10hipError_tT0_T1_T2_jT3_P12ihipStream_tbPNSt15iterator_traitsISL_E10value_typeEPNSR_ISM_E10value_typeEPSN_NS1_7vsmem_tEENKUlT_SL_SM_SN_E_clIS8_S8_S9_S9_EESK_S10_SL_SM_SN_EUlS10_E1_NS1_11comp_targetILNS1_3genE8ELNS1_11target_archE1030ELNS1_3gpuE2ELNS1_3repE0EEENS1_36merge_oddeven_config_static_selectorELNS0_4arch9wavefront6targetE0EEEvSM_
    .private_segment_fixed_size: 0
    .sgpr_count:     0
    .sgpr_spill_count: 0
    .symbol:         _ZN7rocprim17ROCPRIM_400000_NS6detail17trampoline_kernelINS0_14default_configENS1_38merge_sort_block_merge_config_selectorIlNS0_10empty_typeEEEZZNS1_27merge_sort_block_merge_implIS3_PlPS5_mZN2at6native12_GLOBAL__N_124unique_dim_cuda_templateItEESt5tupleIJNSA_6TensorESF_SF_EERKSF_lbbbEUlllE_EE10hipError_tT0_T1_T2_jT3_P12ihipStream_tbPNSt15iterator_traitsISL_E10value_typeEPNSR_ISM_E10value_typeEPSN_NS1_7vsmem_tEENKUlT_SL_SM_SN_E_clIS8_S8_S9_S9_EESK_S10_SL_SM_SN_EUlS10_E1_NS1_11comp_targetILNS1_3genE8ELNS1_11target_archE1030ELNS1_3gpuE2ELNS1_3repE0EEENS1_36merge_oddeven_config_static_selectorELNS0_4arch9wavefront6targetE0EEEvSM_.kd
    .uniform_work_group_size: 1
    .uses_dynamic_stack: false
    .vgpr_count:     0
    .vgpr_spill_count: 0
    .wavefront_size: 32
  - .args:
      - .offset:         0
        .size:           64
        .value_kind:     by_value
    .group_segment_fixed_size: 2048
    .kernarg_segment_align: 8
    .kernarg_segment_size: 64
    .language:       OpenCL C
    .language_version:
      - 2
      - 0
    .max_flat_workgroup_size: 128
    .name:           _ZN7rocprim17ROCPRIM_400000_NS6detail17trampoline_kernelINS0_14default_configENS1_35adjacent_difference_config_selectorILb0ElEEZNS1_24adjacent_difference_implIS3_Lb0ELb0EPlS7_ZN2at6native12_GLOBAL__N_124unique_dim_cuda_templateItEESt5tupleIJNS8_6TensorESD_SD_EERKSD_lbbbEUlllE1_EE10hipError_tPvRmT2_T3_mT4_P12ihipStream_tbEUlT_E_NS1_11comp_targetILNS1_3genE0ELNS1_11target_archE4294967295ELNS1_3gpuE0ELNS1_3repE0EEENS1_30default_config_static_selectorELNS0_4arch9wavefront6targetE0EEEvT1_
    .private_segment_fixed_size: 0
    .sgpr_count:     26
    .sgpr_spill_count: 0
    .symbol:         _ZN7rocprim17ROCPRIM_400000_NS6detail17trampoline_kernelINS0_14default_configENS1_35adjacent_difference_config_selectorILb0ElEEZNS1_24adjacent_difference_implIS3_Lb0ELb0EPlS7_ZN2at6native12_GLOBAL__N_124unique_dim_cuda_templateItEESt5tupleIJNS8_6TensorESD_SD_EERKSD_lbbbEUlllE1_EE10hipError_tPvRmT2_T3_mT4_P12ihipStream_tbEUlT_E_NS1_11comp_targetILNS1_3genE0ELNS1_11target_archE4294967295ELNS1_3gpuE0ELNS1_3repE0EEENS1_30default_config_static_selectorELNS0_4arch9wavefront6targetE0EEEvT1_.kd
    .uniform_work_group_size: 1
    .uses_dynamic_stack: false
    .vgpr_count:     11
    .vgpr_spill_count: 0
    .wavefront_size: 32
  - .args:
      - .offset:         0
        .size:           64
        .value_kind:     by_value
    .group_segment_fixed_size: 0
    .kernarg_segment_align: 8
    .kernarg_segment_size: 64
    .language:       OpenCL C
    .language_version:
      - 2
      - 0
    .max_flat_workgroup_size: 128
    .name:           _ZN7rocprim17ROCPRIM_400000_NS6detail17trampoline_kernelINS0_14default_configENS1_35adjacent_difference_config_selectorILb0ElEEZNS1_24adjacent_difference_implIS3_Lb0ELb0EPlS7_ZN2at6native12_GLOBAL__N_124unique_dim_cuda_templateItEESt5tupleIJNS8_6TensorESD_SD_EERKSD_lbbbEUlllE1_EE10hipError_tPvRmT2_T3_mT4_P12ihipStream_tbEUlT_E_NS1_11comp_targetILNS1_3genE10ELNS1_11target_archE1201ELNS1_3gpuE5ELNS1_3repE0EEENS1_30default_config_static_selectorELNS0_4arch9wavefront6targetE0EEEvT1_
    .private_segment_fixed_size: 0
    .sgpr_count:     0
    .sgpr_spill_count: 0
    .symbol:         _ZN7rocprim17ROCPRIM_400000_NS6detail17trampoline_kernelINS0_14default_configENS1_35adjacent_difference_config_selectorILb0ElEEZNS1_24adjacent_difference_implIS3_Lb0ELb0EPlS7_ZN2at6native12_GLOBAL__N_124unique_dim_cuda_templateItEESt5tupleIJNS8_6TensorESD_SD_EERKSD_lbbbEUlllE1_EE10hipError_tPvRmT2_T3_mT4_P12ihipStream_tbEUlT_E_NS1_11comp_targetILNS1_3genE10ELNS1_11target_archE1201ELNS1_3gpuE5ELNS1_3repE0EEENS1_30default_config_static_selectorELNS0_4arch9wavefront6targetE0EEEvT1_.kd
    .uniform_work_group_size: 1
    .uses_dynamic_stack: false
    .vgpr_count:     0
    .vgpr_spill_count: 0
    .wavefront_size: 32
  - .args:
      - .offset:         0
        .size:           64
        .value_kind:     by_value
    .group_segment_fixed_size: 0
    .kernarg_segment_align: 8
    .kernarg_segment_size: 64
    .language:       OpenCL C
    .language_version:
      - 2
      - 0
    .max_flat_workgroup_size: 64
    .name:           _ZN7rocprim17ROCPRIM_400000_NS6detail17trampoline_kernelINS0_14default_configENS1_35adjacent_difference_config_selectorILb0ElEEZNS1_24adjacent_difference_implIS3_Lb0ELb0EPlS7_ZN2at6native12_GLOBAL__N_124unique_dim_cuda_templateItEESt5tupleIJNS8_6TensorESD_SD_EERKSD_lbbbEUlllE1_EE10hipError_tPvRmT2_T3_mT4_P12ihipStream_tbEUlT_E_NS1_11comp_targetILNS1_3genE5ELNS1_11target_archE942ELNS1_3gpuE9ELNS1_3repE0EEENS1_30default_config_static_selectorELNS0_4arch9wavefront6targetE0EEEvT1_
    .private_segment_fixed_size: 0
    .sgpr_count:     0
    .sgpr_spill_count: 0
    .symbol:         _ZN7rocprim17ROCPRIM_400000_NS6detail17trampoline_kernelINS0_14default_configENS1_35adjacent_difference_config_selectorILb0ElEEZNS1_24adjacent_difference_implIS3_Lb0ELb0EPlS7_ZN2at6native12_GLOBAL__N_124unique_dim_cuda_templateItEESt5tupleIJNS8_6TensorESD_SD_EERKSD_lbbbEUlllE1_EE10hipError_tPvRmT2_T3_mT4_P12ihipStream_tbEUlT_E_NS1_11comp_targetILNS1_3genE5ELNS1_11target_archE942ELNS1_3gpuE9ELNS1_3repE0EEENS1_30default_config_static_selectorELNS0_4arch9wavefront6targetE0EEEvT1_.kd
    .uniform_work_group_size: 1
    .uses_dynamic_stack: false
    .vgpr_count:     0
    .vgpr_spill_count: 0
    .wavefront_size: 32
  - .args:
      - .offset:         0
        .size:           64
        .value_kind:     by_value
    .group_segment_fixed_size: 0
    .kernarg_segment_align: 8
    .kernarg_segment_size: 64
    .language:       OpenCL C
    .language_version:
      - 2
      - 0
    .max_flat_workgroup_size: 256
    .name:           _ZN7rocprim17ROCPRIM_400000_NS6detail17trampoline_kernelINS0_14default_configENS1_35adjacent_difference_config_selectorILb0ElEEZNS1_24adjacent_difference_implIS3_Lb0ELb0EPlS7_ZN2at6native12_GLOBAL__N_124unique_dim_cuda_templateItEESt5tupleIJNS8_6TensorESD_SD_EERKSD_lbbbEUlllE1_EE10hipError_tPvRmT2_T3_mT4_P12ihipStream_tbEUlT_E_NS1_11comp_targetILNS1_3genE4ELNS1_11target_archE910ELNS1_3gpuE8ELNS1_3repE0EEENS1_30default_config_static_selectorELNS0_4arch9wavefront6targetE0EEEvT1_
    .private_segment_fixed_size: 0
    .sgpr_count:     0
    .sgpr_spill_count: 0
    .symbol:         _ZN7rocprim17ROCPRIM_400000_NS6detail17trampoline_kernelINS0_14default_configENS1_35adjacent_difference_config_selectorILb0ElEEZNS1_24adjacent_difference_implIS3_Lb0ELb0EPlS7_ZN2at6native12_GLOBAL__N_124unique_dim_cuda_templateItEESt5tupleIJNS8_6TensorESD_SD_EERKSD_lbbbEUlllE1_EE10hipError_tPvRmT2_T3_mT4_P12ihipStream_tbEUlT_E_NS1_11comp_targetILNS1_3genE4ELNS1_11target_archE910ELNS1_3gpuE8ELNS1_3repE0EEENS1_30default_config_static_selectorELNS0_4arch9wavefront6targetE0EEEvT1_.kd
    .uniform_work_group_size: 1
    .uses_dynamic_stack: false
    .vgpr_count:     0
    .vgpr_spill_count: 0
    .wavefront_size: 32
  - .args:
      - .offset:         0
        .size:           64
        .value_kind:     by_value
    .group_segment_fixed_size: 0
    .kernarg_segment_align: 8
    .kernarg_segment_size: 64
    .language:       OpenCL C
    .language_version:
      - 2
      - 0
    .max_flat_workgroup_size: 128
    .name:           _ZN7rocprim17ROCPRIM_400000_NS6detail17trampoline_kernelINS0_14default_configENS1_35adjacent_difference_config_selectorILb0ElEEZNS1_24adjacent_difference_implIS3_Lb0ELb0EPlS7_ZN2at6native12_GLOBAL__N_124unique_dim_cuda_templateItEESt5tupleIJNS8_6TensorESD_SD_EERKSD_lbbbEUlllE1_EE10hipError_tPvRmT2_T3_mT4_P12ihipStream_tbEUlT_E_NS1_11comp_targetILNS1_3genE3ELNS1_11target_archE908ELNS1_3gpuE7ELNS1_3repE0EEENS1_30default_config_static_selectorELNS0_4arch9wavefront6targetE0EEEvT1_
    .private_segment_fixed_size: 0
    .sgpr_count:     0
    .sgpr_spill_count: 0
    .symbol:         _ZN7rocprim17ROCPRIM_400000_NS6detail17trampoline_kernelINS0_14default_configENS1_35adjacent_difference_config_selectorILb0ElEEZNS1_24adjacent_difference_implIS3_Lb0ELb0EPlS7_ZN2at6native12_GLOBAL__N_124unique_dim_cuda_templateItEESt5tupleIJNS8_6TensorESD_SD_EERKSD_lbbbEUlllE1_EE10hipError_tPvRmT2_T3_mT4_P12ihipStream_tbEUlT_E_NS1_11comp_targetILNS1_3genE3ELNS1_11target_archE908ELNS1_3gpuE7ELNS1_3repE0EEENS1_30default_config_static_selectorELNS0_4arch9wavefront6targetE0EEEvT1_.kd
    .uniform_work_group_size: 1
    .uses_dynamic_stack: false
    .vgpr_count:     0
    .vgpr_spill_count: 0
    .wavefront_size: 32
  - .args:
      - .offset:         0
        .size:           64
        .value_kind:     by_value
    .group_segment_fixed_size: 0
    .kernarg_segment_align: 8
    .kernarg_segment_size: 64
    .language:       OpenCL C
    .language_version:
      - 2
      - 0
    .max_flat_workgroup_size: 128
    .name:           _ZN7rocprim17ROCPRIM_400000_NS6detail17trampoline_kernelINS0_14default_configENS1_35adjacent_difference_config_selectorILb0ElEEZNS1_24adjacent_difference_implIS3_Lb0ELb0EPlS7_ZN2at6native12_GLOBAL__N_124unique_dim_cuda_templateItEESt5tupleIJNS8_6TensorESD_SD_EERKSD_lbbbEUlllE1_EE10hipError_tPvRmT2_T3_mT4_P12ihipStream_tbEUlT_E_NS1_11comp_targetILNS1_3genE2ELNS1_11target_archE906ELNS1_3gpuE6ELNS1_3repE0EEENS1_30default_config_static_selectorELNS0_4arch9wavefront6targetE0EEEvT1_
    .private_segment_fixed_size: 0
    .sgpr_count:     0
    .sgpr_spill_count: 0
    .symbol:         _ZN7rocprim17ROCPRIM_400000_NS6detail17trampoline_kernelINS0_14default_configENS1_35adjacent_difference_config_selectorILb0ElEEZNS1_24adjacent_difference_implIS3_Lb0ELb0EPlS7_ZN2at6native12_GLOBAL__N_124unique_dim_cuda_templateItEESt5tupleIJNS8_6TensorESD_SD_EERKSD_lbbbEUlllE1_EE10hipError_tPvRmT2_T3_mT4_P12ihipStream_tbEUlT_E_NS1_11comp_targetILNS1_3genE2ELNS1_11target_archE906ELNS1_3gpuE6ELNS1_3repE0EEENS1_30default_config_static_selectorELNS0_4arch9wavefront6targetE0EEEvT1_.kd
    .uniform_work_group_size: 1
    .uses_dynamic_stack: false
    .vgpr_count:     0
    .vgpr_spill_count: 0
    .wavefront_size: 32
  - .args:
      - .offset:         0
        .size:           64
        .value_kind:     by_value
    .group_segment_fixed_size: 0
    .kernarg_segment_align: 8
    .kernarg_segment_size: 64
    .language:       OpenCL C
    .language_version:
      - 2
      - 0
    .max_flat_workgroup_size: 512
    .name:           _ZN7rocprim17ROCPRIM_400000_NS6detail17trampoline_kernelINS0_14default_configENS1_35adjacent_difference_config_selectorILb0ElEEZNS1_24adjacent_difference_implIS3_Lb0ELb0EPlS7_ZN2at6native12_GLOBAL__N_124unique_dim_cuda_templateItEESt5tupleIJNS8_6TensorESD_SD_EERKSD_lbbbEUlllE1_EE10hipError_tPvRmT2_T3_mT4_P12ihipStream_tbEUlT_E_NS1_11comp_targetILNS1_3genE9ELNS1_11target_archE1100ELNS1_3gpuE3ELNS1_3repE0EEENS1_30default_config_static_selectorELNS0_4arch9wavefront6targetE0EEEvT1_
    .private_segment_fixed_size: 0
    .sgpr_count:     0
    .sgpr_spill_count: 0
    .symbol:         _ZN7rocprim17ROCPRIM_400000_NS6detail17trampoline_kernelINS0_14default_configENS1_35adjacent_difference_config_selectorILb0ElEEZNS1_24adjacent_difference_implIS3_Lb0ELb0EPlS7_ZN2at6native12_GLOBAL__N_124unique_dim_cuda_templateItEESt5tupleIJNS8_6TensorESD_SD_EERKSD_lbbbEUlllE1_EE10hipError_tPvRmT2_T3_mT4_P12ihipStream_tbEUlT_E_NS1_11comp_targetILNS1_3genE9ELNS1_11target_archE1100ELNS1_3gpuE3ELNS1_3repE0EEENS1_30default_config_static_selectorELNS0_4arch9wavefront6targetE0EEEvT1_.kd
    .uniform_work_group_size: 1
    .uses_dynamic_stack: false
    .vgpr_count:     0
    .vgpr_spill_count: 0
    .wavefront_size: 32
  - .args:
      - .offset:         0
        .size:           64
        .value_kind:     by_value
    .group_segment_fixed_size: 0
    .kernarg_segment_align: 8
    .kernarg_segment_size: 64
    .language:       OpenCL C
    .language_version:
      - 2
      - 0
    .max_flat_workgroup_size: 1024
    .name:           _ZN7rocprim17ROCPRIM_400000_NS6detail17trampoline_kernelINS0_14default_configENS1_35adjacent_difference_config_selectorILb0ElEEZNS1_24adjacent_difference_implIS3_Lb0ELb0EPlS7_ZN2at6native12_GLOBAL__N_124unique_dim_cuda_templateItEESt5tupleIJNS8_6TensorESD_SD_EERKSD_lbbbEUlllE1_EE10hipError_tPvRmT2_T3_mT4_P12ihipStream_tbEUlT_E_NS1_11comp_targetILNS1_3genE8ELNS1_11target_archE1030ELNS1_3gpuE2ELNS1_3repE0EEENS1_30default_config_static_selectorELNS0_4arch9wavefront6targetE0EEEvT1_
    .private_segment_fixed_size: 0
    .sgpr_count:     0
    .sgpr_spill_count: 0
    .symbol:         _ZN7rocprim17ROCPRIM_400000_NS6detail17trampoline_kernelINS0_14default_configENS1_35adjacent_difference_config_selectorILb0ElEEZNS1_24adjacent_difference_implIS3_Lb0ELb0EPlS7_ZN2at6native12_GLOBAL__N_124unique_dim_cuda_templateItEESt5tupleIJNS8_6TensorESD_SD_EERKSD_lbbbEUlllE1_EE10hipError_tPvRmT2_T3_mT4_P12ihipStream_tbEUlT_E_NS1_11comp_targetILNS1_3genE8ELNS1_11target_archE1030ELNS1_3gpuE2ELNS1_3repE0EEENS1_30default_config_static_selectorELNS0_4arch9wavefront6targetE0EEEvT1_.kd
    .uniform_work_group_size: 1
    .uses_dynamic_stack: false
    .vgpr_count:     0
    .vgpr_spill_count: 0
    .wavefront_size: 32
  - .args:
      - .offset:         0
        .size:           56
        .value_kind:     by_value
      - .offset:         56
        .size:           4
        .value_kind:     hidden_block_count_x
      - .offset:         60
        .size:           4
        .value_kind:     hidden_block_count_y
      - .offset:         64
        .size:           4
        .value_kind:     hidden_block_count_z
      - .offset:         68
        .size:           2
        .value_kind:     hidden_group_size_x
      - .offset:         70
        .size:           2
        .value_kind:     hidden_group_size_y
      - .offset:         72
        .size:           2
        .value_kind:     hidden_group_size_z
      - .offset:         74
        .size:           2
        .value_kind:     hidden_remainder_x
      - .offset:         76
        .size:           2
        .value_kind:     hidden_remainder_y
      - .offset:         78
        .size:           2
        .value_kind:     hidden_remainder_z
      - .offset:         96
        .size:           8
        .value_kind:     hidden_global_offset_x
      - .offset:         104
        .size:           8
        .value_kind:     hidden_global_offset_y
      - .offset:         112
        .size:           8
        .value_kind:     hidden_global_offset_z
      - .offset:         120
        .size:           2
        .value_kind:     hidden_grid_dims
    .group_segment_fixed_size: 0
    .kernarg_segment_align: 8
    .kernarg_segment_size: 312
    .language:       OpenCL C
    .language_version:
      - 2
      - 0
    .max_flat_workgroup_size: 128
    .name:           _ZN7rocprim17ROCPRIM_400000_NS6detail17trampoline_kernelINS0_14default_configENS1_25transform_config_selectorIlLb0EEEZNS1_14transform_implILb0ES3_S5_NS0_18transform_iteratorINS0_17counting_iteratorImlEEZNS1_24adjacent_difference_implIS3_Lb1ELb0EPlSB_ZN2at6native12_GLOBAL__N_124unique_dim_cuda_templateItEESt5tupleIJNSC_6TensorESH_SH_EERKSH_lbbbEUlllE1_EE10hipError_tPvRmT2_T3_mT4_P12ihipStream_tbEUlmE_lEESB_NS0_8identityIvEEEESM_SP_SQ_mSR_ST_bEUlT_E_NS1_11comp_targetILNS1_3genE0ELNS1_11target_archE4294967295ELNS1_3gpuE0ELNS1_3repE0EEENS1_30default_config_static_selectorELNS0_4arch9wavefront6targetE0EEEvT1_
    .private_segment_fixed_size: 0
    .sgpr_count:     16
    .sgpr_spill_count: 0
    .symbol:         _ZN7rocprim17ROCPRIM_400000_NS6detail17trampoline_kernelINS0_14default_configENS1_25transform_config_selectorIlLb0EEEZNS1_14transform_implILb0ES3_S5_NS0_18transform_iteratorINS0_17counting_iteratorImlEEZNS1_24adjacent_difference_implIS3_Lb1ELb0EPlSB_ZN2at6native12_GLOBAL__N_124unique_dim_cuda_templateItEESt5tupleIJNSC_6TensorESH_SH_EERKSH_lbbbEUlllE1_EE10hipError_tPvRmT2_T3_mT4_P12ihipStream_tbEUlmE_lEESB_NS0_8identityIvEEEESM_SP_SQ_mSR_ST_bEUlT_E_NS1_11comp_targetILNS1_3genE0ELNS1_11target_archE4294967295ELNS1_3gpuE0ELNS1_3repE0EEENS1_30default_config_static_selectorELNS0_4arch9wavefront6targetE0EEEvT1_.kd
    .uniform_work_group_size: 1
    .uses_dynamic_stack: false
    .vgpr_count:     4
    .vgpr_spill_count: 0
    .wavefront_size: 32
  - .args:
      - .offset:         0
        .size:           56
        .value_kind:     by_value
    .group_segment_fixed_size: 0
    .kernarg_segment_align: 8
    .kernarg_segment_size: 56
    .language:       OpenCL C
    .language_version:
      - 2
      - 0
    .max_flat_workgroup_size: 512
    .name:           _ZN7rocprim17ROCPRIM_400000_NS6detail17trampoline_kernelINS0_14default_configENS1_25transform_config_selectorIlLb0EEEZNS1_14transform_implILb0ES3_S5_NS0_18transform_iteratorINS0_17counting_iteratorImlEEZNS1_24adjacent_difference_implIS3_Lb1ELb0EPlSB_ZN2at6native12_GLOBAL__N_124unique_dim_cuda_templateItEESt5tupleIJNSC_6TensorESH_SH_EERKSH_lbbbEUlllE1_EE10hipError_tPvRmT2_T3_mT4_P12ihipStream_tbEUlmE_lEESB_NS0_8identityIvEEEESM_SP_SQ_mSR_ST_bEUlT_E_NS1_11comp_targetILNS1_3genE5ELNS1_11target_archE942ELNS1_3gpuE9ELNS1_3repE0EEENS1_30default_config_static_selectorELNS0_4arch9wavefront6targetE0EEEvT1_
    .private_segment_fixed_size: 0
    .sgpr_count:     0
    .sgpr_spill_count: 0
    .symbol:         _ZN7rocprim17ROCPRIM_400000_NS6detail17trampoline_kernelINS0_14default_configENS1_25transform_config_selectorIlLb0EEEZNS1_14transform_implILb0ES3_S5_NS0_18transform_iteratorINS0_17counting_iteratorImlEEZNS1_24adjacent_difference_implIS3_Lb1ELb0EPlSB_ZN2at6native12_GLOBAL__N_124unique_dim_cuda_templateItEESt5tupleIJNSC_6TensorESH_SH_EERKSH_lbbbEUlllE1_EE10hipError_tPvRmT2_T3_mT4_P12ihipStream_tbEUlmE_lEESB_NS0_8identityIvEEEESM_SP_SQ_mSR_ST_bEUlT_E_NS1_11comp_targetILNS1_3genE5ELNS1_11target_archE942ELNS1_3gpuE9ELNS1_3repE0EEENS1_30default_config_static_selectorELNS0_4arch9wavefront6targetE0EEEvT1_.kd
    .uniform_work_group_size: 1
    .uses_dynamic_stack: false
    .vgpr_count:     0
    .vgpr_spill_count: 0
    .wavefront_size: 32
  - .args:
      - .offset:         0
        .size:           56
        .value_kind:     by_value
    .group_segment_fixed_size: 0
    .kernarg_segment_align: 8
    .kernarg_segment_size: 56
    .language:       OpenCL C
    .language_version:
      - 2
      - 0
    .max_flat_workgroup_size: 256
    .name:           _ZN7rocprim17ROCPRIM_400000_NS6detail17trampoline_kernelINS0_14default_configENS1_25transform_config_selectorIlLb0EEEZNS1_14transform_implILb0ES3_S5_NS0_18transform_iteratorINS0_17counting_iteratorImlEEZNS1_24adjacent_difference_implIS3_Lb1ELb0EPlSB_ZN2at6native12_GLOBAL__N_124unique_dim_cuda_templateItEESt5tupleIJNSC_6TensorESH_SH_EERKSH_lbbbEUlllE1_EE10hipError_tPvRmT2_T3_mT4_P12ihipStream_tbEUlmE_lEESB_NS0_8identityIvEEEESM_SP_SQ_mSR_ST_bEUlT_E_NS1_11comp_targetILNS1_3genE4ELNS1_11target_archE910ELNS1_3gpuE8ELNS1_3repE0EEENS1_30default_config_static_selectorELNS0_4arch9wavefront6targetE0EEEvT1_
    .private_segment_fixed_size: 0
    .sgpr_count:     0
    .sgpr_spill_count: 0
    .symbol:         _ZN7rocprim17ROCPRIM_400000_NS6detail17trampoline_kernelINS0_14default_configENS1_25transform_config_selectorIlLb0EEEZNS1_14transform_implILb0ES3_S5_NS0_18transform_iteratorINS0_17counting_iteratorImlEEZNS1_24adjacent_difference_implIS3_Lb1ELb0EPlSB_ZN2at6native12_GLOBAL__N_124unique_dim_cuda_templateItEESt5tupleIJNSC_6TensorESH_SH_EERKSH_lbbbEUlllE1_EE10hipError_tPvRmT2_T3_mT4_P12ihipStream_tbEUlmE_lEESB_NS0_8identityIvEEEESM_SP_SQ_mSR_ST_bEUlT_E_NS1_11comp_targetILNS1_3genE4ELNS1_11target_archE910ELNS1_3gpuE8ELNS1_3repE0EEENS1_30default_config_static_selectorELNS0_4arch9wavefront6targetE0EEEvT1_.kd
    .uniform_work_group_size: 1
    .uses_dynamic_stack: false
    .vgpr_count:     0
    .vgpr_spill_count: 0
    .wavefront_size: 32
  - .args:
      - .offset:         0
        .size:           56
        .value_kind:     by_value
    .group_segment_fixed_size: 0
    .kernarg_segment_align: 8
    .kernarg_segment_size: 56
    .language:       OpenCL C
    .language_version:
      - 2
      - 0
    .max_flat_workgroup_size: 128
    .name:           _ZN7rocprim17ROCPRIM_400000_NS6detail17trampoline_kernelINS0_14default_configENS1_25transform_config_selectorIlLb0EEEZNS1_14transform_implILb0ES3_S5_NS0_18transform_iteratorINS0_17counting_iteratorImlEEZNS1_24adjacent_difference_implIS3_Lb1ELb0EPlSB_ZN2at6native12_GLOBAL__N_124unique_dim_cuda_templateItEESt5tupleIJNSC_6TensorESH_SH_EERKSH_lbbbEUlllE1_EE10hipError_tPvRmT2_T3_mT4_P12ihipStream_tbEUlmE_lEESB_NS0_8identityIvEEEESM_SP_SQ_mSR_ST_bEUlT_E_NS1_11comp_targetILNS1_3genE3ELNS1_11target_archE908ELNS1_3gpuE7ELNS1_3repE0EEENS1_30default_config_static_selectorELNS0_4arch9wavefront6targetE0EEEvT1_
    .private_segment_fixed_size: 0
    .sgpr_count:     0
    .sgpr_spill_count: 0
    .symbol:         _ZN7rocprim17ROCPRIM_400000_NS6detail17trampoline_kernelINS0_14default_configENS1_25transform_config_selectorIlLb0EEEZNS1_14transform_implILb0ES3_S5_NS0_18transform_iteratorINS0_17counting_iteratorImlEEZNS1_24adjacent_difference_implIS3_Lb1ELb0EPlSB_ZN2at6native12_GLOBAL__N_124unique_dim_cuda_templateItEESt5tupleIJNSC_6TensorESH_SH_EERKSH_lbbbEUlllE1_EE10hipError_tPvRmT2_T3_mT4_P12ihipStream_tbEUlmE_lEESB_NS0_8identityIvEEEESM_SP_SQ_mSR_ST_bEUlT_E_NS1_11comp_targetILNS1_3genE3ELNS1_11target_archE908ELNS1_3gpuE7ELNS1_3repE0EEENS1_30default_config_static_selectorELNS0_4arch9wavefront6targetE0EEEvT1_.kd
    .uniform_work_group_size: 1
    .uses_dynamic_stack: false
    .vgpr_count:     0
    .vgpr_spill_count: 0
    .wavefront_size: 32
  - .args:
      - .offset:         0
        .size:           56
        .value_kind:     by_value
    .group_segment_fixed_size: 0
    .kernarg_segment_align: 8
    .kernarg_segment_size: 56
    .language:       OpenCL C
    .language_version:
      - 2
      - 0
    .max_flat_workgroup_size: 512
    .name:           _ZN7rocprim17ROCPRIM_400000_NS6detail17trampoline_kernelINS0_14default_configENS1_25transform_config_selectorIlLb0EEEZNS1_14transform_implILb0ES3_S5_NS0_18transform_iteratorINS0_17counting_iteratorImlEEZNS1_24adjacent_difference_implIS3_Lb1ELb0EPlSB_ZN2at6native12_GLOBAL__N_124unique_dim_cuda_templateItEESt5tupleIJNSC_6TensorESH_SH_EERKSH_lbbbEUlllE1_EE10hipError_tPvRmT2_T3_mT4_P12ihipStream_tbEUlmE_lEESB_NS0_8identityIvEEEESM_SP_SQ_mSR_ST_bEUlT_E_NS1_11comp_targetILNS1_3genE2ELNS1_11target_archE906ELNS1_3gpuE6ELNS1_3repE0EEENS1_30default_config_static_selectorELNS0_4arch9wavefront6targetE0EEEvT1_
    .private_segment_fixed_size: 0
    .sgpr_count:     0
    .sgpr_spill_count: 0
    .symbol:         _ZN7rocprim17ROCPRIM_400000_NS6detail17trampoline_kernelINS0_14default_configENS1_25transform_config_selectorIlLb0EEEZNS1_14transform_implILb0ES3_S5_NS0_18transform_iteratorINS0_17counting_iteratorImlEEZNS1_24adjacent_difference_implIS3_Lb1ELb0EPlSB_ZN2at6native12_GLOBAL__N_124unique_dim_cuda_templateItEESt5tupleIJNSC_6TensorESH_SH_EERKSH_lbbbEUlllE1_EE10hipError_tPvRmT2_T3_mT4_P12ihipStream_tbEUlmE_lEESB_NS0_8identityIvEEEESM_SP_SQ_mSR_ST_bEUlT_E_NS1_11comp_targetILNS1_3genE2ELNS1_11target_archE906ELNS1_3gpuE6ELNS1_3repE0EEENS1_30default_config_static_selectorELNS0_4arch9wavefront6targetE0EEEvT1_.kd
    .uniform_work_group_size: 1
    .uses_dynamic_stack: false
    .vgpr_count:     0
    .vgpr_spill_count: 0
    .wavefront_size: 32
  - .args:
      - .offset:         0
        .size:           56
        .value_kind:     by_value
    .group_segment_fixed_size: 0
    .kernarg_segment_align: 8
    .kernarg_segment_size: 56
    .language:       OpenCL C
    .language_version:
      - 2
      - 0
    .max_flat_workgroup_size: 1024
    .name:           _ZN7rocprim17ROCPRIM_400000_NS6detail17trampoline_kernelINS0_14default_configENS1_25transform_config_selectorIlLb0EEEZNS1_14transform_implILb0ES3_S5_NS0_18transform_iteratorINS0_17counting_iteratorImlEEZNS1_24adjacent_difference_implIS3_Lb1ELb0EPlSB_ZN2at6native12_GLOBAL__N_124unique_dim_cuda_templateItEESt5tupleIJNSC_6TensorESH_SH_EERKSH_lbbbEUlllE1_EE10hipError_tPvRmT2_T3_mT4_P12ihipStream_tbEUlmE_lEESB_NS0_8identityIvEEEESM_SP_SQ_mSR_ST_bEUlT_E_NS1_11comp_targetILNS1_3genE10ELNS1_11target_archE1201ELNS1_3gpuE5ELNS1_3repE0EEENS1_30default_config_static_selectorELNS0_4arch9wavefront6targetE0EEEvT1_
    .private_segment_fixed_size: 0
    .sgpr_count:     0
    .sgpr_spill_count: 0
    .symbol:         _ZN7rocprim17ROCPRIM_400000_NS6detail17trampoline_kernelINS0_14default_configENS1_25transform_config_selectorIlLb0EEEZNS1_14transform_implILb0ES3_S5_NS0_18transform_iteratorINS0_17counting_iteratorImlEEZNS1_24adjacent_difference_implIS3_Lb1ELb0EPlSB_ZN2at6native12_GLOBAL__N_124unique_dim_cuda_templateItEESt5tupleIJNSC_6TensorESH_SH_EERKSH_lbbbEUlllE1_EE10hipError_tPvRmT2_T3_mT4_P12ihipStream_tbEUlmE_lEESB_NS0_8identityIvEEEESM_SP_SQ_mSR_ST_bEUlT_E_NS1_11comp_targetILNS1_3genE10ELNS1_11target_archE1201ELNS1_3gpuE5ELNS1_3repE0EEENS1_30default_config_static_selectorELNS0_4arch9wavefront6targetE0EEEvT1_.kd
    .uniform_work_group_size: 1
    .uses_dynamic_stack: false
    .vgpr_count:     0
    .vgpr_spill_count: 0
    .wavefront_size: 32
  - .args:
      - .offset:         0
        .size:           56
        .value_kind:     by_value
    .group_segment_fixed_size: 0
    .kernarg_segment_align: 8
    .kernarg_segment_size: 56
    .language:       OpenCL C
    .language_version:
      - 2
      - 0
    .max_flat_workgroup_size: 512
    .name:           _ZN7rocprim17ROCPRIM_400000_NS6detail17trampoline_kernelINS0_14default_configENS1_25transform_config_selectorIlLb0EEEZNS1_14transform_implILb0ES3_S5_NS0_18transform_iteratorINS0_17counting_iteratorImlEEZNS1_24adjacent_difference_implIS3_Lb1ELb0EPlSB_ZN2at6native12_GLOBAL__N_124unique_dim_cuda_templateItEESt5tupleIJNSC_6TensorESH_SH_EERKSH_lbbbEUlllE1_EE10hipError_tPvRmT2_T3_mT4_P12ihipStream_tbEUlmE_lEESB_NS0_8identityIvEEEESM_SP_SQ_mSR_ST_bEUlT_E_NS1_11comp_targetILNS1_3genE10ELNS1_11target_archE1200ELNS1_3gpuE4ELNS1_3repE0EEENS1_30default_config_static_selectorELNS0_4arch9wavefront6targetE0EEEvT1_
    .private_segment_fixed_size: 0
    .sgpr_count:     0
    .sgpr_spill_count: 0
    .symbol:         _ZN7rocprim17ROCPRIM_400000_NS6detail17trampoline_kernelINS0_14default_configENS1_25transform_config_selectorIlLb0EEEZNS1_14transform_implILb0ES3_S5_NS0_18transform_iteratorINS0_17counting_iteratorImlEEZNS1_24adjacent_difference_implIS3_Lb1ELb0EPlSB_ZN2at6native12_GLOBAL__N_124unique_dim_cuda_templateItEESt5tupleIJNSC_6TensorESH_SH_EERKSH_lbbbEUlllE1_EE10hipError_tPvRmT2_T3_mT4_P12ihipStream_tbEUlmE_lEESB_NS0_8identityIvEEEESM_SP_SQ_mSR_ST_bEUlT_E_NS1_11comp_targetILNS1_3genE10ELNS1_11target_archE1200ELNS1_3gpuE4ELNS1_3repE0EEENS1_30default_config_static_selectorELNS0_4arch9wavefront6targetE0EEEvT1_.kd
    .uniform_work_group_size: 1
    .uses_dynamic_stack: false
    .vgpr_count:     0
    .vgpr_spill_count: 0
    .wavefront_size: 32
  - .args:
      - .offset:         0
        .size:           56
        .value_kind:     by_value
    .group_segment_fixed_size: 0
    .kernarg_segment_align: 8
    .kernarg_segment_size: 56
    .language:       OpenCL C
    .language_version:
      - 2
      - 0
    .max_flat_workgroup_size: 512
    .name:           _ZN7rocprim17ROCPRIM_400000_NS6detail17trampoline_kernelINS0_14default_configENS1_25transform_config_selectorIlLb0EEEZNS1_14transform_implILb0ES3_S5_NS0_18transform_iteratorINS0_17counting_iteratorImlEEZNS1_24adjacent_difference_implIS3_Lb1ELb0EPlSB_ZN2at6native12_GLOBAL__N_124unique_dim_cuda_templateItEESt5tupleIJNSC_6TensorESH_SH_EERKSH_lbbbEUlllE1_EE10hipError_tPvRmT2_T3_mT4_P12ihipStream_tbEUlmE_lEESB_NS0_8identityIvEEEESM_SP_SQ_mSR_ST_bEUlT_E_NS1_11comp_targetILNS1_3genE9ELNS1_11target_archE1100ELNS1_3gpuE3ELNS1_3repE0EEENS1_30default_config_static_selectorELNS0_4arch9wavefront6targetE0EEEvT1_
    .private_segment_fixed_size: 0
    .sgpr_count:     0
    .sgpr_spill_count: 0
    .symbol:         _ZN7rocprim17ROCPRIM_400000_NS6detail17trampoline_kernelINS0_14default_configENS1_25transform_config_selectorIlLb0EEEZNS1_14transform_implILb0ES3_S5_NS0_18transform_iteratorINS0_17counting_iteratorImlEEZNS1_24adjacent_difference_implIS3_Lb1ELb0EPlSB_ZN2at6native12_GLOBAL__N_124unique_dim_cuda_templateItEESt5tupleIJNSC_6TensorESH_SH_EERKSH_lbbbEUlllE1_EE10hipError_tPvRmT2_T3_mT4_P12ihipStream_tbEUlmE_lEESB_NS0_8identityIvEEEESM_SP_SQ_mSR_ST_bEUlT_E_NS1_11comp_targetILNS1_3genE9ELNS1_11target_archE1100ELNS1_3gpuE3ELNS1_3repE0EEENS1_30default_config_static_selectorELNS0_4arch9wavefront6targetE0EEEvT1_.kd
    .uniform_work_group_size: 1
    .uses_dynamic_stack: false
    .vgpr_count:     0
    .vgpr_spill_count: 0
    .wavefront_size: 32
  - .args:
      - .offset:         0
        .size:           56
        .value_kind:     by_value
    .group_segment_fixed_size: 0
    .kernarg_segment_align: 8
    .kernarg_segment_size: 56
    .language:       OpenCL C
    .language_version:
      - 2
      - 0
    .max_flat_workgroup_size: 512
    .name:           _ZN7rocprim17ROCPRIM_400000_NS6detail17trampoline_kernelINS0_14default_configENS1_25transform_config_selectorIlLb0EEEZNS1_14transform_implILb0ES3_S5_NS0_18transform_iteratorINS0_17counting_iteratorImlEEZNS1_24adjacent_difference_implIS3_Lb1ELb0EPlSB_ZN2at6native12_GLOBAL__N_124unique_dim_cuda_templateItEESt5tupleIJNSC_6TensorESH_SH_EERKSH_lbbbEUlllE1_EE10hipError_tPvRmT2_T3_mT4_P12ihipStream_tbEUlmE_lEESB_NS0_8identityIvEEEESM_SP_SQ_mSR_ST_bEUlT_E_NS1_11comp_targetILNS1_3genE8ELNS1_11target_archE1030ELNS1_3gpuE2ELNS1_3repE0EEENS1_30default_config_static_selectorELNS0_4arch9wavefront6targetE0EEEvT1_
    .private_segment_fixed_size: 0
    .sgpr_count:     0
    .sgpr_spill_count: 0
    .symbol:         _ZN7rocprim17ROCPRIM_400000_NS6detail17trampoline_kernelINS0_14default_configENS1_25transform_config_selectorIlLb0EEEZNS1_14transform_implILb0ES3_S5_NS0_18transform_iteratorINS0_17counting_iteratorImlEEZNS1_24adjacent_difference_implIS3_Lb1ELb0EPlSB_ZN2at6native12_GLOBAL__N_124unique_dim_cuda_templateItEESt5tupleIJNSC_6TensorESH_SH_EERKSH_lbbbEUlllE1_EE10hipError_tPvRmT2_T3_mT4_P12ihipStream_tbEUlmE_lEESB_NS0_8identityIvEEEESM_SP_SQ_mSR_ST_bEUlT_E_NS1_11comp_targetILNS1_3genE8ELNS1_11target_archE1030ELNS1_3gpuE2ELNS1_3repE0EEENS1_30default_config_static_selectorELNS0_4arch9wavefront6targetE0EEEvT1_.kd
    .uniform_work_group_size: 1
    .uses_dynamic_stack: false
    .vgpr_count:     0
    .vgpr_spill_count: 0
    .wavefront_size: 32
  - .args:
      - .offset:         0
        .size:           64
        .value_kind:     by_value
    .group_segment_fixed_size: 8448
    .kernarg_segment_align: 8
    .kernarg_segment_size: 64
    .language:       OpenCL C
    .language_version:
      - 2
      - 0
    .max_flat_workgroup_size: 512
    .name:           _ZN7rocprim17ROCPRIM_400000_NS6detail17trampoline_kernelINS0_14default_configENS1_35adjacent_difference_config_selectorILb1ElEEZNS1_24adjacent_difference_implIS3_Lb1ELb0EPlS7_ZN2at6native12_GLOBAL__N_124unique_dim_cuda_templateItEESt5tupleIJNS8_6TensorESD_SD_EERKSD_lbbbEUlllE1_EE10hipError_tPvRmT2_T3_mT4_P12ihipStream_tbEUlT_E_NS1_11comp_targetILNS1_3genE0ELNS1_11target_archE4294967295ELNS1_3gpuE0ELNS1_3repE0EEENS1_30default_config_static_selectorELNS0_4arch9wavefront6targetE0EEEvT1_
    .private_segment_fixed_size: 0
    .sgpr_count:     31
    .sgpr_spill_count: 0
    .symbol:         _ZN7rocprim17ROCPRIM_400000_NS6detail17trampoline_kernelINS0_14default_configENS1_35adjacent_difference_config_selectorILb1ElEEZNS1_24adjacent_difference_implIS3_Lb1ELb0EPlS7_ZN2at6native12_GLOBAL__N_124unique_dim_cuda_templateItEESt5tupleIJNS8_6TensorESD_SD_EERKSD_lbbbEUlllE1_EE10hipError_tPvRmT2_T3_mT4_P12ihipStream_tbEUlT_E_NS1_11comp_targetILNS1_3genE0ELNS1_11target_archE4294967295ELNS1_3gpuE0ELNS1_3repE0EEENS1_30default_config_static_selectorELNS0_4arch9wavefront6targetE0EEEvT1_.kd
    .uniform_work_group_size: 1
    .uses_dynamic_stack: false
    .vgpr_count:     16
    .vgpr_spill_count: 0
    .wavefront_size: 32
  - .args:
      - .offset:         0
        .size:           64
        .value_kind:     by_value
    .group_segment_fixed_size: 0
    .kernarg_segment_align: 8
    .kernarg_segment_size: 64
    .language:       OpenCL C
    .language_version:
      - 2
      - 0
    .max_flat_workgroup_size: 32
    .name:           _ZN7rocprim17ROCPRIM_400000_NS6detail17trampoline_kernelINS0_14default_configENS1_35adjacent_difference_config_selectorILb1ElEEZNS1_24adjacent_difference_implIS3_Lb1ELb0EPlS7_ZN2at6native12_GLOBAL__N_124unique_dim_cuda_templateItEESt5tupleIJNS8_6TensorESD_SD_EERKSD_lbbbEUlllE1_EE10hipError_tPvRmT2_T3_mT4_P12ihipStream_tbEUlT_E_NS1_11comp_targetILNS1_3genE10ELNS1_11target_archE1201ELNS1_3gpuE5ELNS1_3repE0EEENS1_30default_config_static_selectorELNS0_4arch9wavefront6targetE0EEEvT1_
    .private_segment_fixed_size: 0
    .sgpr_count:     0
    .sgpr_spill_count: 0
    .symbol:         _ZN7rocprim17ROCPRIM_400000_NS6detail17trampoline_kernelINS0_14default_configENS1_35adjacent_difference_config_selectorILb1ElEEZNS1_24adjacent_difference_implIS3_Lb1ELb0EPlS7_ZN2at6native12_GLOBAL__N_124unique_dim_cuda_templateItEESt5tupleIJNS8_6TensorESD_SD_EERKSD_lbbbEUlllE1_EE10hipError_tPvRmT2_T3_mT4_P12ihipStream_tbEUlT_E_NS1_11comp_targetILNS1_3genE10ELNS1_11target_archE1201ELNS1_3gpuE5ELNS1_3repE0EEENS1_30default_config_static_selectorELNS0_4arch9wavefront6targetE0EEEvT1_.kd
    .uniform_work_group_size: 1
    .uses_dynamic_stack: false
    .vgpr_count:     0
    .vgpr_spill_count: 0
    .wavefront_size: 32
  - .args:
      - .offset:         0
        .size:           64
        .value_kind:     by_value
    .group_segment_fixed_size: 0
    .kernarg_segment_align: 8
    .kernarg_segment_size: 64
    .language:       OpenCL C
    .language_version:
      - 2
      - 0
    .max_flat_workgroup_size: 256
    .name:           _ZN7rocprim17ROCPRIM_400000_NS6detail17trampoline_kernelINS0_14default_configENS1_35adjacent_difference_config_selectorILb1ElEEZNS1_24adjacent_difference_implIS3_Lb1ELb0EPlS7_ZN2at6native12_GLOBAL__N_124unique_dim_cuda_templateItEESt5tupleIJNS8_6TensorESD_SD_EERKSD_lbbbEUlllE1_EE10hipError_tPvRmT2_T3_mT4_P12ihipStream_tbEUlT_E_NS1_11comp_targetILNS1_3genE5ELNS1_11target_archE942ELNS1_3gpuE9ELNS1_3repE0EEENS1_30default_config_static_selectorELNS0_4arch9wavefront6targetE0EEEvT1_
    .private_segment_fixed_size: 0
    .sgpr_count:     0
    .sgpr_spill_count: 0
    .symbol:         _ZN7rocprim17ROCPRIM_400000_NS6detail17trampoline_kernelINS0_14default_configENS1_35adjacent_difference_config_selectorILb1ElEEZNS1_24adjacent_difference_implIS3_Lb1ELb0EPlS7_ZN2at6native12_GLOBAL__N_124unique_dim_cuda_templateItEESt5tupleIJNS8_6TensorESD_SD_EERKSD_lbbbEUlllE1_EE10hipError_tPvRmT2_T3_mT4_P12ihipStream_tbEUlT_E_NS1_11comp_targetILNS1_3genE5ELNS1_11target_archE942ELNS1_3gpuE9ELNS1_3repE0EEENS1_30default_config_static_selectorELNS0_4arch9wavefront6targetE0EEEvT1_.kd
    .uniform_work_group_size: 1
    .uses_dynamic_stack: false
    .vgpr_count:     0
    .vgpr_spill_count: 0
    .wavefront_size: 32
  - .args:
      - .offset:         0
        .size:           64
        .value_kind:     by_value
    .group_segment_fixed_size: 0
    .kernarg_segment_align: 8
    .kernarg_segment_size: 64
    .language:       OpenCL C
    .language_version:
      - 2
      - 0
    .max_flat_workgroup_size: 512
    .name:           _ZN7rocprim17ROCPRIM_400000_NS6detail17trampoline_kernelINS0_14default_configENS1_35adjacent_difference_config_selectorILb1ElEEZNS1_24adjacent_difference_implIS3_Lb1ELb0EPlS7_ZN2at6native12_GLOBAL__N_124unique_dim_cuda_templateItEESt5tupleIJNS8_6TensorESD_SD_EERKSD_lbbbEUlllE1_EE10hipError_tPvRmT2_T3_mT4_P12ihipStream_tbEUlT_E_NS1_11comp_targetILNS1_3genE4ELNS1_11target_archE910ELNS1_3gpuE8ELNS1_3repE0EEENS1_30default_config_static_selectorELNS0_4arch9wavefront6targetE0EEEvT1_
    .private_segment_fixed_size: 0
    .sgpr_count:     0
    .sgpr_spill_count: 0
    .symbol:         _ZN7rocprim17ROCPRIM_400000_NS6detail17trampoline_kernelINS0_14default_configENS1_35adjacent_difference_config_selectorILb1ElEEZNS1_24adjacent_difference_implIS3_Lb1ELb0EPlS7_ZN2at6native12_GLOBAL__N_124unique_dim_cuda_templateItEESt5tupleIJNS8_6TensorESD_SD_EERKSD_lbbbEUlllE1_EE10hipError_tPvRmT2_T3_mT4_P12ihipStream_tbEUlT_E_NS1_11comp_targetILNS1_3genE4ELNS1_11target_archE910ELNS1_3gpuE8ELNS1_3repE0EEENS1_30default_config_static_selectorELNS0_4arch9wavefront6targetE0EEEvT1_.kd
    .uniform_work_group_size: 1
    .uses_dynamic_stack: false
    .vgpr_count:     0
    .vgpr_spill_count: 0
    .wavefront_size: 32
  - .args:
      - .offset:         0
        .size:           64
        .value_kind:     by_value
    .group_segment_fixed_size: 0
    .kernarg_segment_align: 8
    .kernarg_segment_size: 64
    .language:       OpenCL C
    .language_version:
      - 2
      - 0
    .max_flat_workgroup_size: 512
    .name:           _ZN7rocprim17ROCPRIM_400000_NS6detail17trampoline_kernelINS0_14default_configENS1_35adjacent_difference_config_selectorILb1ElEEZNS1_24adjacent_difference_implIS3_Lb1ELb0EPlS7_ZN2at6native12_GLOBAL__N_124unique_dim_cuda_templateItEESt5tupleIJNS8_6TensorESD_SD_EERKSD_lbbbEUlllE1_EE10hipError_tPvRmT2_T3_mT4_P12ihipStream_tbEUlT_E_NS1_11comp_targetILNS1_3genE3ELNS1_11target_archE908ELNS1_3gpuE7ELNS1_3repE0EEENS1_30default_config_static_selectorELNS0_4arch9wavefront6targetE0EEEvT1_
    .private_segment_fixed_size: 0
    .sgpr_count:     0
    .sgpr_spill_count: 0
    .symbol:         _ZN7rocprim17ROCPRIM_400000_NS6detail17trampoline_kernelINS0_14default_configENS1_35adjacent_difference_config_selectorILb1ElEEZNS1_24adjacent_difference_implIS3_Lb1ELb0EPlS7_ZN2at6native12_GLOBAL__N_124unique_dim_cuda_templateItEESt5tupleIJNS8_6TensorESD_SD_EERKSD_lbbbEUlllE1_EE10hipError_tPvRmT2_T3_mT4_P12ihipStream_tbEUlT_E_NS1_11comp_targetILNS1_3genE3ELNS1_11target_archE908ELNS1_3gpuE7ELNS1_3repE0EEENS1_30default_config_static_selectorELNS0_4arch9wavefront6targetE0EEEvT1_.kd
    .uniform_work_group_size: 1
    .uses_dynamic_stack: false
    .vgpr_count:     0
    .vgpr_spill_count: 0
    .wavefront_size: 32
  - .args:
      - .offset:         0
        .size:           64
        .value_kind:     by_value
    .group_segment_fixed_size: 0
    .kernarg_segment_align: 8
    .kernarg_segment_size: 64
    .language:       OpenCL C
    .language_version:
      - 2
      - 0
    .max_flat_workgroup_size: 128
    .name:           _ZN7rocprim17ROCPRIM_400000_NS6detail17trampoline_kernelINS0_14default_configENS1_35adjacent_difference_config_selectorILb1ElEEZNS1_24adjacent_difference_implIS3_Lb1ELb0EPlS7_ZN2at6native12_GLOBAL__N_124unique_dim_cuda_templateItEESt5tupleIJNS8_6TensorESD_SD_EERKSD_lbbbEUlllE1_EE10hipError_tPvRmT2_T3_mT4_P12ihipStream_tbEUlT_E_NS1_11comp_targetILNS1_3genE2ELNS1_11target_archE906ELNS1_3gpuE6ELNS1_3repE0EEENS1_30default_config_static_selectorELNS0_4arch9wavefront6targetE0EEEvT1_
    .private_segment_fixed_size: 0
    .sgpr_count:     0
    .sgpr_spill_count: 0
    .symbol:         _ZN7rocprim17ROCPRIM_400000_NS6detail17trampoline_kernelINS0_14default_configENS1_35adjacent_difference_config_selectorILb1ElEEZNS1_24adjacent_difference_implIS3_Lb1ELb0EPlS7_ZN2at6native12_GLOBAL__N_124unique_dim_cuda_templateItEESt5tupleIJNS8_6TensorESD_SD_EERKSD_lbbbEUlllE1_EE10hipError_tPvRmT2_T3_mT4_P12ihipStream_tbEUlT_E_NS1_11comp_targetILNS1_3genE2ELNS1_11target_archE906ELNS1_3gpuE6ELNS1_3repE0EEENS1_30default_config_static_selectorELNS0_4arch9wavefront6targetE0EEEvT1_.kd
    .uniform_work_group_size: 1
    .uses_dynamic_stack: false
    .vgpr_count:     0
    .vgpr_spill_count: 0
    .wavefront_size: 32
  - .args:
      - .offset:         0
        .size:           64
        .value_kind:     by_value
    .group_segment_fixed_size: 0
    .kernarg_segment_align: 8
    .kernarg_segment_size: 64
    .language:       OpenCL C
    .language_version:
      - 2
      - 0
    .max_flat_workgroup_size: 128
    .name:           _ZN7rocprim17ROCPRIM_400000_NS6detail17trampoline_kernelINS0_14default_configENS1_35adjacent_difference_config_selectorILb1ElEEZNS1_24adjacent_difference_implIS3_Lb1ELb0EPlS7_ZN2at6native12_GLOBAL__N_124unique_dim_cuda_templateItEESt5tupleIJNS8_6TensorESD_SD_EERKSD_lbbbEUlllE1_EE10hipError_tPvRmT2_T3_mT4_P12ihipStream_tbEUlT_E_NS1_11comp_targetILNS1_3genE9ELNS1_11target_archE1100ELNS1_3gpuE3ELNS1_3repE0EEENS1_30default_config_static_selectorELNS0_4arch9wavefront6targetE0EEEvT1_
    .private_segment_fixed_size: 0
    .sgpr_count:     0
    .sgpr_spill_count: 0
    .symbol:         _ZN7rocprim17ROCPRIM_400000_NS6detail17trampoline_kernelINS0_14default_configENS1_35adjacent_difference_config_selectorILb1ElEEZNS1_24adjacent_difference_implIS3_Lb1ELb0EPlS7_ZN2at6native12_GLOBAL__N_124unique_dim_cuda_templateItEESt5tupleIJNS8_6TensorESD_SD_EERKSD_lbbbEUlllE1_EE10hipError_tPvRmT2_T3_mT4_P12ihipStream_tbEUlT_E_NS1_11comp_targetILNS1_3genE9ELNS1_11target_archE1100ELNS1_3gpuE3ELNS1_3repE0EEENS1_30default_config_static_selectorELNS0_4arch9wavefront6targetE0EEEvT1_.kd
    .uniform_work_group_size: 1
    .uses_dynamic_stack: false
    .vgpr_count:     0
    .vgpr_spill_count: 0
    .wavefront_size: 32
  - .args:
      - .offset:         0
        .size:           64
        .value_kind:     by_value
    .group_segment_fixed_size: 0
    .kernarg_segment_align: 8
    .kernarg_segment_size: 64
    .language:       OpenCL C
    .language_version:
      - 2
      - 0
    .max_flat_workgroup_size: 32
    .name:           _ZN7rocprim17ROCPRIM_400000_NS6detail17trampoline_kernelINS0_14default_configENS1_35adjacent_difference_config_selectorILb1ElEEZNS1_24adjacent_difference_implIS3_Lb1ELb0EPlS7_ZN2at6native12_GLOBAL__N_124unique_dim_cuda_templateItEESt5tupleIJNS8_6TensorESD_SD_EERKSD_lbbbEUlllE1_EE10hipError_tPvRmT2_T3_mT4_P12ihipStream_tbEUlT_E_NS1_11comp_targetILNS1_3genE8ELNS1_11target_archE1030ELNS1_3gpuE2ELNS1_3repE0EEENS1_30default_config_static_selectorELNS0_4arch9wavefront6targetE0EEEvT1_
    .private_segment_fixed_size: 0
    .sgpr_count:     0
    .sgpr_spill_count: 0
    .symbol:         _ZN7rocprim17ROCPRIM_400000_NS6detail17trampoline_kernelINS0_14default_configENS1_35adjacent_difference_config_selectorILb1ElEEZNS1_24adjacent_difference_implIS3_Lb1ELb0EPlS7_ZN2at6native12_GLOBAL__N_124unique_dim_cuda_templateItEESt5tupleIJNS8_6TensorESD_SD_EERKSD_lbbbEUlllE1_EE10hipError_tPvRmT2_T3_mT4_P12ihipStream_tbEUlT_E_NS1_11comp_targetILNS1_3genE8ELNS1_11target_archE1030ELNS1_3gpuE2ELNS1_3repE0EEENS1_30default_config_static_selectorELNS0_4arch9wavefront6targetE0EEEvT1_.kd
    .uniform_work_group_size: 1
    .uses_dynamic_stack: false
    .vgpr_count:     0
    .vgpr_spill_count: 0
    .wavefront_size: 32
  - .args:
      - .offset:         0
        .size:           120
        .value_kind:     by_value
    .group_segment_fixed_size: 28680
    .kernarg_segment_align: 8
    .kernarg_segment_size: 120
    .language:       OpenCL C
    .language_version:
      - 2
      - 0
    .max_flat_workgroup_size: 512
    .name:           _ZN7rocprim17ROCPRIM_400000_NS6detail17trampoline_kernelINS0_14default_configENS1_25partition_config_selectorILNS1_17partition_subalgoE8ElNS0_10empty_typeEbEEZZNS1_14partition_implILS5_8ELb0ES3_jPlPS6_PKS6_NS0_5tupleIJS9_S6_EEENSD_IJSA_SA_EEENS0_18inequality_wrapperIZN2at6native12_GLOBAL__N_124unique_dim_cuda_templateItEESt5tupleIJNSH_6TensorESM_SM_EERKSM_lbbbEUlllE0_EEPmJS6_EEE10hipError_tPvRmT3_T4_T5_T6_T7_T9_mT8_P12ihipStream_tbDpT10_ENKUlT_T0_E_clISt17integral_constantIbLb0EES1C_EEDaS17_S18_EUlS17_E_NS1_11comp_targetILNS1_3genE0ELNS1_11target_archE4294967295ELNS1_3gpuE0ELNS1_3repE0EEENS1_30default_config_static_selectorELNS0_4arch9wavefront6targetE0EEEvT1_
    .private_segment_fixed_size: 0
    .sgpr_count:     38
    .sgpr_spill_count: 0
    .symbol:         _ZN7rocprim17ROCPRIM_400000_NS6detail17trampoline_kernelINS0_14default_configENS1_25partition_config_selectorILNS1_17partition_subalgoE8ElNS0_10empty_typeEbEEZZNS1_14partition_implILS5_8ELb0ES3_jPlPS6_PKS6_NS0_5tupleIJS9_S6_EEENSD_IJSA_SA_EEENS0_18inequality_wrapperIZN2at6native12_GLOBAL__N_124unique_dim_cuda_templateItEESt5tupleIJNSH_6TensorESM_SM_EERKSM_lbbbEUlllE0_EEPmJS6_EEE10hipError_tPvRmT3_T4_T5_T6_T7_T9_mT8_P12ihipStream_tbDpT10_ENKUlT_T0_E_clISt17integral_constantIbLb0EES1C_EEDaS17_S18_EUlS17_E_NS1_11comp_targetILNS1_3genE0ELNS1_11target_archE4294967295ELNS1_3gpuE0ELNS1_3repE0EEENS1_30default_config_static_selectorELNS0_4arch9wavefront6targetE0EEEvT1_.kd
    .uniform_work_group_size: 1
    .uses_dynamic_stack: false
    .vgpr_count:     54
    .vgpr_spill_count: 0
    .wavefront_size: 32
  - .args:
      - .offset:         0
        .size:           120
        .value_kind:     by_value
    .group_segment_fixed_size: 0
    .kernarg_segment_align: 8
    .kernarg_segment_size: 120
    .language:       OpenCL C
    .language_version:
      - 2
      - 0
    .max_flat_workgroup_size: 512
    .name:           _ZN7rocprim17ROCPRIM_400000_NS6detail17trampoline_kernelINS0_14default_configENS1_25partition_config_selectorILNS1_17partition_subalgoE8ElNS0_10empty_typeEbEEZZNS1_14partition_implILS5_8ELb0ES3_jPlPS6_PKS6_NS0_5tupleIJS9_S6_EEENSD_IJSA_SA_EEENS0_18inequality_wrapperIZN2at6native12_GLOBAL__N_124unique_dim_cuda_templateItEESt5tupleIJNSH_6TensorESM_SM_EERKSM_lbbbEUlllE0_EEPmJS6_EEE10hipError_tPvRmT3_T4_T5_T6_T7_T9_mT8_P12ihipStream_tbDpT10_ENKUlT_T0_E_clISt17integral_constantIbLb0EES1C_EEDaS17_S18_EUlS17_E_NS1_11comp_targetILNS1_3genE5ELNS1_11target_archE942ELNS1_3gpuE9ELNS1_3repE0EEENS1_30default_config_static_selectorELNS0_4arch9wavefront6targetE0EEEvT1_
    .private_segment_fixed_size: 0
    .sgpr_count:     0
    .sgpr_spill_count: 0
    .symbol:         _ZN7rocprim17ROCPRIM_400000_NS6detail17trampoline_kernelINS0_14default_configENS1_25partition_config_selectorILNS1_17partition_subalgoE8ElNS0_10empty_typeEbEEZZNS1_14partition_implILS5_8ELb0ES3_jPlPS6_PKS6_NS0_5tupleIJS9_S6_EEENSD_IJSA_SA_EEENS0_18inequality_wrapperIZN2at6native12_GLOBAL__N_124unique_dim_cuda_templateItEESt5tupleIJNSH_6TensorESM_SM_EERKSM_lbbbEUlllE0_EEPmJS6_EEE10hipError_tPvRmT3_T4_T5_T6_T7_T9_mT8_P12ihipStream_tbDpT10_ENKUlT_T0_E_clISt17integral_constantIbLb0EES1C_EEDaS17_S18_EUlS17_E_NS1_11comp_targetILNS1_3genE5ELNS1_11target_archE942ELNS1_3gpuE9ELNS1_3repE0EEENS1_30default_config_static_selectorELNS0_4arch9wavefront6targetE0EEEvT1_.kd
    .uniform_work_group_size: 1
    .uses_dynamic_stack: false
    .vgpr_count:     0
    .vgpr_spill_count: 0
    .wavefront_size: 32
  - .args:
      - .offset:         0
        .size:           120
        .value_kind:     by_value
    .group_segment_fixed_size: 0
    .kernarg_segment_align: 8
    .kernarg_segment_size: 120
    .language:       OpenCL C
    .language_version:
      - 2
      - 0
    .max_flat_workgroup_size: 256
    .name:           _ZN7rocprim17ROCPRIM_400000_NS6detail17trampoline_kernelINS0_14default_configENS1_25partition_config_selectorILNS1_17partition_subalgoE8ElNS0_10empty_typeEbEEZZNS1_14partition_implILS5_8ELb0ES3_jPlPS6_PKS6_NS0_5tupleIJS9_S6_EEENSD_IJSA_SA_EEENS0_18inequality_wrapperIZN2at6native12_GLOBAL__N_124unique_dim_cuda_templateItEESt5tupleIJNSH_6TensorESM_SM_EERKSM_lbbbEUlllE0_EEPmJS6_EEE10hipError_tPvRmT3_T4_T5_T6_T7_T9_mT8_P12ihipStream_tbDpT10_ENKUlT_T0_E_clISt17integral_constantIbLb0EES1C_EEDaS17_S18_EUlS17_E_NS1_11comp_targetILNS1_3genE4ELNS1_11target_archE910ELNS1_3gpuE8ELNS1_3repE0EEENS1_30default_config_static_selectorELNS0_4arch9wavefront6targetE0EEEvT1_
    .private_segment_fixed_size: 0
    .sgpr_count:     0
    .sgpr_spill_count: 0
    .symbol:         _ZN7rocprim17ROCPRIM_400000_NS6detail17trampoline_kernelINS0_14default_configENS1_25partition_config_selectorILNS1_17partition_subalgoE8ElNS0_10empty_typeEbEEZZNS1_14partition_implILS5_8ELb0ES3_jPlPS6_PKS6_NS0_5tupleIJS9_S6_EEENSD_IJSA_SA_EEENS0_18inequality_wrapperIZN2at6native12_GLOBAL__N_124unique_dim_cuda_templateItEESt5tupleIJNSH_6TensorESM_SM_EERKSM_lbbbEUlllE0_EEPmJS6_EEE10hipError_tPvRmT3_T4_T5_T6_T7_T9_mT8_P12ihipStream_tbDpT10_ENKUlT_T0_E_clISt17integral_constantIbLb0EES1C_EEDaS17_S18_EUlS17_E_NS1_11comp_targetILNS1_3genE4ELNS1_11target_archE910ELNS1_3gpuE8ELNS1_3repE0EEENS1_30default_config_static_selectorELNS0_4arch9wavefront6targetE0EEEvT1_.kd
    .uniform_work_group_size: 1
    .uses_dynamic_stack: false
    .vgpr_count:     0
    .vgpr_spill_count: 0
    .wavefront_size: 32
  - .args:
      - .offset:         0
        .size:           120
        .value_kind:     by_value
    .group_segment_fixed_size: 0
    .kernarg_segment_align: 8
    .kernarg_segment_size: 120
    .language:       OpenCL C
    .language_version:
      - 2
      - 0
    .max_flat_workgroup_size: 512
    .name:           _ZN7rocprim17ROCPRIM_400000_NS6detail17trampoline_kernelINS0_14default_configENS1_25partition_config_selectorILNS1_17partition_subalgoE8ElNS0_10empty_typeEbEEZZNS1_14partition_implILS5_8ELb0ES3_jPlPS6_PKS6_NS0_5tupleIJS9_S6_EEENSD_IJSA_SA_EEENS0_18inequality_wrapperIZN2at6native12_GLOBAL__N_124unique_dim_cuda_templateItEESt5tupleIJNSH_6TensorESM_SM_EERKSM_lbbbEUlllE0_EEPmJS6_EEE10hipError_tPvRmT3_T4_T5_T6_T7_T9_mT8_P12ihipStream_tbDpT10_ENKUlT_T0_E_clISt17integral_constantIbLb0EES1C_EEDaS17_S18_EUlS17_E_NS1_11comp_targetILNS1_3genE3ELNS1_11target_archE908ELNS1_3gpuE7ELNS1_3repE0EEENS1_30default_config_static_selectorELNS0_4arch9wavefront6targetE0EEEvT1_
    .private_segment_fixed_size: 0
    .sgpr_count:     0
    .sgpr_spill_count: 0
    .symbol:         _ZN7rocprim17ROCPRIM_400000_NS6detail17trampoline_kernelINS0_14default_configENS1_25partition_config_selectorILNS1_17partition_subalgoE8ElNS0_10empty_typeEbEEZZNS1_14partition_implILS5_8ELb0ES3_jPlPS6_PKS6_NS0_5tupleIJS9_S6_EEENSD_IJSA_SA_EEENS0_18inequality_wrapperIZN2at6native12_GLOBAL__N_124unique_dim_cuda_templateItEESt5tupleIJNSH_6TensorESM_SM_EERKSM_lbbbEUlllE0_EEPmJS6_EEE10hipError_tPvRmT3_T4_T5_T6_T7_T9_mT8_P12ihipStream_tbDpT10_ENKUlT_T0_E_clISt17integral_constantIbLb0EES1C_EEDaS17_S18_EUlS17_E_NS1_11comp_targetILNS1_3genE3ELNS1_11target_archE908ELNS1_3gpuE7ELNS1_3repE0EEENS1_30default_config_static_selectorELNS0_4arch9wavefront6targetE0EEEvT1_.kd
    .uniform_work_group_size: 1
    .uses_dynamic_stack: false
    .vgpr_count:     0
    .vgpr_spill_count: 0
    .wavefront_size: 32
  - .args:
      - .offset:         0
        .size:           120
        .value_kind:     by_value
    .group_segment_fixed_size: 0
    .kernarg_segment_align: 8
    .kernarg_segment_size: 120
    .language:       OpenCL C
    .language_version:
      - 2
      - 0
    .max_flat_workgroup_size: 256
    .name:           _ZN7rocprim17ROCPRIM_400000_NS6detail17trampoline_kernelINS0_14default_configENS1_25partition_config_selectorILNS1_17partition_subalgoE8ElNS0_10empty_typeEbEEZZNS1_14partition_implILS5_8ELb0ES3_jPlPS6_PKS6_NS0_5tupleIJS9_S6_EEENSD_IJSA_SA_EEENS0_18inequality_wrapperIZN2at6native12_GLOBAL__N_124unique_dim_cuda_templateItEESt5tupleIJNSH_6TensorESM_SM_EERKSM_lbbbEUlllE0_EEPmJS6_EEE10hipError_tPvRmT3_T4_T5_T6_T7_T9_mT8_P12ihipStream_tbDpT10_ENKUlT_T0_E_clISt17integral_constantIbLb0EES1C_EEDaS17_S18_EUlS17_E_NS1_11comp_targetILNS1_3genE2ELNS1_11target_archE906ELNS1_3gpuE6ELNS1_3repE0EEENS1_30default_config_static_selectorELNS0_4arch9wavefront6targetE0EEEvT1_
    .private_segment_fixed_size: 0
    .sgpr_count:     0
    .sgpr_spill_count: 0
    .symbol:         _ZN7rocprim17ROCPRIM_400000_NS6detail17trampoline_kernelINS0_14default_configENS1_25partition_config_selectorILNS1_17partition_subalgoE8ElNS0_10empty_typeEbEEZZNS1_14partition_implILS5_8ELb0ES3_jPlPS6_PKS6_NS0_5tupleIJS9_S6_EEENSD_IJSA_SA_EEENS0_18inequality_wrapperIZN2at6native12_GLOBAL__N_124unique_dim_cuda_templateItEESt5tupleIJNSH_6TensorESM_SM_EERKSM_lbbbEUlllE0_EEPmJS6_EEE10hipError_tPvRmT3_T4_T5_T6_T7_T9_mT8_P12ihipStream_tbDpT10_ENKUlT_T0_E_clISt17integral_constantIbLb0EES1C_EEDaS17_S18_EUlS17_E_NS1_11comp_targetILNS1_3genE2ELNS1_11target_archE906ELNS1_3gpuE6ELNS1_3repE0EEENS1_30default_config_static_selectorELNS0_4arch9wavefront6targetE0EEEvT1_.kd
    .uniform_work_group_size: 1
    .uses_dynamic_stack: false
    .vgpr_count:     0
    .vgpr_spill_count: 0
    .wavefront_size: 32
  - .args:
      - .offset:         0
        .size:           120
        .value_kind:     by_value
    .group_segment_fixed_size: 0
    .kernarg_segment_align: 8
    .kernarg_segment_size: 120
    .language:       OpenCL C
    .language_version:
      - 2
      - 0
    .max_flat_workgroup_size: 384
    .name:           _ZN7rocprim17ROCPRIM_400000_NS6detail17trampoline_kernelINS0_14default_configENS1_25partition_config_selectorILNS1_17partition_subalgoE8ElNS0_10empty_typeEbEEZZNS1_14partition_implILS5_8ELb0ES3_jPlPS6_PKS6_NS0_5tupleIJS9_S6_EEENSD_IJSA_SA_EEENS0_18inequality_wrapperIZN2at6native12_GLOBAL__N_124unique_dim_cuda_templateItEESt5tupleIJNSH_6TensorESM_SM_EERKSM_lbbbEUlllE0_EEPmJS6_EEE10hipError_tPvRmT3_T4_T5_T6_T7_T9_mT8_P12ihipStream_tbDpT10_ENKUlT_T0_E_clISt17integral_constantIbLb0EES1C_EEDaS17_S18_EUlS17_E_NS1_11comp_targetILNS1_3genE10ELNS1_11target_archE1200ELNS1_3gpuE4ELNS1_3repE0EEENS1_30default_config_static_selectorELNS0_4arch9wavefront6targetE0EEEvT1_
    .private_segment_fixed_size: 0
    .sgpr_count:     0
    .sgpr_spill_count: 0
    .symbol:         _ZN7rocprim17ROCPRIM_400000_NS6detail17trampoline_kernelINS0_14default_configENS1_25partition_config_selectorILNS1_17partition_subalgoE8ElNS0_10empty_typeEbEEZZNS1_14partition_implILS5_8ELb0ES3_jPlPS6_PKS6_NS0_5tupleIJS9_S6_EEENSD_IJSA_SA_EEENS0_18inequality_wrapperIZN2at6native12_GLOBAL__N_124unique_dim_cuda_templateItEESt5tupleIJNSH_6TensorESM_SM_EERKSM_lbbbEUlllE0_EEPmJS6_EEE10hipError_tPvRmT3_T4_T5_T6_T7_T9_mT8_P12ihipStream_tbDpT10_ENKUlT_T0_E_clISt17integral_constantIbLb0EES1C_EEDaS17_S18_EUlS17_E_NS1_11comp_targetILNS1_3genE10ELNS1_11target_archE1200ELNS1_3gpuE4ELNS1_3repE0EEENS1_30default_config_static_selectorELNS0_4arch9wavefront6targetE0EEEvT1_.kd
    .uniform_work_group_size: 1
    .uses_dynamic_stack: false
    .vgpr_count:     0
    .vgpr_spill_count: 0
    .wavefront_size: 32
  - .args:
      - .offset:         0
        .size:           120
        .value_kind:     by_value
    .group_segment_fixed_size: 0
    .kernarg_segment_align: 8
    .kernarg_segment_size: 120
    .language:       OpenCL C
    .language_version:
      - 2
      - 0
    .max_flat_workgroup_size: 512
    .name:           _ZN7rocprim17ROCPRIM_400000_NS6detail17trampoline_kernelINS0_14default_configENS1_25partition_config_selectorILNS1_17partition_subalgoE8ElNS0_10empty_typeEbEEZZNS1_14partition_implILS5_8ELb0ES3_jPlPS6_PKS6_NS0_5tupleIJS9_S6_EEENSD_IJSA_SA_EEENS0_18inequality_wrapperIZN2at6native12_GLOBAL__N_124unique_dim_cuda_templateItEESt5tupleIJNSH_6TensorESM_SM_EERKSM_lbbbEUlllE0_EEPmJS6_EEE10hipError_tPvRmT3_T4_T5_T6_T7_T9_mT8_P12ihipStream_tbDpT10_ENKUlT_T0_E_clISt17integral_constantIbLb0EES1C_EEDaS17_S18_EUlS17_E_NS1_11comp_targetILNS1_3genE9ELNS1_11target_archE1100ELNS1_3gpuE3ELNS1_3repE0EEENS1_30default_config_static_selectorELNS0_4arch9wavefront6targetE0EEEvT1_
    .private_segment_fixed_size: 0
    .sgpr_count:     0
    .sgpr_spill_count: 0
    .symbol:         _ZN7rocprim17ROCPRIM_400000_NS6detail17trampoline_kernelINS0_14default_configENS1_25partition_config_selectorILNS1_17partition_subalgoE8ElNS0_10empty_typeEbEEZZNS1_14partition_implILS5_8ELb0ES3_jPlPS6_PKS6_NS0_5tupleIJS9_S6_EEENSD_IJSA_SA_EEENS0_18inequality_wrapperIZN2at6native12_GLOBAL__N_124unique_dim_cuda_templateItEESt5tupleIJNSH_6TensorESM_SM_EERKSM_lbbbEUlllE0_EEPmJS6_EEE10hipError_tPvRmT3_T4_T5_T6_T7_T9_mT8_P12ihipStream_tbDpT10_ENKUlT_T0_E_clISt17integral_constantIbLb0EES1C_EEDaS17_S18_EUlS17_E_NS1_11comp_targetILNS1_3genE9ELNS1_11target_archE1100ELNS1_3gpuE3ELNS1_3repE0EEENS1_30default_config_static_selectorELNS0_4arch9wavefront6targetE0EEEvT1_.kd
    .uniform_work_group_size: 1
    .uses_dynamic_stack: false
    .vgpr_count:     0
    .vgpr_spill_count: 0
    .wavefront_size: 32
  - .args:
      - .offset:         0
        .size:           120
        .value_kind:     by_value
    .group_segment_fixed_size: 0
    .kernarg_segment_align: 8
    .kernarg_segment_size: 120
    .language:       OpenCL C
    .language_version:
      - 2
      - 0
    .max_flat_workgroup_size: 512
    .name:           _ZN7rocprim17ROCPRIM_400000_NS6detail17trampoline_kernelINS0_14default_configENS1_25partition_config_selectorILNS1_17partition_subalgoE8ElNS0_10empty_typeEbEEZZNS1_14partition_implILS5_8ELb0ES3_jPlPS6_PKS6_NS0_5tupleIJS9_S6_EEENSD_IJSA_SA_EEENS0_18inequality_wrapperIZN2at6native12_GLOBAL__N_124unique_dim_cuda_templateItEESt5tupleIJNSH_6TensorESM_SM_EERKSM_lbbbEUlllE0_EEPmJS6_EEE10hipError_tPvRmT3_T4_T5_T6_T7_T9_mT8_P12ihipStream_tbDpT10_ENKUlT_T0_E_clISt17integral_constantIbLb0EES1C_EEDaS17_S18_EUlS17_E_NS1_11comp_targetILNS1_3genE8ELNS1_11target_archE1030ELNS1_3gpuE2ELNS1_3repE0EEENS1_30default_config_static_selectorELNS0_4arch9wavefront6targetE0EEEvT1_
    .private_segment_fixed_size: 0
    .sgpr_count:     0
    .sgpr_spill_count: 0
    .symbol:         _ZN7rocprim17ROCPRIM_400000_NS6detail17trampoline_kernelINS0_14default_configENS1_25partition_config_selectorILNS1_17partition_subalgoE8ElNS0_10empty_typeEbEEZZNS1_14partition_implILS5_8ELb0ES3_jPlPS6_PKS6_NS0_5tupleIJS9_S6_EEENSD_IJSA_SA_EEENS0_18inequality_wrapperIZN2at6native12_GLOBAL__N_124unique_dim_cuda_templateItEESt5tupleIJNSH_6TensorESM_SM_EERKSM_lbbbEUlllE0_EEPmJS6_EEE10hipError_tPvRmT3_T4_T5_T6_T7_T9_mT8_P12ihipStream_tbDpT10_ENKUlT_T0_E_clISt17integral_constantIbLb0EES1C_EEDaS17_S18_EUlS17_E_NS1_11comp_targetILNS1_3genE8ELNS1_11target_archE1030ELNS1_3gpuE2ELNS1_3repE0EEENS1_30default_config_static_selectorELNS0_4arch9wavefront6targetE0EEEvT1_.kd
    .uniform_work_group_size: 1
    .uses_dynamic_stack: false
    .vgpr_count:     0
    .vgpr_spill_count: 0
    .wavefront_size: 32
  - .args:
      - .offset:         0
        .size:           136
        .value_kind:     by_value
    .group_segment_fixed_size: 0
    .kernarg_segment_align: 8
    .kernarg_segment_size: 136
    .language:       OpenCL C
    .language_version:
      - 2
      - 0
    .max_flat_workgroup_size: 512
    .name:           _ZN7rocprim17ROCPRIM_400000_NS6detail17trampoline_kernelINS0_14default_configENS1_25partition_config_selectorILNS1_17partition_subalgoE8ElNS0_10empty_typeEbEEZZNS1_14partition_implILS5_8ELb0ES3_jPlPS6_PKS6_NS0_5tupleIJS9_S6_EEENSD_IJSA_SA_EEENS0_18inequality_wrapperIZN2at6native12_GLOBAL__N_124unique_dim_cuda_templateItEESt5tupleIJNSH_6TensorESM_SM_EERKSM_lbbbEUlllE0_EEPmJS6_EEE10hipError_tPvRmT3_T4_T5_T6_T7_T9_mT8_P12ihipStream_tbDpT10_ENKUlT_T0_E_clISt17integral_constantIbLb1EES1C_EEDaS17_S18_EUlS17_E_NS1_11comp_targetILNS1_3genE0ELNS1_11target_archE4294967295ELNS1_3gpuE0ELNS1_3repE0EEENS1_30default_config_static_selectorELNS0_4arch9wavefront6targetE0EEEvT1_
    .private_segment_fixed_size: 0
    .sgpr_count:     0
    .sgpr_spill_count: 0
    .symbol:         _ZN7rocprim17ROCPRIM_400000_NS6detail17trampoline_kernelINS0_14default_configENS1_25partition_config_selectorILNS1_17partition_subalgoE8ElNS0_10empty_typeEbEEZZNS1_14partition_implILS5_8ELb0ES3_jPlPS6_PKS6_NS0_5tupleIJS9_S6_EEENSD_IJSA_SA_EEENS0_18inequality_wrapperIZN2at6native12_GLOBAL__N_124unique_dim_cuda_templateItEESt5tupleIJNSH_6TensorESM_SM_EERKSM_lbbbEUlllE0_EEPmJS6_EEE10hipError_tPvRmT3_T4_T5_T6_T7_T9_mT8_P12ihipStream_tbDpT10_ENKUlT_T0_E_clISt17integral_constantIbLb1EES1C_EEDaS17_S18_EUlS17_E_NS1_11comp_targetILNS1_3genE0ELNS1_11target_archE4294967295ELNS1_3gpuE0ELNS1_3repE0EEENS1_30default_config_static_selectorELNS0_4arch9wavefront6targetE0EEEvT1_.kd
    .uniform_work_group_size: 1
    .uses_dynamic_stack: false
    .vgpr_count:     0
    .vgpr_spill_count: 0
    .wavefront_size: 32
  - .args:
      - .offset:         0
        .size:           136
        .value_kind:     by_value
    .group_segment_fixed_size: 0
    .kernarg_segment_align: 8
    .kernarg_segment_size: 136
    .language:       OpenCL C
    .language_version:
      - 2
      - 0
    .max_flat_workgroup_size: 512
    .name:           _ZN7rocprim17ROCPRIM_400000_NS6detail17trampoline_kernelINS0_14default_configENS1_25partition_config_selectorILNS1_17partition_subalgoE8ElNS0_10empty_typeEbEEZZNS1_14partition_implILS5_8ELb0ES3_jPlPS6_PKS6_NS0_5tupleIJS9_S6_EEENSD_IJSA_SA_EEENS0_18inequality_wrapperIZN2at6native12_GLOBAL__N_124unique_dim_cuda_templateItEESt5tupleIJNSH_6TensorESM_SM_EERKSM_lbbbEUlllE0_EEPmJS6_EEE10hipError_tPvRmT3_T4_T5_T6_T7_T9_mT8_P12ihipStream_tbDpT10_ENKUlT_T0_E_clISt17integral_constantIbLb1EES1C_EEDaS17_S18_EUlS17_E_NS1_11comp_targetILNS1_3genE5ELNS1_11target_archE942ELNS1_3gpuE9ELNS1_3repE0EEENS1_30default_config_static_selectorELNS0_4arch9wavefront6targetE0EEEvT1_
    .private_segment_fixed_size: 0
    .sgpr_count:     0
    .sgpr_spill_count: 0
    .symbol:         _ZN7rocprim17ROCPRIM_400000_NS6detail17trampoline_kernelINS0_14default_configENS1_25partition_config_selectorILNS1_17partition_subalgoE8ElNS0_10empty_typeEbEEZZNS1_14partition_implILS5_8ELb0ES3_jPlPS6_PKS6_NS0_5tupleIJS9_S6_EEENSD_IJSA_SA_EEENS0_18inequality_wrapperIZN2at6native12_GLOBAL__N_124unique_dim_cuda_templateItEESt5tupleIJNSH_6TensorESM_SM_EERKSM_lbbbEUlllE0_EEPmJS6_EEE10hipError_tPvRmT3_T4_T5_T6_T7_T9_mT8_P12ihipStream_tbDpT10_ENKUlT_T0_E_clISt17integral_constantIbLb1EES1C_EEDaS17_S18_EUlS17_E_NS1_11comp_targetILNS1_3genE5ELNS1_11target_archE942ELNS1_3gpuE9ELNS1_3repE0EEENS1_30default_config_static_selectorELNS0_4arch9wavefront6targetE0EEEvT1_.kd
    .uniform_work_group_size: 1
    .uses_dynamic_stack: false
    .vgpr_count:     0
    .vgpr_spill_count: 0
    .wavefront_size: 32
  - .args:
      - .offset:         0
        .size:           136
        .value_kind:     by_value
    .group_segment_fixed_size: 0
    .kernarg_segment_align: 8
    .kernarg_segment_size: 136
    .language:       OpenCL C
    .language_version:
      - 2
      - 0
    .max_flat_workgroup_size: 256
    .name:           _ZN7rocprim17ROCPRIM_400000_NS6detail17trampoline_kernelINS0_14default_configENS1_25partition_config_selectorILNS1_17partition_subalgoE8ElNS0_10empty_typeEbEEZZNS1_14partition_implILS5_8ELb0ES3_jPlPS6_PKS6_NS0_5tupleIJS9_S6_EEENSD_IJSA_SA_EEENS0_18inequality_wrapperIZN2at6native12_GLOBAL__N_124unique_dim_cuda_templateItEESt5tupleIJNSH_6TensorESM_SM_EERKSM_lbbbEUlllE0_EEPmJS6_EEE10hipError_tPvRmT3_T4_T5_T6_T7_T9_mT8_P12ihipStream_tbDpT10_ENKUlT_T0_E_clISt17integral_constantIbLb1EES1C_EEDaS17_S18_EUlS17_E_NS1_11comp_targetILNS1_3genE4ELNS1_11target_archE910ELNS1_3gpuE8ELNS1_3repE0EEENS1_30default_config_static_selectorELNS0_4arch9wavefront6targetE0EEEvT1_
    .private_segment_fixed_size: 0
    .sgpr_count:     0
    .sgpr_spill_count: 0
    .symbol:         _ZN7rocprim17ROCPRIM_400000_NS6detail17trampoline_kernelINS0_14default_configENS1_25partition_config_selectorILNS1_17partition_subalgoE8ElNS0_10empty_typeEbEEZZNS1_14partition_implILS5_8ELb0ES3_jPlPS6_PKS6_NS0_5tupleIJS9_S6_EEENSD_IJSA_SA_EEENS0_18inequality_wrapperIZN2at6native12_GLOBAL__N_124unique_dim_cuda_templateItEESt5tupleIJNSH_6TensorESM_SM_EERKSM_lbbbEUlllE0_EEPmJS6_EEE10hipError_tPvRmT3_T4_T5_T6_T7_T9_mT8_P12ihipStream_tbDpT10_ENKUlT_T0_E_clISt17integral_constantIbLb1EES1C_EEDaS17_S18_EUlS17_E_NS1_11comp_targetILNS1_3genE4ELNS1_11target_archE910ELNS1_3gpuE8ELNS1_3repE0EEENS1_30default_config_static_selectorELNS0_4arch9wavefront6targetE0EEEvT1_.kd
    .uniform_work_group_size: 1
    .uses_dynamic_stack: false
    .vgpr_count:     0
    .vgpr_spill_count: 0
    .wavefront_size: 32
  - .args:
      - .offset:         0
        .size:           136
        .value_kind:     by_value
    .group_segment_fixed_size: 0
    .kernarg_segment_align: 8
    .kernarg_segment_size: 136
    .language:       OpenCL C
    .language_version:
      - 2
      - 0
    .max_flat_workgroup_size: 512
    .name:           _ZN7rocprim17ROCPRIM_400000_NS6detail17trampoline_kernelINS0_14default_configENS1_25partition_config_selectorILNS1_17partition_subalgoE8ElNS0_10empty_typeEbEEZZNS1_14partition_implILS5_8ELb0ES3_jPlPS6_PKS6_NS0_5tupleIJS9_S6_EEENSD_IJSA_SA_EEENS0_18inequality_wrapperIZN2at6native12_GLOBAL__N_124unique_dim_cuda_templateItEESt5tupleIJNSH_6TensorESM_SM_EERKSM_lbbbEUlllE0_EEPmJS6_EEE10hipError_tPvRmT3_T4_T5_T6_T7_T9_mT8_P12ihipStream_tbDpT10_ENKUlT_T0_E_clISt17integral_constantIbLb1EES1C_EEDaS17_S18_EUlS17_E_NS1_11comp_targetILNS1_3genE3ELNS1_11target_archE908ELNS1_3gpuE7ELNS1_3repE0EEENS1_30default_config_static_selectorELNS0_4arch9wavefront6targetE0EEEvT1_
    .private_segment_fixed_size: 0
    .sgpr_count:     0
    .sgpr_spill_count: 0
    .symbol:         _ZN7rocprim17ROCPRIM_400000_NS6detail17trampoline_kernelINS0_14default_configENS1_25partition_config_selectorILNS1_17partition_subalgoE8ElNS0_10empty_typeEbEEZZNS1_14partition_implILS5_8ELb0ES3_jPlPS6_PKS6_NS0_5tupleIJS9_S6_EEENSD_IJSA_SA_EEENS0_18inequality_wrapperIZN2at6native12_GLOBAL__N_124unique_dim_cuda_templateItEESt5tupleIJNSH_6TensorESM_SM_EERKSM_lbbbEUlllE0_EEPmJS6_EEE10hipError_tPvRmT3_T4_T5_T6_T7_T9_mT8_P12ihipStream_tbDpT10_ENKUlT_T0_E_clISt17integral_constantIbLb1EES1C_EEDaS17_S18_EUlS17_E_NS1_11comp_targetILNS1_3genE3ELNS1_11target_archE908ELNS1_3gpuE7ELNS1_3repE0EEENS1_30default_config_static_selectorELNS0_4arch9wavefront6targetE0EEEvT1_.kd
    .uniform_work_group_size: 1
    .uses_dynamic_stack: false
    .vgpr_count:     0
    .vgpr_spill_count: 0
    .wavefront_size: 32
  - .args:
      - .offset:         0
        .size:           136
        .value_kind:     by_value
    .group_segment_fixed_size: 0
    .kernarg_segment_align: 8
    .kernarg_segment_size: 136
    .language:       OpenCL C
    .language_version:
      - 2
      - 0
    .max_flat_workgroup_size: 256
    .name:           _ZN7rocprim17ROCPRIM_400000_NS6detail17trampoline_kernelINS0_14default_configENS1_25partition_config_selectorILNS1_17partition_subalgoE8ElNS0_10empty_typeEbEEZZNS1_14partition_implILS5_8ELb0ES3_jPlPS6_PKS6_NS0_5tupleIJS9_S6_EEENSD_IJSA_SA_EEENS0_18inequality_wrapperIZN2at6native12_GLOBAL__N_124unique_dim_cuda_templateItEESt5tupleIJNSH_6TensorESM_SM_EERKSM_lbbbEUlllE0_EEPmJS6_EEE10hipError_tPvRmT3_T4_T5_T6_T7_T9_mT8_P12ihipStream_tbDpT10_ENKUlT_T0_E_clISt17integral_constantIbLb1EES1C_EEDaS17_S18_EUlS17_E_NS1_11comp_targetILNS1_3genE2ELNS1_11target_archE906ELNS1_3gpuE6ELNS1_3repE0EEENS1_30default_config_static_selectorELNS0_4arch9wavefront6targetE0EEEvT1_
    .private_segment_fixed_size: 0
    .sgpr_count:     0
    .sgpr_spill_count: 0
    .symbol:         _ZN7rocprim17ROCPRIM_400000_NS6detail17trampoline_kernelINS0_14default_configENS1_25partition_config_selectorILNS1_17partition_subalgoE8ElNS0_10empty_typeEbEEZZNS1_14partition_implILS5_8ELb0ES3_jPlPS6_PKS6_NS0_5tupleIJS9_S6_EEENSD_IJSA_SA_EEENS0_18inequality_wrapperIZN2at6native12_GLOBAL__N_124unique_dim_cuda_templateItEESt5tupleIJNSH_6TensorESM_SM_EERKSM_lbbbEUlllE0_EEPmJS6_EEE10hipError_tPvRmT3_T4_T5_T6_T7_T9_mT8_P12ihipStream_tbDpT10_ENKUlT_T0_E_clISt17integral_constantIbLb1EES1C_EEDaS17_S18_EUlS17_E_NS1_11comp_targetILNS1_3genE2ELNS1_11target_archE906ELNS1_3gpuE6ELNS1_3repE0EEENS1_30default_config_static_selectorELNS0_4arch9wavefront6targetE0EEEvT1_.kd
    .uniform_work_group_size: 1
    .uses_dynamic_stack: false
    .vgpr_count:     0
    .vgpr_spill_count: 0
    .wavefront_size: 32
  - .args:
      - .offset:         0
        .size:           136
        .value_kind:     by_value
    .group_segment_fixed_size: 0
    .kernarg_segment_align: 8
    .kernarg_segment_size: 136
    .language:       OpenCL C
    .language_version:
      - 2
      - 0
    .max_flat_workgroup_size: 384
    .name:           _ZN7rocprim17ROCPRIM_400000_NS6detail17trampoline_kernelINS0_14default_configENS1_25partition_config_selectorILNS1_17partition_subalgoE8ElNS0_10empty_typeEbEEZZNS1_14partition_implILS5_8ELb0ES3_jPlPS6_PKS6_NS0_5tupleIJS9_S6_EEENSD_IJSA_SA_EEENS0_18inequality_wrapperIZN2at6native12_GLOBAL__N_124unique_dim_cuda_templateItEESt5tupleIJNSH_6TensorESM_SM_EERKSM_lbbbEUlllE0_EEPmJS6_EEE10hipError_tPvRmT3_T4_T5_T6_T7_T9_mT8_P12ihipStream_tbDpT10_ENKUlT_T0_E_clISt17integral_constantIbLb1EES1C_EEDaS17_S18_EUlS17_E_NS1_11comp_targetILNS1_3genE10ELNS1_11target_archE1200ELNS1_3gpuE4ELNS1_3repE0EEENS1_30default_config_static_selectorELNS0_4arch9wavefront6targetE0EEEvT1_
    .private_segment_fixed_size: 0
    .sgpr_count:     0
    .sgpr_spill_count: 0
    .symbol:         _ZN7rocprim17ROCPRIM_400000_NS6detail17trampoline_kernelINS0_14default_configENS1_25partition_config_selectorILNS1_17partition_subalgoE8ElNS0_10empty_typeEbEEZZNS1_14partition_implILS5_8ELb0ES3_jPlPS6_PKS6_NS0_5tupleIJS9_S6_EEENSD_IJSA_SA_EEENS0_18inequality_wrapperIZN2at6native12_GLOBAL__N_124unique_dim_cuda_templateItEESt5tupleIJNSH_6TensorESM_SM_EERKSM_lbbbEUlllE0_EEPmJS6_EEE10hipError_tPvRmT3_T4_T5_T6_T7_T9_mT8_P12ihipStream_tbDpT10_ENKUlT_T0_E_clISt17integral_constantIbLb1EES1C_EEDaS17_S18_EUlS17_E_NS1_11comp_targetILNS1_3genE10ELNS1_11target_archE1200ELNS1_3gpuE4ELNS1_3repE0EEENS1_30default_config_static_selectorELNS0_4arch9wavefront6targetE0EEEvT1_.kd
    .uniform_work_group_size: 1
    .uses_dynamic_stack: false
    .vgpr_count:     0
    .vgpr_spill_count: 0
    .wavefront_size: 32
  - .args:
      - .offset:         0
        .size:           136
        .value_kind:     by_value
    .group_segment_fixed_size: 0
    .kernarg_segment_align: 8
    .kernarg_segment_size: 136
    .language:       OpenCL C
    .language_version:
      - 2
      - 0
    .max_flat_workgroup_size: 512
    .name:           _ZN7rocprim17ROCPRIM_400000_NS6detail17trampoline_kernelINS0_14default_configENS1_25partition_config_selectorILNS1_17partition_subalgoE8ElNS0_10empty_typeEbEEZZNS1_14partition_implILS5_8ELb0ES3_jPlPS6_PKS6_NS0_5tupleIJS9_S6_EEENSD_IJSA_SA_EEENS0_18inequality_wrapperIZN2at6native12_GLOBAL__N_124unique_dim_cuda_templateItEESt5tupleIJNSH_6TensorESM_SM_EERKSM_lbbbEUlllE0_EEPmJS6_EEE10hipError_tPvRmT3_T4_T5_T6_T7_T9_mT8_P12ihipStream_tbDpT10_ENKUlT_T0_E_clISt17integral_constantIbLb1EES1C_EEDaS17_S18_EUlS17_E_NS1_11comp_targetILNS1_3genE9ELNS1_11target_archE1100ELNS1_3gpuE3ELNS1_3repE0EEENS1_30default_config_static_selectorELNS0_4arch9wavefront6targetE0EEEvT1_
    .private_segment_fixed_size: 0
    .sgpr_count:     0
    .sgpr_spill_count: 0
    .symbol:         _ZN7rocprim17ROCPRIM_400000_NS6detail17trampoline_kernelINS0_14default_configENS1_25partition_config_selectorILNS1_17partition_subalgoE8ElNS0_10empty_typeEbEEZZNS1_14partition_implILS5_8ELb0ES3_jPlPS6_PKS6_NS0_5tupleIJS9_S6_EEENSD_IJSA_SA_EEENS0_18inequality_wrapperIZN2at6native12_GLOBAL__N_124unique_dim_cuda_templateItEESt5tupleIJNSH_6TensorESM_SM_EERKSM_lbbbEUlllE0_EEPmJS6_EEE10hipError_tPvRmT3_T4_T5_T6_T7_T9_mT8_P12ihipStream_tbDpT10_ENKUlT_T0_E_clISt17integral_constantIbLb1EES1C_EEDaS17_S18_EUlS17_E_NS1_11comp_targetILNS1_3genE9ELNS1_11target_archE1100ELNS1_3gpuE3ELNS1_3repE0EEENS1_30default_config_static_selectorELNS0_4arch9wavefront6targetE0EEEvT1_.kd
    .uniform_work_group_size: 1
    .uses_dynamic_stack: false
    .vgpr_count:     0
    .vgpr_spill_count: 0
    .wavefront_size: 32
  - .args:
      - .offset:         0
        .size:           136
        .value_kind:     by_value
    .group_segment_fixed_size: 0
    .kernarg_segment_align: 8
    .kernarg_segment_size: 136
    .language:       OpenCL C
    .language_version:
      - 2
      - 0
    .max_flat_workgroup_size: 512
    .name:           _ZN7rocprim17ROCPRIM_400000_NS6detail17trampoline_kernelINS0_14default_configENS1_25partition_config_selectorILNS1_17partition_subalgoE8ElNS0_10empty_typeEbEEZZNS1_14partition_implILS5_8ELb0ES3_jPlPS6_PKS6_NS0_5tupleIJS9_S6_EEENSD_IJSA_SA_EEENS0_18inequality_wrapperIZN2at6native12_GLOBAL__N_124unique_dim_cuda_templateItEESt5tupleIJNSH_6TensorESM_SM_EERKSM_lbbbEUlllE0_EEPmJS6_EEE10hipError_tPvRmT3_T4_T5_T6_T7_T9_mT8_P12ihipStream_tbDpT10_ENKUlT_T0_E_clISt17integral_constantIbLb1EES1C_EEDaS17_S18_EUlS17_E_NS1_11comp_targetILNS1_3genE8ELNS1_11target_archE1030ELNS1_3gpuE2ELNS1_3repE0EEENS1_30default_config_static_selectorELNS0_4arch9wavefront6targetE0EEEvT1_
    .private_segment_fixed_size: 0
    .sgpr_count:     0
    .sgpr_spill_count: 0
    .symbol:         _ZN7rocprim17ROCPRIM_400000_NS6detail17trampoline_kernelINS0_14default_configENS1_25partition_config_selectorILNS1_17partition_subalgoE8ElNS0_10empty_typeEbEEZZNS1_14partition_implILS5_8ELb0ES3_jPlPS6_PKS6_NS0_5tupleIJS9_S6_EEENSD_IJSA_SA_EEENS0_18inequality_wrapperIZN2at6native12_GLOBAL__N_124unique_dim_cuda_templateItEESt5tupleIJNSH_6TensorESM_SM_EERKSM_lbbbEUlllE0_EEPmJS6_EEE10hipError_tPvRmT3_T4_T5_T6_T7_T9_mT8_P12ihipStream_tbDpT10_ENKUlT_T0_E_clISt17integral_constantIbLb1EES1C_EEDaS17_S18_EUlS17_E_NS1_11comp_targetILNS1_3genE8ELNS1_11target_archE1030ELNS1_3gpuE2ELNS1_3repE0EEENS1_30default_config_static_selectorELNS0_4arch9wavefront6targetE0EEEvT1_.kd
    .uniform_work_group_size: 1
    .uses_dynamic_stack: false
    .vgpr_count:     0
    .vgpr_spill_count: 0
    .wavefront_size: 32
  - .args:
      - .offset:         0
        .size:           120
        .value_kind:     by_value
    .group_segment_fixed_size: 0
    .kernarg_segment_align: 8
    .kernarg_segment_size: 120
    .language:       OpenCL C
    .language_version:
      - 2
      - 0
    .max_flat_workgroup_size: 512
    .name:           _ZN7rocprim17ROCPRIM_400000_NS6detail17trampoline_kernelINS0_14default_configENS1_25partition_config_selectorILNS1_17partition_subalgoE8ElNS0_10empty_typeEbEEZZNS1_14partition_implILS5_8ELb0ES3_jPlPS6_PKS6_NS0_5tupleIJS9_S6_EEENSD_IJSA_SA_EEENS0_18inequality_wrapperIZN2at6native12_GLOBAL__N_124unique_dim_cuda_templateItEESt5tupleIJNSH_6TensorESM_SM_EERKSM_lbbbEUlllE0_EEPmJS6_EEE10hipError_tPvRmT3_T4_T5_T6_T7_T9_mT8_P12ihipStream_tbDpT10_ENKUlT_T0_E_clISt17integral_constantIbLb1EES1B_IbLb0EEEEDaS17_S18_EUlS17_E_NS1_11comp_targetILNS1_3genE0ELNS1_11target_archE4294967295ELNS1_3gpuE0ELNS1_3repE0EEENS1_30default_config_static_selectorELNS0_4arch9wavefront6targetE0EEEvT1_
    .private_segment_fixed_size: 0
    .sgpr_count:     0
    .sgpr_spill_count: 0
    .symbol:         _ZN7rocprim17ROCPRIM_400000_NS6detail17trampoline_kernelINS0_14default_configENS1_25partition_config_selectorILNS1_17partition_subalgoE8ElNS0_10empty_typeEbEEZZNS1_14partition_implILS5_8ELb0ES3_jPlPS6_PKS6_NS0_5tupleIJS9_S6_EEENSD_IJSA_SA_EEENS0_18inequality_wrapperIZN2at6native12_GLOBAL__N_124unique_dim_cuda_templateItEESt5tupleIJNSH_6TensorESM_SM_EERKSM_lbbbEUlllE0_EEPmJS6_EEE10hipError_tPvRmT3_T4_T5_T6_T7_T9_mT8_P12ihipStream_tbDpT10_ENKUlT_T0_E_clISt17integral_constantIbLb1EES1B_IbLb0EEEEDaS17_S18_EUlS17_E_NS1_11comp_targetILNS1_3genE0ELNS1_11target_archE4294967295ELNS1_3gpuE0ELNS1_3repE0EEENS1_30default_config_static_selectorELNS0_4arch9wavefront6targetE0EEEvT1_.kd
    .uniform_work_group_size: 1
    .uses_dynamic_stack: false
    .vgpr_count:     0
    .vgpr_spill_count: 0
    .wavefront_size: 32
  - .args:
      - .offset:         0
        .size:           120
        .value_kind:     by_value
    .group_segment_fixed_size: 0
    .kernarg_segment_align: 8
    .kernarg_segment_size: 120
    .language:       OpenCL C
    .language_version:
      - 2
      - 0
    .max_flat_workgroup_size: 512
    .name:           _ZN7rocprim17ROCPRIM_400000_NS6detail17trampoline_kernelINS0_14default_configENS1_25partition_config_selectorILNS1_17partition_subalgoE8ElNS0_10empty_typeEbEEZZNS1_14partition_implILS5_8ELb0ES3_jPlPS6_PKS6_NS0_5tupleIJS9_S6_EEENSD_IJSA_SA_EEENS0_18inequality_wrapperIZN2at6native12_GLOBAL__N_124unique_dim_cuda_templateItEESt5tupleIJNSH_6TensorESM_SM_EERKSM_lbbbEUlllE0_EEPmJS6_EEE10hipError_tPvRmT3_T4_T5_T6_T7_T9_mT8_P12ihipStream_tbDpT10_ENKUlT_T0_E_clISt17integral_constantIbLb1EES1B_IbLb0EEEEDaS17_S18_EUlS17_E_NS1_11comp_targetILNS1_3genE5ELNS1_11target_archE942ELNS1_3gpuE9ELNS1_3repE0EEENS1_30default_config_static_selectorELNS0_4arch9wavefront6targetE0EEEvT1_
    .private_segment_fixed_size: 0
    .sgpr_count:     0
    .sgpr_spill_count: 0
    .symbol:         _ZN7rocprim17ROCPRIM_400000_NS6detail17trampoline_kernelINS0_14default_configENS1_25partition_config_selectorILNS1_17partition_subalgoE8ElNS0_10empty_typeEbEEZZNS1_14partition_implILS5_8ELb0ES3_jPlPS6_PKS6_NS0_5tupleIJS9_S6_EEENSD_IJSA_SA_EEENS0_18inequality_wrapperIZN2at6native12_GLOBAL__N_124unique_dim_cuda_templateItEESt5tupleIJNSH_6TensorESM_SM_EERKSM_lbbbEUlllE0_EEPmJS6_EEE10hipError_tPvRmT3_T4_T5_T6_T7_T9_mT8_P12ihipStream_tbDpT10_ENKUlT_T0_E_clISt17integral_constantIbLb1EES1B_IbLb0EEEEDaS17_S18_EUlS17_E_NS1_11comp_targetILNS1_3genE5ELNS1_11target_archE942ELNS1_3gpuE9ELNS1_3repE0EEENS1_30default_config_static_selectorELNS0_4arch9wavefront6targetE0EEEvT1_.kd
    .uniform_work_group_size: 1
    .uses_dynamic_stack: false
    .vgpr_count:     0
    .vgpr_spill_count: 0
    .wavefront_size: 32
  - .args:
      - .offset:         0
        .size:           120
        .value_kind:     by_value
    .group_segment_fixed_size: 0
    .kernarg_segment_align: 8
    .kernarg_segment_size: 120
    .language:       OpenCL C
    .language_version:
      - 2
      - 0
    .max_flat_workgroup_size: 256
    .name:           _ZN7rocprim17ROCPRIM_400000_NS6detail17trampoline_kernelINS0_14default_configENS1_25partition_config_selectorILNS1_17partition_subalgoE8ElNS0_10empty_typeEbEEZZNS1_14partition_implILS5_8ELb0ES3_jPlPS6_PKS6_NS0_5tupleIJS9_S6_EEENSD_IJSA_SA_EEENS0_18inequality_wrapperIZN2at6native12_GLOBAL__N_124unique_dim_cuda_templateItEESt5tupleIJNSH_6TensorESM_SM_EERKSM_lbbbEUlllE0_EEPmJS6_EEE10hipError_tPvRmT3_T4_T5_T6_T7_T9_mT8_P12ihipStream_tbDpT10_ENKUlT_T0_E_clISt17integral_constantIbLb1EES1B_IbLb0EEEEDaS17_S18_EUlS17_E_NS1_11comp_targetILNS1_3genE4ELNS1_11target_archE910ELNS1_3gpuE8ELNS1_3repE0EEENS1_30default_config_static_selectorELNS0_4arch9wavefront6targetE0EEEvT1_
    .private_segment_fixed_size: 0
    .sgpr_count:     0
    .sgpr_spill_count: 0
    .symbol:         _ZN7rocprim17ROCPRIM_400000_NS6detail17trampoline_kernelINS0_14default_configENS1_25partition_config_selectorILNS1_17partition_subalgoE8ElNS0_10empty_typeEbEEZZNS1_14partition_implILS5_8ELb0ES3_jPlPS6_PKS6_NS0_5tupleIJS9_S6_EEENSD_IJSA_SA_EEENS0_18inequality_wrapperIZN2at6native12_GLOBAL__N_124unique_dim_cuda_templateItEESt5tupleIJNSH_6TensorESM_SM_EERKSM_lbbbEUlllE0_EEPmJS6_EEE10hipError_tPvRmT3_T4_T5_T6_T7_T9_mT8_P12ihipStream_tbDpT10_ENKUlT_T0_E_clISt17integral_constantIbLb1EES1B_IbLb0EEEEDaS17_S18_EUlS17_E_NS1_11comp_targetILNS1_3genE4ELNS1_11target_archE910ELNS1_3gpuE8ELNS1_3repE0EEENS1_30default_config_static_selectorELNS0_4arch9wavefront6targetE0EEEvT1_.kd
    .uniform_work_group_size: 1
    .uses_dynamic_stack: false
    .vgpr_count:     0
    .vgpr_spill_count: 0
    .wavefront_size: 32
  - .args:
      - .offset:         0
        .size:           120
        .value_kind:     by_value
    .group_segment_fixed_size: 0
    .kernarg_segment_align: 8
    .kernarg_segment_size: 120
    .language:       OpenCL C
    .language_version:
      - 2
      - 0
    .max_flat_workgroup_size: 512
    .name:           _ZN7rocprim17ROCPRIM_400000_NS6detail17trampoline_kernelINS0_14default_configENS1_25partition_config_selectorILNS1_17partition_subalgoE8ElNS0_10empty_typeEbEEZZNS1_14partition_implILS5_8ELb0ES3_jPlPS6_PKS6_NS0_5tupleIJS9_S6_EEENSD_IJSA_SA_EEENS0_18inequality_wrapperIZN2at6native12_GLOBAL__N_124unique_dim_cuda_templateItEESt5tupleIJNSH_6TensorESM_SM_EERKSM_lbbbEUlllE0_EEPmJS6_EEE10hipError_tPvRmT3_T4_T5_T6_T7_T9_mT8_P12ihipStream_tbDpT10_ENKUlT_T0_E_clISt17integral_constantIbLb1EES1B_IbLb0EEEEDaS17_S18_EUlS17_E_NS1_11comp_targetILNS1_3genE3ELNS1_11target_archE908ELNS1_3gpuE7ELNS1_3repE0EEENS1_30default_config_static_selectorELNS0_4arch9wavefront6targetE0EEEvT1_
    .private_segment_fixed_size: 0
    .sgpr_count:     0
    .sgpr_spill_count: 0
    .symbol:         _ZN7rocprim17ROCPRIM_400000_NS6detail17trampoline_kernelINS0_14default_configENS1_25partition_config_selectorILNS1_17partition_subalgoE8ElNS0_10empty_typeEbEEZZNS1_14partition_implILS5_8ELb0ES3_jPlPS6_PKS6_NS0_5tupleIJS9_S6_EEENSD_IJSA_SA_EEENS0_18inequality_wrapperIZN2at6native12_GLOBAL__N_124unique_dim_cuda_templateItEESt5tupleIJNSH_6TensorESM_SM_EERKSM_lbbbEUlllE0_EEPmJS6_EEE10hipError_tPvRmT3_T4_T5_T6_T7_T9_mT8_P12ihipStream_tbDpT10_ENKUlT_T0_E_clISt17integral_constantIbLb1EES1B_IbLb0EEEEDaS17_S18_EUlS17_E_NS1_11comp_targetILNS1_3genE3ELNS1_11target_archE908ELNS1_3gpuE7ELNS1_3repE0EEENS1_30default_config_static_selectorELNS0_4arch9wavefront6targetE0EEEvT1_.kd
    .uniform_work_group_size: 1
    .uses_dynamic_stack: false
    .vgpr_count:     0
    .vgpr_spill_count: 0
    .wavefront_size: 32
  - .args:
      - .offset:         0
        .size:           120
        .value_kind:     by_value
    .group_segment_fixed_size: 0
    .kernarg_segment_align: 8
    .kernarg_segment_size: 120
    .language:       OpenCL C
    .language_version:
      - 2
      - 0
    .max_flat_workgroup_size: 256
    .name:           _ZN7rocprim17ROCPRIM_400000_NS6detail17trampoline_kernelINS0_14default_configENS1_25partition_config_selectorILNS1_17partition_subalgoE8ElNS0_10empty_typeEbEEZZNS1_14partition_implILS5_8ELb0ES3_jPlPS6_PKS6_NS0_5tupleIJS9_S6_EEENSD_IJSA_SA_EEENS0_18inequality_wrapperIZN2at6native12_GLOBAL__N_124unique_dim_cuda_templateItEESt5tupleIJNSH_6TensorESM_SM_EERKSM_lbbbEUlllE0_EEPmJS6_EEE10hipError_tPvRmT3_T4_T5_T6_T7_T9_mT8_P12ihipStream_tbDpT10_ENKUlT_T0_E_clISt17integral_constantIbLb1EES1B_IbLb0EEEEDaS17_S18_EUlS17_E_NS1_11comp_targetILNS1_3genE2ELNS1_11target_archE906ELNS1_3gpuE6ELNS1_3repE0EEENS1_30default_config_static_selectorELNS0_4arch9wavefront6targetE0EEEvT1_
    .private_segment_fixed_size: 0
    .sgpr_count:     0
    .sgpr_spill_count: 0
    .symbol:         _ZN7rocprim17ROCPRIM_400000_NS6detail17trampoline_kernelINS0_14default_configENS1_25partition_config_selectorILNS1_17partition_subalgoE8ElNS0_10empty_typeEbEEZZNS1_14partition_implILS5_8ELb0ES3_jPlPS6_PKS6_NS0_5tupleIJS9_S6_EEENSD_IJSA_SA_EEENS0_18inequality_wrapperIZN2at6native12_GLOBAL__N_124unique_dim_cuda_templateItEESt5tupleIJNSH_6TensorESM_SM_EERKSM_lbbbEUlllE0_EEPmJS6_EEE10hipError_tPvRmT3_T4_T5_T6_T7_T9_mT8_P12ihipStream_tbDpT10_ENKUlT_T0_E_clISt17integral_constantIbLb1EES1B_IbLb0EEEEDaS17_S18_EUlS17_E_NS1_11comp_targetILNS1_3genE2ELNS1_11target_archE906ELNS1_3gpuE6ELNS1_3repE0EEENS1_30default_config_static_selectorELNS0_4arch9wavefront6targetE0EEEvT1_.kd
    .uniform_work_group_size: 1
    .uses_dynamic_stack: false
    .vgpr_count:     0
    .vgpr_spill_count: 0
    .wavefront_size: 32
  - .args:
      - .offset:         0
        .size:           120
        .value_kind:     by_value
    .group_segment_fixed_size: 0
    .kernarg_segment_align: 8
    .kernarg_segment_size: 120
    .language:       OpenCL C
    .language_version:
      - 2
      - 0
    .max_flat_workgroup_size: 384
    .name:           _ZN7rocprim17ROCPRIM_400000_NS6detail17trampoline_kernelINS0_14default_configENS1_25partition_config_selectorILNS1_17partition_subalgoE8ElNS0_10empty_typeEbEEZZNS1_14partition_implILS5_8ELb0ES3_jPlPS6_PKS6_NS0_5tupleIJS9_S6_EEENSD_IJSA_SA_EEENS0_18inequality_wrapperIZN2at6native12_GLOBAL__N_124unique_dim_cuda_templateItEESt5tupleIJNSH_6TensorESM_SM_EERKSM_lbbbEUlllE0_EEPmJS6_EEE10hipError_tPvRmT3_T4_T5_T6_T7_T9_mT8_P12ihipStream_tbDpT10_ENKUlT_T0_E_clISt17integral_constantIbLb1EES1B_IbLb0EEEEDaS17_S18_EUlS17_E_NS1_11comp_targetILNS1_3genE10ELNS1_11target_archE1200ELNS1_3gpuE4ELNS1_3repE0EEENS1_30default_config_static_selectorELNS0_4arch9wavefront6targetE0EEEvT1_
    .private_segment_fixed_size: 0
    .sgpr_count:     0
    .sgpr_spill_count: 0
    .symbol:         _ZN7rocprim17ROCPRIM_400000_NS6detail17trampoline_kernelINS0_14default_configENS1_25partition_config_selectorILNS1_17partition_subalgoE8ElNS0_10empty_typeEbEEZZNS1_14partition_implILS5_8ELb0ES3_jPlPS6_PKS6_NS0_5tupleIJS9_S6_EEENSD_IJSA_SA_EEENS0_18inequality_wrapperIZN2at6native12_GLOBAL__N_124unique_dim_cuda_templateItEESt5tupleIJNSH_6TensorESM_SM_EERKSM_lbbbEUlllE0_EEPmJS6_EEE10hipError_tPvRmT3_T4_T5_T6_T7_T9_mT8_P12ihipStream_tbDpT10_ENKUlT_T0_E_clISt17integral_constantIbLb1EES1B_IbLb0EEEEDaS17_S18_EUlS17_E_NS1_11comp_targetILNS1_3genE10ELNS1_11target_archE1200ELNS1_3gpuE4ELNS1_3repE0EEENS1_30default_config_static_selectorELNS0_4arch9wavefront6targetE0EEEvT1_.kd
    .uniform_work_group_size: 1
    .uses_dynamic_stack: false
    .vgpr_count:     0
    .vgpr_spill_count: 0
    .wavefront_size: 32
  - .args:
      - .offset:         0
        .size:           120
        .value_kind:     by_value
    .group_segment_fixed_size: 0
    .kernarg_segment_align: 8
    .kernarg_segment_size: 120
    .language:       OpenCL C
    .language_version:
      - 2
      - 0
    .max_flat_workgroup_size: 512
    .name:           _ZN7rocprim17ROCPRIM_400000_NS6detail17trampoline_kernelINS0_14default_configENS1_25partition_config_selectorILNS1_17partition_subalgoE8ElNS0_10empty_typeEbEEZZNS1_14partition_implILS5_8ELb0ES3_jPlPS6_PKS6_NS0_5tupleIJS9_S6_EEENSD_IJSA_SA_EEENS0_18inequality_wrapperIZN2at6native12_GLOBAL__N_124unique_dim_cuda_templateItEESt5tupleIJNSH_6TensorESM_SM_EERKSM_lbbbEUlllE0_EEPmJS6_EEE10hipError_tPvRmT3_T4_T5_T6_T7_T9_mT8_P12ihipStream_tbDpT10_ENKUlT_T0_E_clISt17integral_constantIbLb1EES1B_IbLb0EEEEDaS17_S18_EUlS17_E_NS1_11comp_targetILNS1_3genE9ELNS1_11target_archE1100ELNS1_3gpuE3ELNS1_3repE0EEENS1_30default_config_static_selectorELNS0_4arch9wavefront6targetE0EEEvT1_
    .private_segment_fixed_size: 0
    .sgpr_count:     0
    .sgpr_spill_count: 0
    .symbol:         _ZN7rocprim17ROCPRIM_400000_NS6detail17trampoline_kernelINS0_14default_configENS1_25partition_config_selectorILNS1_17partition_subalgoE8ElNS0_10empty_typeEbEEZZNS1_14partition_implILS5_8ELb0ES3_jPlPS6_PKS6_NS0_5tupleIJS9_S6_EEENSD_IJSA_SA_EEENS0_18inequality_wrapperIZN2at6native12_GLOBAL__N_124unique_dim_cuda_templateItEESt5tupleIJNSH_6TensorESM_SM_EERKSM_lbbbEUlllE0_EEPmJS6_EEE10hipError_tPvRmT3_T4_T5_T6_T7_T9_mT8_P12ihipStream_tbDpT10_ENKUlT_T0_E_clISt17integral_constantIbLb1EES1B_IbLb0EEEEDaS17_S18_EUlS17_E_NS1_11comp_targetILNS1_3genE9ELNS1_11target_archE1100ELNS1_3gpuE3ELNS1_3repE0EEENS1_30default_config_static_selectorELNS0_4arch9wavefront6targetE0EEEvT1_.kd
    .uniform_work_group_size: 1
    .uses_dynamic_stack: false
    .vgpr_count:     0
    .vgpr_spill_count: 0
    .wavefront_size: 32
  - .args:
      - .offset:         0
        .size:           120
        .value_kind:     by_value
    .group_segment_fixed_size: 0
    .kernarg_segment_align: 8
    .kernarg_segment_size: 120
    .language:       OpenCL C
    .language_version:
      - 2
      - 0
    .max_flat_workgroup_size: 512
    .name:           _ZN7rocprim17ROCPRIM_400000_NS6detail17trampoline_kernelINS0_14default_configENS1_25partition_config_selectorILNS1_17partition_subalgoE8ElNS0_10empty_typeEbEEZZNS1_14partition_implILS5_8ELb0ES3_jPlPS6_PKS6_NS0_5tupleIJS9_S6_EEENSD_IJSA_SA_EEENS0_18inequality_wrapperIZN2at6native12_GLOBAL__N_124unique_dim_cuda_templateItEESt5tupleIJNSH_6TensorESM_SM_EERKSM_lbbbEUlllE0_EEPmJS6_EEE10hipError_tPvRmT3_T4_T5_T6_T7_T9_mT8_P12ihipStream_tbDpT10_ENKUlT_T0_E_clISt17integral_constantIbLb1EES1B_IbLb0EEEEDaS17_S18_EUlS17_E_NS1_11comp_targetILNS1_3genE8ELNS1_11target_archE1030ELNS1_3gpuE2ELNS1_3repE0EEENS1_30default_config_static_selectorELNS0_4arch9wavefront6targetE0EEEvT1_
    .private_segment_fixed_size: 0
    .sgpr_count:     0
    .sgpr_spill_count: 0
    .symbol:         _ZN7rocprim17ROCPRIM_400000_NS6detail17trampoline_kernelINS0_14default_configENS1_25partition_config_selectorILNS1_17partition_subalgoE8ElNS0_10empty_typeEbEEZZNS1_14partition_implILS5_8ELb0ES3_jPlPS6_PKS6_NS0_5tupleIJS9_S6_EEENSD_IJSA_SA_EEENS0_18inequality_wrapperIZN2at6native12_GLOBAL__N_124unique_dim_cuda_templateItEESt5tupleIJNSH_6TensorESM_SM_EERKSM_lbbbEUlllE0_EEPmJS6_EEE10hipError_tPvRmT3_T4_T5_T6_T7_T9_mT8_P12ihipStream_tbDpT10_ENKUlT_T0_E_clISt17integral_constantIbLb1EES1B_IbLb0EEEEDaS17_S18_EUlS17_E_NS1_11comp_targetILNS1_3genE8ELNS1_11target_archE1030ELNS1_3gpuE2ELNS1_3repE0EEENS1_30default_config_static_selectorELNS0_4arch9wavefront6targetE0EEEvT1_.kd
    .uniform_work_group_size: 1
    .uses_dynamic_stack: false
    .vgpr_count:     0
    .vgpr_spill_count: 0
    .wavefront_size: 32
  - .args:
      - .offset:         0
        .size:           136
        .value_kind:     by_value
    .group_segment_fixed_size: 28680
    .kernarg_segment_align: 8
    .kernarg_segment_size: 136
    .language:       OpenCL C
    .language_version:
      - 2
      - 0
    .max_flat_workgroup_size: 512
    .name:           _ZN7rocprim17ROCPRIM_400000_NS6detail17trampoline_kernelINS0_14default_configENS1_25partition_config_selectorILNS1_17partition_subalgoE8ElNS0_10empty_typeEbEEZZNS1_14partition_implILS5_8ELb0ES3_jPlPS6_PKS6_NS0_5tupleIJS9_S6_EEENSD_IJSA_SA_EEENS0_18inequality_wrapperIZN2at6native12_GLOBAL__N_124unique_dim_cuda_templateItEESt5tupleIJNSH_6TensorESM_SM_EERKSM_lbbbEUlllE0_EEPmJS6_EEE10hipError_tPvRmT3_T4_T5_T6_T7_T9_mT8_P12ihipStream_tbDpT10_ENKUlT_T0_E_clISt17integral_constantIbLb0EES1B_IbLb1EEEEDaS17_S18_EUlS17_E_NS1_11comp_targetILNS1_3genE0ELNS1_11target_archE4294967295ELNS1_3gpuE0ELNS1_3repE0EEENS1_30default_config_static_selectorELNS0_4arch9wavefront6targetE0EEEvT1_
    .private_segment_fixed_size: 0
    .sgpr_count:     38
    .sgpr_spill_count: 0
    .symbol:         _ZN7rocprim17ROCPRIM_400000_NS6detail17trampoline_kernelINS0_14default_configENS1_25partition_config_selectorILNS1_17partition_subalgoE8ElNS0_10empty_typeEbEEZZNS1_14partition_implILS5_8ELb0ES3_jPlPS6_PKS6_NS0_5tupleIJS9_S6_EEENSD_IJSA_SA_EEENS0_18inequality_wrapperIZN2at6native12_GLOBAL__N_124unique_dim_cuda_templateItEESt5tupleIJNSH_6TensorESM_SM_EERKSM_lbbbEUlllE0_EEPmJS6_EEE10hipError_tPvRmT3_T4_T5_T6_T7_T9_mT8_P12ihipStream_tbDpT10_ENKUlT_T0_E_clISt17integral_constantIbLb0EES1B_IbLb1EEEEDaS17_S18_EUlS17_E_NS1_11comp_targetILNS1_3genE0ELNS1_11target_archE4294967295ELNS1_3gpuE0ELNS1_3repE0EEENS1_30default_config_static_selectorELNS0_4arch9wavefront6targetE0EEEvT1_.kd
    .uniform_work_group_size: 1
    .uses_dynamic_stack: false
    .vgpr_count:     53
    .vgpr_spill_count: 0
    .wavefront_size: 32
  - .args:
      - .offset:         0
        .size:           136
        .value_kind:     by_value
    .group_segment_fixed_size: 0
    .kernarg_segment_align: 8
    .kernarg_segment_size: 136
    .language:       OpenCL C
    .language_version:
      - 2
      - 0
    .max_flat_workgroup_size: 512
    .name:           _ZN7rocprim17ROCPRIM_400000_NS6detail17trampoline_kernelINS0_14default_configENS1_25partition_config_selectorILNS1_17partition_subalgoE8ElNS0_10empty_typeEbEEZZNS1_14partition_implILS5_8ELb0ES3_jPlPS6_PKS6_NS0_5tupleIJS9_S6_EEENSD_IJSA_SA_EEENS0_18inequality_wrapperIZN2at6native12_GLOBAL__N_124unique_dim_cuda_templateItEESt5tupleIJNSH_6TensorESM_SM_EERKSM_lbbbEUlllE0_EEPmJS6_EEE10hipError_tPvRmT3_T4_T5_T6_T7_T9_mT8_P12ihipStream_tbDpT10_ENKUlT_T0_E_clISt17integral_constantIbLb0EES1B_IbLb1EEEEDaS17_S18_EUlS17_E_NS1_11comp_targetILNS1_3genE5ELNS1_11target_archE942ELNS1_3gpuE9ELNS1_3repE0EEENS1_30default_config_static_selectorELNS0_4arch9wavefront6targetE0EEEvT1_
    .private_segment_fixed_size: 0
    .sgpr_count:     0
    .sgpr_spill_count: 0
    .symbol:         _ZN7rocprim17ROCPRIM_400000_NS6detail17trampoline_kernelINS0_14default_configENS1_25partition_config_selectorILNS1_17partition_subalgoE8ElNS0_10empty_typeEbEEZZNS1_14partition_implILS5_8ELb0ES3_jPlPS6_PKS6_NS0_5tupleIJS9_S6_EEENSD_IJSA_SA_EEENS0_18inequality_wrapperIZN2at6native12_GLOBAL__N_124unique_dim_cuda_templateItEESt5tupleIJNSH_6TensorESM_SM_EERKSM_lbbbEUlllE0_EEPmJS6_EEE10hipError_tPvRmT3_T4_T5_T6_T7_T9_mT8_P12ihipStream_tbDpT10_ENKUlT_T0_E_clISt17integral_constantIbLb0EES1B_IbLb1EEEEDaS17_S18_EUlS17_E_NS1_11comp_targetILNS1_3genE5ELNS1_11target_archE942ELNS1_3gpuE9ELNS1_3repE0EEENS1_30default_config_static_selectorELNS0_4arch9wavefront6targetE0EEEvT1_.kd
    .uniform_work_group_size: 1
    .uses_dynamic_stack: false
    .vgpr_count:     0
    .vgpr_spill_count: 0
    .wavefront_size: 32
  - .args:
      - .offset:         0
        .size:           136
        .value_kind:     by_value
    .group_segment_fixed_size: 0
    .kernarg_segment_align: 8
    .kernarg_segment_size: 136
    .language:       OpenCL C
    .language_version:
      - 2
      - 0
    .max_flat_workgroup_size: 256
    .name:           _ZN7rocprim17ROCPRIM_400000_NS6detail17trampoline_kernelINS0_14default_configENS1_25partition_config_selectorILNS1_17partition_subalgoE8ElNS0_10empty_typeEbEEZZNS1_14partition_implILS5_8ELb0ES3_jPlPS6_PKS6_NS0_5tupleIJS9_S6_EEENSD_IJSA_SA_EEENS0_18inequality_wrapperIZN2at6native12_GLOBAL__N_124unique_dim_cuda_templateItEESt5tupleIJNSH_6TensorESM_SM_EERKSM_lbbbEUlllE0_EEPmJS6_EEE10hipError_tPvRmT3_T4_T5_T6_T7_T9_mT8_P12ihipStream_tbDpT10_ENKUlT_T0_E_clISt17integral_constantIbLb0EES1B_IbLb1EEEEDaS17_S18_EUlS17_E_NS1_11comp_targetILNS1_3genE4ELNS1_11target_archE910ELNS1_3gpuE8ELNS1_3repE0EEENS1_30default_config_static_selectorELNS0_4arch9wavefront6targetE0EEEvT1_
    .private_segment_fixed_size: 0
    .sgpr_count:     0
    .sgpr_spill_count: 0
    .symbol:         _ZN7rocprim17ROCPRIM_400000_NS6detail17trampoline_kernelINS0_14default_configENS1_25partition_config_selectorILNS1_17partition_subalgoE8ElNS0_10empty_typeEbEEZZNS1_14partition_implILS5_8ELb0ES3_jPlPS6_PKS6_NS0_5tupleIJS9_S6_EEENSD_IJSA_SA_EEENS0_18inequality_wrapperIZN2at6native12_GLOBAL__N_124unique_dim_cuda_templateItEESt5tupleIJNSH_6TensorESM_SM_EERKSM_lbbbEUlllE0_EEPmJS6_EEE10hipError_tPvRmT3_T4_T5_T6_T7_T9_mT8_P12ihipStream_tbDpT10_ENKUlT_T0_E_clISt17integral_constantIbLb0EES1B_IbLb1EEEEDaS17_S18_EUlS17_E_NS1_11comp_targetILNS1_3genE4ELNS1_11target_archE910ELNS1_3gpuE8ELNS1_3repE0EEENS1_30default_config_static_selectorELNS0_4arch9wavefront6targetE0EEEvT1_.kd
    .uniform_work_group_size: 1
    .uses_dynamic_stack: false
    .vgpr_count:     0
    .vgpr_spill_count: 0
    .wavefront_size: 32
  - .args:
      - .offset:         0
        .size:           136
        .value_kind:     by_value
    .group_segment_fixed_size: 0
    .kernarg_segment_align: 8
    .kernarg_segment_size: 136
    .language:       OpenCL C
    .language_version:
      - 2
      - 0
    .max_flat_workgroup_size: 512
    .name:           _ZN7rocprim17ROCPRIM_400000_NS6detail17trampoline_kernelINS0_14default_configENS1_25partition_config_selectorILNS1_17partition_subalgoE8ElNS0_10empty_typeEbEEZZNS1_14partition_implILS5_8ELb0ES3_jPlPS6_PKS6_NS0_5tupleIJS9_S6_EEENSD_IJSA_SA_EEENS0_18inequality_wrapperIZN2at6native12_GLOBAL__N_124unique_dim_cuda_templateItEESt5tupleIJNSH_6TensorESM_SM_EERKSM_lbbbEUlllE0_EEPmJS6_EEE10hipError_tPvRmT3_T4_T5_T6_T7_T9_mT8_P12ihipStream_tbDpT10_ENKUlT_T0_E_clISt17integral_constantIbLb0EES1B_IbLb1EEEEDaS17_S18_EUlS17_E_NS1_11comp_targetILNS1_3genE3ELNS1_11target_archE908ELNS1_3gpuE7ELNS1_3repE0EEENS1_30default_config_static_selectorELNS0_4arch9wavefront6targetE0EEEvT1_
    .private_segment_fixed_size: 0
    .sgpr_count:     0
    .sgpr_spill_count: 0
    .symbol:         _ZN7rocprim17ROCPRIM_400000_NS6detail17trampoline_kernelINS0_14default_configENS1_25partition_config_selectorILNS1_17partition_subalgoE8ElNS0_10empty_typeEbEEZZNS1_14partition_implILS5_8ELb0ES3_jPlPS6_PKS6_NS0_5tupleIJS9_S6_EEENSD_IJSA_SA_EEENS0_18inequality_wrapperIZN2at6native12_GLOBAL__N_124unique_dim_cuda_templateItEESt5tupleIJNSH_6TensorESM_SM_EERKSM_lbbbEUlllE0_EEPmJS6_EEE10hipError_tPvRmT3_T4_T5_T6_T7_T9_mT8_P12ihipStream_tbDpT10_ENKUlT_T0_E_clISt17integral_constantIbLb0EES1B_IbLb1EEEEDaS17_S18_EUlS17_E_NS1_11comp_targetILNS1_3genE3ELNS1_11target_archE908ELNS1_3gpuE7ELNS1_3repE0EEENS1_30default_config_static_selectorELNS0_4arch9wavefront6targetE0EEEvT1_.kd
    .uniform_work_group_size: 1
    .uses_dynamic_stack: false
    .vgpr_count:     0
    .vgpr_spill_count: 0
    .wavefront_size: 32
  - .args:
      - .offset:         0
        .size:           136
        .value_kind:     by_value
    .group_segment_fixed_size: 0
    .kernarg_segment_align: 8
    .kernarg_segment_size: 136
    .language:       OpenCL C
    .language_version:
      - 2
      - 0
    .max_flat_workgroup_size: 256
    .name:           _ZN7rocprim17ROCPRIM_400000_NS6detail17trampoline_kernelINS0_14default_configENS1_25partition_config_selectorILNS1_17partition_subalgoE8ElNS0_10empty_typeEbEEZZNS1_14partition_implILS5_8ELb0ES3_jPlPS6_PKS6_NS0_5tupleIJS9_S6_EEENSD_IJSA_SA_EEENS0_18inequality_wrapperIZN2at6native12_GLOBAL__N_124unique_dim_cuda_templateItEESt5tupleIJNSH_6TensorESM_SM_EERKSM_lbbbEUlllE0_EEPmJS6_EEE10hipError_tPvRmT3_T4_T5_T6_T7_T9_mT8_P12ihipStream_tbDpT10_ENKUlT_T0_E_clISt17integral_constantIbLb0EES1B_IbLb1EEEEDaS17_S18_EUlS17_E_NS1_11comp_targetILNS1_3genE2ELNS1_11target_archE906ELNS1_3gpuE6ELNS1_3repE0EEENS1_30default_config_static_selectorELNS0_4arch9wavefront6targetE0EEEvT1_
    .private_segment_fixed_size: 0
    .sgpr_count:     0
    .sgpr_spill_count: 0
    .symbol:         _ZN7rocprim17ROCPRIM_400000_NS6detail17trampoline_kernelINS0_14default_configENS1_25partition_config_selectorILNS1_17partition_subalgoE8ElNS0_10empty_typeEbEEZZNS1_14partition_implILS5_8ELb0ES3_jPlPS6_PKS6_NS0_5tupleIJS9_S6_EEENSD_IJSA_SA_EEENS0_18inequality_wrapperIZN2at6native12_GLOBAL__N_124unique_dim_cuda_templateItEESt5tupleIJNSH_6TensorESM_SM_EERKSM_lbbbEUlllE0_EEPmJS6_EEE10hipError_tPvRmT3_T4_T5_T6_T7_T9_mT8_P12ihipStream_tbDpT10_ENKUlT_T0_E_clISt17integral_constantIbLb0EES1B_IbLb1EEEEDaS17_S18_EUlS17_E_NS1_11comp_targetILNS1_3genE2ELNS1_11target_archE906ELNS1_3gpuE6ELNS1_3repE0EEENS1_30default_config_static_selectorELNS0_4arch9wavefront6targetE0EEEvT1_.kd
    .uniform_work_group_size: 1
    .uses_dynamic_stack: false
    .vgpr_count:     0
    .vgpr_spill_count: 0
    .wavefront_size: 32
  - .args:
      - .offset:         0
        .size:           136
        .value_kind:     by_value
    .group_segment_fixed_size: 0
    .kernarg_segment_align: 8
    .kernarg_segment_size: 136
    .language:       OpenCL C
    .language_version:
      - 2
      - 0
    .max_flat_workgroup_size: 384
    .name:           _ZN7rocprim17ROCPRIM_400000_NS6detail17trampoline_kernelINS0_14default_configENS1_25partition_config_selectorILNS1_17partition_subalgoE8ElNS0_10empty_typeEbEEZZNS1_14partition_implILS5_8ELb0ES3_jPlPS6_PKS6_NS0_5tupleIJS9_S6_EEENSD_IJSA_SA_EEENS0_18inequality_wrapperIZN2at6native12_GLOBAL__N_124unique_dim_cuda_templateItEESt5tupleIJNSH_6TensorESM_SM_EERKSM_lbbbEUlllE0_EEPmJS6_EEE10hipError_tPvRmT3_T4_T5_T6_T7_T9_mT8_P12ihipStream_tbDpT10_ENKUlT_T0_E_clISt17integral_constantIbLb0EES1B_IbLb1EEEEDaS17_S18_EUlS17_E_NS1_11comp_targetILNS1_3genE10ELNS1_11target_archE1200ELNS1_3gpuE4ELNS1_3repE0EEENS1_30default_config_static_selectorELNS0_4arch9wavefront6targetE0EEEvT1_
    .private_segment_fixed_size: 0
    .sgpr_count:     0
    .sgpr_spill_count: 0
    .symbol:         _ZN7rocprim17ROCPRIM_400000_NS6detail17trampoline_kernelINS0_14default_configENS1_25partition_config_selectorILNS1_17partition_subalgoE8ElNS0_10empty_typeEbEEZZNS1_14partition_implILS5_8ELb0ES3_jPlPS6_PKS6_NS0_5tupleIJS9_S6_EEENSD_IJSA_SA_EEENS0_18inequality_wrapperIZN2at6native12_GLOBAL__N_124unique_dim_cuda_templateItEESt5tupleIJNSH_6TensorESM_SM_EERKSM_lbbbEUlllE0_EEPmJS6_EEE10hipError_tPvRmT3_T4_T5_T6_T7_T9_mT8_P12ihipStream_tbDpT10_ENKUlT_T0_E_clISt17integral_constantIbLb0EES1B_IbLb1EEEEDaS17_S18_EUlS17_E_NS1_11comp_targetILNS1_3genE10ELNS1_11target_archE1200ELNS1_3gpuE4ELNS1_3repE0EEENS1_30default_config_static_selectorELNS0_4arch9wavefront6targetE0EEEvT1_.kd
    .uniform_work_group_size: 1
    .uses_dynamic_stack: false
    .vgpr_count:     0
    .vgpr_spill_count: 0
    .wavefront_size: 32
  - .args:
      - .offset:         0
        .size:           136
        .value_kind:     by_value
    .group_segment_fixed_size: 0
    .kernarg_segment_align: 8
    .kernarg_segment_size: 136
    .language:       OpenCL C
    .language_version:
      - 2
      - 0
    .max_flat_workgroup_size: 512
    .name:           _ZN7rocprim17ROCPRIM_400000_NS6detail17trampoline_kernelINS0_14default_configENS1_25partition_config_selectorILNS1_17partition_subalgoE8ElNS0_10empty_typeEbEEZZNS1_14partition_implILS5_8ELb0ES3_jPlPS6_PKS6_NS0_5tupleIJS9_S6_EEENSD_IJSA_SA_EEENS0_18inequality_wrapperIZN2at6native12_GLOBAL__N_124unique_dim_cuda_templateItEESt5tupleIJNSH_6TensorESM_SM_EERKSM_lbbbEUlllE0_EEPmJS6_EEE10hipError_tPvRmT3_T4_T5_T6_T7_T9_mT8_P12ihipStream_tbDpT10_ENKUlT_T0_E_clISt17integral_constantIbLb0EES1B_IbLb1EEEEDaS17_S18_EUlS17_E_NS1_11comp_targetILNS1_3genE9ELNS1_11target_archE1100ELNS1_3gpuE3ELNS1_3repE0EEENS1_30default_config_static_selectorELNS0_4arch9wavefront6targetE0EEEvT1_
    .private_segment_fixed_size: 0
    .sgpr_count:     0
    .sgpr_spill_count: 0
    .symbol:         _ZN7rocprim17ROCPRIM_400000_NS6detail17trampoline_kernelINS0_14default_configENS1_25partition_config_selectorILNS1_17partition_subalgoE8ElNS0_10empty_typeEbEEZZNS1_14partition_implILS5_8ELb0ES3_jPlPS6_PKS6_NS0_5tupleIJS9_S6_EEENSD_IJSA_SA_EEENS0_18inequality_wrapperIZN2at6native12_GLOBAL__N_124unique_dim_cuda_templateItEESt5tupleIJNSH_6TensorESM_SM_EERKSM_lbbbEUlllE0_EEPmJS6_EEE10hipError_tPvRmT3_T4_T5_T6_T7_T9_mT8_P12ihipStream_tbDpT10_ENKUlT_T0_E_clISt17integral_constantIbLb0EES1B_IbLb1EEEEDaS17_S18_EUlS17_E_NS1_11comp_targetILNS1_3genE9ELNS1_11target_archE1100ELNS1_3gpuE3ELNS1_3repE0EEENS1_30default_config_static_selectorELNS0_4arch9wavefront6targetE0EEEvT1_.kd
    .uniform_work_group_size: 1
    .uses_dynamic_stack: false
    .vgpr_count:     0
    .vgpr_spill_count: 0
    .wavefront_size: 32
  - .args:
      - .offset:         0
        .size:           136
        .value_kind:     by_value
    .group_segment_fixed_size: 0
    .kernarg_segment_align: 8
    .kernarg_segment_size: 136
    .language:       OpenCL C
    .language_version:
      - 2
      - 0
    .max_flat_workgroup_size: 512
    .name:           _ZN7rocprim17ROCPRIM_400000_NS6detail17trampoline_kernelINS0_14default_configENS1_25partition_config_selectorILNS1_17partition_subalgoE8ElNS0_10empty_typeEbEEZZNS1_14partition_implILS5_8ELb0ES3_jPlPS6_PKS6_NS0_5tupleIJS9_S6_EEENSD_IJSA_SA_EEENS0_18inequality_wrapperIZN2at6native12_GLOBAL__N_124unique_dim_cuda_templateItEESt5tupleIJNSH_6TensorESM_SM_EERKSM_lbbbEUlllE0_EEPmJS6_EEE10hipError_tPvRmT3_T4_T5_T6_T7_T9_mT8_P12ihipStream_tbDpT10_ENKUlT_T0_E_clISt17integral_constantIbLb0EES1B_IbLb1EEEEDaS17_S18_EUlS17_E_NS1_11comp_targetILNS1_3genE8ELNS1_11target_archE1030ELNS1_3gpuE2ELNS1_3repE0EEENS1_30default_config_static_selectorELNS0_4arch9wavefront6targetE0EEEvT1_
    .private_segment_fixed_size: 0
    .sgpr_count:     0
    .sgpr_spill_count: 0
    .symbol:         _ZN7rocprim17ROCPRIM_400000_NS6detail17trampoline_kernelINS0_14default_configENS1_25partition_config_selectorILNS1_17partition_subalgoE8ElNS0_10empty_typeEbEEZZNS1_14partition_implILS5_8ELb0ES3_jPlPS6_PKS6_NS0_5tupleIJS9_S6_EEENSD_IJSA_SA_EEENS0_18inequality_wrapperIZN2at6native12_GLOBAL__N_124unique_dim_cuda_templateItEESt5tupleIJNSH_6TensorESM_SM_EERKSM_lbbbEUlllE0_EEPmJS6_EEE10hipError_tPvRmT3_T4_T5_T6_T7_T9_mT8_P12ihipStream_tbDpT10_ENKUlT_T0_E_clISt17integral_constantIbLb0EES1B_IbLb1EEEEDaS17_S18_EUlS17_E_NS1_11comp_targetILNS1_3genE8ELNS1_11target_archE1030ELNS1_3gpuE2ELNS1_3repE0EEENS1_30default_config_static_selectorELNS0_4arch9wavefront6targetE0EEEvT1_.kd
    .uniform_work_group_size: 1
    .uses_dynamic_stack: false
    .vgpr_count:     0
    .vgpr_spill_count: 0
    .wavefront_size: 32
  - .args:
      - .offset:         0
        .size:           120
        .value_kind:     by_value
    .group_segment_fixed_size: 5128
    .kernarg_segment_align: 8
    .kernarg_segment_size: 120
    .language:       OpenCL C
    .language_version:
      - 2
      - 0
    .max_flat_workgroup_size: 128
    .name:           _ZN7rocprim17ROCPRIM_400000_NS6detail17trampoline_kernelINS0_14default_configENS1_25partition_config_selectorILNS1_17partition_subalgoE9EllbEEZZNS1_14partition_implILS5_9ELb0ES3_jPlS8_PNS0_10empty_typeENS0_5tupleIJS8_S9_EEENSB_IJS8_SA_EEENS0_18inequality_wrapperIZN2at6native12_GLOBAL__N_124unique_dim_cuda_templateItEESt5tupleIJNSF_6TensorESK_SK_EERKSK_lbbbEUlllE0_EEPmJS9_EEE10hipError_tPvRmT3_T4_T5_T6_T7_T9_mT8_P12ihipStream_tbDpT10_ENKUlT_T0_E_clISt17integral_constantIbLb0EES1A_EEDaS15_S16_EUlS15_E_NS1_11comp_targetILNS1_3genE0ELNS1_11target_archE4294967295ELNS1_3gpuE0ELNS1_3repE0EEENS1_30default_config_static_selectorELNS0_4arch9wavefront6targetE0EEEvT1_
    .private_segment_fixed_size: 0
    .sgpr_count:     34
    .sgpr_spill_count: 0
    .symbol:         _ZN7rocprim17ROCPRIM_400000_NS6detail17trampoline_kernelINS0_14default_configENS1_25partition_config_selectorILNS1_17partition_subalgoE9EllbEEZZNS1_14partition_implILS5_9ELb0ES3_jPlS8_PNS0_10empty_typeENS0_5tupleIJS8_S9_EEENSB_IJS8_SA_EEENS0_18inequality_wrapperIZN2at6native12_GLOBAL__N_124unique_dim_cuda_templateItEESt5tupleIJNSF_6TensorESK_SK_EERKSK_lbbbEUlllE0_EEPmJS9_EEE10hipError_tPvRmT3_T4_T5_T6_T7_T9_mT8_P12ihipStream_tbDpT10_ENKUlT_T0_E_clISt17integral_constantIbLb0EES1A_EEDaS15_S16_EUlS15_E_NS1_11comp_targetILNS1_3genE0ELNS1_11target_archE4294967295ELNS1_3gpuE0ELNS1_3repE0EEENS1_30default_config_static_selectorELNS0_4arch9wavefront6targetE0EEEvT1_.kd
    .uniform_work_group_size: 1
    .uses_dynamic_stack: false
    .vgpr_count:     56
    .vgpr_spill_count: 0
    .wavefront_size: 32
  - .args:
      - .offset:         0
        .size:           120
        .value_kind:     by_value
    .group_segment_fixed_size: 0
    .kernarg_segment_align: 8
    .kernarg_segment_size: 120
    .language:       OpenCL C
    .language_version:
      - 2
      - 0
    .max_flat_workgroup_size: 512
    .name:           _ZN7rocprim17ROCPRIM_400000_NS6detail17trampoline_kernelINS0_14default_configENS1_25partition_config_selectorILNS1_17partition_subalgoE9EllbEEZZNS1_14partition_implILS5_9ELb0ES3_jPlS8_PNS0_10empty_typeENS0_5tupleIJS8_S9_EEENSB_IJS8_SA_EEENS0_18inequality_wrapperIZN2at6native12_GLOBAL__N_124unique_dim_cuda_templateItEESt5tupleIJNSF_6TensorESK_SK_EERKSK_lbbbEUlllE0_EEPmJS9_EEE10hipError_tPvRmT3_T4_T5_T6_T7_T9_mT8_P12ihipStream_tbDpT10_ENKUlT_T0_E_clISt17integral_constantIbLb0EES1A_EEDaS15_S16_EUlS15_E_NS1_11comp_targetILNS1_3genE5ELNS1_11target_archE942ELNS1_3gpuE9ELNS1_3repE0EEENS1_30default_config_static_selectorELNS0_4arch9wavefront6targetE0EEEvT1_
    .private_segment_fixed_size: 0
    .sgpr_count:     0
    .sgpr_spill_count: 0
    .symbol:         _ZN7rocprim17ROCPRIM_400000_NS6detail17trampoline_kernelINS0_14default_configENS1_25partition_config_selectorILNS1_17partition_subalgoE9EllbEEZZNS1_14partition_implILS5_9ELb0ES3_jPlS8_PNS0_10empty_typeENS0_5tupleIJS8_S9_EEENSB_IJS8_SA_EEENS0_18inequality_wrapperIZN2at6native12_GLOBAL__N_124unique_dim_cuda_templateItEESt5tupleIJNSF_6TensorESK_SK_EERKSK_lbbbEUlllE0_EEPmJS9_EEE10hipError_tPvRmT3_T4_T5_T6_T7_T9_mT8_P12ihipStream_tbDpT10_ENKUlT_T0_E_clISt17integral_constantIbLb0EES1A_EEDaS15_S16_EUlS15_E_NS1_11comp_targetILNS1_3genE5ELNS1_11target_archE942ELNS1_3gpuE9ELNS1_3repE0EEENS1_30default_config_static_selectorELNS0_4arch9wavefront6targetE0EEEvT1_.kd
    .uniform_work_group_size: 1
    .uses_dynamic_stack: false
    .vgpr_count:     0
    .vgpr_spill_count: 0
    .wavefront_size: 32
  - .args:
      - .offset:         0
        .size:           120
        .value_kind:     by_value
    .group_segment_fixed_size: 0
    .kernarg_segment_align: 8
    .kernarg_segment_size: 120
    .language:       OpenCL C
    .language_version:
      - 2
      - 0
    .max_flat_workgroup_size: 128
    .name:           _ZN7rocprim17ROCPRIM_400000_NS6detail17trampoline_kernelINS0_14default_configENS1_25partition_config_selectorILNS1_17partition_subalgoE9EllbEEZZNS1_14partition_implILS5_9ELb0ES3_jPlS8_PNS0_10empty_typeENS0_5tupleIJS8_S9_EEENSB_IJS8_SA_EEENS0_18inequality_wrapperIZN2at6native12_GLOBAL__N_124unique_dim_cuda_templateItEESt5tupleIJNSF_6TensorESK_SK_EERKSK_lbbbEUlllE0_EEPmJS9_EEE10hipError_tPvRmT3_T4_T5_T6_T7_T9_mT8_P12ihipStream_tbDpT10_ENKUlT_T0_E_clISt17integral_constantIbLb0EES1A_EEDaS15_S16_EUlS15_E_NS1_11comp_targetILNS1_3genE4ELNS1_11target_archE910ELNS1_3gpuE8ELNS1_3repE0EEENS1_30default_config_static_selectorELNS0_4arch9wavefront6targetE0EEEvT1_
    .private_segment_fixed_size: 0
    .sgpr_count:     0
    .sgpr_spill_count: 0
    .symbol:         _ZN7rocprim17ROCPRIM_400000_NS6detail17trampoline_kernelINS0_14default_configENS1_25partition_config_selectorILNS1_17partition_subalgoE9EllbEEZZNS1_14partition_implILS5_9ELb0ES3_jPlS8_PNS0_10empty_typeENS0_5tupleIJS8_S9_EEENSB_IJS8_SA_EEENS0_18inequality_wrapperIZN2at6native12_GLOBAL__N_124unique_dim_cuda_templateItEESt5tupleIJNSF_6TensorESK_SK_EERKSK_lbbbEUlllE0_EEPmJS9_EEE10hipError_tPvRmT3_T4_T5_T6_T7_T9_mT8_P12ihipStream_tbDpT10_ENKUlT_T0_E_clISt17integral_constantIbLb0EES1A_EEDaS15_S16_EUlS15_E_NS1_11comp_targetILNS1_3genE4ELNS1_11target_archE910ELNS1_3gpuE8ELNS1_3repE0EEENS1_30default_config_static_selectorELNS0_4arch9wavefront6targetE0EEEvT1_.kd
    .uniform_work_group_size: 1
    .uses_dynamic_stack: false
    .vgpr_count:     0
    .vgpr_spill_count: 0
    .wavefront_size: 32
  - .args:
      - .offset:         0
        .size:           120
        .value_kind:     by_value
    .group_segment_fixed_size: 0
    .kernarg_segment_align: 8
    .kernarg_segment_size: 120
    .language:       OpenCL C
    .language_version:
      - 2
      - 0
    .max_flat_workgroup_size: 128
    .name:           _ZN7rocprim17ROCPRIM_400000_NS6detail17trampoline_kernelINS0_14default_configENS1_25partition_config_selectorILNS1_17partition_subalgoE9EllbEEZZNS1_14partition_implILS5_9ELb0ES3_jPlS8_PNS0_10empty_typeENS0_5tupleIJS8_S9_EEENSB_IJS8_SA_EEENS0_18inequality_wrapperIZN2at6native12_GLOBAL__N_124unique_dim_cuda_templateItEESt5tupleIJNSF_6TensorESK_SK_EERKSK_lbbbEUlllE0_EEPmJS9_EEE10hipError_tPvRmT3_T4_T5_T6_T7_T9_mT8_P12ihipStream_tbDpT10_ENKUlT_T0_E_clISt17integral_constantIbLb0EES1A_EEDaS15_S16_EUlS15_E_NS1_11comp_targetILNS1_3genE3ELNS1_11target_archE908ELNS1_3gpuE7ELNS1_3repE0EEENS1_30default_config_static_selectorELNS0_4arch9wavefront6targetE0EEEvT1_
    .private_segment_fixed_size: 0
    .sgpr_count:     0
    .sgpr_spill_count: 0
    .symbol:         _ZN7rocprim17ROCPRIM_400000_NS6detail17trampoline_kernelINS0_14default_configENS1_25partition_config_selectorILNS1_17partition_subalgoE9EllbEEZZNS1_14partition_implILS5_9ELb0ES3_jPlS8_PNS0_10empty_typeENS0_5tupleIJS8_S9_EEENSB_IJS8_SA_EEENS0_18inequality_wrapperIZN2at6native12_GLOBAL__N_124unique_dim_cuda_templateItEESt5tupleIJNSF_6TensorESK_SK_EERKSK_lbbbEUlllE0_EEPmJS9_EEE10hipError_tPvRmT3_T4_T5_T6_T7_T9_mT8_P12ihipStream_tbDpT10_ENKUlT_T0_E_clISt17integral_constantIbLb0EES1A_EEDaS15_S16_EUlS15_E_NS1_11comp_targetILNS1_3genE3ELNS1_11target_archE908ELNS1_3gpuE7ELNS1_3repE0EEENS1_30default_config_static_selectorELNS0_4arch9wavefront6targetE0EEEvT1_.kd
    .uniform_work_group_size: 1
    .uses_dynamic_stack: false
    .vgpr_count:     0
    .vgpr_spill_count: 0
    .wavefront_size: 32
  - .args:
      - .offset:         0
        .size:           120
        .value_kind:     by_value
    .group_segment_fixed_size: 0
    .kernarg_segment_align: 8
    .kernarg_segment_size: 120
    .language:       OpenCL C
    .language_version:
      - 2
      - 0
    .max_flat_workgroup_size: 192
    .name:           _ZN7rocprim17ROCPRIM_400000_NS6detail17trampoline_kernelINS0_14default_configENS1_25partition_config_selectorILNS1_17partition_subalgoE9EllbEEZZNS1_14partition_implILS5_9ELb0ES3_jPlS8_PNS0_10empty_typeENS0_5tupleIJS8_S9_EEENSB_IJS8_SA_EEENS0_18inequality_wrapperIZN2at6native12_GLOBAL__N_124unique_dim_cuda_templateItEESt5tupleIJNSF_6TensorESK_SK_EERKSK_lbbbEUlllE0_EEPmJS9_EEE10hipError_tPvRmT3_T4_T5_T6_T7_T9_mT8_P12ihipStream_tbDpT10_ENKUlT_T0_E_clISt17integral_constantIbLb0EES1A_EEDaS15_S16_EUlS15_E_NS1_11comp_targetILNS1_3genE2ELNS1_11target_archE906ELNS1_3gpuE6ELNS1_3repE0EEENS1_30default_config_static_selectorELNS0_4arch9wavefront6targetE0EEEvT1_
    .private_segment_fixed_size: 0
    .sgpr_count:     0
    .sgpr_spill_count: 0
    .symbol:         _ZN7rocprim17ROCPRIM_400000_NS6detail17trampoline_kernelINS0_14default_configENS1_25partition_config_selectorILNS1_17partition_subalgoE9EllbEEZZNS1_14partition_implILS5_9ELb0ES3_jPlS8_PNS0_10empty_typeENS0_5tupleIJS8_S9_EEENSB_IJS8_SA_EEENS0_18inequality_wrapperIZN2at6native12_GLOBAL__N_124unique_dim_cuda_templateItEESt5tupleIJNSF_6TensorESK_SK_EERKSK_lbbbEUlllE0_EEPmJS9_EEE10hipError_tPvRmT3_T4_T5_T6_T7_T9_mT8_P12ihipStream_tbDpT10_ENKUlT_T0_E_clISt17integral_constantIbLb0EES1A_EEDaS15_S16_EUlS15_E_NS1_11comp_targetILNS1_3genE2ELNS1_11target_archE906ELNS1_3gpuE6ELNS1_3repE0EEENS1_30default_config_static_selectorELNS0_4arch9wavefront6targetE0EEEvT1_.kd
    .uniform_work_group_size: 1
    .uses_dynamic_stack: false
    .vgpr_count:     0
    .vgpr_spill_count: 0
    .wavefront_size: 32
  - .args:
      - .offset:         0
        .size:           120
        .value_kind:     by_value
    .group_segment_fixed_size: 0
    .kernarg_segment_align: 8
    .kernarg_segment_size: 120
    .language:       OpenCL C
    .language_version:
      - 2
      - 0
    .max_flat_workgroup_size: 384
    .name:           _ZN7rocprim17ROCPRIM_400000_NS6detail17trampoline_kernelINS0_14default_configENS1_25partition_config_selectorILNS1_17partition_subalgoE9EllbEEZZNS1_14partition_implILS5_9ELb0ES3_jPlS8_PNS0_10empty_typeENS0_5tupleIJS8_S9_EEENSB_IJS8_SA_EEENS0_18inequality_wrapperIZN2at6native12_GLOBAL__N_124unique_dim_cuda_templateItEESt5tupleIJNSF_6TensorESK_SK_EERKSK_lbbbEUlllE0_EEPmJS9_EEE10hipError_tPvRmT3_T4_T5_T6_T7_T9_mT8_P12ihipStream_tbDpT10_ENKUlT_T0_E_clISt17integral_constantIbLb0EES1A_EEDaS15_S16_EUlS15_E_NS1_11comp_targetILNS1_3genE10ELNS1_11target_archE1200ELNS1_3gpuE4ELNS1_3repE0EEENS1_30default_config_static_selectorELNS0_4arch9wavefront6targetE0EEEvT1_
    .private_segment_fixed_size: 0
    .sgpr_count:     0
    .sgpr_spill_count: 0
    .symbol:         _ZN7rocprim17ROCPRIM_400000_NS6detail17trampoline_kernelINS0_14default_configENS1_25partition_config_selectorILNS1_17partition_subalgoE9EllbEEZZNS1_14partition_implILS5_9ELb0ES3_jPlS8_PNS0_10empty_typeENS0_5tupleIJS8_S9_EEENSB_IJS8_SA_EEENS0_18inequality_wrapperIZN2at6native12_GLOBAL__N_124unique_dim_cuda_templateItEESt5tupleIJNSF_6TensorESK_SK_EERKSK_lbbbEUlllE0_EEPmJS9_EEE10hipError_tPvRmT3_T4_T5_T6_T7_T9_mT8_P12ihipStream_tbDpT10_ENKUlT_T0_E_clISt17integral_constantIbLb0EES1A_EEDaS15_S16_EUlS15_E_NS1_11comp_targetILNS1_3genE10ELNS1_11target_archE1200ELNS1_3gpuE4ELNS1_3repE0EEENS1_30default_config_static_selectorELNS0_4arch9wavefront6targetE0EEEvT1_.kd
    .uniform_work_group_size: 1
    .uses_dynamic_stack: false
    .vgpr_count:     0
    .vgpr_spill_count: 0
    .wavefront_size: 32
  - .args:
      - .offset:         0
        .size:           120
        .value_kind:     by_value
    .group_segment_fixed_size: 0
    .kernarg_segment_align: 8
    .kernarg_segment_size: 120
    .language:       OpenCL C
    .language_version:
      - 2
      - 0
    .max_flat_workgroup_size: 512
    .name:           _ZN7rocprim17ROCPRIM_400000_NS6detail17trampoline_kernelINS0_14default_configENS1_25partition_config_selectorILNS1_17partition_subalgoE9EllbEEZZNS1_14partition_implILS5_9ELb0ES3_jPlS8_PNS0_10empty_typeENS0_5tupleIJS8_S9_EEENSB_IJS8_SA_EEENS0_18inequality_wrapperIZN2at6native12_GLOBAL__N_124unique_dim_cuda_templateItEESt5tupleIJNSF_6TensorESK_SK_EERKSK_lbbbEUlllE0_EEPmJS9_EEE10hipError_tPvRmT3_T4_T5_T6_T7_T9_mT8_P12ihipStream_tbDpT10_ENKUlT_T0_E_clISt17integral_constantIbLb0EES1A_EEDaS15_S16_EUlS15_E_NS1_11comp_targetILNS1_3genE9ELNS1_11target_archE1100ELNS1_3gpuE3ELNS1_3repE0EEENS1_30default_config_static_selectorELNS0_4arch9wavefront6targetE0EEEvT1_
    .private_segment_fixed_size: 0
    .sgpr_count:     0
    .sgpr_spill_count: 0
    .symbol:         _ZN7rocprim17ROCPRIM_400000_NS6detail17trampoline_kernelINS0_14default_configENS1_25partition_config_selectorILNS1_17partition_subalgoE9EllbEEZZNS1_14partition_implILS5_9ELb0ES3_jPlS8_PNS0_10empty_typeENS0_5tupleIJS8_S9_EEENSB_IJS8_SA_EEENS0_18inequality_wrapperIZN2at6native12_GLOBAL__N_124unique_dim_cuda_templateItEESt5tupleIJNSF_6TensorESK_SK_EERKSK_lbbbEUlllE0_EEPmJS9_EEE10hipError_tPvRmT3_T4_T5_T6_T7_T9_mT8_P12ihipStream_tbDpT10_ENKUlT_T0_E_clISt17integral_constantIbLb0EES1A_EEDaS15_S16_EUlS15_E_NS1_11comp_targetILNS1_3genE9ELNS1_11target_archE1100ELNS1_3gpuE3ELNS1_3repE0EEENS1_30default_config_static_selectorELNS0_4arch9wavefront6targetE0EEEvT1_.kd
    .uniform_work_group_size: 1
    .uses_dynamic_stack: false
    .vgpr_count:     0
    .vgpr_spill_count: 0
    .wavefront_size: 32
  - .args:
      - .offset:         0
        .size:           120
        .value_kind:     by_value
    .group_segment_fixed_size: 0
    .kernarg_segment_align: 8
    .kernarg_segment_size: 120
    .language:       OpenCL C
    .language_version:
      - 2
      - 0
    .max_flat_workgroup_size: 512
    .name:           _ZN7rocprim17ROCPRIM_400000_NS6detail17trampoline_kernelINS0_14default_configENS1_25partition_config_selectorILNS1_17partition_subalgoE9EllbEEZZNS1_14partition_implILS5_9ELb0ES3_jPlS8_PNS0_10empty_typeENS0_5tupleIJS8_S9_EEENSB_IJS8_SA_EEENS0_18inequality_wrapperIZN2at6native12_GLOBAL__N_124unique_dim_cuda_templateItEESt5tupleIJNSF_6TensorESK_SK_EERKSK_lbbbEUlllE0_EEPmJS9_EEE10hipError_tPvRmT3_T4_T5_T6_T7_T9_mT8_P12ihipStream_tbDpT10_ENKUlT_T0_E_clISt17integral_constantIbLb0EES1A_EEDaS15_S16_EUlS15_E_NS1_11comp_targetILNS1_3genE8ELNS1_11target_archE1030ELNS1_3gpuE2ELNS1_3repE0EEENS1_30default_config_static_selectorELNS0_4arch9wavefront6targetE0EEEvT1_
    .private_segment_fixed_size: 0
    .sgpr_count:     0
    .sgpr_spill_count: 0
    .symbol:         _ZN7rocprim17ROCPRIM_400000_NS6detail17trampoline_kernelINS0_14default_configENS1_25partition_config_selectorILNS1_17partition_subalgoE9EllbEEZZNS1_14partition_implILS5_9ELb0ES3_jPlS8_PNS0_10empty_typeENS0_5tupleIJS8_S9_EEENSB_IJS8_SA_EEENS0_18inequality_wrapperIZN2at6native12_GLOBAL__N_124unique_dim_cuda_templateItEESt5tupleIJNSF_6TensorESK_SK_EERKSK_lbbbEUlllE0_EEPmJS9_EEE10hipError_tPvRmT3_T4_T5_T6_T7_T9_mT8_P12ihipStream_tbDpT10_ENKUlT_T0_E_clISt17integral_constantIbLb0EES1A_EEDaS15_S16_EUlS15_E_NS1_11comp_targetILNS1_3genE8ELNS1_11target_archE1030ELNS1_3gpuE2ELNS1_3repE0EEENS1_30default_config_static_selectorELNS0_4arch9wavefront6targetE0EEEvT1_.kd
    .uniform_work_group_size: 1
    .uses_dynamic_stack: false
    .vgpr_count:     0
    .vgpr_spill_count: 0
    .wavefront_size: 32
  - .args:
      - .offset:         0
        .size:           136
        .value_kind:     by_value
    .group_segment_fixed_size: 0
    .kernarg_segment_align: 8
    .kernarg_segment_size: 136
    .language:       OpenCL C
    .language_version:
      - 2
      - 0
    .max_flat_workgroup_size: 128
    .name:           _ZN7rocprim17ROCPRIM_400000_NS6detail17trampoline_kernelINS0_14default_configENS1_25partition_config_selectorILNS1_17partition_subalgoE9EllbEEZZNS1_14partition_implILS5_9ELb0ES3_jPlS8_PNS0_10empty_typeENS0_5tupleIJS8_S9_EEENSB_IJS8_SA_EEENS0_18inequality_wrapperIZN2at6native12_GLOBAL__N_124unique_dim_cuda_templateItEESt5tupleIJNSF_6TensorESK_SK_EERKSK_lbbbEUlllE0_EEPmJS9_EEE10hipError_tPvRmT3_T4_T5_T6_T7_T9_mT8_P12ihipStream_tbDpT10_ENKUlT_T0_E_clISt17integral_constantIbLb1EES1A_EEDaS15_S16_EUlS15_E_NS1_11comp_targetILNS1_3genE0ELNS1_11target_archE4294967295ELNS1_3gpuE0ELNS1_3repE0EEENS1_30default_config_static_selectorELNS0_4arch9wavefront6targetE0EEEvT1_
    .private_segment_fixed_size: 0
    .sgpr_count:     0
    .sgpr_spill_count: 0
    .symbol:         _ZN7rocprim17ROCPRIM_400000_NS6detail17trampoline_kernelINS0_14default_configENS1_25partition_config_selectorILNS1_17partition_subalgoE9EllbEEZZNS1_14partition_implILS5_9ELb0ES3_jPlS8_PNS0_10empty_typeENS0_5tupleIJS8_S9_EEENSB_IJS8_SA_EEENS0_18inequality_wrapperIZN2at6native12_GLOBAL__N_124unique_dim_cuda_templateItEESt5tupleIJNSF_6TensorESK_SK_EERKSK_lbbbEUlllE0_EEPmJS9_EEE10hipError_tPvRmT3_T4_T5_T6_T7_T9_mT8_P12ihipStream_tbDpT10_ENKUlT_T0_E_clISt17integral_constantIbLb1EES1A_EEDaS15_S16_EUlS15_E_NS1_11comp_targetILNS1_3genE0ELNS1_11target_archE4294967295ELNS1_3gpuE0ELNS1_3repE0EEENS1_30default_config_static_selectorELNS0_4arch9wavefront6targetE0EEEvT1_.kd
    .uniform_work_group_size: 1
    .uses_dynamic_stack: false
    .vgpr_count:     0
    .vgpr_spill_count: 0
    .wavefront_size: 32
  - .args:
      - .offset:         0
        .size:           136
        .value_kind:     by_value
    .group_segment_fixed_size: 0
    .kernarg_segment_align: 8
    .kernarg_segment_size: 136
    .language:       OpenCL C
    .language_version:
      - 2
      - 0
    .max_flat_workgroup_size: 512
    .name:           _ZN7rocprim17ROCPRIM_400000_NS6detail17trampoline_kernelINS0_14default_configENS1_25partition_config_selectorILNS1_17partition_subalgoE9EllbEEZZNS1_14partition_implILS5_9ELb0ES3_jPlS8_PNS0_10empty_typeENS0_5tupleIJS8_S9_EEENSB_IJS8_SA_EEENS0_18inequality_wrapperIZN2at6native12_GLOBAL__N_124unique_dim_cuda_templateItEESt5tupleIJNSF_6TensorESK_SK_EERKSK_lbbbEUlllE0_EEPmJS9_EEE10hipError_tPvRmT3_T4_T5_T6_T7_T9_mT8_P12ihipStream_tbDpT10_ENKUlT_T0_E_clISt17integral_constantIbLb1EES1A_EEDaS15_S16_EUlS15_E_NS1_11comp_targetILNS1_3genE5ELNS1_11target_archE942ELNS1_3gpuE9ELNS1_3repE0EEENS1_30default_config_static_selectorELNS0_4arch9wavefront6targetE0EEEvT1_
    .private_segment_fixed_size: 0
    .sgpr_count:     0
    .sgpr_spill_count: 0
    .symbol:         _ZN7rocprim17ROCPRIM_400000_NS6detail17trampoline_kernelINS0_14default_configENS1_25partition_config_selectorILNS1_17partition_subalgoE9EllbEEZZNS1_14partition_implILS5_9ELb0ES3_jPlS8_PNS0_10empty_typeENS0_5tupleIJS8_S9_EEENSB_IJS8_SA_EEENS0_18inequality_wrapperIZN2at6native12_GLOBAL__N_124unique_dim_cuda_templateItEESt5tupleIJNSF_6TensorESK_SK_EERKSK_lbbbEUlllE0_EEPmJS9_EEE10hipError_tPvRmT3_T4_T5_T6_T7_T9_mT8_P12ihipStream_tbDpT10_ENKUlT_T0_E_clISt17integral_constantIbLb1EES1A_EEDaS15_S16_EUlS15_E_NS1_11comp_targetILNS1_3genE5ELNS1_11target_archE942ELNS1_3gpuE9ELNS1_3repE0EEENS1_30default_config_static_selectorELNS0_4arch9wavefront6targetE0EEEvT1_.kd
    .uniform_work_group_size: 1
    .uses_dynamic_stack: false
    .vgpr_count:     0
    .vgpr_spill_count: 0
    .wavefront_size: 32
  - .args:
      - .offset:         0
        .size:           136
        .value_kind:     by_value
    .group_segment_fixed_size: 0
    .kernarg_segment_align: 8
    .kernarg_segment_size: 136
    .language:       OpenCL C
    .language_version:
      - 2
      - 0
    .max_flat_workgroup_size: 128
    .name:           _ZN7rocprim17ROCPRIM_400000_NS6detail17trampoline_kernelINS0_14default_configENS1_25partition_config_selectorILNS1_17partition_subalgoE9EllbEEZZNS1_14partition_implILS5_9ELb0ES3_jPlS8_PNS0_10empty_typeENS0_5tupleIJS8_S9_EEENSB_IJS8_SA_EEENS0_18inequality_wrapperIZN2at6native12_GLOBAL__N_124unique_dim_cuda_templateItEESt5tupleIJNSF_6TensorESK_SK_EERKSK_lbbbEUlllE0_EEPmJS9_EEE10hipError_tPvRmT3_T4_T5_T6_T7_T9_mT8_P12ihipStream_tbDpT10_ENKUlT_T0_E_clISt17integral_constantIbLb1EES1A_EEDaS15_S16_EUlS15_E_NS1_11comp_targetILNS1_3genE4ELNS1_11target_archE910ELNS1_3gpuE8ELNS1_3repE0EEENS1_30default_config_static_selectorELNS0_4arch9wavefront6targetE0EEEvT1_
    .private_segment_fixed_size: 0
    .sgpr_count:     0
    .sgpr_spill_count: 0
    .symbol:         _ZN7rocprim17ROCPRIM_400000_NS6detail17trampoline_kernelINS0_14default_configENS1_25partition_config_selectorILNS1_17partition_subalgoE9EllbEEZZNS1_14partition_implILS5_9ELb0ES3_jPlS8_PNS0_10empty_typeENS0_5tupleIJS8_S9_EEENSB_IJS8_SA_EEENS0_18inequality_wrapperIZN2at6native12_GLOBAL__N_124unique_dim_cuda_templateItEESt5tupleIJNSF_6TensorESK_SK_EERKSK_lbbbEUlllE0_EEPmJS9_EEE10hipError_tPvRmT3_T4_T5_T6_T7_T9_mT8_P12ihipStream_tbDpT10_ENKUlT_T0_E_clISt17integral_constantIbLb1EES1A_EEDaS15_S16_EUlS15_E_NS1_11comp_targetILNS1_3genE4ELNS1_11target_archE910ELNS1_3gpuE8ELNS1_3repE0EEENS1_30default_config_static_selectorELNS0_4arch9wavefront6targetE0EEEvT1_.kd
    .uniform_work_group_size: 1
    .uses_dynamic_stack: false
    .vgpr_count:     0
    .vgpr_spill_count: 0
    .wavefront_size: 32
  - .args:
      - .offset:         0
        .size:           136
        .value_kind:     by_value
    .group_segment_fixed_size: 0
    .kernarg_segment_align: 8
    .kernarg_segment_size: 136
    .language:       OpenCL C
    .language_version:
      - 2
      - 0
    .max_flat_workgroup_size: 128
    .name:           _ZN7rocprim17ROCPRIM_400000_NS6detail17trampoline_kernelINS0_14default_configENS1_25partition_config_selectorILNS1_17partition_subalgoE9EllbEEZZNS1_14partition_implILS5_9ELb0ES3_jPlS8_PNS0_10empty_typeENS0_5tupleIJS8_S9_EEENSB_IJS8_SA_EEENS0_18inequality_wrapperIZN2at6native12_GLOBAL__N_124unique_dim_cuda_templateItEESt5tupleIJNSF_6TensorESK_SK_EERKSK_lbbbEUlllE0_EEPmJS9_EEE10hipError_tPvRmT3_T4_T5_T6_T7_T9_mT8_P12ihipStream_tbDpT10_ENKUlT_T0_E_clISt17integral_constantIbLb1EES1A_EEDaS15_S16_EUlS15_E_NS1_11comp_targetILNS1_3genE3ELNS1_11target_archE908ELNS1_3gpuE7ELNS1_3repE0EEENS1_30default_config_static_selectorELNS0_4arch9wavefront6targetE0EEEvT1_
    .private_segment_fixed_size: 0
    .sgpr_count:     0
    .sgpr_spill_count: 0
    .symbol:         _ZN7rocprim17ROCPRIM_400000_NS6detail17trampoline_kernelINS0_14default_configENS1_25partition_config_selectorILNS1_17partition_subalgoE9EllbEEZZNS1_14partition_implILS5_9ELb0ES3_jPlS8_PNS0_10empty_typeENS0_5tupleIJS8_S9_EEENSB_IJS8_SA_EEENS0_18inequality_wrapperIZN2at6native12_GLOBAL__N_124unique_dim_cuda_templateItEESt5tupleIJNSF_6TensorESK_SK_EERKSK_lbbbEUlllE0_EEPmJS9_EEE10hipError_tPvRmT3_T4_T5_T6_T7_T9_mT8_P12ihipStream_tbDpT10_ENKUlT_T0_E_clISt17integral_constantIbLb1EES1A_EEDaS15_S16_EUlS15_E_NS1_11comp_targetILNS1_3genE3ELNS1_11target_archE908ELNS1_3gpuE7ELNS1_3repE0EEENS1_30default_config_static_selectorELNS0_4arch9wavefront6targetE0EEEvT1_.kd
    .uniform_work_group_size: 1
    .uses_dynamic_stack: false
    .vgpr_count:     0
    .vgpr_spill_count: 0
    .wavefront_size: 32
  - .args:
      - .offset:         0
        .size:           136
        .value_kind:     by_value
    .group_segment_fixed_size: 0
    .kernarg_segment_align: 8
    .kernarg_segment_size: 136
    .language:       OpenCL C
    .language_version:
      - 2
      - 0
    .max_flat_workgroup_size: 192
    .name:           _ZN7rocprim17ROCPRIM_400000_NS6detail17trampoline_kernelINS0_14default_configENS1_25partition_config_selectorILNS1_17partition_subalgoE9EllbEEZZNS1_14partition_implILS5_9ELb0ES3_jPlS8_PNS0_10empty_typeENS0_5tupleIJS8_S9_EEENSB_IJS8_SA_EEENS0_18inequality_wrapperIZN2at6native12_GLOBAL__N_124unique_dim_cuda_templateItEESt5tupleIJNSF_6TensorESK_SK_EERKSK_lbbbEUlllE0_EEPmJS9_EEE10hipError_tPvRmT3_T4_T5_T6_T7_T9_mT8_P12ihipStream_tbDpT10_ENKUlT_T0_E_clISt17integral_constantIbLb1EES1A_EEDaS15_S16_EUlS15_E_NS1_11comp_targetILNS1_3genE2ELNS1_11target_archE906ELNS1_3gpuE6ELNS1_3repE0EEENS1_30default_config_static_selectorELNS0_4arch9wavefront6targetE0EEEvT1_
    .private_segment_fixed_size: 0
    .sgpr_count:     0
    .sgpr_spill_count: 0
    .symbol:         _ZN7rocprim17ROCPRIM_400000_NS6detail17trampoline_kernelINS0_14default_configENS1_25partition_config_selectorILNS1_17partition_subalgoE9EllbEEZZNS1_14partition_implILS5_9ELb0ES3_jPlS8_PNS0_10empty_typeENS0_5tupleIJS8_S9_EEENSB_IJS8_SA_EEENS0_18inequality_wrapperIZN2at6native12_GLOBAL__N_124unique_dim_cuda_templateItEESt5tupleIJNSF_6TensorESK_SK_EERKSK_lbbbEUlllE0_EEPmJS9_EEE10hipError_tPvRmT3_T4_T5_T6_T7_T9_mT8_P12ihipStream_tbDpT10_ENKUlT_T0_E_clISt17integral_constantIbLb1EES1A_EEDaS15_S16_EUlS15_E_NS1_11comp_targetILNS1_3genE2ELNS1_11target_archE906ELNS1_3gpuE6ELNS1_3repE0EEENS1_30default_config_static_selectorELNS0_4arch9wavefront6targetE0EEEvT1_.kd
    .uniform_work_group_size: 1
    .uses_dynamic_stack: false
    .vgpr_count:     0
    .vgpr_spill_count: 0
    .wavefront_size: 32
  - .args:
      - .offset:         0
        .size:           136
        .value_kind:     by_value
    .group_segment_fixed_size: 0
    .kernarg_segment_align: 8
    .kernarg_segment_size: 136
    .language:       OpenCL C
    .language_version:
      - 2
      - 0
    .max_flat_workgroup_size: 384
    .name:           _ZN7rocprim17ROCPRIM_400000_NS6detail17trampoline_kernelINS0_14default_configENS1_25partition_config_selectorILNS1_17partition_subalgoE9EllbEEZZNS1_14partition_implILS5_9ELb0ES3_jPlS8_PNS0_10empty_typeENS0_5tupleIJS8_S9_EEENSB_IJS8_SA_EEENS0_18inequality_wrapperIZN2at6native12_GLOBAL__N_124unique_dim_cuda_templateItEESt5tupleIJNSF_6TensorESK_SK_EERKSK_lbbbEUlllE0_EEPmJS9_EEE10hipError_tPvRmT3_T4_T5_T6_T7_T9_mT8_P12ihipStream_tbDpT10_ENKUlT_T0_E_clISt17integral_constantIbLb1EES1A_EEDaS15_S16_EUlS15_E_NS1_11comp_targetILNS1_3genE10ELNS1_11target_archE1200ELNS1_3gpuE4ELNS1_3repE0EEENS1_30default_config_static_selectorELNS0_4arch9wavefront6targetE0EEEvT1_
    .private_segment_fixed_size: 0
    .sgpr_count:     0
    .sgpr_spill_count: 0
    .symbol:         _ZN7rocprim17ROCPRIM_400000_NS6detail17trampoline_kernelINS0_14default_configENS1_25partition_config_selectorILNS1_17partition_subalgoE9EllbEEZZNS1_14partition_implILS5_9ELb0ES3_jPlS8_PNS0_10empty_typeENS0_5tupleIJS8_S9_EEENSB_IJS8_SA_EEENS0_18inequality_wrapperIZN2at6native12_GLOBAL__N_124unique_dim_cuda_templateItEESt5tupleIJNSF_6TensorESK_SK_EERKSK_lbbbEUlllE0_EEPmJS9_EEE10hipError_tPvRmT3_T4_T5_T6_T7_T9_mT8_P12ihipStream_tbDpT10_ENKUlT_T0_E_clISt17integral_constantIbLb1EES1A_EEDaS15_S16_EUlS15_E_NS1_11comp_targetILNS1_3genE10ELNS1_11target_archE1200ELNS1_3gpuE4ELNS1_3repE0EEENS1_30default_config_static_selectorELNS0_4arch9wavefront6targetE0EEEvT1_.kd
    .uniform_work_group_size: 1
    .uses_dynamic_stack: false
    .vgpr_count:     0
    .vgpr_spill_count: 0
    .wavefront_size: 32
  - .args:
      - .offset:         0
        .size:           136
        .value_kind:     by_value
    .group_segment_fixed_size: 0
    .kernarg_segment_align: 8
    .kernarg_segment_size: 136
    .language:       OpenCL C
    .language_version:
      - 2
      - 0
    .max_flat_workgroup_size: 512
    .name:           _ZN7rocprim17ROCPRIM_400000_NS6detail17trampoline_kernelINS0_14default_configENS1_25partition_config_selectorILNS1_17partition_subalgoE9EllbEEZZNS1_14partition_implILS5_9ELb0ES3_jPlS8_PNS0_10empty_typeENS0_5tupleIJS8_S9_EEENSB_IJS8_SA_EEENS0_18inequality_wrapperIZN2at6native12_GLOBAL__N_124unique_dim_cuda_templateItEESt5tupleIJNSF_6TensorESK_SK_EERKSK_lbbbEUlllE0_EEPmJS9_EEE10hipError_tPvRmT3_T4_T5_T6_T7_T9_mT8_P12ihipStream_tbDpT10_ENKUlT_T0_E_clISt17integral_constantIbLb1EES1A_EEDaS15_S16_EUlS15_E_NS1_11comp_targetILNS1_3genE9ELNS1_11target_archE1100ELNS1_3gpuE3ELNS1_3repE0EEENS1_30default_config_static_selectorELNS0_4arch9wavefront6targetE0EEEvT1_
    .private_segment_fixed_size: 0
    .sgpr_count:     0
    .sgpr_spill_count: 0
    .symbol:         _ZN7rocprim17ROCPRIM_400000_NS6detail17trampoline_kernelINS0_14default_configENS1_25partition_config_selectorILNS1_17partition_subalgoE9EllbEEZZNS1_14partition_implILS5_9ELb0ES3_jPlS8_PNS0_10empty_typeENS0_5tupleIJS8_S9_EEENSB_IJS8_SA_EEENS0_18inequality_wrapperIZN2at6native12_GLOBAL__N_124unique_dim_cuda_templateItEESt5tupleIJNSF_6TensorESK_SK_EERKSK_lbbbEUlllE0_EEPmJS9_EEE10hipError_tPvRmT3_T4_T5_T6_T7_T9_mT8_P12ihipStream_tbDpT10_ENKUlT_T0_E_clISt17integral_constantIbLb1EES1A_EEDaS15_S16_EUlS15_E_NS1_11comp_targetILNS1_3genE9ELNS1_11target_archE1100ELNS1_3gpuE3ELNS1_3repE0EEENS1_30default_config_static_selectorELNS0_4arch9wavefront6targetE0EEEvT1_.kd
    .uniform_work_group_size: 1
    .uses_dynamic_stack: false
    .vgpr_count:     0
    .vgpr_spill_count: 0
    .wavefront_size: 32
  - .args:
      - .offset:         0
        .size:           136
        .value_kind:     by_value
    .group_segment_fixed_size: 0
    .kernarg_segment_align: 8
    .kernarg_segment_size: 136
    .language:       OpenCL C
    .language_version:
      - 2
      - 0
    .max_flat_workgroup_size: 512
    .name:           _ZN7rocprim17ROCPRIM_400000_NS6detail17trampoline_kernelINS0_14default_configENS1_25partition_config_selectorILNS1_17partition_subalgoE9EllbEEZZNS1_14partition_implILS5_9ELb0ES3_jPlS8_PNS0_10empty_typeENS0_5tupleIJS8_S9_EEENSB_IJS8_SA_EEENS0_18inequality_wrapperIZN2at6native12_GLOBAL__N_124unique_dim_cuda_templateItEESt5tupleIJNSF_6TensorESK_SK_EERKSK_lbbbEUlllE0_EEPmJS9_EEE10hipError_tPvRmT3_T4_T5_T6_T7_T9_mT8_P12ihipStream_tbDpT10_ENKUlT_T0_E_clISt17integral_constantIbLb1EES1A_EEDaS15_S16_EUlS15_E_NS1_11comp_targetILNS1_3genE8ELNS1_11target_archE1030ELNS1_3gpuE2ELNS1_3repE0EEENS1_30default_config_static_selectorELNS0_4arch9wavefront6targetE0EEEvT1_
    .private_segment_fixed_size: 0
    .sgpr_count:     0
    .sgpr_spill_count: 0
    .symbol:         _ZN7rocprim17ROCPRIM_400000_NS6detail17trampoline_kernelINS0_14default_configENS1_25partition_config_selectorILNS1_17partition_subalgoE9EllbEEZZNS1_14partition_implILS5_9ELb0ES3_jPlS8_PNS0_10empty_typeENS0_5tupleIJS8_S9_EEENSB_IJS8_SA_EEENS0_18inequality_wrapperIZN2at6native12_GLOBAL__N_124unique_dim_cuda_templateItEESt5tupleIJNSF_6TensorESK_SK_EERKSK_lbbbEUlllE0_EEPmJS9_EEE10hipError_tPvRmT3_T4_T5_T6_T7_T9_mT8_P12ihipStream_tbDpT10_ENKUlT_T0_E_clISt17integral_constantIbLb1EES1A_EEDaS15_S16_EUlS15_E_NS1_11comp_targetILNS1_3genE8ELNS1_11target_archE1030ELNS1_3gpuE2ELNS1_3repE0EEENS1_30default_config_static_selectorELNS0_4arch9wavefront6targetE0EEEvT1_.kd
    .uniform_work_group_size: 1
    .uses_dynamic_stack: false
    .vgpr_count:     0
    .vgpr_spill_count: 0
    .wavefront_size: 32
  - .args:
      - .offset:         0
        .size:           120
        .value_kind:     by_value
    .group_segment_fixed_size: 0
    .kernarg_segment_align: 8
    .kernarg_segment_size: 120
    .language:       OpenCL C
    .language_version:
      - 2
      - 0
    .max_flat_workgroup_size: 128
    .name:           _ZN7rocprim17ROCPRIM_400000_NS6detail17trampoline_kernelINS0_14default_configENS1_25partition_config_selectorILNS1_17partition_subalgoE9EllbEEZZNS1_14partition_implILS5_9ELb0ES3_jPlS8_PNS0_10empty_typeENS0_5tupleIJS8_S9_EEENSB_IJS8_SA_EEENS0_18inequality_wrapperIZN2at6native12_GLOBAL__N_124unique_dim_cuda_templateItEESt5tupleIJNSF_6TensorESK_SK_EERKSK_lbbbEUlllE0_EEPmJS9_EEE10hipError_tPvRmT3_T4_T5_T6_T7_T9_mT8_P12ihipStream_tbDpT10_ENKUlT_T0_E_clISt17integral_constantIbLb1EES19_IbLb0EEEEDaS15_S16_EUlS15_E_NS1_11comp_targetILNS1_3genE0ELNS1_11target_archE4294967295ELNS1_3gpuE0ELNS1_3repE0EEENS1_30default_config_static_selectorELNS0_4arch9wavefront6targetE0EEEvT1_
    .private_segment_fixed_size: 0
    .sgpr_count:     0
    .sgpr_spill_count: 0
    .symbol:         _ZN7rocprim17ROCPRIM_400000_NS6detail17trampoline_kernelINS0_14default_configENS1_25partition_config_selectorILNS1_17partition_subalgoE9EllbEEZZNS1_14partition_implILS5_9ELb0ES3_jPlS8_PNS0_10empty_typeENS0_5tupleIJS8_S9_EEENSB_IJS8_SA_EEENS0_18inequality_wrapperIZN2at6native12_GLOBAL__N_124unique_dim_cuda_templateItEESt5tupleIJNSF_6TensorESK_SK_EERKSK_lbbbEUlllE0_EEPmJS9_EEE10hipError_tPvRmT3_T4_T5_T6_T7_T9_mT8_P12ihipStream_tbDpT10_ENKUlT_T0_E_clISt17integral_constantIbLb1EES19_IbLb0EEEEDaS15_S16_EUlS15_E_NS1_11comp_targetILNS1_3genE0ELNS1_11target_archE4294967295ELNS1_3gpuE0ELNS1_3repE0EEENS1_30default_config_static_selectorELNS0_4arch9wavefront6targetE0EEEvT1_.kd
    .uniform_work_group_size: 1
    .uses_dynamic_stack: false
    .vgpr_count:     0
    .vgpr_spill_count: 0
    .wavefront_size: 32
  - .args:
      - .offset:         0
        .size:           120
        .value_kind:     by_value
    .group_segment_fixed_size: 0
    .kernarg_segment_align: 8
    .kernarg_segment_size: 120
    .language:       OpenCL C
    .language_version:
      - 2
      - 0
    .max_flat_workgroup_size: 512
    .name:           _ZN7rocprim17ROCPRIM_400000_NS6detail17trampoline_kernelINS0_14default_configENS1_25partition_config_selectorILNS1_17partition_subalgoE9EllbEEZZNS1_14partition_implILS5_9ELb0ES3_jPlS8_PNS0_10empty_typeENS0_5tupleIJS8_S9_EEENSB_IJS8_SA_EEENS0_18inequality_wrapperIZN2at6native12_GLOBAL__N_124unique_dim_cuda_templateItEESt5tupleIJNSF_6TensorESK_SK_EERKSK_lbbbEUlllE0_EEPmJS9_EEE10hipError_tPvRmT3_T4_T5_T6_T7_T9_mT8_P12ihipStream_tbDpT10_ENKUlT_T0_E_clISt17integral_constantIbLb1EES19_IbLb0EEEEDaS15_S16_EUlS15_E_NS1_11comp_targetILNS1_3genE5ELNS1_11target_archE942ELNS1_3gpuE9ELNS1_3repE0EEENS1_30default_config_static_selectorELNS0_4arch9wavefront6targetE0EEEvT1_
    .private_segment_fixed_size: 0
    .sgpr_count:     0
    .sgpr_spill_count: 0
    .symbol:         _ZN7rocprim17ROCPRIM_400000_NS6detail17trampoline_kernelINS0_14default_configENS1_25partition_config_selectorILNS1_17partition_subalgoE9EllbEEZZNS1_14partition_implILS5_9ELb0ES3_jPlS8_PNS0_10empty_typeENS0_5tupleIJS8_S9_EEENSB_IJS8_SA_EEENS0_18inequality_wrapperIZN2at6native12_GLOBAL__N_124unique_dim_cuda_templateItEESt5tupleIJNSF_6TensorESK_SK_EERKSK_lbbbEUlllE0_EEPmJS9_EEE10hipError_tPvRmT3_T4_T5_T6_T7_T9_mT8_P12ihipStream_tbDpT10_ENKUlT_T0_E_clISt17integral_constantIbLb1EES19_IbLb0EEEEDaS15_S16_EUlS15_E_NS1_11comp_targetILNS1_3genE5ELNS1_11target_archE942ELNS1_3gpuE9ELNS1_3repE0EEENS1_30default_config_static_selectorELNS0_4arch9wavefront6targetE0EEEvT1_.kd
    .uniform_work_group_size: 1
    .uses_dynamic_stack: false
    .vgpr_count:     0
    .vgpr_spill_count: 0
    .wavefront_size: 32
  - .args:
      - .offset:         0
        .size:           120
        .value_kind:     by_value
    .group_segment_fixed_size: 0
    .kernarg_segment_align: 8
    .kernarg_segment_size: 120
    .language:       OpenCL C
    .language_version:
      - 2
      - 0
    .max_flat_workgroup_size: 128
    .name:           _ZN7rocprim17ROCPRIM_400000_NS6detail17trampoline_kernelINS0_14default_configENS1_25partition_config_selectorILNS1_17partition_subalgoE9EllbEEZZNS1_14partition_implILS5_9ELb0ES3_jPlS8_PNS0_10empty_typeENS0_5tupleIJS8_S9_EEENSB_IJS8_SA_EEENS0_18inequality_wrapperIZN2at6native12_GLOBAL__N_124unique_dim_cuda_templateItEESt5tupleIJNSF_6TensorESK_SK_EERKSK_lbbbEUlllE0_EEPmJS9_EEE10hipError_tPvRmT3_T4_T5_T6_T7_T9_mT8_P12ihipStream_tbDpT10_ENKUlT_T0_E_clISt17integral_constantIbLb1EES19_IbLb0EEEEDaS15_S16_EUlS15_E_NS1_11comp_targetILNS1_3genE4ELNS1_11target_archE910ELNS1_3gpuE8ELNS1_3repE0EEENS1_30default_config_static_selectorELNS0_4arch9wavefront6targetE0EEEvT1_
    .private_segment_fixed_size: 0
    .sgpr_count:     0
    .sgpr_spill_count: 0
    .symbol:         _ZN7rocprim17ROCPRIM_400000_NS6detail17trampoline_kernelINS0_14default_configENS1_25partition_config_selectorILNS1_17partition_subalgoE9EllbEEZZNS1_14partition_implILS5_9ELb0ES3_jPlS8_PNS0_10empty_typeENS0_5tupleIJS8_S9_EEENSB_IJS8_SA_EEENS0_18inequality_wrapperIZN2at6native12_GLOBAL__N_124unique_dim_cuda_templateItEESt5tupleIJNSF_6TensorESK_SK_EERKSK_lbbbEUlllE0_EEPmJS9_EEE10hipError_tPvRmT3_T4_T5_T6_T7_T9_mT8_P12ihipStream_tbDpT10_ENKUlT_T0_E_clISt17integral_constantIbLb1EES19_IbLb0EEEEDaS15_S16_EUlS15_E_NS1_11comp_targetILNS1_3genE4ELNS1_11target_archE910ELNS1_3gpuE8ELNS1_3repE0EEENS1_30default_config_static_selectorELNS0_4arch9wavefront6targetE0EEEvT1_.kd
    .uniform_work_group_size: 1
    .uses_dynamic_stack: false
    .vgpr_count:     0
    .vgpr_spill_count: 0
    .wavefront_size: 32
  - .args:
      - .offset:         0
        .size:           120
        .value_kind:     by_value
    .group_segment_fixed_size: 0
    .kernarg_segment_align: 8
    .kernarg_segment_size: 120
    .language:       OpenCL C
    .language_version:
      - 2
      - 0
    .max_flat_workgroup_size: 128
    .name:           _ZN7rocprim17ROCPRIM_400000_NS6detail17trampoline_kernelINS0_14default_configENS1_25partition_config_selectorILNS1_17partition_subalgoE9EllbEEZZNS1_14partition_implILS5_9ELb0ES3_jPlS8_PNS0_10empty_typeENS0_5tupleIJS8_S9_EEENSB_IJS8_SA_EEENS0_18inequality_wrapperIZN2at6native12_GLOBAL__N_124unique_dim_cuda_templateItEESt5tupleIJNSF_6TensorESK_SK_EERKSK_lbbbEUlllE0_EEPmJS9_EEE10hipError_tPvRmT3_T4_T5_T6_T7_T9_mT8_P12ihipStream_tbDpT10_ENKUlT_T0_E_clISt17integral_constantIbLb1EES19_IbLb0EEEEDaS15_S16_EUlS15_E_NS1_11comp_targetILNS1_3genE3ELNS1_11target_archE908ELNS1_3gpuE7ELNS1_3repE0EEENS1_30default_config_static_selectorELNS0_4arch9wavefront6targetE0EEEvT1_
    .private_segment_fixed_size: 0
    .sgpr_count:     0
    .sgpr_spill_count: 0
    .symbol:         _ZN7rocprim17ROCPRIM_400000_NS6detail17trampoline_kernelINS0_14default_configENS1_25partition_config_selectorILNS1_17partition_subalgoE9EllbEEZZNS1_14partition_implILS5_9ELb0ES3_jPlS8_PNS0_10empty_typeENS0_5tupleIJS8_S9_EEENSB_IJS8_SA_EEENS0_18inequality_wrapperIZN2at6native12_GLOBAL__N_124unique_dim_cuda_templateItEESt5tupleIJNSF_6TensorESK_SK_EERKSK_lbbbEUlllE0_EEPmJS9_EEE10hipError_tPvRmT3_T4_T5_T6_T7_T9_mT8_P12ihipStream_tbDpT10_ENKUlT_T0_E_clISt17integral_constantIbLb1EES19_IbLb0EEEEDaS15_S16_EUlS15_E_NS1_11comp_targetILNS1_3genE3ELNS1_11target_archE908ELNS1_3gpuE7ELNS1_3repE0EEENS1_30default_config_static_selectorELNS0_4arch9wavefront6targetE0EEEvT1_.kd
    .uniform_work_group_size: 1
    .uses_dynamic_stack: false
    .vgpr_count:     0
    .vgpr_spill_count: 0
    .wavefront_size: 32
  - .args:
      - .offset:         0
        .size:           120
        .value_kind:     by_value
    .group_segment_fixed_size: 0
    .kernarg_segment_align: 8
    .kernarg_segment_size: 120
    .language:       OpenCL C
    .language_version:
      - 2
      - 0
    .max_flat_workgroup_size: 192
    .name:           _ZN7rocprim17ROCPRIM_400000_NS6detail17trampoline_kernelINS0_14default_configENS1_25partition_config_selectorILNS1_17partition_subalgoE9EllbEEZZNS1_14partition_implILS5_9ELb0ES3_jPlS8_PNS0_10empty_typeENS0_5tupleIJS8_S9_EEENSB_IJS8_SA_EEENS0_18inequality_wrapperIZN2at6native12_GLOBAL__N_124unique_dim_cuda_templateItEESt5tupleIJNSF_6TensorESK_SK_EERKSK_lbbbEUlllE0_EEPmJS9_EEE10hipError_tPvRmT3_T4_T5_T6_T7_T9_mT8_P12ihipStream_tbDpT10_ENKUlT_T0_E_clISt17integral_constantIbLb1EES19_IbLb0EEEEDaS15_S16_EUlS15_E_NS1_11comp_targetILNS1_3genE2ELNS1_11target_archE906ELNS1_3gpuE6ELNS1_3repE0EEENS1_30default_config_static_selectorELNS0_4arch9wavefront6targetE0EEEvT1_
    .private_segment_fixed_size: 0
    .sgpr_count:     0
    .sgpr_spill_count: 0
    .symbol:         _ZN7rocprim17ROCPRIM_400000_NS6detail17trampoline_kernelINS0_14default_configENS1_25partition_config_selectorILNS1_17partition_subalgoE9EllbEEZZNS1_14partition_implILS5_9ELb0ES3_jPlS8_PNS0_10empty_typeENS0_5tupleIJS8_S9_EEENSB_IJS8_SA_EEENS0_18inequality_wrapperIZN2at6native12_GLOBAL__N_124unique_dim_cuda_templateItEESt5tupleIJNSF_6TensorESK_SK_EERKSK_lbbbEUlllE0_EEPmJS9_EEE10hipError_tPvRmT3_T4_T5_T6_T7_T9_mT8_P12ihipStream_tbDpT10_ENKUlT_T0_E_clISt17integral_constantIbLb1EES19_IbLb0EEEEDaS15_S16_EUlS15_E_NS1_11comp_targetILNS1_3genE2ELNS1_11target_archE906ELNS1_3gpuE6ELNS1_3repE0EEENS1_30default_config_static_selectorELNS0_4arch9wavefront6targetE0EEEvT1_.kd
    .uniform_work_group_size: 1
    .uses_dynamic_stack: false
    .vgpr_count:     0
    .vgpr_spill_count: 0
    .wavefront_size: 32
  - .args:
      - .offset:         0
        .size:           120
        .value_kind:     by_value
    .group_segment_fixed_size: 0
    .kernarg_segment_align: 8
    .kernarg_segment_size: 120
    .language:       OpenCL C
    .language_version:
      - 2
      - 0
    .max_flat_workgroup_size: 384
    .name:           _ZN7rocprim17ROCPRIM_400000_NS6detail17trampoline_kernelINS0_14default_configENS1_25partition_config_selectorILNS1_17partition_subalgoE9EllbEEZZNS1_14partition_implILS5_9ELb0ES3_jPlS8_PNS0_10empty_typeENS0_5tupleIJS8_S9_EEENSB_IJS8_SA_EEENS0_18inequality_wrapperIZN2at6native12_GLOBAL__N_124unique_dim_cuda_templateItEESt5tupleIJNSF_6TensorESK_SK_EERKSK_lbbbEUlllE0_EEPmJS9_EEE10hipError_tPvRmT3_T4_T5_T6_T7_T9_mT8_P12ihipStream_tbDpT10_ENKUlT_T0_E_clISt17integral_constantIbLb1EES19_IbLb0EEEEDaS15_S16_EUlS15_E_NS1_11comp_targetILNS1_3genE10ELNS1_11target_archE1200ELNS1_3gpuE4ELNS1_3repE0EEENS1_30default_config_static_selectorELNS0_4arch9wavefront6targetE0EEEvT1_
    .private_segment_fixed_size: 0
    .sgpr_count:     0
    .sgpr_spill_count: 0
    .symbol:         _ZN7rocprim17ROCPRIM_400000_NS6detail17trampoline_kernelINS0_14default_configENS1_25partition_config_selectorILNS1_17partition_subalgoE9EllbEEZZNS1_14partition_implILS5_9ELb0ES3_jPlS8_PNS0_10empty_typeENS0_5tupleIJS8_S9_EEENSB_IJS8_SA_EEENS0_18inequality_wrapperIZN2at6native12_GLOBAL__N_124unique_dim_cuda_templateItEESt5tupleIJNSF_6TensorESK_SK_EERKSK_lbbbEUlllE0_EEPmJS9_EEE10hipError_tPvRmT3_T4_T5_T6_T7_T9_mT8_P12ihipStream_tbDpT10_ENKUlT_T0_E_clISt17integral_constantIbLb1EES19_IbLb0EEEEDaS15_S16_EUlS15_E_NS1_11comp_targetILNS1_3genE10ELNS1_11target_archE1200ELNS1_3gpuE4ELNS1_3repE0EEENS1_30default_config_static_selectorELNS0_4arch9wavefront6targetE0EEEvT1_.kd
    .uniform_work_group_size: 1
    .uses_dynamic_stack: false
    .vgpr_count:     0
    .vgpr_spill_count: 0
    .wavefront_size: 32
  - .args:
      - .offset:         0
        .size:           120
        .value_kind:     by_value
    .group_segment_fixed_size: 0
    .kernarg_segment_align: 8
    .kernarg_segment_size: 120
    .language:       OpenCL C
    .language_version:
      - 2
      - 0
    .max_flat_workgroup_size: 512
    .name:           _ZN7rocprim17ROCPRIM_400000_NS6detail17trampoline_kernelINS0_14default_configENS1_25partition_config_selectorILNS1_17partition_subalgoE9EllbEEZZNS1_14partition_implILS5_9ELb0ES3_jPlS8_PNS0_10empty_typeENS0_5tupleIJS8_S9_EEENSB_IJS8_SA_EEENS0_18inequality_wrapperIZN2at6native12_GLOBAL__N_124unique_dim_cuda_templateItEESt5tupleIJNSF_6TensorESK_SK_EERKSK_lbbbEUlllE0_EEPmJS9_EEE10hipError_tPvRmT3_T4_T5_T6_T7_T9_mT8_P12ihipStream_tbDpT10_ENKUlT_T0_E_clISt17integral_constantIbLb1EES19_IbLb0EEEEDaS15_S16_EUlS15_E_NS1_11comp_targetILNS1_3genE9ELNS1_11target_archE1100ELNS1_3gpuE3ELNS1_3repE0EEENS1_30default_config_static_selectorELNS0_4arch9wavefront6targetE0EEEvT1_
    .private_segment_fixed_size: 0
    .sgpr_count:     0
    .sgpr_spill_count: 0
    .symbol:         _ZN7rocprim17ROCPRIM_400000_NS6detail17trampoline_kernelINS0_14default_configENS1_25partition_config_selectorILNS1_17partition_subalgoE9EllbEEZZNS1_14partition_implILS5_9ELb0ES3_jPlS8_PNS0_10empty_typeENS0_5tupleIJS8_S9_EEENSB_IJS8_SA_EEENS0_18inequality_wrapperIZN2at6native12_GLOBAL__N_124unique_dim_cuda_templateItEESt5tupleIJNSF_6TensorESK_SK_EERKSK_lbbbEUlllE0_EEPmJS9_EEE10hipError_tPvRmT3_T4_T5_T6_T7_T9_mT8_P12ihipStream_tbDpT10_ENKUlT_T0_E_clISt17integral_constantIbLb1EES19_IbLb0EEEEDaS15_S16_EUlS15_E_NS1_11comp_targetILNS1_3genE9ELNS1_11target_archE1100ELNS1_3gpuE3ELNS1_3repE0EEENS1_30default_config_static_selectorELNS0_4arch9wavefront6targetE0EEEvT1_.kd
    .uniform_work_group_size: 1
    .uses_dynamic_stack: false
    .vgpr_count:     0
    .vgpr_spill_count: 0
    .wavefront_size: 32
  - .args:
      - .offset:         0
        .size:           120
        .value_kind:     by_value
    .group_segment_fixed_size: 0
    .kernarg_segment_align: 8
    .kernarg_segment_size: 120
    .language:       OpenCL C
    .language_version:
      - 2
      - 0
    .max_flat_workgroup_size: 512
    .name:           _ZN7rocprim17ROCPRIM_400000_NS6detail17trampoline_kernelINS0_14default_configENS1_25partition_config_selectorILNS1_17partition_subalgoE9EllbEEZZNS1_14partition_implILS5_9ELb0ES3_jPlS8_PNS0_10empty_typeENS0_5tupleIJS8_S9_EEENSB_IJS8_SA_EEENS0_18inequality_wrapperIZN2at6native12_GLOBAL__N_124unique_dim_cuda_templateItEESt5tupleIJNSF_6TensorESK_SK_EERKSK_lbbbEUlllE0_EEPmJS9_EEE10hipError_tPvRmT3_T4_T5_T6_T7_T9_mT8_P12ihipStream_tbDpT10_ENKUlT_T0_E_clISt17integral_constantIbLb1EES19_IbLb0EEEEDaS15_S16_EUlS15_E_NS1_11comp_targetILNS1_3genE8ELNS1_11target_archE1030ELNS1_3gpuE2ELNS1_3repE0EEENS1_30default_config_static_selectorELNS0_4arch9wavefront6targetE0EEEvT1_
    .private_segment_fixed_size: 0
    .sgpr_count:     0
    .sgpr_spill_count: 0
    .symbol:         _ZN7rocprim17ROCPRIM_400000_NS6detail17trampoline_kernelINS0_14default_configENS1_25partition_config_selectorILNS1_17partition_subalgoE9EllbEEZZNS1_14partition_implILS5_9ELb0ES3_jPlS8_PNS0_10empty_typeENS0_5tupleIJS8_S9_EEENSB_IJS8_SA_EEENS0_18inequality_wrapperIZN2at6native12_GLOBAL__N_124unique_dim_cuda_templateItEESt5tupleIJNSF_6TensorESK_SK_EERKSK_lbbbEUlllE0_EEPmJS9_EEE10hipError_tPvRmT3_T4_T5_T6_T7_T9_mT8_P12ihipStream_tbDpT10_ENKUlT_T0_E_clISt17integral_constantIbLb1EES19_IbLb0EEEEDaS15_S16_EUlS15_E_NS1_11comp_targetILNS1_3genE8ELNS1_11target_archE1030ELNS1_3gpuE2ELNS1_3repE0EEENS1_30default_config_static_selectorELNS0_4arch9wavefront6targetE0EEEvT1_.kd
    .uniform_work_group_size: 1
    .uses_dynamic_stack: false
    .vgpr_count:     0
    .vgpr_spill_count: 0
    .wavefront_size: 32
  - .args:
      - .offset:         0
        .size:           136
        .value_kind:     by_value
    .group_segment_fixed_size: 5128
    .kernarg_segment_align: 8
    .kernarg_segment_size: 136
    .language:       OpenCL C
    .language_version:
      - 2
      - 0
    .max_flat_workgroup_size: 128
    .name:           _ZN7rocprim17ROCPRIM_400000_NS6detail17trampoline_kernelINS0_14default_configENS1_25partition_config_selectorILNS1_17partition_subalgoE9EllbEEZZNS1_14partition_implILS5_9ELb0ES3_jPlS8_PNS0_10empty_typeENS0_5tupleIJS8_S9_EEENSB_IJS8_SA_EEENS0_18inequality_wrapperIZN2at6native12_GLOBAL__N_124unique_dim_cuda_templateItEESt5tupleIJNSF_6TensorESK_SK_EERKSK_lbbbEUlllE0_EEPmJS9_EEE10hipError_tPvRmT3_T4_T5_T6_T7_T9_mT8_P12ihipStream_tbDpT10_ENKUlT_T0_E_clISt17integral_constantIbLb0EES19_IbLb1EEEEDaS15_S16_EUlS15_E_NS1_11comp_targetILNS1_3genE0ELNS1_11target_archE4294967295ELNS1_3gpuE0ELNS1_3repE0EEENS1_30default_config_static_selectorELNS0_4arch9wavefront6targetE0EEEvT1_
    .private_segment_fixed_size: 0
    .sgpr_count:     38
    .sgpr_spill_count: 0
    .symbol:         _ZN7rocprim17ROCPRIM_400000_NS6detail17trampoline_kernelINS0_14default_configENS1_25partition_config_selectorILNS1_17partition_subalgoE9EllbEEZZNS1_14partition_implILS5_9ELb0ES3_jPlS8_PNS0_10empty_typeENS0_5tupleIJS8_S9_EEENSB_IJS8_SA_EEENS0_18inequality_wrapperIZN2at6native12_GLOBAL__N_124unique_dim_cuda_templateItEESt5tupleIJNSF_6TensorESK_SK_EERKSK_lbbbEUlllE0_EEPmJS9_EEE10hipError_tPvRmT3_T4_T5_T6_T7_T9_mT8_P12ihipStream_tbDpT10_ENKUlT_T0_E_clISt17integral_constantIbLb0EES19_IbLb1EEEEDaS15_S16_EUlS15_E_NS1_11comp_targetILNS1_3genE0ELNS1_11target_archE4294967295ELNS1_3gpuE0ELNS1_3repE0EEENS1_30default_config_static_selectorELNS0_4arch9wavefront6targetE0EEEvT1_.kd
    .uniform_work_group_size: 1
    .uses_dynamic_stack: false
    .vgpr_count:     55
    .vgpr_spill_count: 0
    .wavefront_size: 32
  - .args:
      - .offset:         0
        .size:           136
        .value_kind:     by_value
    .group_segment_fixed_size: 0
    .kernarg_segment_align: 8
    .kernarg_segment_size: 136
    .language:       OpenCL C
    .language_version:
      - 2
      - 0
    .max_flat_workgroup_size: 512
    .name:           _ZN7rocprim17ROCPRIM_400000_NS6detail17trampoline_kernelINS0_14default_configENS1_25partition_config_selectorILNS1_17partition_subalgoE9EllbEEZZNS1_14partition_implILS5_9ELb0ES3_jPlS8_PNS0_10empty_typeENS0_5tupleIJS8_S9_EEENSB_IJS8_SA_EEENS0_18inequality_wrapperIZN2at6native12_GLOBAL__N_124unique_dim_cuda_templateItEESt5tupleIJNSF_6TensorESK_SK_EERKSK_lbbbEUlllE0_EEPmJS9_EEE10hipError_tPvRmT3_T4_T5_T6_T7_T9_mT8_P12ihipStream_tbDpT10_ENKUlT_T0_E_clISt17integral_constantIbLb0EES19_IbLb1EEEEDaS15_S16_EUlS15_E_NS1_11comp_targetILNS1_3genE5ELNS1_11target_archE942ELNS1_3gpuE9ELNS1_3repE0EEENS1_30default_config_static_selectorELNS0_4arch9wavefront6targetE0EEEvT1_
    .private_segment_fixed_size: 0
    .sgpr_count:     0
    .sgpr_spill_count: 0
    .symbol:         _ZN7rocprim17ROCPRIM_400000_NS6detail17trampoline_kernelINS0_14default_configENS1_25partition_config_selectorILNS1_17partition_subalgoE9EllbEEZZNS1_14partition_implILS5_9ELb0ES3_jPlS8_PNS0_10empty_typeENS0_5tupleIJS8_S9_EEENSB_IJS8_SA_EEENS0_18inequality_wrapperIZN2at6native12_GLOBAL__N_124unique_dim_cuda_templateItEESt5tupleIJNSF_6TensorESK_SK_EERKSK_lbbbEUlllE0_EEPmJS9_EEE10hipError_tPvRmT3_T4_T5_T6_T7_T9_mT8_P12ihipStream_tbDpT10_ENKUlT_T0_E_clISt17integral_constantIbLb0EES19_IbLb1EEEEDaS15_S16_EUlS15_E_NS1_11comp_targetILNS1_3genE5ELNS1_11target_archE942ELNS1_3gpuE9ELNS1_3repE0EEENS1_30default_config_static_selectorELNS0_4arch9wavefront6targetE0EEEvT1_.kd
    .uniform_work_group_size: 1
    .uses_dynamic_stack: false
    .vgpr_count:     0
    .vgpr_spill_count: 0
    .wavefront_size: 32
  - .args:
      - .offset:         0
        .size:           136
        .value_kind:     by_value
    .group_segment_fixed_size: 0
    .kernarg_segment_align: 8
    .kernarg_segment_size: 136
    .language:       OpenCL C
    .language_version:
      - 2
      - 0
    .max_flat_workgroup_size: 128
    .name:           _ZN7rocprim17ROCPRIM_400000_NS6detail17trampoline_kernelINS0_14default_configENS1_25partition_config_selectorILNS1_17partition_subalgoE9EllbEEZZNS1_14partition_implILS5_9ELb0ES3_jPlS8_PNS0_10empty_typeENS0_5tupleIJS8_S9_EEENSB_IJS8_SA_EEENS0_18inequality_wrapperIZN2at6native12_GLOBAL__N_124unique_dim_cuda_templateItEESt5tupleIJNSF_6TensorESK_SK_EERKSK_lbbbEUlllE0_EEPmJS9_EEE10hipError_tPvRmT3_T4_T5_T6_T7_T9_mT8_P12ihipStream_tbDpT10_ENKUlT_T0_E_clISt17integral_constantIbLb0EES19_IbLb1EEEEDaS15_S16_EUlS15_E_NS1_11comp_targetILNS1_3genE4ELNS1_11target_archE910ELNS1_3gpuE8ELNS1_3repE0EEENS1_30default_config_static_selectorELNS0_4arch9wavefront6targetE0EEEvT1_
    .private_segment_fixed_size: 0
    .sgpr_count:     0
    .sgpr_spill_count: 0
    .symbol:         _ZN7rocprim17ROCPRIM_400000_NS6detail17trampoline_kernelINS0_14default_configENS1_25partition_config_selectorILNS1_17partition_subalgoE9EllbEEZZNS1_14partition_implILS5_9ELb0ES3_jPlS8_PNS0_10empty_typeENS0_5tupleIJS8_S9_EEENSB_IJS8_SA_EEENS0_18inequality_wrapperIZN2at6native12_GLOBAL__N_124unique_dim_cuda_templateItEESt5tupleIJNSF_6TensorESK_SK_EERKSK_lbbbEUlllE0_EEPmJS9_EEE10hipError_tPvRmT3_T4_T5_T6_T7_T9_mT8_P12ihipStream_tbDpT10_ENKUlT_T0_E_clISt17integral_constantIbLb0EES19_IbLb1EEEEDaS15_S16_EUlS15_E_NS1_11comp_targetILNS1_3genE4ELNS1_11target_archE910ELNS1_3gpuE8ELNS1_3repE0EEENS1_30default_config_static_selectorELNS0_4arch9wavefront6targetE0EEEvT1_.kd
    .uniform_work_group_size: 1
    .uses_dynamic_stack: false
    .vgpr_count:     0
    .vgpr_spill_count: 0
    .wavefront_size: 32
  - .args:
      - .offset:         0
        .size:           136
        .value_kind:     by_value
    .group_segment_fixed_size: 0
    .kernarg_segment_align: 8
    .kernarg_segment_size: 136
    .language:       OpenCL C
    .language_version:
      - 2
      - 0
    .max_flat_workgroup_size: 128
    .name:           _ZN7rocprim17ROCPRIM_400000_NS6detail17trampoline_kernelINS0_14default_configENS1_25partition_config_selectorILNS1_17partition_subalgoE9EllbEEZZNS1_14partition_implILS5_9ELb0ES3_jPlS8_PNS0_10empty_typeENS0_5tupleIJS8_S9_EEENSB_IJS8_SA_EEENS0_18inequality_wrapperIZN2at6native12_GLOBAL__N_124unique_dim_cuda_templateItEESt5tupleIJNSF_6TensorESK_SK_EERKSK_lbbbEUlllE0_EEPmJS9_EEE10hipError_tPvRmT3_T4_T5_T6_T7_T9_mT8_P12ihipStream_tbDpT10_ENKUlT_T0_E_clISt17integral_constantIbLb0EES19_IbLb1EEEEDaS15_S16_EUlS15_E_NS1_11comp_targetILNS1_3genE3ELNS1_11target_archE908ELNS1_3gpuE7ELNS1_3repE0EEENS1_30default_config_static_selectorELNS0_4arch9wavefront6targetE0EEEvT1_
    .private_segment_fixed_size: 0
    .sgpr_count:     0
    .sgpr_spill_count: 0
    .symbol:         _ZN7rocprim17ROCPRIM_400000_NS6detail17trampoline_kernelINS0_14default_configENS1_25partition_config_selectorILNS1_17partition_subalgoE9EllbEEZZNS1_14partition_implILS5_9ELb0ES3_jPlS8_PNS0_10empty_typeENS0_5tupleIJS8_S9_EEENSB_IJS8_SA_EEENS0_18inequality_wrapperIZN2at6native12_GLOBAL__N_124unique_dim_cuda_templateItEESt5tupleIJNSF_6TensorESK_SK_EERKSK_lbbbEUlllE0_EEPmJS9_EEE10hipError_tPvRmT3_T4_T5_T6_T7_T9_mT8_P12ihipStream_tbDpT10_ENKUlT_T0_E_clISt17integral_constantIbLb0EES19_IbLb1EEEEDaS15_S16_EUlS15_E_NS1_11comp_targetILNS1_3genE3ELNS1_11target_archE908ELNS1_3gpuE7ELNS1_3repE0EEENS1_30default_config_static_selectorELNS0_4arch9wavefront6targetE0EEEvT1_.kd
    .uniform_work_group_size: 1
    .uses_dynamic_stack: false
    .vgpr_count:     0
    .vgpr_spill_count: 0
    .wavefront_size: 32
  - .args:
      - .offset:         0
        .size:           136
        .value_kind:     by_value
    .group_segment_fixed_size: 0
    .kernarg_segment_align: 8
    .kernarg_segment_size: 136
    .language:       OpenCL C
    .language_version:
      - 2
      - 0
    .max_flat_workgroup_size: 192
    .name:           _ZN7rocprim17ROCPRIM_400000_NS6detail17trampoline_kernelINS0_14default_configENS1_25partition_config_selectorILNS1_17partition_subalgoE9EllbEEZZNS1_14partition_implILS5_9ELb0ES3_jPlS8_PNS0_10empty_typeENS0_5tupleIJS8_S9_EEENSB_IJS8_SA_EEENS0_18inequality_wrapperIZN2at6native12_GLOBAL__N_124unique_dim_cuda_templateItEESt5tupleIJNSF_6TensorESK_SK_EERKSK_lbbbEUlllE0_EEPmJS9_EEE10hipError_tPvRmT3_T4_T5_T6_T7_T9_mT8_P12ihipStream_tbDpT10_ENKUlT_T0_E_clISt17integral_constantIbLb0EES19_IbLb1EEEEDaS15_S16_EUlS15_E_NS1_11comp_targetILNS1_3genE2ELNS1_11target_archE906ELNS1_3gpuE6ELNS1_3repE0EEENS1_30default_config_static_selectorELNS0_4arch9wavefront6targetE0EEEvT1_
    .private_segment_fixed_size: 0
    .sgpr_count:     0
    .sgpr_spill_count: 0
    .symbol:         _ZN7rocprim17ROCPRIM_400000_NS6detail17trampoline_kernelINS0_14default_configENS1_25partition_config_selectorILNS1_17partition_subalgoE9EllbEEZZNS1_14partition_implILS5_9ELb0ES3_jPlS8_PNS0_10empty_typeENS0_5tupleIJS8_S9_EEENSB_IJS8_SA_EEENS0_18inequality_wrapperIZN2at6native12_GLOBAL__N_124unique_dim_cuda_templateItEESt5tupleIJNSF_6TensorESK_SK_EERKSK_lbbbEUlllE0_EEPmJS9_EEE10hipError_tPvRmT3_T4_T5_T6_T7_T9_mT8_P12ihipStream_tbDpT10_ENKUlT_T0_E_clISt17integral_constantIbLb0EES19_IbLb1EEEEDaS15_S16_EUlS15_E_NS1_11comp_targetILNS1_3genE2ELNS1_11target_archE906ELNS1_3gpuE6ELNS1_3repE0EEENS1_30default_config_static_selectorELNS0_4arch9wavefront6targetE0EEEvT1_.kd
    .uniform_work_group_size: 1
    .uses_dynamic_stack: false
    .vgpr_count:     0
    .vgpr_spill_count: 0
    .wavefront_size: 32
  - .args:
      - .offset:         0
        .size:           136
        .value_kind:     by_value
    .group_segment_fixed_size: 0
    .kernarg_segment_align: 8
    .kernarg_segment_size: 136
    .language:       OpenCL C
    .language_version:
      - 2
      - 0
    .max_flat_workgroup_size: 384
    .name:           _ZN7rocprim17ROCPRIM_400000_NS6detail17trampoline_kernelINS0_14default_configENS1_25partition_config_selectorILNS1_17partition_subalgoE9EllbEEZZNS1_14partition_implILS5_9ELb0ES3_jPlS8_PNS0_10empty_typeENS0_5tupleIJS8_S9_EEENSB_IJS8_SA_EEENS0_18inequality_wrapperIZN2at6native12_GLOBAL__N_124unique_dim_cuda_templateItEESt5tupleIJNSF_6TensorESK_SK_EERKSK_lbbbEUlllE0_EEPmJS9_EEE10hipError_tPvRmT3_T4_T5_T6_T7_T9_mT8_P12ihipStream_tbDpT10_ENKUlT_T0_E_clISt17integral_constantIbLb0EES19_IbLb1EEEEDaS15_S16_EUlS15_E_NS1_11comp_targetILNS1_3genE10ELNS1_11target_archE1200ELNS1_3gpuE4ELNS1_3repE0EEENS1_30default_config_static_selectorELNS0_4arch9wavefront6targetE0EEEvT1_
    .private_segment_fixed_size: 0
    .sgpr_count:     0
    .sgpr_spill_count: 0
    .symbol:         _ZN7rocprim17ROCPRIM_400000_NS6detail17trampoline_kernelINS0_14default_configENS1_25partition_config_selectorILNS1_17partition_subalgoE9EllbEEZZNS1_14partition_implILS5_9ELb0ES3_jPlS8_PNS0_10empty_typeENS0_5tupleIJS8_S9_EEENSB_IJS8_SA_EEENS0_18inequality_wrapperIZN2at6native12_GLOBAL__N_124unique_dim_cuda_templateItEESt5tupleIJNSF_6TensorESK_SK_EERKSK_lbbbEUlllE0_EEPmJS9_EEE10hipError_tPvRmT3_T4_T5_T6_T7_T9_mT8_P12ihipStream_tbDpT10_ENKUlT_T0_E_clISt17integral_constantIbLb0EES19_IbLb1EEEEDaS15_S16_EUlS15_E_NS1_11comp_targetILNS1_3genE10ELNS1_11target_archE1200ELNS1_3gpuE4ELNS1_3repE0EEENS1_30default_config_static_selectorELNS0_4arch9wavefront6targetE0EEEvT1_.kd
    .uniform_work_group_size: 1
    .uses_dynamic_stack: false
    .vgpr_count:     0
    .vgpr_spill_count: 0
    .wavefront_size: 32
  - .args:
      - .offset:         0
        .size:           136
        .value_kind:     by_value
    .group_segment_fixed_size: 0
    .kernarg_segment_align: 8
    .kernarg_segment_size: 136
    .language:       OpenCL C
    .language_version:
      - 2
      - 0
    .max_flat_workgroup_size: 512
    .name:           _ZN7rocprim17ROCPRIM_400000_NS6detail17trampoline_kernelINS0_14default_configENS1_25partition_config_selectorILNS1_17partition_subalgoE9EllbEEZZNS1_14partition_implILS5_9ELb0ES3_jPlS8_PNS0_10empty_typeENS0_5tupleIJS8_S9_EEENSB_IJS8_SA_EEENS0_18inequality_wrapperIZN2at6native12_GLOBAL__N_124unique_dim_cuda_templateItEESt5tupleIJNSF_6TensorESK_SK_EERKSK_lbbbEUlllE0_EEPmJS9_EEE10hipError_tPvRmT3_T4_T5_T6_T7_T9_mT8_P12ihipStream_tbDpT10_ENKUlT_T0_E_clISt17integral_constantIbLb0EES19_IbLb1EEEEDaS15_S16_EUlS15_E_NS1_11comp_targetILNS1_3genE9ELNS1_11target_archE1100ELNS1_3gpuE3ELNS1_3repE0EEENS1_30default_config_static_selectorELNS0_4arch9wavefront6targetE0EEEvT1_
    .private_segment_fixed_size: 0
    .sgpr_count:     0
    .sgpr_spill_count: 0
    .symbol:         _ZN7rocprim17ROCPRIM_400000_NS6detail17trampoline_kernelINS0_14default_configENS1_25partition_config_selectorILNS1_17partition_subalgoE9EllbEEZZNS1_14partition_implILS5_9ELb0ES3_jPlS8_PNS0_10empty_typeENS0_5tupleIJS8_S9_EEENSB_IJS8_SA_EEENS0_18inequality_wrapperIZN2at6native12_GLOBAL__N_124unique_dim_cuda_templateItEESt5tupleIJNSF_6TensorESK_SK_EERKSK_lbbbEUlllE0_EEPmJS9_EEE10hipError_tPvRmT3_T4_T5_T6_T7_T9_mT8_P12ihipStream_tbDpT10_ENKUlT_T0_E_clISt17integral_constantIbLb0EES19_IbLb1EEEEDaS15_S16_EUlS15_E_NS1_11comp_targetILNS1_3genE9ELNS1_11target_archE1100ELNS1_3gpuE3ELNS1_3repE0EEENS1_30default_config_static_selectorELNS0_4arch9wavefront6targetE0EEEvT1_.kd
    .uniform_work_group_size: 1
    .uses_dynamic_stack: false
    .vgpr_count:     0
    .vgpr_spill_count: 0
    .wavefront_size: 32
  - .args:
      - .offset:         0
        .size:           136
        .value_kind:     by_value
    .group_segment_fixed_size: 0
    .kernarg_segment_align: 8
    .kernarg_segment_size: 136
    .language:       OpenCL C
    .language_version:
      - 2
      - 0
    .max_flat_workgroup_size: 512
    .name:           _ZN7rocprim17ROCPRIM_400000_NS6detail17trampoline_kernelINS0_14default_configENS1_25partition_config_selectorILNS1_17partition_subalgoE9EllbEEZZNS1_14partition_implILS5_9ELb0ES3_jPlS8_PNS0_10empty_typeENS0_5tupleIJS8_S9_EEENSB_IJS8_SA_EEENS0_18inequality_wrapperIZN2at6native12_GLOBAL__N_124unique_dim_cuda_templateItEESt5tupleIJNSF_6TensorESK_SK_EERKSK_lbbbEUlllE0_EEPmJS9_EEE10hipError_tPvRmT3_T4_T5_T6_T7_T9_mT8_P12ihipStream_tbDpT10_ENKUlT_T0_E_clISt17integral_constantIbLb0EES19_IbLb1EEEEDaS15_S16_EUlS15_E_NS1_11comp_targetILNS1_3genE8ELNS1_11target_archE1030ELNS1_3gpuE2ELNS1_3repE0EEENS1_30default_config_static_selectorELNS0_4arch9wavefront6targetE0EEEvT1_
    .private_segment_fixed_size: 0
    .sgpr_count:     0
    .sgpr_spill_count: 0
    .symbol:         _ZN7rocprim17ROCPRIM_400000_NS6detail17trampoline_kernelINS0_14default_configENS1_25partition_config_selectorILNS1_17partition_subalgoE9EllbEEZZNS1_14partition_implILS5_9ELb0ES3_jPlS8_PNS0_10empty_typeENS0_5tupleIJS8_S9_EEENSB_IJS8_SA_EEENS0_18inequality_wrapperIZN2at6native12_GLOBAL__N_124unique_dim_cuda_templateItEESt5tupleIJNSF_6TensorESK_SK_EERKSK_lbbbEUlllE0_EEPmJS9_EEE10hipError_tPvRmT3_T4_T5_T6_T7_T9_mT8_P12ihipStream_tbDpT10_ENKUlT_T0_E_clISt17integral_constantIbLb0EES19_IbLb1EEEEDaS15_S16_EUlS15_E_NS1_11comp_targetILNS1_3genE8ELNS1_11target_archE1030ELNS1_3gpuE2ELNS1_3repE0EEENS1_30default_config_static_selectorELNS0_4arch9wavefront6targetE0EEEvT1_.kd
    .uniform_work_group_size: 1
    .uses_dynamic_stack: false
    .vgpr_count:     0
    .vgpr_spill_count: 0
    .wavefront_size: 32
  - .args:
      - .offset:         0
        .size:           72
        .value_kind:     by_value
      - .offset:         72
        .size:           4
        .value_kind:     hidden_block_count_x
      - .offset:         76
        .size:           4
        .value_kind:     hidden_block_count_y
      - .offset:         80
        .size:           4
        .value_kind:     hidden_block_count_z
      - .offset:         84
        .size:           2
        .value_kind:     hidden_group_size_x
      - .offset:         86
        .size:           2
        .value_kind:     hidden_group_size_y
      - .offset:         88
        .size:           2
        .value_kind:     hidden_group_size_z
      - .offset:         90
        .size:           2
        .value_kind:     hidden_remainder_x
      - .offset:         92
        .size:           2
        .value_kind:     hidden_remainder_y
      - .offset:         94
        .size:           2
        .value_kind:     hidden_remainder_z
      - .offset:         112
        .size:           8
        .value_kind:     hidden_global_offset_x
      - .offset:         120
        .size:           8
        .value_kind:     hidden_global_offset_y
      - .offset:         128
        .size:           8
        .value_kind:     hidden_global_offset_z
      - .offset:         136
        .size:           2
        .value_kind:     hidden_grid_dims
    .group_segment_fixed_size: 16896
    .kernarg_segment_align: 8
    .kernarg_segment_size: 328
    .language:       OpenCL C
    .language_version:
      - 2
      - 0
    .max_flat_workgroup_size: 256
    .name:           _ZN7rocprim17ROCPRIM_400000_NS6detail17trampoline_kernelINS0_14default_configENS1_37merge_sort_block_sort_config_selectorIlNS0_10empty_typeEEEZNS1_21merge_sort_block_sortIS3_PlS8_PS5_S9_ZN2at6native12_GLOBAL__N_124unique_dim_cuda_templateIjEESt5tupleIJNSA_6TensorESF_SF_EERKSF_lbbbEUlllE_EE10hipError_tT0_T1_T2_T3_mRjT4_P12ihipStream_tbNS1_7vsmem_tEEUlT_E_NS1_11comp_targetILNS1_3genE0ELNS1_11target_archE4294967295ELNS1_3gpuE0ELNS1_3repE0EEENS1_30default_config_static_selectorELNS0_4arch9wavefront6targetE0EEEvSM_
    .private_segment_fixed_size: 0
    .sgpr_count:     41
    .sgpr_spill_count: 0
    .symbol:         _ZN7rocprim17ROCPRIM_400000_NS6detail17trampoline_kernelINS0_14default_configENS1_37merge_sort_block_sort_config_selectorIlNS0_10empty_typeEEEZNS1_21merge_sort_block_sortIS3_PlS8_PS5_S9_ZN2at6native12_GLOBAL__N_124unique_dim_cuda_templateIjEESt5tupleIJNSA_6TensorESF_SF_EERKSF_lbbbEUlllE_EE10hipError_tT0_T1_T2_T3_mRjT4_P12ihipStream_tbNS1_7vsmem_tEEUlT_E_NS1_11comp_targetILNS1_3genE0ELNS1_11target_archE4294967295ELNS1_3gpuE0ELNS1_3repE0EEENS1_30default_config_static_selectorELNS0_4arch9wavefront6targetE0EEEvSM_.kd
    .uniform_work_group_size: 1
    .uses_dynamic_stack: false
    .vgpr_count:     56
    .vgpr_spill_count: 0
    .wavefront_size: 32
  - .args:
      - .offset:         0
        .size:           72
        .value_kind:     by_value
    .group_segment_fixed_size: 0
    .kernarg_segment_align: 8
    .kernarg_segment_size: 72
    .language:       OpenCL C
    .language_version:
      - 2
      - 0
    .max_flat_workgroup_size: 256
    .name:           _ZN7rocprim17ROCPRIM_400000_NS6detail17trampoline_kernelINS0_14default_configENS1_37merge_sort_block_sort_config_selectorIlNS0_10empty_typeEEEZNS1_21merge_sort_block_sortIS3_PlS8_PS5_S9_ZN2at6native12_GLOBAL__N_124unique_dim_cuda_templateIjEESt5tupleIJNSA_6TensorESF_SF_EERKSF_lbbbEUlllE_EE10hipError_tT0_T1_T2_T3_mRjT4_P12ihipStream_tbNS1_7vsmem_tEEUlT_E_NS1_11comp_targetILNS1_3genE5ELNS1_11target_archE942ELNS1_3gpuE9ELNS1_3repE0EEENS1_30default_config_static_selectorELNS0_4arch9wavefront6targetE0EEEvSM_
    .private_segment_fixed_size: 0
    .sgpr_count:     0
    .sgpr_spill_count: 0
    .symbol:         _ZN7rocprim17ROCPRIM_400000_NS6detail17trampoline_kernelINS0_14default_configENS1_37merge_sort_block_sort_config_selectorIlNS0_10empty_typeEEEZNS1_21merge_sort_block_sortIS3_PlS8_PS5_S9_ZN2at6native12_GLOBAL__N_124unique_dim_cuda_templateIjEESt5tupleIJNSA_6TensorESF_SF_EERKSF_lbbbEUlllE_EE10hipError_tT0_T1_T2_T3_mRjT4_P12ihipStream_tbNS1_7vsmem_tEEUlT_E_NS1_11comp_targetILNS1_3genE5ELNS1_11target_archE942ELNS1_3gpuE9ELNS1_3repE0EEENS1_30default_config_static_selectorELNS0_4arch9wavefront6targetE0EEEvSM_.kd
    .uniform_work_group_size: 1
    .uses_dynamic_stack: false
    .vgpr_count:     0
    .vgpr_spill_count: 0
    .wavefront_size: 32
  - .args:
      - .offset:         0
        .size:           72
        .value_kind:     by_value
    .group_segment_fixed_size: 0
    .kernarg_segment_align: 8
    .kernarg_segment_size: 72
    .language:       OpenCL C
    .language_version:
      - 2
      - 0
    .max_flat_workgroup_size: 256
    .name:           _ZN7rocprim17ROCPRIM_400000_NS6detail17trampoline_kernelINS0_14default_configENS1_37merge_sort_block_sort_config_selectorIlNS0_10empty_typeEEEZNS1_21merge_sort_block_sortIS3_PlS8_PS5_S9_ZN2at6native12_GLOBAL__N_124unique_dim_cuda_templateIjEESt5tupleIJNSA_6TensorESF_SF_EERKSF_lbbbEUlllE_EE10hipError_tT0_T1_T2_T3_mRjT4_P12ihipStream_tbNS1_7vsmem_tEEUlT_E_NS1_11comp_targetILNS1_3genE4ELNS1_11target_archE910ELNS1_3gpuE8ELNS1_3repE0EEENS1_30default_config_static_selectorELNS0_4arch9wavefront6targetE0EEEvSM_
    .private_segment_fixed_size: 0
    .sgpr_count:     0
    .sgpr_spill_count: 0
    .symbol:         _ZN7rocprim17ROCPRIM_400000_NS6detail17trampoline_kernelINS0_14default_configENS1_37merge_sort_block_sort_config_selectorIlNS0_10empty_typeEEEZNS1_21merge_sort_block_sortIS3_PlS8_PS5_S9_ZN2at6native12_GLOBAL__N_124unique_dim_cuda_templateIjEESt5tupleIJNSA_6TensorESF_SF_EERKSF_lbbbEUlllE_EE10hipError_tT0_T1_T2_T3_mRjT4_P12ihipStream_tbNS1_7vsmem_tEEUlT_E_NS1_11comp_targetILNS1_3genE4ELNS1_11target_archE910ELNS1_3gpuE8ELNS1_3repE0EEENS1_30default_config_static_selectorELNS0_4arch9wavefront6targetE0EEEvSM_.kd
    .uniform_work_group_size: 1
    .uses_dynamic_stack: false
    .vgpr_count:     0
    .vgpr_spill_count: 0
    .wavefront_size: 32
  - .args:
      - .offset:         0
        .size:           72
        .value_kind:     by_value
    .group_segment_fixed_size: 0
    .kernarg_segment_align: 8
    .kernarg_segment_size: 72
    .language:       OpenCL C
    .language_version:
      - 2
      - 0
    .max_flat_workgroup_size: 256
    .name:           _ZN7rocprim17ROCPRIM_400000_NS6detail17trampoline_kernelINS0_14default_configENS1_37merge_sort_block_sort_config_selectorIlNS0_10empty_typeEEEZNS1_21merge_sort_block_sortIS3_PlS8_PS5_S9_ZN2at6native12_GLOBAL__N_124unique_dim_cuda_templateIjEESt5tupleIJNSA_6TensorESF_SF_EERKSF_lbbbEUlllE_EE10hipError_tT0_T1_T2_T3_mRjT4_P12ihipStream_tbNS1_7vsmem_tEEUlT_E_NS1_11comp_targetILNS1_3genE3ELNS1_11target_archE908ELNS1_3gpuE7ELNS1_3repE0EEENS1_30default_config_static_selectorELNS0_4arch9wavefront6targetE0EEEvSM_
    .private_segment_fixed_size: 0
    .sgpr_count:     0
    .sgpr_spill_count: 0
    .symbol:         _ZN7rocprim17ROCPRIM_400000_NS6detail17trampoline_kernelINS0_14default_configENS1_37merge_sort_block_sort_config_selectorIlNS0_10empty_typeEEEZNS1_21merge_sort_block_sortIS3_PlS8_PS5_S9_ZN2at6native12_GLOBAL__N_124unique_dim_cuda_templateIjEESt5tupleIJNSA_6TensorESF_SF_EERKSF_lbbbEUlllE_EE10hipError_tT0_T1_T2_T3_mRjT4_P12ihipStream_tbNS1_7vsmem_tEEUlT_E_NS1_11comp_targetILNS1_3genE3ELNS1_11target_archE908ELNS1_3gpuE7ELNS1_3repE0EEENS1_30default_config_static_selectorELNS0_4arch9wavefront6targetE0EEEvSM_.kd
    .uniform_work_group_size: 1
    .uses_dynamic_stack: false
    .vgpr_count:     0
    .vgpr_spill_count: 0
    .wavefront_size: 32
  - .args:
      - .offset:         0
        .size:           72
        .value_kind:     by_value
    .group_segment_fixed_size: 0
    .kernarg_segment_align: 8
    .kernarg_segment_size: 72
    .language:       OpenCL C
    .language_version:
      - 2
      - 0
    .max_flat_workgroup_size: 256
    .name:           _ZN7rocprim17ROCPRIM_400000_NS6detail17trampoline_kernelINS0_14default_configENS1_37merge_sort_block_sort_config_selectorIlNS0_10empty_typeEEEZNS1_21merge_sort_block_sortIS3_PlS8_PS5_S9_ZN2at6native12_GLOBAL__N_124unique_dim_cuda_templateIjEESt5tupleIJNSA_6TensorESF_SF_EERKSF_lbbbEUlllE_EE10hipError_tT0_T1_T2_T3_mRjT4_P12ihipStream_tbNS1_7vsmem_tEEUlT_E_NS1_11comp_targetILNS1_3genE2ELNS1_11target_archE906ELNS1_3gpuE6ELNS1_3repE0EEENS1_30default_config_static_selectorELNS0_4arch9wavefront6targetE0EEEvSM_
    .private_segment_fixed_size: 0
    .sgpr_count:     0
    .sgpr_spill_count: 0
    .symbol:         _ZN7rocprim17ROCPRIM_400000_NS6detail17trampoline_kernelINS0_14default_configENS1_37merge_sort_block_sort_config_selectorIlNS0_10empty_typeEEEZNS1_21merge_sort_block_sortIS3_PlS8_PS5_S9_ZN2at6native12_GLOBAL__N_124unique_dim_cuda_templateIjEESt5tupleIJNSA_6TensorESF_SF_EERKSF_lbbbEUlllE_EE10hipError_tT0_T1_T2_T3_mRjT4_P12ihipStream_tbNS1_7vsmem_tEEUlT_E_NS1_11comp_targetILNS1_3genE2ELNS1_11target_archE906ELNS1_3gpuE6ELNS1_3repE0EEENS1_30default_config_static_selectorELNS0_4arch9wavefront6targetE0EEEvSM_.kd
    .uniform_work_group_size: 1
    .uses_dynamic_stack: false
    .vgpr_count:     0
    .vgpr_spill_count: 0
    .wavefront_size: 32
  - .args:
      - .offset:         0
        .size:           72
        .value_kind:     by_value
    .group_segment_fixed_size: 0
    .kernarg_segment_align: 8
    .kernarg_segment_size: 72
    .language:       OpenCL C
    .language_version:
      - 2
      - 0
    .max_flat_workgroup_size: 256
    .name:           _ZN7rocprim17ROCPRIM_400000_NS6detail17trampoline_kernelINS0_14default_configENS1_37merge_sort_block_sort_config_selectorIlNS0_10empty_typeEEEZNS1_21merge_sort_block_sortIS3_PlS8_PS5_S9_ZN2at6native12_GLOBAL__N_124unique_dim_cuda_templateIjEESt5tupleIJNSA_6TensorESF_SF_EERKSF_lbbbEUlllE_EE10hipError_tT0_T1_T2_T3_mRjT4_P12ihipStream_tbNS1_7vsmem_tEEUlT_E_NS1_11comp_targetILNS1_3genE10ELNS1_11target_archE1201ELNS1_3gpuE5ELNS1_3repE0EEENS1_30default_config_static_selectorELNS0_4arch9wavefront6targetE0EEEvSM_
    .private_segment_fixed_size: 0
    .sgpr_count:     0
    .sgpr_spill_count: 0
    .symbol:         _ZN7rocprim17ROCPRIM_400000_NS6detail17trampoline_kernelINS0_14default_configENS1_37merge_sort_block_sort_config_selectorIlNS0_10empty_typeEEEZNS1_21merge_sort_block_sortIS3_PlS8_PS5_S9_ZN2at6native12_GLOBAL__N_124unique_dim_cuda_templateIjEESt5tupleIJNSA_6TensorESF_SF_EERKSF_lbbbEUlllE_EE10hipError_tT0_T1_T2_T3_mRjT4_P12ihipStream_tbNS1_7vsmem_tEEUlT_E_NS1_11comp_targetILNS1_3genE10ELNS1_11target_archE1201ELNS1_3gpuE5ELNS1_3repE0EEENS1_30default_config_static_selectorELNS0_4arch9wavefront6targetE0EEEvSM_.kd
    .uniform_work_group_size: 1
    .uses_dynamic_stack: false
    .vgpr_count:     0
    .vgpr_spill_count: 0
    .wavefront_size: 32
  - .args:
      - .offset:         0
        .size:           72
        .value_kind:     by_value
    .group_segment_fixed_size: 0
    .kernarg_segment_align: 8
    .kernarg_segment_size: 72
    .language:       OpenCL C
    .language_version:
      - 2
      - 0
    .max_flat_workgroup_size: 512
    .name:           _ZN7rocprim17ROCPRIM_400000_NS6detail17trampoline_kernelINS0_14default_configENS1_37merge_sort_block_sort_config_selectorIlNS0_10empty_typeEEEZNS1_21merge_sort_block_sortIS3_PlS8_PS5_S9_ZN2at6native12_GLOBAL__N_124unique_dim_cuda_templateIjEESt5tupleIJNSA_6TensorESF_SF_EERKSF_lbbbEUlllE_EE10hipError_tT0_T1_T2_T3_mRjT4_P12ihipStream_tbNS1_7vsmem_tEEUlT_E_NS1_11comp_targetILNS1_3genE10ELNS1_11target_archE1200ELNS1_3gpuE4ELNS1_3repE0EEENS1_30default_config_static_selectorELNS0_4arch9wavefront6targetE0EEEvSM_
    .private_segment_fixed_size: 0
    .sgpr_count:     0
    .sgpr_spill_count: 0
    .symbol:         _ZN7rocprim17ROCPRIM_400000_NS6detail17trampoline_kernelINS0_14default_configENS1_37merge_sort_block_sort_config_selectorIlNS0_10empty_typeEEEZNS1_21merge_sort_block_sortIS3_PlS8_PS5_S9_ZN2at6native12_GLOBAL__N_124unique_dim_cuda_templateIjEESt5tupleIJNSA_6TensorESF_SF_EERKSF_lbbbEUlllE_EE10hipError_tT0_T1_T2_T3_mRjT4_P12ihipStream_tbNS1_7vsmem_tEEUlT_E_NS1_11comp_targetILNS1_3genE10ELNS1_11target_archE1200ELNS1_3gpuE4ELNS1_3repE0EEENS1_30default_config_static_selectorELNS0_4arch9wavefront6targetE0EEEvSM_.kd
    .uniform_work_group_size: 1
    .uses_dynamic_stack: false
    .vgpr_count:     0
    .vgpr_spill_count: 0
    .wavefront_size: 32
  - .args:
      - .offset:         0
        .size:           72
        .value_kind:     by_value
    .group_segment_fixed_size: 0
    .kernarg_segment_align: 8
    .kernarg_segment_size: 72
    .language:       OpenCL C
    .language_version:
      - 2
      - 0
    .max_flat_workgroup_size: 256
    .name:           _ZN7rocprim17ROCPRIM_400000_NS6detail17trampoline_kernelINS0_14default_configENS1_37merge_sort_block_sort_config_selectorIlNS0_10empty_typeEEEZNS1_21merge_sort_block_sortIS3_PlS8_PS5_S9_ZN2at6native12_GLOBAL__N_124unique_dim_cuda_templateIjEESt5tupleIJNSA_6TensorESF_SF_EERKSF_lbbbEUlllE_EE10hipError_tT0_T1_T2_T3_mRjT4_P12ihipStream_tbNS1_7vsmem_tEEUlT_E_NS1_11comp_targetILNS1_3genE9ELNS1_11target_archE1100ELNS1_3gpuE3ELNS1_3repE0EEENS1_30default_config_static_selectorELNS0_4arch9wavefront6targetE0EEEvSM_
    .private_segment_fixed_size: 0
    .sgpr_count:     0
    .sgpr_spill_count: 0
    .symbol:         _ZN7rocprim17ROCPRIM_400000_NS6detail17trampoline_kernelINS0_14default_configENS1_37merge_sort_block_sort_config_selectorIlNS0_10empty_typeEEEZNS1_21merge_sort_block_sortIS3_PlS8_PS5_S9_ZN2at6native12_GLOBAL__N_124unique_dim_cuda_templateIjEESt5tupleIJNSA_6TensorESF_SF_EERKSF_lbbbEUlllE_EE10hipError_tT0_T1_T2_T3_mRjT4_P12ihipStream_tbNS1_7vsmem_tEEUlT_E_NS1_11comp_targetILNS1_3genE9ELNS1_11target_archE1100ELNS1_3gpuE3ELNS1_3repE0EEENS1_30default_config_static_selectorELNS0_4arch9wavefront6targetE0EEEvSM_.kd
    .uniform_work_group_size: 1
    .uses_dynamic_stack: false
    .vgpr_count:     0
    .vgpr_spill_count: 0
    .wavefront_size: 32
  - .args:
      - .offset:         0
        .size:           72
        .value_kind:     by_value
    .group_segment_fixed_size: 0
    .kernarg_segment_align: 8
    .kernarg_segment_size: 72
    .language:       OpenCL C
    .language_version:
      - 2
      - 0
    .max_flat_workgroup_size: 256
    .name:           _ZN7rocprim17ROCPRIM_400000_NS6detail17trampoline_kernelINS0_14default_configENS1_37merge_sort_block_sort_config_selectorIlNS0_10empty_typeEEEZNS1_21merge_sort_block_sortIS3_PlS8_PS5_S9_ZN2at6native12_GLOBAL__N_124unique_dim_cuda_templateIjEESt5tupleIJNSA_6TensorESF_SF_EERKSF_lbbbEUlllE_EE10hipError_tT0_T1_T2_T3_mRjT4_P12ihipStream_tbNS1_7vsmem_tEEUlT_E_NS1_11comp_targetILNS1_3genE8ELNS1_11target_archE1030ELNS1_3gpuE2ELNS1_3repE0EEENS1_30default_config_static_selectorELNS0_4arch9wavefront6targetE0EEEvSM_
    .private_segment_fixed_size: 0
    .sgpr_count:     0
    .sgpr_spill_count: 0
    .symbol:         _ZN7rocprim17ROCPRIM_400000_NS6detail17trampoline_kernelINS0_14default_configENS1_37merge_sort_block_sort_config_selectorIlNS0_10empty_typeEEEZNS1_21merge_sort_block_sortIS3_PlS8_PS5_S9_ZN2at6native12_GLOBAL__N_124unique_dim_cuda_templateIjEESt5tupleIJNSA_6TensorESF_SF_EERKSF_lbbbEUlllE_EE10hipError_tT0_T1_T2_T3_mRjT4_P12ihipStream_tbNS1_7vsmem_tEEUlT_E_NS1_11comp_targetILNS1_3genE8ELNS1_11target_archE1030ELNS1_3gpuE2ELNS1_3repE0EEENS1_30default_config_static_selectorELNS0_4arch9wavefront6targetE0EEEvSM_.kd
    .uniform_work_group_size: 1
    .uses_dynamic_stack: false
    .vgpr_count:     0
    .vgpr_spill_count: 0
    .wavefront_size: 32
  - .args:
      - .offset:         0
        .size:           56
        .value_kind:     by_value
    .group_segment_fixed_size: 0
    .kernarg_segment_align: 8
    .kernarg_segment_size: 56
    .language:       OpenCL C
    .language_version:
      - 2
      - 0
    .max_flat_workgroup_size: 128
    .name:           _ZN7rocprim17ROCPRIM_400000_NS6detail17trampoline_kernelINS0_14default_configENS1_38merge_sort_block_merge_config_selectorIlNS0_10empty_typeEEEZZNS1_27merge_sort_block_merge_implIS3_PlPS5_mZN2at6native12_GLOBAL__N_124unique_dim_cuda_templateIjEESt5tupleIJNSA_6TensorESF_SF_EERKSF_lbbbEUlllE_EE10hipError_tT0_T1_T2_jT3_P12ihipStream_tbPNSt15iterator_traitsISL_E10value_typeEPNSR_ISM_E10value_typeEPSN_NS1_7vsmem_tEENKUlT_SL_SM_SN_E_clIS8_S8_S9_S9_EESK_S10_SL_SM_SN_EUlS10_E_NS1_11comp_targetILNS1_3genE0ELNS1_11target_archE4294967295ELNS1_3gpuE0ELNS1_3repE0EEENS1_48merge_mergepath_partition_config_static_selectorELNS0_4arch9wavefront6targetE0EEEvSM_
    .private_segment_fixed_size: 0
    .sgpr_count:     22
    .sgpr_spill_count: 0
    .symbol:         _ZN7rocprim17ROCPRIM_400000_NS6detail17trampoline_kernelINS0_14default_configENS1_38merge_sort_block_merge_config_selectorIlNS0_10empty_typeEEEZZNS1_27merge_sort_block_merge_implIS3_PlPS5_mZN2at6native12_GLOBAL__N_124unique_dim_cuda_templateIjEESt5tupleIJNSA_6TensorESF_SF_EERKSF_lbbbEUlllE_EE10hipError_tT0_T1_T2_jT3_P12ihipStream_tbPNSt15iterator_traitsISL_E10value_typeEPNSR_ISM_E10value_typeEPSN_NS1_7vsmem_tEENKUlT_SL_SM_SN_E_clIS8_S8_S9_S9_EESK_S10_SL_SM_SN_EUlS10_E_NS1_11comp_targetILNS1_3genE0ELNS1_11target_archE4294967295ELNS1_3gpuE0ELNS1_3repE0EEENS1_48merge_mergepath_partition_config_static_selectorELNS0_4arch9wavefront6targetE0EEEvSM_.kd
    .uniform_work_group_size: 1
    .uses_dynamic_stack: false
    .vgpr_count:     22
    .vgpr_spill_count: 0
    .wavefront_size: 32
  - .args:
      - .offset:         0
        .size:           56
        .value_kind:     by_value
    .group_segment_fixed_size: 0
    .kernarg_segment_align: 8
    .kernarg_segment_size: 56
    .language:       OpenCL C
    .language_version:
      - 2
      - 0
    .max_flat_workgroup_size: 128
    .name:           _ZN7rocprim17ROCPRIM_400000_NS6detail17trampoline_kernelINS0_14default_configENS1_38merge_sort_block_merge_config_selectorIlNS0_10empty_typeEEEZZNS1_27merge_sort_block_merge_implIS3_PlPS5_mZN2at6native12_GLOBAL__N_124unique_dim_cuda_templateIjEESt5tupleIJNSA_6TensorESF_SF_EERKSF_lbbbEUlllE_EE10hipError_tT0_T1_T2_jT3_P12ihipStream_tbPNSt15iterator_traitsISL_E10value_typeEPNSR_ISM_E10value_typeEPSN_NS1_7vsmem_tEENKUlT_SL_SM_SN_E_clIS8_S8_S9_S9_EESK_S10_SL_SM_SN_EUlS10_E_NS1_11comp_targetILNS1_3genE10ELNS1_11target_archE1201ELNS1_3gpuE5ELNS1_3repE0EEENS1_48merge_mergepath_partition_config_static_selectorELNS0_4arch9wavefront6targetE0EEEvSM_
    .private_segment_fixed_size: 0
    .sgpr_count:     0
    .sgpr_spill_count: 0
    .symbol:         _ZN7rocprim17ROCPRIM_400000_NS6detail17trampoline_kernelINS0_14default_configENS1_38merge_sort_block_merge_config_selectorIlNS0_10empty_typeEEEZZNS1_27merge_sort_block_merge_implIS3_PlPS5_mZN2at6native12_GLOBAL__N_124unique_dim_cuda_templateIjEESt5tupleIJNSA_6TensorESF_SF_EERKSF_lbbbEUlllE_EE10hipError_tT0_T1_T2_jT3_P12ihipStream_tbPNSt15iterator_traitsISL_E10value_typeEPNSR_ISM_E10value_typeEPSN_NS1_7vsmem_tEENKUlT_SL_SM_SN_E_clIS8_S8_S9_S9_EESK_S10_SL_SM_SN_EUlS10_E_NS1_11comp_targetILNS1_3genE10ELNS1_11target_archE1201ELNS1_3gpuE5ELNS1_3repE0EEENS1_48merge_mergepath_partition_config_static_selectorELNS0_4arch9wavefront6targetE0EEEvSM_.kd
    .uniform_work_group_size: 1
    .uses_dynamic_stack: false
    .vgpr_count:     0
    .vgpr_spill_count: 0
    .wavefront_size: 32
  - .args:
      - .offset:         0
        .size:           56
        .value_kind:     by_value
    .group_segment_fixed_size: 0
    .kernarg_segment_align: 8
    .kernarg_segment_size: 56
    .language:       OpenCL C
    .language_version:
      - 2
      - 0
    .max_flat_workgroup_size: 128
    .name:           _ZN7rocprim17ROCPRIM_400000_NS6detail17trampoline_kernelINS0_14default_configENS1_38merge_sort_block_merge_config_selectorIlNS0_10empty_typeEEEZZNS1_27merge_sort_block_merge_implIS3_PlPS5_mZN2at6native12_GLOBAL__N_124unique_dim_cuda_templateIjEESt5tupleIJNSA_6TensorESF_SF_EERKSF_lbbbEUlllE_EE10hipError_tT0_T1_T2_jT3_P12ihipStream_tbPNSt15iterator_traitsISL_E10value_typeEPNSR_ISM_E10value_typeEPSN_NS1_7vsmem_tEENKUlT_SL_SM_SN_E_clIS8_S8_S9_S9_EESK_S10_SL_SM_SN_EUlS10_E_NS1_11comp_targetILNS1_3genE5ELNS1_11target_archE942ELNS1_3gpuE9ELNS1_3repE0EEENS1_48merge_mergepath_partition_config_static_selectorELNS0_4arch9wavefront6targetE0EEEvSM_
    .private_segment_fixed_size: 0
    .sgpr_count:     0
    .sgpr_spill_count: 0
    .symbol:         _ZN7rocprim17ROCPRIM_400000_NS6detail17trampoline_kernelINS0_14default_configENS1_38merge_sort_block_merge_config_selectorIlNS0_10empty_typeEEEZZNS1_27merge_sort_block_merge_implIS3_PlPS5_mZN2at6native12_GLOBAL__N_124unique_dim_cuda_templateIjEESt5tupleIJNSA_6TensorESF_SF_EERKSF_lbbbEUlllE_EE10hipError_tT0_T1_T2_jT3_P12ihipStream_tbPNSt15iterator_traitsISL_E10value_typeEPNSR_ISM_E10value_typeEPSN_NS1_7vsmem_tEENKUlT_SL_SM_SN_E_clIS8_S8_S9_S9_EESK_S10_SL_SM_SN_EUlS10_E_NS1_11comp_targetILNS1_3genE5ELNS1_11target_archE942ELNS1_3gpuE9ELNS1_3repE0EEENS1_48merge_mergepath_partition_config_static_selectorELNS0_4arch9wavefront6targetE0EEEvSM_.kd
    .uniform_work_group_size: 1
    .uses_dynamic_stack: false
    .vgpr_count:     0
    .vgpr_spill_count: 0
    .wavefront_size: 32
  - .args:
      - .offset:         0
        .size:           56
        .value_kind:     by_value
    .group_segment_fixed_size: 0
    .kernarg_segment_align: 8
    .kernarg_segment_size: 56
    .language:       OpenCL C
    .language_version:
      - 2
      - 0
    .max_flat_workgroup_size: 128
    .name:           _ZN7rocprim17ROCPRIM_400000_NS6detail17trampoline_kernelINS0_14default_configENS1_38merge_sort_block_merge_config_selectorIlNS0_10empty_typeEEEZZNS1_27merge_sort_block_merge_implIS3_PlPS5_mZN2at6native12_GLOBAL__N_124unique_dim_cuda_templateIjEESt5tupleIJNSA_6TensorESF_SF_EERKSF_lbbbEUlllE_EE10hipError_tT0_T1_T2_jT3_P12ihipStream_tbPNSt15iterator_traitsISL_E10value_typeEPNSR_ISM_E10value_typeEPSN_NS1_7vsmem_tEENKUlT_SL_SM_SN_E_clIS8_S8_S9_S9_EESK_S10_SL_SM_SN_EUlS10_E_NS1_11comp_targetILNS1_3genE4ELNS1_11target_archE910ELNS1_3gpuE8ELNS1_3repE0EEENS1_48merge_mergepath_partition_config_static_selectorELNS0_4arch9wavefront6targetE0EEEvSM_
    .private_segment_fixed_size: 0
    .sgpr_count:     0
    .sgpr_spill_count: 0
    .symbol:         _ZN7rocprim17ROCPRIM_400000_NS6detail17trampoline_kernelINS0_14default_configENS1_38merge_sort_block_merge_config_selectorIlNS0_10empty_typeEEEZZNS1_27merge_sort_block_merge_implIS3_PlPS5_mZN2at6native12_GLOBAL__N_124unique_dim_cuda_templateIjEESt5tupleIJNSA_6TensorESF_SF_EERKSF_lbbbEUlllE_EE10hipError_tT0_T1_T2_jT3_P12ihipStream_tbPNSt15iterator_traitsISL_E10value_typeEPNSR_ISM_E10value_typeEPSN_NS1_7vsmem_tEENKUlT_SL_SM_SN_E_clIS8_S8_S9_S9_EESK_S10_SL_SM_SN_EUlS10_E_NS1_11comp_targetILNS1_3genE4ELNS1_11target_archE910ELNS1_3gpuE8ELNS1_3repE0EEENS1_48merge_mergepath_partition_config_static_selectorELNS0_4arch9wavefront6targetE0EEEvSM_.kd
    .uniform_work_group_size: 1
    .uses_dynamic_stack: false
    .vgpr_count:     0
    .vgpr_spill_count: 0
    .wavefront_size: 32
  - .args:
      - .offset:         0
        .size:           56
        .value_kind:     by_value
    .group_segment_fixed_size: 0
    .kernarg_segment_align: 8
    .kernarg_segment_size: 56
    .language:       OpenCL C
    .language_version:
      - 2
      - 0
    .max_flat_workgroup_size: 128
    .name:           _ZN7rocprim17ROCPRIM_400000_NS6detail17trampoline_kernelINS0_14default_configENS1_38merge_sort_block_merge_config_selectorIlNS0_10empty_typeEEEZZNS1_27merge_sort_block_merge_implIS3_PlPS5_mZN2at6native12_GLOBAL__N_124unique_dim_cuda_templateIjEESt5tupleIJNSA_6TensorESF_SF_EERKSF_lbbbEUlllE_EE10hipError_tT0_T1_T2_jT3_P12ihipStream_tbPNSt15iterator_traitsISL_E10value_typeEPNSR_ISM_E10value_typeEPSN_NS1_7vsmem_tEENKUlT_SL_SM_SN_E_clIS8_S8_S9_S9_EESK_S10_SL_SM_SN_EUlS10_E_NS1_11comp_targetILNS1_3genE3ELNS1_11target_archE908ELNS1_3gpuE7ELNS1_3repE0EEENS1_48merge_mergepath_partition_config_static_selectorELNS0_4arch9wavefront6targetE0EEEvSM_
    .private_segment_fixed_size: 0
    .sgpr_count:     0
    .sgpr_spill_count: 0
    .symbol:         _ZN7rocprim17ROCPRIM_400000_NS6detail17trampoline_kernelINS0_14default_configENS1_38merge_sort_block_merge_config_selectorIlNS0_10empty_typeEEEZZNS1_27merge_sort_block_merge_implIS3_PlPS5_mZN2at6native12_GLOBAL__N_124unique_dim_cuda_templateIjEESt5tupleIJNSA_6TensorESF_SF_EERKSF_lbbbEUlllE_EE10hipError_tT0_T1_T2_jT3_P12ihipStream_tbPNSt15iterator_traitsISL_E10value_typeEPNSR_ISM_E10value_typeEPSN_NS1_7vsmem_tEENKUlT_SL_SM_SN_E_clIS8_S8_S9_S9_EESK_S10_SL_SM_SN_EUlS10_E_NS1_11comp_targetILNS1_3genE3ELNS1_11target_archE908ELNS1_3gpuE7ELNS1_3repE0EEENS1_48merge_mergepath_partition_config_static_selectorELNS0_4arch9wavefront6targetE0EEEvSM_.kd
    .uniform_work_group_size: 1
    .uses_dynamic_stack: false
    .vgpr_count:     0
    .vgpr_spill_count: 0
    .wavefront_size: 32
  - .args:
      - .offset:         0
        .size:           56
        .value_kind:     by_value
    .group_segment_fixed_size: 0
    .kernarg_segment_align: 8
    .kernarg_segment_size: 56
    .language:       OpenCL C
    .language_version:
      - 2
      - 0
    .max_flat_workgroup_size: 128
    .name:           _ZN7rocprim17ROCPRIM_400000_NS6detail17trampoline_kernelINS0_14default_configENS1_38merge_sort_block_merge_config_selectorIlNS0_10empty_typeEEEZZNS1_27merge_sort_block_merge_implIS3_PlPS5_mZN2at6native12_GLOBAL__N_124unique_dim_cuda_templateIjEESt5tupleIJNSA_6TensorESF_SF_EERKSF_lbbbEUlllE_EE10hipError_tT0_T1_T2_jT3_P12ihipStream_tbPNSt15iterator_traitsISL_E10value_typeEPNSR_ISM_E10value_typeEPSN_NS1_7vsmem_tEENKUlT_SL_SM_SN_E_clIS8_S8_S9_S9_EESK_S10_SL_SM_SN_EUlS10_E_NS1_11comp_targetILNS1_3genE2ELNS1_11target_archE906ELNS1_3gpuE6ELNS1_3repE0EEENS1_48merge_mergepath_partition_config_static_selectorELNS0_4arch9wavefront6targetE0EEEvSM_
    .private_segment_fixed_size: 0
    .sgpr_count:     0
    .sgpr_spill_count: 0
    .symbol:         _ZN7rocprim17ROCPRIM_400000_NS6detail17trampoline_kernelINS0_14default_configENS1_38merge_sort_block_merge_config_selectorIlNS0_10empty_typeEEEZZNS1_27merge_sort_block_merge_implIS3_PlPS5_mZN2at6native12_GLOBAL__N_124unique_dim_cuda_templateIjEESt5tupleIJNSA_6TensorESF_SF_EERKSF_lbbbEUlllE_EE10hipError_tT0_T1_T2_jT3_P12ihipStream_tbPNSt15iterator_traitsISL_E10value_typeEPNSR_ISM_E10value_typeEPSN_NS1_7vsmem_tEENKUlT_SL_SM_SN_E_clIS8_S8_S9_S9_EESK_S10_SL_SM_SN_EUlS10_E_NS1_11comp_targetILNS1_3genE2ELNS1_11target_archE906ELNS1_3gpuE6ELNS1_3repE0EEENS1_48merge_mergepath_partition_config_static_selectorELNS0_4arch9wavefront6targetE0EEEvSM_.kd
    .uniform_work_group_size: 1
    .uses_dynamic_stack: false
    .vgpr_count:     0
    .vgpr_spill_count: 0
    .wavefront_size: 32
  - .args:
      - .offset:         0
        .size:           56
        .value_kind:     by_value
    .group_segment_fixed_size: 0
    .kernarg_segment_align: 8
    .kernarg_segment_size: 56
    .language:       OpenCL C
    .language_version:
      - 2
      - 0
    .max_flat_workgroup_size: 128
    .name:           _ZN7rocprim17ROCPRIM_400000_NS6detail17trampoline_kernelINS0_14default_configENS1_38merge_sort_block_merge_config_selectorIlNS0_10empty_typeEEEZZNS1_27merge_sort_block_merge_implIS3_PlPS5_mZN2at6native12_GLOBAL__N_124unique_dim_cuda_templateIjEESt5tupleIJNSA_6TensorESF_SF_EERKSF_lbbbEUlllE_EE10hipError_tT0_T1_T2_jT3_P12ihipStream_tbPNSt15iterator_traitsISL_E10value_typeEPNSR_ISM_E10value_typeEPSN_NS1_7vsmem_tEENKUlT_SL_SM_SN_E_clIS8_S8_S9_S9_EESK_S10_SL_SM_SN_EUlS10_E_NS1_11comp_targetILNS1_3genE9ELNS1_11target_archE1100ELNS1_3gpuE3ELNS1_3repE0EEENS1_48merge_mergepath_partition_config_static_selectorELNS0_4arch9wavefront6targetE0EEEvSM_
    .private_segment_fixed_size: 0
    .sgpr_count:     0
    .sgpr_spill_count: 0
    .symbol:         _ZN7rocprim17ROCPRIM_400000_NS6detail17trampoline_kernelINS0_14default_configENS1_38merge_sort_block_merge_config_selectorIlNS0_10empty_typeEEEZZNS1_27merge_sort_block_merge_implIS3_PlPS5_mZN2at6native12_GLOBAL__N_124unique_dim_cuda_templateIjEESt5tupleIJNSA_6TensorESF_SF_EERKSF_lbbbEUlllE_EE10hipError_tT0_T1_T2_jT3_P12ihipStream_tbPNSt15iterator_traitsISL_E10value_typeEPNSR_ISM_E10value_typeEPSN_NS1_7vsmem_tEENKUlT_SL_SM_SN_E_clIS8_S8_S9_S9_EESK_S10_SL_SM_SN_EUlS10_E_NS1_11comp_targetILNS1_3genE9ELNS1_11target_archE1100ELNS1_3gpuE3ELNS1_3repE0EEENS1_48merge_mergepath_partition_config_static_selectorELNS0_4arch9wavefront6targetE0EEEvSM_.kd
    .uniform_work_group_size: 1
    .uses_dynamic_stack: false
    .vgpr_count:     0
    .vgpr_spill_count: 0
    .wavefront_size: 32
  - .args:
      - .offset:         0
        .size:           56
        .value_kind:     by_value
    .group_segment_fixed_size: 0
    .kernarg_segment_align: 8
    .kernarg_segment_size: 56
    .language:       OpenCL C
    .language_version:
      - 2
      - 0
    .max_flat_workgroup_size: 128
    .name:           _ZN7rocprim17ROCPRIM_400000_NS6detail17trampoline_kernelINS0_14default_configENS1_38merge_sort_block_merge_config_selectorIlNS0_10empty_typeEEEZZNS1_27merge_sort_block_merge_implIS3_PlPS5_mZN2at6native12_GLOBAL__N_124unique_dim_cuda_templateIjEESt5tupleIJNSA_6TensorESF_SF_EERKSF_lbbbEUlllE_EE10hipError_tT0_T1_T2_jT3_P12ihipStream_tbPNSt15iterator_traitsISL_E10value_typeEPNSR_ISM_E10value_typeEPSN_NS1_7vsmem_tEENKUlT_SL_SM_SN_E_clIS8_S8_S9_S9_EESK_S10_SL_SM_SN_EUlS10_E_NS1_11comp_targetILNS1_3genE8ELNS1_11target_archE1030ELNS1_3gpuE2ELNS1_3repE0EEENS1_48merge_mergepath_partition_config_static_selectorELNS0_4arch9wavefront6targetE0EEEvSM_
    .private_segment_fixed_size: 0
    .sgpr_count:     0
    .sgpr_spill_count: 0
    .symbol:         _ZN7rocprim17ROCPRIM_400000_NS6detail17trampoline_kernelINS0_14default_configENS1_38merge_sort_block_merge_config_selectorIlNS0_10empty_typeEEEZZNS1_27merge_sort_block_merge_implIS3_PlPS5_mZN2at6native12_GLOBAL__N_124unique_dim_cuda_templateIjEESt5tupleIJNSA_6TensorESF_SF_EERKSF_lbbbEUlllE_EE10hipError_tT0_T1_T2_jT3_P12ihipStream_tbPNSt15iterator_traitsISL_E10value_typeEPNSR_ISM_E10value_typeEPSN_NS1_7vsmem_tEENKUlT_SL_SM_SN_E_clIS8_S8_S9_S9_EESK_S10_SL_SM_SN_EUlS10_E_NS1_11comp_targetILNS1_3genE8ELNS1_11target_archE1030ELNS1_3gpuE2ELNS1_3repE0EEENS1_48merge_mergepath_partition_config_static_selectorELNS0_4arch9wavefront6targetE0EEEvSM_.kd
    .uniform_work_group_size: 1
    .uses_dynamic_stack: false
    .vgpr_count:     0
    .vgpr_spill_count: 0
    .wavefront_size: 32
  - .args:
      - .offset:         0
        .size:           88
        .value_kind:     by_value
      - .offset:         88
        .size:           4
        .value_kind:     hidden_block_count_x
      - .offset:         92
        .size:           4
        .value_kind:     hidden_block_count_y
      - .offset:         96
        .size:           4
        .value_kind:     hidden_block_count_z
      - .offset:         100
        .size:           2
        .value_kind:     hidden_group_size_x
      - .offset:         102
        .size:           2
        .value_kind:     hidden_group_size_y
      - .offset:         104
        .size:           2
        .value_kind:     hidden_group_size_z
      - .offset:         106
        .size:           2
        .value_kind:     hidden_remainder_x
      - .offset:         108
        .size:           2
        .value_kind:     hidden_remainder_y
      - .offset:         110
        .size:           2
        .value_kind:     hidden_remainder_z
      - .offset:         128
        .size:           8
        .value_kind:     hidden_global_offset_x
      - .offset:         136
        .size:           8
        .value_kind:     hidden_global_offset_y
      - .offset:         144
        .size:           8
        .value_kind:     hidden_global_offset_z
      - .offset:         152
        .size:           2
        .value_kind:     hidden_grid_dims
    .group_segment_fixed_size: 8448
    .kernarg_segment_align: 8
    .kernarg_segment_size: 344
    .language:       OpenCL C
    .language_version:
      - 2
      - 0
    .max_flat_workgroup_size: 128
    .name:           _ZN7rocprim17ROCPRIM_400000_NS6detail17trampoline_kernelINS0_14default_configENS1_38merge_sort_block_merge_config_selectorIlNS0_10empty_typeEEEZZNS1_27merge_sort_block_merge_implIS3_PlPS5_mZN2at6native12_GLOBAL__N_124unique_dim_cuda_templateIjEESt5tupleIJNSA_6TensorESF_SF_EERKSF_lbbbEUlllE_EE10hipError_tT0_T1_T2_jT3_P12ihipStream_tbPNSt15iterator_traitsISL_E10value_typeEPNSR_ISM_E10value_typeEPSN_NS1_7vsmem_tEENKUlT_SL_SM_SN_E_clIS8_S8_S9_S9_EESK_S10_SL_SM_SN_EUlS10_E0_NS1_11comp_targetILNS1_3genE0ELNS1_11target_archE4294967295ELNS1_3gpuE0ELNS1_3repE0EEENS1_38merge_mergepath_config_static_selectorELNS0_4arch9wavefront6targetE0EEEvSM_
    .private_segment_fixed_size: 0
    .sgpr_count:     33
    .sgpr_spill_count: 0
    .symbol:         _ZN7rocprim17ROCPRIM_400000_NS6detail17trampoline_kernelINS0_14default_configENS1_38merge_sort_block_merge_config_selectorIlNS0_10empty_typeEEEZZNS1_27merge_sort_block_merge_implIS3_PlPS5_mZN2at6native12_GLOBAL__N_124unique_dim_cuda_templateIjEESt5tupleIJNSA_6TensorESF_SF_EERKSF_lbbbEUlllE_EE10hipError_tT0_T1_T2_jT3_P12ihipStream_tbPNSt15iterator_traitsISL_E10value_typeEPNSR_ISM_E10value_typeEPSN_NS1_7vsmem_tEENKUlT_SL_SM_SN_E_clIS8_S8_S9_S9_EESK_S10_SL_SM_SN_EUlS10_E0_NS1_11comp_targetILNS1_3genE0ELNS1_11target_archE4294967295ELNS1_3gpuE0ELNS1_3repE0EEENS1_38merge_mergepath_config_static_selectorELNS0_4arch9wavefront6targetE0EEEvSM_.kd
    .uniform_work_group_size: 1
    .uses_dynamic_stack: false
    .vgpr_count:     40
    .vgpr_spill_count: 0
    .wavefront_size: 32
  - .args:
      - .offset:         0
        .size:           88
        .value_kind:     by_value
    .group_segment_fixed_size: 0
    .kernarg_segment_align: 8
    .kernarg_segment_size: 88
    .language:       OpenCL C
    .language_version:
      - 2
      - 0
    .max_flat_workgroup_size: 512
    .name:           _ZN7rocprim17ROCPRIM_400000_NS6detail17trampoline_kernelINS0_14default_configENS1_38merge_sort_block_merge_config_selectorIlNS0_10empty_typeEEEZZNS1_27merge_sort_block_merge_implIS3_PlPS5_mZN2at6native12_GLOBAL__N_124unique_dim_cuda_templateIjEESt5tupleIJNSA_6TensorESF_SF_EERKSF_lbbbEUlllE_EE10hipError_tT0_T1_T2_jT3_P12ihipStream_tbPNSt15iterator_traitsISL_E10value_typeEPNSR_ISM_E10value_typeEPSN_NS1_7vsmem_tEENKUlT_SL_SM_SN_E_clIS8_S8_S9_S9_EESK_S10_SL_SM_SN_EUlS10_E0_NS1_11comp_targetILNS1_3genE10ELNS1_11target_archE1201ELNS1_3gpuE5ELNS1_3repE0EEENS1_38merge_mergepath_config_static_selectorELNS0_4arch9wavefront6targetE0EEEvSM_
    .private_segment_fixed_size: 0
    .sgpr_count:     0
    .sgpr_spill_count: 0
    .symbol:         _ZN7rocprim17ROCPRIM_400000_NS6detail17trampoline_kernelINS0_14default_configENS1_38merge_sort_block_merge_config_selectorIlNS0_10empty_typeEEEZZNS1_27merge_sort_block_merge_implIS3_PlPS5_mZN2at6native12_GLOBAL__N_124unique_dim_cuda_templateIjEESt5tupleIJNSA_6TensorESF_SF_EERKSF_lbbbEUlllE_EE10hipError_tT0_T1_T2_jT3_P12ihipStream_tbPNSt15iterator_traitsISL_E10value_typeEPNSR_ISM_E10value_typeEPSN_NS1_7vsmem_tEENKUlT_SL_SM_SN_E_clIS8_S8_S9_S9_EESK_S10_SL_SM_SN_EUlS10_E0_NS1_11comp_targetILNS1_3genE10ELNS1_11target_archE1201ELNS1_3gpuE5ELNS1_3repE0EEENS1_38merge_mergepath_config_static_selectorELNS0_4arch9wavefront6targetE0EEEvSM_.kd
    .uniform_work_group_size: 1
    .uses_dynamic_stack: false
    .vgpr_count:     0
    .vgpr_spill_count: 0
    .wavefront_size: 32
  - .args:
      - .offset:         0
        .size:           88
        .value_kind:     by_value
    .group_segment_fixed_size: 0
    .kernarg_segment_align: 8
    .kernarg_segment_size: 88
    .language:       OpenCL C
    .language_version:
      - 2
      - 0
    .max_flat_workgroup_size: 128
    .name:           _ZN7rocprim17ROCPRIM_400000_NS6detail17trampoline_kernelINS0_14default_configENS1_38merge_sort_block_merge_config_selectorIlNS0_10empty_typeEEEZZNS1_27merge_sort_block_merge_implIS3_PlPS5_mZN2at6native12_GLOBAL__N_124unique_dim_cuda_templateIjEESt5tupleIJNSA_6TensorESF_SF_EERKSF_lbbbEUlllE_EE10hipError_tT0_T1_T2_jT3_P12ihipStream_tbPNSt15iterator_traitsISL_E10value_typeEPNSR_ISM_E10value_typeEPSN_NS1_7vsmem_tEENKUlT_SL_SM_SN_E_clIS8_S8_S9_S9_EESK_S10_SL_SM_SN_EUlS10_E0_NS1_11comp_targetILNS1_3genE5ELNS1_11target_archE942ELNS1_3gpuE9ELNS1_3repE0EEENS1_38merge_mergepath_config_static_selectorELNS0_4arch9wavefront6targetE0EEEvSM_
    .private_segment_fixed_size: 0
    .sgpr_count:     0
    .sgpr_spill_count: 0
    .symbol:         _ZN7rocprim17ROCPRIM_400000_NS6detail17trampoline_kernelINS0_14default_configENS1_38merge_sort_block_merge_config_selectorIlNS0_10empty_typeEEEZZNS1_27merge_sort_block_merge_implIS3_PlPS5_mZN2at6native12_GLOBAL__N_124unique_dim_cuda_templateIjEESt5tupleIJNSA_6TensorESF_SF_EERKSF_lbbbEUlllE_EE10hipError_tT0_T1_T2_jT3_P12ihipStream_tbPNSt15iterator_traitsISL_E10value_typeEPNSR_ISM_E10value_typeEPSN_NS1_7vsmem_tEENKUlT_SL_SM_SN_E_clIS8_S8_S9_S9_EESK_S10_SL_SM_SN_EUlS10_E0_NS1_11comp_targetILNS1_3genE5ELNS1_11target_archE942ELNS1_3gpuE9ELNS1_3repE0EEENS1_38merge_mergepath_config_static_selectorELNS0_4arch9wavefront6targetE0EEEvSM_.kd
    .uniform_work_group_size: 1
    .uses_dynamic_stack: false
    .vgpr_count:     0
    .vgpr_spill_count: 0
    .wavefront_size: 32
  - .args:
      - .offset:         0
        .size:           88
        .value_kind:     by_value
    .group_segment_fixed_size: 0
    .kernarg_segment_align: 8
    .kernarg_segment_size: 88
    .language:       OpenCL C
    .language_version:
      - 2
      - 0
    .max_flat_workgroup_size: 256
    .name:           _ZN7rocprim17ROCPRIM_400000_NS6detail17trampoline_kernelINS0_14default_configENS1_38merge_sort_block_merge_config_selectorIlNS0_10empty_typeEEEZZNS1_27merge_sort_block_merge_implIS3_PlPS5_mZN2at6native12_GLOBAL__N_124unique_dim_cuda_templateIjEESt5tupleIJNSA_6TensorESF_SF_EERKSF_lbbbEUlllE_EE10hipError_tT0_T1_T2_jT3_P12ihipStream_tbPNSt15iterator_traitsISL_E10value_typeEPNSR_ISM_E10value_typeEPSN_NS1_7vsmem_tEENKUlT_SL_SM_SN_E_clIS8_S8_S9_S9_EESK_S10_SL_SM_SN_EUlS10_E0_NS1_11comp_targetILNS1_3genE4ELNS1_11target_archE910ELNS1_3gpuE8ELNS1_3repE0EEENS1_38merge_mergepath_config_static_selectorELNS0_4arch9wavefront6targetE0EEEvSM_
    .private_segment_fixed_size: 0
    .sgpr_count:     0
    .sgpr_spill_count: 0
    .symbol:         _ZN7rocprim17ROCPRIM_400000_NS6detail17trampoline_kernelINS0_14default_configENS1_38merge_sort_block_merge_config_selectorIlNS0_10empty_typeEEEZZNS1_27merge_sort_block_merge_implIS3_PlPS5_mZN2at6native12_GLOBAL__N_124unique_dim_cuda_templateIjEESt5tupleIJNSA_6TensorESF_SF_EERKSF_lbbbEUlllE_EE10hipError_tT0_T1_T2_jT3_P12ihipStream_tbPNSt15iterator_traitsISL_E10value_typeEPNSR_ISM_E10value_typeEPSN_NS1_7vsmem_tEENKUlT_SL_SM_SN_E_clIS8_S8_S9_S9_EESK_S10_SL_SM_SN_EUlS10_E0_NS1_11comp_targetILNS1_3genE4ELNS1_11target_archE910ELNS1_3gpuE8ELNS1_3repE0EEENS1_38merge_mergepath_config_static_selectorELNS0_4arch9wavefront6targetE0EEEvSM_.kd
    .uniform_work_group_size: 1
    .uses_dynamic_stack: false
    .vgpr_count:     0
    .vgpr_spill_count: 0
    .wavefront_size: 32
  - .args:
      - .offset:         0
        .size:           88
        .value_kind:     by_value
    .group_segment_fixed_size: 0
    .kernarg_segment_align: 8
    .kernarg_segment_size: 88
    .language:       OpenCL C
    .language_version:
      - 2
      - 0
    .max_flat_workgroup_size: 128
    .name:           _ZN7rocprim17ROCPRIM_400000_NS6detail17trampoline_kernelINS0_14default_configENS1_38merge_sort_block_merge_config_selectorIlNS0_10empty_typeEEEZZNS1_27merge_sort_block_merge_implIS3_PlPS5_mZN2at6native12_GLOBAL__N_124unique_dim_cuda_templateIjEESt5tupleIJNSA_6TensorESF_SF_EERKSF_lbbbEUlllE_EE10hipError_tT0_T1_T2_jT3_P12ihipStream_tbPNSt15iterator_traitsISL_E10value_typeEPNSR_ISM_E10value_typeEPSN_NS1_7vsmem_tEENKUlT_SL_SM_SN_E_clIS8_S8_S9_S9_EESK_S10_SL_SM_SN_EUlS10_E0_NS1_11comp_targetILNS1_3genE3ELNS1_11target_archE908ELNS1_3gpuE7ELNS1_3repE0EEENS1_38merge_mergepath_config_static_selectorELNS0_4arch9wavefront6targetE0EEEvSM_
    .private_segment_fixed_size: 0
    .sgpr_count:     0
    .sgpr_spill_count: 0
    .symbol:         _ZN7rocprim17ROCPRIM_400000_NS6detail17trampoline_kernelINS0_14default_configENS1_38merge_sort_block_merge_config_selectorIlNS0_10empty_typeEEEZZNS1_27merge_sort_block_merge_implIS3_PlPS5_mZN2at6native12_GLOBAL__N_124unique_dim_cuda_templateIjEESt5tupleIJNSA_6TensorESF_SF_EERKSF_lbbbEUlllE_EE10hipError_tT0_T1_T2_jT3_P12ihipStream_tbPNSt15iterator_traitsISL_E10value_typeEPNSR_ISM_E10value_typeEPSN_NS1_7vsmem_tEENKUlT_SL_SM_SN_E_clIS8_S8_S9_S9_EESK_S10_SL_SM_SN_EUlS10_E0_NS1_11comp_targetILNS1_3genE3ELNS1_11target_archE908ELNS1_3gpuE7ELNS1_3repE0EEENS1_38merge_mergepath_config_static_selectorELNS0_4arch9wavefront6targetE0EEEvSM_.kd
    .uniform_work_group_size: 1
    .uses_dynamic_stack: false
    .vgpr_count:     0
    .vgpr_spill_count: 0
    .wavefront_size: 32
  - .args:
      - .offset:         0
        .size:           88
        .value_kind:     by_value
    .group_segment_fixed_size: 0
    .kernarg_segment_align: 8
    .kernarg_segment_size: 88
    .language:       OpenCL C
    .language_version:
      - 2
      - 0
    .max_flat_workgroup_size: 256
    .name:           _ZN7rocprim17ROCPRIM_400000_NS6detail17trampoline_kernelINS0_14default_configENS1_38merge_sort_block_merge_config_selectorIlNS0_10empty_typeEEEZZNS1_27merge_sort_block_merge_implIS3_PlPS5_mZN2at6native12_GLOBAL__N_124unique_dim_cuda_templateIjEESt5tupleIJNSA_6TensorESF_SF_EERKSF_lbbbEUlllE_EE10hipError_tT0_T1_T2_jT3_P12ihipStream_tbPNSt15iterator_traitsISL_E10value_typeEPNSR_ISM_E10value_typeEPSN_NS1_7vsmem_tEENKUlT_SL_SM_SN_E_clIS8_S8_S9_S9_EESK_S10_SL_SM_SN_EUlS10_E0_NS1_11comp_targetILNS1_3genE2ELNS1_11target_archE906ELNS1_3gpuE6ELNS1_3repE0EEENS1_38merge_mergepath_config_static_selectorELNS0_4arch9wavefront6targetE0EEEvSM_
    .private_segment_fixed_size: 0
    .sgpr_count:     0
    .sgpr_spill_count: 0
    .symbol:         _ZN7rocprim17ROCPRIM_400000_NS6detail17trampoline_kernelINS0_14default_configENS1_38merge_sort_block_merge_config_selectorIlNS0_10empty_typeEEEZZNS1_27merge_sort_block_merge_implIS3_PlPS5_mZN2at6native12_GLOBAL__N_124unique_dim_cuda_templateIjEESt5tupleIJNSA_6TensorESF_SF_EERKSF_lbbbEUlllE_EE10hipError_tT0_T1_T2_jT3_P12ihipStream_tbPNSt15iterator_traitsISL_E10value_typeEPNSR_ISM_E10value_typeEPSN_NS1_7vsmem_tEENKUlT_SL_SM_SN_E_clIS8_S8_S9_S9_EESK_S10_SL_SM_SN_EUlS10_E0_NS1_11comp_targetILNS1_3genE2ELNS1_11target_archE906ELNS1_3gpuE6ELNS1_3repE0EEENS1_38merge_mergepath_config_static_selectorELNS0_4arch9wavefront6targetE0EEEvSM_.kd
    .uniform_work_group_size: 1
    .uses_dynamic_stack: false
    .vgpr_count:     0
    .vgpr_spill_count: 0
    .wavefront_size: 32
  - .args:
      - .offset:         0
        .size:           88
        .value_kind:     by_value
    .group_segment_fixed_size: 0
    .kernarg_segment_align: 8
    .kernarg_segment_size: 88
    .language:       OpenCL C
    .language_version:
      - 2
      - 0
    .max_flat_workgroup_size: 512
    .name:           _ZN7rocprim17ROCPRIM_400000_NS6detail17trampoline_kernelINS0_14default_configENS1_38merge_sort_block_merge_config_selectorIlNS0_10empty_typeEEEZZNS1_27merge_sort_block_merge_implIS3_PlPS5_mZN2at6native12_GLOBAL__N_124unique_dim_cuda_templateIjEESt5tupleIJNSA_6TensorESF_SF_EERKSF_lbbbEUlllE_EE10hipError_tT0_T1_T2_jT3_P12ihipStream_tbPNSt15iterator_traitsISL_E10value_typeEPNSR_ISM_E10value_typeEPSN_NS1_7vsmem_tEENKUlT_SL_SM_SN_E_clIS8_S8_S9_S9_EESK_S10_SL_SM_SN_EUlS10_E0_NS1_11comp_targetILNS1_3genE9ELNS1_11target_archE1100ELNS1_3gpuE3ELNS1_3repE0EEENS1_38merge_mergepath_config_static_selectorELNS0_4arch9wavefront6targetE0EEEvSM_
    .private_segment_fixed_size: 0
    .sgpr_count:     0
    .sgpr_spill_count: 0
    .symbol:         _ZN7rocprim17ROCPRIM_400000_NS6detail17trampoline_kernelINS0_14default_configENS1_38merge_sort_block_merge_config_selectorIlNS0_10empty_typeEEEZZNS1_27merge_sort_block_merge_implIS3_PlPS5_mZN2at6native12_GLOBAL__N_124unique_dim_cuda_templateIjEESt5tupleIJNSA_6TensorESF_SF_EERKSF_lbbbEUlllE_EE10hipError_tT0_T1_T2_jT3_P12ihipStream_tbPNSt15iterator_traitsISL_E10value_typeEPNSR_ISM_E10value_typeEPSN_NS1_7vsmem_tEENKUlT_SL_SM_SN_E_clIS8_S8_S9_S9_EESK_S10_SL_SM_SN_EUlS10_E0_NS1_11comp_targetILNS1_3genE9ELNS1_11target_archE1100ELNS1_3gpuE3ELNS1_3repE0EEENS1_38merge_mergepath_config_static_selectorELNS0_4arch9wavefront6targetE0EEEvSM_.kd
    .uniform_work_group_size: 1
    .uses_dynamic_stack: false
    .vgpr_count:     0
    .vgpr_spill_count: 0
    .wavefront_size: 32
  - .args:
      - .offset:         0
        .size:           88
        .value_kind:     by_value
    .group_segment_fixed_size: 0
    .kernarg_segment_align: 8
    .kernarg_segment_size: 88
    .language:       OpenCL C
    .language_version:
      - 2
      - 0
    .max_flat_workgroup_size: 1024
    .name:           _ZN7rocprim17ROCPRIM_400000_NS6detail17trampoline_kernelINS0_14default_configENS1_38merge_sort_block_merge_config_selectorIlNS0_10empty_typeEEEZZNS1_27merge_sort_block_merge_implIS3_PlPS5_mZN2at6native12_GLOBAL__N_124unique_dim_cuda_templateIjEESt5tupleIJNSA_6TensorESF_SF_EERKSF_lbbbEUlllE_EE10hipError_tT0_T1_T2_jT3_P12ihipStream_tbPNSt15iterator_traitsISL_E10value_typeEPNSR_ISM_E10value_typeEPSN_NS1_7vsmem_tEENKUlT_SL_SM_SN_E_clIS8_S8_S9_S9_EESK_S10_SL_SM_SN_EUlS10_E0_NS1_11comp_targetILNS1_3genE8ELNS1_11target_archE1030ELNS1_3gpuE2ELNS1_3repE0EEENS1_38merge_mergepath_config_static_selectorELNS0_4arch9wavefront6targetE0EEEvSM_
    .private_segment_fixed_size: 0
    .sgpr_count:     0
    .sgpr_spill_count: 0
    .symbol:         _ZN7rocprim17ROCPRIM_400000_NS6detail17trampoline_kernelINS0_14default_configENS1_38merge_sort_block_merge_config_selectorIlNS0_10empty_typeEEEZZNS1_27merge_sort_block_merge_implIS3_PlPS5_mZN2at6native12_GLOBAL__N_124unique_dim_cuda_templateIjEESt5tupleIJNSA_6TensorESF_SF_EERKSF_lbbbEUlllE_EE10hipError_tT0_T1_T2_jT3_P12ihipStream_tbPNSt15iterator_traitsISL_E10value_typeEPNSR_ISM_E10value_typeEPSN_NS1_7vsmem_tEENKUlT_SL_SM_SN_E_clIS8_S8_S9_S9_EESK_S10_SL_SM_SN_EUlS10_E0_NS1_11comp_targetILNS1_3genE8ELNS1_11target_archE1030ELNS1_3gpuE2ELNS1_3repE0EEENS1_38merge_mergepath_config_static_selectorELNS0_4arch9wavefront6targetE0EEEvSM_.kd
    .uniform_work_group_size: 1
    .uses_dynamic_stack: false
    .vgpr_count:     0
    .vgpr_spill_count: 0
    .wavefront_size: 32
  - .args:
      - .offset:         0
        .size:           64
        .value_kind:     by_value
    .group_segment_fixed_size: 0
    .kernarg_segment_align: 8
    .kernarg_segment_size: 64
    .language:       OpenCL C
    .language_version:
      - 2
      - 0
    .max_flat_workgroup_size: 256
    .name:           _ZN7rocprim17ROCPRIM_400000_NS6detail17trampoline_kernelINS0_14default_configENS1_38merge_sort_block_merge_config_selectorIlNS0_10empty_typeEEEZZNS1_27merge_sort_block_merge_implIS3_PlPS5_mZN2at6native12_GLOBAL__N_124unique_dim_cuda_templateIjEESt5tupleIJNSA_6TensorESF_SF_EERKSF_lbbbEUlllE_EE10hipError_tT0_T1_T2_jT3_P12ihipStream_tbPNSt15iterator_traitsISL_E10value_typeEPNSR_ISM_E10value_typeEPSN_NS1_7vsmem_tEENKUlT_SL_SM_SN_E_clIS8_S8_S9_S9_EESK_S10_SL_SM_SN_EUlS10_E1_NS1_11comp_targetILNS1_3genE0ELNS1_11target_archE4294967295ELNS1_3gpuE0ELNS1_3repE0EEENS1_36merge_oddeven_config_static_selectorELNS0_4arch9wavefront6targetE0EEEvSM_
    .private_segment_fixed_size: 0
    .sgpr_count:     29
    .sgpr_spill_count: 0
    .symbol:         _ZN7rocprim17ROCPRIM_400000_NS6detail17trampoline_kernelINS0_14default_configENS1_38merge_sort_block_merge_config_selectorIlNS0_10empty_typeEEEZZNS1_27merge_sort_block_merge_implIS3_PlPS5_mZN2at6native12_GLOBAL__N_124unique_dim_cuda_templateIjEESt5tupleIJNSA_6TensorESF_SF_EERKSF_lbbbEUlllE_EE10hipError_tT0_T1_T2_jT3_P12ihipStream_tbPNSt15iterator_traitsISL_E10value_typeEPNSR_ISM_E10value_typeEPSN_NS1_7vsmem_tEENKUlT_SL_SM_SN_E_clIS8_S8_S9_S9_EESK_S10_SL_SM_SN_EUlS10_E1_NS1_11comp_targetILNS1_3genE0ELNS1_11target_archE4294967295ELNS1_3gpuE0ELNS1_3repE0EEENS1_36merge_oddeven_config_static_selectorELNS0_4arch9wavefront6targetE0EEEvSM_.kd
    .uniform_work_group_size: 1
    .uses_dynamic_stack: false
    .vgpr_count:     17
    .vgpr_spill_count: 0
    .wavefront_size: 32
  - .args:
      - .offset:         0
        .size:           64
        .value_kind:     by_value
    .group_segment_fixed_size: 0
    .kernarg_segment_align: 8
    .kernarg_segment_size: 64
    .language:       OpenCL C
    .language_version:
      - 2
      - 0
    .max_flat_workgroup_size: 256
    .name:           _ZN7rocprim17ROCPRIM_400000_NS6detail17trampoline_kernelINS0_14default_configENS1_38merge_sort_block_merge_config_selectorIlNS0_10empty_typeEEEZZNS1_27merge_sort_block_merge_implIS3_PlPS5_mZN2at6native12_GLOBAL__N_124unique_dim_cuda_templateIjEESt5tupleIJNSA_6TensorESF_SF_EERKSF_lbbbEUlllE_EE10hipError_tT0_T1_T2_jT3_P12ihipStream_tbPNSt15iterator_traitsISL_E10value_typeEPNSR_ISM_E10value_typeEPSN_NS1_7vsmem_tEENKUlT_SL_SM_SN_E_clIS8_S8_S9_S9_EESK_S10_SL_SM_SN_EUlS10_E1_NS1_11comp_targetILNS1_3genE10ELNS1_11target_archE1201ELNS1_3gpuE5ELNS1_3repE0EEENS1_36merge_oddeven_config_static_selectorELNS0_4arch9wavefront6targetE0EEEvSM_
    .private_segment_fixed_size: 0
    .sgpr_count:     0
    .sgpr_spill_count: 0
    .symbol:         _ZN7rocprim17ROCPRIM_400000_NS6detail17trampoline_kernelINS0_14default_configENS1_38merge_sort_block_merge_config_selectorIlNS0_10empty_typeEEEZZNS1_27merge_sort_block_merge_implIS3_PlPS5_mZN2at6native12_GLOBAL__N_124unique_dim_cuda_templateIjEESt5tupleIJNSA_6TensorESF_SF_EERKSF_lbbbEUlllE_EE10hipError_tT0_T1_T2_jT3_P12ihipStream_tbPNSt15iterator_traitsISL_E10value_typeEPNSR_ISM_E10value_typeEPSN_NS1_7vsmem_tEENKUlT_SL_SM_SN_E_clIS8_S8_S9_S9_EESK_S10_SL_SM_SN_EUlS10_E1_NS1_11comp_targetILNS1_3genE10ELNS1_11target_archE1201ELNS1_3gpuE5ELNS1_3repE0EEENS1_36merge_oddeven_config_static_selectorELNS0_4arch9wavefront6targetE0EEEvSM_.kd
    .uniform_work_group_size: 1
    .uses_dynamic_stack: false
    .vgpr_count:     0
    .vgpr_spill_count: 0
    .wavefront_size: 32
  - .args:
      - .offset:         0
        .size:           64
        .value_kind:     by_value
    .group_segment_fixed_size: 0
    .kernarg_segment_align: 8
    .kernarg_segment_size: 64
    .language:       OpenCL C
    .language_version:
      - 2
      - 0
    .max_flat_workgroup_size: 256
    .name:           _ZN7rocprim17ROCPRIM_400000_NS6detail17trampoline_kernelINS0_14default_configENS1_38merge_sort_block_merge_config_selectorIlNS0_10empty_typeEEEZZNS1_27merge_sort_block_merge_implIS3_PlPS5_mZN2at6native12_GLOBAL__N_124unique_dim_cuda_templateIjEESt5tupleIJNSA_6TensorESF_SF_EERKSF_lbbbEUlllE_EE10hipError_tT0_T1_T2_jT3_P12ihipStream_tbPNSt15iterator_traitsISL_E10value_typeEPNSR_ISM_E10value_typeEPSN_NS1_7vsmem_tEENKUlT_SL_SM_SN_E_clIS8_S8_S9_S9_EESK_S10_SL_SM_SN_EUlS10_E1_NS1_11comp_targetILNS1_3genE5ELNS1_11target_archE942ELNS1_3gpuE9ELNS1_3repE0EEENS1_36merge_oddeven_config_static_selectorELNS0_4arch9wavefront6targetE0EEEvSM_
    .private_segment_fixed_size: 0
    .sgpr_count:     0
    .sgpr_spill_count: 0
    .symbol:         _ZN7rocprim17ROCPRIM_400000_NS6detail17trampoline_kernelINS0_14default_configENS1_38merge_sort_block_merge_config_selectorIlNS0_10empty_typeEEEZZNS1_27merge_sort_block_merge_implIS3_PlPS5_mZN2at6native12_GLOBAL__N_124unique_dim_cuda_templateIjEESt5tupleIJNSA_6TensorESF_SF_EERKSF_lbbbEUlllE_EE10hipError_tT0_T1_T2_jT3_P12ihipStream_tbPNSt15iterator_traitsISL_E10value_typeEPNSR_ISM_E10value_typeEPSN_NS1_7vsmem_tEENKUlT_SL_SM_SN_E_clIS8_S8_S9_S9_EESK_S10_SL_SM_SN_EUlS10_E1_NS1_11comp_targetILNS1_3genE5ELNS1_11target_archE942ELNS1_3gpuE9ELNS1_3repE0EEENS1_36merge_oddeven_config_static_selectorELNS0_4arch9wavefront6targetE0EEEvSM_.kd
    .uniform_work_group_size: 1
    .uses_dynamic_stack: false
    .vgpr_count:     0
    .vgpr_spill_count: 0
    .wavefront_size: 32
  - .args:
      - .offset:         0
        .size:           64
        .value_kind:     by_value
    .group_segment_fixed_size: 0
    .kernarg_segment_align: 8
    .kernarg_segment_size: 64
    .language:       OpenCL C
    .language_version:
      - 2
      - 0
    .max_flat_workgroup_size: 256
    .name:           _ZN7rocprim17ROCPRIM_400000_NS6detail17trampoline_kernelINS0_14default_configENS1_38merge_sort_block_merge_config_selectorIlNS0_10empty_typeEEEZZNS1_27merge_sort_block_merge_implIS3_PlPS5_mZN2at6native12_GLOBAL__N_124unique_dim_cuda_templateIjEESt5tupleIJNSA_6TensorESF_SF_EERKSF_lbbbEUlllE_EE10hipError_tT0_T1_T2_jT3_P12ihipStream_tbPNSt15iterator_traitsISL_E10value_typeEPNSR_ISM_E10value_typeEPSN_NS1_7vsmem_tEENKUlT_SL_SM_SN_E_clIS8_S8_S9_S9_EESK_S10_SL_SM_SN_EUlS10_E1_NS1_11comp_targetILNS1_3genE4ELNS1_11target_archE910ELNS1_3gpuE8ELNS1_3repE0EEENS1_36merge_oddeven_config_static_selectorELNS0_4arch9wavefront6targetE0EEEvSM_
    .private_segment_fixed_size: 0
    .sgpr_count:     0
    .sgpr_spill_count: 0
    .symbol:         _ZN7rocprim17ROCPRIM_400000_NS6detail17trampoline_kernelINS0_14default_configENS1_38merge_sort_block_merge_config_selectorIlNS0_10empty_typeEEEZZNS1_27merge_sort_block_merge_implIS3_PlPS5_mZN2at6native12_GLOBAL__N_124unique_dim_cuda_templateIjEESt5tupleIJNSA_6TensorESF_SF_EERKSF_lbbbEUlllE_EE10hipError_tT0_T1_T2_jT3_P12ihipStream_tbPNSt15iterator_traitsISL_E10value_typeEPNSR_ISM_E10value_typeEPSN_NS1_7vsmem_tEENKUlT_SL_SM_SN_E_clIS8_S8_S9_S9_EESK_S10_SL_SM_SN_EUlS10_E1_NS1_11comp_targetILNS1_3genE4ELNS1_11target_archE910ELNS1_3gpuE8ELNS1_3repE0EEENS1_36merge_oddeven_config_static_selectorELNS0_4arch9wavefront6targetE0EEEvSM_.kd
    .uniform_work_group_size: 1
    .uses_dynamic_stack: false
    .vgpr_count:     0
    .vgpr_spill_count: 0
    .wavefront_size: 32
  - .args:
      - .offset:         0
        .size:           64
        .value_kind:     by_value
    .group_segment_fixed_size: 0
    .kernarg_segment_align: 8
    .kernarg_segment_size: 64
    .language:       OpenCL C
    .language_version:
      - 2
      - 0
    .max_flat_workgroup_size: 256
    .name:           _ZN7rocprim17ROCPRIM_400000_NS6detail17trampoline_kernelINS0_14default_configENS1_38merge_sort_block_merge_config_selectorIlNS0_10empty_typeEEEZZNS1_27merge_sort_block_merge_implIS3_PlPS5_mZN2at6native12_GLOBAL__N_124unique_dim_cuda_templateIjEESt5tupleIJNSA_6TensorESF_SF_EERKSF_lbbbEUlllE_EE10hipError_tT0_T1_T2_jT3_P12ihipStream_tbPNSt15iterator_traitsISL_E10value_typeEPNSR_ISM_E10value_typeEPSN_NS1_7vsmem_tEENKUlT_SL_SM_SN_E_clIS8_S8_S9_S9_EESK_S10_SL_SM_SN_EUlS10_E1_NS1_11comp_targetILNS1_3genE3ELNS1_11target_archE908ELNS1_3gpuE7ELNS1_3repE0EEENS1_36merge_oddeven_config_static_selectorELNS0_4arch9wavefront6targetE0EEEvSM_
    .private_segment_fixed_size: 0
    .sgpr_count:     0
    .sgpr_spill_count: 0
    .symbol:         _ZN7rocprim17ROCPRIM_400000_NS6detail17trampoline_kernelINS0_14default_configENS1_38merge_sort_block_merge_config_selectorIlNS0_10empty_typeEEEZZNS1_27merge_sort_block_merge_implIS3_PlPS5_mZN2at6native12_GLOBAL__N_124unique_dim_cuda_templateIjEESt5tupleIJNSA_6TensorESF_SF_EERKSF_lbbbEUlllE_EE10hipError_tT0_T1_T2_jT3_P12ihipStream_tbPNSt15iterator_traitsISL_E10value_typeEPNSR_ISM_E10value_typeEPSN_NS1_7vsmem_tEENKUlT_SL_SM_SN_E_clIS8_S8_S9_S9_EESK_S10_SL_SM_SN_EUlS10_E1_NS1_11comp_targetILNS1_3genE3ELNS1_11target_archE908ELNS1_3gpuE7ELNS1_3repE0EEENS1_36merge_oddeven_config_static_selectorELNS0_4arch9wavefront6targetE0EEEvSM_.kd
    .uniform_work_group_size: 1
    .uses_dynamic_stack: false
    .vgpr_count:     0
    .vgpr_spill_count: 0
    .wavefront_size: 32
  - .args:
      - .offset:         0
        .size:           64
        .value_kind:     by_value
    .group_segment_fixed_size: 0
    .kernarg_segment_align: 8
    .kernarg_segment_size: 64
    .language:       OpenCL C
    .language_version:
      - 2
      - 0
    .max_flat_workgroup_size: 256
    .name:           _ZN7rocprim17ROCPRIM_400000_NS6detail17trampoline_kernelINS0_14default_configENS1_38merge_sort_block_merge_config_selectorIlNS0_10empty_typeEEEZZNS1_27merge_sort_block_merge_implIS3_PlPS5_mZN2at6native12_GLOBAL__N_124unique_dim_cuda_templateIjEESt5tupleIJNSA_6TensorESF_SF_EERKSF_lbbbEUlllE_EE10hipError_tT0_T1_T2_jT3_P12ihipStream_tbPNSt15iterator_traitsISL_E10value_typeEPNSR_ISM_E10value_typeEPSN_NS1_7vsmem_tEENKUlT_SL_SM_SN_E_clIS8_S8_S9_S9_EESK_S10_SL_SM_SN_EUlS10_E1_NS1_11comp_targetILNS1_3genE2ELNS1_11target_archE906ELNS1_3gpuE6ELNS1_3repE0EEENS1_36merge_oddeven_config_static_selectorELNS0_4arch9wavefront6targetE0EEEvSM_
    .private_segment_fixed_size: 0
    .sgpr_count:     0
    .sgpr_spill_count: 0
    .symbol:         _ZN7rocprim17ROCPRIM_400000_NS6detail17trampoline_kernelINS0_14default_configENS1_38merge_sort_block_merge_config_selectorIlNS0_10empty_typeEEEZZNS1_27merge_sort_block_merge_implIS3_PlPS5_mZN2at6native12_GLOBAL__N_124unique_dim_cuda_templateIjEESt5tupleIJNSA_6TensorESF_SF_EERKSF_lbbbEUlllE_EE10hipError_tT0_T1_T2_jT3_P12ihipStream_tbPNSt15iterator_traitsISL_E10value_typeEPNSR_ISM_E10value_typeEPSN_NS1_7vsmem_tEENKUlT_SL_SM_SN_E_clIS8_S8_S9_S9_EESK_S10_SL_SM_SN_EUlS10_E1_NS1_11comp_targetILNS1_3genE2ELNS1_11target_archE906ELNS1_3gpuE6ELNS1_3repE0EEENS1_36merge_oddeven_config_static_selectorELNS0_4arch9wavefront6targetE0EEEvSM_.kd
    .uniform_work_group_size: 1
    .uses_dynamic_stack: false
    .vgpr_count:     0
    .vgpr_spill_count: 0
    .wavefront_size: 32
  - .args:
      - .offset:         0
        .size:           64
        .value_kind:     by_value
    .group_segment_fixed_size: 0
    .kernarg_segment_align: 8
    .kernarg_segment_size: 64
    .language:       OpenCL C
    .language_version:
      - 2
      - 0
    .max_flat_workgroup_size: 256
    .name:           _ZN7rocprim17ROCPRIM_400000_NS6detail17trampoline_kernelINS0_14default_configENS1_38merge_sort_block_merge_config_selectorIlNS0_10empty_typeEEEZZNS1_27merge_sort_block_merge_implIS3_PlPS5_mZN2at6native12_GLOBAL__N_124unique_dim_cuda_templateIjEESt5tupleIJNSA_6TensorESF_SF_EERKSF_lbbbEUlllE_EE10hipError_tT0_T1_T2_jT3_P12ihipStream_tbPNSt15iterator_traitsISL_E10value_typeEPNSR_ISM_E10value_typeEPSN_NS1_7vsmem_tEENKUlT_SL_SM_SN_E_clIS8_S8_S9_S9_EESK_S10_SL_SM_SN_EUlS10_E1_NS1_11comp_targetILNS1_3genE9ELNS1_11target_archE1100ELNS1_3gpuE3ELNS1_3repE0EEENS1_36merge_oddeven_config_static_selectorELNS0_4arch9wavefront6targetE0EEEvSM_
    .private_segment_fixed_size: 0
    .sgpr_count:     0
    .sgpr_spill_count: 0
    .symbol:         _ZN7rocprim17ROCPRIM_400000_NS6detail17trampoline_kernelINS0_14default_configENS1_38merge_sort_block_merge_config_selectorIlNS0_10empty_typeEEEZZNS1_27merge_sort_block_merge_implIS3_PlPS5_mZN2at6native12_GLOBAL__N_124unique_dim_cuda_templateIjEESt5tupleIJNSA_6TensorESF_SF_EERKSF_lbbbEUlllE_EE10hipError_tT0_T1_T2_jT3_P12ihipStream_tbPNSt15iterator_traitsISL_E10value_typeEPNSR_ISM_E10value_typeEPSN_NS1_7vsmem_tEENKUlT_SL_SM_SN_E_clIS8_S8_S9_S9_EESK_S10_SL_SM_SN_EUlS10_E1_NS1_11comp_targetILNS1_3genE9ELNS1_11target_archE1100ELNS1_3gpuE3ELNS1_3repE0EEENS1_36merge_oddeven_config_static_selectorELNS0_4arch9wavefront6targetE0EEEvSM_.kd
    .uniform_work_group_size: 1
    .uses_dynamic_stack: false
    .vgpr_count:     0
    .vgpr_spill_count: 0
    .wavefront_size: 32
  - .args:
      - .offset:         0
        .size:           64
        .value_kind:     by_value
    .group_segment_fixed_size: 0
    .kernarg_segment_align: 8
    .kernarg_segment_size: 64
    .language:       OpenCL C
    .language_version:
      - 2
      - 0
    .max_flat_workgroup_size: 256
    .name:           _ZN7rocprim17ROCPRIM_400000_NS6detail17trampoline_kernelINS0_14default_configENS1_38merge_sort_block_merge_config_selectorIlNS0_10empty_typeEEEZZNS1_27merge_sort_block_merge_implIS3_PlPS5_mZN2at6native12_GLOBAL__N_124unique_dim_cuda_templateIjEESt5tupleIJNSA_6TensorESF_SF_EERKSF_lbbbEUlllE_EE10hipError_tT0_T1_T2_jT3_P12ihipStream_tbPNSt15iterator_traitsISL_E10value_typeEPNSR_ISM_E10value_typeEPSN_NS1_7vsmem_tEENKUlT_SL_SM_SN_E_clIS8_S8_S9_S9_EESK_S10_SL_SM_SN_EUlS10_E1_NS1_11comp_targetILNS1_3genE8ELNS1_11target_archE1030ELNS1_3gpuE2ELNS1_3repE0EEENS1_36merge_oddeven_config_static_selectorELNS0_4arch9wavefront6targetE0EEEvSM_
    .private_segment_fixed_size: 0
    .sgpr_count:     0
    .sgpr_spill_count: 0
    .symbol:         _ZN7rocprim17ROCPRIM_400000_NS6detail17trampoline_kernelINS0_14default_configENS1_38merge_sort_block_merge_config_selectorIlNS0_10empty_typeEEEZZNS1_27merge_sort_block_merge_implIS3_PlPS5_mZN2at6native12_GLOBAL__N_124unique_dim_cuda_templateIjEESt5tupleIJNSA_6TensorESF_SF_EERKSF_lbbbEUlllE_EE10hipError_tT0_T1_T2_jT3_P12ihipStream_tbPNSt15iterator_traitsISL_E10value_typeEPNSR_ISM_E10value_typeEPSN_NS1_7vsmem_tEENKUlT_SL_SM_SN_E_clIS8_S8_S9_S9_EESK_S10_SL_SM_SN_EUlS10_E1_NS1_11comp_targetILNS1_3genE8ELNS1_11target_archE1030ELNS1_3gpuE2ELNS1_3repE0EEENS1_36merge_oddeven_config_static_selectorELNS0_4arch9wavefront6targetE0EEEvSM_.kd
    .uniform_work_group_size: 1
    .uses_dynamic_stack: false
    .vgpr_count:     0
    .vgpr_spill_count: 0
    .wavefront_size: 32
  - .args:
      - .offset:         0
        .size:           64
        .value_kind:     by_value
    .group_segment_fixed_size: 2048
    .kernarg_segment_align: 8
    .kernarg_segment_size: 64
    .language:       OpenCL C
    .language_version:
      - 2
      - 0
    .max_flat_workgroup_size: 128
    .name:           _ZN7rocprim17ROCPRIM_400000_NS6detail17trampoline_kernelINS0_14default_configENS1_35adjacent_difference_config_selectorILb0ElEEZNS1_24adjacent_difference_implIS3_Lb0ELb0EPlS7_ZN2at6native12_GLOBAL__N_124unique_dim_cuda_templateIjEESt5tupleIJNS8_6TensorESD_SD_EERKSD_lbbbEUlllE1_EE10hipError_tPvRmT2_T3_mT4_P12ihipStream_tbEUlT_E_NS1_11comp_targetILNS1_3genE0ELNS1_11target_archE4294967295ELNS1_3gpuE0ELNS1_3repE0EEENS1_30default_config_static_selectorELNS0_4arch9wavefront6targetE0EEEvT1_
    .private_segment_fixed_size: 0
    .sgpr_count:     26
    .sgpr_spill_count: 0
    .symbol:         _ZN7rocprim17ROCPRIM_400000_NS6detail17trampoline_kernelINS0_14default_configENS1_35adjacent_difference_config_selectorILb0ElEEZNS1_24adjacent_difference_implIS3_Lb0ELb0EPlS7_ZN2at6native12_GLOBAL__N_124unique_dim_cuda_templateIjEESt5tupleIJNS8_6TensorESD_SD_EERKSD_lbbbEUlllE1_EE10hipError_tPvRmT2_T3_mT4_P12ihipStream_tbEUlT_E_NS1_11comp_targetILNS1_3genE0ELNS1_11target_archE4294967295ELNS1_3gpuE0ELNS1_3repE0EEENS1_30default_config_static_selectorELNS0_4arch9wavefront6targetE0EEEvT1_.kd
    .uniform_work_group_size: 1
    .uses_dynamic_stack: false
    .vgpr_count:     11
    .vgpr_spill_count: 0
    .wavefront_size: 32
  - .args:
      - .offset:         0
        .size:           64
        .value_kind:     by_value
    .group_segment_fixed_size: 0
    .kernarg_segment_align: 8
    .kernarg_segment_size: 64
    .language:       OpenCL C
    .language_version:
      - 2
      - 0
    .max_flat_workgroup_size: 128
    .name:           _ZN7rocprim17ROCPRIM_400000_NS6detail17trampoline_kernelINS0_14default_configENS1_35adjacent_difference_config_selectorILb0ElEEZNS1_24adjacent_difference_implIS3_Lb0ELb0EPlS7_ZN2at6native12_GLOBAL__N_124unique_dim_cuda_templateIjEESt5tupleIJNS8_6TensorESD_SD_EERKSD_lbbbEUlllE1_EE10hipError_tPvRmT2_T3_mT4_P12ihipStream_tbEUlT_E_NS1_11comp_targetILNS1_3genE10ELNS1_11target_archE1201ELNS1_3gpuE5ELNS1_3repE0EEENS1_30default_config_static_selectorELNS0_4arch9wavefront6targetE0EEEvT1_
    .private_segment_fixed_size: 0
    .sgpr_count:     0
    .sgpr_spill_count: 0
    .symbol:         _ZN7rocprim17ROCPRIM_400000_NS6detail17trampoline_kernelINS0_14default_configENS1_35adjacent_difference_config_selectorILb0ElEEZNS1_24adjacent_difference_implIS3_Lb0ELb0EPlS7_ZN2at6native12_GLOBAL__N_124unique_dim_cuda_templateIjEESt5tupleIJNS8_6TensorESD_SD_EERKSD_lbbbEUlllE1_EE10hipError_tPvRmT2_T3_mT4_P12ihipStream_tbEUlT_E_NS1_11comp_targetILNS1_3genE10ELNS1_11target_archE1201ELNS1_3gpuE5ELNS1_3repE0EEENS1_30default_config_static_selectorELNS0_4arch9wavefront6targetE0EEEvT1_.kd
    .uniform_work_group_size: 1
    .uses_dynamic_stack: false
    .vgpr_count:     0
    .vgpr_spill_count: 0
    .wavefront_size: 32
  - .args:
      - .offset:         0
        .size:           64
        .value_kind:     by_value
    .group_segment_fixed_size: 0
    .kernarg_segment_align: 8
    .kernarg_segment_size: 64
    .language:       OpenCL C
    .language_version:
      - 2
      - 0
    .max_flat_workgroup_size: 64
    .name:           _ZN7rocprim17ROCPRIM_400000_NS6detail17trampoline_kernelINS0_14default_configENS1_35adjacent_difference_config_selectorILb0ElEEZNS1_24adjacent_difference_implIS3_Lb0ELb0EPlS7_ZN2at6native12_GLOBAL__N_124unique_dim_cuda_templateIjEESt5tupleIJNS8_6TensorESD_SD_EERKSD_lbbbEUlllE1_EE10hipError_tPvRmT2_T3_mT4_P12ihipStream_tbEUlT_E_NS1_11comp_targetILNS1_3genE5ELNS1_11target_archE942ELNS1_3gpuE9ELNS1_3repE0EEENS1_30default_config_static_selectorELNS0_4arch9wavefront6targetE0EEEvT1_
    .private_segment_fixed_size: 0
    .sgpr_count:     0
    .sgpr_spill_count: 0
    .symbol:         _ZN7rocprim17ROCPRIM_400000_NS6detail17trampoline_kernelINS0_14default_configENS1_35adjacent_difference_config_selectorILb0ElEEZNS1_24adjacent_difference_implIS3_Lb0ELb0EPlS7_ZN2at6native12_GLOBAL__N_124unique_dim_cuda_templateIjEESt5tupleIJNS8_6TensorESD_SD_EERKSD_lbbbEUlllE1_EE10hipError_tPvRmT2_T3_mT4_P12ihipStream_tbEUlT_E_NS1_11comp_targetILNS1_3genE5ELNS1_11target_archE942ELNS1_3gpuE9ELNS1_3repE0EEENS1_30default_config_static_selectorELNS0_4arch9wavefront6targetE0EEEvT1_.kd
    .uniform_work_group_size: 1
    .uses_dynamic_stack: false
    .vgpr_count:     0
    .vgpr_spill_count: 0
    .wavefront_size: 32
  - .args:
      - .offset:         0
        .size:           64
        .value_kind:     by_value
    .group_segment_fixed_size: 0
    .kernarg_segment_align: 8
    .kernarg_segment_size: 64
    .language:       OpenCL C
    .language_version:
      - 2
      - 0
    .max_flat_workgroup_size: 256
    .name:           _ZN7rocprim17ROCPRIM_400000_NS6detail17trampoline_kernelINS0_14default_configENS1_35adjacent_difference_config_selectorILb0ElEEZNS1_24adjacent_difference_implIS3_Lb0ELb0EPlS7_ZN2at6native12_GLOBAL__N_124unique_dim_cuda_templateIjEESt5tupleIJNS8_6TensorESD_SD_EERKSD_lbbbEUlllE1_EE10hipError_tPvRmT2_T3_mT4_P12ihipStream_tbEUlT_E_NS1_11comp_targetILNS1_3genE4ELNS1_11target_archE910ELNS1_3gpuE8ELNS1_3repE0EEENS1_30default_config_static_selectorELNS0_4arch9wavefront6targetE0EEEvT1_
    .private_segment_fixed_size: 0
    .sgpr_count:     0
    .sgpr_spill_count: 0
    .symbol:         _ZN7rocprim17ROCPRIM_400000_NS6detail17trampoline_kernelINS0_14default_configENS1_35adjacent_difference_config_selectorILb0ElEEZNS1_24adjacent_difference_implIS3_Lb0ELb0EPlS7_ZN2at6native12_GLOBAL__N_124unique_dim_cuda_templateIjEESt5tupleIJNS8_6TensorESD_SD_EERKSD_lbbbEUlllE1_EE10hipError_tPvRmT2_T3_mT4_P12ihipStream_tbEUlT_E_NS1_11comp_targetILNS1_3genE4ELNS1_11target_archE910ELNS1_3gpuE8ELNS1_3repE0EEENS1_30default_config_static_selectorELNS0_4arch9wavefront6targetE0EEEvT1_.kd
    .uniform_work_group_size: 1
    .uses_dynamic_stack: false
    .vgpr_count:     0
    .vgpr_spill_count: 0
    .wavefront_size: 32
  - .args:
      - .offset:         0
        .size:           64
        .value_kind:     by_value
    .group_segment_fixed_size: 0
    .kernarg_segment_align: 8
    .kernarg_segment_size: 64
    .language:       OpenCL C
    .language_version:
      - 2
      - 0
    .max_flat_workgroup_size: 128
    .name:           _ZN7rocprim17ROCPRIM_400000_NS6detail17trampoline_kernelINS0_14default_configENS1_35adjacent_difference_config_selectorILb0ElEEZNS1_24adjacent_difference_implIS3_Lb0ELb0EPlS7_ZN2at6native12_GLOBAL__N_124unique_dim_cuda_templateIjEESt5tupleIJNS8_6TensorESD_SD_EERKSD_lbbbEUlllE1_EE10hipError_tPvRmT2_T3_mT4_P12ihipStream_tbEUlT_E_NS1_11comp_targetILNS1_3genE3ELNS1_11target_archE908ELNS1_3gpuE7ELNS1_3repE0EEENS1_30default_config_static_selectorELNS0_4arch9wavefront6targetE0EEEvT1_
    .private_segment_fixed_size: 0
    .sgpr_count:     0
    .sgpr_spill_count: 0
    .symbol:         _ZN7rocprim17ROCPRIM_400000_NS6detail17trampoline_kernelINS0_14default_configENS1_35adjacent_difference_config_selectorILb0ElEEZNS1_24adjacent_difference_implIS3_Lb0ELb0EPlS7_ZN2at6native12_GLOBAL__N_124unique_dim_cuda_templateIjEESt5tupleIJNS8_6TensorESD_SD_EERKSD_lbbbEUlllE1_EE10hipError_tPvRmT2_T3_mT4_P12ihipStream_tbEUlT_E_NS1_11comp_targetILNS1_3genE3ELNS1_11target_archE908ELNS1_3gpuE7ELNS1_3repE0EEENS1_30default_config_static_selectorELNS0_4arch9wavefront6targetE0EEEvT1_.kd
    .uniform_work_group_size: 1
    .uses_dynamic_stack: false
    .vgpr_count:     0
    .vgpr_spill_count: 0
    .wavefront_size: 32
  - .args:
      - .offset:         0
        .size:           64
        .value_kind:     by_value
    .group_segment_fixed_size: 0
    .kernarg_segment_align: 8
    .kernarg_segment_size: 64
    .language:       OpenCL C
    .language_version:
      - 2
      - 0
    .max_flat_workgroup_size: 128
    .name:           _ZN7rocprim17ROCPRIM_400000_NS6detail17trampoline_kernelINS0_14default_configENS1_35adjacent_difference_config_selectorILb0ElEEZNS1_24adjacent_difference_implIS3_Lb0ELb0EPlS7_ZN2at6native12_GLOBAL__N_124unique_dim_cuda_templateIjEESt5tupleIJNS8_6TensorESD_SD_EERKSD_lbbbEUlllE1_EE10hipError_tPvRmT2_T3_mT4_P12ihipStream_tbEUlT_E_NS1_11comp_targetILNS1_3genE2ELNS1_11target_archE906ELNS1_3gpuE6ELNS1_3repE0EEENS1_30default_config_static_selectorELNS0_4arch9wavefront6targetE0EEEvT1_
    .private_segment_fixed_size: 0
    .sgpr_count:     0
    .sgpr_spill_count: 0
    .symbol:         _ZN7rocprim17ROCPRIM_400000_NS6detail17trampoline_kernelINS0_14default_configENS1_35adjacent_difference_config_selectorILb0ElEEZNS1_24adjacent_difference_implIS3_Lb0ELb0EPlS7_ZN2at6native12_GLOBAL__N_124unique_dim_cuda_templateIjEESt5tupleIJNS8_6TensorESD_SD_EERKSD_lbbbEUlllE1_EE10hipError_tPvRmT2_T3_mT4_P12ihipStream_tbEUlT_E_NS1_11comp_targetILNS1_3genE2ELNS1_11target_archE906ELNS1_3gpuE6ELNS1_3repE0EEENS1_30default_config_static_selectorELNS0_4arch9wavefront6targetE0EEEvT1_.kd
    .uniform_work_group_size: 1
    .uses_dynamic_stack: false
    .vgpr_count:     0
    .vgpr_spill_count: 0
    .wavefront_size: 32
  - .args:
      - .offset:         0
        .size:           64
        .value_kind:     by_value
    .group_segment_fixed_size: 0
    .kernarg_segment_align: 8
    .kernarg_segment_size: 64
    .language:       OpenCL C
    .language_version:
      - 2
      - 0
    .max_flat_workgroup_size: 512
    .name:           _ZN7rocprim17ROCPRIM_400000_NS6detail17trampoline_kernelINS0_14default_configENS1_35adjacent_difference_config_selectorILb0ElEEZNS1_24adjacent_difference_implIS3_Lb0ELb0EPlS7_ZN2at6native12_GLOBAL__N_124unique_dim_cuda_templateIjEESt5tupleIJNS8_6TensorESD_SD_EERKSD_lbbbEUlllE1_EE10hipError_tPvRmT2_T3_mT4_P12ihipStream_tbEUlT_E_NS1_11comp_targetILNS1_3genE9ELNS1_11target_archE1100ELNS1_3gpuE3ELNS1_3repE0EEENS1_30default_config_static_selectorELNS0_4arch9wavefront6targetE0EEEvT1_
    .private_segment_fixed_size: 0
    .sgpr_count:     0
    .sgpr_spill_count: 0
    .symbol:         _ZN7rocprim17ROCPRIM_400000_NS6detail17trampoline_kernelINS0_14default_configENS1_35adjacent_difference_config_selectorILb0ElEEZNS1_24adjacent_difference_implIS3_Lb0ELb0EPlS7_ZN2at6native12_GLOBAL__N_124unique_dim_cuda_templateIjEESt5tupleIJNS8_6TensorESD_SD_EERKSD_lbbbEUlllE1_EE10hipError_tPvRmT2_T3_mT4_P12ihipStream_tbEUlT_E_NS1_11comp_targetILNS1_3genE9ELNS1_11target_archE1100ELNS1_3gpuE3ELNS1_3repE0EEENS1_30default_config_static_selectorELNS0_4arch9wavefront6targetE0EEEvT1_.kd
    .uniform_work_group_size: 1
    .uses_dynamic_stack: false
    .vgpr_count:     0
    .vgpr_spill_count: 0
    .wavefront_size: 32
  - .args:
      - .offset:         0
        .size:           64
        .value_kind:     by_value
    .group_segment_fixed_size: 0
    .kernarg_segment_align: 8
    .kernarg_segment_size: 64
    .language:       OpenCL C
    .language_version:
      - 2
      - 0
    .max_flat_workgroup_size: 1024
    .name:           _ZN7rocprim17ROCPRIM_400000_NS6detail17trampoline_kernelINS0_14default_configENS1_35adjacent_difference_config_selectorILb0ElEEZNS1_24adjacent_difference_implIS3_Lb0ELb0EPlS7_ZN2at6native12_GLOBAL__N_124unique_dim_cuda_templateIjEESt5tupleIJNS8_6TensorESD_SD_EERKSD_lbbbEUlllE1_EE10hipError_tPvRmT2_T3_mT4_P12ihipStream_tbEUlT_E_NS1_11comp_targetILNS1_3genE8ELNS1_11target_archE1030ELNS1_3gpuE2ELNS1_3repE0EEENS1_30default_config_static_selectorELNS0_4arch9wavefront6targetE0EEEvT1_
    .private_segment_fixed_size: 0
    .sgpr_count:     0
    .sgpr_spill_count: 0
    .symbol:         _ZN7rocprim17ROCPRIM_400000_NS6detail17trampoline_kernelINS0_14default_configENS1_35adjacent_difference_config_selectorILb0ElEEZNS1_24adjacent_difference_implIS3_Lb0ELb0EPlS7_ZN2at6native12_GLOBAL__N_124unique_dim_cuda_templateIjEESt5tupleIJNS8_6TensorESD_SD_EERKSD_lbbbEUlllE1_EE10hipError_tPvRmT2_T3_mT4_P12ihipStream_tbEUlT_E_NS1_11comp_targetILNS1_3genE8ELNS1_11target_archE1030ELNS1_3gpuE2ELNS1_3repE0EEENS1_30default_config_static_selectorELNS0_4arch9wavefront6targetE0EEEvT1_.kd
    .uniform_work_group_size: 1
    .uses_dynamic_stack: false
    .vgpr_count:     0
    .vgpr_spill_count: 0
    .wavefront_size: 32
  - .args:
      - .offset:         0
        .size:           56
        .value_kind:     by_value
      - .offset:         56
        .size:           4
        .value_kind:     hidden_block_count_x
      - .offset:         60
        .size:           4
        .value_kind:     hidden_block_count_y
      - .offset:         64
        .size:           4
        .value_kind:     hidden_block_count_z
      - .offset:         68
        .size:           2
        .value_kind:     hidden_group_size_x
      - .offset:         70
        .size:           2
        .value_kind:     hidden_group_size_y
      - .offset:         72
        .size:           2
        .value_kind:     hidden_group_size_z
      - .offset:         74
        .size:           2
        .value_kind:     hidden_remainder_x
      - .offset:         76
        .size:           2
        .value_kind:     hidden_remainder_y
      - .offset:         78
        .size:           2
        .value_kind:     hidden_remainder_z
      - .offset:         96
        .size:           8
        .value_kind:     hidden_global_offset_x
      - .offset:         104
        .size:           8
        .value_kind:     hidden_global_offset_y
      - .offset:         112
        .size:           8
        .value_kind:     hidden_global_offset_z
      - .offset:         120
        .size:           2
        .value_kind:     hidden_grid_dims
    .group_segment_fixed_size: 0
    .kernarg_segment_align: 8
    .kernarg_segment_size: 312
    .language:       OpenCL C
    .language_version:
      - 2
      - 0
    .max_flat_workgroup_size: 128
    .name:           _ZN7rocprim17ROCPRIM_400000_NS6detail17trampoline_kernelINS0_14default_configENS1_25transform_config_selectorIlLb0EEEZNS1_14transform_implILb0ES3_S5_NS0_18transform_iteratorINS0_17counting_iteratorImlEEZNS1_24adjacent_difference_implIS3_Lb1ELb0EPlSB_ZN2at6native12_GLOBAL__N_124unique_dim_cuda_templateIjEESt5tupleIJNSC_6TensorESH_SH_EERKSH_lbbbEUlllE1_EE10hipError_tPvRmT2_T3_mT4_P12ihipStream_tbEUlmE_lEESB_NS0_8identityIvEEEESM_SP_SQ_mSR_ST_bEUlT_E_NS1_11comp_targetILNS1_3genE0ELNS1_11target_archE4294967295ELNS1_3gpuE0ELNS1_3repE0EEENS1_30default_config_static_selectorELNS0_4arch9wavefront6targetE0EEEvT1_
    .private_segment_fixed_size: 0
    .sgpr_count:     16
    .sgpr_spill_count: 0
    .symbol:         _ZN7rocprim17ROCPRIM_400000_NS6detail17trampoline_kernelINS0_14default_configENS1_25transform_config_selectorIlLb0EEEZNS1_14transform_implILb0ES3_S5_NS0_18transform_iteratorINS0_17counting_iteratorImlEEZNS1_24adjacent_difference_implIS3_Lb1ELb0EPlSB_ZN2at6native12_GLOBAL__N_124unique_dim_cuda_templateIjEESt5tupleIJNSC_6TensorESH_SH_EERKSH_lbbbEUlllE1_EE10hipError_tPvRmT2_T3_mT4_P12ihipStream_tbEUlmE_lEESB_NS0_8identityIvEEEESM_SP_SQ_mSR_ST_bEUlT_E_NS1_11comp_targetILNS1_3genE0ELNS1_11target_archE4294967295ELNS1_3gpuE0ELNS1_3repE0EEENS1_30default_config_static_selectorELNS0_4arch9wavefront6targetE0EEEvT1_.kd
    .uniform_work_group_size: 1
    .uses_dynamic_stack: false
    .vgpr_count:     4
    .vgpr_spill_count: 0
    .wavefront_size: 32
  - .args:
      - .offset:         0
        .size:           56
        .value_kind:     by_value
    .group_segment_fixed_size: 0
    .kernarg_segment_align: 8
    .kernarg_segment_size: 56
    .language:       OpenCL C
    .language_version:
      - 2
      - 0
    .max_flat_workgroup_size: 512
    .name:           _ZN7rocprim17ROCPRIM_400000_NS6detail17trampoline_kernelINS0_14default_configENS1_25transform_config_selectorIlLb0EEEZNS1_14transform_implILb0ES3_S5_NS0_18transform_iteratorINS0_17counting_iteratorImlEEZNS1_24adjacent_difference_implIS3_Lb1ELb0EPlSB_ZN2at6native12_GLOBAL__N_124unique_dim_cuda_templateIjEESt5tupleIJNSC_6TensorESH_SH_EERKSH_lbbbEUlllE1_EE10hipError_tPvRmT2_T3_mT4_P12ihipStream_tbEUlmE_lEESB_NS0_8identityIvEEEESM_SP_SQ_mSR_ST_bEUlT_E_NS1_11comp_targetILNS1_3genE5ELNS1_11target_archE942ELNS1_3gpuE9ELNS1_3repE0EEENS1_30default_config_static_selectorELNS0_4arch9wavefront6targetE0EEEvT1_
    .private_segment_fixed_size: 0
    .sgpr_count:     0
    .sgpr_spill_count: 0
    .symbol:         _ZN7rocprim17ROCPRIM_400000_NS6detail17trampoline_kernelINS0_14default_configENS1_25transform_config_selectorIlLb0EEEZNS1_14transform_implILb0ES3_S5_NS0_18transform_iteratorINS0_17counting_iteratorImlEEZNS1_24adjacent_difference_implIS3_Lb1ELb0EPlSB_ZN2at6native12_GLOBAL__N_124unique_dim_cuda_templateIjEESt5tupleIJNSC_6TensorESH_SH_EERKSH_lbbbEUlllE1_EE10hipError_tPvRmT2_T3_mT4_P12ihipStream_tbEUlmE_lEESB_NS0_8identityIvEEEESM_SP_SQ_mSR_ST_bEUlT_E_NS1_11comp_targetILNS1_3genE5ELNS1_11target_archE942ELNS1_3gpuE9ELNS1_3repE0EEENS1_30default_config_static_selectorELNS0_4arch9wavefront6targetE0EEEvT1_.kd
    .uniform_work_group_size: 1
    .uses_dynamic_stack: false
    .vgpr_count:     0
    .vgpr_spill_count: 0
    .wavefront_size: 32
  - .args:
      - .offset:         0
        .size:           56
        .value_kind:     by_value
    .group_segment_fixed_size: 0
    .kernarg_segment_align: 8
    .kernarg_segment_size: 56
    .language:       OpenCL C
    .language_version:
      - 2
      - 0
    .max_flat_workgroup_size: 256
    .name:           _ZN7rocprim17ROCPRIM_400000_NS6detail17trampoline_kernelINS0_14default_configENS1_25transform_config_selectorIlLb0EEEZNS1_14transform_implILb0ES3_S5_NS0_18transform_iteratorINS0_17counting_iteratorImlEEZNS1_24adjacent_difference_implIS3_Lb1ELb0EPlSB_ZN2at6native12_GLOBAL__N_124unique_dim_cuda_templateIjEESt5tupleIJNSC_6TensorESH_SH_EERKSH_lbbbEUlllE1_EE10hipError_tPvRmT2_T3_mT4_P12ihipStream_tbEUlmE_lEESB_NS0_8identityIvEEEESM_SP_SQ_mSR_ST_bEUlT_E_NS1_11comp_targetILNS1_3genE4ELNS1_11target_archE910ELNS1_3gpuE8ELNS1_3repE0EEENS1_30default_config_static_selectorELNS0_4arch9wavefront6targetE0EEEvT1_
    .private_segment_fixed_size: 0
    .sgpr_count:     0
    .sgpr_spill_count: 0
    .symbol:         _ZN7rocprim17ROCPRIM_400000_NS6detail17trampoline_kernelINS0_14default_configENS1_25transform_config_selectorIlLb0EEEZNS1_14transform_implILb0ES3_S5_NS0_18transform_iteratorINS0_17counting_iteratorImlEEZNS1_24adjacent_difference_implIS3_Lb1ELb0EPlSB_ZN2at6native12_GLOBAL__N_124unique_dim_cuda_templateIjEESt5tupleIJNSC_6TensorESH_SH_EERKSH_lbbbEUlllE1_EE10hipError_tPvRmT2_T3_mT4_P12ihipStream_tbEUlmE_lEESB_NS0_8identityIvEEEESM_SP_SQ_mSR_ST_bEUlT_E_NS1_11comp_targetILNS1_3genE4ELNS1_11target_archE910ELNS1_3gpuE8ELNS1_3repE0EEENS1_30default_config_static_selectorELNS0_4arch9wavefront6targetE0EEEvT1_.kd
    .uniform_work_group_size: 1
    .uses_dynamic_stack: false
    .vgpr_count:     0
    .vgpr_spill_count: 0
    .wavefront_size: 32
  - .args:
      - .offset:         0
        .size:           56
        .value_kind:     by_value
    .group_segment_fixed_size: 0
    .kernarg_segment_align: 8
    .kernarg_segment_size: 56
    .language:       OpenCL C
    .language_version:
      - 2
      - 0
    .max_flat_workgroup_size: 128
    .name:           _ZN7rocprim17ROCPRIM_400000_NS6detail17trampoline_kernelINS0_14default_configENS1_25transform_config_selectorIlLb0EEEZNS1_14transform_implILb0ES3_S5_NS0_18transform_iteratorINS0_17counting_iteratorImlEEZNS1_24adjacent_difference_implIS3_Lb1ELb0EPlSB_ZN2at6native12_GLOBAL__N_124unique_dim_cuda_templateIjEESt5tupleIJNSC_6TensorESH_SH_EERKSH_lbbbEUlllE1_EE10hipError_tPvRmT2_T3_mT4_P12ihipStream_tbEUlmE_lEESB_NS0_8identityIvEEEESM_SP_SQ_mSR_ST_bEUlT_E_NS1_11comp_targetILNS1_3genE3ELNS1_11target_archE908ELNS1_3gpuE7ELNS1_3repE0EEENS1_30default_config_static_selectorELNS0_4arch9wavefront6targetE0EEEvT1_
    .private_segment_fixed_size: 0
    .sgpr_count:     0
    .sgpr_spill_count: 0
    .symbol:         _ZN7rocprim17ROCPRIM_400000_NS6detail17trampoline_kernelINS0_14default_configENS1_25transform_config_selectorIlLb0EEEZNS1_14transform_implILb0ES3_S5_NS0_18transform_iteratorINS0_17counting_iteratorImlEEZNS1_24adjacent_difference_implIS3_Lb1ELb0EPlSB_ZN2at6native12_GLOBAL__N_124unique_dim_cuda_templateIjEESt5tupleIJNSC_6TensorESH_SH_EERKSH_lbbbEUlllE1_EE10hipError_tPvRmT2_T3_mT4_P12ihipStream_tbEUlmE_lEESB_NS0_8identityIvEEEESM_SP_SQ_mSR_ST_bEUlT_E_NS1_11comp_targetILNS1_3genE3ELNS1_11target_archE908ELNS1_3gpuE7ELNS1_3repE0EEENS1_30default_config_static_selectorELNS0_4arch9wavefront6targetE0EEEvT1_.kd
    .uniform_work_group_size: 1
    .uses_dynamic_stack: false
    .vgpr_count:     0
    .vgpr_spill_count: 0
    .wavefront_size: 32
  - .args:
      - .offset:         0
        .size:           56
        .value_kind:     by_value
    .group_segment_fixed_size: 0
    .kernarg_segment_align: 8
    .kernarg_segment_size: 56
    .language:       OpenCL C
    .language_version:
      - 2
      - 0
    .max_flat_workgroup_size: 512
    .name:           _ZN7rocprim17ROCPRIM_400000_NS6detail17trampoline_kernelINS0_14default_configENS1_25transform_config_selectorIlLb0EEEZNS1_14transform_implILb0ES3_S5_NS0_18transform_iteratorINS0_17counting_iteratorImlEEZNS1_24adjacent_difference_implIS3_Lb1ELb0EPlSB_ZN2at6native12_GLOBAL__N_124unique_dim_cuda_templateIjEESt5tupleIJNSC_6TensorESH_SH_EERKSH_lbbbEUlllE1_EE10hipError_tPvRmT2_T3_mT4_P12ihipStream_tbEUlmE_lEESB_NS0_8identityIvEEEESM_SP_SQ_mSR_ST_bEUlT_E_NS1_11comp_targetILNS1_3genE2ELNS1_11target_archE906ELNS1_3gpuE6ELNS1_3repE0EEENS1_30default_config_static_selectorELNS0_4arch9wavefront6targetE0EEEvT1_
    .private_segment_fixed_size: 0
    .sgpr_count:     0
    .sgpr_spill_count: 0
    .symbol:         _ZN7rocprim17ROCPRIM_400000_NS6detail17trampoline_kernelINS0_14default_configENS1_25transform_config_selectorIlLb0EEEZNS1_14transform_implILb0ES3_S5_NS0_18transform_iteratorINS0_17counting_iteratorImlEEZNS1_24adjacent_difference_implIS3_Lb1ELb0EPlSB_ZN2at6native12_GLOBAL__N_124unique_dim_cuda_templateIjEESt5tupleIJNSC_6TensorESH_SH_EERKSH_lbbbEUlllE1_EE10hipError_tPvRmT2_T3_mT4_P12ihipStream_tbEUlmE_lEESB_NS0_8identityIvEEEESM_SP_SQ_mSR_ST_bEUlT_E_NS1_11comp_targetILNS1_3genE2ELNS1_11target_archE906ELNS1_3gpuE6ELNS1_3repE0EEENS1_30default_config_static_selectorELNS0_4arch9wavefront6targetE0EEEvT1_.kd
    .uniform_work_group_size: 1
    .uses_dynamic_stack: false
    .vgpr_count:     0
    .vgpr_spill_count: 0
    .wavefront_size: 32
  - .args:
      - .offset:         0
        .size:           56
        .value_kind:     by_value
    .group_segment_fixed_size: 0
    .kernarg_segment_align: 8
    .kernarg_segment_size: 56
    .language:       OpenCL C
    .language_version:
      - 2
      - 0
    .max_flat_workgroup_size: 1024
    .name:           _ZN7rocprim17ROCPRIM_400000_NS6detail17trampoline_kernelINS0_14default_configENS1_25transform_config_selectorIlLb0EEEZNS1_14transform_implILb0ES3_S5_NS0_18transform_iteratorINS0_17counting_iteratorImlEEZNS1_24adjacent_difference_implIS3_Lb1ELb0EPlSB_ZN2at6native12_GLOBAL__N_124unique_dim_cuda_templateIjEESt5tupleIJNSC_6TensorESH_SH_EERKSH_lbbbEUlllE1_EE10hipError_tPvRmT2_T3_mT4_P12ihipStream_tbEUlmE_lEESB_NS0_8identityIvEEEESM_SP_SQ_mSR_ST_bEUlT_E_NS1_11comp_targetILNS1_3genE10ELNS1_11target_archE1201ELNS1_3gpuE5ELNS1_3repE0EEENS1_30default_config_static_selectorELNS0_4arch9wavefront6targetE0EEEvT1_
    .private_segment_fixed_size: 0
    .sgpr_count:     0
    .sgpr_spill_count: 0
    .symbol:         _ZN7rocprim17ROCPRIM_400000_NS6detail17trampoline_kernelINS0_14default_configENS1_25transform_config_selectorIlLb0EEEZNS1_14transform_implILb0ES3_S5_NS0_18transform_iteratorINS0_17counting_iteratorImlEEZNS1_24adjacent_difference_implIS3_Lb1ELb0EPlSB_ZN2at6native12_GLOBAL__N_124unique_dim_cuda_templateIjEESt5tupleIJNSC_6TensorESH_SH_EERKSH_lbbbEUlllE1_EE10hipError_tPvRmT2_T3_mT4_P12ihipStream_tbEUlmE_lEESB_NS0_8identityIvEEEESM_SP_SQ_mSR_ST_bEUlT_E_NS1_11comp_targetILNS1_3genE10ELNS1_11target_archE1201ELNS1_3gpuE5ELNS1_3repE0EEENS1_30default_config_static_selectorELNS0_4arch9wavefront6targetE0EEEvT1_.kd
    .uniform_work_group_size: 1
    .uses_dynamic_stack: false
    .vgpr_count:     0
    .vgpr_spill_count: 0
    .wavefront_size: 32
  - .args:
      - .offset:         0
        .size:           56
        .value_kind:     by_value
    .group_segment_fixed_size: 0
    .kernarg_segment_align: 8
    .kernarg_segment_size: 56
    .language:       OpenCL C
    .language_version:
      - 2
      - 0
    .max_flat_workgroup_size: 512
    .name:           _ZN7rocprim17ROCPRIM_400000_NS6detail17trampoline_kernelINS0_14default_configENS1_25transform_config_selectorIlLb0EEEZNS1_14transform_implILb0ES3_S5_NS0_18transform_iteratorINS0_17counting_iteratorImlEEZNS1_24adjacent_difference_implIS3_Lb1ELb0EPlSB_ZN2at6native12_GLOBAL__N_124unique_dim_cuda_templateIjEESt5tupleIJNSC_6TensorESH_SH_EERKSH_lbbbEUlllE1_EE10hipError_tPvRmT2_T3_mT4_P12ihipStream_tbEUlmE_lEESB_NS0_8identityIvEEEESM_SP_SQ_mSR_ST_bEUlT_E_NS1_11comp_targetILNS1_3genE10ELNS1_11target_archE1200ELNS1_3gpuE4ELNS1_3repE0EEENS1_30default_config_static_selectorELNS0_4arch9wavefront6targetE0EEEvT1_
    .private_segment_fixed_size: 0
    .sgpr_count:     0
    .sgpr_spill_count: 0
    .symbol:         _ZN7rocprim17ROCPRIM_400000_NS6detail17trampoline_kernelINS0_14default_configENS1_25transform_config_selectorIlLb0EEEZNS1_14transform_implILb0ES3_S5_NS0_18transform_iteratorINS0_17counting_iteratorImlEEZNS1_24adjacent_difference_implIS3_Lb1ELb0EPlSB_ZN2at6native12_GLOBAL__N_124unique_dim_cuda_templateIjEESt5tupleIJNSC_6TensorESH_SH_EERKSH_lbbbEUlllE1_EE10hipError_tPvRmT2_T3_mT4_P12ihipStream_tbEUlmE_lEESB_NS0_8identityIvEEEESM_SP_SQ_mSR_ST_bEUlT_E_NS1_11comp_targetILNS1_3genE10ELNS1_11target_archE1200ELNS1_3gpuE4ELNS1_3repE0EEENS1_30default_config_static_selectorELNS0_4arch9wavefront6targetE0EEEvT1_.kd
    .uniform_work_group_size: 1
    .uses_dynamic_stack: false
    .vgpr_count:     0
    .vgpr_spill_count: 0
    .wavefront_size: 32
  - .args:
      - .offset:         0
        .size:           56
        .value_kind:     by_value
    .group_segment_fixed_size: 0
    .kernarg_segment_align: 8
    .kernarg_segment_size: 56
    .language:       OpenCL C
    .language_version:
      - 2
      - 0
    .max_flat_workgroup_size: 512
    .name:           _ZN7rocprim17ROCPRIM_400000_NS6detail17trampoline_kernelINS0_14default_configENS1_25transform_config_selectorIlLb0EEEZNS1_14transform_implILb0ES3_S5_NS0_18transform_iteratorINS0_17counting_iteratorImlEEZNS1_24adjacent_difference_implIS3_Lb1ELb0EPlSB_ZN2at6native12_GLOBAL__N_124unique_dim_cuda_templateIjEESt5tupleIJNSC_6TensorESH_SH_EERKSH_lbbbEUlllE1_EE10hipError_tPvRmT2_T3_mT4_P12ihipStream_tbEUlmE_lEESB_NS0_8identityIvEEEESM_SP_SQ_mSR_ST_bEUlT_E_NS1_11comp_targetILNS1_3genE9ELNS1_11target_archE1100ELNS1_3gpuE3ELNS1_3repE0EEENS1_30default_config_static_selectorELNS0_4arch9wavefront6targetE0EEEvT1_
    .private_segment_fixed_size: 0
    .sgpr_count:     0
    .sgpr_spill_count: 0
    .symbol:         _ZN7rocprim17ROCPRIM_400000_NS6detail17trampoline_kernelINS0_14default_configENS1_25transform_config_selectorIlLb0EEEZNS1_14transform_implILb0ES3_S5_NS0_18transform_iteratorINS0_17counting_iteratorImlEEZNS1_24adjacent_difference_implIS3_Lb1ELb0EPlSB_ZN2at6native12_GLOBAL__N_124unique_dim_cuda_templateIjEESt5tupleIJNSC_6TensorESH_SH_EERKSH_lbbbEUlllE1_EE10hipError_tPvRmT2_T3_mT4_P12ihipStream_tbEUlmE_lEESB_NS0_8identityIvEEEESM_SP_SQ_mSR_ST_bEUlT_E_NS1_11comp_targetILNS1_3genE9ELNS1_11target_archE1100ELNS1_3gpuE3ELNS1_3repE0EEENS1_30default_config_static_selectorELNS0_4arch9wavefront6targetE0EEEvT1_.kd
    .uniform_work_group_size: 1
    .uses_dynamic_stack: false
    .vgpr_count:     0
    .vgpr_spill_count: 0
    .wavefront_size: 32
  - .args:
      - .offset:         0
        .size:           56
        .value_kind:     by_value
    .group_segment_fixed_size: 0
    .kernarg_segment_align: 8
    .kernarg_segment_size: 56
    .language:       OpenCL C
    .language_version:
      - 2
      - 0
    .max_flat_workgroup_size: 512
    .name:           _ZN7rocprim17ROCPRIM_400000_NS6detail17trampoline_kernelINS0_14default_configENS1_25transform_config_selectorIlLb0EEEZNS1_14transform_implILb0ES3_S5_NS0_18transform_iteratorINS0_17counting_iteratorImlEEZNS1_24adjacent_difference_implIS3_Lb1ELb0EPlSB_ZN2at6native12_GLOBAL__N_124unique_dim_cuda_templateIjEESt5tupleIJNSC_6TensorESH_SH_EERKSH_lbbbEUlllE1_EE10hipError_tPvRmT2_T3_mT4_P12ihipStream_tbEUlmE_lEESB_NS0_8identityIvEEEESM_SP_SQ_mSR_ST_bEUlT_E_NS1_11comp_targetILNS1_3genE8ELNS1_11target_archE1030ELNS1_3gpuE2ELNS1_3repE0EEENS1_30default_config_static_selectorELNS0_4arch9wavefront6targetE0EEEvT1_
    .private_segment_fixed_size: 0
    .sgpr_count:     0
    .sgpr_spill_count: 0
    .symbol:         _ZN7rocprim17ROCPRIM_400000_NS6detail17trampoline_kernelINS0_14default_configENS1_25transform_config_selectorIlLb0EEEZNS1_14transform_implILb0ES3_S5_NS0_18transform_iteratorINS0_17counting_iteratorImlEEZNS1_24adjacent_difference_implIS3_Lb1ELb0EPlSB_ZN2at6native12_GLOBAL__N_124unique_dim_cuda_templateIjEESt5tupleIJNSC_6TensorESH_SH_EERKSH_lbbbEUlllE1_EE10hipError_tPvRmT2_T3_mT4_P12ihipStream_tbEUlmE_lEESB_NS0_8identityIvEEEESM_SP_SQ_mSR_ST_bEUlT_E_NS1_11comp_targetILNS1_3genE8ELNS1_11target_archE1030ELNS1_3gpuE2ELNS1_3repE0EEENS1_30default_config_static_selectorELNS0_4arch9wavefront6targetE0EEEvT1_.kd
    .uniform_work_group_size: 1
    .uses_dynamic_stack: false
    .vgpr_count:     0
    .vgpr_spill_count: 0
    .wavefront_size: 32
  - .args:
      - .offset:         0
        .size:           64
        .value_kind:     by_value
    .group_segment_fixed_size: 8448
    .kernarg_segment_align: 8
    .kernarg_segment_size: 64
    .language:       OpenCL C
    .language_version:
      - 2
      - 0
    .max_flat_workgroup_size: 512
    .name:           _ZN7rocprim17ROCPRIM_400000_NS6detail17trampoline_kernelINS0_14default_configENS1_35adjacent_difference_config_selectorILb1ElEEZNS1_24adjacent_difference_implIS3_Lb1ELb0EPlS7_ZN2at6native12_GLOBAL__N_124unique_dim_cuda_templateIjEESt5tupleIJNS8_6TensorESD_SD_EERKSD_lbbbEUlllE1_EE10hipError_tPvRmT2_T3_mT4_P12ihipStream_tbEUlT_E_NS1_11comp_targetILNS1_3genE0ELNS1_11target_archE4294967295ELNS1_3gpuE0ELNS1_3repE0EEENS1_30default_config_static_selectorELNS0_4arch9wavefront6targetE0EEEvT1_
    .private_segment_fixed_size: 0
    .sgpr_count:     31
    .sgpr_spill_count: 0
    .symbol:         _ZN7rocprim17ROCPRIM_400000_NS6detail17trampoline_kernelINS0_14default_configENS1_35adjacent_difference_config_selectorILb1ElEEZNS1_24adjacent_difference_implIS3_Lb1ELb0EPlS7_ZN2at6native12_GLOBAL__N_124unique_dim_cuda_templateIjEESt5tupleIJNS8_6TensorESD_SD_EERKSD_lbbbEUlllE1_EE10hipError_tPvRmT2_T3_mT4_P12ihipStream_tbEUlT_E_NS1_11comp_targetILNS1_3genE0ELNS1_11target_archE4294967295ELNS1_3gpuE0ELNS1_3repE0EEENS1_30default_config_static_selectorELNS0_4arch9wavefront6targetE0EEEvT1_.kd
    .uniform_work_group_size: 1
    .uses_dynamic_stack: false
    .vgpr_count:     16
    .vgpr_spill_count: 0
    .wavefront_size: 32
  - .args:
      - .offset:         0
        .size:           64
        .value_kind:     by_value
    .group_segment_fixed_size: 0
    .kernarg_segment_align: 8
    .kernarg_segment_size: 64
    .language:       OpenCL C
    .language_version:
      - 2
      - 0
    .max_flat_workgroup_size: 32
    .name:           _ZN7rocprim17ROCPRIM_400000_NS6detail17trampoline_kernelINS0_14default_configENS1_35adjacent_difference_config_selectorILb1ElEEZNS1_24adjacent_difference_implIS3_Lb1ELb0EPlS7_ZN2at6native12_GLOBAL__N_124unique_dim_cuda_templateIjEESt5tupleIJNS8_6TensorESD_SD_EERKSD_lbbbEUlllE1_EE10hipError_tPvRmT2_T3_mT4_P12ihipStream_tbEUlT_E_NS1_11comp_targetILNS1_3genE10ELNS1_11target_archE1201ELNS1_3gpuE5ELNS1_3repE0EEENS1_30default_config_static_selectorELNS0_4arch9wavefront6targetE0EEEvT1_
    .private_segment_fixed_size: 0
    .sgpr_count:     0
    .sgpr_spill_count: 0
    .symbol:         _ZN7rocprim17ROCPRIM_400000_NS6detail17trampoline_kernelINS0_14default_configENS1_35adjacent_difference_config_selectorILb1ElEEZNS1_24adjacent_difference_implIS3_Lb1ELb0EPlS7_ZN2at6native12_GLOBAL__N_124unique_dim_cuda_templateIjEESt5tupleIJNS8_6TensorESD_SD_EERKSD_lbbbEUlllE1_EE10hipError_tPvRmT2_T3_mT4_P12ihipStream_tbEUlT_E_NS1_11comp_targetILNS1_3genE10ELNS1_11target_archE1201ELNS1_3gpuE5ELNS1_3repE0EEENS1_30default_config_static_selectorELNS0_4arch9wavefront6targetE0EEEvT1_.kd
    .uniform_work_group_size: 1
    .uses_dynamic_stack: false
    .vgpr_count:     0
    .vgpr_spill_count: 0
    .wavefront_size: 32
  - .args:
      - .offset:         0
        .size:           64
        .value_kind:     by_value
    .group_segment_fixed_size: 0
    .kernarg_segment_align: 8
    .kernarg_segment_size: 64
    .language:       OpenCL C
    .language_version:
      - 2
      - 0
    .max_flat_workgroup_size: 256
    .name:           _ZN7rocprim17ROCPRIM_400000_NS6detail17trampoline_kernelINS0_14default_configENS1_35adjacent_difference_config_selectorILb1ElEEZNS1_24adjacent_difference_implIS3_Lb1ELb0EPlS7_ZN2at6native12_GLOBAL__N_124unique_dim_cuda_templateIjEESt5tupleIJNS8_6TensorESD_SD_EERKSD_lbbbEUlllE1_EE10hipError_tPvRmT2_T3_mT4_P12ihipStream_tbEUlT_E_NS1_11comp_targetILNS1_3genE5ELNS1_11target_archE942ELNS1_3gpuE9ELNS1_3repE0EEENS1_30default_config_static_selectorELNS0_4arch9wavefront6targetE0EEEvT1_
    .private_segment_fixed_size: 0
    .sgpr_count:     0
    .sgpr_spill_count: 0
    .symbol:         _ZN7rocprim17ROCPRIM_400000_NS6detail17trampoline_kernelINS0_14default_configENS1_35adjacent_difference_config_selectorILb1ElEEZNS1_24adjacent_difference_implIS3_Lb1ELb0EPlS7_ZN2at6native12_GLOBAL__N_124unique_dim_cuda_templateIjEESt5tupleIJNS8_6TensorESD_SD_EERKSD_lbbbEUlllE1_EE10hipError_tPvRmT2_T3_mT4_P12ihipStream_tbEUlT_E_NS1_11comp_targetILNS1_3genE5ELNS1_11target_archE942ELNS1_3gpuE9ELNS1_3repE0EEENS1_30default_config_static_selectorELNS0_4arch9wavefront6targetE0EEEvT1_.kd
    .uniform_work_group_size: 1
    .uses_dynamic_stack: false
    .vgpr_count:     0
    .vgpr_spill_count: 0
    .wavefront_size: 32
  - .args:
      - .offset:         0
        .size:           64
        .value_kind:     by_value
    .group_segment_fixed_size: 0
    .kernarg_segment_align: 8
    .kernarg_segment_size: 64
    .language:       OpenCL C
    .language_version:
      - 2
      - 0
    .max_flat_workgroup_size: 512
    .name:           _ZN7rocprim17ROCPRIM_400000_NS6detail17trampoline_kernelINS0_14default_configENS1_35adjacent_difference_config_selectorILb1ElEEZNS1_24adjacent_difference_implIS3_Lb1ELb0EPlS7_ZN2at6native12_GLOBAL__N_124unique_dim_cuda_templateIjEESt5tupleIJNS8_6TensorESD_SD_EERKSD_lbbbEUlllE1_EE10hipError_tPvRmT2_T3_mT4_P12ihipStream_tbEUlT_E_NS1_11comp_targetILNS1_3genE4ELNS1_11target_archE910ELNS1_3gpuE8ELNS1_3repE0EEENS1_30default_config_static_selectorELNS0_4arch9wavefront6targetE0EEEvT1_
    .private_segment_fixed_size: 0
    .sgpr_count:     0
    .sgpr_spill_count: 0
    .symbol:         _ZN7rocprim17ROCPRIM_400000_NS6detail17trampoline_kernelINS0_14default_configENS1_35adjacent_difference_config_selectorILb1ElEEZNS1_24adjacent_difference_implIS3_Lb1ELb0EPlS7_ZN2at6native12_GLOBAL__N_124unique_dim_cuda_templateIjEESt5tupleIJNS8_6TensorESD_SD_EERKSD_lbbbEUlllE1_EE10hipError_tPvRmT2_T3_mT4_P12ihipStream_tbEUlT_E_NS1_11comp_targetILNS1_3genE4ELNS1_11target_archE910ELNS1_3gpuE8ELNS1_3repE0EEENS1_30default_config_static_selectorELNS0_4arch9wavefront6targetE0EEEvT1_.kd
    .uniform_work_group_size: 1
    .uses_dynamic_stack: false
    .vgpr_count:     0
    .vgpr_spill_count: 0
    .wavefront_size: 32
  - .args:
      - .offset:         0
        .size:           64
        .value_kind:     by_value
    .group_segment_fixed_size: 0
    .kernarg_segment_align: 8
    .kernarg_segment_size: 64
    .language:       OpenCL C
    .language_version:
      - 2
      - 0
    .max_flat_workgroup_size: 512
    .name:           _ZN7rocprim17ROCPRIM_400000_NS6detail17trampoline_kernelINS0_14default_configENS1_35adjacent_difference_config_selectorILb1ElEEZNS1_24adjacent_difference_implIS3_Lb1ELb0EPlS7_ZN2at6native12_GLOBAL__N_124unique_dim_cuda_templateIjEESt5tupleIJNS8_6TensorESD_SD_EERKSD_lbbbEUlllE1_EE10hipError_tPvRmT2_T3_mT4_P12ihipStream_tbEUlT_E_NS1_11comp_targetILNS1_3genE3ELNS1_11target_archE908ELNS1_3gpuE7ELNS1_3repE0EEENS1_30default_config_static_selectorELNS0_4arch9wavefront6targetE0EEEvT1_
    .private_segment_fixed_size: 0
    .sgpr_count:     0
    .sgpr_spill_count: 0
    .symbol:         _ZN7rocprim17ROCPRIM_400000_NS6detail17trampoline_kernelINS0_14default_configENS1_35adjacent_difference_config_selectorILb1ElEEZNS1_24adjacent_difference_implIS3_Lb1ELb0EPlS7_ZN2at6native12_GLOBAL__N_124unique_dim_cuda_templateIjEESt5tupleIJNS8_6TensorESD_SD_EERKSD_lbbbEUlllE1_EE10hipError_tPvRmT2_T3_mT4_P12ihipStream_tbEUlT_E_NS1_11comp_targetILNS1_3genE3ELNS1_11target_archE908ELNS1_3gpuE7ELNS1_3repE0EEENS1_30default_config_static_selectorELNS0_4arch9wavefront6targetE0EEEvT1_.kd
    .uniform_work_group_size: 1
    .uses_dynamic_stack: false
    .vgpr_count:     0
    .vgpr_spill_count: 0
    .wavefront_size: 32
  - .args:
      - .offset:         0
        .size:           64
        .value_kind:     by_value
    .group_segment_fixed_size: 0
    .kernarg_segment_align: 8
    .kernarg_segment_size: 64
    .language:       OpenCL C
    .language_version:
      - 2
      - 0
    .max_flat_workgroup_size: 128
    .name:           _ZN7rocprim17ROCPRIM_400000_NS6detail17trampoline_kernelINS0_14default_configENS1_35adjacent_difference_config_selectorILb1ElEEZNS1_24adjacent_difference_implIS3_Lb1ELb0EPlS7_ZN2at6native12_GLOBAL__N_124unique_dim_cuda_templateIjEESt5tupleIJNS8_6TensorESD_SD_EERKSD_lbbbEUlllE1_EE10hipError_tPvRmT2_T3_mT4_P12ihipStream_tbEUlT_E_NS1_11comp_targetILNS1_3genE2ELNS1_11target_archE906ELNS1_3gpuE6ELNS1_3repE0EEENS1_30default_config_static_selectorELNS0_4arch9wavefront6targetE0EEEvT1_
    .private_segment_fixed_size: 0
    .sgpr_count:     0
    .sgpr_spill_count: 0
    .symbol:         _ZN7rocprim17ROCPRIM_400000_NS6detail17trampoline_kernelINS0_14default_configENS1_35adjacent_difference_config_selectorILb1ElEEZNS1_24adjacent_difference_implIS3_Lb1ELb0EPlS7_ZN2at6native12_GLOBAL__N_124unique_dim_cuda_templateIjEESt5tupleIJNS8_6TensorESD_SD_EERKSD_lbbbEUlllE1_EE10hipError_tPvRmT2_T3_mT4_P12ihipStream_tbEUlT_E_NS1_11comp_targetILNS1_3genE2ELNS1_11target_archE906ELNS1_3gpuE6ELNS1_3repE0EEENS1_30default_config_static_selectorELNS0_4arch9wavefront6targetE0EEEvT1_.kd
    .uniform_work_group_size: 1
    .uses_dynamic_stack: false
    .vgpr_count:     0
    .vgpr_spill_count: 0
    .wavefront_size: 32
  - .args:
      - .offset:         0
        .size:           64
        .value_kind:     by_value
    .group_segment_fixed_size: 0
    .kernarg_segment_align: 8
    .kernarg_segment_size: 64
    .language:       OpenCL C
    .language_version:
      - 2
      - 0
    .max_flat_workgroup_size: 128
    .name:           _ZN7rocprim17ROCPRIM_400000_NS6detail17trampoline_kernelINS0_14default_configENS1_35adjacent_difference_config_selectorILb1ElEEZNS1_24adjacent_difference_implIS3_Lb1ELb0EPlS7_ZN2at6native12_GLOBAL__N_124unique_dim_cuda_templateIjEESt5tupleIJNS8_6TensorESD_SD_EERKSD_lbbbEUlllE1_EE10hipError_tPvRmT2_T3_mT4_P12ihipStream_tbEUlT_E_NS1_11comp_targetILNS1_3genE9ELNS1_11target_archE1100ELNS1_3gpuE3ELNS1_3repE0EEENS1_30default_config_static_selectorELNS0_4arch9wavefront6targetE0EEEvT1_
    .private_segment_fixed_size: 0
    .sgpr_count:     0
    .sgpr_spill_count: 0
    .symbol:         _ZN7rocprim17ROCPRIM_400000_NS6detail17trampoline_kernelINS0_14default_configENS1_35adjacent_difference_config_selectorILb1ElEEZNS1_24adjacent_difference_implIS3_Lb1ELb0EPlS7_ZN2at6native12_GLOBAL__N_124unique_dim_cuda_templateIjEESt5tupleIJNS8_6TensorESD_SD_EERKSD_lbbbEUlllE1_EE10hipError_tPvRmT2_T3_mT4_P12ihipStream_tbEUlT_E_NS1_11comp_targetILNS1_3genE9ELNS1_11target_archE1100ELNS1_3gpuE3ELNS1_3repE0EEENS1_30default_config_static_selectorELNS0_4arch9wavefront6targetE0EEEvT1_.kd
    .uniform_work_group_size: 1
    .uses_dynamic_stack: false
    .vgpr_count:     0
    .vgpr_spill_count: 0
    .wavefront_size: 32
  - .args:
      - .offset:         0
        .size:           64
        .value_kind:     by_value
    .group_segment_fixed_size: 0
    .kernarg_segment_align: 8
    .kernarg_segment_size: 64
    .language:       OpenCL C
    .language_version:
      - 2
      - 0
    .max_flat_workgroup_size: 32
    .name:           _ZN7rocprim17ROCPRIM_400000_NS6detail17trampoline_kernelINS0_14default_configENS1_35adjacent_difference_config_selectorILb1ElEEZNS1_24adjacent_difference_implIS3_Lb1ELb0EPlS7_ZN2at6native12_GLOBAL__N_124unique_dim_cuda_templateIjEESt5tupleIJNS8_6TensorESD_SD_EERKSD_lbbbEUlllE1_EE10hipError_tPvRmT2_T3_mT4_P12ihipStream_tbEUlT_E_NS1_11comp_targetILNS1_3genE8ELNS1_11target_archE1030ELNS1_3gpuE2ELNS1_3repE0EEENS1_30default_config_static_selectorELNS0_4arch9wavefront6targetE0EEEvT1_
    .private_segment_fixed_size: 0
    .sgpr_count:     0
    .sgpr_spill_count: 0
    .symbol:         _ZN7rocprim17ROCPRIM_400000_NS6detail17trampoline_kernelINS0_14default_configENS1_35adjacent_difference_config_selectorILb1ElEEZNS1_24adjacent_difference_implIS3_Lb1ELb0EPlS7_ZN2at6native12_GLOBAL__N_124unique_dim_cuda_templateIjEESt5tupleIJNS8_6TensorESD_SD_EERKSD_lbbbEUlllE1_EE10hipError_tPvRmT2_T3_mT4_P12ihipStream_tbEUlT_E_NS1_11comp_targetILNS1_3genE8ELNS1_11target_archE1030ELNS1_3gpuE2ELNS1_3repE0EEENS1_30default_config_static_selectorELNS0_4arch9wavefront6targetE0EEEvT1_.kd
    .uniform_work_group_size: 1
    .uses_dynamic_stack: false
    .vgpr_count:     0
    .vgpr_spill_count: 0
    .wavefront_size: 32
  - .args:
      - .offset:         0
        .size:           120
        .value_kind:     by_value
    .group_segment_fixed_size: 28680
    .kernarg_segment_align: 8
    .kernarg_segment_size: 120
    .language:       OpenCL C
    .language_version:
      - 2
      - 0
    .max_flat_workgroup_size: 512
    .name:           _ZN7rocprim17ROCPRIM_400000_NS6detail17trampoline_kernelINS0_14default_configENS1_25partition_config_selectorILNS1_17partition_subalgoE8ElNS0_10empty_typeEbEEZZNS1_14partition_implILS5_8ELb0ES3_jPlPS6_PKS6_NS0_5tupleIJS9_S6_EEENSD_IJSA_SA_EEENS0_18inequality_wrapperIZN2at6native12_GLOBAL__N_124unique_dim_cuda_templateIjEESt5tupleIJNSH_6TensorESM_SM_EERKSM_lbbbEUlllE0_EEPmJS6_EEE10hipError_tPvRmT3_T4_T5_T6_T7_T9_mT8_P12ihipStream_tbDpT10_ENKUlT_T0_E_clISt17integral_constantIbLb0EES1C_EEDaS17_S18_EUlS17_E_NS1_11comp_targetILNS1_3genE0ELNS1_11target_archE4294967295ELNS1_3gpuE0ELNS1_3repE0EEENS1_30default_config_static_selectorELNS0_4arch9wavefront6targetE0EEEvT1_
    .private_segment_fixed_size: 0
    .sgpr_count:     38
    .sgpr_spill_count: 0
    .symbol:         _ZN7rocprim17ROCPRIM_400000_NS6detail17trampoline_kernelINS0_14default_configENS1_25partition_config_selectorILNS1_17partition_subalgoE8ElNS0_10empty_typeEbEEZZNS1_14partition_implILS5_8ELb0ES3_jPlPS6_PKS6_NS0_5tupleIJS9_S6_EEENSD_IJSA_SA_EEENS0_18inequality_wrapperIZN2at6native12_GLOBAL__N_124unique_dim_cuda_templateIjEESt5tupleIJNSH_6TensorESM_SM_EERKSM_lbbbEUlllE0_EEPmJS6_EEE10hipError_tPvRmT3_T4_T5_T6_T7_T9_mT8_P12ihipStream_tbDpT10_ENKUlT_T0_E_clISt17integral_constantIbLb0EES1C_EEDaS17_S18_EUlS17_E_NS1_11comp_targetILNS1_3genE0ELNS1_11target_archE4294967295ELNS1_3gpuE0ELNS1_3repE0EEENS1_30default_config_static_selectorELNS0_4arch9wavefront6targetE0EEEvT1_.kd
    .uniform_work_group_size: 1
    .uses_dynamic_stack: false
    .vgpr_count:     54
    .vgpr_spill_count: 0
    .wavefront_size: 32
  - .args:
      - .offset:         0
        .size:           120
        .value_kind:     by_value
    .group_segment_fixed_size: 0
    .kernarg_segment_align: 8
    .kernarg_segment_size: 120
    .language:       OpenCL C
    .language_version:
      - 2
      - 0
    .max_flat_workgroup_size: 512
    .name:           _ZN7rocprim17ROCPRIM_400000_NS6detail17trampoline_kernelINS0_14default_configENS1_25partition_config_selectorILNS1_17partition_subalgoE8ElNS0_10empty_typeEbEEZZNS1_14partition_implILS5_8ELb0ES3_jPlPS6_PKS6_NS0_5tupleIJS9_S6_EEENSD_IJSA_SA_EEENS0_18inequality_wrapperIZN2at6native12_GLOBAL__N_124unique_dim_cuda_templateIjEESt5tupleIJNSH_6TensorESM_SM_EERKSM_lbbbEUlllE0_EEPmJS6_EEE10hipError_tPvRmT3_T4_T5_T6_T7_T9_mT8_P12ihipStream_tbDpT10_ENKUlT_T0_E_clISt17integral_constantIbLb0EES1C_EEDaS17_S18_EUlS17_E_NS1_11comp_targetILNS1_3genE5ELNS1_11target_archE942ELNS1_3gpuE9ELNS1_3repE0EEENS1_30default_config_static_selectorELNS0_4arch9wavefront6targetE0EEEvT1_
    .private_segment_fixed_size: 0
    .sgpr_count:     0
    .sgpr_spill_count: 0
    .symbol:         _ZN7rocprim17ROCPRIM_400000_NS6detail17trampoline_kernelINS0_14default_configENS1_25partition_config_selectorILNS1_17partition_subalgoE8ElNS0_10empty_typeEbEEZZNS1_14partition_implILS5_8ELb0ES3_jPlPS6_PKS6_NS0_5tupleIJS9_S6_EEENSD_IJSA_SA_EEENS0_18inequality_wrapperIZN2at6native12_GLOBAL__N_124unique_dim_cuda_templateIjEESt5tupleIJNSH_6TensorESM_SM_EERKSM_lbbbEUlllE0_EEPmJS6_EEE10hipError_tPvRmT3_T4_T5_T6_T7_T9_mT8_P12ihipStream_tbDpT10_ENKUlT_T0_E_clISt17integral_constantIbLb0EES1C_EEDaS17_S18_EUlS17_E_NS1_11comp_targetILNS1_3genE5ELNS1_11target_archE942ELNS1_3gpuE9ELNS1_3repE0EEENS1_30default_config_static_selectorELNS0_4arch9wavefront6targetE0EEEvT1_.kd
    .uniform_work_group_size: 1
    .uses_dynamic_stack: false
    .vgpr_count:     0
    .vgpr_spill_count: 0
    .wavefront_size: 32
  - .args:
      - .offset:         0
        .size:           120
        .value_kind:     by_value
    .group_segment_fixed_size: 0
    .kernarg_segment_align: 8
    .kernarg_segment_size: 120
    .language:       OpenCL C
    .language_version:
      - 2
      - 0
    .max_flat_workgroup_size: 256
    .name:           _ZN7rocprim17ROCPRIM_400000_NS6detail17trampoline_kernelINS0_14default_configENS1_25partition_config_selectorILNS1_17partition_subalgoE8ElNS0_10empty_typeEbEEZZNS1_14partition_implILS5_8ELb0ES3_jPlPS6_PKS6_NS0_5tupleIJS9_S6_EEENSD_IJSA_SA_EEENS0_18inequality_wrapperIZN2at6native12_GLOBAL__N_124unique_dim_cuda_templateIjEESt5tupleIJNSH_6TensorESM_SM_EERKSM_lbbbEUlllE0_EEPmJS6_EEE10hipError_tPvRmT3_T4_T5_T6_T7_T9_mT8_P12ihipStream_tbDpT10_ENKUlT_T0_E_clISt17integral_constantIbLb0EES1C_EEDaS17_S18_EUlS17_E_NS1_11comp_targetILNS1_3genE4ELNS1_11target_archE910ELNS1_3gpuE8ELNS1_3repE0EEENS1_30default_config_static_selectorELNS0_4arch9wavefront6targetE0EEEvT1_
    .private_segment_fixed_size: 0
    .sgpr_count:     0
    .sgpr_spill_count: 0
    .symbol:         _ZN7rocprim17ROCPRIM_400000_NS6detail17trampoline_kernelINS0_14default_configENS1_25partition_config_selectorILNS1_17partition_subalgoE8ElNS0_10empty_typeEbEEZZNS1_14partition_implILS5_8ELb0ES3_jPlPS6_PKS6_NS0_5tupleIJS9_S6_EEENSD_IJSA_SA_EEENS0_18inequality_wrapperIZN2at6native12_GLOBAL__N_124unique_dim_cuda_templateIjEESt5tupleIJNSH_6TensorESM_SM_EERKSM_lbbbEUlllE0_EEPmJS6_EEE10hipError_tPvRmT3_T4_T5_T6_T7_T9_mT8_P12ihipStream_tbDpT10_ENKUlT_T0_E_clISt17integral_constantIbLb0EES1C_EEDaS17_S18_EUlS17_E_NS1_11comp_targetILNS1_3genE4ELNS1_11target_archE910ELNS1_3gpuE8ELNS1_3repE0EEENS1_30default_config_static_selectorELNS0_4arch9wavefront6targetE0EEEvT1_.kd
    .uniform_work_group_size: 1
    .uses_dynamic_stack: false
    .vgpr_count:     0
    .vgpr_spill_count: 0
    .wavefront_size: 32
  - .args:
      - .offset:         0
        .size:           120
        .value_kind:     by_value
    .group_segment_fixed_size: 0
    .kernarg_segment_align: 8
    .kernarg_segment_size: 120
    .language:       OpenCL C
    .language_version:
      - 2
      - 0
    .max_flat_workgroup_size: 512
    .name:           _ZN7rocprim17ROCPRIM_400000_NS6detail17trampoline_kernelINS0_14default_configENS1_25partition_config_selectorILNS1_17partition_subalgoE8ElNS0_10empty_typeEbEEZZNS1_14partition_implILS5_8ELb0ES3_jPlPS6_PKS6_NS0_5tupleIJS9_S6_EEENSD_IJSA_SA_EEENS0_18inequality_wrapperIZN2at6native12_GLOBAL__N_124unique_dim_cuda_templateIjEESt5tupleIJNSH_6TensorESM_SM_EERKSM_lbbbEUlllE0_EEPmJS6_EEE10hipError_tPvRmT3_T4_T5_T6_T7_T9_mT8_P12ihipStream_tbDpT10_ENKUlT_T0_E_clISt17integral_constantIbLb0EES1C_EEDaS17_S18_EUlS17_E_NS1_11comp_targetILNS1_3genE3ELNS1_11target_archE908ELNS1_3gpuE7ELNS1_3repE0EEENS1_30default_config_static_selectorELNS0_4arch9wavefront6targetE0EEEvT1_
    .private_segment_fixed_size: 0
    .sgpr_count:     0
    .sgpr_spill_count: 0
    .symbol:         _ZN7rocprim17ROCPRIM_400000_NS6detail17trampoline_kernelINS0_14default_configENS1_25partition_config_selectorILNS1_17partition_subalgoE8ElNS0_10empty_typeEbEEZZNS1_14partition_implILS5_8ELb0ES3_jPlPS6_PKS6_NS0_5tupleIJS9_S6_EEENSD_IJSA_SA_EEENS0_18inequality_wrapperIZN2at6native12_GLOBAL__N_124unique_dim_cuda_templateIjEESt5tupleIJNSH_6TensorESM_SM_EERKSM_lbbbEUlllE0_EEPmJS6_EEE10hipError_tPvRmT3_T4_T5_T6_T7_T9_mT8_P12ihipStream_tbDpT10_ENKUlT_T0_E_clISt17integral_constantIbLb0EES1C_EEDaS17_S18_EUlS17_E_NS1_11comp_targetILNS1_3genE3ELNS1_11target_archE908ELNS1_3gpuE7ELNS1_3repE0EEENS1_30default_config_static_selectorELNS0_4arch9wavefront6targetE0EEEvT1_.kd
    .uniform_work_group_size: 1
    .uses_dynamic_stack: false
    .vgpr_count:     0
    .vgpr_spill_count: 0
    .wavefront_size: 32
  - .args:
      - .offset:         0
        .size:           120
        .value_kind:     by_value
    .group_segment_fixed_size: 0
    .kernarg_segment_align: 8
    .kernarg_segment_size: 120
    .language:       OpenCL C
    .language_version:
      - 2
      - 0
    .max_flat_workgroup_size: 256
    .name:           _ZN7rocprim17ROCPRIM_400000_NS6detail17trampoline_kernelINS0_14default_configENS1_25partition_config_selectorILNS1_17partition_subalgoE8ElNS0_10empty_typeEbEEZZNS1_14partition_implILS5_8ELb0ES3_jPlPS6_PKS6_NS0_5tupleIJS9_S6_EEENSD_IJSA_SA_EEENS0_18inequality_wrapperIZN2at6native12_GLOBAL__N_124unique_dim_cuda_templateIjEESt5tupleIJNSH_6TensorESM_SM_EERKSM_lbbbEUlllE0_EEPmJS6_EEE10hipError_tPvRmT3_T4_T5_T6_T7_T9_mT8_P12ihipStream_tbDpT10_ENKUlT_T0_E_clISt17integral_constantIbLb0EES1C_EEDaS17_S18_EUlS17_E_NS1_11comp_targetILNS1_3genE2ELNS1_11target_archE906ELNS1_3gpuE6ELNS1_3repE0EEENS1_30default_config_static_selectorELNS0_4arch9wavefront6targetE0EEEvT1_
    .private_segment_fixed_size: 0
    .sgpr_count:     0
    .sgpr_spill_count: 0
    .symbol:         _ZN7rocprim17ROCPRIM_400000_NS6detail17trampoline_kernelINS0_14default_configENS1_25partition_config_selectorILNS1_17partition_subalgoE8ElNS0_10empty_typeEbEEZZNS1_14partition_implILS5_8ELb0ES3_jPlPS6_PKS6_NS0_5tupleIJS9_S6_EEENSD_IJSA_SA_EEENS0_18inequality_wrapperIZN2at6native12_GLOBAL__N_124unique_dim_cuda_templateIjEESt5tupleIJNSH_6TensorESM_SM_EERKSM_lbbbEUlllE0_EEPmJS6_EEE10hipError_tPvRmT3_T4_T5_T6_T7_T9_mT8_P12ihipStream_tbDpT10_ENKUlT_T0_E_clISt17integral_constantIbLb0EES1C_EEDaS17_S18_EUlS17_E_NS1_11comp_targetILNS1_3genE2ELNS1_11target_archE906ELNS1_3gpuE6ELNS1_3repE0EEENS1_30default_config_static_selectorELNS0_4arch9wavefront6targetE0EEEvT1_.kd
    .uniform_work_group_size: 1
    .uses_dynamic_stack: false
    .vgpr_count:     0
    .vgpr_spill_count: 0
    .wavefront_size: 32
  - .args:
      - .offset:         0
        .size:           120
        .value_kind:     by_value
    .group_segment_fixed_size: 0
    .kernarg_segment_align: 8
    .kernarg_segment_size: 120
    .language:       OpenCL C
    .language_version:
      - 2
      - 0
    .max_flat_workgroup_size: 384
    .name:           _ZN7rocprim17ROCPRIM_400000_NS6detail17trampoline_kernelINS0_14default_configENS1_25partition_config_selectorILNS1_17partition_subalgoE8ElNS0_10empty_typeEbEEZZNS1_14partition_implILS5_8ELb0ES3_jPlPS6_PKS6_NS0_5tupleIJS9_S6_EEENSD_IJSA_SA_EEENS0_18inequality_wrapperIZN2at6native12_GLOBAL__N_124unique_dim_cuda_templateIjEESt5tupleIJNSH_6TensorESM_SM_EERKSM_lbbbEUlllE0_EEPmJS6_EEE10hipError_tPvRmT3_T4_T5_T6_T7_T9_mT8_P12ihipStream_tbDpT10_ENKUlT_T0_E_clISt17integral_constantIbLb0EES1C_EEDaS17_S18_EUlS17_E_NS1_11comp_targetILNS1_3genE10ELNS1_11target_archE1200ELNS1_3gpuE4ELNS1_3repE0EEENS1_30default_config_static_selectorELNS0_4arch9wavefront6targetE0EEEvT1_
    .private_segment_fixed_size: 0
    .sgpr_count:     0
    .sgpr_spill_count: 0
    .symbol:         _ZN7rocprim17ROCPRIM_400000_NS6detail17trampoline_kernelINS0_14default_configENS1_25partition_config_selectorILNS1_17partition_subalgoE8ElNS0_10empty_typeEbEEZZNS1_14partition_implILS5_8ELb0ES3_jPlPS6_PKS6_NS0_5tupleIJS9_S6_EEENSD_IJSA_SA_EEENS0_18inequality_wrapperIZN2at6native12_GLOBAL__N_124unique_dim_cuda_templateIjEESt5tupleIJNSH_6TensorESM_SM_EERKSM_lbbbEUlllE0_EEPmJS6_EEE10hipError_tPvRmT3_T4_T5_T6_T7_T9_mT8_P12ihipStream_tbDpT10_ENKUlT_T0_E_clISt17integral_constantIbLb0EES1C_EEDaS17_S18_EUlS17_E_NS1_11comp_targetILNS1_3genE10ELNS1_11target_archE1200ELNS1_3gpuE4ELNS1_3repE0EEENS1_30default_config_static_selectorELNS0_4arch9wavefront6targetE0EEEvT1_.kd
    .uniform_work_group_size: 1
    .uses_dynamic_stack: false
    .vgpr_count:     0
    .vgpr_spill_count: 0
    .wavefront_size: 32
  - .args:
      - .offset:         0
        .size:           120
        .value_kind:     by_value
    .group_segment_fixed_size: 0
    .kernarg_segment_align: 8
    .kernarg_segment_size: 120
    .language:       OpenCL C
    .language_version:
      - 2
      - 0
    .max_flat_workgroup_size: 512
    .name:           _ZN7rocprim17ROCPRIM_400000_NS6detail17trampoline_kernelINS0_14default_configENS1_25partition_config_selectorILNS1_17partition_subalgoE8ElNS0_10empty_typeEbEEZZNS1_14partition_implILS5_8ELb0ES3_jPlPS6_PKS6_NS0_5tupleIJS9_S6_EEENSD_IJSA_SA_EEENS0_18inequality_wrapperIZN2at6native12_GLOBAL__N_124unique_dim_cuda_templateIjEESt5tupleIJNSH_6TensorESM_SM_EERKSM_lbbbEUlllE0_EEPmJS6_EEE10hipError_tPvRmT3_T4_T5_T6_T7_T9_mT8_P12ihipStream_tbDpT10_ENKUlT_T0_E_clISt17integral_constantIbLb0EES1C_EEDaS17_S18_EUlS17_E_NS1_11comp_targetILNS1_3genE9ELNS1_11target_archE1100ELNS1_3gpuE3ELNS1_3repE0EEENS1_30default_config_static_selectorELNS0_4arch9wavefront6targetE0EEEvT1_
    .private_segment_fixed_size: 0
    .sgpr_count:     0
    .sgpr_spill_count: 0
    .symbol:         _ZN7rocprim17ROCPRIM_400000_NS6detail17trampoline_kernelINS0_14default_configENS1_25partition_config_selectorILNS1_17partition_subalgoE8ElNS0_10empty_typeEbEEZZNS1_14partition_implILS5_8ELb0ES3_jPlPS6_PKS6_NS0_5tupleIJS9_S6_EEENSD_IJSA_SA_EEENS0_18inequality_wrapperIZN2at6native12_GLOBAL__N_124unique_dim_cuda_templateIjEESt5tupleIJNSH_6TensorESM_SM_EERKSM_lbbbEUlllE0_EEPmJS6_EEE10hipError_tPvRmT3_T4_T5_T6_T7_T9_mT8_P12ihipStream_tbDpT10_ENKUlT_T0_E_clISt17integral_constantIbLb0EES1C_EEDaS17_S18_EUlS17_E_NS1_11comp_targetILNS1_3genE9ELNS1_11target_archE1100ELNS1_3gpuE3ELNS1_3repE0EEENS1_30default_config_static_selectorELNS0_4arch9wavefront6targetE0EEEvT1_.kd
    .uniform_work_group_size: 1
    .uses_dynamic_stack: false
    .vgpr_count:     0
    .vgpr_spill_count: 0
    .wavefront_size: 32
  - .args:
      - .offset:         0
        .size:           120
        .value_kind:     by_value
    .group_segment_fixed_size: 0
    .kernarg_segment_align: 8
    .kernarg_segment_size: 120
    .language:       OpenCL C
    .language_version:
      - 2
      - 0
    .max_flat_workgroup_size: 512
    .name:           _ZN7rocprim17ROCPRIM_400000_NS6detail17trampoline_kernelINS0_14default_configENS1_25partition_config_selectorILNS1_17partition_subalgoE8ElNS0_10empty_typeEbEEZZNS1_14partition_implILS5_8ELb0ES3_jPlPS6_PKS6_NS0_5tupleIJS9_S6_EEENSD_IJSA_SA_EEENS0_18inequality_wrapperIZN2at6native12_GLOBAL__N_124unique_dim_cuda_templateIjEESt5tupleIJNSH_6TensorESM_SM_EERKSM_lbbbEUlllE0_EEPmJS6_EEE10hipError_tPvRmT3_T4_T5_T6_T7_T9_mT8_P12ihipStream_tbDpT10_ENKUlT_T0_E_clISt17integral_constantIbLb0EES1C_EEDaS17_S18_EUlS17_E_NS1_11comp_targetILNS1_3genE8ELNS1_11target_archE1030ELNS1_3gpuE2ELNS1_3repE0EEENS1_30default_config_static_selectorELNS0_4arch9wavefront6targetE0EEEvT1_
    .private_segment_fixed_size: 0
    .sgpr_count:     0
    .sgpr_spill_count: 0
    .symbol:         _ZN7rocprim17ROCPRIM_400000_NS6detail17trampoline_kernelINS0_14default_configENS1_25partition_config_selectorILNS1_17partition_subalgoE8ElNS0_10empty_typeEbEEZZNS1_14partition_implILS5_8ELb0ES3_jPlPS6_PKS6_NS0_5tupleIJS9_S6_EEENSD_IJSA_SA_EEENS0_18inequality_wrapperIZN2at6native12_GLOBAL__N_124unique_dim_cuda_templateIjEESt5tupleIJNSH_6TensorESM_SM_EERKSM_lbbbEUlllE0_EEPmJS6_EEE10hipError_tPvRmT3_T4_T5_T6_T7_T9_mT8_P12ihipStream_tbDpT10_ENKUlT_T0_E_clISt17integral_constantIbLb0EES1C_EEDaS17_S18_EUlS17_E_NS1_11comp_targetILNS1_3genE8ELNS1_11target_archE1030ELNS1_3gpuE2ELNS1_3repE0EEENS1_30default_config_static_selectorELNS0_4arch9wavefront6targetE0EEEvT1_.kd
    .uniform_work_group_size: 1
    .uses_dynamic_stack: false
    .vgpr_count:     0
    .vgpr_spill_count: 0
    .wavefront_size: 32
  - .args:
      - .offset:         0
        .size:           136
        .value_kind:     by_value
    .group_segment_fixed_size: 0
    .kernarg_segment_align: 8
    .kernarg_segment_size: 136
    .language:       OpenCL C
    .language_version:
      - 2
      - 0
    .max_flat_workgroup_size: 512
    .name:           _ZN7rocprim17ROCPRIM_400000_NS6detail17trampoline_kernelINS0_14default_configENS1_25partition_config_selectorILNS1_17partition_subalgoE8ElNS0_10empty_typeEbEEZZNS1_14partition_implILS5_8ELb0ES3_jPlPS6_PKS6_NS0_5tupleIJS9_S6_EEENSD_IJSA_SA_EEENS0_18inequality_wrapperIZN2at6native12_GLOBAL__N_124unique_dim_cuda_templateIjEESt5tupleIJNSH_6TensorESM_SM_EERKSM_lbbbEUlllE0_EEPmJS6_EEE10hipError_tPvRmT3_T4_T5_T6_T7_T9_mT8_P12ihipStream_tbDpT10_ENKUlT_T0_E_clISt17integral_constantIbLb1EES1C_EEDaS17_S18_EUlS17_E_NS1_11comp_targetILNS1_3genE0ELNS1_11target_archE4294967295ELNS1_3gpuE0ELNS1_3repE0EEENS1_30default_config_static_selectorELNS0_4arch9wavefront6targetE0EEEvT1_
    .private_segment_fixed_size: 0
    .sgpr_count:     0
    .sgpr_spill_count: 0
    .symbol:         _ZN7rocprim17ROCPRIM_400000_NS6detail17trampoline_kernelINS0_14default_configENS1_25partition_config_selectorILNS1_17partition_subalgoE8ElNS0_10empty_typeEbEEZZNS1_14partition_implILS5_8ELb0ES3_jPlPS6_PKS6_NS0_5tupleIJS9_S6_EEENSD_IJSA_SA_EEENS0_18inequality_wrapperIZN2at6native12_GLOBAL__N_124unique_dim_cuda_templateIjEESt5tupleIJNSH_6TensorESM_SM_EERKSM_lbbbEUlllE0_EEPmJS6_EEE10hipError_tPvRmT3_T4_T5_T6_T7_T9_mT8_P12ihipStream_tbDpT10_ENKUlT_T0_E_clISt17integral_constantIbLb1EES1C_EEDaS17_S18_EUlS17_E_NS1_11comp_targetILNS1_3genE0ELNS1_11target_archE4294967295ELNS1_3gpuE0ELNS1_3repE0EEENS1_30default_config_static_selectorELNS0_4arch9wavefront6targetE0EEEvT1_.kd
    .uniform_work_group_size: 1
    .uses_dynamic_stack: false
    .vgpr_count:     0
    .vgpr_spill_count: 0
    .wavefront_size: 32
  - .args:
      - .offset:         0
        .size:           136
        .value_kind:     by_value
    .group_segment_fixed_size: 0
    .kernarg_segment_align: 8
    .kernarg_segment_size: 136
    .language:       OpenCL C
    .language_version:
      - 2
      - 0
    .max_flat_workgroup_size: 512
    .name:           _ZN7rocprim17ROCPRIM_400000_NS6detail17trampoline_kernelINS0_14default_configENS1_25partition_config_selectorILNS1_17partition_subalgoE8ElNS0_10empty_typeEbEEZZNS1_14partition_implILS5_8ELb0ES3_jPlPS6_PKS6_NS0_5tupleIJS9_S6_EEENSD_IJSA_SA_EEENS0_18inequality_wrapperIZN2at6native12_GLOBAL__N_124unique_dim_cuda_templateIjEESt5tupleIJNSH_6TensorESM_SM_EERKSM_lbbbEUlllE0_EEPmJS6_EEE10hipError_tPvRmT3_T4_T5_T6_T7_T9_mT8_P12ihipStream_tbDpT10_ENKUlT_T0_E_clISt17integral_constantIbLb1EES1C_EEDaS17_S18_EUlS17_E_NS1_11comp_targetILNS1_3genE5ELNS1_11target_archE942ELNS1_3gpuE9ELNS1_3repE0EEENS1_30default_config_static_selectorELNS0_4arch9wavefront6targetE0EEEvT1_
    .private_segment_fixed_size: 0
    .sgpr_count:     0
    .sgpr_spill_count: 0
    .symbol:         _ZN7rocprim17ROCPRIM_400000_NS6detail17trampoline_kernelINS0_14default_configENS1_25partition_config_selectorILNS1_17partition_subalgoE8ElNS0_10empty_typeEbEEZZNS1_14partition_implILS5_8ELb0ES3_jPlPS6_PKS6_NS0_5tupleIJS9_S6_EEENSD_IJSA_SA_EEENS0_18inequality_wrapperIZN2at6native12_GLOBAL__N_124unique_dim_cuda_templateIjEESt5tupleIJNSH_6TensorESM_SM_EERKSM_lbbbEUlllE0_EEPmJS6_EEE10hipError_tPvRmT3_T4_T5_T6_T7_T9_mT8_P12ihipStream_tbDpT10_ENKUlT_T0_E_clISt17integral_constantIbLb1EES1C_EEDaS17_S18_EUlS17_E_NS1_11comp_targetILNS1_3genE5ELNS1_11target_archE942ELNS1_3gpuE9ELNS1_3repE0EEENS1_30default_config_static_selectorELNS0_4arch9wavefront6targetE0EEEvT1_.kd
    .uniform_work_group_size: 1
    .uses_dynamic_stack: false
    .vgpr_count:     0
    .vgpr_spill_count: 0
    .wavefront_size: 32
  - .args:
      - .offset:         0
        .size:           136
        .value_kind:     by_value
    .group_segment_fixed_size: 0
    .kernarg_segment_align: 8
    .kernarg_segment_size: 136
    .language:       OpenCL C
    .language_version:
      - 2
      - 0
    .max_flat_workgroup_size: 256
    .name:           _ZN7rocprim17ROCPRIM_400000_NS6detail17trampoline_kernelINS0_14default_configENS1_25partition_config_selectorILNS1_17partition_subalgoE8ElNS0_10empty_typeEbEEZZNS1_14partition_implILS5_8ELb0ES3_jPlPS6_PKS6_NS0_5tupleIJS9_S6_EEENSD_IJSA_SA_EEENS0_18inequality_wrapperIZN2at6native12_GLOBAL__N_124unique_dim_cuda_templateIjEESt5tupleIJNSH_6TensorESM_SM_EERKSM_lbbbEUlllE0_EEPmJS6_EEE10hipError_tPvRmT3_T4_T5_T6_T7_T9_mT8_P12ihipStream_tbDpT10_ENKUlT_T0_E_clISt17integral_constantIbLb1EES1C_EEDaS17_S18_EUlS17_E_NS1_11comp_targetILNS1_3genE4ELNS1_11target_archE910ELNS1_3gpuE8ELNS1_3repE0EEENS1_30default_config_static_selectorELNS0_4arch9wavefront6targetE0EEEvT1_
    .private_segment_fixed_size: 0
    .sgpr_count:     0
    .sgpr_spill_count: 0
    .symbol:         _ZN7rocprim17ROCPRIM_400000_NS6detail17trampoline_kernelINS0_14default_configENS1_25partition_config_selectorILNS1_17partition_subalgoE8ElNS0_10empty_typeEbEEZZNS1_14partition_implILS5_8ELb0ES3_jPlPS6_PKS6_NS0_5tupleIJS9_S6_EEENSD_IJSA_SA_EEENS0_18inequality_wrapperIZN2at6native12_GLOBAL__N_124unique_dim_cuda_templateIjEESt5tupleIJNSH_6TensorESM_SM_EERKSM_lbbbEUlllE0_EEPmJS6_EEE10hipError_tPvRmT3_T4_T5_T6_T7_T9_mT8_P12ihipStream_tbDpT10_ENKUlT_T0_E_clISt17integral_constantIbLb1EES1C_EEDaS17_S18_EUlS17_E_NS1_11comp_targetILNS1_3genE4ELNS1_11target_archE910ELNS1_3gpuE8ELNS1_3repE0EEENS1_30default_config_static_selectorELNS0_4arch9wavefront6targetE0EEEvT1_.kd
    .uniform_work_group_size: 1
    .uses_dynamic_stack: false
    .vgpr_count:     0
    .vgpr_spill_count: 0
    .wavefront_size: 32
  - .args:
      - .offset:         0
        .size:           136
        .value_kind:     by_value
    .group_segment_fixed_size: 0
    .kernarg_segment_align: 8
    .kernarg_segment_size: 136
    .language:       OpenCL C
    .language_version:
      - 2
      - 0
    .max_flat_workgroup_size: 512
    .name:           _ZN7rocprim17ROCPRIM_400000_NS6detail17trampoline_kernelINS0_14default_configENS1_25partition_config_selectorILNS1_17partition_subalgoE8ElNS0_10empty_typeEbEEZZNS1_14partition_implILS5_8ELb0ES3_jPlPS6_PKS6_NS0_5tupleIJS9_S6_EEENSD_IJSA_SA_EEENS0_18inequality_wrapperIZN2at6native12_GLOBAL__N_124unique_dim_cuda_templateIjEESt5tupleIJNSH_6TensorESM_SM_EERKSM_lbbbEUlllE0_EEPmJS6_EEE10hipError_tPvRmT3_T4_T5_T6_T7_T9_mT8_P12ihipStream_tbDpT10_ENKUlT_T0_E_clISt17integral_constantIbLb1EES1C_EEDaS17_S18_EUlS17_E_NS1_11comp_targetILNS1_3genE3ELNS1_11target_archE908ELNS1_3gpuE7ELNS1_3repE0EEENS1_30default_config_static_selectorELNS0_4arch9wavefront6targetE0EEEvT1_
    .private_segment_fixed_size: 0
    .sgpr_count:     0
    .sgpr_spill_count: 0
    .symbol:         _ZN7rocprim17ROCPRIM_400000_NS6detail17trampoline_kernelINS0_14default_configENS1_25partition_config_selectorILNS1_17partition_subalgoE8ElNS0_10empty_typeEbEEZZNS1_14partition_implILS5_8ELb0ES3_jPlPS6_PKS6_NS0_5tupleIJS9_S6_EEENSD_IJSA_SA_EEENS0_18inequality_wrapperIZN2at6native12_GLOBAL__N_124unique_dim_cuda_templateIjEESt5tupleIJNSH_6TensorESM_SM_EERKSM_lbbbEUlllE0_EEPmJS6_EEE10hipError_tPvRmT3_T4_T5_T6_T7_T9_mT8_P12ihipStream_tbDpT10_ENKUlT_T0_E_clISt17integral_constantIbLb1EES1C_EEDaS17_S18_EUlS17_E_NS1_11comp_targetILNS1_3genE3ELNS1_11target_archE908ELNS1_3gpuE7ELNS1_3repE0EEENS1_30default_config_static_selectorELNS0_4arch9wavefront6targetE0EEEvT1_.kd
    .uniform_work_group_size: 1
    .uses_dynamic_stack: false
    .vgpr_count:     0
    .vgpr_spill_count: 0
    .wavefront_size: 32
  - .args:
      - .offset:         0
        .size:           136
        .value_kind:     by_value
    .group_segment_fixed_size: 0
    .kernarg_segment_align: 8
    .kernarg_segment_size: 136
    .language:       OpenCL C
    .language_version:
      - 2
      - 0
    .max_flat_workgroup_size: 256
    .name:           _ZN7rocprim17ROCPRIM_400000_NS6detail17trampoline_kernelINS0_14default_configENS1_25partition_config_selectorILNS1_17partition_subalgoE8ElNS0_10empty_typeEbEEZZNS1_14partition_implILS5_8ELb0ES3_jPlPS6_PKS6_NS0_5tupleIJS9_S6_EEENSD_IJSA_SA_EEENS0_18inequality_wrapperIZN2at6native12_GLOBAL__N_124unique_dim_cuda_templateIjEESt5tupleIJNSH_6TensorESM_SM_EERKSM_lbbbEUlllE0_EEPmJS6_EEE10hipError_tPvRmT3_T4_T5_T6_T7_T9_mT8_P12ihipStream_tbDpT10_ENKUlT_T0_E_clISt17integral_constantIbLb1EES1C_EEDaS17_S18_EUlS17_E_NS1_11comp_targetILNS1_3genE2ELNS1_11target_archE906ELNS1_3gpuE6ELNS1_3repE0EEENS1_30default_config_static_selectorELNS0_4arch9wavefront6targetE0EEEvT1_
    .private_segment_fixed_size: 0
    .sgpr_count:     0
    .sgpr_spill_count: 0
    .symbol:         _ZN7rocprim17ROCPRIM_400000_NS6detail17trampoline_kernelINS0_14default_configENS1_25partition_config_selectorILNS1_17partition_subalgoE8ElNS0_10empty_typeEbEEZZNS1_14partition_implILS5_8ELb0ES3_jPlPS6_PKS6_NS0_5tupleIJS9_S6_EEENSD_IJSA_SA_EEENS0_18inequality_wrapperIZN2at6native12_GLOBAL__N_124unique_dim_cuda_templateIjEESt5tupleIJNSH_6TensorESM_SM_EERKSM_lbbbEUlllE0_EEPmJS6_EEE10hipError_tPvRmT3_T4_T5_T6_T7_T9_mT8_P12ihipStream_tbDpT10_ENKUlT_T0_E_clISt17integral_constantIbLb1EES1C_EEDaS17_S18_EUlS17_E_NS1_11comp_targetILNS1_3genE2ELNS1_11target_archE906ELNS1_3gpuE6ELNS1_3repE0EEENS1_30default_config_static_selectorELNS0_4arch9wavefront6targetE0EEEvT1_.kd
    .uniform_work_group_size: 1
    .uses_dynamic_stack: false
    .vgpr_count:     0
    .vgpr_spill_count: 0
    .wavefront_size: 32
  - .args:
      - .offset:         0
        .size:           136
        .value_kind:     by_value
    .group_segment_fixed_size: 0
    .kernarg_segment_align: 8
    .kernarg_segment_size: 136
    .language:       OpenCL C
    .language_version:
      - 2
      - 0
    .max_flat_workgroup_size: 384
    .name:           _ZN7rocprim17ROCPRIM_400000_NS6detail17trampoline_kernelINS0_14default_configENS1_25partition_config_selectorILNS1_17partition_subalgoE8ElNS0_10empty_typeEbEEZZNS1_14partition_implILS5_8ELb0ES3_jPlPS6_PKS6_NS0_5tupleIJS9_S6_EEENSD_IJSA_SA_EEENS0_18inequality_wrapperIZN2at6native12_GLOBAL__N_124unique_dim_cuda_templateIjEESt5tupleIJNSH_6TensorESM_SM_EERKSM_lbbbEUlllE0_EEPmJS6_EEE10hipError_tPvRmT3_T4_T5_T6_T7_T9_mT8_P12ihipStream_tbDpT10_ENKUlT_T0_E_clISt17integral_constantIbLb1EES1C_EEDaS17_S18_EUlS17_E_NS1_11comp_targetILNS1_3genE10ELNS1_11target_archE1200ELNS1_3gpuE4ELNS1_3repE0EEENS1_30default_config_static_selectorELNS0_4arch9wavefront6targetE0EEEvT1_
    .private_segment_fixed_size: 0
    .sgpr_count:     0
    .sgpr_spill_count: 0
    .symbol:         _ZN7rocprim17ROCPRIM_400000_NS6detail17trampoline_kernelINS0_14default_configENS1_25partition_config_selectorILNS1_17partition_subalgoE8ElNS0_10empty_typeEbEEZZNS1_14partition_implILS5_8ELb0ES3_jPlPS6_PKS6_NS0_5tupleIJS9_S6_EEENSD_IJSA_SA_EEENS0_18inequality_wrapperIZN2at6native12_GLOBAL__N_124unique_dim_cuda_templateIjEESt5tupleIJNSH_6TensorESM_SM_EERKSM_lbbbEUlllE0_EEPmJS6_EEE10hipError_tPvRmT3_T4_T5_T6_T7_T9_mT8_P12ihipStream_tbDpT10_ENKUlT_T0_E_clISt17integral_constantIbLb1EES1C_EEDaS17_S18_EUlS17_E_NS1_11comp_targetILNS1_3genE10ELNS1_11target_archE1200ELNS1_3gpuE4ELNS1_3repE0EEENS1_30default_config_static_selectorELNS0_4arch9wavefront6targetE0EEEvT1_.kd
    .uniform_work_group_size: 1
    .uses_dynamic_stack: false
    .vgpr_count:     0
    .vgpr_spill_count: 0
    .wavefront_size: 32
  - .args:
      - .offset:         0
        .size:           136
        .value_kind:     by_value
    .group_segment_fixed_size: 0
    .kernarg_segment_align: 8
    .kernarg_segment_size: 136
    .language:       OpenCL C
    .language_version:
      - 2
      - 0
    .max_flat_workgroup_size: 512
    .name:           _ZN7rocprim17ROCPRIM_400000_NS6detail17trampoline_kernelINS0_14default_configENS1_25partition_config_selectorILNS1_17partition_subalgoE8ElNS0_10empty_typeEbEEZZNS1_14partition_implILS5_8ELb0ES3_jPlPS6_PKS6_NS0_5tupleIJS9_S6_EEENSD_IJSA_SA_EEENS0_18inequality_wrapperIZN2at6native12_GLOBAL__N_124unique_dim_cuda_templateIjEESt5tupleIJNSH_6TensorESM_SM_EERKSM_lbbbEUlllE0_EEPmJS6_EEE10hipError_tPvRmT3_T4_T5_T6_T7_T9_mT8_P12ihipStream_tbDpT10_ENKUlT_T0_E_clISt17integral_constantIbLb1EES1C_EEDaS17_S18_EUlS17_E_NS1_11comp_targetILNS1_3genE9ELNS1_11target_archE1100ELNS1_3gpuE3ELNS1_3repE0EEENS1_30default_config_static_selectorELNS0_4arch9wavefront6targetE0EEEvT1_
    .private_segment_fixed_size: 0
    .sgpr_count:     0
    .sgpr_spill_count: 0
    .symbol:         _ZN7rocprim17ROCPRIM_400000_NS6detail17trampoline_kernelINS0_14default_configENS1_25partition_config_selectorILNS1_17partition_subalgoE8ElNS0_10empty_typeEbEEZZNS1_14partition_implILS5_8ELb0ES3_jPlPS6_PKS6_NS0_5tupleIJS9_S6_EEENSD_IJSA_SA_EEENS0_18inequality_wrapperIZN2at6native12_GLOBAL__N_124unique_dim_cuda_templateIjEESt5tupleIJNSH_6TensorESM_SM_EERKSM_lbbbEUlllE0_EEPmJS6_EEE10hipError_tPvRmT3_T4_T5_T6_T7_T9_mT8_P12ihipStream_tbDpT10_ENKUlT_T0_E_clISt17integral_constantIbLb1EES1C_EEDaS17_S18_EUlS17_E_NS1_11comp_targetILNS1_3genE9ELNS1_11target_archE1100ELNS1_3gpuE3ELNS1_3repE0EEENS1_30default_config_static_selectorELNS0_4arch9wavefront6targetE0EEEvT1_.kd
    .uniform_work_group_size: 1
    .uses_dynamic_stack: false
    .vgpr_count:     0
    .vgpr_spill_count: 0
    .wavefront_size: 32
  - .args:
      - .offset:         0
        .size:           136
        .value_kind:     by_value
    .group_segment_fixed_size: 0
    .kernarg_segment_align: 8
    .kernarg_segment_size: 136
    .language:       OpenCL C
    .language_version:
      - 2
      - 0
    .max_flat_workgroup_size: 512
    .name:           _ZN7rocprim17ROCPRIM_400000_NS6detail17trampoline_kernelINS0_14default_configENS1_25partition_config_selectorILNS1_17partition_subalgoE8ElNS0_10empty_typeEbEEZZNS1_14partition_implILS5_8ELb0ES3_jPlPS6_PKS6_NS0_5tupleIJS9_S6_EEENSD_IJSA_SA_EEENS0_18inequality_wrapperIZN2at6native12_GLOBAL__N_124unique_dim_cuda_templateIjEESt5tupleIJNSH_6TensorESM_SM_EERKSM_lbbbEUlllE0_EEPmJS6_EEE10hipError_tPvRmT3_T4_T5_T6_T7_T9_mT8_P12ihipStream_tbDpT10_ENKUlT_T0_E_clISt17integral_constantIbLb1EES1C_EEDaS17_S18_EUlS17_E_NS1_11comp_targetILNS1_3genE8ELNS1_11target_archE1030ELNS1_3gpuE2ELNS1_3repE0EEENS1_30default_config_static_selectorELNS0_4arch9wavefront6targetE0EEEvT1_
    .private_segment_fixed_size: 0
    .sgpr_count:     0
    .sgpr_spill_count: 0
    .symbol:         _ZN7rocprim17ROCPRIM_400000_NS6detail17trampoline_kernelINS0_14default_configENS1_25partition_config_selectorILNS1_17partition_subalgoE8ElNS0_10empty_typeEbEEZZNS1_14partition_implILS5_8ELb0ES3_jPlPS6_PKS6_NS0_5tupleIJS9_S6_EEENSD_IJSA_SA_EEENS0_18inequality_wrapperIZN2at6native12_GLOBAL__N_124unique_dim_cuda_templateIjEESt5tupleIJNSH_6TensorESM_SM_EERKSM_lbbbEUlllE0_EEPmJS6_EEE10hipError_tPvRmT3_T4_T5_T6_T7_T9_mT8_P12ihipStream_tbDpT10_ENKUlT_T0_E_clISt17integral_constantIbLb1EES1C_EEDaS17_S18_EUlS17_E_NS1_11comp_targetILNS1_3genE8ELNS1_11target_archE1030ELNS1_3gpuE2ELNS1_3repE0EEENS1_30default_config_static_selectorELNS0_4arch9wavefront6targetE0EEEvT1_.kd
    .uniform_work_group_size: 1
    .uses_dynamic_stack: false
    .vgpr_count:     0
    .vgpr_spill_count: 0
    .wavefront_size: 32
  - .args:
      - .offset:         0
        .size:           120
        .value_kind:     by_value
    .group_segment_fixed_size: 0
    .kernarg_segment_align: 8
    .kernarg_segment_size: 120
    .language:       OpenCL C
    .language_version:
      - 2
      - 0
    .max_flat_workgroup_size: 512
    .name:           _ZN7rocprim17ROCPRIM_400000_NS6detail17trampoline_kernelINS0_14default_configENS1_25partition_config_selectorILNS1_17partition_subalgoE8ElNS0_10empty_typeEbEEZZNS1_14partition_implILS5_8ELb0ES3_jPlPS6_PKS6_NS0_5tupleIJS9_S6_EEENSD_IJSA_SA_EEENS0_18inequality_wrapperIZN2at6native12_GLOBAL__N_124unique_dim_cuda_templateIjEESt5tupleIJNSH_6TensorESM_SM_EERKSM_lbbbEUlllE0_EEPmJS6_EEE10hipError_tPvRmT3_T4_T5_T6_T7_T9_mT8_P12ihipStream_tbDpT10_ENKUlT_T0_E_clISt17integral_constantIbLb1EES1B_IbLb0EEEEDaS17_S18_EUlS17_E_NS1_11comp_targetILNS1_3genE0ELNS1_11target_archE4294967295ELNS1_3gpuE0ELNS1_3repE0EEENS1_30default_config_static_selectorELNS0_4arch9wavefront6targetE0EEEvT1_
    .private_segment_fixed_size: 0
    .sgpr_count:     0
    .sgpr_spill_count: 0
    .symbol:         _ZN7rocprim17ROCPRIM_400000_NS6detail17trampoline_kernelINS0_14default_configENS1_25partition_config_selectorILNS1_17partition_subalgoE8ElNS0_10empty_typeEbEEZZNS1_14partition_implILS5_8ELb0ES3_jPlPS6_PKS6_NS0_5tupleIJS9_S6_EEENSD_IJSA_SA_EEENS0_18inequality_wrapperIZN2at6native12_GLOBAL__N_124unique_dim_cuda_templateIjEESt5tupleIJNSH_6TensorESM_SM_EERKSM_lbbbEUlllE0_EEPmJS6_EEE10hipError_tPvRmT3_T4_T5_T6_T7_T9_mT8_P12ihipStream_tbDpT10_ENKUlT_T0_E_clISt17integral_constantIbLb1EES1B_IbLb0EEEEDaS17_S18_EUlS17_E_NS1_11comp_targetILNS1_3genE0ELNS1_11target_archE4294967295ELNS1_3gpuE0ELNS1_3repE0EEENS1_30default_config_static_selectorELNS0_4arch9wavefront6targetE0EEEvT1_.kd
    .uniform_work_group_size: 1
    .uses_dynamic_stack: false
    .vgpr_count:     0
    .vgpr_spill_count: 0
    .wavefront_size: 32
  - .args:
      - .offset:         0
        .size:           120
        .value_kind:     by_value
    .group_segment_fixed_size: 0
    .kernarg_segment_align: 8
    .kernarg_segment_size: 120
    .language:       OpenCL C
    .language_version:
      - 2
      - 0
    .max_flat_workgroup_size: 512
    .name:           _ZN7rocprim17ROCPRIM_400000_NS6detail17trampoline_kernelINS0_14default_configENS1_25partition_config_selectorILNS1_17partition_subalgoE8ElNS0_10empty_typeEbEEZZNS1_14partition_implILS5_8ELb0ES3_jPlPS6_PKS6_NS0_5tupleIJS9_S6_EEENSD_IJSA_SA_EEENS0_18inequality_wrapperIZN2at6native12_GLOBAL__N_124unique_dim_cuda_templateIjEESt5tupleIJNSH_6TensorESM_SM_EERKSM_lbbbEUlllE0_EEPmJS6_EEE10hipError_tPvRmT3_T4_T5_T6_T7_T9_mT8_P12ihipStream_tbDpT10_ENKUlT_T0_E_clISt17integral_constantIbLb1EES1B_IbLb0EEEEDaS17_S18_EUlS17_E_NS1_11comp_targetILNS1_3genE5ELNS1_11target_archE942ELNS1_3gpuE9ELNS1_3repE0EEENS1_30default_config_static_selectorELNS0_4arch9wavefront6targetE0EEEvT1_
    .private_segment_fixed_size: 0
    .sgpr_count:     0
    .sgpr_spill_count: 0
    .symbol:         _ZN7rocprim17ROCPRIM_400000_NS6detail17trampoline_kernelINS0_14default_configENS1_25partition_config_selectorILNS1_17partition_subalgoE8ElNS0_10empty_typeEbEEZZNS1_14partition_implILS5_8ELb0ES3_jPlPS6_PKS6_NS0_5tupleIJS9_S6_EEENSD_IJSA_SA_EEENS0_18inequality_wrapperIZN2at6native12_GLOBAL__N_124unique_dim_cuda_templateIjEESt5tupleIJNSH_6TensorESM_SM_EERKSM_lbbbEUlllE0_EEPmJS6_EEE10hipError_tPvRmT3_T4_T5_T6_T7_T9_mT8_P12ihipStream_tbDpT10_ENKUlT_T0_E_clISt17integral_constantIbLb1EES1B_IbLb0EEEEDaS17_S18_EUlS17_E_NS1_11comp_targetILNS1_3genE5ELNS1_11target_archE942ELNS1_3gpuE9ELNS1_3repE0EEENS1_30default_config_static_selectorELNS0_4arch9wavefront6targetE0EEEvT1_.kd
    .uniform_work_group_size: 1
    .uses_dynamic_stack: false
    .vgpr_count:     0
    .vgpr_spill_count: 0
    .wavefront_size: 32
  - .args:
      - .offset:         0
        .size:           120
        .value_kind:     by_value
    .group_segment_fixed_size: 0
    .kernarg_segment_align: 8
    .kernarg_segment_size: 120
    .language:       OpenCL C
    .language_version:
      - 2
      - 0
    .max_flat_workgroup_size: 256
    .name:           _ZN7rocprim17ROCPRIM_400000_NS6detail17trampoline_kernelINS0_14default_configENS1_25partition_config_selectorILNS1_17partition_subalgoE8ElNS0_10empty_typeEbEEZZNS1_14partition_implILS5_8ELb0ES3_jPlPS6_PKS6_NS0_5tupleIJS9_S6_EEENSD_IJSA_SA_EEENS0_18inequality_wrapperIZN2at6native12_GLOBAL__N_124unique_dim_cuda_templateIjEESt5tupleIJNSH_6TensorESM_SM_EERKSM_lbbbEUlllE0_EEPmJS6_EEE10hipError_tPvRmT3_T4_T5_T6_T7_T9_mT8_P12ihipStream_tbDpT10_ENKUlT_T0_E_clISt17integral_constantIbLb1EES1B_IbLb0EEEEDaS17_S18_EUlS17_E_NS1_11comp_targetILNS1_3genE4ELNS1_11target_archE910ELNS1_3gpuE8ELNS1_3repE0EEENS1_30default_config_static_selectorELNS0_4arch9wavefront6targetE0EEEvT1_
    .private_segment_fixed_size: 0
    .sgpr_count:     0
    .sgpr_spill_count: 0
    .symbol:         _ZN7rocprim17ROCPRIM_400000_NS6detail17trampoline_kernelINS0_14default_configENS1_25partition_config_selectorILNS1_17partition_subalgoE8ElNS0_10empty_typeEbEEZZNS1_14partition_implILS5_8ELb0ES3_jPlPS6_PKS6_NS0_5tupleIJS9_S6_EEENSD_IJSA_SA_EEENS0_18inequality_wrapperIZN2at6native12_GLOBAL__N_124unique_dim_cuda_templateIjEESt5tupleIJNSH_6TensorESM_SM_EERKSM_lbbbEUlllE0_EEPmJS6_EEE10hipError_tPvRmT3_T4_T5_T6_T7_T9_mT8_P12ihipStream_tbDpT10_ENKUlT_T0_E_clISt17integral_constantIbLb1EES1B_IbLb0EEEEDaS17_S18_EUlS17_E_NS1_11comp_targetILNS1_3genE4ELNS1_11target_archE910ELNS1_3gpuE8ELNS1_3repE0EEENS1_30default_config_static_selectorELNS0_4arch9wavefront6targetE0EEEvT1_.kd
    .uniform_work_group_size: 1
    .uses_dynamic_stack: false
    .vgpr_count:     0
    .vgpr_spill_count: 0
    .wavefront_size: 32
  - .args:
      - .offset:         0
        .size:           120
        .value_kind:     by_value
    .group_segment_fixed_size: 0
    .kernarg_segment_align: 8
    .kernarg_segment_size: 120
    .language:       OpenCL C
    .language_version:
      - 2
      - 0
    .max_flat_workgroup_size: 512
    .name:           _ZN7rocprim17ROCPRIM_400000_NS6detail17trampoline_kernelINS0_14default_configENS1_25partition_config_selectorILNS1_17partition_subalgoE8ElNS0_10empty_typeEbEEZZNS1_14partition_implILS5_8ELb0ES3_jPlPS6_PKS6_NS0_5tupleIJS9_S6_EEENSD_IJSA_SA_EEENS0_18inequality_wrapperIZN2at6native12_GLOBAL__N_124unique_dim_cuda_templateIjEESt5tupleIJNSH_6TensorESM_SM_EERKSM_lbbbEUlllE0_EEPmJS6_EEE10hipError_tPvRmT3_T4_T5_T6_T7_T9_mT8_P12ihipStream_tbDpT10_ENKUlT_T0_E_clISt17integral_constantIbLb1EES1B_IbLb0EEEEDaS17_S18_EUlS17_E_NS1_11comp_targetILNS1_3genE3ELNS1_11target_archE908ELNS1_3gpuE7ELNS1_3repE0EEENS1_30default_config_static_selectorELNS0_4arch9wavefront6targetE0EEEvT1_
    .private_segment_fixed_size: 0
    .sgpr_count:     0
    .sgpr_spill_count: 0
    .symbol:         _ZN7rocprim17ROCPRIM_400000_NS6detail17trampoline_kernelINS0_14default_configENS1_25partition_config_selectorILNS1_17partition_subalgoE8ElNS0_10empty_typeEbEEZZNS1_14partition_implILS5_8ELb0ES3_jPlPS6_PKS6_NS0_5tupleIJS9_S6_EEENSD_IJSA_SA_EEENS0_18inequality_wrapperIZN2at6native12_GLOBAL__N_124unique_dim_cuda_templateIjEESt5tupleIJNSH_6TensorESM_SM_EERKSM_lbbbEUlllE0_EEPmJS6_EEE10hipError_tPvRmT3_T4_T5_T6_T7_T9_mT8_P12ihipStream_tbDpT10_ENKUlT_T0_E_clISt17integral_constantIbLb1EES1B_IbLb0EEEEDaS17_S18_EUlS17_E_NS1_11comp_targetILNS1_3genE3ELNS1_11target_archE908ELNS1_3gpuE7ELNS1_3repE0EEENS1_30default_config_static_selectorELNS0_4arch9wavefront6targetE0EEEvT1_.kd
    .uniform_work_group_size: 1
    .uses_dynamic_stack: false
    .vgpr_count:     0
    .vgpr_spill_count: 0
    .wavefront_size: 32
  - .args:
      - .offset:         0
        .size:           120
        .value_kind:     by_value
    .group_segment_fixed_size: 0
    .kernarg_segment_align: 8
    .kernarg_segment_size: 120
    .language:       OpenCL C
    .language_version:
      - 2
      - 0
    .max_flat_workgroup_size: 256
    .name:           _ZN7rocprim17ROCPRIM_400000_NS6detail17trampoline_kernelINS0_14default_configENS1_25partition_config_selectorILNS1_17partition_subalgoE8ElNS0_10empty_typeEbEEZZNS1_14partition_implILS5_8ELb0ES3_jPlPS6_PKS6_NS0_5tupleIJS9_S6_EEENSD_IJSA_SA_EEENS0_18inequality_wrapperIZN2at6native12_GLOBAL__N_124unique_dim_cuda_templateIjEESt5tupleIJNSH_6TensorESM_SM_EERKSM_lbbbEUlllE0_EEPmJS6_EEE10hipError_tPvRmT3_T4_T5_T6_T7_T9_mT8_P12ihipStream_tbDpT10_ENKUlT_T0_E_clISt17integral_constantIbLb1EES1B_IbLb0EEEEDaS17_S18_EUlS17_E_NS1_11comp_targetILNS1_3genE2ELNS1_11target_archE906ELNS1_3gpuE6ELNS1_3repE0EEENS1_30default_config_static_selectorELNS0_4arch9wavefront6targetE0EEEvT1_
    .private_segment_fixed_size: 0
    .sgpr_count:     0
    .sgpr_spill_count: 0
    .symbol:         _ZN7rocprim17ROCPRIM_400000_NS6detail17trampoline_kernelINS0_14default_configENS1_25partition_config_selectorILNS1_17partition_subalgoE8ElNS0_10empty_typeEbEEZZNS1_14partition_implILS5_8ELb0ES3_jPlPS6_PKS6_NS0_5tupleIJS9_S6_EEENSD_IJSA_SA_EEENS0_18inequality_wrapperIZN2at6native12_GLOBAL__N_124unique_dim_cuda_templateIjEESt5tupleIJNSH_6TensorESM_SM_EERKSM_lbbbEUlllE0_EEPmJS6_EEE10hipError_tPvRmT3_T4_T5_T6_T7_T9_mT8_P12ihipStream_tbDpT10_ENKUlT_T0_E_clISt17integral_constantIbLb1EES1B_IbLb0EEEEDaS17_S18_EUlS17_E_NS1_11comp_targetILNS1_3genE2ELNS1_11target_archE906ELNS1_3gpuE6ELNS1_3repE0EEENS1_30default_config_static_selectorELNS0_4arch9wavefront6targetE0EEEvT1_.kd
    .uniform_work_group_size: 1
    .uses_dynamic_stack: false
    .vgpr_count:     0
    .vgpr_spill_count: 0
    .wavefront_size: 32
  - .args:
      - .offset:         0
        .size:           120
        .value_kind:     by_value
    .group_segment_fixed_size: 0
    .kernarg_segment_align: 8
    .kernarg_segment_size: 120
    .language:       OpenCL C
    .language_version:
      - 2
      - 0
    .max_flat_workgroup_size: 384
    .name:           _ZN7rocprim17ROCPRIM_400000_NS6detail17trampoline_kernelINS0_14default_configENS1_25partition_config_selectorILNS1_17partition_subalgoE8ElNS0_10empty_typeEbEEZZNS1_14partition_implILS5_8ELb0ES3_jPlPS6_PKS6_NS0_5tupleIJS9_S6_EEENSD_IJSA_SA_EEENS0_18inequality_wrapperIZN2at6native12_GLOBAL__N_124unique_dim_cuda_templateIjEESt5tupleIJNSH_6TensorESM_SM_EERKSM_lbbbEUlllE0_EEPmJS6_EEE10hipError_tPvRmT3_T4_T5_T6_T7_T9_mT8_P12ihipStream_tbDpT10_ENKUlT_T0_E_clISt17integral_constantIbLb1EES1B_IbLb0EEEEDaS17_S18_EUlS17_E_NS1_11comp_targetILNS1_3genE10ELNS1_11target_archE1200ELNS1_3gpuE4ELNS1_3repE0EEENS1_30default_config_static_selectorELNS0_4arch9wavefront6targetE0EEEvT1_
    .private_segment_fixed_size: 0
    .sgpr_count:     0
    .sgpr_spill_count: 0
    .symbol:         _ZN7rocprim17ROCPRIM_400000_NS6detail17trampoline_kernelINS0_14default_configENS1_25partition_config_selectorILNS1_17partition_subalgoE8ElNS0_10empty_typeEbEEZZNS1_14partition_implILS5_8ELb0ES3_jPlPS6_PKS6_NS0_5tupleIJS9_S6_EEENSD_IJSA_SA_EEENS0_18inequality_wrapperIZN2at6native12_GLOBAL__N_124unique_dim_cuda_templateIjEESt5tupleIJNSH_6TensorESM_SM_EERKSM_lbbbEUlllE0_EEPmJS6_EEE10hipError_tPvRmT3_T4_T5_T6_T7_T9_mT8_P12ihipStream_tbDpT10_ENKUlT_T0_E_clISt17integral_constantIbLb1EES1B_IbLb0EEEEDaS17_S18_EUlS17_E_NS1_11comp_targetILNS1_3genE10ELNS1_11target_archE1200ELNS1_3gpuE4ELNS1_3repE0EEENS1_30default_config_static_selectorELNS0_4arch9wavefront6targetE0EEEvT1_.kd
    .uniform_work_group_size: 1
    .uses_dynamic_stack: false
    .vgpr_count:     0
    .vgpr_spill_count: 0
    .wavefront_size: 32
  - .args:
      - .offset:         0
        .size:           120
        .value_kind:     by_value
    .group_segment_fixed_size: 0
    .kernarg_segment_align: 8
    .kernarg_segment_size: 120
    .language:       OpenCL C
    .language_version:
      - 2
      - 0
    .max_flat_workgroup_size: 512
    .name:           _ZN7rocprim17ROCPRIM_400000_NS6detail17trampoline_kernelINS0_14default_configENS1_25partition_config_selectorILNS1_17partition_subalgoE8ElNS0_10empty_typeEbEEZZNS1_14partition_implILS5_8ELb0ES3_jPlPS6_PKS6_NS0_5tupleIJS9_S6_EEENSD_IJSA_SA_EEENS0_18inequality_wrapperIZN2at6native12_GLOBAL__N_124unique_dim_cuda_templateIjEESt5tupleIJNSH_6TensorESM_SM_EERKSM_lbbbEUlllE0_EEPmJS6_EEE10hipError_tPvRmT3_T4_T5_T6_T7_T9_mT8_P12ihipStream_tbDpT10_ENKUlT_T0_E_clISt17integral_constantIbLb1EES1B_IbLb0EEEEDaS17_S18_EUlS17_E_NS1_11comp_targetILNS1_3genE9ELNS1_11target_archE1100ELNS1_3gpuE3ELNS1_3repE0EEENS1_30default_config_static_selectorELNS0_4arch9wavefront6targetE0EEEvT1_
    .private_segment_fixed_size: 0
    .sgpr_count:     0
    .sgpr_spill_count: 0
    .symbol:         _ZN7rocprim17ROCPRIM_400000_NS6detail17trampoline_kernelINS0_14default_configENS1_25partition_config_selectorILNS1_17partition_subalgoE8ElNS0_10empty_typeEbEEZZNS1_14partition_implILS5_8ELb0ES3_jPlPS6_PKS6_NS0_5tupleIJS9_S6_EEENSD_IJSA_SA_EEENS0_18inequality_wrapperIZN2at6native12_GLOBAL__N_124unique_dim_cuda_templateIjEESt5tupleIJNSH_6TensorESM_SM_EERKSM_lbbbEUlllE0_EEPmJS6_EEE10hipError_tPvRmT3_T4_T5_T6_T7_T9_mT8_P12ihipStream_tbDpT10_ENKUlT_T0_E_clISt17integral_constantIbLb1EES1B_IbLb0EEEEDaS17_S18_EUlS17_E_NS1_11comp_targetILNS1_3genE9ELNS1_11target_archE1100ELNS1_3gpuE3ELNS1_3repE0EEENS1_30default_config_static_selectorELNS0_4arch9wavefront6targetE0EEEvT1_.kd
    .uniform_work_group_size: 1
    .uses_dynamic_stack: false
    .vgpr_count:     0
    .vgpr_spill_count: 0
    .wavefront_size: 32
  - .args:
      - .offset:         0
        .size:           120
        .value_kind:     by_value
    .group_segment_fixed_size: 0
    .kernarg_segment_align: 8
    .kernarg_segment_size: 120
    .language:       OpenCL C
    .language_version:
      - 2
      - 0
    .max_flat_workgroup_size: 512
    .name:           _ZN7rocprim17ROCPRIM_400000_NS6detail17trampoline_kernelINS0_14default_configENS1_25partition_config_selectorILNS1_17partition_subalgoE8ElNS0_10empty_typeEbEEZZNS1_14partition_implILS5_8ELb0ES3_jPlPS6_PKS6_NS0_5tupleIJS9_S6_EEENSD_IJSA_SA_EEENS0_18inequality_wrapperIZN2at6native12_GLOBAL__N_124unique_dim_cuda_templateIjEESt5tupleIJNSH_6TensorESM_SM_EERKSM_lbbbEUlllE0_EEPmJS6_EEE10hipError_tPvRmT3_T4_T5_T6_T7_T9_mT8_P12ihipStream_tbDpT10_ENKUlT_T0_E_clISt17integral_constantIbLb1EES1B_IbLb0EEEEDaS17_S18_EUlS17_E_NS1_11comp_targetILNS1_3genE8ELNS1_11target_archE1030ELNS1_3gpuE2ELNS1_3repE0EEENS1_30default_config_static_selectorELNS0_4arch9wavefront6targetE0EEEvT1_
    .private_segment_fixed_size: 0
    .sgpr_count:     0
    .sgpr_spill_count: 0
    .symbol:         _ZN7rocprim17ROCPRIM_400000_NS6detail17trampoline_kernelINS0_14default_configENS1_25partition_config_selectorILNS1_17partition_subalgoE8ElNS0_10empty_typeEbEEZZNS1_14partition_implILS5_8ELb0ES3_jPlPS6_PKS6_NS0_5tupleIJS9_S6_EEENSD_IJSA_SA_EEENS0_18inequality_wrapperIZN2at6native12_GLOBAL__N_124unique_dim_cuda_templateIjEESt5tupleIJNSH_6TensorESM_SM_EERKSM_lbbbEUlllE0_EEPmJS6_EEE10hipError_tPvRmT3_T4_T5_T6_T7_T9_mT8_P12ihipStream_tbDpT10_ENKUlT_T0_E_clISt17integral_constantIbLb1EES1B_IbLb0EEEEDaS17_S18_EUlS17_E_NS1_11comp_targetILNS1_3genE8ELNS1_11target_archE1030ELNS1_3gpuE2ELNS1_3repE0EEENS1_30default_config_static_selectorELNS0_4arch9wavefront6targetE0EEEvT1_.kd
    .uniform_work_group_size: 1
    .uses_dynamic_stack: false
    .vgpr_count:     0
    .vgpr_spill_count: 0
    .wavefront_size: 32
  - .args:
      - .offset:         0
        .size:           136
        .value_kind:     by_value
    .group_segment_fixed_size: 28680
    .kernarg_segment_align: 8
    .kernarg_segment_size: 136
    .language:       OpenCL C
    .language_version:
      - 2
      - 0
    .max_flat_workgroup_size: 512
    .name:           _ZN7rocprim17ROCPRIM_400000_NS6detail17trampoline_kernelINS0_14default_configENS1_25partition_config_selectorILNS1_17partition_subalgoE8ElNS0_10empty_typeEbEEZZNS1_14partition_implILS5_8ELb0ES3_jPlPS6_PKS6_NS0_5tupleIJS9_S6_EEENSD_IJSA_SA_EEENS0_18inequality_wrapperIZN2at6native12_GLOBAL__N_124unique_dim_cuda_templateIjEESt5tupleIJNSH_6TensorESM_SM_EERKSM_lbbbEUlllE0_EEPmJS6_EEE10hipError_tPvRmT3_T4_T5_T6_T7_T9_mT8_P12ihipStream_tbDpT10_ENKUlT_T0_E_clISt17integral_constantIbLb0EES1B_IbLb1EEEEDaS17_S18_EUlS17_E_NS1_11comp_targetILNS1_3genE0ELNS1_11target_archE4294967295ELNS1_3gpuE0ELNS1_3repE0EEENS1_30default_config_static_selectorELNS0_4arch9wavefront6targetE0EEEvT1_
    .private_segment_fixed_size: 0
    .sgpr_count:     38
    .sgpr_spill_count: 0
    .symbol:         _ZN7rocprim17ROCPRIM_400000_NS6detail17trampoline_kernelINS0_14default_configENS1_25partition_config_selectorILNS1_17partition_subalgoE8ElNS0_10empty_typeEbEEZZNS1_14partition_implILS5_8ELb0ES3_jPlPS6_PKS6_NS0_5tupleIJS9_S6_EEENSD_IJSA_SA_EEENS0_18inequality_wrapperIZN2at6native12_GLOBAL__N_124unique_dim_cuda_templateIjEESt5tupleIJNSH_6TensorESM_SM_EERKSM_lbbbEUlllE0_EEPmJS6_EEE10hipError_tPvRmT3_T4_T5_T6_T7_T9_mT8_P12ihipStream_tbDpT10_ENKUlT_T0_E_clISt17integral_constantIbLb0EES1B_IbLb1EEEEDaS17_S18_EUlS17_E_NS1_11comp_targetILNS1_3genE0ELNS1_11target_archE4294967295ELNS1_3gpuE0ELNS1_3repE0EEENS1_30default_config_static_selectorELNS0_4arch9wavefront6targetE0EEEvT1_.kd
    .uniform_work_group_size: 1
    .uses_dynamic_stack: false
    .vgpr_count:     53
    .vgpr_spill_count: 0
    .wavefront_size: 32
  - .args:
      - .offset:         0
        .size:           136
        .value_kind:     by_value
    .group_segment_fixed_size: 0
    .kernarg_segment_align: 8
    .kernarg_segment_size: 136
    .language:       OpenCL C
    .language_version:
      - 2
      - 0
    .max_flat_workgroup_size: 512
    .name:           _ZN7rocprim17ROCPRIM_400000_NS6detail17trampoline_kernelINS0_14default_configENS1_25partition_config_selectorILNS1_17partition_subalgoE8ElNS0_10empty_typeEbEEZZNS1_14partition_implILS5_8ELb0ES3_jPlPS6_PKS6_NS0_5tupleIJS9_S6_EEENSD_IJSA_SA_EEENS0_18inequality_wrapperIZN2at6native12_GLOBAL__N_124unique_dim_cuda_templateIjEESt5tupleIJNSH_6TensorESM_SM_EERKSM_lbbbEUlllE0_EEPmJS6_EEE10hipError_tPvRmT3_T4_T5_T6_T7_T9_mT8_P12ihipStream_tbDpT10_ENKUlT_T0_E_clISt17integral_constantIbLb0EES1B_IbLb1EEEEDaS17_S18_EUlS17_E_NS1_11comp_targetILNS1_3genE5ELNS1_11target_archE942ELNS1_3gpuE9ELNS1_3repE0EEENS1_30default_config_static_selectorELNS0_4arch9wavefront6targetE0EEEvT1_
    .private_segment_fixed_size: 0
    .sgpr_count:     0
    .sgpr_spill_count: 0
    .symbol:         _ZN7rocprim17ROCPRIM_400000_NS6detail17trampoline_kernelINS0_14default_configENS1_25partition_config_selectorILNS1_17partition_subalgoE8ElNS0_10empty_typeEbEEZZNS1_14partition_implILS5_8ELb0ES3_jPlPS6_PKS6_NS0_5tupleIJS9_S6_EEENSD_IJSA_SA_EEENS0_18inequality_wrapperIZN2at6native12_GLOBAL__N_124unique_dim_cuda_templateIjEESt5tupleIJNSH_6TensorESM_SM_EERKSM_lbbbEUlllE0_EEPmJS6_EEE10hipError_tPvRmT3_T4_T5_T6_T7_T9_mT8_P12ihipStream_tbDpT10_ENKUlT_T0_E_clISt17integral_constantIbLb0EES1B_IbLb1EEEEDaS17_S18_EUlS17_E_NS1_11comp_targetILNS1_3genE5ELNS1_11target_archE942ELNS1_3gpuE9ELNS1_3repE0EEENS1_30default_config_static_selectorELNS0_4arch9wavefront6targetE0EEEvT1_.kd
    .uniform_work_group_size: 1
    .uses_dynamic_stack: false
    .vgpr_count:     0
    .vgpr_spill_count: 0
    .wavefront_size: 32
  - .args:
      - .offset:         0
        .size:           136
        .value_kind:     by_value
    .group_segment_fixed_size: 0
    .kernarg_segment_align: 8
    .kernarg_segment_size: 136
    .language:       OpenCL C
    .language_version:
      - 2
      - 0
    .max_flat_workgroup_size: 256
    .name:           _ZN7rocprim17ROCPRIM_400000_NS6detail17trampoline_kernelINS0_14default_configENS1_25partition_config_selectorILNS1_17partition_subalgoE8ElNS0_10empty_typeEbEEZZNS1_14partition_implILS5_8ELb0ES3_jPlPS6_PKS6_NS0_5tupleIJS9_S6_EEENSD_IJSA_SA_EEENS0_18inequality_wrapperIZN2at6native12_GLOBAL__N_124unique_dim_cuda_templateIjEESt5tupleIJNSH_6TensorESM_SM_EERKSM_lbbbEUlllE0_EEPmJS6_EEE10hipError_tPvRmT3_T4_T5_T6_T7_T9_mT8_P12ihipStream_tbDpT10_ENKUlT_T0_E_clISt17integral_constantIbLb0EES1B_IbLb1EEEEDaS17_S18_EUlS17_E_NS1_11comp_targetILNS1_3genE4ELNS1_11target_archE910ELNS1_3gpuE8ELNS1_3repE0EEENS1_30default_config_static_selectorELNS0_4arch9wavefront6targetE0EEEvT1_
    .private_segment_fixed_size: 0
    .sgpr_count:     0
    .sgpr_spill_count: 0
    .symbol:         _ZN7rocprim17ROCPRIM_400000_NS6detail17trampoline_kernelINS0_14default_configENS1_25partition_config_selectorILNS1_17partition_subalgoE8ElNS0_10empty_typeEbEEZZNS1_14partition_implILS5_8ELb0ES3_jPlPS6_PKS6_NS0_5tupleIJS9_S6_EEENSD_IJSA_SA_EEENS0_18inequality_wrapperIZN2at6native12_GLOBAL__N_124unique_dim_cuda_templateIjEESt5tupleIJNSH_6TensorESM_SM_EERKSM_lbbbEUlllE0_EEPmJS6_EEE10hipError_tPvRmT3_T4_T5_T6_T7_T9_mT8_P12ihipStream_tbDpT10_ENKUlT_T0_E_clISt17integral_constantIbLb0EES1B_IbLb1EEEEDaS17_S18_EUlS17_E_NS1_11comp_targetILNS1_3genE4ELNS1_11target_archE910ELNS1_3gpuE8ELNS1_3repE0EEENS1_30default_config_static_selectorELNS0_4arch9wavefront6targetE0EEEvT1_.kd
    .uniform_work_group_size: 1
    .uses_dynamic_stack: false
    .vgpr_count:     0
    .vgpr_spill_count: 0
    .wavefront_size: 32
  - .args:
      - .offset:         0
        .size:           136
        .value_kind:     by_value
    .group_segment_fixed_size: 0
    .kernarg_segment_align: 8
    .kernarg_segment_size: 136
    .language:       OpenCL C
    .language_version:
      - 2
      - 0
    .max_flat_workgroup_size: 512
    .name:           _ZN7rocprim17ROCPRIM_400000_NS6detail17trampoline_kernelINS0_14default_configENS1_25partition_config_selectorILNS1_17partition_subalgoE8ElNS0_10empty_typeEbEEZZNS1_14partition_implILS5_8ELb0ES3_jPlPS6_PKS6_NS0_5tupleIJS9_S6_EEENSD_IJSA_SA_EEENS0_18inequality_wrapperIZN2at6native12_GLOBAL__N_124unique_dim_cuda_templateIjEESt5tupleIJNSH_6TensorESM_SM_EERKSM_lbbbEUlllE0_EEPmJS6_EEE10hipError_tPvRmT3_T4_T5_T6_T7_T9_mT8_P12ihipStream_tbDpT10_ENKUlT_T0_E_clISt17integral_constantIbLb0EES1B_IbLb1EEEEDaS17_S18_EUlS17_E_NS1_11comp_targetILNS1_3genE3ELNS1_11target_archE908ELNS1_3gpuE7ELNS1_3repE0EEENS1_30default_config_static_selectorELNS0_4arch9wavefront6targetE0EEEvT1_
    .private_segment_fixed_size: 0
    .sgpr_count:     0
    .sgpr_spill_count: 0
    .symbol:         _ZN7rocprim17ROCPRIM_400000_NS6detail17trampoline_kernelINS0_14default_configENS1_25partition_config_selectorILNS1_17partition_subalgoE8ElNS0_10empty_typeEbEEZZNS1_14partition_implILS5_8ELb0ES3_jPlPS6_PKS6_NS0_5tupleIJS9_S6_EEENSD_IJSA_SA_EEENS0_18inequality_wrapperIZN2at6native12_GLOBAL__N_124unique_dim_cuda_templateIjEESt5tupleIJNSH_6TensorESM_SM_EERKSM_lbbbEUlllE0_EEPmJS6_EEE10hipError_tPvRmT3_T4_T5_T6_T7_T9_mT8_P12ihipStream_tbDpT10_ENKUlT_T0_E_clISt17integral_constantIbLb0EES1B_IbLb1EEEEDaS17_S18_EUlS17_E_NS1_11comp_targetILNS1_3genE3ELNS1_11target_archE908ELNS1_3gpuE7ELNS1_3repE0EEENS1_30default_config_static_selectorELNS0_4arch9wavefront6targetE0EEEvT1_.kd
    .uniform_work_group_size: 1
    .uses_dynamic_stack: false
    .vgpr_count:     0
    .vgpr_spill_count: 0
    .wavefront_size: 32
  - .args:
      - .offset:         0
        .size:           136
        .value_kind:     by_value
    .group_segment_fixed_size: 0
    .kernarg_segment_align: 8
    .kernarg_segment_size: 136
    .language:       OpenCL C
    .language_version:
      - 2
      - 0
    .max_flat_workgroup_size: 256
    .name:           _ZN7rocprim17ROCPRIM_400000_NS6detail17trampoline_kernelINS0_14default_configENS1_25partition_config_selectorILNS1_17partition_subalgoE8ElNS0_10empty_typeEbEEZZNS1_14partition_implILS5_8ELb0ES3_jPlPS6_PKS6_NS0_5tupleIJS9_S6_EEENSD_IJSA_SA_EEENS0_18inequality_wrapperIZN2at6native12_GLOBAL__N_124unique_dim_cuda_templateIjEESt5tupleIJNSH_6TensorESM_SM_EERKSM_lbbbEUlllE0_EEPmJS6_EEE10hipError_tPvRmT3_T4_T5_T6_T7_T9_mT8_P12ihipStream_tbDpT10_ENKUlT_T0_E_clISt17integral_constantIbLb0EES1B_IbLb1EEEEDaS17_S18_EUlS17_E_NS1_11comp_targetILNS1_3genE2ELNS1_11target_archE906ELNS1_3gpuE6ELNS1_3repE0EEENS1_30default_config_static_selectorELNS0_4arch9wavefront6targetE0EEEvT1_
    .private_segment_fixed_size: 0
    .sgpr_count:     0
    .sgpr_spill_count: 0
    .symbol:         _ZN7rocprim17ROCPRIM_400000_NS6detail17trampoline_kernelINS0_14default_configENS1_25partition_config_selectorILNS1_17partition_subalgoE8ElNS0_10empty_typeEbEEZZNS1_14partition_implILS5_8ELb0ES3_jPlPS6_PKS6_NS0_5tupleIJS9_S6_EEENSD_IJSA_SA_EEENS0_18inequality_wrapperIZN2at6native12_GLOBAL__N_124unique_dim_cuda_templateIjEESt5tupleIJNSH_6TensorESM_SM_EERKSM_lbbbEUlllE0_EEPmJS6_EEE10hipError_tPvRmT3_T4_T5_T6_T7_T9_mT8_P12ihipStream_tbDpT10_ENKUlT_T0_E_clISt17integral_constantIbLb0EES1B_IbLb1EEEEDaS17_S18_EUlS17_E_NS1_11comp_targetILNS1_3genE2ELNS1_11target_archE906ELNS1_3gpuE6ELNS1_3repE0EEENS1_30default_config_static_selectorELNS0_4arch9wavefront6targetE0EEEvT1_.kd
    .uniform_work_group_size: 1
    .uses_dynamic_stack: false
    .vgpr_count:     0
    .vgpr_spill_count: 0
    .wavefront_size: 32
  - .args:
      - .offset:         0
        .size:           136
        .value_kind:     by_value
    .group_segment_fixed_size: 0
    .kernarg_segment_align: 8
    .kernarg_segment_size: 136
    .language:       OpenCL C
    .language_version:
      - 2
      - 0
    .max_flat_workgroup_size: 384
    .name:           _ZN7rocprim17ROCPRIM_400000_NS6detail17trampoline_kernelINS0_14default_configENS1_25partition_config_selectorILNS1_17partition_subalgoE8ElNS0_10empty_typeEbEEZZNS1_14partition_implILS5_8ELb0ES3_jPlPS6_PKS6_NS0_5tupleIJS9_S6_EEENSD_IJSA_SA_EEENS0_18inequality_wrapperIZN2at6native12_GLOBAL__N_124unique_dim_cuda_templateIjEESt5tupleIJNSH_6TensorESM_SM_EERKSM_lbbbEUlllE0_EEPmJS6_EEE10hipError_tPvRmT3_T4_T5_T6_T7_T9_mT8_P12ihipStream_tbDpT10_ENKUlT_T0_E_clISt17integral_constantIbLb0EES1B_IbLb1EEEEDaS17_S18_EUlS17_E_NS1_11comp_targetILNS1_3genE10ELNS1_11target_archE1200ELNS1_3gpuE4ELNS1_3repE0EEENS1_30default_config_static_selectorELNS0_4arch9wavefront6targetE0EEEvT1_
    .private_segment_fixed_size: 0
    .sgpr_count:     0
    .sgpr_spill_count: 0
    .symbol:         _ZN7rocprim17ROCPRIM_400000_NS6detail17trampoline_kernelINS0_14default_configENS1_25partition_config_selectorILNS1_17partition_subalgoE8ElNS0_10empty_typeEbEEZZNS1_14partition_implILS5_8ELb0ES3_jPlPS6_PKS6_NS0_5tupleIJS9_S6_EEENSD_IJSA_SA_EEENS0_18inequality_wrapperIZN2at6native12_GLOBAL__N_124unique_dim_cuda_templateIjEESt5tupleIJNSH_6TensorESM_SM_EERKSM_lbbbEUlllE0_EEPmJS6_EEE10hipError_tPvRmT3_T4_T5_T6_T7_T9_mT8_P12ihipStream_tbDpT10_ENKUlT_T0_E_clISt17integral_constantIbLb0EES1B_IbLb1EEEEDaS17_S18_EUlS17_E_NS1_11comp_targetILNS1_3genE10ELNS1_11target_archE1200ELNS1_3gpuE4ELNS1_3repE0EEENS1_30default_config_static_selectorELNS0_4arch9wavefront6targetE0EEEvT1_.kd
    .uniform_work_group_size: 1
    .uses_dynamic_stack: false
    .vgpr_count:     0
    .vgpr_spill_count: 0
    .wavefront_size: 32
  - .args:
      - .offset:         0
        .size:           136
        .value_kind:     by_value
    .group_segment_fixed_size: 0
    .kernarg_segment_align: 8
    .kernarg_segment_size: 136
    .language:       OpenCL C
    .language_version:
      - 2
      - 0
    .max_flat_workgroup_size: 512
    .name:           _ZN7rocprim17ROCPRIM_400000_NS6detail17trampoline_kernelINS0_14default_configENS1_25partition_config_selectorILNS1_17partition_subalgoE8ElNS0_10empty_typeEbEEZZNS1_14partition_implILS5_8ELb0ES3_jPlPS6_PKS6_NS0_5tupleIJS9_S6_EEENSD_IJSA_SA_EEENS0_18inequality_wrapperIZN2at6native12_GLOBAL__N_124unique_dim_cuda_templateIjEESt5tupleIJNSH_6TensorESM_SM_EERKSM_lbbbEUlllE0_EEPmJS6_EEE10hipError_tPvRmT3_T4_T5_T6_T7_T9_mT8_P12ihipStream_tbDpT10_ENKUlT_T0_E_clISt17integral_constantIbLb0EES1B_IbLb1EEEEDaS17_S18_EUlS17_E_NS1_11comp_targetILNS1_3genE9ELNS1_11target_archE1100ELNS1_3gpuE3ELNS1_3repE0EEENS1_30default_config_static_selectorELNS0_4arch9wavefront6targetE0EEEvT1_
    .private_segment_fixed_size: 0
    .sgpr_count:     0
    .sgpr_spill_count: 0
    .symbol:         _ZN7rocprim17ROCPRIM_400000_NS6detail17trampoline_kernelINS0_14default_configENS1_25partition_config_selectorILNS1_17partition_subalgoE8ElNS0_10empty_typeEbEEZZNS1_14partition_implILS5_8ELb0ES3_jPlPS6_PKS6_NS0_5tupleIJS9_S6_EEENSD_IJSA_SA_EEENS0_18inequality_wrapperIZN2at6native12_GLOBAL__N_124unique_dim_cuda_templateIjEESt5tupleIJNSH_6TensorESM_SM_EERKSM_lbbbEUlllE0_EEPmJS6_EEE10hipError_tPvRmT3_T4_T5_T6_T7_T9_mT8_P12ihipStream_tbDpT10_ENKUlT_T0_E_clISt17integral_constantIbLb0EES1B_IbLb1EEEEDaS17_S18_EUlS17_E_NS1_11comp_targetILNS1_3genE9ELNS1_11target_archE1100ELNS1_3gpuE3ELNS1_3repE0EEENS1_30default_config_static_selectorELNS0_4arch9wavefront6targetE0EEEvT1_.kd
    .uniform_work_group_size: 1
    .uses_dynamic_stack: false
    .vgpr_count:     0
    .vgpr_spill_count: 0
    .wavefront_size: 32
  - .args:
      - .offset:         0
        .size:           136
        .value_kind:     by_value
    .group_segment_fixed_size: 0
    .kernarg_segment_align: 8
    .kernarg_segment_size: 136
    .language:       OpenCL C
    .language_version:
      - 2
      - 0
    .max_flat_workgroup_size: 512
    .name:           _ZN7rocprim17ROCPRIM_400000_NS6detail17trampoline_kernelINS0_14default_configENS1_25partition_config_selectorILNS1_17partition_subalgoE8ElNS0_10empty_typeEbEEZZNS1_14partition_implILS5_8ELb0ES3_jPlPS6_PKS6_NS0_5tupleIJS9_S6_EEENSD_IJSA_SA_EEENS0_18inequality_wrapperIZN2at6native12_GLOBAL__N_124unique_dim_cuda_templateIjEESt5tupleIJNSH_6TensorESM_SM_EERKSM_lbbbEUlllE0_EEPmJS6_EEE10hipError_tPvRmT3_T4_T5_T6_T7_T9_mT8_P12ihipStream_tbDpT10_ENKUlT_T0_E_clISt17integral_constantIbLb0EES1B_IbLb1EEEEDaS17_S18_EUlS17_E_NS1_11comp_targetILNS1_3genE8ELNS1_11target_archE1030ELNS1_3gpuE2ELNS1_3repE0EEENS1_30default_config_static_selectorELNS0_4arch9wavefront6targetE0EEEvT1_
    .private_segment_fixed_size: 0
    .sgpr_count:     0
    .sgpr_spill_count: 0
    .symbol:         _ZN7rocprim17ROCPRIM_400000_NS6detail17trampoline_kernelINS0_14default_configENS1_25partition_config_selectorILNS1_17partition_subalgoE8ElNS0_10empty_typeEbEEZZNS1_14partition_implILS5_8ELb0ES3_jPlPS6_PKS6_NS0_5tupleIJS9_S6_EEENSD_IJSA_SA_EEENS0_18inequality_wrapperIZN2at6native12_GLOBAL__N_124unique_dim_cuda_templateIjEESt5tupleIJNSH_6TensorESM_SM_EERKSM_lbbbEUlllE0_EEPmJS6_EEE10hipError_tPvRmT3_T4_T5_T6_T7_T9_mT8_P12ihipStream_tbDpT10_ENKUlT_T0_E_clISt17integral_constantIbLb0EES1B_IbLb1EEEEDaS17_S18_EUlS17_E_NS1_11comp_targetILNS1_3genE8ELNS1_11target_archE1030ELNS1_3gpuE2ELNS1_3repE0EEENS1_30default_config_static_selectorELNS0_4arch9wavefront6targetE0EEEvT1_.kd
    .uniform_work_group_size: 1
    .uses_dynamic_stack: false
    .vgpr_count:     0
    .vgpr_spill_count: 0
    .wavefront_size: 32
  - .args:
      - .offset:         0
        .size:           120
        .value_kind:     by_value
    .group_segment_fixed_size: 5128
    .kernarg_segment_align: 8
    .kernarg_segment_size: 120
    .language:       OpenCL C
    .language_version:
      - 2
      - 0
    .max_flat_workgroup_size: 128
    .name:           _ZN7rocprim17ROCPRIM_400000_NS6detail17trampoline_kernelINS0_14default_configENS1_25partition_config_selectorILNS1_17partition_subalgoE9EllbEEZZNS1_14partition_implILS5_9ELb0ES3_jPlS8_PNS0_10empty_typeENS0_5tupleIJS8_S9_EEENSB_IJS8_SA_EEENS0_18inequality_wrapperIZN2at6native12_GLOBAL__N_124unique_dim_cuda_templateIjEESt5tupleIJNSF_6TensorESK_SK_EERKSK_lbbbEUlllE0_EEPmJS9_EEE10hipError_tPvRmT3_T4_T5_T6_T7_T9_mT8_P12ihipStream_tbDpT10_ENKUlT_T0_E_clISt17integral_constantIbLb0EES1A_EEDaS15_S16_EUlS15_E_NS1_11comp_targetILNS1_3genE0ELNS1_11target_archE4294967295ELNS1_3gpuE0ELNS1_3repE0EEENS1_30default_config_static_selectorELNS0_4arch9wavefront6targetE0EEEvT1_
    .private_segment_fixed_size: 0
    .sgpr_count:     34
    .sgpr_spill_count: 0
    .symbol:         _ZN7rocprim17ROCPRIM_400000_NS6detail17trampoline_kernelINS0_14default_configENS1_25partition_config_selectorILNS1_17partition_subalgoE9EllbEEZZNS1_14partition_implILS5_9ELb0ES3_jPlS8_PNS0_10empty_typeENS0_5tupleIJS8_S9_EEENSB_IJS8_SA_EEENS0_18inequality_wrapperIZN2at6native12_GLOBAL__N_124unique_dim_cuda_templateIjEESt5tupleIJNSF_6TensorESK_SK_EERKSK_lbbbEUlllE0_EEPmJS9_EEE10hipError_tPvRmT3_T4_T5_T6_T7_T9_mT8_P12ihipStream_tbDpT10_ENKUlT_T0_E_clISt17integral_constantIbLb0EES1A_EEDaS15_S16_EUlS15_E_NS1_11comp_targetILNS1_3genE0ELNS1_11target_archE4294967295ELNS1_3gpuE0ELNS1_3repE0EEENS1_30default_config_static_selectorELNS0_4arch9wavefront6targetE0EEEvT1_.kd
    .uniform_work_group_size: 1
    .uses_dynamic_stack: false
    .vgpr_count:     56
    .vgpr_spill_count: 0
    .wavefront_size: 32
  - .args:
      - .offset:         0
        .size:           120
        .value_kind:     by_value
    .group_segment_fixed_size: 0
    .kernarg_segment_align: 8
    .kernarg_segment_size: 120
    .language:       OpenCL C
    .language_version:
      - 2
      - 0
    .max_flat_workgroup_size: 512
    .name:           _ZN7rocprim17ROCPRIM_400000_NS6detail17trampoline_kernelINS0_14default_configENS1_25partition_config_selectorILNS1_17partition_subalgoE9EllbEEZZNS1_14partition_implILS5_9ELb0ES3_jPlS8_PNS0_10empty_typeENS0_5tupleIJS8_S9_EEENSB_IJS8_SA_EEENS0_18inequality_wrapperIZN2at6native12_GLOBAL__N_124unique_dim_cuda_templateIjEESt5tupleIJNSF_6TensorESK_SK_EERKSK_lbbbEUlllE0_EEPmJS9_EEE10hipError_tPvRmT3_T4_T5_T6_T7_T9_mT8_P12ihipStream_tbDpT10_ENKUlT_T0_E_clISt17integral_constantIbLb0EES1A_EEDaS15_S16_EUlS15_E_NS1_11comp_targetILNS1_3genE5ELNS1_11target_archE942ELNS1_3gpuE9ELNS1_3repE0EEENS1_30default_config_static_selectorELNS0_4arch9wavefront6targetE0EEEvT1_
    .private_segment_fixed_size: 0
    .sgpr_count:     0
    .sgpr_spill_count: 0
    .symbol:         _ZN7rocprim17ROCPRIM_400000_NS6detail17trampoline_kernelINS0_14default_configENS1_25partition_config_selectorILNS1_17partition_subalgoE9EllbEEZZNS1_14partition_implILS5_9ELb0ES3_jPlS8_PNS0_10empty_typeENS0_5tupleIJS8_S9_EEENSB_IJS8_SA_EEENS0_18inequality_wrapperIZN2at6native12_GLOBAL__N_124unique_dim_cuda_templateIjEESt5tupleIJNSF_6TensorESK_SK_EERKSK_lbbbEUlllE0_EEPmJS9_EEE10hipError_tPvRmT3_T4_T5_T6_T7_T9_mT8_P12ihipStream_tbDpT10_ENKUlT_T0_E_clISt17integral_constantIbLb0EES1A_EEDaS15_S16_EUlS15_E_NS1_11comp_targetILNS1_3genE5ELNS1_11target_archE942ELNS1_3gpuE9ELNS1_3repE0EEENS1_30default_config_static_selectorELNS0_4arch9wavefront6targetE0EEEvT1_.kd
    .uniform_work_group_size: 1
    .uses_dynamic_stack: false
    .vgpr_count:     0
    .vgpr_spill_count: 0
    .wavefront_size: 32
  - .args:
      - .offset:         0
        .size:           120
        .value_kind:     by_value
    .group_segment_fixed_size: 0
    .kernarg_segment_align: 8
    .kernarg_segment_size: 120
    .language:       OpenCL C
    .language_version:
      - 2
      - 0
    .max_flat_workgroup_size: 128
    .name:           _ZN7rocprim17ROCPRIM_400000_NS6detail17trampoline_kernelINS0_14default_configENS1_25partition_config_selectorILNS1_17partition_subalgoE9EllbEEZZNS1_14partition_implILS5_9ELb0ES3_jPlS8_PNS0_10empty_typeENS0_5tupleIJS8_S9_EEENSB_IJS8_SA_EEENS0_18inequality_wrapperIZN2at6native12_GLOBAL__N_124unique_dim_cuda_templateIjEESt5tupleIJNSF_6TensorESK_SK_EERKSK_lbbbEUlllE0_EEPmJS9_EEE10hipError_tPvRmT3_T4_T5_T6_T7_T9_mT8_P12ihipStream_tbDpT10_ENKUlT_T0_E_clISt17integral_constantIbLb0EES1A_EEDaS15_S16_EUlS15_E_NS1_11comp_targetILNS1_3genE4ELNS1_11target_archE910ELNS1_3gpuE8ELNS1_3repE0EEENS1_30default_config_static_selectorELNS0_4arch9wavefront6targetE0EEEvT1_
    .private_segment_fixed_size: 0
    .sgpr_count:     0
    .sgpr_spill_count: 0
    .symbol:         _ZN7rocprim17ROCPRIM_400000_NS6detail17trampoline_kernelINS0_14default_configENS1_25partition_config_selectorILNS1_17partition_subalgoE9EllbEEZZNS1_14partition_implILS5_9ELb0ES3_jPlS8_PNS0_10empty_typeENS0_5tupleIJS8_S9_EEENSB_IJS8_SA_EEENS0_18inequality_wrapperIZN2at6native12_GLOBAL__N_124unique_dim_cuda_templateIjEESt5tupleIJNSF_6TensorESK_SK_EERKSK_lbbbEUlllE0_EEPmJS9_EEE10hipError_tPvRmT3_T4_T5_T6_T7_T9_mT8_P12ihipStream_tbDpT10_ENKUlT_T0_E_clISt17integral_constantIbLb0EES1A_EEDaS15_S16_EUlS15_E_NS1_11comp_targetILNS1_3genE4ELNS1_11target_archE910ELNS1_3gpuE8ELNS1_3repE0EEENS1_30default_config_static_selectorELNS0_4arch9wavefront6targetE0EEEvT1_.kd
    .uniform_work_group_size: 1
    .uses_dynamic_stack: false
    .vgpr_count:     0
    .vgpr_spill_count: 0
    .wavefront_size: 32
  - .args:
      - .offset:         0
        .size:           120
        .value_kind:     by_value
    .group_segment_fixed_size: 0
    .kernarg_segment_align: 8
    .kernarg_segment_size: 120
    .language:       OpenCL C
    .language_version:
      - 2
      - 0
    .max_flat_workgroup_size: 128
    .name:           _ZN7rocprim17ROCPRIM_400000_NS6detail17trampoline_kernelINS0_14default_configENS1_25partition_config_selectorILNS1_17partition_subalgoE9EllbEEZZNS1_14partition_implILS5_9ELb0ES3_jPlS8_PNS0_10empty_typeENS0_5tupleIJS8_S9_EEENSB_IJS8_SA_EEENS0_18inequality_wrapperIZN2at6native12_GLOBAL__N_124unique_dim_cuda_templateIjEESt5tupleIJNSF_6TensorESK_SK_EERKSK_lbbbEUlllE0_EEPmJS9_EEE10hipError_tPvRmT3_T4_T5_T6_T7_T9_mT8_P12ihipStream_tbDpT10_ENKUlT_T0_E_clISt17integral_constantIbLb0EES1A_EEDaS15_S16_EUlS15_E_NS1_11comp_targetILNS1_3genE3ELNS1_11target_archE908ELNS1_3gpuE7ELNS1_3repE0EEENS1_30default_config_static_selectorELNS0_4arch9wavefront6targetE0EEEvT1_
    .private_segment_fixed_size: 0
    .sgpr_count:     0
    .sgpr_spill_count: 0
    .symbol:         _ZN7rocprim17ROCPRIM_400000_NS6detail17trampoline_kernelINS0_14default_configENS1_25partition_config_selectorILNS1_17partition_subalgoE9EllbEEZZNS1_14partition_implILS5_9ELb0ES3_jPlS8_PNS0_10empty_typeENS0_5tupleIJS8_S9_EEENSB_IJS8_SA_EEENS0_18inequality_wrapperIZN2at6native12_GLOBAL__N_124unique_dim_cuda_templateIjEESt5tupleIJNSF_6TensorESK_SK_EERKSK_lbbbEUlllE0_EEPmJS9_EEE10hipError_tPvRmT3_T4_T5_T6_T7_T9_mT8_P12ihipStream_tbDpT10_ENKUlT_T0_E_clISt17integral_constantIbLb0EES1A_EEDaS15_S16_EUlS15_E_NS1_11comp_targetILNS1_3genE3ELNS1_11target_archE908ELNS1_3gpuE7ELNS1_3repE0EEENS1_30default_config_static_selectorELNS0_4arch9wavefront6targetE0EEEvT1_.kd
    .uniform_work_group_size: 1
    .uses_dynamic_stack: false
    .vgpr_count:     0
    .vgpr_spill_count: 0
    .wavefront_size: 32
  - .args:
      - .offset:         0
        .size:           120
        .value_kind:     by_value
    .group_segment_fixed_size: 0
    .kernarg_segment_align: 8
    .kernarg_segment_size: 120
    .language:       OpenCL C
    .language_version:
      - 2
      - 0
    .max_flat_workgroup_size: 192
    .name:           _ZN7rocprim17ROCPRIM_400000_NS6detail17trampoline_kernelINS0_14default_configENS1_25partition_config_selectorILNS1_17partition_subalgoE9EllbEEZZNS1_14partition_implILS5_9ELb0ES3_jPlS8_PNS0_10empty_typeENS0_5tupleIJS8_S9_EEENSB_IJS8_SA_EEENS0_18inequality_wrapperIZN2at6native12_GLOBAL__N_124unique_dim_cuda_templateIjEESt5tupleIJNSF_6TensorESK_SK_EERKSK_lbbbEUlllE0_EEPmJS9_EEE10hipError_tPvRmT3_T4_T5_T6_T7_T9_mT8_P12ihipStream_tbDpT10_ENKUlT_T0_E_clISt17integral_constantIbLb0EES1A_EEDaS15_S16_EUlS15_E_NS1_11comp_targetILNS1_3genE2ELNS1_11target_archE906ELNS1_3gpuE6ELNS1_3repE0EEENS1_30default_config_static_selectorELNS0_4arch9wavefront6targetE0EEEvT1_
    .private_segment_fixed_size: 0
    .sgpr_count:     0
    .sgpr_spill_count: 0
    .symbol:         _ZN7rocprim17ROCPRIM_400000_NS6detail17trampoline_kernelINS0_14default_configENS1_25partition_config_selectorILNS1_17partition_subalgoE9EllbEEZZNS1_14partition_implILS5_9ELb0ES3_jPlS8_PNS0_10empty_typeENS0_5tupleIJS8_S9_EEENSB_IJS8_SA_EEENS0_18inequality_wrapperIZN2at6native12_GLOBAL__N_124unique_dim_cuda_templateIjEESt5tupleIJNSF_6TensorESK_SK_EERKSK_lbbbEUlllE0_EEPmJS9_EEE10hipError_tPvRmT3_T4_T5_T6_T7_T9_mT8_P12ihipStream_tbDpT10_ENKUlT_T0_E_clISt17integral_constantIbLb0EES1A_EEDaS15_S16_EUlS15_E_NS1_11comp_targetILNS1_3genE2ELNS1_11target_archE906ELNS1_3gpuE6ELNS1_3repE0EEENS1_30default_config_static_selectorELNS0_4arch9wavefront6targetE0EEEvT1_.kd
    .uniform_work_group_size: 1
    .uses_dynamic_stack: false
    .vgpr_count:     0
    .vgpr_spill_count: 0
    .wavefront_size: 32
  - .args:
      - .offset:         0
        .size:           120
        .value_kind:     by_value
    .group_segment_fixed_size: 0
    .kernarg_segment_align: 8
    .kernarg_segment_size: 120
    .language:       OpenCL C
    .language_version:
      - 2
      - 0
    .max_flat_workgroup_size: 384
    .name:           _ZN7rocprim17ROCPRIM_400000_NS6detail17trampoline_kernelINS0_14default_configENS1_25partition_config_selectorILNS1_17partition_subalgoE9EllbEEZZNS1_14partition_implILS5_9ELb0ES3_jPlS8_PNS0_10empty_typeENS0_5tupleIJS8_S9_EEENSB_IJS8_SA_EEENS0_18inequality_wrapperIZN2at6native12_GLOBAL__N_124unique_dim_cuda_templateIjEESt5tupleIJNSF_6TensorESK_SK_EERKSK_lbbbEUlllE0_EEPmJS9_EEE10hipError_tPvRmT3_T4_T5_T6_T7_T9_mT8_P12ihipStream_tbDpT10_ENKUlT_T0_E_clISt17integral_constantIbLb0EES1A_EEDaS15_S16_EUlS15_E_NS1_11comp_targetILNS1_3genE10ELNS1_11target_archE1200ELNS1_3gpuE4ELNS1_3repE0EEENS1_30default_config_static_selectorELNS0_4arch9wavefront6targetE0EEEvT1_
    .private_segment_fixed_size: 0
    .sgpr_count:     0
    .sgpr_spill_count: 0
    .symbol:         _ZN7rocprim17ROCPRIM_400000_NS6detail17trampoline_kernelINS0_14default_configENS1_25partition_config_selectorILNS1_17partition_subalgoE9EllbEEZZNS1_14partition_implILS5_9ELb0ES3_jPlS8_PNS0_10empty_typeENS0_5tupleIJS8_S9_EEENSB_IJS8_SA_EEENS0_18inequality_wrapperIZN2at6native12_GLOBAL__N_124unique_dim_cuda_templateIjEESt5tupleIJNSF_6TensorESK_SK_EERKSK_lbbbEUlllE0_EEPmJS9_EEE10hipError_tPvRmT3_T4_T5_T6_T7_T9_mT8_P12ihipStream_tbDpT10_ENKUlT_T0_E_clISt17integral_constantIbLb0EES1A_EEDaS15_S16_EUlS15_E_NS1_11comp_targetILNS1_3genE10ELNS1_11target_archE1200ELNS1_3gpuE4ELNS1_3repE0EEENS1_30default_config_static_selectorELNS0_4arch9wavefront6targetE0EEEvT1_.kd
    .uniform_work_group_size: 1
    .uses_dynamic_stack: false
    .vgpr_count:     0
    .vgpr_spill_count: 0
    .wavefront_size: 32
  - .args:
      - .offset:         0
        .size:           120
        .value_kind:     by_value
    .group_segment_fixed_size: 0
    .kernarg_segment_align: 8
    .kernarg_segment_size: 120
    .language:       OpenCL C
    .language_version:
      - 2
      - 0
    .max_flat_workgroup_size: 512
    .name:           _ZN7rocprim17ROCPRIM_400000_NS6detail17trampoline_kernelINS0_14default_configENS1_25partition_config_selectorILNS1_17partition_subalgoE9EllbEEZZNS1_14partition_implILS5_9ELb0ES3_jPlS8_PNS0_10empty_typeENS0_5tupleIJS8_S9_EEENSB_IJS8_SA_EEENS0_18inequality_wrapperIZN2at6native12_GLOBAL__N_124unique_dim_cuda_templateIjEESt5tupleIJNSF_6TensorESK_SK_EERKSK_lbbbEUlllE0_EEPmJS9_EEE10hipError_tPvRmT3_T4_T5_T6_T7_T9_mT8_P12ihipStream_tbDpT10_ENKUlT_T0_E_clISt17integral_constantIbLb0EES1A_EEDaS15_S16_EUlS15_E_NS1_11comp_targetILNS1_3genE9ELNS1_11target_archE1100ELNS1_3gpuE3ELNS1_3repE0EEENS1_30default_config_static_selectorELNS0_4arch9wavefront6targetE0EEEvT1_
    .private_segment_fixed_size: 0
    .sgpr_count:     0
    .sgpr_spill_count: 0
    .symbol:         _ZN7rocprim17ROCPRIM_400000_NS6detail17trampoline_kernelINS0_14default_configENS1_25partition_config_selectorILNS1_17partition_subalgoE9EllbEEZZNS1_14partition_implILS5_9ELb0ES3_jPlS8_PNS0_10empty_typeENS0_5tupleIJS8_S9_EEENSB_IJS8_SA_EEENS0_18inequality_wrapperIZN2at6native12_GLOBAL__N_124unique_dim_cuda_templateIjEESt5tupleIJNSF_6TensorESK_SK_EERKSK_lbbbEUlllE0_EEPmJS9_EEE10hipError_tPvRmT3_T4_T5_T6_T7_T9_mT8_P12ihipStream_tbDpT10_ENKUlT_T0_E_clISt17integral_constantIbLb0EES1A_EEDaS15_S16_EUlS15_E_NS1_11comp_targetILNS1_3genE9ELNS1_11target_archE1100ELNS1_3gpuE3ELNS1_3repE0EEENS1_30default_config_static_selectorELNS0_4arch9wavefront6targetE0EEEvT1_.kd
    .uniform_work_group_size: 1
    .uses_dynamic_stack: false
    .vgpr_count:     0
    .vgpr_spill_count: 0
    .wavefront_size: 32
  - .args:
      - .offset:         0
        .size:           120
        .value_kind:     by_value
    .group_segment_fixed_size: 0
    .kernarg_segment_align: 8
    .kernarg_segment_size: 120
    .language:       OpenCL C
    .language_version:
      - 2
      - 0
    .max_flat_workgroup_size: 512
    .name:           _ZN7rocprim17ROCPRIM_400000_NS6detail17trampoline_kernelINS0_14default_configENS1_25partition_config_selectorILNS1_17partition_subalgoE9EllbEEZZNS1_14partition_implILS5_9ELb0ES3_jPlS8_PNS0_10empty_typeENS0_5tupleIJS8_S9_EEENSB_IJS8_SA_EEENS0_18inequality_wrapperIZN2at6native12_GLOBAL__N_124unique_dim_cuda_templateIjEESt5tupleIJNSF_6TensorESK_SK_EERKSK_lbbbEUlllE0_EEPmJS9_EEE10hipError_tPvRmT3_T4_T5_T6_T7_T9_mT8_P12ihipStream_tbDpT10_ENKUlT_T0_E_clISt17integral_constantIbLb0EES1A_EEDaS15_S16_EUlS15_E_NS1_11comp_targetILNS1_3genE8ELNS1_11target_archE1030ELNS1_3gpuE2ELNS1_3repE0EEENS1_30default_config_static_selectorELNS0_4arch9wavefront6targetE0EEEvT1_
    .private_segment_fixed_size: 0
    .sgpr_count:     0
    .sgpr_spill_count: 0
    .symbol:         _ZN7rocprim17ROCPRIM_400000_NS6detail17trampoline_kernelINS0_14default_configENS1_25partition_config_selectorILNS1_17partition_subalgoE9EllbEEZZNS1_14partition_implILS5_9ELb0ES3_jPlS8_PNS0_10empty_typeENS0_5tupleIJS8_S9_EEENSB_IJS8_SA_EEENS0_18inequality_wrapperIZN2at6native12_GLOBAL__N_124unique_dim_cuda_templateIjEESt5tupleIJNSF_6TensorESK_SK_EERKSK_lbbbEUlllE0_EEPmJS9_EEE10hipError_tPvRmT3_T4_T5_T6_T7_T9_mT8_P12ihipStream_tbDpT10_ENKUlT_T0_E_clISt17integral_constantIbLb0EES1A_EEDaS15_S16_EUlS15_E_NS1_11comp_targetILNS1_3genE8ELNS1_11target_archE1030ELNS1_3gpuE2ELNS1_3repE0EEENS1_30default_config_static_selectorELNS0_4arch9wavefront6targetE0EEEvT1_.kd
    .uniform_work_group_size: 1
    .uses_dynamic_stack: false
    .vgpr_count:     0
    .vgpr_spill_count: 0
    .wavefront_size: 32
  - .args:
      - .offset:         0
        .size:           136
        .value_kind:     by_value
    .group_segment_fixed_size: 0
    .kernarg_segment_align: 8
    .kernarg_segment_size: 136
    .language:       OpenCL C
    .language_version:
      - 2
      - 0
    .max_flat_workgroup_size: 128
    .name:           _ZN7rocprim17ROCPRIM_400000_NS6detail17trampoline_kernelINS0_14default_configENS1_25partition_config_selectorILNS1_17partition_subalgoE9EllbEEZZNS1_14partition_implILS5_9ELb0ES3_jPlS8_PNS0_10empty_typeENS0_5tupleIJS8_S9_EEENSB_IJS8_SA_EEENS0_18inequality_wrapperIZN2at6native12_GLOBAL__N_124unique_dim_cuda_templateIjEESt5tupleIJNSF_6TensorESK_SK_EERKSK_lbbbEUlllE0_EEPmJS9_EEE10hipError_tPvRmT3_T4_T5_T6_T7_T9_mT8_P12ihipStream_tbDpT10_ENKUlT_T0_E_clISt17integral_constantIbLb1EES1A_EEDaS15_S16_EUlS15_E_NS1_11comp_targetILNS1_3genE0ELNS1_11target_archE4294967295ELNS1_3gpuE0ELNS1_3repE0EEENS1_30default_config_static_selectorELNS0_4arch9wavefront6targetE0EEEvT1_
    .private_segment_fixed_size: 0
    .sgpr_count:     0
    .sgpr_spill_count: 0
    .symbol:         _ZN7rocprim17ROCPRIM_400000_NS6detail17trampoline_kernelINS0_14default_configENS1_25partition_config_selectorILNS1_17partition_subalgoE9EllbEEZZNS1_14partition_implILS5_9ELb0ES3_jPlS8_PNS0_10empty_typeENS0_5tupleIJS8_S9_EEENSB_IJS8_SA_EEENS0_18inequality_wrapperIZN2at6native12_GLOBAL__N_124unique_dim_cuda_templateIjEESt5tupleIJNSF_6TensorESK_SK_EERKSK_lbbbEUlllE0_EEPmJS9_EEE10hipError_tPvRmT3_T4_T5_T6_T7_T9_mT8_P12ihipStream_tbDpT10_ENKUlT_T0_E_clISt17integral_constantIbLb1EES1A_EEDaS15_S16_EUlS15_E_NS1_11comp_targetILNS1_3genE0ELNS1_11target_archE4294967295ELNS1_3gpuE0ELNS1_3repE0EEENS1_30default_config_static_selectorELNS0_4arch9wavefront6targetE0EEEvT1_.kd
    .uniform_work_group_size: 1
    .uses_dynamic_stack: false
    .vgpr_count:     0
    .vgpr_spill_count: 0
    .wavefront_size: 32
  - .args:
      - .offset:         0
        .size:           136
        .value_kind:     by_value
    .group_segment_fixed_size: 0
    .kernarg_segment_align: 8
    .kernarg_segment_size: 136
    .language:       OpenCL C
    .language_version:
      - 2
      - 0
    .max_flat_workgroup_size: 512
    .name:           _ZN7rocprim17ROCPRIM_400000_NS6detail17trampoline_kernelINS0_14default_configENS1_25partition_config_selectorILNS1_17partition_subalgoE9EllbEEZZNS1_14partition_implILS5_9ELb0ES3_jPlS8_PNS0_10empty_typeENS0_5tupleIJS8_S9_EEENSB_IJS8_SA_EEENS0_18inequality_wrapperIZN2at6native12_GLOBAL__N_124unique_dim_cuda_templateIjEESt5tupleIJNSF_6TensorESK_SK_EERKSK_lbbbEUlllE0_EEPmJS9_EEE10hipError_tPvRmT3_T4_T5_T6_T7_T9_mT8_P12ihipStream_tbDpT10_ENKUlT_T0_E_clISt17integral_constantIbLb1EES1A_EEDaS15_S16_EUlS15_E_NS1_11comp_targetILNS1_3genE5ELNS1_11target_archE942ELNS1_3gpuE9ELNS1_3repE0EEENS1_30default_config_static_selectorELNS0_4arch9wavefront6targetE0EEEvT1_
    .private_segment_fixed_size: 0
    .sgpr_count:     0
    .sgpr_spill_count: 0
    .symbol:         _ZN7rocprim17ROCPRIM_400000_NS6detail17trampoline_kernelINS0_14default_configENS1_25partition_config_selectorILNS1_17partition_subalgoE9EllbEEZZNS1_14partition_implILS5_9ELb0ES3_jPlS8_PNS0_10empty_typeENS0_5tupleIJS8_S9_EEENSB_IJS8_SA_EEENS0_18inequality_wrapperIZN2at6native12_GLOBAL__N_124unique_dim_cuda_templateIjEESt5tupleIJNSF_6TensorESK_SK_EERKSK_lbbbEUlllE0_EEPmJS9_EEE10hipError_tPvRmT3_T4_T5_T6_T7_T9_mT8_P12ihipStream_tbDpT10_ENKUlT_T0_E_clISt17integral_constantIbLb1EES1A_EEDaS15_S16_EUlS15_E_NS1_11comp_targetILNS1_3genE5ELNS1_11target_archE942ELNS1_3gpuE9ELNS1_3repE0EEENS1_30default_config_static_selectorELNS0_4arch9wavefront6targetE0EEEvT1_.kd
    .uniform_work_group_size: 1
    .uses_dynamic_stack: false
    .vgpr_count:     0
    .vgpr_spill_count: 0
    .wavefront_size: 32
  - .args:
      - .offset:         0
        .size:           136
        .value_kind:     by_value
    .group_segment_fixed_size: 0
    .kernarg_segment_align: 8
    .kernarg_segment_size: 136
    .language:       OpenCL C
    .language_version:
      - 2
      - 0
    .max_flat_workgroup_size: 128
    .name:           _ZN7rocprim17ROCPRIM_400000_NS6detail17trampoline_kernelINS0_14default_configENS1_25partition_config_selectorILNS1_17partition_subalgoE9EllbEEZZNS1_14partition_implILS5_9ELb0ES3_jPlS8_PNS0_10empty_typeENS0_5tupleIJS8_S9_EEENSB_IJS8_SA_EEENS0_18inequality_wrapperIZN2at6native12_GLOBAL__N_124unique_dim_cuda_templateIjEESt5tupleIJNSF_6TensorESK_SK_EERKSK_lbbbEUlllE0_EEPmJS9_EEE10hipError_tPvRmT3_T4_T5_T6_T7_T9_mT8_P12ihipStream_tbDpT10_ENKUlT_T0_E_clISt17integral_constantIbLb1EES1A_EEDaS15_S16_EUlS15_E_NS1_11comp_targetILNS1_3genE4ELNS1_11target_archE910ELNS1_3gpuE8ELNS1_3repE0EEENS1_30default_config_static_selectorELNS0_4arch9wavefront6targetE0EEEvT1_
    .private_segment_fixed_size: 0
    .sgpr_count:     0
    .sgpr_spill_count: 0
    .symbol:         _ZN7rocprim17ROCPRIM_400000_NS6detail17trampoline_kernelINS0_14default_configENS1_25partition_config_selectorILNS1_17partition_subalgoE9EllbEEZZNS1_14partition_implILS5_9ELb0ES3_jPlS8_PNS0_10empty_typeENS0_5tupleIJS8_S9_EEENSB_IJS8_SA_EEENS0_18inequality_wrapperIZN2at6native12_GLOBAL__N_124unique_dim_cuda_templateIjEESt5tupleIJNSF_6TensorESK_SK_EERKSK_lbbbEUlllE0_EEPmJS9_EEE10hipError_tPvRmT3_T4_T5_T6_T7_T9_mT8_P12ihipStream_tbDpT10_ENKUlT_T0_E_clISt17integral_constantIbLb1EES1A_EEDaS15_S16_EUlS15_E_NS1_11comp_targetILNS1_3genE4ELNS1_11target_archE910ELNS1_3gpuE8ELNS1_3repE0EEENS1_30default_config_static_selectorELNS0_4arch9wavefront6targetE0EEEvT1_.kd
    .uniform_work_group_size: 1
    .uses_dynamic_stack: false
    .vgpr_count:     0
    .vgpr_spill_count: 0
    .wavefront_size: 32
  - .args:
      - .offset:         0
        .size:           136
        .value_kind:     by_value
    .group_segment_fixed_size: 0
    .kernarg_segment_align: 8
    .kernarg_segment_size: 136
    .language:       OpenCL C
    .language_version:
      - 2
      - 0
    .max_flat_workgroup_size: 128
    .name:           _ZN7rocprim17ROCPRIM_400000_NS6detail17trampoline_kernelINS0_14default_configENS1_25partition_config_selectorILNS1_17partition_subalgoE9EllbEEZZNS1_14partition_implILS5_9ELb0ES3_jPlS8_PNS0_10empty_typeENS0_5tupleIJS8_S9_EEENSB_IJS8_SA_EEENS0_18inequality_wrapperIZN2at6native12_GLOBAL__N_124unique_dim_cuda_templateIjEESt5tupleIJNSF_6TensorESK_SK_EERKSK_lbbbEUlllE0_EEPmJS9_EEE10hipError_tPvRmT3_T4_T5_T6_T7_T9_mT8_P12ihipStream_tbDpT10_ENKUlT_T0_E_clISt17integral_constantIbLb1EES1A_EEDaS15_S16_EUlS15_E_NS1_11comp_targetILNS1_3genE3ELNS1_11target_archE908ELNS1_3gpuE7ELNS1_3repE0EEENS1_30default_config_static_selectorELNS0_4arch9wavefront6targetE0EEEvT1_
    .private_segment_fixed_size: 0
    .sgpr_count:     0
    .sgpr_spill_count: 0
    .symbol:         _ZN7rocprim17ROCPRIM_400000_NS6detail17trampoline_kernelINS0_14default_configENS1_25partition_config_selectorILNS1_17partition_subalgoE9EllbEEZZNS1_14partition_implILS5_9ELb0ES3_jPlS8_PNS0_10empty_typeENS0_5tupleIJS8_S9_EEENSB_IJS8_SA_EEENS0_18inequality_wrapperIZN2at6native12_GLOBAL__N_124unique_dim_cuda_templateIjEESt5tupleIJNSF_6TensorESK_SK_EERKSK_lbbbEUlllE0_EEPmJS9_EEE10hipError_tPvRmT3_T4_T5_T6_T7_T9_mT8_P12ihipStream_tbDpT10_ENKUlT_T0_E_clISt17integral_constantIbLb1EES1A_EEDaS15_S16_EUlS15_E_NS1_11comp_targetILNS1_3genE3ELNS1_11target_archE908ELNS1_3gpuE7ELNS1_3repE0EEENS1_30default_config_static_selectorELNS0_4arch9wavefront6targetE0EEEvT1_.kd
    .uniform_work_group_size: 1
    .uses_dynamic_stack: false
    .vgpr_count:     0
    .vgpr_spill_count: 0
    .wavefront_size: 32
  - .args:
      - .offset:         0
        .size:           136
        .value_kind:     by_value
    .group_segment_fixed_size: 0
    .kernarg_segment_align: 8
    .kernarg_segment_size: 136
    .language:       OpenCL C
    .language_version:
      - 2
      - 0
    .max_flat_workgroup_size: 192
    .name:           _ZN7rocprim17ROCPRIM_400000_NS6detail17trampoline_kernelINS0_14default_configENS1_25partition_config_selectorILNS1_17partition_subalgoE9EllbEEZZNS1_14partition_implILS5_9ELb0ES3_jPlS8_PNS0_10empty_typeENS0_5tupleIJS8_S9_EEENSB_IJS8_SA_EEENS0_18inequality_wrapperIZN2at6native12_GLOBAL__N_124unique_dim_cuda_templateIjEESt5tupleIJNSF_6TensorESK_SK_EERKSK_lbbbEUlllE0_EEPmJS9_EEE10hipError_tPvRmT3_T4_T5_T6_T7_T9_mT8_P12ihipStream_tbDpT10_ENKUlT_T0_E_clISt17integral_constantIbLb1EES1A_EEDaS15_S16_EUlS15_E_NS1_11comp_targetILNS1_3genE2ELNS1_11target_archE906ELNS1_3gpuE6ELNS1_3repE0EEENS1_30default_config_static_selectorELNS0_4arch9wavefront6targetE0EEEvT1_
    .private_segment_fixed_size: 0
    .sgpr_count:     0
    .sgpr_spill_count: 0
    .symbol:         _ZN7rocprim17ROCPRIM_400000_NS6detail17trampoline_kernelINS0_14default_configENS1_25partition_config_selectorILNS1_17partition_subalgoE9EllbEEZZNS1_14partition_implILS5_9ELb0ES3_jPlS8_PNS0_10empty_typeENS0_5tupleIJS8_S9_EEENSB_IJS8_SA_EEENS0_18inequality_wrapperIZN2at6native12_GLOBAL__N_124unique_dim_cuda_templateIjEESt5tupleIJNSF_6TensorESK_SK_EERKSK_lbbbEUlllE0_EEPmJS9_EEE10hipError_tPvRmT3_T4_T5_T6_T7_T9_mT8_P12ihipStream_tbDpT10_ENKUlT_T0_E_clISt17integral_constantIbLb1EES1A_EEDaS15_S16_EUlS15_E_NS1_11comp_targetILNS1_3genE2ELNS1_11target_archE906ELNS1_3gpuE6ELNS1_3repE0EEENS1_30default_config_static_selectorELNS0_4arch9wavefront6targetE0EEEvT1_.kd
    .uniform_work_group_size: 1
    .uses_dynamic_stack: false
    .vgpr_count:     0
    .vgpr_spill_count: 0
    .wavefront_size: 32
  - .args:
      - .offset:         0
        .size:           136
        .value_kind:     by_value
    .group_segment_fixed_size: 0
    .kernarg_segment_align: 8
    .kernarg_segment_size: 136
    .language:       OpenCL C
    .language_version:
      - 2
      - 0
    .max_flat_workgroup_size: 384
    .name:           _ZN7rocprim17ROCPRIM_400000_NS6detail17trampoline_kernelINS0_14default_configENS1_25partition_config_selectorILNS1_17partition_subalgoE9EllbEEZZNS1_14partition_implILS5_9ELb0ES3_jPlS8_PNS0_10empty_typeENS0_5tupleIJS8_S9_EEENSB_IJS8_SA_EEENS0_18inequality_wrapperIZN2at6native12_GLOBAL__N_124unique_dim_cuda_templateIjEESt5tupleIJNSF_6TensorESK_SK_EERKSK_lbbbEUlllE0_EEPmJS9_EEE10hipError_tPvRmT3_T4_T5_T6_T7_T9_mT8_P12ihipStream_tbDpT10_ENKUlT_T0_E_clISt17integral_constantIbLb1EES1A_EEDaS15_S16_EUlS15_E_NS1_11comp_targetILNS1_3genE10ELNS1_11target_archE1200ELNS1_3gpuE4ELNS1_3repE0EEENS1_30default_config_static_selectorELNS0_4arch9wavefront6targetE0EEEvT1_
    .private_segment_fixed_size: 0
    .sgpr_count:     0
    .sgpr_spill_count: 0
    .symbol:         _ZN7rocprim17ROCPRIM_400000_NS6detail17trampoline_kernelINS0_14default_configENS1_25partition_config_selectorILNS1_17partition_subalgoE9EllbEEZZNS1_14partition_implILS5_9ELb0ES3_jPlS8_PNS0_10empty_typeENS0_5tupleIJS8_S9_EEENSB_IJS8_SA_EEENS0_18inequality_wrapperIZN2at6native12_GLOBAL__N_124unique_dim_cuda_templateIjEESt5tupleIJNSF_6TensorESK_SK_EERKSK_lbbbEUlllE0_EEPmJS9_EEE10hipError_tPvRmT3_T4_T5_T6_T7_T9_mT8_P12ihipStream_tbDpT10_ENKUlT_T0_E_clISt17integral_constantIbLb1EES1A_EEDaS15_S16_EUlS15_E_NS1_11comp_targetILNS1_3genE10ELNS1_11target_archE1200ELNS1_3gpuE4ELNS1_3repE0EEENS1_30default_config_static_selectorELNS0_4arch9wavefront6targetE0EEEvT1_.kd
    .uniform_work_group_size: 1
    .uses_dynamic_stack: false
    .vgpr_count:     0
    .vgpr_spill_count: 0
    .wavefront_size: 32
  - .args:
      - .offset:         0
        .size:           136
        .value_kind:     by_value
    .group_segment_fixed_size: 0
    .kernarg_segment_align: 8
    .kernarg_segment_size: 136
    .language:       OpenCL C
    .language_version:
      - 2
      - 0
    .max_flat_workgroup_size: 512
    .name:           _ZN7rocprim17ROCPRIM_400000_NS6detail17trampoline_kernelINS0_14default_configENS1_25partition_config_selectorILNS1_17partition_subalgoE9EllbEEZZNS1_14partition_implILS5_9ELb0ES3_jPlS8_PNS0_10empty_typeENS0_5tupleIJS8_S9_EEENSB_IJS8_SA_EEENS0_18inequality_wrapperIZN2at6native12_GLOBAL__N_124unique_dim_cuda_templateIjEESt5tupleIJNSF_6TensorESK_SK_EERKSK_lbbbEUlllE0_EEPmJS9_EEE10hipError_tPvRmT3_T4_T5_T6_T7_T9_mT8_P12ihipStream_tbDpT10_ENKUlT_T0_E_clISt17integral_constantIbLb1EES1A_EEDaS15_S16_EUlS15_E_NS1_11comp_targetILNS1_3genE9ELNS1_11target_archE1100ELNS1_3gpuE3ELNS1_3repE0EEENS1_30default_config_static_selectorELNS0_4arch9wavefront6targetE0EEEvT1_
    .private_segment_fixed_size: 0
    .sgpr_count:     0
    .sgpr_spill_count: 0
    .symbol:         _ZN7rocprim17ROCPRIM_400000_NS6detail17trampoline_kernelINS0_14default_configENS1_25partition_config_selectorILNS1_17partition_subalgoE9EllbEEZZNS1_14partition_implILS5_9ELb0ES3_jPlS8_PNS0_10empty_typeENS0_5tupleIJS8_S9_EEENSB_IJS8_SA_EEENS0_18inequality_wrapperIZN2at6native12_GLOBAL__N_124unique_dim_cuda_templateIjEESt5tupleIJNSF_6TensorESK_SK_EERKSK_lbbbEUlllE0_EEPmJS9_EEE10hipError_tPvRmT3_T4_T5_T6_T7_T9_mT8_P12ihipStream_tbDpT10_ENKUlT_T0_E_clISt17integral_constantIbLb1EES1A_EEDaS15_S16_EUlS15_E_NS1_11comp_targetILNS1_3genE9ELNS1_11target_archE1100ELNS1_3gpuE3ELNS1_3repE0EEENS1_30default_config_static_selectorELNS0_4arch9wavefront6targetE0EEEvT1_.kd
    .uniform_work_group_size: 1
    .uses_dynamic_stack: false
    .vgpr_count:     0
    .vgpr_spill_count: 0
    .wavefront_size: 32
  - .args:
      - .offset:         0
        .size:           136
        .value_kind:     by_value
    .group_segment_fixed_size: 0
    .kernarg_segment_align: 8
    .kernarg_segment_size: 136
    .language:       OpenCL C
    .language_version:
      - 2
      - 0
    .max_flat_workgroup_size: 512
    .name:           _ZN7rocprim17ROCPRIM_400000_NS6detail17trampoline_kernelINS0_14default_configENS1_25partition_config_selectorILNS1_17partition_subalgoE9EllbEEZZNS1_14partition_implILS5_9ELb0ES3_jPlS8_PNS0_10empty_typeENS0_5tupleIJS8_S9_EEENSB_IJS8_SA_EEENS0_18inequality_wrapperIZN2at6native12_GLOBAL__N_124unique_dim_cuda_templateIjEESt5tupleIJNSF_6TensorESK_SK_EERKSK_lbbbEUlllE0_EEPmJS9_EEE10hipError_tPvRmT3_T4_T5_T6_T7_T9_mT8_P12ihipStream_tbDpT10_ENKUlT_T0_E_clISt17integral_constantIbLb1EES1A_EEDaS15_S16_EUlS15_E_NS1_11comp_targetILNS1_3genE8ELNS1_11target_archE1030ELNS1_3gpuE2ELNS1_3repE0EEENS1_30default_config_static_selectorELNS0_4arch9wavefront6targetE0EEEvT1_
    .private_segment_fixed_size: 0
    .sgpr_count:     0
    .sgpr_spill_count: 0
    .symbol:         _ZN7rocprim17ROCPRIM_400000_NS6detail17trampoline_kernelINS0_14default_configENS1_25partition_config_selectorILNS1_17partition_subalgoE9EllbEEZZNS1_14partition_implILS5_9ELb0ES3_jPlS8_PNS0_10empty_typeENS0_5tupleIJS8_S9_EEENSB_IJS8_SA_EEENS0_18inequality_wrapperIZN2at6native12_GLOBAL__N_124unique_dim_cuda_templateIjEESt5tupleIJNSF_6TensorESK_SK_EERKSK_lbbbEUlllE0_EEPmJS9_EEE10hipError_tPvRmT3_T4_T5_T6_T7_T9_mT8_P12ihipStream_tbDpT10_ENKUlT_T0_E_clISt17integral_constantIbLb1EES1A_EEDaS15_S16_EUlS15_E_NS1_11comp_targetILNS1_3genE8ELNS1_11target_archE1030ELNS1_3gpuE2ELNS1_3repE0EEENS1_30default_config_static_selectorELNS0_4arch9wavefront6targetE0EEEvT1_.kd
    .uniform_work_group_size: 1
    .uses_dynamic_stack: false
    .vgpr_count:     0
    .vgpr_spill_count: 0
    .wavefront_size: 32
  - .args:
      - .offset:         0
        .size:           120
        .value_kind:     by_value
    .group_segment_fixed_size: 0
    .kernarg_segment_align: 8
    .kernarg_segment_size: 120
    .language:       OpenCL C
    .language_version:
      - 2
      - 0
    .max_flat_workgroup_size: 128
    .name:           _ZN7rocprim17ROCPRIM_400000_NS6detail17trampoline_kernelINS0_14default_configENS1_25partition_config_selectorILNS1_17partition_subalgoE9EllbEEZZNS1_14partition_implILS5_9ELb0ES3_jPlS8_PNS0_10empty_typeENS0_5tupleIJS8_S9_EEENSB_IJS8_SA_EEENS0_18inequality_wrapperIZN2at6native12_GLOBAL__N_124unique_dim_cuda_templateIjEESt5tupleIJNSF_6TensorESK_SK_EERKSK_lbbbEUlllE0_EEPmJS9_EEE10hipError_tPvRmT3_T4_T5_T6_T7_T9_mT8_P12ihipStream_tbDpT10_ENKUlT_T0_E_clISt17integral_constantIbLb1EES19_IbLb0EEEEDaS15_S16_EUlS15_E_NS1_11comp_targetILNS1_3genE0ELNS1_11target_archE4294967295ELNS1_3gpuE0ELNS1_3repE0EEENS1_30default_config_static_selectorELNS0_4arch9wavefront6targetE0EEEvT1_
    .private_segment_fixed_size: 0
    .sgpr_count:     0
    .sgpr_spill_count: 0
    .symbol:         _ZN7rocprim17ROCPRIM_400000_NS6detail17trampoline_kernelINS0_14default_configENS1_25partition_config_selectorILNS1_17partition_subalgoE9EllbEEZZNS1_14partition_implILS5_9ELb0ES3_jPlS8_PNS0_10empty_typeENS0_5tupleIJS8_S9_EEENSB_IJS8_SA_EEENS0_18inequality_wrapperIZN2at6native12_GLOBAL__N_124unique_dim_cuda_templateIjEESt5tupleIJNSF_6TensorESK_SK_EERKSK_lbbbEUlllE0_EEPmJS9_EEE10hipError_tPvRmT3_T4_T5_T6_T7_T9_mT8_P12ihipStream_tbDpT10_ENKUlT_T0_E_clISt17integral_constantIbLb1EES19_IbLb0EEEEDaS15_S16_EUlS15_E_NS1_11comp_targetILNS1_3genE0ELNS1_11target_archE4294967295ELNS1_3gpuE0ELNS1_3repE0EEENS1_30default_config_static_selectorELNS0_4arch9wavefront6targetE0EEEvT1_.kd
    .uniform_work_group_size: 1
    .uses_dynamic_stack: false
    .vgpr_count:     0
    .vgpr_spill_count: 0
    .wavefront_size: 32
  - .args:
      - .offset:         0
        .size:           120
        .value_kind:     by_value
    .group_segment_fixed_size: 0
    .kernarg_segment_align: 8
    .kernarg_segment_size: 120
    .language:       OpenCL C
    .language_version:
      - 2
      - 0
    .max_flat_workgroup_size: 512
    .name:           _ZN7rocprim17ROCPRIM_400000_NS6detail17trampoline_kernelINS0_14default_configENS1_25partition_config_selectorILNS1_17partition_subalgoE9EllbEEZZNS1_14partition_implILS5_9ELb0ES3_jPlS8_PNS0_10empty_typeENS0_5tupleIJS8_S9_EEENSB_IJS8_SA_EEENS0_18inequality_wrapperIZN2at6native12_GLOBAL__N_124unique_dim_cuda_templateIjEESt5tupleIJNSF_6TensorESK_SK_EERKSK_lbbbEUlllE0_EEPmJS9_EEE10hipError_tPvRmT3_T4_T5_T6_T7_T9_mT8_P12ihipStream_tbDpT10_ENKUlT_T0_E_clISt17integral_constantIbLb1EES19_IbLb0EEEEDaS15_S16_EUlS15_E_NS1_11comp_targetILNS1_3genE5ELNS1_11target_archE942ELNS1_3gpuE9ELNS1_3repE0EEENS1_30default_config_static_selectorELNS0_4arch9wavefront6targetE0EEEvT1_
    .private_segment_fixed_size: 0
    .sgpr_count:     0
    .sgpr_spill_count: 0
    .symbol:         _ZN7rocprim17ROCPRIM_400000_NS6detail17trampoline_kernelINS0_14default_configENS1_25partition_config_selectorILNS1_17partition_subalgoE9EllbEEZZNS1_14partition_implILS5_9ELb0ES3_jPlS8_PNS0_10empty_typeENS0_5tupleIJS8_S9_EEENSB_IJS8_SA_EEENS0_18inequality_wrapperIZN2at6native12_GLOBAL__N_124unique_dim_cuda_templateIjEESt5tupleIJNSF_6TensorESK_SK_EERKSK_lbbbEUlllE0_EEPmJS9_EEE10hipError_tPvRmT3_T4_T5_T6_T7_T9_mT8_P12ihipStream_tbDpT10_ENKUlT_T0_E_clISt17integral_constantIbLb1EES19_IbLb0EEEEDaS15_S16_EUlS15_E_NS1_11comp_targetILNS1_3genE5ELNS1_11target_archE942ELNS1_3gpuE9ELNS1_3repE0EEENS1_30default_config_static_selectorELNS0_4arch9wavefront6targetE0EEEvT1_.kd
    .uniform_work_group_size: 1
    .uses_dynamic_stack: false
    .vgpr_count:     0
    .vgpr_spill_count: 0
    .wavefront_size: 32
  - .args:
      - .offset:         0
        .size:           120
        .value_kind:     by_value
    .group_segment_fixed_size: 0
    .kernarg_segment_align: 8
    .kernarg_segment_size: 120
    .language:       OpenCL C
    .language_version:
      - 2
      - 0
    .max_flat_workgroup_size: 128
    .name:           _ZN7rocprim17ROCPRIM_400000_NS6detail17trampoline_kernelINS0_14default_configENS1_25partition_config_selectorILNS1_17partition_subalgoE9EllbEEZZNS1_14partition_implILS5_9ELb0ES3_jPlS8_PNS0_10empty_typeENS0_5tupleIJS8_S9_EEENSB_IJS8_SA_EEENS0_18inequality_wrapperIZN2at6native12_GLOBAL__N_124unique_dim_cuda_templateIjEESt5tupleIJNSF_6TensorESK_SK_EERKSK_lbbbEUlllE0_EEPmJS9_EEE10hipError_tPvRmT3_T4_T5_T6_T7_T9_mT8_P12ihipStream_tbDpT10_ENKUlT_T0_E_clISt17integral_constantIbLb1EES19_IbLb0EEEEDaS15_S16_EUlS15_E_NS1_11comp_targetILNS1_3genE4ELNS1_11target_archE910ELNS1_3gpuE8ELNS1_3repE0EEENS1_30default_config_static_selectorELNS0_4arch9wavefront6targetE0EEEvT1_
    .private_segment_fixed_size: 0
    .sgpr_count:     0
    .sgpr_spill_count: 0
    .symbol:         _ZN7rocprim17ROCPRIM_400000_NS6detail17trampoline_kernelINS0_14default_configENS1_25partition_config_selectorILNS1_17partition_subalgoE9EllbEEZZNS1_14partition_implILS5_9ELb0ES3_jPlS8_PNS0_10empty_typeENS0_5tupleIJS8_S9_EEENSB_IJS8_SA_EEENS0_18inequality_wrapperIZN2at6native12_GLOBAL__N_124unique_dim_cuda_templateIjEESt5tupleIJNSF_6TensorESK_SK_EERKSK_lbbbEUlllE0_EEPmJS9_EEE10hipError_tPvRmT3_T4_T5_T6_T7_T9_mT8_P12ihipStream_tbDpT10_ENKUlT_T0_E_clISt17integral_constantIbLb1EES19_IbLb0EEEEDaS15_S16_EUlS15_E_NS1_11comp_targetILNS1_3genE4ELNS1_11target_archE910ELNS1_3gpuE8ELNS1_3repE0EEENS1_30default_config_static_selectorELNS0_4arch9wavefront6targetE0EEEvT1_.kd
    .uniform_work_group_size: 1
    .uses_dynamic_stack: false
    .vgpr_count:     0
    .vgpr_spill_count: 0
    .wavefront_size: 32
  - .args:
      - .offset:         0
        .size:           120
        .value_kind:     by_value
    .group_segment_fixed_size: 0
    .kernarg_segment_align: 8
    .kernarg_segment_size: 120
    .language:       OpenCL C
    .language_version:
      - 2
      - 0
    .max_flat_workgroup_size: 128
    .name:           _ZN7rocprim17ROCPRIM_400000_NS6detail17trampoline_kernelINS0_14default_configENS1_25partition_config_selectorILNS1_17partition_subalgoE9EllbEEZZNS1_14partition_implILS5_9ELb0ES3_jPlS8_PNS0_10empty_typeENS0_5tupleIJS8_S9_EEENSB_IJS8_SA_EEENS0_18inequality_wrapperIZN2at6native12_GLOBAL__N_124unique_dim_cuda_templateIjEESt5tupleIJNSF_6TensorESK_SK_EERKSK_lbbbEUlllE0_EEPmJS9_EEE10hipError_tPvRmT3_T4_T5_T6_T7_T9_mT8_P12ihipStream_tbDpT10_ENKUlT_T0_E_clISt17integral_constantIbLb1EES19_IbLb0EEEEDaS15_S16_EUlS15_E_NS1_11comp_targetILNS1_3genE3ELNS1_11target_archE908ELNS1_3gpuE7ELNS1_3repE0EEENS1_30default_config_static_selectorELNS0_4arch9wavefront6targetE0EEEvT1_
    .private_segment_fixed_size: 0
    .sgpr_count:     0
    .sgpr_spill_count: 0
    .symbol:         _ZN7rocprim17ROCPRIM_400000_NS6detail17trampoline_kernelINS0_14default_configENS1_25partition_config_selectorILNS1_17partition_subalgoE9EllbEEZZNS1_14partition_implILS5_9ELb0ES3_jPlS8_PNS0_10empty_typeENS0_5tupleIJS8_S9_EEENSB_IJS8_SA_EEENS0_18inequality_wrapperIZN2at6native12_GLOBAL__N_124unique_dim_cuda_templateIjEESt5tupleIJNSF_6TensorESK_SK_EERKSK_lbbbEUlllE0_EEPmJS9_EEE10hipError_tPvRmT3_T4_T5_T6_T7_T9_mT8_P12ihipStream_tbDpT10_ENKUlT_T0_E_clISt17integral_constantIbLb1EES19_IbLb0EEEEDaS15_S16_EUlS15_E_NS1_11comp_targetILNS1_3genE3ELNS1_11target_archE908ELNS1_3gpuE7ELNS1_3repE0EEENS1_30default_config_static_selectorELNS0_4arch9wavefront6targetE0EEEvT1_.kd
    .uniform_work_group_size: 1
    .uses_dynamic_stack: false
    .vgpr_count:     0
    .vgpr_spill_count: 0
    .wavefront_size: 32
  - .args:
      - .offset:         0
        .size:           120
        .value_kind:     by_value
    .group_segment_fixed_size: 0
    .kernarg_segment_align: 8
    .kernarg_segment_size: 120
    .language:       OpenCL C
    .language_version:
      - 2
      - 0
    .max_flat_workgroup_size: 192
    .name:           _ZN7rocprim17ROCPRIM_400000_NS6detail17trampoline_kernelINS0_14default_configENS1_25partition_config_selectorILNS1_17partition_subalgoE9EllbEEZZNS1_14partition_implILS5_9ELb0ES3_jPlS8_PNS0_10empty_typeENS0_5tupleIJS8_S9_EEENSB_IJS8_SA_EEENS0_18inequality_wrapperIZN2at6native12_GLOBAL__N_124unique_dim_cuda_templateIjEESt5tupleIJNSF_6TensorESK_SK_EERKSK_lbbbEUlllE0_EEPmJS9_EEE10hipError_tPvRmT3_T4_T5_T6_T7_T9_mT8_P12ihipStream_tbDpT10_ENKUlT_T0_E_clISt17integral_constantIbLb1EES19_IbLb0EEEEDaS15_S16_EUlS15_E_NS1_11comp_targetILNS1_3genE2ELNS1_11target_archE906ELNS1_3gpuE6ELNS1_3repE0EEENS1_30default_config_static_selectorELNS0_4arch9wavefront6targetE0EEEvT1_
    .private_segment_fixed_size: 0
    .sgpr_count:     0
    .sgpr_spill_count: 0
    .symbol:         _ZN7rocprim17ROCPRIM_400000_NS6detail17trampoline_kernelINS0_14default_configENS1_25partition_config_selectorILNS1_17partition_subalgoE9EllbEEZZNS1_14partition_implILS5_9ELb0ES3_jPlS8_PNS0_10empty_typeENS0_5tupleIJS8_S9_EEENSB_IJS8_SA_EEENS0_18inequality_wrapperIZN2at6native12_GLOBAL__N_124unique_dim_cuda_templateIjEESt5tupleIJNSF_6TensorESK_SK_EERKSK_lbbbEUlllE0_EEPmJS9_EEE10hipError_tPvRmT3_T4_T5_T6_T7_T9_mT8_P12ihipStream_tbDpT10_ENKUlT_T0_E_clISt17integral_constantIbLb1EES19_IbLb0EEEEDaS15_S16_EUlS15_E_NS1_11comp_targetILNS1_3genE2ELNS1_11target_archE906ELNS1_3gpuE6ELNS1_3repE0EEENS1_30default_config_static_selectorELNS0_4arch9wavefront6targetE0EEEvT1_.kd
    .uniform_work_group_size: 1
    .uses_dynamic_stack: false
    .vgpr_count:     0
    .vgpr_spill_count: 0
    .wavefront_size: 32
  - .args:
      - .offset:         0
        .size:           120
        .value_kind:     by_value
    .group_segment_fixed_size: 0
    .kernarg_segment_align: 8
    .kernarg_segment_size: 120
    .language:       OpenCL C
    .language_version:
      - 2
      - 0
    .max_flat_workgroup_size: 384
    .name:           _ZN7rocprim17ROCPRIM_400000_NS6detail17trampoline_kernelINS0_14default_configENS1_25partition_config_selectorILNS1_17partition_subalgoE9EllbEEZZNS1_14partition_implILS5_9ELb0ES3_jPlS8_PNS0_10empty_typeENS0_5tupleIJS8_S9_EEENSB_IJS8_SA_EEENS0_18inequality_wrapperIZN2at6native12_GLOBAL__N_124unique_dim_cuda_templateIjEESt5tupleIJNSF_6TensorESK_SK_EERKSK_lbbbEUlllE0_EEPmJS9_EEE10hipError_tPvRmT3_T4_T5_T6_T7_T9_mT8_P12ihipStream_tbDpT10_ENKUlT_T0_E_clISt17integral_constantIbLb1EES19_IbLb0EEEEDaS15_S16_EUlS15_E_NS1_11comp_targetILNS1_3genE10ELNS1_11target_archE1200ELNS1_3gpuE4ELNS1_3repE0EEENS1_30default_config_static_selectorELNS0_4arch9wavefront6targetE0EEEvT1_
    .private_segment_fixed_size: 0
    .sgpr_count:     0
    .sgpr_spill_count: 0
    .symbol:         _ZN7rocprim17ROCPRIM_400000_NS6detail17trampoline_kernelINS0_14default_configENS1_25partition_config_selectorILNS1_17partition_subalgoE9EllbEEZZNS1_14partition_implILS5_9ELb0ES3_jPlS8_PNS0_10empty_typeENS0_5tupleIJS8_S9_EEENSB_IJS8_SA_EEENS0_18inequality_wrapperIZN2at6native12_GLOBAL__N_124unique_dim_cuda_templateIjEESt5tupleIJNSF_6TensorESK_SK_EERKSK_lbbbEUlllE0_EEPmJS9_EEE10hipError_tPvRmT3_T4_T5_T6_T7_T9_mT8_P12ihipStream_tbDpT10_ENKUlT_T0_E_clISt17integral_constantIbLb1EES19_IbLb0EEEEDaS15_S16_EUlS15_E_NS1_11comp_targetILNS1_3genE10ELNS1_11target_archE1200ELNS1_3gpuE4ELNS1_3repE0EEENS1_30default_config_static_selectorELNS0_4arch9wavefront6targetE0EEEvT1_.kd
    .uniform_work_group_size: 1
    .uses_dynamic_stack: false
    .vgpr_count:     0
    .vgpr_spill_count: 0
    .wavefront_size: 32
  - .args:
      - .offset:         0
        .size:           120
        .value_kind:     by_value
    .group_segment_fixed_size: 0
    .kernarg_segment_align: 8
    .kernarg_segment_size: 120
    .language:       OpenCL C
    .language_version:
      - 2
      - 0
    .max_flat_workgroup_size: 512
    .name:           _ZN7rocprim17ROCPRIM_400000_NS6detail17trampoline_kernelINS0_14default_configENS1_25partition_config_selectorILNS1_17partition_subalgoE9EllbEEZZNS1_14partition_implILS5_9ELb0ES3_jPlS8_PNS0_10empty_typeENS0_5tupleIJS8_S9_EEENSB_IJS8_SA_EEENS0_18inequality_wrapperIZN2at6native12_GLOBAL__N_124unique_dim_cuda_templateIjEESt5tupleIJNSF_6TensorESK_SK_EERKSK_lbbbEUlllE0_EEPmJS9_EEE10hipError_tPvRmT3_T4_T5_T6_T7_T9_mT8_P12ihipStream_tbDpT10_ENKUlT_T0_E_clISt17integral_constantIbLb1EES19_IbLb0EEEEDaS15_S16_EUlS15_E_NS1_11comp_targetILNS1_3genE9ELNS1_11target_archE1100ELNS1_3gpuE3ELNS1_3repE0EEENS1_30default_config_static_selectorELNS0_4arch9wavefront6targetE0EEEvT1_
    .private_segment_fixed_size: 0
    .sgpr_count:     0
    .sgpr_spill_count: 0
    .symbol:         _ZN7rocprim17ROCPRIM_400000_NS6detail17trampoline_kernelINS0_14default_configENS1_25partition_config_selectorILNS1_17partition_subalgoE9EllbEEZZNS1_14partition_implILS5_9ELb0ES3_jPlS8_PNS0_10empty_typeENS0_5tupleIJS8_S9_EEENSB_IJS8_SA_EEENS0_18inequality_wrapperIZN2at6native12_GLOBAL__N_124unique_dim_cuda_templateIjEESt5tupleIJNSF_6TensorESK_SK_EERKSK_lbbbEUlllE0_EEPmJS9_EEE10hipError_tPvRmT3_T4_T5_T6_T7_T9_mT8_P12ihipStream_tbDpT10_ENKUlT_T0_E_clISt17integral_constantIbLb1EES19_IbLb0EEEEDaS15_S16_EUlS15_E_NS1_11comp_targetILNS1_3genE9ELNS1_11target_archE1100ELNS1_3gpuE3ELNS1_3repE0EEENS1_30default_config_static_selectorELNS0_4arch9wavefront6targetE0EEEvT1_.kd
    .uniform_work_group_size: 1
    .uses_dynamic_stack: false
    .vgpr_count:     0
    .vgpr_spill_count: 0
    .wavefront_size: 32
  - .args:
      - .offset:         0
        .size:           120
        .value_kind:     by_value
    .group_segment_fixed_size: 0
    .kernarg_segment_align: 8
    .kernarg_segment_size: 120
    .language:       OpenCL C
    .language_version:
      - 2
      - 0
    .max_flat_workgroup_size: 512
    .name:           _ZN7rocprim17ROCPRIM_400000_NS6detail17trampoline_kernelINS0_14default_configENS1_25partition_config_selectorILNS1_17partition_subalgoE9EllbEEZZNS1_14partition_implILS5_9ELb0ES3_jPlS8_PNS0_10empty_typeENS0_5tupleIJS8_S9_EEENSB_IJS8_SA_EEENS0_18inequality_wrapperIZN2at6native12_GLOBAL__N_124unique_dim_cuda_templateIjEESt5tupleIJNSF_6TensorESK_SK_EERKSK_lbbbEUlllE0_EEPmJS9_EEE10hipError_tPvRmT3_T4_T5_T6_T7_T9_mT8_P12ihipStream_tbDpT10_ENKUlT_T0_E_clISt17integral_constantIbLb1EES19_IbLb0EEEEDaS15_S16_EUlS15_E_NS1_11comp_targetILNS1_3genE8ELNS1_11target_archE1030ELNS1_3gpuE2ELNS1_3repE0EEENS1_30default_config_static_selectorELNS0_4arch9wavefront6targetE0EEEvT1_
    .private_segment_fixed_size: 0
    .sgpr_count:     0
    .sgpr_spill_count: 0
    .symbol:         _ZN7rocprim17ROCPRIM_400000_NS6detail17trampoline_kernelINS0_14default_configENS1_25partition_config_selectorILNS1_17partition_subalgoE9EllbEEZZNS1_14partition_implILS5_9ELb0ES3_jPlS8_PNS0_10empty_typeENS0_5tupleIJS8_S9_EEENSB_IJS8_SA_EEENS0_18inequality_wrapperIZN2at6native12_GLOBAL__N_124unique_dim_cuda_templateIjEESt5tupleIJNSF_6TensorESK_SK_EERKSK_lbbbEUlllE0_EEPmJS9_EEE10hipError_tPvRmT3_T4_T5_T6_T7_T9_mT8_P12ihipStream_tbDpT10_ENKUlT_T0_E_clISt17integral_constantIbLb1EES19_IbLb0EEEEDaS15_S16_EUlS15_E_NS1_11comp_targetILNS1_3genE8ELNS1_11target_archE1030ELNS1_3gpuE2ELNS1_3repE0EEENS1_30default_config_static_selectorELNS0_4arch9wavefront6targetE0EEEvT1_.kd
    .uniform_work_group_size: 1
    .uses_dynamic_stack: false
    .vgpr_count:     0
    .vgpr_spill_count: 0
    .wavefront_size: 32
  - .args:
      - .offset:         0
        .size:           136
        .value_kind:     by_value
    .group_segment_fixed_size: 5128
    .kernarg_segment_align: 8
    .kernarg_segment_size: 136
    .language:       OpenCL C
    .language_version:
      - 2
      - 0
    .max_flat_workgroup_size: 128
    .name:           _ZN7rocprim17ROCPRIM_400000_NS6detail17trampoline_kernelINS0_14default_configENS1_25partition_config_selectorILNS1_17partition_subalgoE9EllbEEZZNS1_14partition_implILS5_9ELb0ES3_jPlS8_PNS0_10empty_typeENS0_5tupleIJS8_S9_EEENSB_IJS8_SA_EEENS0_18inequality_wrapperIZN2at6native12_GLOBAL__N_124unique_dim_cuda_templateIjEESt5tupleIJNSF_6TensorESK_SK_EERKSK_lbbbEUlllE0_EEPmJS9_EEE10hipError_tPvRmT3_T4_T5_T6_T7_T9_mT8_P12ihipStream_tbDpT10_ENKUlT_T0_E_clISt17integral_constantIbLb0EES19_IbLb1EEEEDaS15_S16_EUlS15_E_NS1_11comp_targetILNS1_3genE0ELNS1_11target_archE4294967295ELNS1_3gpuE0ELNS1_3repE0EEENS1_30default_config_static_selectorELNS0_4arch9wavefront6targetE0EEEvT1_
    .private_segment_fixed_size: 0
    .sgpr_count:     38
    .sgpr_spill_count: 0
    .symbol:         _ZN7rocprim17ROCPRIM_400000_NS6detail17trampoline_kernelINS0_14default_configENS1_25partition_config_selectorILNS1_17partition_subalgoE9EllbEEZZNS1_14partition_implILS5_9ELb0ES3_jPlS8_PNS0_10empty_typeENS0_5tupleIJS8_S9_EEENSB_IJS8_SA_EEENS0_18inequality_wrapperIZN2at6native12_GLOBAL__N_124unique_dim_cuda_templateIjEESt5tupleIJNSF_6TensorESK_SK_EERKSK_lbbbEUlllE0_EEPmJS9_EEE10hipError_tPvRmT3_T4_T5_T6_T7_T9_mT8_P12ihipStream_tbDpT10_ENKUlT_T0_E_clISt17integral_constantIbLb0EES19_IbLb1EEEEDaS15_S16_EUlS15_E_NS1_11comp_targetILNS1_3genE0ELNS1_11target_archE4294967295ELNS1_3gpuE0ELNS1_3repE0EEENS1_30default_config_static_selectorELNS0_4arch9wavefront6targetE0EEEvT1_.kd
    .uniform_work_group_size: 1
    .uses_dynamic_stack: false
    .vgpr_count:     55
    .vgpr_spill_count: 0
    .wavefront_size: 32
  - .args:
      - .offset:         0
        .size:           136
        .value_kind:     by_value
    .group_segment_fixed_size: 0
    .kernarg_segment_align: 8
    .kernarg_segment_size: 136
    .language:       OpenCL C
    .language_version:
      - 2
      - 0
    .max_flat_workgroup_size: 512
    .name:           _ZN7rocprim17ROCPRIM_400000_NS6detail17trampoline_kernelINS0_14default_configENS1_25partition_config_selectorILNS1_17partition_subalgoE9EllbEEZZNS1_14partition_implILS5_9ELb0ES3_jPlS8_PNS0_10empty_typeENS0_5tupleIJS8_S9_EEENSB_IJS8_SA_EEENS0_18inequality_wrapperIZN2at6native12_GLOBAL__N_124unique_dim_cuda_templateIjEESt5tupleIJNSF_6TensorESK_SK_EERKSK_lbbbEUlllE0_EEPmJS9_EEE10hipError_tPvRmT3_T4_T5_T6_T7_T9_mT8_P12ihipStream_tbDpT10_ENKUlT_T0_E_clISt17integral_constantIbLb0EES19_IbLb1EEEEDaS15_S16_EUlS15_E_NS1_11comp_targetILNS1_3genE5ELNS1_11target_archE942ELNS1_3gpuE9ELNS1_3repE0EEENS1_30default_config_static_selectorELNS0_4arch9wavefront6targetE0EEEvT1_
    .private_segment_fixed_size: 0
    .sgpr_count:     0
    .sgpr_spill_count: 0
    .symbol:         _ZN7rocprim17ROCPRIM_400000_NS6detail17trampoline_kernelINS0_14default_configENS1_25partition_config_selectorILNS1_17partition_subalgoE9EllbEEZZNS1_14partition_implILS5_9ELb0ES3_jPlS8_PNS0_10empty_typeENS0_5tupleIJS8_S9_EEENSB_IJS8_SA_EEENS0_18inequality_wrapperIZN2at6native12_GLOBAL__N_124unique_dim_cuda_templateIjEESt5tupleIJNSF_6TensorESK_SK_EERKSK_lbbbEUlllE0_EEPmJS9_EEE10hipError_tPvRmT3_T4_T5_T6_T7_T9_mT8_P12ihipStream_tbDpT10_ENKUlT_T0_E_clISt17integral_constantIbLb0EES19_IbLb1EEEEDaS15_S16_EUlS15_E_NS1_11comp_targetILNS1_3genE5ELNS1_11target_archE942ELNS1_3gpuE9ELNS1_3repE0EEENS1_30default_config_static_selectorELNS0_4arch9wavefront6targetE0EEEvT1_.kd
    .uniform_work_group_size: 1
    .uses_dynamic_stack: false
    .vgpr_count:     0
    .vgpr_spill_count: 0
    .wavefront_size: 32
  - .args:
      - .offset:         0
        .size:           136
        .value_kind:     by_value
    .group_segment_fixed_size: 0
    .kernarg_segment_align: 8
    .kernarg_segment_size: 136
    .language:       OpenCL C
    .language_version:
      - 2
      - 0
    .max_flat_workgroup_size: 128
    .name:           _ZN7rocprim17ROCPRIM_400000_NS6detail17trampoline_kernelINS0_14default_configENS1_25partition_config_selectorILNS1_17partition_subalgoE9EllbEEZZNS1_14partition_implILS5_9ELb0ES3_jPlS8_PNS0_10empty_typeENS0_5tupleIJS8_S9_EEENSB_IJS8_SA_EEENS0_18inequality_wrapperIZN2at6native12_GLOBAL__N_124unique_dim_cuda_templateIjEESt5tupleIJNSF_6TensorESK_SK_EERKSK_lbbbEUlllE0_EEPmJS9_EEE10hipError_tPvRmT3_T4_T5_T6_T7_T9_mT8_P12ihipStream_tbDpT10_ENKUlT_T0_E_clISt17integral_constantIbLb0EES19_IbLb1EEEEDaS15_S16_EUlS15_E_NS1_11comp_targetILNS1_3genE4ELNS1_11target_archE910ELNS1_3gpuE8ELNS1_3repE0EEENS1_30default_config_static_selectorELNS0_4arch9wavefront6targetE0EEEvT1_
    .private_segment_fixed_size: 0
    .sgpr_count:     0
    .sgpr_spill_count: 0
    .symbol:         _ZN7rocprim17ROCPRIM_400000_NS6detail17trampoline_kernelINS0_14default_configENS1_25partition_config_selectorILNS1_17partition_subalgoE9EllbEEZZNS1_14partition_implILS5_9ELb0ES3_jPlS8_PNS0_10empty_typeENS0_5tupleIJS8_S9_EEENSB_IJS8_SA_EEENS0_18inequality_wrapperIZN2at6native12_GLOBAL__N_124unique_dim_cuda_templateIjEESt5tupleIJNSF_6TensorESK_SK_EERKSK_lbbbEUlllE0_EEPmJS9_EEE10hipError_tPvRmT3_T4_T5_T6_T7_T9_mT8_P12ihipStream_tbDpT10_ENKUlT_T0_E_clISt17integral_constantIbLb0EES19_IbLb1EEEEDaS15_S16_EUlS15_E_NS1_11comp_targetILNS1_3genE4ELNS1_11target_archE910ELNS1_3gpuE8ELNS1_3repE0EEENS1_30default_config_static_selectorELNS0_4arch9wavefront6targetE0EEEvT1_.kd
    .uniform_work_group_size: 1
    .uses_dynamic_stack: false
    .vgpr_count:     0
    .vgpr_spill_count: 0
    .wavefront_size: 32
  - .args:
      - .offset:         0
        .size:           136
        .value_kind:     by_value
    .group_segment_fixed_size: 0
    .kernarg_segment_align: 8
    .kernarg_segment_size: 136
    .language:       OpenCL C
    .language_version:
      - 2
      - 0
    .max_flat_workgroup_size: 128
    .name:           _ZN7rocprim17ROCPRIM_400000_NS6detail17trampoline_kernelINS0_14default_configENS1_25partition_config_selectorILNS1_17partition_subalgoE9EllbEEZZNS1_14partition_implILS5_9ELb0ES3_jPlS8_PNS0_10empty_typeENS0_5tupleIJS8_S9_EEENSB_IJS8_SA_EEENS0_18inequality_wrapperIZN2at6native12_GLOBAL__N_124unique_dim_cuda_templateIjEESt5tupleIJNSF_6TensorESK_SK_EERKSK_lbbbEUlllE0_EEPmJS9_EEE10hipError_tPvRmT3_T4_T5_T6_T7_T9_mT8_P12ihipStream_tbDpT10_ENKUlT_T0_E_clISt17integral_constantIbLb0EES19_IbLb1EEEEDaS15_S16_EUlS15_E_NS1_11comp_targetILNS1_3genE3ELNS1_11target_archE908ELNS1_3gpuE7ELNS1_3repE0EEENS1_30default_config_static_selectorELNS0_4arch9wavefront6targetE0EEEvT1_
    .private_segment_fixed_size: 0
    .sgpr_count:     0
    .sgpr_spill_count: 0
    .symbol:         _ZN7rocprim17ROCPRIM_400000_NS6detail17trampoline_kernelINS0_14default_configENS1_25partition_config_selectorILNS1_17partition_subalgoE9EllbEEZZNS1_14partition_implILS5_9ELb0ES3_jPlS8_PNS0_10empty_typeENS0_5tupleIJS8_S9_EEENSB_IJS8_SA_EEENS0_18inequality_wrapperIZN2at6native12_GLOBAL__N_124unique_dim_cuda_templateIjEESt5tupleIJNSF_6TensorESK_SK_EERKSK_lbbbEUlllE0_EEPmJS9_EEE10hipError_tPvRmT3_T4_T5_T6_T7_T9_mT8_P12ihipStream_tbDpT10_ENKUlT_T0_E_clISt17integral_constantIbLb0EES19_IbLb1EEEEDaS15_S16_EUlS15_E_NS1_11comp_targetILNS1_3genE3ELNS1_11target_archE908ELNS1_3gpuE7ELNS1_3repE0EEENS1_30default_config_static_selectorELNS0_4arch9wavefront6targetE0EEEvT1_.kd
    .uniform_work_group_size: 1
    .uses_dynamic_stack: false
    .vgpr_count:     0
    .vgpr_spill_count: 0
    .wavefront_size: 32
  - .args:
      - .offset:         0
        .size:           136
        .value_kind:     by_value
    .group_segment_fixed_size: 0
    .kernarg_segment_align: 8
    .kernarg_segment_size: 136
    .language:       OpenCL C
    .language_version:
      - 2
      - 0
    .max_flat_workgroup_size: 192
    .name:           _ZN7rocprim17ROCPRIM_400000_NS6detail17trampoline_kernelINS0_14default_configENS1_25partition_config_selectorILNS1_17partition_subalgoE9EllbEEZZNS1_14partition_implILS5_9ELb0ES3_jPlS8_PNS0_10empty_typeENS0_5tupleIJS8_S9_EEENSB_IJS8_SA_EEENS0_18inequality_wrapperIZN2at6native12_GLOBAL__N_124unique_dim_cuda_templateIjEESt5tupleIJNSF_6TensorESK_SK_EERKSK_lbbbEUlllE0_EEPmJS9_EEE10hipError_tPvRmT3_T4_T5_T6_T7_T9_mT8_P12ihipStream_tbDpT10_ENKUlT_T0_E_clISt17integral_constantIbLb0EES19_IbLb1EEEEDaS15_S16_EUlS15_E_NS1_11comp_targetILNS1_3genE2ELNS1_11target_archE906ELNS1_3gpuE6ELNS1_3repE0EEENS1_30default_config_static_selectorELNS0_4arch9wavefront6targetE0EEEvT1_
    .private_segment_fixed_size: 0
    .sgpr_count:     0
    .sgpr_spill_count: 0
    .symbol:         _ZN7rocprim17ROCPRIM_400000_NS6detail17trampoline_kernelINS0_14default_configENS1_25partition_config_selectorILNS1_17partition_subalgoE9EllbEEZZNS1_14partition_implILS5_9ELb0ES3_jPlS8_PNS0_10empty_typeENS0_5tupleIJS8_S9_EEENSB_IJS8_SA_EEENS0_18inequality_wrapperIZN2at6native12_GLOBAL__N_124unique_dim_cuda_templateIjEESt5tupleIJNSF_6TensorESK_SK_EERKSK_lbbbEUlllE0_EEPmJS9_EEE10hipError_tPvRmT3_T4_T5_T6_T7_T9_mT8_P12ihipStream_tbDpT10_ENKUlT_T0_E_clISt17integral_constantIbLb0EES19_IbLb1EEEEDaS15_S16_EUlS15_E_NS1_11comp_targetILNS1_3genE2ELNS1_11target_archE906ELNS1_3gpuE6ELNS1_3repE0EEENS1_30default_config_static_selectorELNS0_4arch9wavefront6targetE0EEEvT1_.kd
    .uniform_work_group_size: 1
    .uses_dynamic_stack: false
    .vgpr_count:     0
    .vgpr_spill_count: 0
    .wavefront_size: 32
  - .args:
      - .offset:         0
        .size:           136
        .value_kind:     by_value
    .group_segment_fixed_size: 0
    .kernarg_segment_align: 8
    .kernarg_segment_size: 136
    .language:       OpenCL C
    .language_version:
      - 2
      - 0
    .max_flat_workgroup_size: 384
    .name:           _ZN7rocprim17ROCPRIM_400000_NS6detail17trampoline_kernelINS0_14default_configENS1_25partition_config_selectorILNS1_17partition_subalgoE9EllbEEZZNS1_14partition_implILS5_9ELb0ES3_jPlS8_PNS0_10empty_typeENS0_5tupleIJS8_S9_EEENSB_IJS8_SA_EEENS0_18inequality_wrapperIZN2at6native12_GLOBAL__N_124unique_dim_cuda_templateIjEESt5tupleIJNSF_6TensorESK_SK_EERKSK_lbbbEUlllE0_EEPmJS9_EEE10hipError_tPvRmT3_T4_T5_T6_T7_T9_mT8_P12ihipStream_tbDpT10_ENKUlT_T0_E_clISt17integral_constantIbLb0EES19_IbLb1EEEEDaS15_S16_EUlS15_E_NS1_11comp_targetILNS1_3genE10ELNS1_11target_archE1200ELNS1_3gpuE4ELNS1_3repE0EEENS1_30default_config_static_selectorELNS0_4arch9wavefront6targetE0EEEvT1_
    .private_segment_fixed_size: 0
    .sgpr_count:     0
    .sgpr_spill_count: 0
    .symbol:         _ZN7rocprim17ROCPRIM_400000_NS6detail17trampoline_kernelINS0_14default_configENS1_25partition_config_selectorILNS1_17partition_subalgoE9EllbEEZZNS1_14partition_implILS5_9ELb0ES3_jPlS8_PNS0_10empty_typeENS0_5tupleIJS8_S9_EEENSB_IJS8_SA_EEENS0_18inequality_wrapperIZN2at6native12_GLOBAL__N_124unique_dim_cuda_templateIjEESt5tupleIJNSF_6TensorESK_SK_EERKSK_lbbbEUlllE0_EEPmJS9_EEE10hipError_tPvRmT3_T4_T5_T6_T7_T9_mT8_P12ihipStream_tbDpT10_ENKUlT_T0_E_clISt17integral_constantIbLb0EES19_IbLb1EEEEDaS15_S16_EUlS15_E_NS1_11comp_targetILNS1_3genE10ELNS1_11target_archE1200ELNS1_3gpuE4ELNS1_3repE0EEENS1_30default_config_static_selectorELNS0_4arch9wavefront6targetE0EEEvT1_.kd
    .uniform_work_group_size: 1
    .uses_dynamic_stack: false
    .vgpr_count:     0
    .vgpr_spill_count: 0
    .wavefront_size: 32
  - .args:
      - .offset:         0
        .size:           136
        .value_kind:     by_value
    .group_segment_fixed_size: 0
    .kernarg_segment_align: 8
    .kernarg_segment_size: 136
    .language:       OpenCL C
    .language_version:
      - 2
      - 0
    .max_flat_workgroup_size: 512
    .name:           _ZN7rocprim17ROCPRIM_400000_NS6detail17trampoline_kernelINS0_14default_configENS1_25partition_config_selectorILNS1_17partition_subalgoE9EllbEEZZNS1_14partition_implILS5_9ELb0ES3_jPlS8_PNS0_10empty_typeENS0_5tupleIJS8_S9_EEENSB_IJS8_SA_EEENS0_18inequality_wrapperIZN2at6native12_GLOBAL__N_124unique_dim_cuda_templateIjEESt5tupleIJNSF_6TensorESK_SK_EERKSK_lbbbEUlllE0_EEPmJS9_EEE10hipError_tPvRmT3_T4_T5_T6_T7_T9_mT8_P12ihipStream_tbDpT10_ENKUlT_T0_E_clISt17integral_constantIbLb0EES19_IbLb1EEEEDaS15_S16_EUlS15_E_NS1_11comp_targetILNS1_3genE9ELNS1_11target_archE1100ELNS1_3gpuE3ELNS1_3repE0EEENS1_30default_config_static_selectorELNS0_4arch9wavefront6targetE0EEEvT1_
    .private_segment_fixed_size: 0
    .sgpr_count:     0
    .sgpr_spill_count: 0
    .symbol:         _ZN7rocprim17ROCPRIM_400000_NS6detail17trampoline_kernelINS0_14default_configENS1_25partition_config_selectorILNS1_17partition_subalgoE9EllbEEZZNS1_14partition_implILS5_9ELb0ES3_jPlS8_PNS0_10empty_typeENS0_5tupleIJS8_S9_EEENSB_IJS8_SA_EEENS0_18inequality_wrapperIZN2at6native12_GLOBAL__N_124unique_dim_cuda_templateIjEESt5tupleIJNSF_6TensorESK_SK_EERKSK_lbbbEUlllE0_EEPmJS9_EEE10hipError_tPvRmT3_T4_T5_T6_T7_T9_mT8_P12ihipStream_tbDpT10_ENKUlT_T0_E_clISt17integral_constantIbLb0EES19_IbLb1EEEEDaS15_S16_EUlS15_E_NS1_11comp_targetILNS1_3genE9ELNS1_11target_archE1100ELNS1_3gpuE3ELNS1_3repE0EEENS1_30default_config_static_selectorELNS0_4arch9wavefront6targetE0EEEvT1_.kd
    .uniform_work_group_size: 1
    .uses_dynamic_stack: false
    .vgpr_count:     0
    .vgpr_spill_count: 0
    .wavefront_size: 32
  - .args:
      - .offset:         0
        .size:           136
        .value_kind:     by_value
    .group_segment_fixed_size: 0
    .kernarg_segment_align: 8
    .kernarg_segment_size: 136
    .language:       OpenCL C
    .language_version:
      - 2
      - 0
    .max_flat_workgroup_size: 512
    .name:           _ZN7rocprim17ROCPRIM_400000_NS6detail17trampoline_kernelINS0_14default_configENS1_25partition_config_selectorILNS1_17partition_subalgoE9EllbEEZZNS1_14partition_implILS5_9ELb0ES3_jPlS8_PNS0_10empty_typeENS0_5tupleIJS8_S9_EEENSB_IJS8_SA_EEENS0_18inequality_wrapperIZN2at6native12_GLOBAL__N_124unique_dim_cuda_templateIjEESt5tupleIJNSF_6TensorESK_SK_EERKSK_lbbbEUlllE0_EEPmJS9_EEE10hipError_tPvRmT3_T4_T5_T6_T7_T9_mT8_P12ihipStream_tbDpT10_ENKUlT_T0_E_clISt17integral_constantIbLb0EES19_IbLb1EEEEDaS15_S16_EUlS15_E_NS1_11comp_targetILNS1_3genE8ELNS1_11target_archE1030ELNS1_3gpuE2ELNS1_3repE0EEENS1_30default_config_static_selectorELNS0_4arch9wavefront6targetE0EEEvT1_
    .private_segment_fixed_size: 0
    .sgpr_count:     0
    .sgpr_spill_count: 0
    .symbol:         _ZN7rocprim17ROCPRIM_400000_NS6detail17trampoline_kernelINS0_14default_configENS1_25partition_config_selectorILNS1_17partition_subalgoE9EllbEEZZNS1_14partition_implILS5_9ELb0ES3_jPlS8_PNS0_10empty_typeENS0_5tupleIJS8_S9_EEENSB_IJS8_SA_EEENS0_18inequality_wrapperIZN2at6native12_GLOBAL__N_124unique_dim_cuda_templateIjEESt5tupleIJNSF_6TensorESK_SK_EERKSK_lbbbEUlllE0_EEPmJS9_EEE10hipError_tPvRmT3_T4_T5_T6_T7_T9_mT8_P12ihipStream_tbDpT10_ENKUlT_T0_E_clISt17integral_constantIbLb0EES19_IbLb1EEEEDaS15_S16_EUlS15_E_NS1_11comp_targetILNS1_3genE8ELNS1_11target_archE1030ELNS1_3gpuE2ELNS1_3repE0EEENS1_30default_config_static_selectorELNS0_4arch9wavefront6targetE0EEEvT1_.kd
    .uniform_work_group_size: 1
    .uses_dynamic_stack: false
    .vgpr_count:     0
    .vgpr_spill_count: 0
    .wavefront_size: 32
  - .args:
      - .offset:         0
        .size:           72
        .value_kind:     by_value
      - .offset:         72
        .size:           4
        .value_kind:     hidden_block_count_x
      - .offset:         76
        .size:           4
        .value_kind:     hidden_block_count_y
      - .offset:         80
        .size:           4
        .value_kind:     hidden_block_count_z
      - .offset:         84
        .size:           2
        .value_kind:     hidden_group_size_x
      - .offset:         86
        .size:           2
        .value_kind:     hidden_group_size_y
      - .offset:         88
        .size:           2
        .value_kind:     hidden_group_size_z
      - .offset:         90
        .size:           2
        .value_kind:     hidden_remainder_x
      - .offset:         92
        .size:           2
        .value_kind:     hidden_remainder_y
      - .offset:         94
        .size:           2
        .value_kind:     hidden_remainder_z
      - .offset:         112
        .size:           8
        .value_kind:     hidden_global_offset_x
      - .offset:         120
        .size:           8
        .value_kind:     hidden_global_offset_y
      - .offset:         128
        .size:           8
        .value_kind:     hidden_global_offset_z
      - .offset:         136
        .size:           2
        .value_kind:     hidden_grid_dims
    .group_segment_fixed_size: 16896
    .kernarg_segment_align: 8
    .kernarg_segment_size: 328
    .language:       OpenCL C
    .language_version:
      - 2
      - 0
    .max_flat_workgroup_size: 256
    .name:           _ZN7rocprim17ROCPRIM_400000_NS6detail17trampoline_kernelINS0_14default_configENS1_37merge_sort_block_sort_config_selectorIlNS0_10empty_typeEEEZNS1_21merge_sort_block_sortIS3_PlS8_PS5_S9_ZN2at6native12_GLOBAL__N_124unique_dim_cuda_templateImEESt5tupleIJNSA_6TensorESF_SF_EERKSF_lbbbEUlllE_EE10hipError_tT0_T1_T2_T3_mRjT4_P12ihipStream_tbNS1_7vsmem_tEEUlT_E_NS1_11comp_targetILNS1_3genE0ELNS1_11target_archE4294967295ELNS1_3gpuE0ELNS1_3repE0EEENS1_30default_config_static_selectorELNS0_4arch9wavefront6targetE0EEEvSM_
    .private_segment_fixed_size: 0
    .sgpr_count:     41
    .sgpr_spill_count: 0
    .symbol:         _ZN7rocprim17ROCPRIM_400000_NS6detail17trampoline_kernelINS0_14default_configENS1_37merge_sort_block_sort_config_selectorIlNS0_10empty_typeEEEZNS1_21merge_sort_block_sortIS3_PlS8_PS5_S9_ZN2at6native12_GLOBAL__N_124unique_dim_cuda_templateImEESt5tupleIJNSA_6TensorESF_SF_EERKSF_lbbbEUlllE_EE10hipError_tT0_T1_T2_T3_mRjT4_P12ihipStream_tbNS1_7vsmem_tEEUlT_E_NS1_11comp_targetILNS1_3genE0ELNS1_11target_archE4294967295ELNS1_3gpuE0ELNS1_3repE0EEENS1_30default_config_static_selectorELNS0_4arch9wavefront6targetE0EEEvSM_.kd
    .uniform_work_group_size: 1
    .uses_dynamic_stack: false
    .vgpr_count:     58
    .vgpr_spill_count: 0
    .wavefront_size: 32
  - .args:
      - .offset:         0
        .size:           72
        .value_kind:     by_value
    .group_segment_fixed_size: 0
    .kernarg_segment_align: 8
    .kernarg_segment_size: 72
    .language:       OpenCL C
    .language_version:
      - 2
      - 0
    .max_flat_workgroup_size: 256
    .name:           _ZN7rocprim17ROCPRIM_400000_NS6detail17trampoline_kernelINS0_14default_configENS1_37merge_sort_block_sort_config_selectorIlNS0_10empty_typeEEEZNS1_21merge_sort_block_sortIS3_PlS8_PS5_S9_ZN2at6native12_GLOBAL__N_124unique_dim_cuda_templateImEESt5tupleIJNSA_6TensorESF_SF_EERKSF_lbbbEUlllE_EE10hipError_tT0_T1_T2_T3_mRjT4_P12ihipStream_tbNS1_7vsmem_tEEUlT_E_NS1_11comp_targetILNS1_3genE5ELNS1_11target_archE942ELNS1_3gpuE9ELNS1_3repE0EEENS1_30default_config_static_selectorELNS0_4arch9wavefront6targetE0EEEvSM_
    .private_segment_fixed_size: 0
    .sgpr_count:     0
    .sgpr_spill_count: 0
    .symbol:         _ZN7rocprim17ROCPRIM_400000_NS6detail17trampoline_kernelINS0_14default_configENS1_37merge_sort_block_sort_config_selectorIlNS0_10empty_typeEEEZNS1_21merge_sort_block_sortIS3_PlS8_PS5_S9_ZN2at6native12_GLOBAL__N_124unique_dim_cuda_templateImEESt5tupleIJNSA_6TensorESF_SF_EERKSF_lbbbEUlllE_EE10hipError_tT0_T1_T2_T3_mRjT4_P12ihipStream_tbNS1_7vsmem_tEEUlT_E_NS1_11comp_targetILNS1_3genE5ELNS1_11target_archE942ELNS1_3gpuE9ELNS1_3repE0EEENS1_30default_config_static_selectorELNS0_4arch9wavefront6targetE0EEEvSM_.kd
    .uniform_work_group_size: 1
    .uses_dynamic_stack: false
    .vgpr_count:     0
    .vgpr_spill_count: 0
    .wavefront_size: 32
  - .args:
      - .offset:         0
        .size:           72
        .value_kind:     by_value
    .group_segment_fixed_size: 0
    .kernarg_segment_align: 8
    .kernarg_segment_size: 72
    .language:       OpenCL C
    .language_version:
      - 2
      - 0
    .max_flat_workgroup_size: 256
    .name:           _ZN7rocprim17ROCPRIM_400000_NS6detail17trampoline_kernelINS0_14default_configENS1_37merge_sort_block_sort_config_selectorIlNS0_10empty_typeEEEZNS1_21merge_sort_block_sortIS3_PlS8_PS5_S9_ZN2at6native12_GLOBAL__N_124unique_dim_cuda_templateImEESt5tupleIJNSA_6TensorESF_SF_EERKSF_lbbbEUlllE_EE10hipError_tT0_T1_T2_T3_mRjT4_P12ihipStream_tbNS1_7vsmem_tEEUlT_E_NS1_11comp_targetILNS1_3genE4ELNS1_11target_archE910ELNS1_3gpuE8ELNS1_3repE0EEENS1_30default_config_static_selectorELNS0_4arch9wavefront6targetE0EEEvSM_
    .private_segment_fixed_size: 0
    .sgpr_count:     0
    .sgpr_spill_count: 0
    .symbol:         _ZN7rocprim17ROCPRIM_400000_NS6detail17trampoline_kernelINS0_14default_configENS1_37merge_sort_block_sort_config_selectorIlNS0_10empty_typeEEEZNS1_21merge_sort_block_sortIS3_PlS8_PS5_S9_ZN2at6native12_GLOBAL__N_124unique_dim_cuda_templateImEESt5tupleIJNSA_6TensorESF_SF_EERKSF_lbbbEUlllE_EE10hipError_tT0_T1_T2_T3_mRjT4_P12ihipStream_tbNS1_7vsmem_tEEUlT_E_NS1_11comp_targetILNS1_3genE4ELNS1_11target_archE910ELNS1_3gpuE8ELNS1_3repE0EEENS1_30default_config_static_selectorELNS0_4arch9wavefront6targetE0EEEvSM_.kd
    .uniform_work_group_size: 1
    .uses_dynamic_stack: false
    .vgpr_count:     0
    .vgpr_spill_count: 0
    .wavefront_size: 32
  - .args:
      - .offset:         0
        .size:           72
        .value_kind:     by_value
    .group_segment_fixed_size: 0
    .kernarg_segment_align: 8
    .kernarg_segment_size: 72
    .language:       OpenCL C
    .language_version:
      - 2
      - 0
    .max_flat_workgroup_size: 256
    .name:           _ZN7rocprim17ROCPRIM_400000_NS6detail17trampoline_kernelINS0_14default_configENS1_37merge_sort_block_sort_config_selectorIlNS0_10empty_typeEEEZNS1_21merge_sort_block_sortIS3_PlS8_PS5_S9_ZN2at6native12_GLOBAL__N_124unique_dim_cuda_templateImEESt5tupleIJNSA_6TensorESF_SF_EERKSF_lbbbEUlllE_EE10hipError_tT0_T1_T2_T3_mRjT4_P12ihipStream_tbNS1_7vsmem_tEEUlT_E_NS1_11comp_targetILNS1_3genE3ELNS1_11target_archE908ELNS1_3gpuE7ELNS1_3repE0EEENS1_30default_config_static_selectorELNS0_4arch9wavefront6targetE0EEEvSM_
    .private_segment_fixed_size: 0
    .sgpr_count:     0
    .sgpr_spill_count: 0
    .symbol:         _ZN7rocprim17ROCPRIM_400000_NS6detail17trampoline_kernelINS0_14default_configENS1_37merge_sort_block_sort_config_selectorIlNS0_10empty_typeEEEZNS1_21merge_sort_block_sortIS3_PlS8_PS5_S9_ZN2at6native12_GLOBAL__N_124unique_dim_cuda_templateImEESt5tupleIJNSA_6TensorESF_SF_EERKSF_lbbbEUlllE_EE10hipError_tT0_T1_T2_T3_mRjT4_P12ihipStream_tbNS1_7vsmem_tEEUlT_E_NS1_11comp_targetILNS1_3genE3ELNS1_11target_archE908ELNS1_3gpuE7ELNS1_3repE0EEENS1_30default_config_static_selectorELNS0_4arch9wavefront6targetE0EEEvSM_.kd
    .uniform_work_group_size: 1
    .uses_dynamic_stack: false
    .vgpr_count:     0
    .vgpr_spill_count: 0
    .wavefront_size: 32
  - .args:
      - .offset:         0
        .size:           72
        .value_kind:     by_value
    .group_segment_fixed_size: 0
    .kernarg_segment_align: 8
    .kernarg_segment_size: 72
    .language:       OpenCL C
    .language_version:
      - 2
      - 0
    .max_flat_workgroup_size: 256
    .name:           _ZN7rocprim17ROCPRIM_400000_NS6detail17trampoline_kernelINS0_14default_configENS1_37merge_sort_block_sort_config_selectorIlNS0_10empty_typeEEEZNS1_21merge_sort_block_sortIS3_PlS8_PS5_S9_ZN2at6native12_GLOBAL__N_124unique_dim_cuda_templateImEESt5tupleIJNSA_6TensorESF_SF_EERKSF_lbbbEUlllE_EE10hipError_tT0_T1_T2_T3_mRjT4_P12ihipStream_tbNS1_7vsmem_tEEUlT_E_NS1_11comp_targetILNS1_3genE2ELNS1_11target_archE906ELNS1_3gpuE6ELNS1_3repE0EEENS1_30default_config_static_selectorELNS0_4arch9wavefront6targetE0EEEvSM_
    .private_segment_fixed_size: 0
    .sgpr_count:     0
    .sgpr_spill_count: 0
    .symbol:         _ZN7rocprim17ROCPRIM_400000_NS6detail17trampoline_kernelINS0_14default_configENS1_37merge_sort_block_sort_config_selectorIlNS0_10empty_typeEEEZNS1_21merge_sort_block_sortIS3_PlS8_PS5_S9_ZN2at6native12_GLOBAL__N_124unique_dim_cuda_templateImEESt5tupleIJNSA_6TensorESF_SF_EERKSF_lbbbEUlllE_EE10hipError_tT0_T1_T2_T3_mRjT4_P12ihipStream_tbNS1_7vsmem_tEEUlT_E_NS1_11comp_targetILNS1_3genE2ELNS1_11target_archE906ELNS1_3gpuE6ELNS1_3repE0EEENS1_30default_config_static_selectorELNS0_4arch9wavefront6targetE0EEEvSM_.kd
    .uniform_work_group_size: 1
    .uses_dynamic_stack: false
    .vgpr_count:     0
    .vgpr_spill_count: 0
    .wavefront_size: 32
  - .args:
      - .offset:         0
        .size:           72
        .value_kind:     by_value
    .group_segment_fixed_size: 0
    .kernarg_segment_align: 8
    .kernarg_segment_size: 72
    .language:       OpenCL C
    .language_version:
      - 2
      - 0
    .max_flat_workgroup_size: 256
    .name:           _ZN7rocprim17ROCPRIM_400000_NS6detail17trampoline_kernelINS0_14default_configENS1_37merge_sort_block_sort_config_selectorIlNS0_10empty_typeEEEZNS1_21merge_sort_block_sortIS3_PlS8_PS5_S9_ZN2at6native12_GLOBAL__N_124unique_dim_cuda_templateImEESt5tupleIJNSA_6TensorESF_SF_EERKSF_lbbbEUlllE_EE10hipError_tT0_T1_T2_T3_mRjT4_P12ihipStream_tbNS1_7vsmem_tEEUlT_E_NS1_11comp_targetILNS1_3genE10ELNS1_11target_archE1201ELNS1_3gpuE5ELNS1_3repE0EEENS1_30default_config_static_selectorELNS0_4arch9wavefront6targetE0EEEvSM_
    .private_segment_fixed_size: 0
    .sgpr_count:     0
    .sgpr_spill_count: 0
    .symbol:         _ZN7rocprim17ROCPRIM_400000_NS6detail17trampoline_kernelINS0_14default_configENS1_37merge_sort_block_sort_config_selectorIlNS0_10empty_typeEEEZNS1_21merge_sort_block_sortIS3_PlS8_PS5_S9_ZN2at6native12_GLOBAL__N_124unique_dim_cuda_templateImEESt5tupleIJNSA_6TensorESF_SF_EERKSF_lbbbEUlllE_EE10hipError_tT0_T1_T2_T3_mRjT4_P12ihipStream_tbNS1_7vsmem_tEEUlT_E_NS1_11comp_targetILNS1_3genE10ELNS1_11target_archE1201ELNS1_3gpuE5ELNS1_3repE0EEENS1_30default_config_static_selectorELNS0_4arch9wavefront6targetE0EEEvSM_.kd
    .uniform_work_group_size: 1
    .uses_dynamic_stack: false
    .vgpr_count:     0
    .vgpr_spill_count: 0
    .wavefront_size: 32
  - .args:
      - .offset:         0
        .size:           72
        .value_kind:     by_value
    .group_segment_fixed_size: 0
    .kernarg_segment_align: 8
    .kernarg_segment_size: 72
    .language:       OpenCL C
    .language_version:
      - 2
      - 0
    .max_flat_workgroup_size: 512
    .name:           _ZN7rocprim17ROCPRIM_400000_NS6detail17trampoline_kernelINS0_14default_configENS1_37merge_sort_block_sort_config_selectorIlNS0_10empty_typeEEEZNS1_21merge_sort_block_sortIS3_PlS8_PS5_S9_ZN2at6native12_GLOBAL__N_124unique_dim_cuda_templateImEESt5tupleIJNSA_6TensorESF_SF_EERKSF_lbbbEUlllE_EE10hipError_tT0_T1_T2_T3_mRjT4_P12ihipStream_tbNS1_7vsmem_tEEUlT_E_NS1_11comp_targetILNS1_3genE10ELNS1_11target_archE1200ELNS1_3gpuE4ELNS1_3repE0EEENS1_30default_config_static_selectorELNS0_4arch9wavefront6targetE0EEEvSM_
    .private_segment_fixed_size: 0
    .sgpr_count:     0
    .sgpr_spill_count: 0
    .symbol:         _ZN7rocprim17ROCPRIM_400000_NS6detail17trampoline_kernelINS0_14default_configENS1_37merge_sort_block_sort_config_selectorIlNS0_10empty_typeEEEZNS1_21merge_sort_block_sortIS3_PlS8_PS5_S9_ZN2at6native12_GLOBAL__N_124unique_dim_cuda_templateImEESt5tupleIJNSA_6TensorESF_SF_EERKSF_lbbbEUlllE_EE10hipError_tT0_T1_T2_T3_mRjT4_P12ihipStream_tbNS1_7vsmem_tEEUlT_E_NS1_11comp_targetILNS1_3genE10ELNS1_11target_archE1200ELNS1_3gpuE4ELNS1_3repE0EEENS1_30default_config_static_selectorELNS0_4arch9wavefront6targetE0EEEvSM_.kd
    .uniform_work_group_size: 1
    .uses_dynamic_stack: false
    .vgpr_count:     0
    .vgpr_spill_count: 0
    .wavefront_size: 32
  - .args:
      - .offset:         0
        .size:           72
        .value_kind:     by_value
    .group_segment_fixed_size: 0
    .kernarg_segment_align: 8
    .kernarg_segment_size: 72
    .language:       OpenCL C
    .language_version:
      - 2
      - 0
    .max_flat_workgroup_size: 256
    .name:           _ZN7rocprim17ROCPRIM_400000_NS6detail17trampoline_kernelINS0_14default_configENS1_37merge_sort_block_sort_config_selectorIlNS0_10empty_typeEEEZNS1_21merge_sort_block_sortIS3_PlS8_PS5_S9_ZN2at6native12_GLOBAL__N_124unique_dim_cuda_templateImEESt5tupleIJNSA_6TensorESF_SF_EERKSF_lbbbEUlllE_EE10hipError_tT0_T1_T2_T3_mRjT4_P12ihipStream_tbNS1_7vsmem_tEEUlT_E_NS1_11comp_targetILNS1_3genE9ELNS1_11target_archE1100ELNS1_3gpuE3ELNS1_3repE0EEENS1_30default_config_static_selectorELNS0_4arch9wavefront6targetE0EEEvSM_
    .private_segment_fixed_size: 0
    .sgpr_count:     0
    .sgpr_spill_count: 0
    .symbol:         _ZN7rocprim17ROCPRIM_400000_NS6detail17trampoline_kernelINS0_14default_configENS1_37merge_sort_block_sort_config_selectorIlNS0_10empty_typeEEEZNS1_21merge_sort_block_sortIS3_PlS8_PS5_S9_ZN2at6native12_GLOBAL__N_124unique_dim_cuda_templateImEESt5tupleIJNSA_6TensorESF_SF_EERKSF_lbbbEUlllE_EE10hipError_tT0_T1_T2_T3_mRjT4_P12ihipStream_tbNS1_7vsmem_tEEUlT_E_NS1_11comp_targetILNS1_3genE9ELNS1_11target_archE1100ELNS1_3gpuE3ELNS1_3repE0EEENS1_30default_config_static_selectorELNS0_4arch9wavefront6targetE0EEEvSM_.kd
    .uniform_work_group_size: 1
    .uses_dynamic_stack: false
    .vgpr_count:     0
    .vgpr_spill_count: 0
    .wavefront_size: 32
  - .args:
      - .offset:         0
        .size:           72
        .value_kind:     by_value
    .group_segment_fixed_size: 0
    .kernarg_segment_align: 8
    .kernarg_segment_size: 72
    .language:       OpenCL C
    .language_version:
      - 2
      - 0
    .max_flat_workgroup_size: 256
    .name:           _ZN7rocprim17ROCPRIM_400000_NS6detail17trampoline_kernelINS0_14default_configENS1_37merge_sort_block_sort_config_selectorIlNS0_10empty_typeEEEZNS1_21merge_sort_block_sortIS3_PlS8_PS5_S9_ZN2at6native12_GLOBAL__N_124unique_dim_cuda_templateImEESt5tupleIJNSA_6TensorESF_SF_EERKSF_lbbbEUlllE_EE10hipError_tT0_T1_T2_T3_mRjT4_P12ihipStream_tbNS1_7vsmem_tEEUlT_E_NS1_11comp_targetILNS1_3genE8ELNS1_11target_archE1030ELNS1_3gpuE2ELNS1_3repE0EEENS1_30default_config_static_selectorELNS0_4arch9wavefront6targetE0EEEvSM_
    .private_segment_fixed_size: 0
    .sgpr_count:     0
    .sgpr_spill_count: 0
    .symbol:         _ZN7rocprim17ROCPRIM_400000_NS6detail17trampoline_kernelINS0_14default_configENS1_37merge_sort_block_sort_config_selectorIlNS0_10empty_typeEEEZNS1_21merge_sort_block_sortIS3_PlS8_PS5_S9_ZN2at6native12_GLOBAL__N_124unique_dim_cuda_templateImEESt5tupleIJNSA_6TensorESF_SF_EERKSF_lbbbEUlllE_EE10hipError_tT0_T1_T2_T3_mRjT4_P12ihipStream_tbNS1_7vsmem_tEEUlT_E_NS1_11comp_targetILNS1_3genE8ELNS1_11target_archE1030ELNS1_3gpuE2ELNS1_3repE0EEENS1_30default_config_static_selectorELNS0_4arch9wavefront6targetE0EEEvSM_.kd
    .uniform_work_group_size: 1
    .uses_dynamic_stack: false
    .vgpr_count:     0
    .vgpr_spill_count: 0
    .wavefront_size: 32
  - .args:
      - .offset:         0
        .size:           56
        .value_kind:     by_value
    .group_segment_fixed_size: 0
    .kernarg_segment_align: 8
    .kernarg_segment_size: 56
    .language:       OpenCL C
    .language_version:
      - 2
      - 0
    .max_flat_workgroup_size: 128
    .name:           _ZN7rocprim17ROCPRIM_400000_NS6detail17trampoline_kernelINS0_14default_configENS1_38merge_sort_block_merge_config_selectorIlNS0_10empty_typeEEEZZNS1_27merge_sort_block_merge_implIS3_PlPS5_mZN2at6native12_GLOBAL__N_124unique_dim_cuda_templateImEESt5tupleIJNSA_6TensorESF_SF_EERKSF_lbbbEUlllE_EE10hipError_tT0_T1_T2_jT3_P12ihipStream_tbPNSt15iterator_traitsISL_E10value_typeEPNSR_ISM_E10value_typeEPSN_NS1_7vsmem_tEENKUlT_SL_SM_SN_E_clIS8_S8_S9_S9_EESK_S10_SL_SM_SN_EUlS10_E_NS1_11comp_targetILNS1_3genE0ELNS1_11target_archE4294967295ELNS1_3gpuE0ELNS1_3repE0EEENS1_48merge_mergepath_partition_config_static_selectorELNS0_4arch9wavefront6targetE0EEEvSM_
    .private_segment_fixed_size: 0
    .sgpr_count:     22
    .sgpr_spill_count: 0
    .symbol:         _ZN7rocprim17ROCPRIM_400000_NS6detail17trampoline_kernelINS0_14default_configENS1_38merge_sort_block_merge_config_selectorIlNS0_10empty_typeEEEZZNS1_27merge_sort_block_merge_implIS3_PlPS5_mZN2at6native12_GLOBAL__N_124unique_dim_cuda_templateImEESt5tupleIJNSA_6TensorESF_SF_EERKSF_lbbbEUlllE_EE10hipError_tT0_T1_T2_jT3_P12ihipStream_tbPNSt15iterator_traitsISL_E10value_typeEPNSR_ISM_E10value_typeEPSN_NS1_7vsmem_tEENKUlT_SL_SM_SN_E_clIS8_S8_S9_S9_EESK_S10_SL_SM_SN_EUlS10_E_NS1_11comp_targetILNS1_3genE0ELNS1_11target_archE4294967295ELNS1_3gpuE0ELNS1_3repE0EEENS1_48merge_mergepath_partition_config_static_selectorELNS0_4arch9wavefront6targetE0EEEvSM_.kd
    .uniform_work_group_size: 1
    .uses_dynamic_stack: false
    .vgpr_count:     22
    .vgpr_spill_count: 0
    .wavefront_size: 32
  - .args:
      - .offset:         0
        .size:           56
        .value_kind:     by_value
    .group_segment_fixed_size: 0
    .kernarg_segment_align: 8
    .kernarg_segment_size: 56
    .language:       OpenCL C
    .language_version:
      - 2
      - 0
    .max_flat_workgroup_size: 128
    .name:           _ZN7rocprim17ROCPRIM_400000_NS6detail17trampoline_kernelINS0_14default_configENS1_38merge_sort_block_merge_config_selectorIlNS0_10empty_typeEEEZZNS1_27merge_sort_block_merge_implIS3_PlPS5_mZN2at6native12_GLOBAL__N_124unique_dim_cuda_templateImEESt5tupleIJNSA_6TensorESF_SF_EERKSF_lbbbEUlllE_EE10hipError_tT0_T1_T2_jT3_P12ihipStream_tbPNSt15iterator_traitsISL_E10value_typeEPNSR_ISM_E10value_typeEPSN_NS1_7vsmem_tEENKUlT_SL_SM_SN_E_clIS8_S8_S9_S9_EESK_S10_SL_SM_SN_EUlS10_E_NS1_11comp_targetILNS1_3genE10ELNS1_11target_archE1201ELNS1_3gpuE5ELNS1_3repE0EEENS1_48merge_mergepath_partition_config_static_selectorELNS0_4arch9wavefront6targetE0EEEvSM_
    .private_segment_fixed_size: 0
    .sgpr_count:     0
    .sgpr_spill_count: 0
    .symbol:         _ZN7rocprim17ROCPRIM_400000_NS6detail17trampoline_kernelINS0_14default_configENS1_38merge_sort_block_merge_config_selectorIlNS0_10empty_typeEEEZZNS1_27merge_sort_block_merge_implIS3_PlPS5_mZN2at6native12_GLOBAL__N_124unique_dim_cuda_templateImEESt5tupleIJNSA_6TensorESF_SF_EERKSF_lbbbEUlllE_EE10hipError_tT0_T1_T2_jT3_P12ihipStream_tbPNSt15iterator_traitsISL_E10value_typeEPNSR_ISM_E10value_typeEPSN_NS1_7vsmem_tEENKUlT_SL_SM_SN_E_clIS8_S8_S9_S9_EESK_S10_SL_SM_SN_EUlS10_E_NS1_11comp_targetILNS1_3genE10ELNS1_11target_archE1201ELNS1_3gpuE5ELNS1_3repE0EEENS1_48merge_mergepath_partition_config_static_selectorELNS0_4arch9wavefront6targetE0EEEvSM_.kd
    .uniform_work_group_size: 1
    .uses_dynamic_stack: false
    .vgpr_count:     0
    .vgpr_spill_count: 0
    .wavefront_size: 32
  - .args:
      - .offset:         0
        .size:           56
        .value_kind:     by_value
    .group_segment_fixed_size: 0
    .kernarg_segment_align: 8
    .kernarg_segment_size: 56
    .language:       OpenCL C
    .language_version:
      - 2
      - 0
    .max_flat_workgroup_size: 128
    .name:           _ZN7rocprim17ROCPRIM_400000_NS6detail17trampoline_kernelINS0_14default_configENS1_38merge_sort_block_merge_config_selectorIlNS0_10empty_typeEEEZZNS1_27merge_sort_block_merge_implIS3_PlPS5_mZN2at6native12_GLOBAL__N_124unique_dim_cuda_templateImEESt5tupleIJNSA_6TensorESF_SF_EERKSF_lbbbEUlllE_EE10hipError_tT0_T1_T2_jT3_P12ihipStream_tbPNSt15iterator_traitsISL_E10value_typeEPNSR_ISM_E10value_typeEPSN_NS1_7vsmem_tEENKUlT_SL_SM_SN_E_clIS8_S8_S9_S9_EESK_S10_SL_SM_SN_EUlS10_E_NS1_11comp_targetILNS1_3genE5ELNS1_11target_archE942ELNS1_3gpuE9ELNS1_3repE0EEENS1_48merge_mergepath_partition_config_static_selectorELNS0_4arch9wavefront6targetE0EEEvSM_
    .private_segment_fixed_size: 0
    .sgpr_count:     0
    .sgpr_spill_count: 0
    .symbol:         _ZN7rocprim17ROCPRIM_400000_NS6detail17trampoline_kernelINS0_14default_configENS1_38merge_sort_block_merge_config_selectorIlNS0_10empty_typeEEEZZNS1_27merge_sort_block_merge_implIS3_PlPS5_mZN2at6native12_GLOBAL__N_124unique_dim_cuda_templateImEESt5tupleIJNSA_6TensorESF_SF_EERKSF_lbbbEUlllE_EE10hipError_tT0_T1_T2_jT3_P12ihipStream_tbPNSt15iterator_traitsISL_E10value_typeEPNSR_ISM_E10value_typeEPSN_NS1_7vsmem_tEENKUlT_SL_SM_SN_E_clIS8_S8_S9_S9_EESK_S10_SL_SM_SN_EUlS10_E_NS1_11comp_targetILNS1_3genE5ELNS1_11target_archE942ELNS1_3gpuE9ELNS1_3repE0EEENS1_48merge_mergepath_partition_config_static_selectorELNS0_4arch9wavefront6targetE0EEEvSM_.kd
    .uniform_work_group_size: 1
    .uses_dynamic_stack: false
    .vgpr_count:     0
    .vgpr_spill_count: 0
    .wavefront_size: 32
  - .args:
      - .offset:         0
        .size:           56
        .value_kind:     by_value
    .group_segment_fixed_size: 0
    .kernarg_segment_align: 8
    .kernarg_segment_size: 56
    .language:       OpenCL C
    .language_version:
      - 2
      - 0
    .max_flat_workgroup_size: 128
    .name:           _ZN7rocprim17ROCPRIM_400000_NS6detail17trampoline_kernelINS0_14default_configENS1_38merge_sort_block_merge_config_selectorIlNS0_10empty_typeEEEZZNS1_27merge_sort_block_merge_implIS3_PlPS5_mZN2at6native12_GLOBAL__N_124unique_dim_cuda_templateImEESt5tupleIJNSA_6TensorESF_SF_EERKSF_lbbbEUlllE_EE10hipError_tT0_T1_T2_jT3_P12ihipStream_tbPNSt15iterator_traitsISL_E10value_typeEPNSR_ISM_E10value_typeEPSN_NS1_7vsmem_tEENKUlT_SL_SM_SN_E_clIS8_S8_S9_S9_EESK_S10_SL_SM_SN_EUlS10_E_NS1_11comp_targetILNS1_3genE4ELNS1_11target_archE910ELNS1_3gpuE8ELNS1_3repE0EEENS1_48merge_mergepath_partition_config_static_selectorELNS0_4arch9wavefront6targetE0EEEvSM_
    .private_segment_fixed_size: 0
    .sgpr_count:     0
    .sgpr_spill_count: 0
    .symbol:         _ZN7rocprim17ROCPRIM_400000_NS6detail17trampoline_kernelINS0_14default_configENS1_38merge_sort_block_merge_config_selectorIlNS0_10empty_typeEEEZZNS1_27merge_sort_block_merge_implIS3_PlPS5_mZN2at6native12_GLOBAL__N_124unique_dim_cuda_templateImEESt5tupleIJNSA_6TensorESF_SF_EERKSF_lbbbEUlllE_EE10hipError_tT0_T1_T2_jT3_P12ihipStream_tbPNSt15iterator_traitsISL_E10value_typeEPNSR_ISM_E10value_typeEPSN_NS1_7vsmem_tEENKUlT_SL_SM_SN_E_clIS8_S8_S9_S9_EESK_S10_SL_SM_SN_EUlS10_E_NS1_11comp_targetILNS1_3genE4ELNS1_11target_archE910ELNS1_3gpuE8ELNS1_3repE0EEENS1_48merge_mergepath_partition_config_static_selectorELNS0_4arch9wavefront6targetE0EEEvSM_.kd
    .uniform_work_group_size: 1
    .uses_dynamic_stack: false
    .vgpr_count:     0
    .vgpr_spill_count: 0
    .wavefront_size: 32
  - .args:
      - .offset:         0
        .size:           56
        .value_kind:     by_value
    .group_segment_fixed_size: 0
    .kernarg_segment_align: 8
    .kernarg_segment_size: 56
    .language:       OpenCL C
    .language_version:
      - 2
      - 0
    .max_flat_workgroup_size: 128
    .name:           _ZN7rocprim17ROCPRIM_400000_NS6detail17trampoline_kernelINS0_14default_configENS1_38merge_sort_block_merge_config_selectorIlNS0_10empty_typeEEEZZNS1_27merge_sort_block_merge_implIS3_PlPS5_mZN2at6native12_GLOBAL__N_124unique_dim_cuda_templateImEESt5tupleIJNSA_6TensorESF_SF_EERKSF_lbbbEUlllE_EE10hipError_tT0_T1_T2_jT3_P12ihipStream_tbPNSt15iterator_traitsISL_E10value_typeEPNSR_ISM_E10value_typeEPSN_NS1_7vsmem_tEENKUlT_SL_SM_SN_E_clIS8_S8_S9_S9_EESK_S10_SL_SM_SN_EUlS10_E_NS1_11comp_targetILNS1_3genE3ELNS1_11target_archE908ELNS1_3gpuE7ELNS1_3repE0EEENS1_48merge_mergepath_partition_config_static_selectorELNS0_4arch9wavefront6targetE0EEEvSM_
    .private_segment_fixed_size: 0
    .sgpr_count:     0
    .sgpr_spill_count: 0
    .symbol:         _ZN7rocprim17ROCPRIM_400000_NS6detail17trampoline_kernelINS0_14default_configENS1_38merge_sort_block_merge_config_selectorIlNS0_10empty_typeEEEZZNS1_27merge_sort_block_merge_implIS3_PlPS5_mZN2at6native12_GLOBAL__N_124unique_dim_cuda_templateImEESt5tupleIJNSA_6TensorESF_SF_EERKSF_lbbbEUlllE_EE10hipError_tT0_T1_T2_jT3_P12ihipStream_tbPNSt15iterator_traitsISL_E10value_typeEPNSR_ISM_E10value_typeEPSN_NS1_7vsmem_tEENKUlT_SL_SM_SN_E_clIS8_S8_S9_S9_EESK_S10_SL_SM_SN_EUlS10_E_NS1_11comp_targetILNS1_3genE3ELNS1_11target_archE908ELNS1_3gpuE7ELNS1_3repE0EEENS1_48merge_mergepath_partition_config_static_selectorELNS0_4arch9wavefront6targetE0EEEvSM_.kd
    .uniform_work_group_size: 1
    .uses_dynamic_stack: false
    .vgpr_count:     0
    .vgpr_spill_count: 0
    .wavefront_size: 32
  - .args:
      - .offset:         0
        .size:           56
        .value_kind:     by_value
    .group_segment_fixed_size: 0
    .kernarg_segment_align: 8
    .kernarg_segment_size: 56
    .language:       OpenCL C
    .language_version:
      - 2
      - 0
    .max_flat_workgroup_size: 128
    .name:           _ZN7rocprim17ROCPRIM_400000_NS6detail17trampoline_kernelINS0_14default_configENS1_38merge_sort_block_merge_config_selectorIlNS0_10empty_typeEEEZZNS1_27merge_sort_block_merge_implIS3_PlPS5_mZN2at6native12_GLOBAL__N_124unique_dim_cuda_templateImEESt5tupleIJNSA_6TensorESF_SF_EERKSF_lbbbEUlllE_EE10hipError_tT0_T1_T2_jT3_P12ihipStream_tbPNSt15iterator_traitsISL_E10value_typeEPNSR_ISM_E10value_typeEPSN_NS1_7vsmem_tEENKUlT_SL_SM_SN_E_clIS8_S8_S9_S9_EESK_S10_SL_SM_SN_EUlS10_E_NS1_11comp_targetILNS1_3genE2ELNS1_11target_archE906ELNS1_3gpuE6ELNS1_3repE0EEENS1_48merge_mergepath_partition_config_static_selectorELNS0_4arch9wavefront6targetE0EEEvSM_
    .private_segment_fixed_size: 0
    .sgpr_count:     0
    .sgpr_spill_count: 0
    .symbol:         _ZN7rocprim17ROCPRIM_400000_NS6detail17trampoline_kernelINS0_14default_configENS1_38merge_sort_block_merge_config_selectorIlNS0_10empty_typeEEEZZNS1_27merge_sort_block_merge_implIS3_PlPS5_mZN2at6native12_GLOBAL__N_124unique_dim_cuda_templateImEESt5tupleIJNSA_6TensorESF_SF_EERKSF_lbbbEUlllE_EE10hipError_tT0_T1_T2_jT3_P12ihipStream_tbPNSt15iterator_traitsISL_E10value_typeEPNSR_ISM_E10value_typeEPSN_NS1_7vsmem_tEENKUlT_SL_SM_SN_E_clIS8_S8_S9_S9_EESK_S10_SL_SM_SN_EUlS10_E_NS1_11comp_targetILNS1_3genE2ELNS1_11target_archE906ELNS1_3gpuE6ELNS1_3repE0EEENS1_48merge_mergepath_partition_config_static_selectorELNS0_4arch9wavefront6targetE0EEEvSM_.kd
    .uniform_work_group_size: 1
    .uses_dynamic_stack: false
    .vgpr_count:     0
    .vgpr_spill_count: 0
    .wavefront_size: 32
  - .args:
      - .offset:         0
        .size:           56
        .value_kind:     by_value
    .group_segment_fixed_size: 0
    .kernarg_segment_align: 8
    .kernarg_segment_size: 56
    .language:       OpenCL C
    .language_version:
      - 2
      - 0
    .max_flat_workgroup_size: 128
    .name:           _ZN7rocprim17ROCPRIM_400000_NS6detail17trampoline_kernelINS0_14default_configENS1_38merge_sort_block_merge_config_selectorIlNS0_10empty_typeEEEZZNS1_27merge_sort_block_merge_implIS3_PlPS5_mZN2at6native12_GLOBAL__N_124unique_dim_cuda_templateImEESt5tupleIJNSA_6TensorESF_SF_EERKSF_lbbbEUlllE_EE10hipError_tT0_T1_T2_jT3_P12ihipStream_tbPNSt15iterator_traitsISL_E10value_typeEPNSR_ISM_E10value_typeEPSN_NS1_7vsmem_tEENKUlT_SL_SM_SN_E_clIS8_S8_S9_S9_EESK_S10_SL_SM_SN_EUlS10_E_NS1_11comp_targetILNS1_3genE9ELNS1_11target_archE1100ELNS1_3gpuE3ELNS1_3repE0EEENS1_48merge_mergepath_partition_config_static_selectorELNS0_4arch9wavefront6targetE0EEEvSM_
    .private_segment_fixed_size: 0
    .sgpr_count:     0
    .sgpr_spill_count: 0
    .symbol:         _ZN7rocprim17ROCPRIM_400000_NS6detail17trampoline_kernelINS0_14default_configENS1_38merge_sort_block_merge_config_selectorIlNS0_10empty_typeEEEZZNS1_27merge_sort_block_merge_implIS3_PlPS5_mZN2at6native12_GLOBAL__N_124unique_dim_cuda_templateImEESt5tupleIJNSA_6TensorESF_SF_EERKSF_lbbbEUlllE_EE10hipError_tT0_T1_T2_jT3_P12ihipStream_tbPNSt15iterator_traitsISL_E10value_typeEPNSR_ISM_E10value_typeEPSN_NS1_7vsmem_tEENKUlT_SL_SM_SN_E_clIS8_S8_S9_S9_EESK_S10_SL_SM_SN_EUlS10_E_NS1_11comp_targetILNS1_3genE9ELNS1_11target_archE1100ELNS1_3gpuE3ELNS1_3repE0EEENS1_48merge_mergepath_partition_config_static_selectorELNS0_4arch9wavefront6targetE0EEEvSM_.kd
    .uniform_work_group_size: 1
    .uses_dynamic_stack: false
    .vgpr_count:     0
    .vgpr_spill_count: 0
    .wavefront_size: 32
  - .args:
      - .offset:         0
        .size:           56
        .value_kind:     by_value
    .group_segment_fixed_size: 0
    .kernarg_segment_align: 8
    .kernarg_segment_size: 56
    .language:       OpenCL C
    .language_version:
      - 2
      - 0
    .max_flat_workgroup_size: 128
    .name:           _ZN7rocprim17ROCPRIM_400000_NS6detail17trampoline_kernelINS0_14default_configENS1_38merge_sort_block_merge_config_selectorIlNS0_10empty_typeEEEZZNS1_27merge_sort_block_merge_implIS3_PlPS5_mZN2at6native12_GLOBAL__N_124unique_dim_cuda_templateImEESt5tupleIJNSA_6TensorESF_SF_EERKSF_lbbbEUlllE_EE10hipError_tT0_T1_T2_jT3_P12ihipStream_tbPNSt15iterator_traitsISL_E10value_typeEPNSR_ISM_E10value_typeEPSN_NS1_7vsmem_tEENKUlT_SL_SM_SN_E_clIS8_S8_S9_S9_EESK_S10_SL_SM_SN_EUlS10_E_NS1_11comp_targetILNS1_3genE8ELNS1_11target_archE1030ELNS1_3gpuE2ELNS1_3repE0EEENS1_48merge_mergepath_partition_config_static_selectorELNS0_4arch9wavefront6targetE0EEEvSM_
    .private_segment_fixed_size: 0
    .sgpr_count:     0
    .sgpr_spill_count: 0
    .symbol:         _ZN7rocprim17ROCPRIM_400000_NS6detail17trampoline_kernelINS0_14default_configENS1_38merge_sort_block_merge_config_selectorIlNS0_10empty_typeEEEZZNS1_27merge_sort_block_merge_implIS3_PlPS5_mZN2at6native12_GLOBAL__N_124unique_dim_cuda_templateImEESt5tupleIJNSA_6TensorESF_SF_EERKSF_lbbbEUlllE_EE10hipError_tT0_T1_T2_jT3_P12ihipStream_tbPNSt15iterator_traitsISL_E10value_typeEPNSR_ISM_E10value_typeEPSN_NS1_7vsmem_tEENKUlT_SL_SM_SN_E_clIS8_S8_S9_S9_EESK_S10_SL_SM_SN_EUlS10_E_NS1_11comp_targetILNS1_3genE8ELNS1_11target_archE1030ELNS1_3gpuE2ELNS1_3repE0EEENS1_48merge_mergepath_partition_config_static_selectorELNS0_4arch9wavefront6targetE0EEEvSM_.kd
    .uniform_work_group_size: 1
    .uses_dynamic_stack: false
    .vgpr_count:     0
    .vgpr_spill_count: 0
    .wavefront_size: 32
  - .args:
      - .offset:         0
        .size:           88
        .value_kind:     by_value
      - .offset:         88
        .size:           4
        .value_kind:     hidden_block_count_x
      - .offset:         92
        .size:           4
        .value_kind:     hidden_block_count_y
      - .offset:         96
        .size:           4
        .value_kind:     hidden_block_count_z
      - .offset:         100
        .size:           2
        .value_kind:     hidden_group_size_x
      - .offset:         102
        .size:           2
        .value_kind:     hidden_group_size_y
      - .offset:         104
        .size:           2
        .value_kind:     hidden_group_size_z
      - .offset:         106
        .size:           2
        .value_kind:     hidden_remainder_x
      - .offset:         108
        .size:           2
        .value_kind:     hidden_remainder_y
      - .offset:         110
        .size:           2
        .value_kind:     hidden_remainder_z
      - .offset:         128
        .size:           8
        .value_kind:     hidden_global_offset_x
      - .offset:         136
        .size:           8
        .value_kind:     hidden_global_offset_y
      - .offset:         144
        .size:           8
        .value_kind:     hidden_global_offset_z
      - .offset:         152
        .size:           2
        .value_kind:     hidden_grid_dims
    .group_segment_fixed_size: 8448
    .kernarg_segment_align: 8
    .kernarg_segment_size: 344
    .language:       OpenCL C
    .language_version:
      - 2
      - 0
    .max_flat_workgroup_size: 128
    .name:           _ZN7rocprim17ROCPRIM_400000_NS6detail17trampoline_kernelINS0_14default_configENS1_38merge_sort_block_merge_config_selectorIlNS0_10empty_typeEEEZZNS1_27merge_sort_block_merge_implIS3_PlPS5_mZN2at6native12_GLOBAL__N_124unique_dim_cuda_templateImEESt5tupleIJNSA_6TensorESF_SF_EERKSF_lbbbEUlllE_EE10hipError_tT0_T1_T2_jT3_P12ihipStream_tbPNSt15iterator_traitsISL_E10value_typeEPNSR_ISM_E10value_typeEPSN_NS1_7vsmem_tEENKUlT_SL_SM_SN_E_clIS8_S8_S9_S9_EESK_S10_SL_SM_SN_EUlS10_E0_NS1_11comp_targetILNS1_3genE0ELNS1_11target_archE4294967295ELNS1_3gpuE0ELNS1_3repE0EEENS1_38merge_mergepath_config_static_selectorELNS0_4arch9wavefront6targetE0EEEvSM_
    .private_segment_fixed_size: 0
    .sgpr_count:     33
    .sgpr_spill_count: 0
    .symbol:         _ZN7rocprim17ROCPRIM_400000_NS6detail17trampoline_kernelINS0_14default_configENS1_38merge_sort_block_merge_config_selectorIlNS0_10empty_typeEEEZZNS1_27merge_sort_block_merge_implIS3_PlPS5_mZN2at6native12_GLOBAL__N_124unique_dim_cuda_templateImEESt5tupleIJNSA_6TensorESF_SF_EERKSF_lbbbEUlllE_EE10hipError_tT0_T1_T2_jT3_P12ihipStream_tbPNSt15iterator_traitsISL_E10value_typeEPNSR_ISM_E10value_typeEPSN_NS1_7vsmem_tEENKUlT_SL_SM_SN_E_clIS8_S8_S9_S9_EESK_S10_SL_SM_SN_EUlS10_E0_NS1_11comp_targetILNS1_3genE0ELNS1_11target_archE4294967295ELNS1_3gpuE0ELNS1_3repE0EEENS1_38merge_mergepath_config_static_selectorELNS0_4arch9wavefront6targetE0EEEvSM_.kd
    .uniform_work_group_size: 1
    .uses_dynamic_stack: false
    .vgpr_count:     42
    .vgpr_spill_count: 0
    .wavefront_size: 32
  - .args:
      - .offset:         0
        .size:           88
        .value_kind:     by_value
    .group_segment_fixed_size: 0
    .kernarg_segment_align: 8
    .kernarg_segment_size: 88
    .language:       OpenCL C
    .language_version:
      - 2
      - 0
    .max_flat_workgroup_size: 512
    .name:           _ZN7rocprim17ROCPRIM_400000_NS6detail17trampoline_kernelINS0_14default_configENS1_38merge_sort_block_merge_config_selectorIlNS0_10empty_typeEEEZZNS1_27merge_sort_block_merge_implIS3_PlPS5_mZN2at6native12_GLOBAL__N_124unique_dim_cuda_templateImEESt5tupleIJNSA_6TensorESF_SF_EERKSF_lbbbEUlllE_EE10hipError_tT0_T1_T2_jT3_P12ihipStream_tbPNSt15iterator_traitsISL_E10value_typeEPNSR_ISM_E10value_typeEPSN_NS1_7vsmem_tEENKUlT_SL_SM_SN_E_clIS8_S8_S9_S9_EESK_S10_SL_SM_SN_EUlS10_E0_NS1_11comp_targetILNS1_3genE10ELNS1_11target_archE1201ELNS1_3gpuE5ELNS1_3repE0EEENS1_38merge_mergepath_config_static_selectorELNS0_4arch9wavefront6targetE0EEEvSM_
    .private_segment_fixed_size: 0
    .sgpr_count:     0
    .sgpr_spill_count: 0
    .symbol:         _ZN7rocprim17ROCPRIM_400000_NS6detail17trampoline_kernelINS0_14default_configENS1_38merge_sort_block_merge_config_selectorIlNS0_10empty_typeEEEZZNS1_27merge_sort_block_merge_implIS3_PlPS5_mZN2at6native12_GLOBAL__N_124unique_dim_cuda_templateImEESt5tupleIJNSA_6TensorESF_SF_EERKSF_lbbbEUlllE_EE10hipError_tT0_T1_T2_jT3_P12ihipStream_tbPNSt15iterator_traitsISL_E10value_typeEPNSR_ISM_E10value_typeEPSN_NS1_7vsmem_tEENKUlT_SL_SM_SN_E_clIS8_S8_S9_S9_EESK_S10_SL_SM_SN_EUlS10_E0_NS1_11comp_targetILNS1_3genE10ELNS1_11target_archE1201ELNS1_3gpuE5ELNS1_3repE0EEENS1_38merge_mergepath_config_static_selectorELNS0_4arch9wavefront6targetE0EEEvSM_.kd
    .uniform_work_group_size: 1
    .uses_dynamic_stack: false
    .vgpr_count:     0
    .vgpr_spill_count: 0
    .wavefront_size: 32
  - .args:
      - .offset:         0
        .size:           88
        .value_kind:     by_value
    .group_segment_fixed_size: 0
    .kernarg_segment_align: 8
    .kernarg_segment_size: 88
    .language:       OpenCL C
    .language_version:
      - 2
      - 0
    .max_flat_workgroup_size: 128
    .name:           _ZN7rocprim17ROCPRIM_400000_NS6detail17trampoline_kernelINS0_14default_configENS1_38merge_sort_block_merge_config_selectorIlNS0_10empty_typeEEEZZNS1_27merge_sort_block_merge_implIS3_PlPS5_mZN2at6native12_GLOBAL__N_124unique_dim_cuda_templateImEESt5tupleIJNSA_6TensorESF_SF_EERKSF_lbbbEUlllE_EE10hipError_tT0_T1_T2_jT3_P12ihipStream_tbPNSt15iterator_traitsISL_E10value_typeEPNSR_ISM_E10value_typeEPSN_NS1_7vsmem_tEENKUlT_SL_SM_SN_E_clIS8_S8_S9_S9_EESK_S10_SL_SM_SN_EUlS10_E0_NS1_11comp_targetILNS1_3genE5ELNS1_11target_archE942ELNS1_3gpuE9ELNS1_3repE0EEENS1_38merge_mergepath_config_static_selectorELNS0_4arch9wavefront6targetE0EEEvSM_
    .private_segment_fixed_size: 0
    .sgpr_count:     0
    .sgpr_spill_count: 0
    .symbol:         _ZN7rocprim17ROCPRIM_400000_NS6detail17trampoline_kernelINS0_14default_configENS1_38merge_sort_block_merge_config_selectorIlNS0_10empty_typeEEEZZNS1_27merge_sort_block_merge_implIS3_PlPS5_mZN2at6native12_GLOBAL__N_124unique_dim_cuda_templateImEESt5tupleIJNSA_6TensorESF_SF_EERKSF_lbbbEUlllE_EE10hipError_tT0_T1_T2_jT3_P12ihipStream_tbPNSt15iterator_traitsISL_E10value_typeEPNSR_ISM_E10value_typeEPSN_NS1_7vsmem_tEENKUlT_SL_SM_SN_E_clIS8_S8_S9_S9_EESK_S10_SL_SM_SN_EUlS10_E0_NS1_11comp_targetILNS1_3genE5ELNS1_11target_archE942ELNS1_3gpuE9ELNS1_3repE0EEENS1_38merge_mergepath_config_static_selectorELNS0_4arch9wavefront6targetE0EEEvSM_.kd
    .uniform_work_group_size: 1
    .uses_dynamic_stack: false
    .vgpr_count:     0
    .vgpr_spill_count: 0
    .wavefront_size: 32
  - .args:
      - .offset:         0
        .size:           88
        .value_kind:     by_value
    .group_segment_fixed_size: 0
    .kernarg_segment_align: 8
    .kernarg_segment_size: 88
    .language:       OpenCL C
    .language_version:
      - 2
      - 0
    .max_flat_workgroup_size: 256
    .name:           _ZN7rocprim17ROCPRIM_400000_NS6detail17trampoline_kernelINS0_14default_configENS1_38merge_sort_block_merge_config_selectorIlNS0_10empty_typeEEEZZNS1_27merge_sort_block_merge_implIS3_PlPS5_mZN2at6native12_GLOBAL__N_124unique_dim_cuda_templateImEESt5tupleIJNSA_6TensorESF_SF_EERKSF_lbbbEUlllE_EE10hipError_tT0_T1_T2_jT3_P12ihipStream_tbPNSt15iterator_traitsISL_E10value_typeEPNSR_ISM_E10value_typeEPSN_NS1_7vsmem_tEENKUlT_SL_SM_SN_E_clIS8_S8_S9_S9_EESK_S10_SL_SM_SN_EUlS10_E0_NS1_11comp_targetILNS1_3genE4ELNS1_11target_archE910ELNS1_3gpuE8ELNS1_3repE0EEENS1_38merge_mergepath_config_static_selectorELNS0_4arch9wavefront6targetE0EEEvSM_
    .private_segment_fixed_size: 0
    .sgpr_count:     0
    .sgpr_spill_count: 0
    .symbol:         _ZN7rocprim17ROCPRIM_400000_NS6detail17trampoline_kernelINS0_14default_configENS1_38merge_sort_block_merge_config_selectorIlNS0_10empty_typeEEEZZNS1_27merge_sort_block_merge_implIS3_PlPS5_mZN2at6native12_GLOBAL__N_124unique_dim_cuda_templateImEESt5tupleIJNSA_6TensorESF_SF_EERKSF_lbbbEUlllE_EE10hipError_tT0_T1_T2_jT3_P12ihipStream_tbPNSt15iterator_traitsISL_E10value_typeEPNSR_ISM_E10value_typeEPSN_NS1_7vsmem_tEENKUlT_SL_SM_SN_E_clIS8_S8_S9_S9_EESK_S10_SL_SM_SN_EUlS10_E0_NS1_11comp_targetILNS1_3genE4ELNS1_11target_archE910ELNS1_3gpuE8ELNS1_3repE0EEENS1_38merge_mergepath_config_static_selectorELNS0_4arch9wavefront6targetE0EEEvSM_.kd
    .uniform_work_group_size: 1
    .uses_dynamic_stack: false
    .vgpr_count:     0
    .vgpr_spill_count: 0
    .wavefront_size: 32
  - .args:
      - .offset:         0
        .size:           88
        .value_kind:     by_value
    .group_segment_fixed_size: 0
    .kernarg_segment_align: 8
    .kernarg_segment_size: 88
    .language:       OpenCL C
    .language_version:
      - 2
      - 0
    .max_flat_workgroup_size: 128
    .name:           _ZN7rocprim17ROCPRIM_400000_NS6detail17trampoline_kernelINS0_14default_configENS1_38merge_sort_block_merge_config_selectorIlNS0_10empty_typeEEEZZNS1_27merge_sort_block_merge_implIS3_PlPS5_mZN2at6native12_GLOBAL__N_124unique_dim_cuda_templateImEESt5tupleIJNSA_6TensorESF_SF_EERKSF_lbbbEUlllE_EE10hipError_tT0_T1_T2_jT3_P12ihipStream_tbPNSt15iterator_traitsISL_E10value_typeEPNSR_ISM_E10value_typeEPSN_NS1_7vsmem_tEENKUlT_SL_SM_SN_E_clIS8_S8_S9_S9_EESK_S10_SL_SM_SN_EUlS10_E0_NS1_11comp_targetILNS1_3genE3ELNS1_11target_archE908ELNS1_3gpuE7ELNS1_3repE0EEENS1_38merge_mergepath_config_static_selectorELNS0_4arch9wavefront6targetE0EEEvSM_
    .private_segment_fixed_size: 0
    .sgpr_count:     0
    .sgpr_spill_count: 0
    .symbol:         _ZN7rocprim17ROCPRIM_400000_NS6detail17trampoline_kernelINS0_14default_configENS1_38merge_sort_block_merge_config_selectorIlNS0_10empty_typeEEEZZNS1_27merge_sort_block_merge_implIS3_PlPS5_mZN2at6native12_GLOBAL__N_124unique_dim_cuda_templateImEESt5tupleIJNSA_6TensorESF_SF_EERKSF_lbbbEUlllE_EE10hipError_tT0_T1_T2_jT3_P12ihipStream_tbPNSt15iterator_traitsISL_E10value_typeEPNSR_ISM_E10value_typeEPSN_NS1_7vsmem_tEENKUlT_SL_SM_SN_E_clIS8_S8_S9_S9_EESK_S10_SL_SM_SN_EUlS10_E0_NS1_11comp_targetILNS1_3genE3ELNS1_11target_archE908ELNS1_3gpuE7ELNS1_3repE0EEENS1_38merge_mergepath_config_static_selectorELNS0_4arch9wavefront6targetE0EEEvSM_.kd
    .uniform_work_group_size: 1
    .uses_dynamic_stack: false
    .vgpr_count:     0
    .vgpr_spill_count: 0
    .wavefront_size: 32
  - .args:
      - .offset:         0
        .size:           88
        .value_kind:     by_value
    .group_segment_fixed_size: 0
    .kernarg_segment_align: 8
    .kernarg_segment_size: 88
    .language:       OpenCL C
    .language_version:
      - 2
      - 0
    .max_flat_workgroup_size: 256
    .name:           _ZN7rocprim17ROCPRIM_400000_NS6detail17trampoline_kernelINS0_14default_configENS1_38merge_sort_block_merge_config_selectorIlNS0_10empty_typeEEEZZNS1_27merge_sort_block_merge_implIS3_PlPS5_mZN2at6native12_GLOBAL__N_124unique_dim_cuda_templateImEESt5tupleIJNSA_6TensorESF_SF_EERKSF_lbbbEUlllE_EE10hipError_tT0_T1_T2_jT3_P12ihipStream_tbPNSt15iterator_traitsISL_E10value_typeEPNSR_ISM_E10value_typeEPSN_NS1_7vsmem_tEENKUlT_SL_SM_SN_E_clIS8_S8_S9_S9_EESK_S10_SL_SM_SN_EUlS10_E0_NS1_11comp_targetILNS1_3genE2ELNS1_11target_archE906ELNS1_3gpuE6ELNS1_3repE0EEENS1_38merge_mergepath_config_static_selectorELNS0_4arch9wavefront6targetE0EEEvSM_
    .private_segment_fixed_size: 0
    .sgpr_count:     0
    .sgpr_spill_count: 0
    .symbol:         _ZN7rocprim17ROCPRIM_400000_NS6detail17trampoline_kernelINS0_14default_configENS1_38merge_sort_block_merge_config_selectorIlNS0_10empty_typeEEEZZNS1_27merge_sort_block_merge_implIS3_PlPS5_mZN2at6native12_GLOBAL__N_124unique_dim_cuda_templateImEESt5tupleIJNSA_6TensorESF_SF_EERKSF_lbbbEUlllE_EE10hipError_tT0_T1_T2_jT3_P12ihipStream_tbPNSt15iterator_traitsISL_E10value_typeEPNSR_ISM_E10value_typeEPSN_NS1_7vsmem_tEENKUlT_SL_SM_SN_E_clIS8_S8_S9_S9_EESK_S10_SL_SM_SN_EUlS10_E0_NS1_11comp_targetILNS1_3genE2ELNS1_11target_archE906ELNS1_3gpuE6ELNS1_3repE0EEENS1_38merge_mergepath_config_static_selectorELNS0_4arch9wavefront6targetE0EEEvSM_.kd
    .uniform_work_group_size: 1
    .uses_dynamic_stack: false
    .vgpr_count:     0
    .vgpr_spill_count: 0
    .wavefront_size: 32
  - .args:
      - .offset:         0
        .size:           88
        .value_kind:     by_value
    .group_segment_fixed_size: 0
    .kernarg_segment_align: 8
    .kernarg_segment_size: 88
    .language:       OpenCL C
    .language_version:
      - 2
      - 0
    .max_flat_workgroup_size: 512
    .name:           _ZN7rocprim17ROCPRIM_400000_NS6detail17trampoline_kernelINS0_14default_configENS1_38merge_sort_block_merge_config_selectorIlNS0_10empty_typeEEEZZNS1_27merge_sort_block_merge_implIS3_PlPS5_mZN2at6native12_GLOBAL__N_124unique_dim_cuda_templateImEESt5tupleIJNSA_6TensorESF_SF_EERKSF_lbbbEUlllE_EE10hipError_tT0_T1_T2_jT3_P12ihipStream_tbPNSt15iterator_traitsISL_E10value_typeEPNSR_ISM_E10value_typeEPSN_NS1_7vsmem_tEENKUlT_SL_SM_SN_E_clIS8_S8_S9_S9_EESK_S10_SL_SM_SN_EUlS10_E0_NS1_11comp_targetILNS1_3genE9ELNS1_11target_archE1100ELNS1_3gpuE3ELNS1_3repE0EEENS1_38merge_mergepath_config_static_selectorELNS0_4arch9wavefront6targetE0EEEvSM_
    .private_segment_fixed_size: 0
    .sgpr_count:     0
    .sgpr_spill_count: 0
    .symbol:         _ZN7rocprim17ROCPRIM_400000_NS6detail17trampoline_kernelINS0_14default_configENS1_38merge_sort_block_merge_config_selectorIlNS0_10empty_typeEEEZZNS1_27merge_sort_block_merge_implIS3_PlPS5_mZN2at6native12_GLOBAL__N_124unique_dim_cuda_templateImEESt5tupleIJNSA_6TensorESF_SF_EERKSF_lbbbEUlllE_EE10hipError_tT0_T1_T2_jT3_P12ihipStream_tbPNSt15iterator_traitsISL_E10value_typeEPNSR_ISM_E10value_typeEPSN_NS1_7vsmem_tEENKUlT_SL_SM_SN_E_clIS8_S8_S9_S9_EESK_S10_SL_SM_SN_EUlS10_E0_NS1_11comp_targetILNS1_3genE9ELNS1_11target_archE1100ELNS1_3gpuE3ELNS1_3repE0EEENS1_38merge_mergepath_config_static_selectorELNS0_4arch9wavefront6targetE0EEEvSM_.kd
    .uniform_work_group_size: 1
    .uses_dynamic_stack: false
    .vgpr_count:     0
    .vgpr_spill_count: 0
    .wavefront_size: 32
  - .args:
      - .offset:         0
        .size:           88
        .value_kind:     by_value
    .group_segment_fixed_size: 0
    .kernarg_segment_align: 8
    .kernarg_segment_size: 88
    .language:       OpenCL C
    .language_version:
      - 2
      - 0
    .max_flat_workgroup_size: 1024
    .name:           _ZN7rocprim17ROCPRIM_400000_NS6detail17trampoline_kernelINS0_14default_configENS1_38merge_sort_block_merge_config_selectorIlNS0_10empty_typeEEEZZNS1_27merge_sort_block_merge_implIS3_PlPS5_mZN2at6native12_GLOBAL__N_124unique_dim_cuda_templateImEESt5tupleIJNSA_6TensorESF_SF_EERKSF_lbbbEUlllE_EE10hipError_tT0_T1_T2_jT3_P12ihipStream_tbPNSt15iterator_traitsISL_E10value_typeEPNSR_ISM_E10value_typeEPSN_NS1_7vsmem_tEENKUlT_SL_SM_SN_E_clIS8_S8_S9_S9_EESK_S10_SL_SM_SN_EUlS10_E0_NS1_11comp_targetILNS1_3genE8ELNS1_11target_archE1030ELNS1_3gpuE2ELNS1_3repE0EEENS1_38merge_mergepath_config_static_selectorELNS0_4arch9wavefront6targetE0EEEvSM_
    .private_segment_fixed_size: 0
    .sgpr_count:     0
    .sgpr_spill_count: 0
    .symbol:         _ZN7rocprim17ROCPRIM_400000_NS6detail17trampoline_kernelINS0_14default_configENS1_38merge_sort_block_merge_config_selectorIlNS0_10empty_typeEEEZZNS1_27merge_sort_block_merge_implIS3_PlPS5_mZN2at6native12_GLOBAL__N_124unique_dim_cuda_templateImEESt5tupleIJNSA_6TensorESF_SF_EERKSF_lbbbEUlllE_EE10hipError_tT0_T1_T2_jT3_P12ihipStream_tbPNSt15iterator_traitsISL_E10value_typeEPNSR_ISM_E10value_typeEPSN_NS1_7vsmem_tEENKUlT_SL_SM_SN_E_clIS8_S8_S9_S9_EESK_S10_SL_SM_SN_EUlS10_E0_NS1_11comp_targetILNS1_3genE8ELNS1_11target_archE1030ELNS1_3gpuE2ELNS1_3repE0EEENS1_38merge_mergepath_config_static_selectorELNS0_4arch9wavefront6targetE0EEEvSM_.kd
    .uniform_work_group_size: 1
    .uses_dynamic_stack: false
    .vgpr_count:     0
    .vgpr_spill_count: 0
    .wavefront_size: 32
  - .args:
      - .offset:         0
        .size:           64
        .value_kind:     by_value
    .group_segment_fixed_size: 0
    .kernarg_segment_align: 8
    .kernarg_segment_size: 64
    .language:       OpenCL C
    .language_version:
      - 2
      - 0
    .max_flat_workgroup_size: 256
    .name:           _ZN7rocprim17ROCPRIM_400000_NS6detail17trampoline_kernelINS0_14default_configENS1_38merge_sort_block_merge_config_selectorIlNS0_10empty_typeEEEZZNS1_27merge_sort_block_merge_implIS3_PlPS5_mZN2at6native12_GLOBAL__N_124unique_dim_cuda_templateImEESt5tupleIJNSA_6TensorESF_SF_EERKSF_lbbbEUlllE_EE10hipError_tT0_T1_T2_jT3_P12ihipStream_tbPNSt15iterator_traitsISL_E10value_typeEPNSR_ISM_E10value_typeEPSN_NS1_7vsmem_tEENKUlT_SL_SM_SN_E_clIS8_S8_S9_S9_EESK_S10_SL_SM_SN_EUlS10_E1_NS1_11comp_targetILNS1_3genE0ELNS1_11target_archE4294967295ELNS1_3gpuE0ELNS1_3repE0EEENS1_36merge_oddeven_config_static_selectorELNS0_4arch9wavefront6targetE0EEEvSM_
    .private_segment_fixed_size: 0
    .sgpr_count:     29
    .sgpr_spill_count: 0
    .symbol:         _ZN7rocprim17ROCPRIM_400000_NS6detail17trampoline_kernelINS0_14default_configENS1_38merge_sort_block_merge_config_selectorIlNS0_10empty_typeEEEZZNS1_27merge_sort_block_merge_implIS3_PlPS5_mZN2at6native12_GLOBAL__N_124unique_dim_cuda_templateImEESt5tupleIJNSA_6TensorESF_SF_EERKSF_lbbbEUlllE_EE10hipError_tT0_T1_T2_jT3_P12ihipStream_tbPNSt15iterator_traitsISL_E10value_typeEPNSR_ISM_E10value_typeEPSN_NS1_7vsmem_tEENKUlT_SL_SM_SN_E_clIS8_S8_S9_S9_EESK_S10_SL_SM_SN_EUlS10_E1_NS1_11comp_targetILNS1_3genE0ELNS1_11target_archE4294967295ELNS1_3gpuE0ELNS1_3repE0EEENS1_36merge_oddeven_config_static_selectorELNS0_4arch9wavefront6targetE0EEEvSM_.kd
    .uniform_work_group_size: 1
    .uses_dynamic_stack: false
    .vgpr_count:     20
    .vgpr_spill_count: 0
    .wavefront_size: 32
  - .args:
      - .offset:         0
        .size:           64
        .value_kind:     by_value
    .group_segment_fixed_size: 0
    .kernarg_segment_align: 8
    .kernarg_segment_size: 64
    .language:       OpenCL C
    .language_version:
      - 2
      - 0
    .max_flat_workgroup_size: 256
    .name:           _ZN7rocprim17ROCPRIM_400000_NS6detail17trampoline_kernelINS0_14default_configENS1_38merge_sort_block_merge_config_selectorIlNS0_10empty_typeEEEZZNS1_27merge_sort_block_merge_implIS3_PlPS5_mZN2at6native12_GLOBAL__N_124unique_dim_cuda_templateImEESt5tupleIJNSA_6TensorESF_SF_EERKSF_lbbbEUlllE_EE10hipError_tT0_T1_T2_jT3_P12ihipStream_tbPNSt15iterator_traitsISL_E10value_typeEPNSR_ISM_E10value_typeEPSN_NS1_7vsmem_tEENKUlT_SL_SM_SN_E_clIS8_S8_S9_S9_EESK_S10_SL_SM_SN_EUlS10_E1_NS1_11comp_targetILNS1_3genE10ELNS1_11target_archE1201ELNS1_3gpuE5ELNS1_3repE0EEENS1_36merge_oddeven_config_static_selectorELNS0_4arch9wavefront6targetE0EEEvSM_
    .private_segment_fixed_size: 0
    .sgpr_count:     0
    .sgpr_spill_count: 0
    .symbol:         _ZN7rocprim17ROCPRIM_400000_NS6detail17trampoline_kernelINS0_14default_configENS1_38merge_sort_block_merge_config_selectorIlNS0_10empty_typeEEEZZNS1_27merge_sort_block_merge_implIS3_PlPS5_mZN2at6native12_GLOBAL__N_124unique_dim_cuda_templateImEESt5tupleIJNSA_6TensorESF_SF_EERKSF_lbbbEUlllE_EE10hipError_tT0_T1_T2_jT3_P12ihipStream_tbPNSt15iterator_traitsISL_E10value_typeEPNSR_ISM_E10value_typeEPSN_NS1_7vsmem_tEENKUlT_SL_SM_SN_E_clIS8_S8_S9_S9_EESK_S10_SL_SM_SN_EUlS10_E1_NS1_11comp_targetILNS1_3genE10ELNS1_11target_archE1201ELNS1_3gpuE5ELNS1_3repE0EEENS1_36merge_oddeven_config_static_selectorELNS0_4arch9wavefront6targetE0EEEvSM_.kd
    .uniform_work_group_size: 1
    .uses_dynamic_stack: false
    .vgpr_count:     0
    .vgpr_spill_count: 0
    .wavefront_size: 32
  - .args:
      - .offset:         0
        .size:           64
        .value_kind:     by_value
    .group_segment_fixed_size: 0
    .kernarg_segment_align: 8
    .kernarg_segment_size: 64
    .language:       OpenCL C
    .language_version:
      - 2
      - 0
    .max_flat_workgroup_size: 256
    .name:           _ZN7rocprim17ROCPRIM_400000_NS6detail17trampoline_kernelINS0_14default_configENS1_38merge_sort_block_merge_config_selectorIlNS0_10empty_typeEEEZZNS1_27merge_sort_block_merge_implIS3_PlPS5_mZN2at6native12_GLOBAL__N_124unique_dim_cuda_templateImEESt5tupleIJNSA_6TensorESF_SF_EERKSF_lbbbEUlllE_EE10hipError_tT0_T1_T2_jT3_P12ihipStream_tbPNSt15iterator_traitsISL_E10value_typeEPNSR_ISM_E10value_typeEPSN_NS1_7vsmem_tEENKUlT_SL_SM_SN_E_clIS8_S8_S9_S9_EESK_S10_SL_SM_SN_EUlS10_E1_NS1_11comp_targetILNS1_3genE5ELNS1_11target_archE942ELNS1_3gpuE9ELNS1_3repE0EEENS1_36merge_oddeven_config_static_selectorELNS0_4arch9wavefront6targetE0EEEvSM_
    .private_segment_fixed_size: 0
    .sgpr_count:     0
    .sgpr_spill_count: 0
    .symbol:         _ZN7rocprim17ROCPRIM_400000_NS6detail17trampoline_kernelINS0_14default_configENS1_38merge_sort_block_merge_config_selectorIlNS0_10empty_typeEEEZZNS1_27merge_sort_block_merge_implIS3_PlPS5_mZN2at6native12_GLOBAL__N_124unique_dim_cuda_templateImEESt5tupleIJNSA_6TensorESF_SF_EERKSF_lbbbEUlllE_EE10hipError_tT0_T1_T2_jT3_P12ihipStream_tbPNSt15iterator_traitsISL_E10value_typeEPNSR_ISM_E10value_typeEPSN_NS1_7vsmem_tEENKUlT_SL_SM_SN_E_clIS8_S8_S9_S9_EESK_S10_SL_SM_SN_EUlS10_E1_NS1_11comp_targetILNS1_3genE5ELNS1_11target_archE942ELNS1_3gpuE9ELNS1_3repE0EEENS1_36merge_oddeven_config_static_selectorELNS0_4arch9wavefront6targetE0EEEvSM_.kd
    .uniform_work_group_size: 1
    .uses_dynamic_stack: false
    .vgpr_count:     0
    .vgpr_spill_count: 0
    .wavefront_size: 32
  - .args:
      - .offset:         0
        .size:           64
        .value_kind:     by_value
    .group_segment_fixed_size: 0
    .kernarg_segment_align: 8
    .kernarg_segment_size: 64
    .language:       OpenCL C
    .language_version:
      - 2
      - 0
    .max_flat_workgroup_size: 256
    .name:           _ZN7rocprim17ROCPRIM_400000_NS6detail17trampoline_kernelINS0_14default_configENS1_38merge_sort_block_merge_config_selectorIlNS0_10empty_typeEEEZZNS1_27merge_sort_block_merge_implIS3_PlPS5_mZN2at6native12_GLOBAL__N_124unique_dim_cuda_templateImEESt5tupleIJNSA_6TensorESF_SF_EERKSF_lbbbEUlllE_EE10hipError_tT0_T1_T2_jT3_P12ihipStream_tbPNSt15iterator_traitsISL_E10value_typeEPNSR_ISM_E10value_typeEPSN_NS1_7vsmem_tEENKUlT_SL_SM_SN_E_clIS8_S8_S9_S9_EESK_S10_SL_SM_SN_EUlS10_E1_NS1_11comp_targetILNS1_3genE4ELNS1_11target_archE910ELNS1_3gpuE8ELNS1_3repE0EEENS1_36merge_oddeven_config_static_selectorELNS0_4arch9wavefront6targetE0EEEvSM_
    .private_segment_fixed_size: 0
    .sgpr_count:     0
    .sgpr_spill_count: 0
    .symbol:         _ZN7rocprim17ROCPRIM_400000_NS6detail17trampoline_kernelINS0_14default_configENS1_38merge_sort_block_merge_config_selectorIlNS0_10empty_typeEEEZZNS1_27merge_sort_block_merge_implIS3_PlPS5_mZN2at6native12_GLOBAL__N_124unique_dim_cuda_templateImEESt5tupleIJNSA_6TensorESF_SF_EERKSF_lbbbEUlllE_EE10hipError_tT0_T1_T2_jT3_P12ihipStream_tbPNSt15iterator_traitsISL_E10value_typeEPNSR_ISM_E10value_typeEPSN_NS1_7vsmem_tEENKUlT_SL_SM_SN_E_clIS8_S8_S9_S9_EESK_S10_SL_SM_SN_EUlS10_E1_NS1_11comp_targetILNS1_3genE4ELNS1_11target_archE910ELNS1_3gpuE8ELNS1_3repE0EEENS1_36merge_oddeven_config_static_selectorELNS0_4arch9wavefront6targetE0EEEvSM_.kd
    .uniform_work_group_size: 1
    .uses_dynamic_stack: false
    .vgpr_count:     0
    .vgpr_spill_count: 0
    .wavefront_size: 32
  - .args:
      - .offset:         0
        .size:           64
        .value_kind:     by_value
    .group_segment_fixed_size: 0
    .kernarg_segment_align: 8
    .kernarg_segment_size: 64
    .language:       OpenCL C
    .language_version:
      - 2
      - 0
    .max_flat_workgroup_size: 256
    .name:           _ZN7rocprim17ROCPRIM_400000_NS6detail17trampoline_kernelINS0_14default_configENS1_38merge_sort_block_merge_config_selectorIlNS0_10empty_typeEEEZZNS1_27merge_sort_block_merge_implIS3_PlPS5_mZN2at6native12_GLOBAL__N_124unique_dim_cuda_templateImEESt5tupleIJNSA_6TensorESF_SF_EERKSF_lbbbEUlllE_EE10hipError_tT0_T1_T2_jT3_P12ihipStream_tbPNSt15iterator_traitsISL_E10value_typeEPNSR_ISM_E10value_typeEPSN_NS1_7vsmem_tEENKUlT_SL_SM_SN_E_clIS8_S8_S9_S9_EESK_S10_SL_SM_SN_EUlS10_E1_NS1_11comp_targetILNS1_3genE3ELNS1_11target_archE908ELNS1_3gpuE7ELNS1_3repE0EEENS1_36merge_oddeven_config_static_selectorELNS0_4arch9wavefront6targetE0EEEvSM_
    .private_segment_fixed_size: 0
    .sgpr_count:     0
    .sgpr_spill_count: 0
    .symbol:         _ZN7rocprim17ROCPRIM_400000_NS6detail17trampoline_kernelINS0_14default_configENS1_38merge_sort_block_merge_config_selectorIlNS0_10empty_typeEEEZZNS1_27merge_sort_block_merge_implIS3_PlPS5_mZN2at6native12_GLOBAL__N_124unique_dim_cuda_templateImEESt5tupleIJNSA_6TensorESF_SF_EERKSF_lbbbEUlllE_EE10hipError_tT0_T1_T2_jT3_P12ihipStream_tbPNSt15iterator_traitsISL_E10value_typeEPNSR_ISM_E10value_typeEPSN_NS1_7vsmem_tEENKUlT_SL_SM_SN_E_clIS8_S8_S9_S9_EESK_S10_SL_SM_SN_EUlS10_E1_NS1_11comp_targetILNS1_3genE3ELNS1_11target_archE908ELNS1_3gpuE7ELNS1_3repE0EEENS1_36merge_oddeven_config_static_selectorELNS0_4arch9wavefront6targetE0EEEvSM_.kd
    .uniform_work_group_size: 1
    .uses_dynamic_stack: false
    .vgpr_count:     0
    .vgpr_spill_count: 0
    .wavefront_size: 32
  - .args:
      - .offset:         0
        .size:           64
        .value_kind:     by_value
    .group_segment_fixed_size: 0
    .kernarg_segment_align: 8
    .kernarg_segment_size: 64
    .language:       OpenCL C
    .language_version:
      - 2
      - 0
    .max_flat_workgroup_size: 256
    .name:           _ZN7rocprim17ROCPRIM_400000_NS6detail17trampoline_kernelINS0_14default_configENS1_38merge_sort_block_merge_config_selectorIlNS0_10empty_typeEEEZZNS1_27merge_sort_block_merge_implIS3_PlPS5_mZN2at6native12_GLOBAL__N_124unique_dim_cuda_templateImEESt5tupleIJNSA_6TensorESF_SF_EERKSF_lbbbEUlllE_EE10hipError_tT0_T1_T2_jT3_P12ihipStream_tbPNSt15iterator_traitsISL_E10value_typeEPNSR_ISM_E10value_typeEPSN_NS1_7vsmem_tEENKUlT_SL_SM_SN_E_clIS8_S8_S9_S9_EESK_S10_SL_SM_SN_EUlS10_E1_NS1_11comp_targetILNS1_3genE2ELNS1_11target_archE906ELNS1_3gpuE6ELNS1_3repE0EEENS1_36merge_oddeven_config_static_selectorELNS0_4arch9wavefront6targetE0EEEvSM_
    .private_segment_fixed_size: 0
    .sgpr_count:     0
    .sgpr_spill_count: 0
    .symbol:         _ZN7rocprim17ROCPRIM_400000_NS6detail17trampoline_kernelINS0_14default_configENS1_38merge_sort_block_merge_config_selectorIlNS0_10empty_typeEEEZZNS1_27merge_sort_block_merge_implIS3_PlPS5_mZN2at6native12_GLOBAL__N_124unique_dim_cuda_templateImEESt5tupleIJNSA_6TensorESF_SF_EERKSF_lbbbEUlllE_EE10hipError_tT0_T1_T2_jT3_P12ihipStream_tbPNSt15iterator_traitsISL_E10value_typeEPNSR_ISM_E10value_typeEPSN_NS1_7vsmem_tEENKUlT_SL_SM_SN_E_clIS8_S8_S9_S9_EESK_S10_SL_SM_SN_EUlS10_E1_NS1_11comp_targetILNS1_3genE2ELNS1_11target_archE906ELNS1_3gpuE6ELNS1_3repE0EEENS1_36merge_oddeven_config_static_selectorELNS0_4arch9wavefront6targetE0EEEvSM_.kd
    .uniform_work_group_size: 1
    .uses_dynamic_stack: false
    .vgpr_count:     0
    .vgpr_spill_count: 0
    .wavefront_size: 32
  - .args:
      - .offset:         0
        .size:           64
        .value_kind:     by_value
    .group_segment_fixed_size: 0
    .kernarg_segment_align: 8
    .kernarg_segment_size: 64
    .language:       OpenCL C
    .language_version:
      - 2
      - 0
    .max_flat_workgroup_size: 256
    .name:           _ZN7rocprim17ROCPRIM_400000_NS6detail17trampoline_kernelINS0_14default_configENS1_38merge_sort_block_merge_config_selectorIlNS0_10empty_typeEEEZZNS1_27merge_sort_block_merge_implIS3_PlPS5_mZN2at6native12_GLOBAL__N_124unique_dim_cuda_templateImEESt5tupleIJNSA_6TensorESF_SF_EERKSF_lbbbEUlllE_EE10hipError_tT0_T1_T2_jT3_P12ihipStream_tbPNSt15iterator_traitsISL_E10value_typeEPNSR_ISM_E10value_typeEPSN_NS1_7vsmem_tEENKUlT_SL_SM_SN_E_clIS8_S8_S9_S9_EESK_S10_SL_SM_SN_EUlS10_E1_NS1_11comp_targetILNS1_3genE9ELNS1_11target_archE1100ELNS1_3gpuE3ELNS1_3repE0EEENS1_36merge_oddeven_config_static_selectorELNS0_4arch9wavefront6targetE0EEEvSM_
    .private_segment_fixed_size: 0
    .sgpr_count:     0
    .sgpr_spill_count: 0
    .symbol:         _ZN7rocprim17ROCPRIM_400000_NS6detail17trampoline_kernelINS0_14default_configENS1_38merge_sort_block_merge_config_selectorIlNS0_10empty_typeEEEZZNS1_27merge_sort_block_merge_implIS3_PlPS5_mZN2at6native12_GLOBAL__N_124unique_dim_cuda_templateImEESt5tupleIJNSA_6TensorESF_SF_EERKSF_lbbbEUlllE_EE10hipError_tT0_T1_T2_jT3_P12ihipStream_tbPNSt15iterator_traitsISL_E10value_typeEPNSR_ISM_E10value_typeEPSN_NS1_7vsmem_tEENKUlT_SL_SM_SN_E_clIS8_S8_S9_S9_EESK_S10_SL_SM_SN_EUlS10_E1_NS1_11comp_targetILNS1_3genE9ELNS1_11target_archE1100ELNS1_3gpuE3ELNS1_3repE0EEENS1_36merge_oddeven_config_static_selectorELNS0_4arch9wavefront6targetE0EEEvSM_.kd
    .uniform_work_group_size: 1
    .uses_dynamic_stack: false
    .vgpr_count:     0
    .vgpr_spill_count: 0
    .wavefront_size: 32
  - .args:
      - .offset:         0
        .size:           64
        .value_kind:     by_value
    .group_segment_fixed_size: 0
    .kernarg_segment_align: 8
    .kernarg_segment_size: 64
    .language:       OpenCL C
    .language_version:
      - 2
      - 0
    .max_flat_workgroup_size: 256
    .name:           _ZN7rocprim17ROCPRIM_400000_NS6detail17trampoline_kernelINS0_14default_configENS1_38merge_sort_block_merge_config_selectorIlNS0_10empty_typeEEEZZNS1_27merge_sort_block_merge_implIS3_PlPS5_mZN2at6native12_GLOBAL__N_124unique_dim_cuda_templateImEESt5tupleIJNSA_6TensorESF_SF_EERKSF_lbbbEUlllE_EE10hipError_tT0_T1_T2_jT3_P12ihipStream_tbPNSt15iterator_traitsISL_E10value_typeEPNSR_ISM_E10value_typeEPSN_NS1_7vsmem_tEENKUlT_SL_SM_SN_E_clIS8_S8_S9_S9_EESK_S10_SL_SM_SN_EUlS10_E1_NS1_11comp_targetILNS1_3genE8ELNS1_11target_archE1030ELNS1_3gpuE2ELNS1_3repE0EEENS1_36merge_oddeven_config_static_selectorELNS0_4arch9wavefront6targetE0EEEvSM_
    .private_segment_fixed_size: 0
    .sgpr_count:     0
    .sgpr_spill_count: 0
    .symbol:         _ZN7rocprim17ROCPRIM_400000_NS6detail17trampoline_kernelINS0_14default_configENS1_38merge_sort_block_merge_config_selectorIlNS0_10empty_typeEEEZZNS1_27merge_sort_block_merge_implIS3_PlPS5_mZN2at6native12_GLOBAL__N_124unique_dim_cuda_templateImEESt5tupleIJNSA_6TensorESF_SF_EERKSF_lbbbEUlllE_EE10hipError_tT0_T1_T2_jT3_P12ihipStream_tbPNSt15iterator_traitsISL_E10value_typeEPNSR_ISM_E10value_typeEPSN_NS1_7vsmem_tEENKUlT_SL_SM_SN_E_clIS8_S8_S9_S9_EESK_S10_SL_SM_SN_EUlS10_E1_NS1_11comp_targetILNS1_3genE8ELNS1_11target_archE1030ELNS1_3gpuE2ELNS1_3repE0EEENS1_36merge_oddeven_config_static_selectorELNS0_4arch9wavefront6targetE0EEEvSM_.kd
    .uniform_work_group_size: 1
    .uses_dynamic_stack: false
    .vgpr_count:     0
    .vgpr_spill_count: 0
    .wavefront_size: 32
  - .args:
      - .offset:         0
        .size:           64
        .value_kind:     by_value
    .group_segment_fixed_size: 2048
    .kernarg_segment_align: 8
    .kernarg_segment_size: 64
    .language:       OpenCL C
    .language_version:
      - 2
      - 0
    .max_flat_workgroup_size: 128
    .name:           _ZN7rocprim17ROCPRIM_400000_NS6detail17trampoline_kernelINS0_14default_configENS1_35adjacent_difference_config_selectorILb0ElEEZNS1_24adjacent_difference_implIS3_Lb0ELb0EPlS7_ZN2at6native12_GLOBAL__N_124unique_dim_cuda_templateImEESt5tupleIJNS8_6TensorESD_SD_EERKSD_lbbbEUlllE1_EE10hipError_tPvRmT2_T3_mT4_P12ihipStream_tbEUlT_E_NS1_11comp_targetILNS1_3genE0ELNS1_11target_archE4294967295ELNS1_3gpuE0ELNS1_3repE0EEENS1_30default_config_static_selectorELNS0_4arch9wavefront6targetE0EEEvT1_
    .private_segment_fixed_size: 0
    .sgpr_count:     26
    .sgpr_spill_count: 0
    .symbol:         _ZN7rocprim17ROCPRIM_400000_NS6detail17trampoline_kernelINS0_14default_configENS1_35adjacent_difference_config_selectorILb0ElEEZNS1_24adjacent_difference_implIS3_Lb0ELb0EPlS7_ZN2at6native12_GLOBAL__N_124unique_dim_cuda_templateImEESt5tupleIJNS8_6TensorESD_SD_EERKSD_lbbbEUlllE1_EE10hipError_tPvRmT2_T3_mT4_P12ihipStream_tbEUlT_E_NS1_11comp_targetILNS1_3genE0ELNS1_11target_archE4294967295ELNS1_3gpuE0ELNS1_3repE0EEENS1_30default_config_static_selectorELNS0_4arch9wavefront6targetE0EEEvT1_.kd
    .uniform_work_group_size: 1
    .uses_dynamic_stack: false
    .vgpr_count:     12
    .vgpr_spill_count: 0
    .wavefront_size: 32
  - .args:
      - .offset:         0
        .size:           64
        .value_kind:     by_value
    .group_segment_fixed_size: 0
    .kernarg_segment_align: 8
    .kernarg_segment_size: 64
    .language:       OpenCL C
    .language_version:
      - 2
      - 0
    .max_flat_workgroup_size: 128
    .name:           _ZN7rocprim17ROCPRIM_400000_NS6detail17trampoline_kernelINS0_14default_configENS1_35adjacent_difference_config_selectorILb0ElEEZNS1_24adjacent_difference_implIS3_Lb0ELb0EPlS7_ZN2at6native12_GLOBAL__N_124unique_dim_cuda_templateImEESt5tupleIJNS8_6TensorESD_SD_EERKSD_lbbbEUlllE1_EE10hipError_tPvRmT2_T3_mT4_P12ihipStream_tbEUlT_E_NS1_11comp_targetILNS1_3genE10ELNS1_11target_archE1201ELNS1_3gpuE5ELNS1_3repE0EEENS1_30default_config_static_selectorELNS0_4arch9wavefront6targetE0EEEvT1_
    .private_segment_fixed_size: 0
    .sgpr_count:     0
    .sgpr_spill_count: 0
    .symbol:         _ZN7rocprim17ROCPRIM_400000_NS6detail17trampoline_kernelINS0_14default_configENS1_35adjacent_difference_config_selectorILb0ElEEZNS1_24adjacent_difference_implIS3_Lb0ELb0EPlS7_ZN2at6native12_GLOBAL__N_124unique_dim_cuda_templateImEESt5tupleIJNS8_6TensorESD_SD_EERKSD_lbbbEUlllE1_EE10hipError_tPvRmT2_T3_mT4_P12ihipStream_tbEUlT_E_NS1_11comp_targetILNS1_3genE10ELNS1_11target_archE1201ELNS1_3gpuE5ELNS1_3repE0EEENS1_30default_config_static_selectorELNS0_4arch9wavefront6targetE0EEEvT1_.kd
    .uniform_work_group_size: 1
    .uses_dynamic_stack: false
    .vgpr_count:     0
    .vgpr_spill_count: 0
    .wavefront_size: 32
  - .args:
      - .offset:         0
        .size:           64
        .value_kind:     by_value
    .group_segment_fixed_size: 0
    .kernarg_segment_align: 8
    .kernarg_segment_size: 64
    .language:       OpenCL C
    .language_version:
      - 2
      - 0
    .max_flat_workgroup_size: 64
    .name:           _ZN7rocprim17ROCPRIM_400000_NS6detail17trampoline_kernelINS0_14default_configENS1_35adjacent_difference_config_selectorILb0ElEEZNS1_24adjacent_difference_implIS3_Lb0ELb0EPlS7_ZN2at6native12_GLOBAL__N_124unique_dim_cuda_templateImEESt5tupleIJNS8_6TensorESD_SD_EERKSD_lbbbEUlllE1_EE10hipError_tPvRmT2_T3_mT4_P12ihipStream_tbEUlT_E_NS1_11comp_targetILNS1_3genE5ELNS1_11target_archE942ELNS1_3gpuE9ELNS1_3repE0EEENS1_30default_config_static_selectorELNS0_4arch9wavefront6targetE0EEEvT1_
    .private_segment_fixed_size: 0
    .sgpr_count:     0
    .sgpr_spill_count: 0
    .symbol:         _ZN7rocprim17ROCPRIM_400000_NS6detail17trampoline_kernelINS0_14default_configENS1_35adjacent_difference_config_selectorILb0ElEEZNS1_24adjacent_difference_implIS3_Lb0ELb0EPlS7_ZN2at6native12_GLOBAL__N_124unique_dim_cuda_templateImEESt5tupleIJNS8_6TensorESD_SD_EERKSD_lbbbEUlllE1_EE10hipError_tPvRmT2_T3_mT4_P12ihipStream_tbEUlT_E_NS1_11comp_targetILNS1_3genE5ELNS1_11target_archE942ELNS1_3gpuE9ELNS1_3repE0EEENS1_30default_config_static_selectorELNS0_4arch9wavefront6targetE0EEEvT1_.kd
    .uniform_work_group_size: 1
    .uses_dynamic_stack: false
    .vgpr_count:     0
    .vgpr_spill_count: 0
    .wavefront_size: 32
  - .args:
      - .offset:         0
        .size:           64
        .value_kind:     by_value
    .group_segment_fixed_size: 0
    .kernarg_segment_align: 8
    .kernarg_segment_size: 64
    .language:       OpenCL C
    .language_version:
      - 2
      - 0
    .max_flat_workgroup_size: 256
    .name:           _ZN7rocprim17ROCPRIM_400000_NS6detail17trampoline_kernelINS0_14default_configENS1_35adjacent_difference_config_selectorILb0ElEEZNS1_24adjacent_difference_implIS3_Lb0ELb0EPlS7_ZN2at6native12_GLOBAL__N_124unique_dim_cuda_templateImEESt5tupleIJNS8_6TensorESD_SD_EERKSD_lbbbEUlllE1_EE10hipError_tPvRmT2_T3_mT4_P12ihipStream_tbEUlT_E_NS1_11comp_targetILNS1_3genE4ELNS1_11target_archE910ELNS1_3gpuE8ELNS1_3repE0EEENS1_30default_config_static_selectorELNS0_4arch9wavefront6targetE0EEEvT1_
    .private_segment_fixed_size: 0
    .sgpr_count:     0
    .sgpr_spill_count: 0
    .symbol:         _ZN7rocprim17ROCPRIM_400000_NS6detail17trampoline_kernelINS0_14default_configENS1_35adjacent_difference_config_selectorILb0ElEEZNS1_24adjacent_difference_implIS3_Lb0ELb0EPlS7_ZN2at6native12_GLOBAL__N_124unique_dim_cuda_templateImEESt5tupleIJNS8_6TensorESD_SD_EERKSD_lbbbEUlllE1_EE10hipError_tPvRmT2_T3_mT4_P12ihipStream_tbEUlT_E_NS1_11comp_targetILNS1_3genE4ELNS1_11target_archE910ELNS1_3gpuE8ELNS1_3repE0EEENS1_30default_config_static_selectorELNS0_4arch9wavefront6targetE0EEEvT1_.kd
    .uniform_work_group_size: 1
    .uses_dynamic_stack: false
    .vgpr_count:     0
    .vgpr_spill_count: 0
    .wavefront_size: 32
  - .args:
      - .offset:         0
        .size:           64
        .value_kind:     by_value
    .group_segment_fixed_size: 0
    .kernarg_segment_align: 8
    .kernarg_segment_size: 64
    .language:       OpenCL C
    .language_version:
      - 2
      - 0
    .max_flat_workgroup_size: 128
    .name:           _ZN7rocprim17ROCPRIM_400000_NS6detail17trampoline_kernelINS0_14default_configENS1_35adjacent_difference_config_selectorILb0ElEEZNS1_24adjacent_difference_implIS3_Lb0ELb0EPlS7_ZN2at6native12_GLOBAL__N_124unique_dim_cuda_templateImEESt5tupleIJNS8_6TensorESD_SD_EERKSD_lbbbEUlllE1_EE10hipError_tPvRmT2_T3_mT4_P12ihipStream_tbEUlT_E_NS1_11comp_targetILNS1_3genE3ELNS1_11target_archE908ELNS1_3gpuE7ELNS1_3repE0EEENS1_30default_config_static_selectorELNS0_4arch9wavefront6targetE0EEEvT1_
    .private_segment_fixed_size: 0
    .sgpr_count:     0
    .sgpr_spill_count: 0
    .symbol:         _ZN7rocprim17ROCPRIM_400000_NS6detail17trampoline_kernelINS0_14default_configENS1_35adjacent_difference_config_selectorILb0ElEEZNS1_24adjacent_difference_implIS3_Lb0ELb0EPlS7_ZN2at6native12_GLOBAL__N_124unique_dim_cuda_templateImEESt5tupleIJNS8_6TensorESD_SD_EERKSD_lbbbEUlllE1_EE10hipError_tPvRmT2_T3_mT4_P12ihipStream_tbEUlT_E_NS1_11comp_targetILNS1_3genE3ELNS1_11target_archE908ELNS1_3gpuE7ELNS1_3repE0EEENS1_30default_config_static_selectorELNS0_4arch9wavefront6targetE0EEEvT1_.kd
    .uniform_work_group_size: 1
    .uses_dynamic_stack: false
    .vgpr_count:     0
    .vgpr_spill_count: 0
    .wavefront_size: 32
  - .args:
      - .offset:         0
        .size:           64
        .value_kind:     by_value
    .group_segment_fixed_size: 0
    .kernarg_segment_align: 8
    .kernarg_segment_size: 64
    .language:       OpenCL C
    .language_version:
      - 2
      - 0
    .max_flat_workgroup_size: 128
    .name:           _ZN7rocprim17ROCPRIM_400000_NS6detail17trampoline_kernelINS0_14default_configENS1_35adjacent_difference_config_selectorILb0ElEEZNS1_24adjacent_difference_implIS3_Lb0ELb0EPlS7_ZN2at6native12_GLOBAL__N_124unique_dim_cuda_templateImEESt5tupleIJNS8_6TensorESD_SD_EERKSD_lbbbEUlllE1_EE10hipError_tPvRmT2_T3_mT4_P12ihipStream_tbEUlT_E_NS1_11comp_targetILNS1_3genE2ELNS1_11target_archE906ELNS1_3gpuE6ELNS1_3repE0EEENS1_30default_config_static_selectorELNS0_4arch9wavefront6targetE0EEEvT1_
    .private_segment_fixed_size: 0
    .sgpr_count:     0
    .sgpr_spill_count: 0
    .symbol:         _ZN7rocprim17ROCPRIM_400000_NS6detail17trampoline_kernelINS0_14default_configENS1_35adjacent_difference_config_selectorILb0ElEEZNS1_24adjacent_difference_implIS3_Lb0ELb0EPlS7_ZN2at6native12_GLOBAL__N_124unique_dim_cuda_templateImEESt5tupleIJNS8_6TensorESD_SD_EERKSD_lbbbEUlllE1_EE10hipError_tPvRmT2_T3_mT4_P12ihipStream_tbEUlT_E_NS1_11comp_targetILNS1_3genE2ELNS1_11target_archE906ELNS1_3gpuE6ELNS1_3repE0EEENS1_30default_config_static_selectorELNS0_4arch9wavefront6targetE0EEEvT1_.kd
    .uniform_work_group_size: 1
    .uses_dynamic_stack: false
    .vgpr_count:     0
    .vgpr_spill_count: 0
    .wavefront_size: 32
  - .args:
      - .offset:         0
        .size:           64
        .value_kind:     by_value
    .group_segment_fixed_size: 0
    .kernarg_segment_align: 8
    .kernarg_segment_size: 64
    .language:       OpenCL C
    .language_version:
      - 2
      - 0
    .max_flat_workgroup_size: 512
    .name:           _ZN7rocprim17ROCPRIM_400000_NS6detail17trampoline_kernelINS0_14default_configENS1_35adjacent_difference_config_selectorILb0ElEEZNS1_24adjacent_difference_implIS3_Lb0ELb0EPlS7_ZN2at6native12_GLOBAL__N_124unique_dim_cuda_templateImEESt5tupleIJNS8_6TensorESD_SD_EERKSD_lbbbEUlllE1_EE10hipError_tPvRmT2_T3_mT4_P12ihipStream_tbEUlT_E_NS1_11comp_targetILNS1_3genE9ELNS1_11target_archE1100ELNS1_3gpuE3ELNS1_3repE0EEENS1_30default_config_static_selectorELNS0_4arch9wavefront6targetE0EEEvT1_
    .private_segment_fixed_size: 0
    .sgpr_count:     0
    .sgpr_spill_count: 0
    .symbol:         _ZN7rocprim17ROCPRIM_400000_NS6detail17trampoline_kernelINS0_14default_configENS1_35adjacent_difference_config_selectorILb0ElEEZNS1_24adjacent_difference_implIS3_Lb0ELb0EPlS7_ZN2at6native12_GLOBAL__N_124unique_dim_cuda_templateImEESt5tupleIJNS8_6TensorESD_SD_EERKSD_lbbbEUlllE1_EE10hipError_tPvRmT2_T3_mT4_P12ihipStream_tbEUlT_E_NS1_11comp_targetILNS1_3genE9ELNS1_11target_archE1100ELNS1_3gpuE3ELNS1_3repE0EEENS1_30default_config_static_selectorELNS0_4arch9wavefront6targetE0EEEvT1_.kd
    .uniform_work_group_size: 1
    .uses_dynamic_stack: false
    .vgpr_count:     0
    .vgpr_spill_count: 0
    .wavefront_size: 32
  - .args:
      - .offset:         0
        .size:           64
        .value_kind:     by_value
    .group_segment_fixed_size: 0
    .kernarg_segment_align: 8
    .kernarg_segment_size: 64
    .language:       OpenCL C
    .language_version:
      - 2
      - 0
    .max_flat_workgroup_size: 1024
    .name:           _ZN7rocprim17ROCPRIM_400000_NS6detail17trampoline_kernelINS0_14default_configENS1_35adjacent_difference_config_selectorILb0ElEEZNS1_24adjacent_difference_implIS3_Lb0ELb0EPlS7_ZN2at6native12_GLOBAL__N_124unique_dim_cuda_templateImEESt5tupleIJNS8_6TensorESD_SD_EERKSD_lbbbEUlllE1_EE10hipError_tPvRmT2_T3_mT4_P12ihipStream_tbEUlT_E_NS1_11comp_targetILNS1_3genE8ELNS1_11target_archE1030ELNS1_3gpuE2ELNS1_3repE0EEENS1_30default_config_static_selectorELNS0_4arch9wavefront6targetE0EEEvT1_
    .private_segment_fixed_size: 0
    .sgpr_count:     0
    .sgpr_spill_count: 0
    .symbol:         _ZN7rocprim17ROCPRIM_400000_NS6detail17trampoline_kernelINS0_14default_configENS1_35adjacent_difference_config_selectorILb0ElEEZNS1_24adjacent_difference_implIS3_Lb0ELb0EPlS7_ZN2at6native12_GLOBAL__N_124unique_dim_cuda_templateImEESt5tupleIJNS8_6TensorESD_SD_EERKSD_lbbbEUlllE1_EE10hipError_tPvRmT2_T3_mT4_P12ihipStream_tbEUlT_E_NS1_11comp_targetILNS1_3genE8ELNS1_11target_archE1030ELNS1_3gpuE2ELNS1_3repE0EEENS1_30default_config_static_selectorELNS0_4arch9wavefront6targetE0EEEvT1_.kd
    .uniform_work_group_size: 1
    .uses_dynamic_stack: false
    .vgpr_count:     0
    .vgpr_spill_count: 0
    .wavefront_size: 32
  - .args:
      - .offset:         0
        .size:           56
        .value_kind:     by_value
      - .offset:         56
        .size:           4
        .value_kind:     hidden_block_count_x
      - .offset:         60
        .size:           4
        .value_kind:     hidden_block_count_y
      - .offset:         64
        .size:           4
        .value_kind:     hidden_block_count_z
      - .offset:         68
        .size:           2
        .value_kind:     hidden_group_size_x
      - .offset:         70
        .size:           2
        .value_kind:     hidden_group_size_y
      - .offset:         72
        .size:           2
        .value_kind:     hidden_group_size_z
      - .offset:         74
        .size:           2
        .value_kind:     hidden_remainder_x
      - .offset:         76
        .size:           2
        .value_kind:     hidden_remainder_y
      - .offset:         78
        .size:           2
        .value_kind:     hidden_remainder_z
      - .offset:         96
        .size:           8
        .value_kind:     hidden_global_offset_x
      - .offset:         104
        .size:           8
        .value_kind:     hidden_global_offset_y
      - .offset:         112
        .size:           8
        .value_kind:     hidden_global_offset_z
      - .offset:         120
        .size:           2
        .value_kind:     hidden_grid_dims
    .group_segment_fixed_size: 0
    .kernarg_segment_align: 8
    .kernarg_segment_size: 312
    .language:       OpenCL C
    .language_version:
      - 2
      - 0
    .max_flat_workgroup_size: 128
    .name:           _ZN7rocprim17ROCPRIM_400000_NS6detail17trampoline_kernelINS0_14default_configENS1_25transform_config_selectorIlLb0EEEZNS1_14transform_implILb0ES3_S5_NS0_18transform_iteratorINS0_17counting_iteratorImlEEZNS1_24adjacent_difference_implIS3_Lb1ELb0EPlSB_ZN2at6native12_GLOBAL__N_124unique_dim_cuda_templateImEESt5tupleIJNSC_6TensorESH_SH_EERKSH_lbbbEUlllE1_EE10hipError_tPvRmT2_T3_mT4_P12ihipStream_tbEUlmE_lEESB_NS0_8identityIvEEEESM_SP_SQ_mSR_ST_bEUlT_E_NS1_11comp_targetILNS1_3genE0ELNS1_11target_archE4294967295ELNS1_3gpuE0ELNS1_3repE0EEENS1_30default_config_static_selectorELNS0_4arch9wavefront6targetE0EEEvT1_
    .private_segment_fixed_size: 0
    .sgpr_count:     16
    .sgpr_spill_count: 0
    .symbol:         _ZN7rocprim17ROCPRIM_400000_NS6detail17trampoline_kernelINS0_14default_configENS1_25transform_config_selectorIlLb0EEEZNS1_14transform_implILb0ES3_S5_NS0_18transform_iteratorINS0_17counting_iteratorImlEEZNS1_24adjacent_difference_implIS3_Lb1ELb0EPlSB_ZN2at6native12_GLOBAL__N_124unique_dim_cuda_templateImEESt5tupleIJNSC_6TensorESH_SH_EERKSH_lbbbEUlllE1_EE10hipError_tPvRmT2_T3_mT4_P12ihipStream_tbEUlmE_lEESB_NS0_8identityIvEEEESM_SP_SQ_mSR_ST_bEUlT_E_NS1_11comp_targetILNS1_3genE0ELNS1_11target_archE4294967295ELNS1_3gpuE0ELNS1_3repE0EEENS1_30default_config_static_selectorELNS0_4arch9wavefront6targetE0EEEvT1_.kd
    .uniform_work_group_size: 1
    .uses_dynamic_stack: false
    .vgpr_count:     4
    .vgpr_spill_count: 0
    .wavefront_size: 32
  - .args:
      - .offset:         0
        .size:           56
        .value_kind:     by_value
    .group_segment_fixed_size: 0
    .kernarg_segment_align: 8
    .kernarg_segment_size: 56
    .language:       OpenCL C
    .language_version:
      - 2
      - 0
    .max_flat_workgroup_size: 512
    .name:           _ZN7rocprim17ROCPRIM_400000_NS6detail17trampoline_kernelINS0_14default_configENS1_25transform_config_selectorIlLb0EEEZNS1_14transform_implILb0ES3_S5_NS0_18transform_iteratorINS0_17counting_iteratorImlEEZNS1_24adjacent_difference_implIS3_Lb1ELb0EPlSB_ZN2at6native12_GLOBAL__N_124unique_dim_cuda_templateImEESt5tupleIJNSC_6TensorESH_SH_EERKSH_lbbbEUlllE1_EE10hipError_tPvRmT2_T3_mT4_P12ihipStream_tbEUlmE_lEESB_NS0_8identityIvEEEESM_SP_SQ_mSR_ST_bEUlT_E_NS1_11comp_targetILNS1_3genE5ELNS1_11target_archE942ELNS1_3gpuE9ELNS1_3repE0EEENS1_30default_config_static_selectorELNS0_4arch9wavefront6targetE0EEEvT1_
    .private_segment_fixed_size: 0
    .sgpr_count:     0
    .sgpr_spill_count: 0
    .symbol:         _ZN7rocprim17ROCPRIM_400000_NS6detail17trampoline_kernelINS0_14default_configENS1_25transform_config_selectorIlLb0EEEZNS1_14transform_implILb0ES3_S5_NS0_18transform_iteratorINS0_17counting_iteratorImlEEZNS1_24adjacent_difference_implIS3_Lb1ELb0EPlSB_ZN2at6native12_GLOBAL__N_124unique_dim_cuda_templateImEESt5tupleIJNSC_6TensorESH_SH_EERKSH_lbbbEUlllE1_EE10hipError_tPvRmT2_T3_mT4_P12ihipStream_tbEUlmE_lEESB_NS0_8identityIvEEEESM_SP_SQ_mSR_ST_bEUlT_E_NS1_11comp_targetILNS1_3genE5ELNS1_11target_archE942ELNS1_3gpuE9ELNS1_3repE0EEENS1_30default_config_static_selectorELNS0_4arch9wavefront6targetE0EEEvT1_.kd
    .uniform_work_group_size: 1
    .uses_dynamic_stack: false
    .vgpr_count:     0
    .vgpr_spill_count: 0
    .wavefront_size: 32
  - .args:
      - .offset:         0
        .size:           56
        .value_kind:     by_value
    .group_segment_fixed_size: 0
    .kernarg_segment_align: 8
    .kernarg_segment_size: 56
    .language:       OpenCL C
    .language_version:
      - 2
      - 0
    .max_flat_workgroup_size: 256
    .name:           _ZN7rocprim17ROCPRIM_400000_NS6detail17trampoline_kernelINS0_14default_configENS1_25transform_config_selectorIlLb0EEEZNS1_14transform_implILb0ES3_S5_NS0_18transform_iteratorINS0_17counting_iteratorImlEEZNS1_24adjacent_difference_implIS3_Lb1ELb0EPlSB_ZN2at6native12_GLOBAL__N_124unique_dim_cuda_templateImEESt5tupleIJNSC_6TensorESH_SH_EERKSH_lbbbEUlllE1_EE10hipError_tPvRmT2_T3_mT4_P12ihipStream_tbEUlmE_lEESB_NS0_8identityIvEEEESM_SP_SQ_mSR_ST_bEUlT_E_NS1_11comp_targetILNS1_3genE4ELNS1_11target_archE910ELNS1_3gpuE8ELNS1_3repE0EEENS1_30default_config_static_selectorELNS0_4arch9wavefront6targetE0EEEvT1_
    .private_segment_fixed_size: 0
    .sgpr_count:     0
    .sgpr_spill_count: 0
    .symbol:         _ZN7rocprim17ROCPRIM_400000_NS6detail17trampoline_kernelINS0_14default_configENS1_25transform_config_selectorIlLb0EEEZNS1_14transform_implILb0ES3_S5_NS0_18transform_iteratorINS0_17counting_iteratorImlEEZNS1_24adjacent_difference_implIS3_Lb1ELb0EPlSB_ZN2at6native12_GLOBAL__N_124unique_dim_cuda_templateImEESt5tupleIJNSC_6TensorESH_SH_EERKSH_lbbbEUlllE1_EE10hipError_tPvRmT2_T3_mT4_P12ihipStream_tbEUlmE_lEESB_NS0_8identityIvEEEESM_SP_SQ_mSR_ST_bEUlT_E_NS1_11comp_targetILNS1_3genE4ELNS1_11target_archE910ELNS1_3gpuE8ELNS1_3repE0EEENS1_30default_config_static_selectorELNS0_4arch9wavefront6targetE0EEEvT1_.kd
    .uniform_work_group_size: 1
    .uses_dynamic_stack: false
    .vgpr_count:     0
    .vgpr_spill_count: 0
    .wavefront_size: 32
  - .args:
      - .offset:         0
        .size:           56
        .value_kind:     by_value
    .group_segment_fixed_size: 0
    .kernarg_segment_align: 8
    .kernarg_segment_size: 56
    .language:       OpenCL C
    .language_version:
      - 2
      - 0
    .max_flat_workgroup_size: 128
    .name:           _ZN7rocprim17ROCPRIM_400000_NS6detail17trampoline_kernelINS0_14default_configENS1_25transform_config_selectorIlLb0EEEZNS1_14transform_implILb0ES3_S5_NS0_18transform_iteratorINS0_17counting_iteratorImlEEZNS1_24adjacent_difference_implIS3_Lb1ELb0EPlSB_ZN2at6native12_GLOBAL__N_124unique_dim_cuda_templateImEESt5tupleIJNSC_6TensorESH_SH_EERKSH_lbbbEUlllE1_EE10hipError_tPvRmT2_T3_mT4_P12ihipStream_tbEUlmE_lEESB_NS0_8identityIvEEEESM_SP_SQ_mSR_ST_bEUlT_E_NS1_11comp_targetILNS1_3genE3ELNS1_11target_archE908ELNS1_3gpuE7ELNS1_3repE0EEENS1_30default_config_static_selectorELNS0_4arch9wavefront6targetE0EEEvT1_
    .private_segment_fixed_size: 0
    .sgpr_count:     0
    .sgpr_spill_count: 0
    .symbol:         _ZN7rocprim17ROCPRIM_400000_NS6detail17trampoline_kernelINS0_14default_configENS1_25transform_config_selectorIlLb0EEEZNS1_14transform_implILb0ES3_S5_NS0_18transform_iteratorINS0_17counting_iteratorImlEEZNS1_24adjacent_difference_implIS3_Lb1ELb0EPlSB_ZN2at6native12_GLOBAL__N_124unique_dim_cuda_templateImEESt5tupleIJNSC_6TensorESH_SH_EERKSH_lbbbEUlllE1_EE10hipError_tPvRmT2_T3_mT4_P12ihipStream_tbEUlmE_lEESB_NS0_8identityIvEEEESM_SP_SQ_mSR_ST_bEUlT_E_NS1_11comp_targetILNS1_3genE3ELNS1_11target_archE908ELNS1_3gpuE7ELNS1_3repE0EEENS1_30default_config_static_selectorELNS0_4arch9wavefront6targetE0EEEvT1_.kd
    .uniform_work_group_size: 1
    .uses_dynamic_stack: false
    .vgpr_count:     0
    .vgpr_spill_count: 0
    .wavefront_size: 32
  - .args:
      - .offset:         0
        .size:           56
        .value_kind:     by_value
    .group_segment_fixed_size: 0
    .kernarg_segment_align: 8
    .kernarg_segment_size: 56
    .language:       OpenCL C
    .language_version:
      - 2
      - 0
    .max_flat_workgroup_size: 512
    .name:           _ZN7rocprim17ROCPRIM_400000_NS6detail17trampoline_kernelINS0_14default_configENS1_25transform_config_selectorIlLb0EEEZNS1_14transform_implILb0ES3_S5_NS0_18transform_iteratorINS0_17counting_iteratorImlEEZNS1_24adjacent_difference_implIS3_Lb1ELb0EPlSB_ZN2at6native12_GLOBAL__N_124unique_dim_cuda_templateImEESt5tupleIJNSC_6TensorESH_SH_EERKSH_lbbbEUlllE1_EE10hipError_tPvRmT2_T3_mT4_P12ihipStream_tbEUlmE_lEESB_NS0_8identityIvEEEESM_SP_SQ_mSR_ST_bEUlT_E_NS1_11comp_targetILNS1_3genE2ELNS1_11target_archE906ELNS1_3gpuE6ELNS1_3repE0EEENS1_30default_config_static_selectorELNS0_4arch9wavefront6targetE0EEEvT1_
    .private_segment_fixed_size: 0
    .sgpr_count:     0
    .sgpr_spill_count: 0
    .symbol:         _ZN7rocprim17ROCPRIM_400000_NS6detail17trampoline_kernelINS0_14default_configENS1_25transform_config_selectorIlLb0EEEZNS1_14transform_implILb0ES3_S5_NS0_18transform_iteratorINS0_17counting_iteratorImlEEZNS1_24adjacent_difference_implIS3_Lb1ELb0EPlSB_ZN2at6native12_GLOBAL__N_124unique_dim_cuda_templateImEESt5tupleIJNSC_6TensorESH_SH_EERKSH_lbbbEUlllE1_EE10hipError_tPvRmT2_T3_mT4_P12ihipStream_tbEUlmE_lEESB_NS0_8identityIvEEEESM_SP_SQ_mSR_ST_bEUlT_E_NS1_11comp_targetILNS1_3genE2ELNS1_11target_archE906ELNS1_3gpuE6ELNS1_3repE0EEENS1_30default_config_static_selectorELNS0_4arch9wavefront6targetE0EEEvT1_.kd
    .uniform_work_group_size: 1
    .uses_dynamic_stack: false
    .vgpr_count:     0
    .vgpr_spill_count: 0
    .wavefront_size: 32
  - .args:
      - .offset:         0
        .size:           56
        .value_kind:     by_value
    .group_segment_fixed_size: 0
    .kernarg_segment_align: 8
    .kernarg_segment_size: 56
    .language:       OpenCL C
    .language_version:
      - 2
      - 0
    .max_flat_workgroup_size: 1024
    .name:           _ZN7rocprim17ROCPRIM_400000_NS6detail17trampoline_kernelINS0_14default_configENS1_25transform_config_selectorIlLb0EEEZNS1_14transform_implILb0ES3_S5_NS0_18transform_iteratorINS0_17counting_iteratorImlEEZNS1_24adjacent_difference_implIS3_Lb1ELb0EPlSB_ZN2at6native12_GLOBAL__N_124unique_dim_cuda_templateImEESt5tupleIJNSC_6TensorESH_SH_EERKSH_lbbbEUlllE1_EE10hipError_tPvRmT2_T3_mT4_P12ihipStream_tbEUlmE_lEESB_NS0_8identityIvEEEESM_SP_SQ_mSR_ST_bEUlT_E_NS1_11comp_targetILNS1_3genE10ELNS1_11target_archE1201ELNS1_3gpuE5ELNS1_3repE0EEENS1_30default_config_static_selectorELNS0_4arch9wavefront6targetE0EEEvT1_
    .private_segment_fixed_size: 0
    .sgpr_count:     0
    .sgpr_spill_count: 0
    .symbol:         _ZN7rocprim17ROCPRIM_400000_NS6detail17trampoline_kernelINS0_14default_configENS1_25transform_config_selectorIlLb0EEEZNS1_14transform_implILb0ES3_S5_NS0_18transform_iteratorINS0_17counting_iteratorImlEEZNS1_24adjacent_difference_implIS3_Lb1ELb0EPlSB_ZN2at6native12_GLOBAL__N_124unique_dim_cuda_templateImEESt5tupleIJNSC_6TensorESH_SH_EERKSH_lbbbEUlllE1_EE10hipError_tPvRmT2_T3_mT4_P12ihipStream_tbEUlmE_lEESB_NS0_8identityIvEEEESM_SP_SQ_mSR_ST_bEUlT_E_NS1_11comp_targetILNS1_3genE10ELNS1_11target_archE1201ELNS1_3gpuE5ELNS1_3repE0EEENS1_30default_config_static_selectorELNS0_4arch9wavefront6targetE0EEEvT1_.kd
    .uniform_work_group_size: 1
    .uses_dynamic_stack: false
    .vgpr_count:     0
    .vgpr_spill_count: 0
    .wavefront_size: 32
  - .args:
      - .offset:         0
        .size:           56
        .value_kind:     by_value
    .group_segment_fixed_size: 0
    .kernarg_segment_align: 8
    .kernarg_segment_size: 56
    .language:       OpenCL C
    .language_version:
      - 2
      - 0
    .max_flat_workgroup_size: 512
    .name:           _ZN7rocprim17ROCPRIM_400000_NS6detail17trampoline_kernelINS0_14default_configENS1_25transform_config_selectorIlLb0EEEZNS1_14transform_implILb0ES3_S5_NS0_18transform_iteratorINS0_17counting_iteratorImlEEZNS1_24adjacent_difference_implIS3_Lb1ELb0EPlSB_ZN2at6native12_GLOBAL__N_124unique_dim_cuda_templateImEESt5tupleIJNSC_6TensorESH_SH_EERKSH_lbbbEUlllE1_EE10hipError_tPvRmT2_T3_mT4_P12ihipStream_tbEUlmE_lEESB_NS0_8identityIvEEEESM_SP_SQ_mSR_ST_bEUlT_E_NS1_11comp_targetILNS1_3genE10ELNS1_11target_archE1200ELNS1_3gpuE4ELNS1_3repE0EEENS1_30default_config_static_selectorELNS0_4arch9wavefront6targetE0EEEvT1_
    .private_segment_fixed_size: 0
    .sgpr_count:     0
    .sgpr_spill_count: 0
    .symbol:         _ZN7rocprim17ROCPRIM_400000_NS6detail17trampoline_kernelINS0_14default_configENS1_25transform_config_selectorIlLb0EEEZNS1_14transform_implILb0ES3_S5_NS0_18transform_iteratorINS0_17counting_iteratorImlEEZNS1_24adjacent_difference_implIS3_Lb1ELb0EPlSB_ZN2at6native12_GLOBAL__N_124unique_dim_cuda_templateImEESt5tupleIJNSC_6TensorESH_SH_EERKSH_lbbbEUlllE1_EE10hipError_tPvRmT2_T3_mT4_P12ihipStream_tbEUlmE_lEESB_NS0_8identityIvEEEESM_SP_SQ_mSR_ST_bEUlT_E_NS1_11comp_targetILNS1_3genE10ELNS1_11target_archE1200ELNS1_3gpuE4ELNS1_3repE0EEENS1_30default_config_static_selectorELNS0_4arch9wavefront6targetE0EEEvT1_.kd
    .uniform_work_group_size: 1
    .uses_dynamic_stack: false
    .vgpr_count:     0
    .vgpr_spill_count: 0
    .wavefront_size: 32
  - .args:
      - .offset:         0
        .size:           56
        .value_kind:     by_value
    .group_segment_fixed_size: 0
    .kernarg_segment_align: 8
    .kernarg_segment_size: 56
    .language:       OpenCL C
    .language_version:
      - 2
      - 0
    .max_flat_workgroup_size: 512
    .name:           _ZN7rocprim17ROCPRIM_400000_NS6detail17trampoline_kernelINS0_14default_configENS1_25transform_config_selectorIlLb0EEEZNS1_14transform_implILb0ES3_S5_NS0_18transform_iteratorINS0_17counting_iteratorImlEEZNS1_24adjacent_difference_implIS3_Lb1ELb0EPlSB_ZN2at6native12_GLOBAL__N_124unique_dim_cuda_templateImEESt5tupleIJNSC_6TensorESH_SH_EERKSH_lbbbEUlllE1_EE10hipError_tPvRmT2_T3_mT4_P12ihipStream_tbEUlmE_lEESB_NS0_8identityIvEEEESM_SP_SQ_mSR_ST_bEUlT_E_NS1_11comp_targetILNS1_3genE9ELNS1_11target_archE1100ELNS1_3gpuE3ELNS1_3repE0EEENS1_30default_config_static_selectorELNS0_4arch9wavefront6targetE0EEEvT1_
    .private_segment_fixed_size: 0
    .sgpr_count:     0
    .sgpr_spill_count: 0
    .symbol:         _ZN7rocprim17ROCPRIM_400000_NS6detail17trampoline_kernelINS0_14default_configENS1_25transform_config_selectorIlLb0EEEZNS1_14transform_implILb0ES3_S5_NS0_18transform_iteratorINS0_17counting_iteratorImlEEZNS1_24adjacent_difference_implIS3_Lb1ELb0EPlSB_ZN2at6native12_GLOBAL__N_124unique_dim_cuda_templateImEESt5tupleIJNSC_6TensorESH_SH_EERKSH_lbbbEUlllE1_EE10hipError_tPvRmT2_T3_mT4_P12ihipStream_tbEUlmE_lEESB_NS0_8identityIvEEEESM_SP_SQ_mSR_ST_bEUlT_E_NS1_11comp_targetILNS1_3genE9ELNS1_11target_archE1100ELNS1_3gpuE3ELNS1_3repE0EEENS1_30default_config_static_selectorELNS0_4arch9wavefront6targetE0EEEvT1_.kd
    .uniform_work_group_size: 1
    .uses_dynamic_stack: false
    .vgpr_count:     0
    .vgpr_spill_count: 0
    .wavefront_size: 32
  - .args:
      - .offset:         0
        .size:           56
        .value_kind:     by_value
    .group_segment_fixed_size: 0
    .kernarg_segment_align: 8
    .kernarg_segment_size: 56
    .language:       OpenCL C
    .language_version:
      - 2
      - 0
    .max_flat_workgroup_size: 512
    .name:           _ZN7rocprim17ROCPRIM_400000_NS6detail17trampoline_kernelINS0_14default_configENS1_25transform_config_selectorIlLb0EEEZNS1_14transform_implILb0ES3_S5_NS0_18transform_iteratorINS0_17counting_iteratorImlEEZNS1_24adjacent_difference_implIS3_Lb1ELb0EPlSB_ZN2at6native12_GLOBAL__N_124unique_dim_cuda_templateImEESt5tupleIJNSC_6TensorESH_SH_EERKSH_lbbbEUlllE1_EE10hipError_tPvRmT2_T3_mT4_P12ihipStream_tbEUlmE_lEESB_NS0_8identityIvEEEESM_SP_SQ_mSR_ST_bEUlT_E_NS1_11comp_targetILNS1_3genE8ELNS1_11target_archE1030ELNS1_3gpuE2ELNS1_3repE0EEENS1_30default_config_static_selectorELNS0_4arch9wavefront6targetE0EEEvT1_
    .private_segment_fixed_size: 0
    .sgpr_count:     0
    .sgpr_spill_count: 0
    .symbol:         _ZN7rocprim17ROCPRIM_400000_NS6detail17trampoline_kernelINS0_14default_configENS1_25transform_config_selectorIlLb0EEEZNS1_14transform_implILb0ES3_S5_NS0_18transform_iteratorINS0_17counting_iteratorImlEEZNS1_24adjacent_difference_implIS3_Lb1ELb0EPlSB_ZN2at6native12_GLOBAL__N_124unique_dim_cuda_templateImEESt5tupleIJNSC_6TensorESH_SH_EERKSH_lbbbEUlllE1_EE10hipError_tPvRmT2_T3_mT4_P12ihipStream_tbEUlmE_lEESB_NS0_8identityIvEEEESM_SP_SQ_mSR_ST_bEUlT_E_NS1_11comp_targetILNS1_3genE8ELNS1_11target_archE1030ELNS1_3gpuE2ELNS1_3repE0EEENS1_30default_config_static_selectorELNS0_4arch9wavefront6targetE0EEEvT1_.kd
    .uniform_work_group_size: 1
    .uses_dynamic_stack: false
    .vgpr_count:     0
    .vgpr_spill_count: 0
    .wavefront_size: 32
  - .args:
      - .offset:         0
        .size:           64
        .value_kind:     by_value
    .group_segment_fixed_size: 8448
    .kernarg_segment_align: 8
    .kernarg_segment_size: 64
    .language:       OpenCL C
    .language_version:
      - 2
      - 0
    .max_flat_workgroup_size: 512
    .name:           _ZN7rocprim17ROCPRIM_400000_NS6detail17trampoline_kernelINS0_14default_configENS1_35adjacent_difference_config_selectorILb1ElEEZNS1_24adjacent_difference_implIS3_Lb1ELb0EPlS7_ZN2at6native12_GLOBAL__N_124unique_dim_cuda_templateImEESt5tupleIJNS8_6TensorESD_SD_EERKSD_lbbbEUlllE1_EE10hipError_tPvRmT2_T3_mT4_P12ihipStream_tbEUlT_E_NS1_11comp_targetILNS1_3genE0ELNS1_11target_archE4294967295ELNS1_3gpuE0ELNS1_3repE0EEENS1_30default_config_static_selectorELNS0_4arch9wavefront6targetE0EEEvT1_
    .private_segment_fixed_size: 0
    .sgpr_count:     31
    .sgpr_spill_count: 0
    .symbol:         _ZN7rocprim17ROCPRIM_400000_NS6detail17trampoline_kernelINS0_14default_configENS1_35adjacent_difference_config_selectorILb1ElEEZNS1_24adjacent_difference_implIS3_Lb1ELb0EPlS7_ZN2at6native12_GLOBAL__N_124unique_dim_cuda_templateImEESt5tupleIJNS8_6TensorESD_SD_EERKSD_lbbbEUlllE1_EE10hipError_tPvRmT2_T3_mT4_P12ihipStream_tbEUlT_E_NS1_11comp_targetILNS1_3genE0ELNS1_11target_archE4294967295ELNS1_3gpuE0ELNS1_3repE0EEENS1_30default_config_static_selectorELNS0_4arch9wavefront6targetE0EEEvT1_.kd
    .uniform_work_group_size: 1
    .uses_dynamic_stack: false
    .vgpr_count:     16
    .vgpr_spill_count: 0
    .wavefront_size: 32
  - .args:
      - .offset:         0
        .size:           64
        .value_kind:     by_value
    .group_segment_fixed_size: 0
    .kernarg_segment_align: 8
    .kernarg_segment_size: 64
    .language:       OpenCL C
    .language_version:
      - 2
      - 0
    .max_flat_workgroup_size: 32
    .name:           _ZN7rocprim17ROCPRIM_400000_NS6detail17trampoline_kernelINS0_14default_configENS1_35adjacent_difference_config_selectorILb1ElEEZNS1_24adjacent_difference_implIS3_Lb1ELb0EPlS7_ZN2at6native12_GLOBAL__N_124unique_dim_cuda_templateImEESt5tupleIJNS8_6TensorESD_SD_EERKSD_lbbbEUlllE1_EE10hipError_tPvRmT2_T3_mT4_P12ihipStream_tbEUlT_E_NS1_11comp_targetILNS1_3genE10ELNS1_11target_archE1201ELNS1_3gpuE5ELNS1_3repE0EEENS1_30default_config_static_selectorELNS0_4arch9wavefront6targetE0EEEvT1_
    .private_segment_fixed_size: 0
    .sgpr_count:     0
    .sgpr_spill_count: 0
    .symbol:         _ZN7rocprim17ROCPRIM_400000_NS6detail17trampoline_kernelINS0_14default_configENS1_35adjacent_difference_config_selectorILb1ElEEZNS1_24adjacent_difference_implIS3_Lb1ELb0EPlS7_ZN2at6native12_GLOBAL__N_124unique_dim_cuda_templateImEESt5tupleIJNS8_6TensorESD_SD_EERKSD_lbbbEUlllE1_EE10hipError_tPvRmT2_T3_mT4_P12ihipStream_tbEUlT_E_NS1_11comp_targetILNS1_3genE10ELNS1_11target_archE1201ELNS1_3gpuE5ELNS1_3repE0EEENS1_30default_config_static_selectorELNS0_4arch9wavefront6targetE0EEEvT1_.kd
    .uniform_work_group_size: 1
    .uses_dynamic_stack: false
    .vgpr_count:     0
    .vgpr_spill_count: 0
    .wavefront_size: 32
  - .args:
      - .offset:         0
        .size:           64
        .value_kind:     by_value
    .group_segment_fixed_size: 0
    .kernarg_segment_align: 8
    .kernarg_segment_size: 64
    .language:       OpenCL C
    .language_version:
      - 2
      - 0
    .max_flat_workgroup_size: 256
    .name:           _ZN7rocprim17ROCPRIM_400000_NS6detail17trampoline_kernelINS0_14default_configENS1_35adjacent_difference_config_selectorILb1ElEEZNS1_24adjacent_difference_implIS3_Lb1ELb0EPlS7_ZN2at6native12_GLOBAL__N_124unique_dim_cuda_templateImEESt5tupleIJNS8_6TensorESD_SD_EERKSD_lbbbEUlllE1_EE10hipError_tPvRmT2_T3_mT4_P12ihipStream_tbEUlT_E_NS1_11comp_targetILNS1_3genE5ELNS1_11target_archE942ELNS1_3gpuE9ELNS1_3repE0EEENS1_30default_config_static_selectorELNS0_4arch9wavefront6targetE0EEEvT1_
    .private_segment_fixed_size: 0
    .sgpr_count:     0
    .sgpr_spill_count: 0
    .symbol:         _ZN7rocprim17ROCPRIM_400000_NS6detail17trampoline_kernelINS0_14default_configENS1_35adjacent_difference_config_selectorILb1ElEEZNS1_24adjacent_difference_implIS3_Lb1ELb0EPlS7_ZN2at6native12_GLOBAL__N_124unique_dim_cuda_templateImEESt5tupleIJNS8_6TensorESD_SD_EERKSD_lbbbEUlllE1_EE10hipError_tPvRmT2_T3_mT4_P12ihipStream_tbEUlT_E_NS1_11comp_targetILNS1_3genE5ELNS1_11target_archE942ELNS1_3gpuE9ELNS1_3repE0EEENS1_30default_config_static_selectorELNS0_4arch9wavefront6targetE0EEEvT1_.kd
    .uniform_work_group_size: 1
    .uses_dynamic_stack: false
    .vgpr_count:     0
    .vgpr_spill_count: 0
    .wavefront_size: 32
  - .args:
      - .offset:         0
        .size:           64
        .value_kind:     by_value
    .group_segment_fixed_size: 0
    .kernarg_segment_align: 8
    .kernarg_segment_size: 64
    .language:       OpenCL C
    .language_version:
      - 2
      - 0
    .max_flat_workgroup_size: 512
    .name:           _ZN7rocprim17ROCPRIM_400000_NS6detail17trampoline_kernelINS0_14default_configENS1_35adjacent_difference_config_selectorILb1ElEEZNS1_24adjacent_difference_implIS3_Lb1ELb0EPlS7_ZN2at6native12_GLOBAL__N_124unique_dim_cuda_templateImEESt5tupleIJNS8_6TensorESD_SD_EERKSD_lbbbEUlllE1_EE10hipError_tPvRmT2_T3_mT4_P12ihipStream_tbEUlT_E_NS1_11comp_targetILNS1_3genE4ELNS1_11target_archE910ELNS1_3gpuE8ELNS1_3repE0EEENS1_30default_config_static_selectorELNS0_4arch9wavefront6targetE0EEEvT1_
    .private_segment_fixed_size: 0
    .sgpr_count:     0
    .sgpr_spill_count: 0
    .symbol:         _ZN7rocprim17ROCPRIM_400000_NS6detail17trampoline_kernelINS0_14default_configENS1_35adjacent_difference_config_selectorILb1ElEEZNS1_24adjacent_difference_implIS3_Lb1ELb0EPlS7_ZN2at6native12_GLOBAL__N_124unique_dim_cuda_templateImEESt5tupleIJNS8_6TensorESD_SD_EERKSD_lbbbEUlllE1_EE10hipError_tPvRmT2_T3_mT4_P12ihipStream_tbEUlT_E_NS1_11comp_targetILNS1_3genE4ELNS1_11target_archE910ELNS1_3gpuE8ELNS1_3repE0EEENS1_30default_config_static_selectorELNS0_4arch9wavefront6targetE0EEEvT1_.kd
    .uniform_work_group_size: 1
    .uses_dynamic_stack: false
    .vgpr_count:     0
    .vgpr_spill_count: 0
    .wavefront_size: 32
  - .args:
      - .offset:         0
        .size:           64
        .value_kind:     by_value
    .group_segment_fixed_size: 0
    .kernarg_segment_align: 8
    .kernarg_segment_size: 64
    .language:       OpenCL C
    .language_version:
      - 2
      - 0
    .max_flat_workgroup_size: 512
    .name:           _ZN7rocprim17ROCPRIM_400000_NS6detail17trampoline_kernelINS0_14default_configENS1_35adjacent_difference_config_selectorILb1ElEEZNS1_24adjacent_difference_implIS3_Lb1ELb0EPlS7_ZN2at6native12_GLOBAL__N_124unique_dim_cuda_templateImEESt5tupleIJNS8_6TensorESD_SD_EERKSD_lbbbEUlllE1_EE10hipError_tPvRmT2_T3_mT4_P12ihipStream_tbEUlT_E_NS1_11comp_targetILNS1_3genE3ELNS1_11target_archE908ELNS1_3gpuE7ELNS1_3repE0EEENS1_30default_config_static_selectorELNS0_4arch9wavefront6targetE0EEEvT1_
    .private_segment_fixed_size: 0
    .sgpr_count:     0
    .sgpr_spill_count: 0
    .symbol:         _ZN7rocprim17ROCPRIM_400000_NS6detail17trampoline_kernelINS0_14default_configENS1_35adjacent_difference_config_selectorILb1ElEEZNS1_24adjacent_difference_implIS3_Lb1ELb0EPlS7_ZN2at6native12_GLOBAL__N_124unique_dim_cuda_templateImEESt5tupleIJNS8_6TensorESD_SD_EERKSD_lbbbEUlllE1_EE10hipError_tPvRmT2_T3_mT4_P12ihipStream_tbEUlT_E_NS1_11comp_targetILNS1_3genE3ELNS1_11target_archE908ELNS1_3gpuE7ELNS1_3repE0EEENS1_30default_config_static_selectorELNS0_4arch9wavefront6targetE0EEEvT1_.kd
    .uniform_work_group_size: 1
    .uses_dynamic_stack: false
    .vgpr_count:     0
    .vgpr_spill_count: 0
    .wavefront_size: 32
  - .args:
      - .offset:         0
        .size:           64
        .value_kind:     by_value
    .group_segment_fixed_size: 0
    .kernarg_segment_align: 8
    .kernarg_segment_size: 64
    .language:       OpenCL C
    .language_version:
      - 2
      - 0
    .max_flat_workgroup_size: 128
    .name:           _ZN7rocprim17ROCPRIM_400000_NS6detail17trampoline_kernelINS0_14default_configENS1_35adjacent_difference_config_selectorILb1ElEEZNS1_24adjacent_difference_implIS3_Lb1ELb0EPlS7_ZN2at6native12_GLOBAL__N_124unique_dim_cuda_templateImEESt5tupleIJNS8_6TensorESD_SD_EERKSD_lbbbEUlllE1_EE10hipError_tPvRmT2_T3_mT4_P12ihipStream_tbEUlT_E_NS1_11comp_targetILNS1_3genE2ELNS1_11target_archE906ELNS1_3gpuE6ELNS1_3repE0EEENS1_30default_config_static_selectorELNS0_4arch9wavefront6targetE0EEEvT1_
    .private_segment_fixed_size: 0
    .sgpr_count:     0
    .sgpr_spill_count: 0
    .symbol:         _ZN7rocprim17ROCPRIM_400000_NS6detail17trampoline_kernelINS0_14default_configENS1_35adjacent_difference_config_selectorILb1ElEEZNS1_24adjacent_difference_implIS3_Lb1ELb0EPlS7_ZN2at6native12_GLOBAL__N_124unique_dim_cuda_templateImEESt5tupleIJNS8_6TensorESD_SD_EERKSD_lbbbEUlllE1_EE10hipError_tPvRmT2_T3_mT4_P12ihipStream_tbEUlT_E_NS1_11comp_targetILNS1_3genE2ELNS1_11target_archE906ELNS1_3gpuE6ELNS1_3repE0EEENS1_30default_config_static_selectorELNS0_4arch9wavefront6targetE0EEEvT1_.kd
    .uniform_work_group_size: 1
    .uses_dynamic_stack: false
    .vgpr_count:     0
    .vgpr_spill_count: 0
    .wavefront_size: 32
  - .args:
      - .offset:         0
        .size:           64
        .value_kind:     by_value
    .group_segment_fixed_size: 0
    .kernarg_segment_align: 8
    .kernarg_segment_size: 64
    .language:       OpenCL C
    .language_version:
      - 2
      - 0
    .max_flat_workgroup_size: 128
    .name:           _ZN7rocprim17ROCPRIM_400000_NS6detail17trampoline_kernelINS0_14default_configENS1_35adjacent_difference_config_selectorILb1ElEEZNS1_24adjacent_difference_implIS3_Lb1ELb0EPlS7_ZN2at6native12_GLOBAL__N_124unique_dim_cuda_templateImEESt5tupleIJNS8_6TensorESD_SD_EERKSD_lbbbEUlllE1_EE10hipError_tPvRmT2_T3_mT4_P12ihipStream_tbEUlT_E_NS1_11comp_targetILNS1_3genE9ELNS1_11target_archE1100ELNS1_3gpuE3ELNS1_3repE0EEENS1_30default_config_static_selectorELNS0_4arch9wavefront6targetE0EEEvT1_
    .private_segment_fixed_size: 0
    .sgpr_count:     0
    .sgpr_spill_count: 0
    .symbol:         _ZN7rocprim17ROCPRIM_400000_NS6detail17trampoline_kernelINS0_14default_configENS1_35adjacent_difference_config_selectorILb1ElEEZNS1_24adjacent_difference_implIS3_Lb1ELb0EPlS7_ZN2at6native12_GLOBAL__N_124unique_dim_cuda_templateImEESt5tupleIJNS8_6TensorESD_SD_EERKSD_lbbbEUlllE1_EE10hipError_tPvRmT2_T3_mT4_P12ihipStream_tbEUlT_E_NS1_11comp_targetILNS1_3genE9ELNS1_11target_archE1100ELNS1_3gpuE3ELNS1_3repE0EEENS1_30default_config_static_selectorELNS0_4arch9wavefront6targetE0EEEvT1_.kd
    .uniform_work_group_size: 1
    .uses_dynamic_stack: false
    .vgpr_count:     0
    .vgpr_spill_count: 0
    .wavefront_size: 32
  - .args:
      - .offset:         0
        .size:           64
        .value_kind:     by_value
    .group_segment_fixed_size: 0
    .kernarg_segment_align: 8
    .kernarg_segment_size: 64
    .language:       OpenCL C
    .language_version:
      - 2
      - 0
    .max_flat_workgroup_size: 32
    .name:           _ZN7rocprim17ROCPRIM_400000_NS6detail17trampoline_kernelINS0_14default_configENS1_35adjacent_difference_config_selectorILb1ElEEZNS1_24adjacent_difference_implIS3_Lb1ELb0EPlS7_ZN2at6native12_GLOBAL__N_124unique_dim_cuda_templateImEESt5tupleIJNS8_6TensorESD_SD_EERKSD_lbbbEUlllE1_EE10hipError_tPvRmT2_T3_mT4_P12ihipStream_tbEUlT_E_NS1_11comp_targetILNS1_3genE8ELNS1_11target_archE1030ELNS1_3gpuE2ELNS1_3repE0EEENS1_30default_config_static_selectorELNS0_4arch9wavefront6targetE0EEEvT1_
    .private_segment_fixed_size: 0
    .sgpr_count:     0
    .sgpr_spill_count: 0
    .symbol:         _ZN7rocprim17ROCPRIM_400000_NS6detail17trampoline_kernelINS0_14default_configENS1_35adjacent_difference_config_selectorILb1ElEEZNS1_24adjacent_difference_implIS3_Lb1ELb0EPlS7_ZN2at6native12_GLOBAL__N_124unique_dim_cuda_templateImEESt5tupleIJNS8_6TensorESD_SD_EERKSD_lbbbEUlllE1_EE10hipError_tPvRmT2_T3_mT4_P12ihipStream_tbEUlT_E_NS1_11comp_targetILNS1_3genE8ELNS1_11target_archE1030ELNS1_3gpuE2ELNS1_3repE0EEENS1_30default_config_static_selectorELNS0_4arch9wavefront6targetE0EEEvT1_.kd
    .uniform_work_group_size: 1
    .uses_dynamic_stack: false
    .vgpr_count:     0
    .vgpr_spill_count: 0
    .wavefront_size: 32
  - .args:
      - .offset:         0
        .size:           120
        .value_kind:     by_value
    .group_segment_fixed_size: 28680
    .kernarg_segment_align: 8
    .kernarg_segment_size: 120
    .language:       OpenCL C
    .language_version:
      - 2
      - 0
    .max_flat_workgroup_size: 512
    .name:           _ZN7rocprim17ROCPRIM_400000_NS6detail17trampoline_kernelINS0_14default_configENS1_25partition_config_selectorILNS1_17partition_subalgoE8ElNS0_10empty_typeEbEEZZNS1_14partition_implILS5_8ELb0ES3_jPlPS6_PKS6_NS0_5tupleIJS9_S6_EEENSD_IJSA_SA_EEENS0_18inequality_wrapperIZN2at6native12_GLOBAL__N_124unique_dim_cuda_templateImEESt5tupleIJNSH_6TensorESM_SM_EERKSM_lbbbEUlllE0_EEPmJS6_EEE10hipError_tPvRmT3_T4_T5_T6_T7_T9_mT8_P12ihipStream_tbDpT10_ENKUlT_T0_E_clISt17integral_constantIbLb0EES1C_EEDaS17_S18_EUlS17_E_NS1_11comp_targetILNS1_3genE0ELNS1_11target_archE4294967295ELNS1_3gpuE0ELNS1_3repE0EEENS1_30default_config_static_selectorELNS0_4arch9wavefront6targetE0EEEvT1_
    .private_segment_fixed_size: 0
    .sgpr_count:     38
    .sgpr_spill_count: 0
    .symbol:         _ZN7rocprim17ROCPRIM_400000_NS6detail17trampoline_kernelINS0_14default_configENS1_25partition_config_selectorILNS1_17partition_subalgoE8ElNS0_10empty_typeEbEEZZNS1_14partition_implILS5_8ELb0ES3_jPlPS6_PKS6_NS0_5tupleIJS9_S6_EEENSD_IJSA_SA_EEENS0_18inequality_wrapperIZN2at6native12_GLOBAL__N_124unique_dim_cuda_templateImEESt5tupleIJNSH_6TensorESM_SM_EERKSM_lbbbEUlllE0_EEPmJS6_EEE10hipError_tPvRmT3_T4_T5_T6_T7_T9_mT8_P12ihipStream_tbDpT10_ENKUlT_T0_E_clISt17integral_constantIbLb0EES1C_EEDaS17_S18_EUlS17_E_NS1_11comp_targetILNS1_3genE0ELNS1_11target_archE4294967295ELNS1_3gpuE0ELNS1_3repE0EEENS1_30default_config_static_selectorELNS0_4arch9wavefront6targetE0EEEvT1_.kd
    .uniform_work_group_size: 1
    .uses_dynamic_stack: false
    .vgpr_count:     54
    .vgpr_spill_count: 0
    .wavefront_size: 32
  - .args:
      - .offset:         0
        .size:           120
        .value_kind:     by_value
    .group_segment_fixed_size: 0
    .kernarg_segment_align: 8
    .kernarg_segment_size: 120
    .language:       OpenCL C
    .language_version:
      - 2
      - 0
    .max_flat_workgroup_size: 512
    .name:           _ZN7rocprim17ROCPRIM_400000_NS6detail17trampoline_kernelINS0_14default_configENS1_25partition_config_selectorILNS1_17partition_subalgoE8ElNS0_10empty_typeEbEEZZNS1_14partition_implILS5_8ELb0ES3_jPlPS6_PKS6_NS0_5tupleIJS9_S6_EEENSD_IJSA_SA_EEENS0_18inequality_wrapperIZN2at6native12_GLOBAL__N_124unique_dim_cuda_templateImEESt5tupleIJNSH_6TensorESM_SM_EERKSM_lbbbEUlllE0_EEPmJS6_EEE10hipError_tPvRmT3_T4_T5_T6_T7_T9_mT8_P12ihipStream_tbDpT10_ENKUlT_T0_E_clISt17integral_constantIbLb0EES1C_EEDaS17_S18_EUlS17_E_NS1_11comp_targetILNS1_3genE5ELNS1_11target_archE942ELNS1_3gpuE9ELNS1_3repE0EEENS1_30default_config_static_selectorELNS0_4arch9wavefront6targetE0EEEvT1_
    .private_segment_fixed_size: 0
    .sgpr_count:     0
    .sgpr_spill_count: 0
    .symbol:         _ZN7rocprim17ROCPRIM_400000_NS6detail17trampoline_kernelINS0_14default_configENS1_25partition_config_selectorILNS1_17partition_subalgoE8ElNS0_10empty_typeEbEEZZNS1_14partition_implILS5_8ELb0ES3_jPlPS6_PKS6_NS0_5tupleIJS9_S6_EEENSD_IJSA_SA_EEENS0_18inequality_wrapperIZN2at6native12_GLOBAL__N_124unique_dim_cuda_templateImEESt5tupleIJNSH_6TensorESM_SM_EERKSM_lbbbEUlllE0_EEPmJS6_EEE10hipError_tPvRmT3_T4_T5_T6_T7_T9_mT8_P12ihipStream_tbDpT10_ENKUlT_T0_E_clISt17integral_constantIbLb0EES1C_EEDaS17_S18_EUlS17_E_NS1_11comp_targetILNS1_3genE5ELNS1_11target_archE942ELNS1_3gpuE9ELNS1_3repE0EEENS1_30default_config_static_selectorELNS0_4arch9wavefront6targetE0EEEvT1_.kd
    .uniform_work_group_size: 1
    .uses_dynamic_stack: false
    .vgpr_count:     0
    .vgpr_spill_count: 0
    .wavefront_size: 32
  - .args:
      - .offset:         0
        .size:           120
        .value_kind:     by_value
    .group_segment_fixed_size: 0
    .kernarg_segment_align: 8
    .kernarg_segment_size: 120
    .language:       OpenCL C
    .language_version:
      - 2
      - 0
    .max_flat_workgroup_size: 256
    .name:           _ZN7rocprim17ROCPRIM_400000_NS6detail17trampoline_kernelINS0_14default_configENS1_25partition_config_selectorILNS1_17partition_subalgoE8ElNS0_10empty_typeEbEEZZNS1_14partition_implILS5_8ELb0ES3_jPlPS6_PKS6_NS0_5tupleIJS9_S6_EEENSD_IJSA_SA_EEENS0_18inequality_wrapperIZN2at6native12_GLOBAL__N_124unique_dim_cuda_templateImEESt5tupleIJNSH_6TensorESM_SM_EERKSM_lbbbEUlllE0_EEPmJS6_EEE10hipError_tPvRmT3_T4_T5_T6_T7_T9_mT8_P12ihipStream_tbDpT10_ENKUlT_T0_E_clISt17integral_constantIbLb0EES1C_EEDaS17_S18_EUlS17_E_NS1_11comp_targetILNS1_3genE4ELNS1_11target_archE910ELNS1_3gpuE8ELNS1_3repE0EEENS1_30default_config_static_selectorELNS0_4arch9wavefront6targetE0EEEvT1_
    .private_segment_fixed_size: 0
    .sgpr_count:     0
    .sgpr_spill_count: 0
    .symbol:         _ZN7rocprim17ROCPRIM_400000_NS6detail17trampoline_kernelINS0_14default_configENS1_25partition_config_selectorILNS1_17partition_subalgoE8ElNS0_10empty_typeEbEEZZNS1_14partition_implILS5_8ELb0ES3_jPlPS6_PKS6_NS0_5tupleIJS9_S6_EEENSD_IJSA_SA_EEENS0_18inequality_wrapperIZN2at6native12_GLOBAL__N_124unique_dim_cuda_templateImEESt5tupleIJNSH_6TensorESM_SM_EERKSM_lbbbEUlllE0_EEPmJS6_EEE10hipError_tPvRmT3_T4_T5_T6_T7_T9_mT8_P12ihipStream_tbDpT10_ENKUlT_T0_E_clISt17integral_constantIbLb0EES1C_EEDaS17_S18_EUlS17_E_NS1_11comp_targetILNS1_3genE4ELNS1_11target_archE910ELNS1_3gpuE8ELNS1_3repE0EEENS1_30default_config_static_selectorELNS0_4arch9wavefront6targetE0EEEvT1_.kd
    .uniform_work_group_size: 1
    .uses_dynamic_stack: false
    .vgpr_count:     0
    .vgpr_spill_count: 0
    .wavefront_size: 32
  - .args:
      - .offset:         0
        .size:           120
        .value_kind:     by_value
    .group_segment_fixed_size: 0
    .kernarg_segment_align: 8
    .kernarg_segment_size: 120
    .language:       OpenCL C
    .language_version:
      - 2
      - 0
    .max_flat_workgroup_size: 512
    .name:           _ZN7rocprim17ROCPRIM_400000_NS6detail17trampoline_kernelINS0_14default_configENS1_25partition_config_selectorILNS1_17partition_subalgoE8ElNS0_10empty_typeEbEEZZNS1_14partition_implILS5_8ELb0ES3_jPlPS6_PKS6_NS0_5tupleIJS9_S6_EEENSD_IJSA_SA_EEENS0_18inequality_wrapperIZN2at6native12_GLOBAL__N_124unique_dim_cuda_templateImEESt5tupleIJNSH_6TensorESM_SM_EERKSM_lbbbEUlllE0_EEPmJS6_EEE10hipError_tPvRmT3_T4_T5_T6_T7_T9_mT8_P12ihipStream_tbDpT10_ENKUlT_T0_E_clISt17integral_constantIbLb0EES1C_EEDaS17_S18_EUlS17_E_NS1_11comp_targetILNS1_3genE3ELNS1_11target_archE908ELNS1_3gpuE7ELNS1_3repE0EEENS1_30default_config_static_selectorELNS0_4arch9wavefront6targetE0EEEvT1_
    .private_segment_fixed_size: 0
    .sgpr_count:     0
    .sgpr_spill_count: 0
    .symbol:         _ZN7rocprim17ROCPRIM_400000_NS6detail17trampoline_kernelINS0_14default_configENS1_25partition_config_selectorILNS1_17partition_subalgoE8ElNS0_10empty_typeEbEEZZNS1_14partition_implILS5_8ELb0ES3_jPlPS6_PKS6_NS0_5tupleIJS9_S6_EEENSD_IJSA_SA_EEENS0_18inequality_wrapperIZN2at6native12_GLOBAL__N_124unique_dim_cuda_templateImEESt5tupleIJNSH_6TensorESM_SM_EERKSM_lbbbEUlllE0_EEPmJS6_EEE10hipError_tPvRmT3_T4_T5_T6_T7_T9_mT8_P12ihipStream_tbDpT10_ENKUlT_T0_E_clISt17integral_constantIbLb0EES1C_EEDaS17_S18_EUlS17_E_NS1_11comp_targetILNS1_3genE3ELNS1_11target_archE908ELNS1_3gpuE7ELNS1_3repE0EEENS1_30default_config_static_selectorELNS0_4arch9wavefront6targetE0EEEvT1_.kd
    .uniform_work_group_size: 1
    .uses_dynamic_stack: false
    .vgpr_count:     0
    .vgpr_spill_count: 0
    .wavefront_size: 32
  - .args:
      - .offset:         0
        .size:           120
        .value_kind:     by_value
    .group_segment_fixed_size: 0
    .kernarg_segment_align: 8
    .kernarg_segment_size: 120
    .language:       OpenCL C
    .language_version:
      - 2
      - 0
    .max_flat_workgroup_size: 256
    .name:           _ZN7rocprim17ROCPRIM_400000_NS6detail17trampoline_kernelINS0_14default_configENS1_25partition_config_selectorILNS1_17partition_subalgoE8ElNS0_10empty_typeEbEEZZNS1_14partition_implILS5_8ELb0ES3_jPlPS6_PKS6_NS0_5tupleIJS9_S6_EEENSD_IJSA_SA_EEENS0_18inequality_wrapperIZN2at6native12_GLOBAL__N_124unique_dim_cuda_templateImEESt5tupleIJNSH_6TensorESM_SM_EERKSM_lbbbEUlllE0_EEPmJS6_EEE10hipError_tPvRmT3_T4_T5_T6_T7_T9_mT8_P12ihipStream_tbDpT10_ENKUlT_T0_E_clISt17integral_constantIbLb0EES1C_EEDaS17_S18_EUlS17_E_NS1_11comp_targetILNS1_3genE2ELNS1_11target_archE906ELNS1_3gpuE6ELNS1_3repE0EEENS1_30default_config_static_selectorELNS0_4arch9wavefront6targetE0EEEvT1_
    .private_segment_fixed_size: 0
    .sgpr_count:     0
    .sgpr_spill_count: 0
    .symbol:         _ZN7rocprim17ROCPRIM_400000_NS6detail17trampoline_kernelINS0_14default_configENS1_25partition_config_selectorILNS1_17partition_subalgoE8ElNS0_10empty_typeEbEEZZNS1_14partition_implILS5_8ELb0ES3_jPlPS6_PKS6_NS0_5tupleIJS9_S6_EEENSD_IJSA_SA_EEENS0_18inequality_wrapperIZN2at6native12_GLOBAL__N_124unique_dim_cuda_templateImEESt5tupleIJNSH_6TensorESM_SM_EERKSM_lbbbEUlllE0_EEPmJS6_EEE10hipError_tPvRmT3_T4_T5_T6_T7_T9_mT8_P12ihipStream_tbDpT10_ENKUlT_T0_E_clISt17integral_constantIbLb0EES1C_EEDaS17_S18_EUlS17_E_NS1_11comp_targetILNS1_3genE2ELNS1_11target_archE906ELNS1_3gpuE6ELNS1_3repE0EEENS1_30default_config_static_selectorELNS0_4arch9wavefront6targetE0EEEvT1_.kd
    .uniform_work_group_size: 1
    .uses_dynamic_stack: false
    .vgpr_count:     0
    .vgpr_spill_count: 0
    .wavefront_size: 32
  - .args:
      - .offset:         0
        .size:           120
        .value_kind:     by_value
    .group_segment_fixed_size: 0
    .kernarg_segment_align: 8
    .kernarg_segment_size: 120
    .language:       OpenCL C
    .language_version:
      - 2
      - 0
    .max_flat_workgroup_size: 384
    .name:           _ZN7rocprim17ROCPRIM_400000_NS6detail17trampoline_kernelINS0_14default_configENS1_25partition_config_selectorILNS1_17partition_subalgoE8ElNS0_10empty_typeEbEEZZNS1_14partition_implILS5_8ELb0ES3_jPlPS6_PKS6_NS0_5tupleIJS9_S6_EEENSD_IJSA_SA_EEENS0_18inequality_wrapperIZN2at6native12_GLOBAL__N_124unique_dim_cuda_templateImEESt5tupleIJNSH_6TensorESM_SM_EERKSM_lbbbEUlllE0_EEPmJS6_EEE10hipError_tPvRmT3_T4_T5_T6_T7_T9_mT8_P12ihipStream_tbDpT10_ENKUlT_T0_E_clISt17integral_constantIbLb0EES1C_EEDaS17_S18_EUlS17_E_NS1_11comp_targetILNS1_3genE10ELNS1_11target_archE1200ELNS1_3gpuE4ELNS1_3repE0EEENS1_30default_config_static_selectorELNS0_4arch9wavefront6targetE0EEEvT1_
    .private_segment_fixed_size: 0
    .sgpr_count:     0
    .sgpr_spill_count: 0
    .symbol:         _ZN7rocprim17ROCPRIM_400000_NS6detail17trampoline_kernelINS0_14default_configENS1_25partition_config_selectorILNS1_17partition_subalgoE8ElNS0_10empty_typeEbEEZZNS1_14partition_implILS5_8ELb0ES3_jPlPS6_PKS6_NS0_5tupleIJS9_S6_EEENSD_IJSA_SA_EEENS0_18inequality_wrapperIZN2at6native12_GLOBAL__N_124unique_dim_cuda_templateImEESt5tupleIJNSH_6TensorESM_SM_EERKSM_lbbbEUlllE0_EEPmJS6_EEE10hipError_tPvRmT3_T4_T5_T6_T7_T9_mT8_P12ihipStream_tbDpT10_ENKUlT_T0_E_clISt17integral_constantIbLb0EES1C_EEDaS17_S18_EUlS17_E_NS1_11comp_targetILNS1_3genE10ELNS1_11target_archE1200ELNS1_3gpuE4ELNS1_3repE0EEENS1_30default_config_static_selectorELNS0_4arch9wavefront6targetE0EEEvT1_.kd
    .uniform_work_group_size: 1
    .uses_dynamic_stack: false
    .vgpr_count:     0
    .vgpr_spill_count: 0
    .wavefront_size: 32
  - .args:
      - .offset:         0
        .size:           120
        .value_kind:     by_value
    .group_segment_fixed_size: 0
    .kernarg_segment_align: 8
    .kernarg_segment_size: 120
    .language:       OpenCL C
    .language_version:
      - 2
      - 0
    .max_flat_workgroup_size: 512
    .name:           _ZN7rocprim17ROCPRIM_400000_NS6detail17trampoline_kernelINS0_14default_configENS1_25partition_config_selectorILNS1_17partition_subalgoE8ElNS0_10empty_typeEbEEZZNS1_14partition_implILS5_8ELb0ES3_jPlPS6_PKS6_NS0_5tupleIJS9_S6_EEENSD_IJSA_SA_EEENS0_18inequality_wrapperIZN2at6native12_GLOBAL__N_124unique_dim_cuda_templateImEESt5tupleIJNSH_6TensorESM_SM_EERKSM_lbbbEUlllE0_EEPmJS6_EEE10hipError_tPvRmT3_T4_T5_T6_T7_T9_mT8_P12ihipStream_tbDpT10_ENKUlT_T0_E_clISt17integral_constantIbLb0EES1C_EEDaS17_S18_EUlS17_E_NS1_11comp_targetILNS1_3genE9ELNS1_11target_archE1100ELNS1_3gpuE3ELNS1_3repE0EEENS1_30default_config_static_selectorELNS0_4arch9wavefront6targetE0EEEvT1_
    .private_segment_fixed_size: 0
    .sgpr_count:     0
    .sgpr_spill_count: 0
    .symbol:         _ZN7rocprim17ROCPRIM_400000_NS6detail17trampoline_kernelINS0_14default_configENS1_25partition_config_selectorILNS1_17partition_subalgoE8ElNS0_10empty_typeEbEEZZNS1_14partition_implILS5_8ELb0ES3_jPlPS6_PKS6_NS0_5tupleIJS9_S6_EEENSD_IJSA_SA_EEENS0_18inequality_wrapperIZN2at6native12_GLOBAL__N_124unique_dim_cuda_templateImEESt5tupleIJNSH_6TensorESM_SM_EERKSM_lbbbEUlllE0_EEPmJS6_EEE10hipError_tPvRmT3_T4_T5_T6_T7_T9_mT8_P12ihipStream_tbDpT10_ENKUlT_T0_E_clISt17integral_constantIbLb0EES1C_EEDaS17_S18_EUlS17_E_NS1_11comp_targetILNS1_3genE9ELNS1_11target_archE1100ELNS1_3gpuE3ELNS1_3repE0EEENS1_30default_config_static_selectorELNS0_4arch9wavefront6targetE0EEEvT1_.kd
    .uniform_work_group_size: 1
    .uses_dynamic_stack: false
    .vgpr_count:     0
    .vgpr_spill_count: 0
    .wavefront_size: 32
  - .args:
      - .offset:         0
        .size:           120
        .value_kind:     by_value
    .group_segment_fixed_size: 0
    .kernarg_segment_align: 8
    .kernarg_segment_size: 120
    .language:       OpenCL C
    .language_version:
      - 2
      - 0
    .max_flat_workgroup_size: 512
    .name:           _ZN7rocprim17ROCPRIM_400000_NS6detail17trampoline_kernelINS0_14default_configENS1_25partition_config_selectorILNS1_17partition_subalgoE8ElNS0_10empty_typeEbEEZZNS1_14partition_implILS5_8ELb0ES3_jPlPS6_PKS6_NS0_5tupleIJS9_S6_EEENSD_IJSA_SA_EEENS0_18inequality_wrapperIZN2at6native12_GLOBAL__N_124unique_dim_cuda_templateImEESt5tupleIJNSH_6TensorESM_SM_EERKSM_lbbbEUlllE0_EEPmJS6_EEE10hipError_tPvRmT3_T4_T5_T6_T7_T9_mT8_P12ihipStream_tbDpT10_ENKUlT_T0_E_clISt17integral_constantIbLb0EES1C_EEDaS17_S18_EUlS17_E_NS1_11comp_targetILNS1_3genE8ELNS1_11target_archE1030ELNS1_3gpuE2ELNS1_3repE0EEENS1_30default_config_static_selectorELNS0_4arch9wavefront6targetE0EEEvT1_
    .private_segment_fixed_size: 0
    .sgpr_count:     0
    .sgpr_spill_count: 0
    .symbol:         _ZN7rocprim17ROCPRIM_400000_NS6detail17trampoline_kernelINS0_14default_configENS1_25partition_config_selectorILNS1_17partition_subalgoE8ElNS0_10empty_typeEbEEZZNS1_14partition_implILS5_8ELb0ES3_jPlPS6_PKS6_NS0_5tupleIJS9_S6_EEENSD_IJSA_SA_EEENS0_18inequality_wrapperIZN2at6native12_GLOBAL__N_124unique_dim_cuda_templateImEESt5tupleIJNSH_6TensorESM_SM_EERKSM_lbbbEUlllE0_EEPmJS6_EEE10hipError_tPvRmT3_T4_T5_T6_T7_T9_mT8_P12ihipStream_tbDpT10_ENKUlT_T0_E_clISt17integral_constantIbLb0EES1C_EEDaS17_S18_EUlS17_E_NS1_11comp_targetILNS1_3genE8ELNS1_11target_archE1030ELNS1_3gpuE2ELNS1_3repE0EEENS1_30default_config_static_selectorELNS0_4arch9wavefront6targetE0EEEvT1_.kd
    .uniform_work_group_size: 1
    .uses_dynamic_stack: false
    .vgpr_count:     0
    .vgpr_spill_count: 0
    .wavefront_size: 32
  - .args:
      - .offset:         0
        .size:           136
        .value_kind:     by_value
    .group_segment_fixed_size: 0
    .kernarg_segment_align: 8
    .kernarg_segment_size: 136
    .language:       OpenCL C
    .language_version:
      - 2
      - 0
    .max_flat_workgroup_size: 512
    .name:           _ZN7rocprim17ROCPRIM_400000_NS6detail17trampoline_kernelINS0_14default_configENS1_25partition_config_selectorILNS1_17partition_subalgoE8ElNS0_10empty_typeEbEEZZNS1_14partition_implILS5_8ELb0ES3_jPlPS6_PKS6_NS0_5tupleIJS9_S6_EEENSD_IJSA_SA_EEENS0_18inequality_wrapperIZN2at6native12_GLOBAL__N_124unique_dim_cuda_templateImEESt5tupleIJNSH_6TensorESM_SM_EERKSM_lbbbEUlllE0_EEPmJS6_EEE10hipError_tPvRmT3_T4_T5_T6_T7_T9_mT8_P12ihipStream_tbDpT10_ENKUlT_T0_E_clISt17integral_constantIbLb1EES1C_EEDaS17_S18_EUlS17_E_NS1_11comp_targetILNS1_3genE0ELNS1_11target_archE4294967295ELNS1_3gpuE0ELNS1_3repE0EEENS1_30default_config_static_selectorELNS0_4arch9wavefront6targetE0EEEvT1_
    .private_segment_fixed_size: 0
    .sgpr_count:     0
    .sgpr_spill_count: 0
    .symbol:         _ZN7rocprim17ROCPRIM_400000_NS6detail17trampoline_kernelINS0_14default_configENS1_25partition_config_selectorILNS1_17partition_subalgoE8ElNS0_10empty_typeEbEEZZNS1_14partition_implILS5_8ELb0ES3_jPlPS6_PKS6_NS0_5tupleIJS9_S6_EEENSD_IJSA_SA_EEENS0_18inequality_wrapperIZN2at6native12_GLOBAL__N_124unique_dim_cuda_templateImEESt5tupleIJNSH_6TensorESM_SM_EERKSM_lbbbEUlllE0_EEPmJS6_EEE10hipError_tPvRmT3_T4_T5_T6_T7_T9_mT8_P12ihipStream_tbDpT10_ENKUlT_T0_E_clISt17integral_constantIbLb1EES1C_EEDaS17_S18_EUlS17_E_NS1_11comp_targetILNS1_3genE0ELNS1_11target_archE4294967295ELNS1_3gpuE0ELNS1_3repE0EEENS1_30default_config_static_selectorELNS0_4arch9wavefront6targetE0EEEvT1_.kd
    .uniform_work_group_size: 1
    .uses_dynamic_stack: false
    .vgpr_count:     0
    .vgpr_spill_count: 0
    .wavefront_size: 32
  - .args:
      - .offset:         0
        .size:           136
        .value_kind:     by_value
    .group_segment_fixed_size: 0
    .kernarg_segment_align: 8
    .kernarg_segment_size: 136
    .language:       OpenCL C
    .language_version:
      - 2
      - 0
    .max_flat_workgroup_size: 512
    .name:           _ZN7rocprim17ROCPRIM_400000_NS6detail17trampoline_kernelINS0_14default_configENS1_25partition_config_selectorILNS1_17partition_subalgoE8ElNS0_10empty_typeEbEEZZNS1_14partition_implILS5_8ELb0ES3_jPlPS6_PKS6_NS0_5tupleIJS9_S6_EEENSD_IJSA_SA_EEENS0_18inequality_wrapperIZN2at6native12_GLOBAL__N_124unique_dim_cuda_templateImEESt5tupleIJNSH_6TensorESM_SM_EERKSM_lbbbEUlllE0_EEPmJS6_EEE10hipError_tPvRmT3_T4_T5_T6_T7_T9_mT8_P12ihipStream_tbDpT10_ENKUlT_T0_E_clISt17integral_constantIbLb1EES1C_EEDaS17_S18_EUlS17_E_NS1_11comp_targetILNS1_3genE5ELNS1_11target_archE942ELNS1_3gpuE9ELNS1_3repE0EEENS1_30default_config_static_selectorELNS0_4arch9wavefront6targetE0EEEvT1_
    .private_segment_fixed_size: 0
    .sgpr_count:     0
    .sgpr_spill_count: 0
    .symbol:         _ZN7rocprim17ROCPRIM_400000_NS6detail17trampoline_kernelINS0_14default_configENS1_25partition_config_selectorILNS1_17partition_subalgoE8ElNS0_10empty_typeEbEEZZNS1_14partition_implILS5_8ELb0ES3_jPlPS6_PKS6_NS0_5tupleIJS9_S6_EEENSD_IJSA_SA_EEENS0_18inequality_wrapperIZN2at6native12_GLOBAL__N_124unique_dim_cuda_templateImEESt5tupleIJNSH_6TensorESM_SM_EERKSM_lbbbEUlllE0_EEPmJS6_EEE10hipError_tPvRmT3_T4_T5_T6_T7_T9_mT8_P12ihipStream_tbDpT10_ENKUlT_T0_E_clISt17integral_constantIbLb1EES1C_EEDaS17_S18_EUlS17_E_NS1_11comp_targetILNS1_3genE5ELNS1_11target_archE942ELNS1_3gpuE9ELNS1_3repE0EEENS1_30default_config_static_selectorELNS0_4arch9wavefront6targetE0EEEvT1_.kd
    .uniform_work_group_size: 1
    .uses_dynamic_stack: false
    .vgpr_count:     0
    .vgpr_spill_count: 0
    .wavefront_size: 32
  - .args:
      - .offset:         0
        .size:           136
        .value_kind:     by_value
    .group_segment_fixed_size: 0
    .kernarg_segment_align: 8
    .kernarg_segment_size: 136
    .language:       OpenCL C
    .language_version:
      - 2
      - 0
    .max_flat_workgroup_size: 256
    .name:           _ZN7rocprim17ROCPRIM_400000_NS6detail17trampoline_kernelINS0_14default_configENS1_25partition_config_selectorILNS1_17partition_subalgoE8ElNS0_10empty_typeEbEEZZNS1_14partition_implILS5_8ELb0ES3_jPlPS6_PKS6_NS0_5tupleIJS9_S6_EEENSD_IJSA_SA_EEENS0_18inequality_wrapperIZN2at6native12_GLOBAL__N_124unique_dim_cuda_templateImEESt5tupleIJNSH_6TensorESM_SM_EERKSM_lbbbEUlllE0_EEPmJS6_EEE10hipError_tPvRmT3_T4_T5_T6_T7_T9_mT8_P12ihipStream_tbDpT10_ENKUlT_T0_E_clISt17integral_constantIbLb1EES1C_EEDaS17_S18_EUlS17_E_NS1_11comp_targetILNS1_3genE4ELNS1_11target_archE910ELNS1_3gpuE8ELNS1_3repE0EEENS1_30default_config_static_selectorELNS0_4arch9wavefront6targetE0EEEvT1_
    .private_segment_fixed_size: 0
    .sgpr_count:     0
    .sgpr_spill_count: 0
    .symbol:         _ZN7rocprim17ROCPRIM_400000_NS6detail17trampoline_kernelINS0_14default_configENS1_25partition_config_selectorILNS1_17partition_subalgoE8ElNS0_10empty_typeEbEEZZNS1_14partition_implILS5_8ELb0ES3_jPlPS6_PKS6_NS0_5tupleIJS9_S6_EEENSD_IJSA_SA_EEENS0_18inequality_wrapperIZN2at6native12_GLOBAL__N_124unique_dim_cuda_templateImEESt5tupleIJNSH_6TensorESM_SM_EERKSM_lbbbEUlllE0_EEPmJS6_EEE10hipError_tPvRmT3_T4_T5_T6_T7_T9_mT8_P12ihipStream_tbDpT10_ENKUlT_T0_E_clISt17integral_constantIbLb1EES1C_EEDaS17_S18_EUlS17_E_NS1_11comp_targetILNS1_3genE4ELNS1_11target_archE910ELNS1_3gpuE8ELNS1_3repE0EEENS1_30default_config_static_selectorELNS0_4arch9wavefront6targetE0EEEvT1_.kd
    .uniform_work_group_size: 1
    .uses_dynamic_stack: false
    .vgpr_count:     0
    .vgpr_spill_count: 0
    .wavefront_size: 32
  - .args:
      - .offset:         0
        .size:           136
        .value_kind:     by_value
    .group_segment_fixed_size: 0
    .kernarg_segment_align: 8
    .kernarg_segment_size: 136
    .language:       OpenCL C
    .language_version:
      - 2
      - 0
    .max_flat_workgroup_size: 512
    .name:           _ZN7rocprim17ROCPRIM_400000_NS6detail17trampoline_kernelINS0_14default_configENS1_25partition_config_selectorILNS1_17partition_subalgoE8ElNS0_10empty_typeEbEEZZNS1_14partition_implILS5_8ELb0ES3_jPlPS6_PKS6_NS0_5tupleIJS9_S6_EEENSD_IJSA_SA_EEENS0_18inequality_wrapperIZN2at6native12_GLOBAL__N_124unique_dim_cuda_templateImEESt5tupleIJNSH_6TensorESM_SM_EERKSM_lbbbEUlllE0_EEPmJS6_EEE10hipError_tPvRmT3_T4_T5_T6_T7_T9_mT8_P12ihipStream_tbDpT10_ENKUlT_T0_E_clISt17integral_constantIbLb1EES1C_EEDaS17_S18_EUlS17_E_NS1_11comp_targetILNS1_3genE3ELNS1_11target_archE908ELNS1_3gpuE7ELNS1_3repE0EEENS1_30default_config_static_selectorELNS0_4arch9wavefront6targetE0EEEvT1_
    .private_segment_fixed_size: 0
    .sgpr_count:     0
    .sgpr_spill_count: 0
    .symbol:         _ZN7rocprim17ROCPRIM_400000_NS6detail17trampoline_kernelINS0_14default_configENS1_25partition_config_selectorILNS1_17partition_subalgoE8ElNS0_10empty_typeEbEEZZNS1_14partition_implILS5_8ELb0ES3_jPlPS6_PKS6_NS0_5tupleIJS9_S6_EEENSD_IJSA_SA_EEENS0_18inequality_wrapperIZN2at6native12_GLOBAL__N_124unique_dim_cuda_templateImEESt5tupleIJNSH_6TensorESM_SM_EERKSM_lbbbEUlllE0_EEPmJS6_EEE10hipError_tPvRmT3_T4_T5_T6_T7_T9_mT8_P12ihipStream_tbDpT10_ENKUlT_T0_E_clISt17integral_constantIbLb1EES1C_EEDaS17_S18_EUlS17_E_NS1_11comp_targetILNS1_3genE3ELNS1_11target_archE908ELNS1_3gpuE7ELNS1_3repE0EEENS1_30default_config_static_selectorELNS0_4arch9wavefront6targetE0EEEvT1_.kd
    .uniform_work_group_size: 1
    .uses_dynamic_stack: false
    .vgpr_count:     0
    .vgpr_spill_count: 0
    .wavefront_size: 32
  - .args:
      - .offset:         0
        .size:           136
        .value_kind:     by_value
    .group_segment_fixed_size: 0
    .kernarg_segment_align: 8
    .kernarg_segment_size: 136
    .language:       OpenCL C
    .language_version:
      - 2
      - 0
    .max_flat_workgroup_size: 256
    .name:           _ZN7rocprim17ROCPRIM_400000_NS6detail17trampoline_kernelINS0_14default_configENS1_25partition_config_selectorILNS1_17partition_subalgoE8ElNS0_10empty_typeEbEEZZNS1_14partition_implILS5_8ELb0ES3_jPlPS6_PKS6_NS0_5tupleIJS9_S6_EEENSD_IJSA_SA_EEENS0_18inequality_wrapperIZN2at6native12_GLOBAL__N_124unique_dim_cuda_templateImEESt5tupleIJNSH_6TensorESM_SM_EERKSM_lbbbEUlllE0_EEPmJS6_EEE10hipError_tPvRmT3_T4_T5_T6_T7_T9_mT8_P12ihipStream_tbDpT10_ENKUlT_T0_E_clISt17integral_constantIbLb1EES1C_EEDaS17_S18_EUlS17_E_NS1_11comp_targetILNS1_3genE2ELNS1_11target_archE906ELNS1_3gpuE6ELNS1_3repE0EEENS1_30default_config_static_selectorELNS0_4arch9wavefront6targetE0EEEvT1_
    .private_segment_fixed_size: 0
    .sgpr_count:     0
    .sgpr_spill_count: 0
    .symbol:         _ZN7rocprim17ROCPRIM_400000_NS6detail17trampoline_kernelINS0_14default_configENS1_25partition_config_selectorILNS1_17partition_subalgoE8ElNS0_10empty_typeEbEEZZNS1_14partition_implILS5_8ELb0ES3_jPlPS6_PKS6_NS0_5tupleIJS9_S6_EEENSD_IJSA_SA_EEENS0_18inequality_wrapperIZN2at6native12_GLOBAL__N_124unique_dim_cuda_templateImEESt5tupleIJNSH_6TensorESM_SM_EERKSM_lbbbEUlllE0_EEPmJS6_EEE10hipError_tPvRmT3_T4_T5_T6_T7_T9_mT8_P12ihipStream_tbDpT10_ENKUlT_T0_E_clISt17integral_constantIbLb1EES1C_EEDaS17_S18_EUlS17_E_NS1_11comp_targetILNS1_3genE2ELNS1_11target_archE906ELNS1_3gpuE6ELNS1_3repE0EEENS1_30default_config_static_selectorELNS0_4arch9wavefront6targetE0EEEvT1_.kd
    .uniform_work_group_size: 1
    .uses_dynamic_stack: false
    .vgpr_count:     0
    .vgpr_spill_count: 0
    .wavefront_size: 32
  - .args:
      - .offset:         0
        .size:           136
        .value_kind:     by_value
    .group_segment_fixed_size: 0
    .kernarg_segment_align: 8
    .kernarg_segment_size: 136
    .language:       OpenCL C
    .language_version:
      - 2
      - 0
    .max_flat_workgroup_size: 384
    .name:           _ZN7rocprim17ROCPRIM_400000_NS6detail17trampoline_kernelINS0_14default_configENS1_25partition_config_selectorILNS1_17partition_subalgoE8ElNS0_10empty_typeEbEEZZNS1_14partition_implILS5_8ELb0ES3_jPlPS6_PKS6_NS0_5tupleIJS9_S6_EEENSD_IJSA_SA_EEENS0_18inequality_wrapperIZN2at6native12_GLOBAL__N_124unique_dim_cuda_templateImEESt5tupleIJNSH_6TensorESM_SM_EERKSM_lbbbEUlllE0_EEPmJS6_EEE10hipError_tPvRmT3_T4_T5_T6_T7_T9_mT8_P12ihipStream_tbDpT10_ENKUlT_T0_E_clISt17integral_constantIbLb1EES1C_EEDaS17_S18_EUlS17_E_NS1_11comp_targetILNS1_3genE10ELNS1_11target_archE1200ELNS1_3gpuE4ELNS1_3repE0EEENS1_30default_config_static_selectorELNS0_4arch9wavefront6targetE0EEEvT1_
    .private_segment_fixed_size: 0
    .sgpr_count:     0
    .sgpr_spill_count: 0
    .symbol:         _ZN7rocprim17ROCPRIM_400000_NS6detail17trampoline_kernelINS0_14default_configENS1_25partition_config_selectorILNS1_17partition_subalgoE8ElNS0_10empty_typeEbEEZZNS1_14partition_implILS5_8ELb0ES3_jPlPS6_PKS6_NS0_5tupleIJS9_S6_EEENSD_IJSA_SA_EEENS0_18inequality_wrapperIZN2at6native12_GLOBAL__N_124unique_dim_cuda_templateImEESt5tupleIJNSH_6TensorESM_SM_EERKSM_lbbbEUlllE0_EEPmJS6_EEE10hipError_tPvRmT3_T4_T5_T6_T7_T9_mT8_P12ihipStream_tbDpT10_ENKUlT_T0_E_clISt17integral_constantIbLb1EES1C_EEDaS17_S18_EUlS17_E_NS1_11comp_targetILNS1_3genE10ELNS1_11target_archE1200ELNS1_3gpuE4ELNS1_3repE0EEENS1_30default_config_static_selectorELNS0_4arch9wavefront6targetE0EEEvT1_.kd
    .uniform_work_group_size: 1
    .uses_dynamic_stack: false
    .vgpr_count:     0
    .vgpr_spill_count: 0
    .wavefront_size: 32
  - .args:
      - .offset:         0
        .size:           136
        .value_kind:     by_value
    .group_segment_fixed_size: 0
    .kernarg_segment_align: 8
    .kernarg_segment_size: 136
    .language:       OpenCL C
    .language_version:
      - 2
      - 0
    .max_flat_workgroup_size: 512
    .name:           _ZN7rocprim17ROCPRIM_400000_NS6detail17trampoline_kernelINS0_14default_configENS1_25partition_config_selectorILNS1_17partition_subalgoE8ElNS0_10empty_typeEbEEZZNS1_14partition_implILS5_8ELb0ES3_jPlPS6_PKS6_NS0_5tupleIJS9_S6_EEENSD_IJSA_SA_EEENS0_18inequality_wrapperIZN2at6native12_GLOBAL__N_124unique_dim_cuda_templateImEESt5tupleIJNSH_6TensorESM_SM_EERKSM_lbbbEUlllE0_EEPmJS6_EEE10hipError_tPvRmT3_T4_T5_T6_T7_T9_mT8_P12ihipStream_tbDpT10_ENKUlT_T0_E_clISt17integral_constantIbLb1EES1C_EEDaS17_S18_EUlS17_E_NS1_11comp_targetILNS1_3genE9ELNS1_11target_archE1100ELNS1_3gpuE3ELNS1_3repE0EEENS1_30default_config_static_selectorELNS0_4arch9wavefront6targetE0EEEvT1_
    .private_segment_fixed_size: 0
    .sgpr_count:     0
    .sgpr_spill_count: 0
    .symbol:         _ZN7rocprim17ROCPRIM_400000_NS6detail17trampoline_kernelINS0_14default_configENS1_25partition_config_selectorILNS1_17partition_subalgoE8ElNS0_10empty_typeEbEEZZNS1_14partition_implILS5_8ELb0ES3_jPlPS6_PKS6_NS0_5tupleIJS9_S6_EEENSD_IJSA_SA_EEENS0_18inequality_wrapperIZN2at6native12_GLOBAL__N_124unique_dim_cuda_templateImEESt5tupleIJNSH_6TensorESM_SM_EERKSM_lbbbEUlllE0_EEPmJS6_EEE10hipError_tPvRmT3_T4_T5_T6_T7_T9_mT8_P12ihipStream_tbDpT10_ENKUlT_T0_E_clISt17integral_constantIbLb1EES1C_EEDaS17_S18_EUlS17_E_NS1_11comp_targetILNS1_3genE9ELNS1_11target_archE1100ELNS1_3gpuE3ELNS1_3repE0EEENS1_30default_config_static_selectorELNS0_4arch9wavefront6targetE0EEEvT1_.kd
    .uniform_work_group_size: 1
    .uses_dynamic_stack: false
    .vgpr_count:     0
    .vgpr_spill_count: 0
    .wavefront_size: 32
  - .args:
      - .offset:         0
        .size:           136
        .value_kind:     by_value
    .group_segment_fixed_size: 0
    .kernarg_segment_align: 8
    .kernarg_segment_size: 136
    .language:       OpenCL C
    .language_version:
      - 2
      - 0
    .max_flat_workgroup_size: 512
    .name:           _ZN7rocprim17ROCPRIM_400000_NS6detail17trampoline_kernelINS0_14default_configENS1_25partition_config_selectorILNS1_17partition_subalgoE8ElNS0_10empty_typeEbEEZZNS1_14partition_implILS5_8ELb0ES3_jPlPS6_PKS6_NS0_5tupleIJS9_S6_EEENSD_IJSA_SA_EEENS0_18inequality_wrapperIZN2at6native12_GLOBAL__N_124unique_dim_cuda_templateImEESt5tupleIJNSH_6TensorESM_SM_EERKSM_lbbbEUlllE0_EEPmJS6_EEE10hipError_tPvRmT3_T4_T5_T6_T7_T9_mT8_P12ihipStream_tbDpT10_ENKUlT_T0_E_clISt17integral_constantIbLb1EES1C_EEDaS17_S18_EUlS17_E_NS1_11comp_targetILNS1_3genE8ELNS1_11target_archE1030ELNS1_3gpuE2ELNS1_3repE0EEENS1_30default_config_static_selectorELNS0_4arch9wavefront6targetE0EEEvT1_
    .private_segment_fixed_size: 0
    .sgpr_count:     0
    .sgpr_spill_count: 0
    .symbol:         _ZN7rocprim17ROCPRIM_400000_NS6detail17trampoline_kernelINS0_14default_configENS1_25partition_config_selectorILNS1_17partition_subalgoE8ElNS0_10empty_typeEbEEZZNS1_14partition_implILS5_8ELb0ES3_jPlPS6_PKS6_NS0_5tupleIJS9_S6_EEENSD_IJSA_SA_EEENS0_18inequality_wrapperIZN2at6native12_GLOBAL__N_124unique_dim_cuda_templateImEESt5tupleIJNSH_6TensorESM_SM_EERKSM_lbbbEUlllE0_EEPmJS6_EEE10hipError_tPvRmT3_T4_T5_T6_T7_T9_mT8_P12ihipStream_tbDpT10_ENKUlT_T0_E_clISt17integral_constantIbLb1EES1C_EEDaS17_S18_EUlS17_E_NS1_11comp_targetILNS1_3genE8ELNS1_11target_archE1030ELNS1_3gpuE2ELNS1_3repE0EEENS1_30default_config_static_selectorELNS0_4arch9wavefront6targetE0EEEvT1_.kd
    .uniform_work_group_size: 1
    .uses_dynamic_stack: false
    .vgpr_count:     0
    .vgpr_spill_count: 0
    .wavefront_size: 32
  - .args:
      - .offset:         0
        .size:           120
        .value_kind:     by_value
    .group_segment_fixed_size: 0
    .kernarg_segment_align: 8
    .kernarg_segment_size: 120
    .language:       OpenCL C
    .language_version:
      - 2
      - 0
    .max_flat_workgroup_size: 512
    .name:           _ZN7rocprim17ROCPRIM_400000_NS6detail17trampoline_kernelINS0_14default_configENS1_25partition_config_selectorILNS1_17partition_subalgoE8ElNS0_10empty_typeEbEEZZNS1_14partition_implILS5_8ELb0ES3_jPlPS6_PKS6_NS0_5tupleIJS9_S6_EEENSD_IJSA_SA_EEENS0_18inequality_wrapperIZN2at6native12_GLOBAL__N_124unique_dim_cuda_templateImEESt5tupleIJNSH_6TensorESM_SM_EERKSM_lbbbEUlllE0_EEPmJS6_EEE10hipError_tPvRmT3_T4_T5_T6_T7_T9_mT8_P12ihipStream_tbDpT10_ENKUlT_T0_E_clISt17integral_constantIbLb1EES1B_IbLb0EEEEDaS17_S18_EUlS17_E_NS1_11comp_targetILNS1_3genE0ELNS1_11target_archE4294967295ELNS1_3gpuE0ELNS1_3repE0EEENS1_30default_config_static_selectorELNS0_4arch9wavefront6targetE0EEEvT1_
    .private_segment_fixed_size: 0
    .sgpr_count:     0
    .sgpr_spill_count: 0
    .symbol:         _ZN7rocprim17ROCPRIM_400000_NS6detail17trampoline_kernelINS0_14default_configENS1_25partition_config_selectorILNS1_17partition_subalgoE8ElNS0_10empty_typeEbEEZZNS1_14partition_implILS5_8ELb0ES3_jPlPS6_PKS6_NS0_5tupleIJS9_S6_EEENSD_IJSA_SA_EEENS0_18inequality_wrapperIZN2at6native12_GLOBAL__N_124unique_dim_cuda_templateImEESt5tupleIJNSH_6TensorESM_SM_EERKSM_lbbbEUlllE0_EEPmJS6_EEE10hipError_tPvRmT3_T4_T5_T6_T7_T9_mT8_P12ihipStream_tbDpT10_ENKUlT_T0_E_clISt17integral_constantIbLb1EES1B_IbLb0EEEEDaS17_S18_EUlS17_E_NS1_11comp_targetILNS1_3genE0ELNS1_11target_archE4294967295ELNS1_3gpuE0ELNS1_3repE0EEENS1_30default_config_static_selectorELNS0_4arch9wavefront6targetE0EEEvT1_.kd
    .uniform_work_group_size: 1
    .uses_dynamic_stack: false
    .vgpr_count:     0
    .vgpr_spill_count: 0
    .wavefront_size: 32
  - .args:
      - .offset:         0
        .size:           120
        .value_kind:     by_value
    .group_segment_fixed_size: 0
    .kernarg_segment_align: 8
    .kernarg_segment_size: 120
    .language:       OpenCL C
    .language_version:
      - 2
      - 0
    .max_flat_workgroup_size: 512
    .name:           _ZN7rocprim17ROCPRIM_400000_NS6detail17trampoline_kernelINS0_14default_configENS1_25partition_config_selectorILNS1_17partition_subalgoE8ElNS0_10empty_typeEbEEZZNS1_14partition_implILS5_8ELb0ES3_jPlPS6_PKS6_NS0_5tupleIJS9_S6_EEENSD_IJSA_SA_EEENS0_18inequality_wrapperIZN2at6native12_GLOBAL__N_124unique_dim_cuda_templateImEESt5tupleIJNSH_6TensorESM_SM_EERKSM_lbbbEUlllE0_EEPmJS6_EEE10hipError_tPvRmT3_T4_T5_T6_T7_T9_mT8_P12ihipStream_tbDpT10_ENKUlT_T0_E_clISt17integral_constantIbLb1EES1B_IbLb0EEEEDaS17_S18_EUlS17_E_NS1_11comp_targetILNS1_3genE5ELNS1_11target_archE942ELNS1_3gpuE9ELNS1_3repE0EEENS1_30default_config_static_selectorELNS0_4arch9wavefront6targetE0EEEvT1_
    .private_segment_fixed_size: 0
    .sgpr_count:     0
    .sgpr_spill_count: 0
    .symbol:         _ZN7rocprim17ROCPRIM_400000_NS6detail17trampoline_kernelINS0_14default_configENS1_25partition_config_selectorILNS1_17partition_subalgoE8ElNS0_10empty_typeEbEEZZNS1_14partition_implILS5_8ELb0ES3_jPlPS6_PKS6_NS0_5tupleIJS9_S6_EEENSD_IJSA_SA_EEENS0_18inequality_wrapperIZN2at6native12_GLOBAL__N_124unique_dim_cuda_templateImEESt5tupleIJNSH_6TensorESM_SM_EERKSM_lbbbEUlllE0_EEPmJS6_EEE10hipError_tPvRmT3_T4_T5_T6_T7_T9_mT8_P12ihipStream_tbDpT10_ENKUlT_T0_E_clISt17integral_constantIbLb1EES1B_IbLb0EEEEDaS17_S18_EUlS17_E_NS1_11comp_targetILNS1_3genE5ELNS1_11target_archE942ELNS1_3gpuE9ELNS1_3repE0EEENS1_30default_config_static_selectorELNS0_4arch9wavefront6targetE0EEEvT1_.kd
    .uniform_work_group_size: 1
    .uses_dynamic_stack: false
    .vgpr_count:     0
    .vgpr_spill_count: 0
    .wavefront_size: 32
  - .args:
      - .offset:         0
        .size:           120
        .value_kind:     by_value
    .group_segment_fixed_size: 0
    .kernarg_segment_align: 8
    .kernarg_segment_size: 120
    .language:       OpenCL C
    .language_version:
      - 2
      - 0
    .max_flat_workgroup_size: 256
    .name:           _ZN7rocprim17ROCPRIM_400000_NS6detail17trampoline_kernelINS0_14default_configENS1_25partition_config_selectorILNS1_17partition_subalgoE8ElNS0_10empty_typeEbEEZZNS1_14partition_implILS5_8ELb0ES3_jPlPS6_PKS6_NS0_5tupleIJS9_S6_EEENSD_IJSA_SA_EEENS0_18inequality_wrapperIZN2at6native12_GLOBAL__N_124unique_dim_cuda_templateImEESt5tupleIJNSH_6TensorESM_SM_EERKSM_lbbbEUlllE0_EEPmJS6_EEE10hipError_tPvRmT3_T4_T5_T6_T7_T9_mT8_P12ihipStream_tbDpT10_ENKUlT_T0_E_clISt17integral_constantIbLb1EES1B_IbLb0EEEEDaS17_S18_EUlS17_E_NS1_11comp_targetILNS1_3genE4ELNS1_11target_archE910ELNS1_3gpuE8ELNS1_3repE0EEENS1_30default_config_static_selectorELNS0_4arch9wavefront6targetE0EEEvT1_
    .private_segment_fixed_size: 0
    .sgpr_count:     0
    .sgpr_spill_count: 0
    .symbol:         _ZN7rocprim17ROCPRIM_400000_NS6detail17trampoline_kernelINS0_14default_configENS1_25partition_config_selectorILNS1_17partition_subalgoE8ElNS0_10empty_typeEbEEZZNS1_14partition_implILS5_8ELb0ES3_jPlPS6_PKS6_NS0_5tupleIJS9_S6_EEENSD_IJSA_SA_EEENS0_18inequality_wrapperIZN2at6native12_GLOBAL__N_124unique_dim_cuda_templateImEESt5tupleIJNSH_6TensorESM_SM_EERKSM_lbbbEUlllE0_EEPmJS6_EEE10hipError_tPvRmT3_T4_T5_T6_T7_T9_mT8_P12ihipStream_tbDpT10_ENKUlT_T0_E_clISt17integral_constantIbLb1EES1B_IbLb0EEEEDaS17_S18_EUlS17_E_NS1_11comp_targetILNS1_3genE4ELNS1_11target_archE910ELNS1_3gpuE8ELNS1_3repE0EEENS1_30default_config_static_selectorELNS0_4arch9wavefront6targetE0EEEvT1_.kd
    .uniform_work_group_size: 1
    .uses_dynamic_stack: false
    .vgpr_count:     0
    .vgpr_spill_count: 0
    .wavefront_size: 32
  - .args:
      - .offset:         0
        .size:           120
        .value_kind:     by_value
    .group_segment_fixed_size: 0
    .kernarg_segment_align: 8
    .kernarg_segment_size: 120
    .language:       OpenCL C
    .language_version:
      - 2
      - 0
    .max_flat_workgroup_size: 512
    .name:           _ZN7rocprim17ROCPRIM_400000_NS6detail17trampoline_kernelINS0_14default_configENS1_25partition_config_selectorILNS1_17partition_subalgoE8ElNS0_10empty_typeEbEEZZNS1_14partition_implILS5_8ELb0ES3_jPlPS6_PKS6_NS0_5tupleIJS9_S6_EEENSD_IJSA_SA_EEENS0_18inequality_wrapperIZN2at6native12_GLOBAL__N_124unique_dim_cuda_templateImEESt5tupleIJNSH_6TensorESM_SM_EERKSM_lbbbEUlllE0_EEPmJS6_EEE10hipError_tPvRmT3_T4_T5_T6_T7_T9_mT8_P12ihipStream_tbDpT10_ENKUlT_T0_E_clISt17integral_constantIbLb1EES1B_IbLb0EEEEDaS17_S18_EUlS17_E_NS1_11comp_targetILNS1_3genE3ELNS1_11target_archE908ELNS1_3gpuE7ELNS1_3repE0EEENS1_30default_config_static_selectorELNS0_4arch9wavefront6targetE0EEEvT1_
    .private_segment_fixed_size: 0
    .sgpr_count:     0
    .sgpr_spill_count: 0
    .symbol:         _ZN7rocprim17ROCPRIM_400000_NS6detail17trampoline_kernelINS0_14default_configENS1_25partition_config_selectorILNS1_17partition_subalgoE8ElNS0_10empty_typeEbEEZZNS1_14partition_implILS5_8ELb0ES3_jPlPS6_PKS6_NS0_5tupleIJS9_S6_EEENSD_IJSA_SA_EEENS0_18inequality_wrapperIZN2at6native12_GLOBAL__N_124unique_dim_cuda_templateImEESt5tupleIJNSH_6TensorESM_SM_EERKSM_lbbbEUlllE0_EEPmJS6_EEE10hipError_tPvRmT3_T4_T5_T6_T7_T9_mT8_P12ihipStream_tbDpT10_ENKUlT_T0_E_clISt17integral_constantIbLb1EES1B_IbLb0EEEEDaS17_S18_EUlS17_E_NS1_11comp_targetILNS1_3genE3ELNS1_11target_archE908ELNS1_3gpuE7ELNS1_3repE0EEENS1_30default_config_static_selectorELNS0_4arch9wavefront6targetE0EEEvT1_.kd
    .uniform_work_group_size: 1
    .uses_dynamic_stack: false
    .vgpr_count:     0
    .vgpr_spill_count: 0
    .wavefront_size: 32
  - .args:
      - .offset:         0
        .size:           120
        .value_kind:     by_value
    .group_segment_fixed_size: 0
    .kernarg_segment_align: 8
    .kernarg_segment_size: 120
    .language:       OpenCL C
    .language_version:
      - 2
      - 0
    .max_flat_workgroup_size: 256
    .name:           _ZN7rocprim17ROCPRIM_400000_NS6detail17trampoline_kernelINS0_14default_configENS1_25partition_config_selectorILNS1_17partition_subalgoE8ElNS0_10empty_typeEbEEZZNS1_14partition_implILS5_8ELb0ES3_jPlPS6_PKS6_NS0_5tupleIJS9_S6_EEENSD_IJSA_SA_EEENS0_18inequality_wrapperIZN2at6native12_GLOBAL__N_124unique_dim_cuda_templateImEESt5tupleIJNSH_6TensorESM_SM_EERKSM_lbbbEUlllE0_EEPmJS6_EEE10hipError_tPvRmT3_T4_T5_T6_T7_T9_mT8_P12ihipStream_tbDpT10_ENKUlT_T0_E_clISt17integral_constantIbLb1EES1B_IbLb0EEEEDaS17_S18_EUlS17_E_NS1_11comp_targetILNS1_3genE2ELNS1_11target_archE906ELNS1_3gpuE6ELNS1_3repE0EEENS1_30default_config_static_selectorELNS0_4arch9wavefront6targetE0EEEvT1_
    .private_segment_fixed_size: 0
    .sgpr_count:     0
    .sgpr_spill_count: 0
    .symbol:         _ZN7rocprim17ROCPRIM_400000_NS6detail17trampoline_kernelINS0_14default_configENS1_25partition_config_selectorILNS1_17partition_subalgoE8ElNS0_10empty_typeEbEEZZNS1_14partition_implILS5_8ELb0ES3_jPlPS6_PKS6_NS0_5tupleIJS9_S6_EEENSD_IJSA_SA_EEENS0_18inequality_wrapperIZN2at6native12_GLOBAL__N_124unique_dim_cuda_templateImEESt5tupleIJNSH_6TensorESM_SM_EERKSM_lbbbEUlllE0_EEPmJS6_EEE10hipError_tPvRmT3_T4_T5_T6_T7_T9_mT8_P12ihipStream_tbDpT10_ENKUlT_T0_E_clISt17integral_constantIbLb1EES1B_IbLb0EEEEDaS17_S18_EUlS17_E_NS1_11comp_targetILNS1_3genE2ELNS1_11target_archE906ELNS1_3gpuE6ELNS1_3repE0EEENS1_30default_config_static_selectorELNS0_4arch9wavefront6targetE0EEEvT1_.kd
    .uniform_work_group_size: 1
    .uses_dynamic_stack: false
    .vgpr_count:     0
    .vgpr_spill_count: 0
    .wavefront_size: 32
  - .args:
      - .offset:         0
        .size:           120
        .value_kind:     by_value
    .group_segment_fixed_size: 0
    .kernarg_segment_align: 8
    .kernarg_segment_size: 120
    .language:       OpenCL C
    .language_version:
      - 2
      - 0
    .max_flat_workgroup_size: 384
    .name:           _ZN7rocprim17ROCPRIM_400000_NS6detail17trampoline_kernelINS0_14default_configENS1_25partition_config_selectorILNS1_17partition_subalgoE8ElNS0_10empty_typeEbEEZZNS1_14partition_implILS5_8ELb0ES3_jPlPS6_PKS6_NS0_5tupleIJS9_S6_EEENSD_IJSA_SA_EEENS0_18inequality_wrapperIZN2at6native12_GLOBAL__N_124unique_dim_cuda_templateImEESt5tupleIJNSH_6TensorESM_SM_EERKSM_lbbbEUlllE0_EEPmJS6_EEE10hipError_tPvRmT3_T4_T5_T6_T7_T9_mT8_P12ihipStream_tbDpT10_ENKUlT_T0_E_clISt17integral_constantIbLb1EES1B_IbLb0EEEEDaS17_S18_EUlS17_E_NS1_11comp_targetILNS1_3genE10ELNS1_11target_archE1200ELNS1_3gpuE4ELNS1_3repE0EEENS1_30default_config_static_selectorELNS0_4arch9wavefront6targetE0EEEvT1_
    .private_segment_fixed_size: 0
    .sgpr_count:     0
    .sgpr_spill_count: 0
    .symbol:         _ZN7rocprim17ROCPRIM_400000_NS6detail17trampoline_kernelINS0_14default_configENS1_25partition_config_selectorILNS1_17partition_subalgoE8ElNS0_10empty_typeEbEEZZNS1_14partition_implILS5_8ELb0ES3_jPlPS6_PKS6_NS0_5tupleIJS9_S6_EEENSD_IJSA_SA_EEENS0_18inequality_wrapperIZN2at6native12_GLOBAL__N_124unique_dim_cuda_templateImEESt5tupleIJNSH_6TensorESM_SM_EERKSM_lbbbEUlllE0_EEPmJS6_EEE10hipError_tPvRmT3_T4_T5_T6_T7_T9_mT8_P12ihipStream_tbDpT10_ENKUlT_T0_E_clISt17integral_constantIbLb1EES1B_IbLb0EEEEDaS17_S18_EUlS17_E_NS1_11comp_targetILNS1_3genE10ELNS1_11target_archE1200ELNS1_3gpuE4ELNS1_3repE0EEENS1_30default_config_static_selectorELNS0_4arch9wavefront6targetE0EEEvT1_.kd
    .uniform_work_group_size: 1
    .uses_dynamic_stack: false
    .vgpr_count:     0
    .vgpr_spill_count: 0
    .wavefront_size: 32
  - .args:
      - .offset:         0
        .size:           120
        .value_kind:     by_value
    .group_segment_fixed_size: 0
    .kernarg_segment_align: 8
    .kernarg_segment_size: 120
    .language:       OpenCL C
    .language_version:
      - 2
      - 0
    .max_flat_workgroup_size: 512
    .name:           _ZN7rocprim17ROCPRIM_400000_NS6detail17trampoline_kernelINS0_14default_configENS1_25partition_config_selectorILNS1_17partition_subalgoE8ElNS0_10empty_typeEbEEZZNS1_14partition_implILS5_8ELb0ES3_jPlPS6_PKS6_NS0_5tupleIJS9_S6_EEENSD_IJSA_SA_EEENS0_18inequality_wrapperIZN2at6native12_GLOBAL__N_124unique_dim_cuda_templateImEESt5tupleIJNSH_6TensorESM_SM_EERKSM_lbbbEUlllE0_EEPmJS6_EEE10hipError_tPvRmT3_T4_T5_T6_T7_T9_mT8_P12ihipStream_tbDpT10_ENKUlT_T0_E_clISt17integral_constantIbLb1EES1B_IbLb0EEEEDaS17_S18_EUlS17_E_NS1_11comp_targetILNS1_3genE9ELNS1_11target_archE1100ELNS1_3gpuE3ELNS1_3repE0EEENS1_30default_config_static_selectorELNS0_4arch9wavefront6targetE0EEEvT1_
    .private_segment_fixed_size: 0
    .sgpr_count:     0
    .sgpr_spill_count: 0
    .symbol:         _ZN7rocprim17ROCPRIM_400000_NS6detail17trampoline_kernelINS0_14default_configENS1_25partition_config_selectorILNS1_17partition_subalgoE8ElNS0_10empty_typeEbEEZZNS1_14partition_implILS5_8ELb0ES3_jPlPS6_PKS6_NS0_5tupleIJS9_S6_EEENSD_IJSA_SA_EEENS0_18inequality_wrapperIZN2at6native12_GLOBAL__N_124unique_dim_cuda_templateImEESt5tupleIJNSH_6TensorESM_SM_EERKSM_lbbbEUlllE0_EEPmJS6_EEE10hipError_tPvRmT3_T4_T5_T6_T7_T9_mT8_P12ihipStream_tbDpT10_ENKUlT_T0_E_clISt17integral_constantIbLb1EES1B_IbLb0EEEEDaS17_S18_EUlS17_E_NS1_11comp_targetILNS1_3genE9ELNS1_11target_archE1100ELNS1_3gpuE3ELNS1_3repE0EEENS1_30default_config_static_selectorELNS0_4arch9wavefront6targetE0EEEvT1_.kd
    .uniform_work_group_size: 1
    .uses_dynamic_stack: false
    .vgpr_count:     0
    .vgpr_spill_count: 0
    .wavefront_size: 32
  - .args:
      - .offset:         0
        .size:           120
        .value_kind:     by_value
    .group_segment_fixed_size: 0
    .kernarg_segment_align: 8
    .kernarg_segment_size: 120
    .language:       OpenCL C
    .language_version:
      - 2
      - 0
    .max_flat_workgroup_size: 512
    .name:           _ZN7rocprim17ROCPRIM_400000_NS6detail17trampoline_kernelINS0_14default_configENS1_25partition_config_selectorILNS1_17partition_subalgoE8ElNS0_10empty_typeEbEEZZNS1_14partition_implILS5_8ELb0ES3_jPlPS6_PKS6_NS0_5tupleIJS9_S6_EEENSD_IJSA_SA_EEENS0_18inequality_wrapperIZN2at6native12_GLOBAL__N_124unique_dim_cuda_templateImEESt5tupleIJNSH_6TensorESM_SM_EERKSM_lbbbEUlllE0_EEPmJS6_EEE10hipError_tPvRmT3_T4_T5_T6_T7_T9_mT8_P12ihipStream_tbDpT10_ENKUlT_T0_E_clISt17integral_constantIbLb1EES1B_IbLb0EEEEDaS17_S18_EUlS17_E_NS1_11comp_targetILNS1_3genE8ELNS1_11target_archE1030ELNS1_3gpuE2ELNS1_3repE0EEENS1_30default_config_static_selectorELNS0_4arch9wavefront6targetE0EEEvT1_
    .private_segment_fixed_size: 0
    .sgpr_count:     0
    .sgpr_spill_count: 0
    .symbol:         _ZN7rocprim17ROCPRIM_400000_NS6detail17trampoline_kernelINS0_14default_configENS1_25partition_config_selectorILNS1_17partition_subalgoE8ElNS0_10empty_typeEbEEZZNS1_14partition_implILS5_8ELb0ES3_jPlPS6_PKS6_NS0_5tupleIJS9_S6_EEENSD_IJSA_SA_EEENS0_18inequality_wrapperIZN2at6native12_GLOBAL__N_124unique_dim_cuda_templateImEESt5tupleIJNSH_6TensorESM_SM_EERKSM_lbbbEUlllE0_EEPmJS6_EEE10hipError_tPvRmT3_T4_T5_T6_T7_T9_mT8_P12ihipStream_tbDpT10_ENKUlT_T0_E_clISt17integral_constantIbLb1EES1B_IbLb0EEEEDaS17_S18_EUlS17_E_NS1_11comp_targetILNS1_3genE8ELNS1_11target_archE1030ELNS1_3gpuE2ELNS1_3repE0EEENS1_30default_config_static_selectorELNS0_4arch9wavefront6targetE0EEEvT1_.kd
    .uniform_work_group_size: 1
    .uses_dynamic_stack: false
    .vgpr_count:     0
    .vgpr_spill_count: 0
    .wavefront_size: 32
  - .args:
      - .offset:         0
        .size:           136
        .value_kind:     by_value
    .group_segment_fixed_size: 28680
    .kernarg_segment_align: 8
    .kernarg_segment_size: 136
    .language:       OpenCL C
    .language_version:
      - 2
      - 0
    .max_flat_workgroup_size: 512
    .name:           _ZN7rocprim17ROCPRIM_400000_NS6detail17trampoline_kernelINS0_14default_configENS1_25partition_config_selectorILNS1_17partition_subalgoE8ElNS0_10empty_typeEbEEZZNS1_14partition_implILS5_8ELb0ES3_jPlPS6_PKS6_NS0_5tupleIJS9_S6_EEENSD_IJSA_SA_EEENS0_18inequality_wrapperIZN2at6native12_GLOBAL__N_124unique_dim_cuda_templateImEESt5tupleIJNSH_6TensorESM_SM_EERKSM_lbbbEUlllE0_EEPmJS6_EEE10hipError_tPvRmT3_T4_T5_T6_T7_T9_mT8_P12ihipStream_tbDpT10_ENKUlT_T0_E_clISt17integral_constantIbLb0EES1B_IbLb1EEEEDaS17_S18_EUlS17_E_NS1_11comp_targetILNS1_3genE0ELNS1_11target_archE4294967295ELNS1_3gpuE0ELNS1_3repE0EEENS1_30default_config_static_selectorELNS0_4arch9wavefront6targetE0EEEvT1_
    .private_segment_fixed_size: 0
    .sgpr_count:     38
    .sgpr_spill_count: 0
    .symbol:         _ZN7rocprim17ROCPRIM_400000_NS6detail17trampoline_kernelINS0_14default_configENS1_25partition_config_selectorILNS1_17partition_subalgoE8ElNS0_10empty_typeEbEEZZNS1_14partition_implILS5_8ELb0ES3_jPlPS6_PKS6_NS0_5tupleIJS9_S6_EEENSD_IJSA_SA_EEENS0_18inequality_wrapperIZN2at6native12_GLOBAL__N_124unique_dim_cuda_templateImEESt5tupleIJNSH_6TensorESM_SM_EERKSM_lbbbEUlllE0_EEPmJS6_EEE10hipError_tPvRmT3_T4_T5_T6_T7_T9_mT8_P12ihipStream_tbDpT10_ENKUlT_T0_E_clISt17integral_constantIbLb0EES1B_IbLb1EEEEDaS17_S18_EUlS17_E_NS1_11comp_targetILNS1_3genE0ELNS1_11target_archE4294967295ELNS1_3gpuE0ELNS1_3repE0EEENS1_30default_config_static_selectorELNS0_4arch9wavefront6targetE0EEEvT1_.kd
    .uniform_work_group_size: 1
    .uses_dynamic_stack: false
    .vgpr_count:     53
    .vgpr_spill_count: 0
    .wavefront_size: 32
  - .args:
      - .offset:         0
        .size:           136
        .value_kind:     by_value
    .group_segment_fixed_size: 0
    .kernarg_segment_align: 8
    .kernarg_segment_size: 136
    .language:       OpenCL C
    .language_version:
      - 2
      - 0
    .max_flat_workgroup_size: 512
    .name:           _ZN7rocprim17ROCPRIM_400000_NS6detail17trampoline_kernelINS0_14default_configENS1_25partition_config_selectorILNS1_17partition_subalgoE8ElNS0_10empty_typeEbEEZZNS1_14partition_implILS5_8ELb0ES3_jPlPS6_PKS6_NS0_5tupleIJS9_S6_EEENSD_IJSA_SA_EEENS0_18inequality_wrapperIZN2at6native12_GLOBAL__N_124unique_dim_cuda_templateImEESt5tupleIJNSH_6TensorESM_SM_EERKSM_lbbbEUlllE0_EEPmJS6_EEE10hipError_tPvRmT3_T4_T5_T6_T7_T9_mT8_P12ihipStream_tbDpT10_ENKUlT_T0_E_clISt17integral_constantIbLb0EES1B_IbLb1EEEEDaS17_S18_EUlS17_E_NS1_11comp_targetILNS1_3genE5ELNS1_11target_archE942ELNS1_3gpuE9ELNS1_3repE0EEENS1_30default_config_static_selectorELNS0_4arch9wavefront6targetE0EEEvT1_
    .private_segment_fixed_size: 0
    .sgpr_count:     0
    .sgpr_spill_count: 0
    .symbol:         _ZN7rocprim17ROCPRIM_400000_NS6detail17trampoline_kernelINS0_14default_configENS1_25partition_config_selectorILNS1_17partition_subalgoE8ElNS0_10empty_typeEbEEZZNS1_14partition_implILS5_8ELb0ES3_jPlPS6_PKS6_NS0_5tupleIJS9_S6_EEENSD_IJSA_SA_EEENS0_18inequality_wrapperIZN2at6native12_GLOBAL__N_124unique_dim_cuda_templateImEESt5tupleIJNSH_6TensorESM_SM_EERKSM_lbbbEUlllE0_EEPmJS6_EEE10hipError_tPvRmT3_T4_T5_T6_T7_T9_mT8_P12ihipStream_tbDpT10_ENKUlT_T0_E_clISt17integral_constantIbLb0EES1B_IbLb1EEEEDaS17_S18_EUlS17_E_NS1_11comp_targetILNS1_3genE5ELNS1_11target_archE942ELNS1_3gpuE9ELNS1_3repE0EEENS1_30default_config_static_selectorELNS0_4arch9wavefront6targetE0EEEvT1_.kd
    .uniform_work_group_size: 1
    .uses_dynamic_stack: false
    .vgpr_count:     0
    .vgpr_spill_count: 0
    .wavefront_size: 32
  - .args:
      - .offset:         0
        .size:           136
        .value_kind:     by_value
    .group_segment_fixed_size: 0
    .kernarg_segment_align: 8
    .kernarg_segment_size: 136
    .language:       OpenCL C
    .language_version:
      - 2
      - 0
    .max_flat_workgroup_size: 256
    .name:           _ZN7rocprim17ROCPRIM_400000_NS6detail17trampoline_kernelINS0_14default_configENS1_25partition_config_selectorILNS1_17partition_subalgoE8ElNS0_10empty_typeEbEEZZNS1_14partition_implILS5_8ELb0ES3_jPlPS6_PKS6_NS0_5tupleIJS9_S6_EEENSD_IJSA_SA_EEENS0_18inequality_wrapperIZN2at6native12_GLOBAL__N_124unique_dim_cuda_templateImEESt5tupleIJNSH_6TensorESM_SM_EERKSM_lbbbEUlllE0_EEPmJS6_EEE10hipError_tPvRmT3_T4_T5_T6_T7_T9_mT8_P12ihipStream_tbDpT10_ENKUlT_T0_E_clISt17integral_constantIbLb0EES1B_IbLb1EEEEDaS17_S18_EUlS17_E_NS1_11comp_targetILNS1_3genE4ELNS1_11target_archE910ELNS1_3gpuE8ELNS1_3repE0EEENS1_30default_config_static_selectorELNS0_4arch9wavefront6targetE0EEEvT1_
    .private_segment_fixed_size: 0
    .sgpr_count:     0
    .sgpr_spill_count: 0
    .symbol:         _ZN7rocprim17ROCPRIM_400000_NS6detail17trampoline_kernelINS0_14default_configENS1_25partition_config_selectorILNS1_17partition_subalgoE8ElNS0_10empty_typeEbEEZZNS1_14partition_implILS5_8ELb0ES3_jPlPS6_PKS6_NS0_5tupleIJS9_S6_EEENSD_IJSA_SA_EEENS0_18inequality_wrapperIZN2at6native12_GLOBAL__N_124unique_dim_cuda_templateImEESt5tupleIJNSH_6TensorESM_SM_EERKSM_lbbbEUlllE0_EEPmJS6_EEE10hipError_tPvRmT3_T4_T5_T6_T7_T9_mT8_P12ihipStream_tbDpT10_ENKUlT_T0_E_clISt17integral_constantIbLb0EES1B_IbLb1EEEEDaS17_S18_EUlS17_E_NS1_11comp_targetILNS1_3genE4ELNS1_11target_archE910ELNS1_3gpuE8ELNS1_3repE0EEENS1_30default_config_static_selectorELNS0_4arch9wavefront6targetE0EEEvT1_.kd
    .uniform_work_group_size: 1
    .uses_dynamic_stack: false
    .vgpr_count:     0
    .vgpr_spill_count: 0
    .wavefront_size: 32
  - .args:
      - .offset:         0
        .size:           136
        .value_kind:     by_value
    .group_segment_fixed_size: 0
    .kernarg_segment_align: 8
    .kernarg_segment_size: 136
    .language:       OpenCL C
    .language_version:
      - 2
      - 0
    .max_flat_workgroup_size: 512
    .name:           _ZN7rocprim17ROCPRIM_400000_NS6detail17trampoline_kernelINS0_14default_configENS1_25partition_config_selectorILNS1_17partition_subalgoE8ElNS0_10empty_typeEbEEZZNS1_14partition_implILS5_8ELb0ES3_jPlPS6_PKS6_NS0_5tupleIJS9_S6_EEENSD_IJSA_SA_EEENS0_18inequality_wrapperIZN2at6native12_GLOBAL__N_124unique_dim_cuda_templateImEESt5tupleIJNSH_6TensorESM_SM_EERKSM_lbbbEUlllE0_EEPmJS6_EEE10hipError_tPvRmT3_T4_T5_T6_T7_T9_mT8_P12ihipStream_tbDpT10_ENKUlT_T0_E_clISt17integral_constantIbLb0EES1B_IbLb1EEEEDaS17_S18_EUlS17_E_NS1_11comp_targetILNS1_3genE3ELNS1_11target_archE908ELNS1_3gpuE7ELNS1_3repE0EEENS1_30default_config_static_selectorELNS0_4arch9wavefront6targetE0EEEvT1_
    .private_segment_fixed_size: 0
    .sgpr_count:     0
    .sgpr_spill_count: 0
    .symbol:         _ZN7rocprim17ROCPRIM_400000_NS6detail17trampoline_kernelINS0_14default_configENS1_25partition_config_selectorILNS1_17partition_subalgoE8ElNS0_10empty_typeEbEEZZNS1_14partition_implILS5_8ELb0ES3_jPlPS6_PKS6_NS0_5tupleIJS9_S6_EEENSD_IJSA_SA_EEENS0_18inequality_wrapperIZN2at6native12_GLOBAL__N_124unique_dim_cuda_templateImEESt5tupleIJNSH_6TensorESM_SM_EERKSM_lbbbEUlllE0_EEPmJS6_EEE10hipError_tPvRmT3_T4_T5_T6_T7_T9_mT8_P12ihipStream_tbDpT10_ENKUlT_T0_E_clISt17integral_constantIbLb0EES1B_IbLb1EEEEDaS17_S18_EUlS17_E_NS1_11comp_targetILNS1_3genE3ELNS1_11target_archE908ELNS1_3gpuE7ELNS1_3repE0EEENS1_30default_config_static_selectorELNS0_4arch9wavefront6targetE0EEEvT1_.kd
    .uniform_work_group_size: 1
    .uses_dynamic_stack: false
    .vgpr_count:     0
    .vgpr_spill_count: 0
    .wavefront_size: 32
  - .args:
      - .offset:         0
        .size:           136
        .value_kind:     by_value
    .group_segment_fixed_size: 0
    .kernarg_segment_align: 8
    .kernarg_segment_size: 136
    .language:       OpenCL C
    .language_version:
      - 2
      - 0
    .max_flat_workgroup_size: 256
    .name:           _ZN7rocprim17ROCPRIM_400000_NS6detail17trampoline_kernelINS0_14default_configENS1_25partition_config_selectorILNS1_17partition_subalgoE8ElNS0_10empty_typeEbEEZZNS1_14partition_implILS5_8ELb0ES3_jPlPS6_PKS6_NS0_5tupleIJS9_S6_EEENSD_IJSA_SA_EEENS0_18inequality_wrapperIZN2at6native12_GLOBAL__N_124unique_dim_cuda_templateImEESt5tupleIJNSH_6TensorESM_SM_EERKSM_lbbbEUlllE0_EEPmJS6_EEE10hipError_tPvRmT3_T4_T5_T6_T7_T9_mT8_P12ihipStream_tbDpT10_ENKUlT_T0_E_clISt17integral_constantIbLb0EES1B_IbLb1EEEEDaS17_S18_EUlS17_E_NS1_11comp_targetILNS1_3genE2ELNS1_11target_archE906ELNS1_3gpuE6ELNS1_3repE0EEENS1_30default_config_static_selectorELNS0_4arch9wavefront6targetE0EEEvT1_
    .private_segment_fixed_size: 0
    .sgpr_count:     0
    .sgpr_spill_count: 0
    .symbol:         _ZN7rocprim17ROCPRIM_400000_NS6detail17trampoline_kernelINS0_14default_configENS1_25partition_config_selectorILNS1_17partition_subalgoE8ElNS0_10empty_typeEbEEZZNS1_14partition_implILS5_8ELb0ES3_jPlPS6_PKS6_NS0_5tupleIJS9_S6_EEENSD_IJSA_SA_EEENS0_18inequality_wrapperIZN2at6native12_GLOBAL__N_124unique_dim_cuda_templateImEESt5tupleIJNSH_6TensorESM_SM_EERKSM_lbbbEUlllE0_EEPmJS6_EEE10hipError_tPvRmT3_T4_T5_T6_T7_T9_mT8_P12ihipStream_tbDpT10_ENKUlT_T0_E_clISt17integral_constantIbLb0EES1B_IbLb1EEEEDaS17_S18_EUlS17_E_NS1_11comp_targetILNS1_3genE2ELNS1_11target_archE906ELNS1_3gpuE6ELNS1_3repE0EEENS1_30default_config_static_selectorELNS0_4arch9wavefront6targetE0EEEvT1_.kd
    .uniform_work_group_size: 1
    .uses_dynamic_stack: false
    .vgpr_count:     0
    .vgpr_spill_count: 0
    .wavefront_size: 32
  - .args:
      - .offset:         0
        .size:           136
        .value_kind:     by_value
    .group_segment_fixed_size: 0
    .kernarg_segment_align: 8
    .kernarg_segment_size: 136
    .language:       OpenCL C
    .language_version:
      - 2
      - 0
    .max_flat_workgroup_size: 384
    .name:           _ZN7rocprim17ROCPRIM_400000_NS6detail17trampoline_kernelINS0_14default_configENS1_25partition_config_selectorILNS1_17partition_subalgoE8ElNS0_10empty_typeEbEEZZNS1_14partition_implILS5_8ELb0ES3_jPlPS6_PKS6_NS0_5tupleIJS9_S6_EEENSD_IJSA_SA_EEENS0_18inequality_wrapperIZN2at6native12_GLOBAL__N_124unique_dim_cuda_templateImEESt5tupleIJNSH_6TensorESM_SM_EERKSM_lbbbEUlllE0_EEPmJS6_EEE10hipError_tPvRmT3_T4_T5_T6_T7_T9_mT8_P12ihipStream_tbDpT10_ENKUlT_T0_E_clISt17integral_constantIbLb0EES1B_IbLb1EEEEDaS17_S18_EUlS17_E_NS1_11comp_targetILNS1_3genE10ELNS1_11target_archE1200ELNS1_3gpuE4ELNS1_3repE0EEENS1_30default_config_static_selectorELNS0_4arch9wavefront6targetE0EEEvT1_
    .private_segment_fixed_size: 0
    .sgpr_count:     0
    .sgpr_spill_count: 0
    .symbol:         _ZN7rocprim17ROCPRIM_400000_NS6detail17trampoline_kernelINS0_14default_configENS1_25partition_config_selectorILNS1_17partition_subalgoE8ElNS0_10empty_typeEbEEZZNS1_14partition_implILS5_8ELb0ES3_jPlPS6_PKS6_NS0_5tupleIJS9_S6_EEENSD_IJSA_SA_EEENS0_18inequality_wrapperIZN2at6native12_GLOBAL__N_124unique_dim_cuda_templateImEESt5tupleIJNSH_6TensorESM_SM_EERKSM_lbbbEUlllE0_EEPmJS6_EEE10hipError_tPvRmT3_T4_T5_T6_T7_T9_mT8_P12ihipStream_tbDpT10_ENKUlT_T0_E_clISt17integral_constantIbLb0EES1B_IbLb1EEEEDaS17_S18_EUlS17_E_NS1_11comp_targetILNS1_3genE10ELNS1_11target_archE1200ELNS1_3gpuE4ELNS1_3repE0EEENS1_30default_config_static_selectorELNS0_4arch9wavefront6targetE0EEEvT1_.kd
    .uniform_work_group_size: 1
    .uses_dynamic_stack: false
    .vgpr_count:     0
    .vgpr_spill_count: 0
    .wavefront_size: 32
  - .args:
      - .offset:         0
        .size:           136
        .value_kind:     by_value
    .group_segment_fixed_size: 0
    .kernarg_segment_align: 8
    .kernarg_segment_size: 136
    .language:       OpenCL C
    .language_version:
      - 2
      - 0
    .max_flat_workgroup_size: 512
    .name:           _ZN7rocprim17ROCPRIM_400000_NS6detail17trampoline_kernelINS0_14default_configENS1_25partition_config_selectorILNS1_17partition_subalgoE8ElNS0_10empty_typeEbEEZZNS1_14partition_implILS5_8ELb0ES3_jPlPS6_PKS6_NS0_5tupleIJS9_S6_EEENSD_IJSA_SA_EEENS0_18inequality_wrapperIZN2at6native12_GLOBAL__N_124unique_dim_cuda_templateImEESt5tupleIJNSH_6TensorESM_SM_EERKSM_lbbbEUlllE0_EEPmJS6_EEE10hipError_tPvRmT3_T4_T5_T6_T7_T9_mT8_P12ihipStream_tbDpT10_ENKUlT_T0_E_clISt17integral_constantIbLb0EES1B_IbLb1EEEEDaS17_S18_EUlS17_E_NS1_11comp_targetILNS1_3genE9ELNS1_11target_archE1100ELNS1_3gpuE3ELNS1_3repE0EEENS1_30default_config_static_selectorELNS0_4arch9wavefront6targetE0EEEvT1_
    .private_segment_fixed_size: 0
    .sgpr_count:     0
    .sgpr_spill_count: 0
    .symbol:         _ZN7rocprim17ROCPRIM_400000_NS6detail17trampoline_kernelINS0_14default_configENS1_25partition_config_selectorILNS1_17partition_subalgoE8ElNS0_10empty_typeEbEEZZNS1_14partition_implILS5_8ELb0ES3_jPlPS6_PKS6_NS0_5tupleIJS9_S6_EEENSD_IJSA_SA_EEENS0_18inequality_wrapperIZN2at6native12_GLOBAL__N_124unique_dim_cuda_templateImEESt5tupleIJNSH_6TensorESM_SM_EERKSM_lbbbEUlllE0_EEPmJS6_EEE10hipError_tPvRmT3_T4_T5_T6_T7_T9_mT8_P12ihipStream_tbDpT10_ENKUlT_T0_E_clISt17integral_constantIbLb0EES1B_IbLb1EEEEDaS17_S18_EUlS17_E_NS1_11comp_targetILNS1_3genE9ELNS1_11target_archE1100ELNS1_3gpuE3ELNS1_3repE0EEENS1_30default_config_static_selectorELNS0_4arch9wavefront6targetE0EEEvT1_.kd
    .uniform_work_group_size: 1
    .uses_dynamic_stack: false
    .vgpr_count:     0
    .vgpr_spill_count: 0
    .wavefront_size: 32
  - .args:
      - .offset:         0
        .size:           136
        .value_kind:     by_value
    .group_segment_fixed_size: 0
    .kernarg_segment_align: 8
    .kernarg_segment_size: 136
    .language:       OpenCL C
    .language_version:
      - 2
      - 0
    .max_flat_workgroup_size: 512
    .name:           _ZN7rocprim17ROCPRIM_400000_NS6detail17trampoline_kernelINS0_14default_configENS1_25partition_config_selectorILNS1_17partition_subalgoE8ElNS0_10empty_typeEbEEZZNS1_14partition_implILS5_8ELb0ES3_jPlPS6_PKS6_NS0_5tupleIJS9_S6_EEENSD_IJSA_SA_EEENS0_18inequality_wrapperIZN2at6native12_GLOBAL__N_124unique_dim_cuda_templateImEESt5tupleIJNSH_6TensorESM_SM_EERKSM_lbbbEUlllE0_EEPmJS6_EEE10hipError_tPvRmT3_T4_T5_T6_T7_T9_mT8_P12ihipStream_tbDpT10_ENKUlT_T0_E_clISt17integral_constantIbLb0EES1B_IbLb1EEEEDaS17_S18_EUlS17_E_NS1_11comp_targetILNS1_3genE8ELNS1_11target_archE1030ELNS1_3gpuE2ELNS1_3repE0EEENS1_30default_config_static_selectorELNS0_4arch9wavefront6targetE0EEEvT1_
    .private_segment_fixed_size: 0
    .sgpr_count:     0
    .sgpr_spill_count: 0
    .symbol:         _ZN7rocprim17ROCPRIM_400000_NS6detail17trampoline_kernelINS0_14default_configENS1_25partition_config_selectorILNS1_17partition_subalgoE8ElNS0_10empty_typeEbEEZZNS1_14partition_implILS5_8ELb0ES3_jPlPS6_PKS6_NS0_5tupleIJS9_S6_EEENSD_IJSA_SA_EEENS0_18inequality_wrapperIZN2at6native12_GLOBAL__N_124unique_dim_cuda_templateImEESt5tupleIJNSH_6TensorESM_SM_EERKSM_lbbbEUlllE0_EEPmJS6_EEE10hipError_tPvRmT3_T4_T5_T6_T7_T9_mT8_P12ihipStream_tbDpT10_ENKUlT_T0_E_clISt17integral_constantIbLb0EES1B_IbLb1EEEEDaS17_S18_EUlS17_E_NS1_11comp_targetILNS1_3genE8ELNS1_11target_archE1030ELNS1_3gpuE2ELNS1_3repE0EEENS1_30default_config_static_selectorELNS0_4arch9wavefront6targetE0EEEvT1_.kd
    .uniform_work_group_size: 1
    .uses_dynamic_stack: false
    .vgpr_count:     0
    .vgpr_spill_count: 0
    .wavefront_size: 32
  - .args:
      - .offset:         0
        .size:           120
        .value_kind:     by_value
    .group_segment_fixed_size: 5128
    .kernarg_segment_align: 8
    .kernarg_segment_size: 120
    .language:       OpenCL C
    .language_version:
      - 2
      - 0
    .max_flat_workgroup_size: 128
    .name:           _ZN7rocprim17ROCPRIM_400000_NS6detail17trampoline_kernelINS0_14default_configENS1_25partition_config_selectorILNS1_17partition_subalgoE9EllbEEZZNS1_14partition_implILS5_9ELb0ES3_jPlS8_PNS0_10empty_typeENS0_5tupleIJS8_S9_EEENSB_IJS8_SA_EEENS0_18inequality_wrapperIZN2at6native12_GLOBAL__N_124unique_dim_cuda_templateImEESt5tupleIJNSF_6TensorESK_SK_EERKSK_lbbbEUlllE0_EEPmJS9_EEE10hipError_tPvRmT3_T4_T5_T6_T7_T9_mT8_P12ihipStream_tbDpT10_ENKUlT_T0_E_clISt17integral_constantIbLb0EES1A_EEDaS15_S16_EUlS15_E_NS1_11comp_targetILNS1_3genE0ELNS1_11target_archE4294967295ELNS1_3gpuE0ELNS1_3repE0EEENS1_30default_config_static_selectorELNS0_4arch9wavefront6targetE0EEEvT1_
    .private_segment_fixed_size: 0
    .sgpr_count:     34
    .sgpr_spill_count: 0
    .symbol:         _ZN7rocprim17ROCPRIM_400000_NS6detail17trampoline_kernelINS0_14default_configENS1_25partition_config_selectorILNS1_17partition_subalgoE9EllbEEZZNS1_14partition_implILS5_9ELb0ES3_jPlS8_PNS0_10empty_typeENS0_5tupleIJS8_S9_EEENSB_IJS8_SA_EEENS0_18inequality_wrapperIZN2at6native12_GLOBAL__N_124unique_dim_cuda_templateImEESt5tupleIJNSF_6TensorESK_SK_EERKSK_lbbbEUlllE0_EEPmJS9_EEE10hipError_tPvRmT3_T4_T5_T6_T7_T9_mT8_P12ihipStream_tbDpT10_ENKUlT_T0_E_clISt17integral_constantIbLb0EES1A_EEDaS15_S16_EUlS15_E_NS1_11comp_targetILNS1_3genE0ELNS1_11target_archE4294967295ELNS1_3gpuE0ELNS1_3repE0EEENS1_30default_config_static_selectorELNS0_4arch9wavefront6targetE0EEEvT1_.kd
    .uniform_work_group_size: 1
    .uses_dynamic_stack: false
    .vgpr_count:     56
    .vgpr_spill_count: 0
    .wavefront_size: 32
  - .args:
      - .offset:         0
        .size:           120
        .value_kind:     by_value
    .group_segment_fixed_size: 0
    .kernarg_segment_align: 8
    .kernarg_segment_size: 120
    .language:       OpenCL C
    .language_version:
      - 2
      - 0
    .max_flat_workgroup_size: 512
    .name:           _ZN7rocprim17ROCPRIM_400000_NS6detail17trampoline_kernelINS0_14default_configENS1_25partition_config_selectorILNS1_17partition_subalgoE9EllbEEZZNS1_14partition_implILS5_9ELb0ES3_jPlS8_PNS0_10empty_typeENS0_5tupleIJS8_S9_EEENSB_IJS8_SA_EEENS0_18inequality_wrapperIZN2at6native12_GLOBAL__N_124unique_dim_cuda_templateImEESt5tupleIJNSF_6TensorESK_SK_EERKSK_lbbbEUlllE0_EEPmJS9_EEE10hipError_tPvRmT3_T4_T5_T6_T7_T9_mT8_P12ihipStream_tbDpT10_ENKUlT_T0_E_clISt17integral_constantIbLb0EES1A_EEDaS15_S16_EUlS15_E_NS1_11comp_targetILNS1_3genE5ELNS1_11target_archE942ELNS1_3gpuE9ELNS1_3repE0EEENS1_30default_config_static_selectorELNS0_4arch9wavefront6targetE0EEEvT1_
    .private_segment_fixed_size: 0
    .sgpr_count:     0
    .sgpr_spill_count: 0
    .symbol:         _ZN7rocprim17ROCPRIM_400000_NS6detail17trampoline_kernelINS0_14default_configENS1_25partition_config_selectorILNS1_17partition_subalgoE9EllbEEZZNS1_14partition_implILS5_9ELb0ES3_jPlS8_PNS0_10empty_typeENS0_5tupleIJS8_S9_EEENSB_IJS8_SA_EEENS0_18inequality_wrapperIZN2at6native12_GLOBAL__N_124unique_dim_cuda_templateImEESt5tupleIJNSF_6TensorESK_SK_EERKSK_lbbbEUlllE0_EEPmJS9_EEE10hipError_tPvRmT3_T4_T5_T6_T7_T9_mT8_P12ihipStream_tbDpT10_ENKUlT_T0_E_clISt17integral_constantIbLb0EES1A_EEDaS15_S16_EUlS15_E_NS1_11comp_targetILNS1_3genE5ELNS1_11target_archE942ELNS1_3gpuE9ELNS1_3repE0EEENS1_30default_config_static_selectorELNS0_4arch9wavefront6targetE0EEEvT1_.kd
    .uniform_work_group_size: 1
    .uses_dynamic_stack: false
    .vgpr_count:     0
    .vgpr_spill_count: 0
    .wavefront_size: 32
  - .args:
      - .offset:         0
        .size:           120
        .value_kind:     by_value
    .group_segment_fixed_size: 0
    .kernarg_segment_align: 8
    .kernarg_segment_size: 120
    .language:       OpenCL C
    .language_version:
      - 2
      - 0
    .max_flat_workgroup_size: 128
    .name:           _ZN7rocprim17ROCPRIM_400000_NS6detail17trampoline_kernelINS0_14default_configENS1_25partition_config_selectorILNS1_17partition_subalgoE9EllbEEZZNS1_14partition_implILS5_9ELb0ES3_jPlS8_PNS0_10empty_typeENS0_5tupleIJS8_S9_EEENSB_IJS8_SA_EEENS0_18inequality_wrapperIZN2at6native12_GLOBAL__N_124unique_dim_cuda_templateImEESt5tupleIJNSF_6TensorESK_SK_EERKSK_lbbbEUlllE0_EEPmJS9_EEE10hipError_tPvRmT3_T4_T5_T6_T7_T9_mT8_P12ihipStream_tbDpT10_ENKUlT_T0_E_clISt17integral_constantIbLb0EES1A_EEDaS15_S16_EUlS15_E_NS1_11comp_targetILNS1_3genE4ELNS1_11target_archE910ELNS1_3gpuE8ELNS1_3repE0EEENS1_30default_config_static_selectorELNS0_4arch9wavefront6targetE0EEEvT1_
    .private_segment_fixed_size: 0
    .sgpr_count:     0
    .sgpr_spill_count: 0
    .symbol:         _ZN7rocprim17ROCPRIM_400000_NS6detail17trampoline_kernelINS0_14default_configENS1_25partition_config_selectorILNS1_17partition_subalgoE9EllbEEZZNS1_14partition_implILS5_9ELb0ES3_jPlS8_PNS0_10empty_typeENS0_5tupleIJS8_S9_EEENSB_IJS8_SA_EEENS0_18inequality_wrapperIZN2at6native12_GLOBAL__N_124unique_dim_cuda_templateImEESt5tupleIJNSF_6TensorESK_SK_EERKSK_lbbbEUlllE0_EEPmJS9_EEE10hipError_tPvRmT3_T4_T5_T6_T7_T9_mT8_P12ihipStream_tbDpT10_ENKUlT_T0_E_clISt17integral_constantIbLb0EES1A_EEDaS15_S16_EUlS15_E_NS1_11comp_targetILNS1_3genE4ELNS1_11target_archE910ELNS1_3gpuE8ELNS1_3repE0EEENS1_30default_config_static_selectorELNS0_4arch9wavefront6targetE0EEEvT1_.kd
    .uniform_work_group_size: 1
    .uses_dynamic_stack: false
    .vgpr_count:     0
    .vgpr_spill_count: 0
    .wavefront_size: 32
  - .args:
      - .offset:         0
        .size:           120
        .value_kind:     by_value
    .group_segment_fixed_size: 0
    .kernarg_segment_align: 8
    .kernarg_segment_size: 120
    .language:       OpenCL C
    .language_version:
      - 2
      - 0
    .max_flat_workgroup_size: 128
    .name:           _ZN7rocprim17ROCPRIM_400000_NS6detail17trampoline_kernelINS0_14default_configENS1_25partition_config_selectorILNS1_17partition_subalgoE9EllbEEZZNS1_14partition_implILS5_9ELb0ES3_jPlS8_PNS0_10empty_typeENS0_5tupleIJS8_S9_EEENSB_IJS8_SA_EEENS0_18inequality_wrapperIZN2at6native12_GLOBAL__N_124unique_dim_cuda_templateImEESt5tupleIJNSF_6TensorESK_SK_EERKSK_lbbbEUlllE0_EEPmJS9_EEE10hipError_tPvRmT3_T4_T5_T6_T7_T9_mT8_P12ihipStream_tbDpT10_ENKUlT_T0_E_clISt17integral_constantIbLb0EES1A_EEDaS15_S16_EUlS15_E_NS1_11comp_targetILNS1_3genE3ELNS1_11target_archE908ELNS1_3gpuE7ELNS1_3repE0EEENS1_30default_config_static_selectorELNS0_4arch9wavefront6targetE0EEEvT1_
    .private_segment_fixed_size: 0
    .sgpr_count:     0
    .sgpr_spill_count: 0
    .symbol:         _ZN7rocprim17ROCPRIM_400000_NS6detail17trampoline_kernelINS0_14default_configENS1_25partition_config_selectorILNS1_17partition_subalgoE9EllbEEZZNS1_14partition_implILS5_9ELb0ES3_jPlS8_PNS0_10empty_typeENS0_5tupleIJS8_S9_EEENSB_IJS8_SA_EEENS0_18inequality_wrapperIZN2at6native12_GLOBAL__N_124unique_dim_cuda_templateImEESt5tupleIJNSF_6TensorESK_SK_EERKSK_lbbbEUlllE0_EEPmJS9_EEE10hipError_tPvRmT3_T4_T5_T6_T7_T9_mT8_P12ihipStream_tbDpT10_ENKUlT_T0_E_clISt17integral_constantIbLb0EES1A_EEDaS15_S16_EUlS15_E_NS1_11comp_targetILNS1_3genE3ELNS1_11target_archE908ELNS1_3gpuE7ELNS1_3repE0EEENS1_30default_config_static_selectorELNS0_4arch9wavefront6targetE0EEEvT1_.kd
    .uniform_work_group_size: 1
    .uses_dynamic_stack: false
    .vgpr_count:     0
    .vgpr_spill_count: 0
    .wavefront_size: 32
  - .args:
      - .offset:         0
        .size:           120
        .value_kind:     by_value
    .group_segment_fixed_size: 0
    .kernarg_segment_align: 8
    .kernarg_segment_size: 120
    .language:       OpenCL C
    .language_version:
      - 2
      - 0
    .max_flat_workgroup_size: 192
    .name:           _ZN7rocprim17ROCPRIM_400000_NS6detail17trampoline_kernelINS0_14default_configENS1_25partition_config_selectorILNS1_17partition_subalgoE9EllbEEZZNS1_14partition_implILS5_9ELb0ES3_jPlS8_PNS0_10empty_typeENS0_5tupleIJS8_S9_EEENSB_IJS8_SA_EEENS0_18inequality_wrapperIZN2at6native12_GLOBAL__N_124unique_dim_cuda_templateImEESt5tupleIJNSF_6TensorESK_SK_EERKSK_lbbbEUlllE0_EEPmJS9_EEE10hipError_tPvRmT3_T4_T5_T6_T7_T9_mT8_P12ihipStream_tbDpT10_ENKUlT_T0_E_clISt17integral_constantIbLb0EES1A_EEDaS15_S16_EUlS15_E_NS1_11comp_targetILNS1_3genE2ELNS1_11target_archE906ELNS1_3gpuE6ELNS1_3repE0EEENS1_30default_config_static_selectorELNS0_4arch9wavefront6targetE0EEEvT1_
    .private_segment_fixed_size: 0
    .sgpr_count:     0
    .sgpr_spill_count: 0
    .symbol:         _ZN7rocprim17ROCPRIM_400000_NS6detail17trampoline_kernelINS0_14default_configENS1_25partition_config_selectorILNS1_17partition_subalgoE9EllbEEZZNS1_14partition_implILS5_9ELb0ES3_jPlS8_PNS0_10empty_typeENS0_5tupleIJS8_S9_EEENSB_IJS8_SA_EEENS0_18inequality_wrapperIZN2at6native12_GLOBAL__N_124unique_dim_cuda_templateImEESt5tupleIJNSF_6TensorESK_SK_EERKSK_lbbbEUlllE0_EEPmJS9_EEE10hipError_tPvRmT3_T4_T5_T6_T7_T9_mT8_P12ihipStream_tbDpT10_ENKUlT_T0_E_clISt17integral_constantIbLb0EES1A_EEDaS15_S16_EUlS15_E_NS1_11comp_targetILNS1_3genE2ELNS1_11target_archE906ELNS1_3gpuE6ELNS1_3repE0EEENS1_30default_config_static_selectorELNS0_4arch9wavefront6targetE0EEEvT1_.kd
    .uniform_work_group_size: 1
    .uses_dynamic_stack: false
    .vgpr_count:     0
    .vgpr_spill_count: 0
    .wavefront_size: 32
  - .args:
      - .offset:         0
        .size:           120
        .value_kind:     by_value
    .group_segment_fixed_size: 0
    .kernarg_segment_align: 8
    .kernarg_segment_size: 120
    .language:       OpenCL C
    .language_version:
      - 2
      - 0
    .max_flat_workgroup_size: 384
    .name:           _ZN7rocprim17ROCPRIM_400000_NS6detail17trampoline_kernelINS0_14default_configENS1_25partition_config_selectorILNS1_17partition_subalgoE9EllbEEZZNS1_14partition_implILS5_9ELb0ES3_jPlS8_PNS0_10empty_typeENS0_5tupleIJS8_S9_EEENSB_IJS8_SA_EEENS0_18inequality_wrapperIZN2at6native12_GLOBAL__N_124unique_dim_cuda_templateImEESt5tupleIJNSF_6TensorESK_SK_EERKSK_lbbbEUlllE0_EEPmJS9_EEE10hipError_tPvRmT3_T4_T5_T6_T7_T9_mT8_P12ihipStream_tbDpT10_ENKUlT_T0_E_clISt17integral_constantIbLb0EES1A_EEDaS15_S16_EUlS15_E_NS1_11comp_targetILNS1_3genE10ELNS1_11target_archE1200ELNS1_3gpuE4ELNS1_3repE0EEENS1_30default_config_static_selectorELNS0_4arch9wavefront6targetE0EEEvT1_
    .private_segment_fixed_size: 0
    .sgpr_count:     0
    .sgpr_spill_count: 0
    .symbol:         _ZN7rocprim17ROCPRIM_400000_NS6detail17trampoline_kernelINS0_14default_configENS1_25partition_config_selectorILNS1_17partition_subalgoE9EllbEEZZNS1_14partition_implILS5_9ELb0ES3_jPlS8_PNS0_10empty_typeENS0_5tupleIJS8_S9_EEENSB_IJS8_SA_EEENS0_18inequality_wrapperIZN2at6native12_GLOBAL__N_124unique_dim_cuda_templateImEESt5tupleIJNSF_6TensorESK_SK_EERKSK_lbbbEUlllE0_EEPmJS9_EEE10hipError_tPvRmT3_T4_T5_T6_T7_T9_mT8_P12ihipStream_tbDpT10_ENKUlT_T0_E_clISt17integral_constantIbLb0EES1A_EEDaS15_S16_EUlS15_E_NS1_11comp_targetILNS1_3genE10ELNS1_11target_archE1200ELNS1_3gpuE4ELNS1_3repE0EEENS1_30default_config_static_selectorELNS0_4arch9wavefront6targetE0EEEvT1_.kd
    .uniform_work_group_size: 1
    .uses_dynamic_stack: false
    .vgpr_count:     0
    .vgpr_spill_count: 0
    .wavefront_size: 32
  - .args:
      - .offset:         0
        .size:           120
        .value_kind:     by_value
    .group_segment_fixed_size: 0
    .kernarg_segment_align: 8
    .kernarg_segment_size: 120
    .language:       OpenCL C
    .language_version:
      - 2
      - 0
    .max_flat_workgroup_size: 512
    .name:           _ZN7rocprim17ROCPRIM_400000_NS6detail17trampoline_kernelINS0_14default_configENS1_25partition_config_selectorILNS1_17partition_subalgoE9EllbEEZZNS1_14partition_implILS5_9ELb0ES3_jPlS8_PNS0_10empty_typeENS0_5tupleIJS8_S9_EEENSB_IJS8_SA_EEENS0_18inequality_wrapperIZN2at6native12_GLOBAL__N_124unique_dim_cuda_templateImEESt5tupleIJNSF_6TensorESK_SK_EERKSK_lbbbEUlllE0_EEPmJS9_EEE10hipError_tPvRmT3_T4_T5_T6_T7_T9_mT8_P12ihipStream_tbDpT10_ENKUlT_T0_E_clISt17integral_constantIbLb0EES1A_EEDaS15_S16_EUlS15_E_NS1_11comp_targetILNS1_3genE9ELNS1_11target_archE1100ELNS1_3gpuE3ELNS1_3repE0EEENS1_30default_config_static_selectorELNS0_4arch9wavefront6targetE0EEEvT1_
    .private_segment_fixed_size: 0
    .sgpr_count:     0
    .sgpr_spill_count: 0
    .symbol:         _ZN7rocprim17ROCPRIM_400000_NS6detail17trampoline_kernelINS0_14default_configENS1_25partition_config_selectorILNS1_17partition_subalgoE9EllbEEZZNS1_14partition_implILS5_9ELb0ES3_jPlS8_PNS0_10empty_typeENS0_5tupleIJS8_S9_EEENSB_IJS8_SA_EEENS0_18inequality_wrapperIZN2at6native12_GLOBAL__N_124unique_dim_cuda_templateImEESt5tupleIJNSF_6TensorESK_SK_EERKSK_lbbbEUlllE0_EEPmJS9_EEE10hipError_tPvRmT3_T4_T5_T6_T7_T9_mT8_P12ihipStream_tbDpT10_ENKUlT_T0_E_clISt17integral_constantIbLb0EES1A_EEDaS15_S16_EUlS15_E_NS1_11comp_targetILNS1_3genE9ELNS1_11target_archE1100ELNS1_3gpuE3ELNS1_3repE0EEENS1_30default_config_static_selectorELNS0_4arch9wavefront6targetE0EEEvT1_.kd
    .uniform_work_group_size: 1
    .uses_dynamic_stack: false
    .vgpr_count:     0
    .vgpr_spill_count: 0
    .wavefront_size: 32
  - .args:
      - .offset:         0
        .size:           120
        .value_kind:     by_value
    .group_segment_fixed_size: 0
    .kernarg_segment_align: 8
    .kernarg_segment_size: 120
    .language:       OpenCL C
    .language_version:
      - 2
      - 0
    .max_flat_workgroup_size: 512
    .name:           _ZN7rocprim17ROCPRIM_400000_NS6detail17trampoline_kernelINS0_14default_configENS1_25partition_config_selectorILNS1_17partition_subalgoE9EllbEEZZNS1_14partition_implILS5_9ELb0ES3_jPlS8_PNS0_10empty_typeENS0_5tupleIJS8_S9_EEENSB_IJS8_SA_EEENS0_18inequality_wrapperIZN2at6native12_GLOBAL__N_124unique_dim_cuda_templateImEESt5tupleIJNSF_6TensorESK_SK_EERKSK_lbbbEUlllE0_EEPmJS9_EEE10hipError_tPvRmT3_T4_T5_T6_T7_T9_mT8_P12ihipStream_tbDpT10_ENKUlT_T0_E_clISt17integral_constantIbLb0EES1A_EEDaS15_S16_EUlS15_E_NS1_11comp_targetILNS1_3genE8ELNS1_11target_archE1030ELNS1_3gpuE2ELNS1_3repE0EEENS1_30default_config_static_selectorELNS0_4arch9wavefront6targetE0EEEvT1_
    .private_segment_fixed_size: 0
    .sgpr_count:     0
    .sgpr_spill_count: 0
    .symbol:         _ZN7rocprim17ROCPRIM_400000_NS6detail17trampoline_kernelINS0_14default_configENS1_25partition_config_selectorILNS1_17partition_subalgoE9EllbEEZZNS1_14partition_implILS5_9ELb0ES3_jPlS8_PNS0_10empty_typeENS0_5tupleIJS8_S9_EEENSB_IJS8_SA_EEENS0_18inequality_wrapperIZN2at6native12_GLOBAL__N_124unique_dim_cuda_templateImEESt5tupleIJNSF_6TensorESK_SK_EERKSK_lbbbEUlllE0_EEPmJS9_EEE10hipError_tPvRmT3_T4_T5_T6_T7_T9_mT8_P12ihipStream_tbDpT10_ENKUlT_T0_E_clISt17integral_constantIbLb0EES1A_EEDaS15_S16_EUlS15_E_NS1_11comp_targetILNS1_3genE8ELNS1_11target_archE1030ELNS1_3gpuE2ELNS1_3repE0EEENS1_30default_config_static_selectorELNS0_4arch9wavefront6targetE0EEEvT1_.kd
    .uniform_work_group_size: 1
    .uses_dynamic_stack: false
    .vgpr_count:     0
    .vgpr_spill_count: 0
    .wavefront_size: 32
  - .args:
      - .offset:         0
        .size:           136
        .value_kind:     by_value
    .group_segment_fixed_size: 0
    .kernarg_segment_align: 8
    .kernarg_segment_size: 136
    .language:       OpenCL C
    .language_version:
      - 2
      - 0
    .max_flat_workgroup_size: 128
    .name:           _ZN7rocprim17ROCPRIM_400000_NS6detail17trampoline_kernelINS0_14default_configENS1_25partition_config_selectorILNS1_17partition_subalgoE9EllbEEZZNS1_14partition_implILS5_9ELb0ES3_jPlS8_PNS0_10empty_typeENS0_5tupleIJS8_S9_EEENSB_IJS8_SA_EEENS0_18inequality_wrapperIZN2at6native12_GLOBAL__N_124unique_dim_cuda_templateImEESt5tupleIJNSF_6TensorESK_SK_EERKSK_lbbbEUlllE0_EEPmJS9_EEE10hipError_tPvRmT3_T4_T5_T6_T7_T9_mT8_P12ihipStream_tbDpT10_ENKUlT_T0_E_clISt17integral_constantIbLb1EES1A_EEDaS15_S16_EUlS15_E_NS1_11comp_targetILNS1_3genE0ELNS1_11target_archE4294967295ELNS1_3gpuE0ELNS1_3repE0EEENS1_30default_config_static_selectorELNS0_4arch9wavefront6targetE0EEEvT1_
    .private_segment_fixed_size: 0
    .sgpr_count:     0
    .sgpr_spill_count: 0
    .symbol:         _ZN7rocprim17ROCPRIM_400000_NS6detail17trampoline_kernelINS0_14default_configENS1_25partition_config_selectorILNS1_17partition_subalgoE9EllbEEZZNS1_14partition_implILS5_9ELb0ES3_jPlS8_PNS0_10empty_typeENS0_5tupleIJS8_S9_EEENSB_IJS8_SA_EEENS0_18inequality_wrapperIZN2at6native12_GLOBAL__N_124unique_dim_cuda_templateImEESt5tupleIJNSF_6TensorESK_SK_EERKSK_lbbbEUlllE0_EEPmJS9_EEE10hipError_tPvRmT3_T4_T5_T6_T7_T9_mT8_P12ihipStream_tbDpT10_ENKUlT_T0_E_clISt17integral_constantIbLb1EES1A_EEDaS15_S16_EUlS15_E_NS1_11comp_targetILNS1_3genE0ELNS1_11target_archE4294967295ELNS1_3gpuE0ELNS1_3repE0EEENS1_30default_config_static_selectorELNS0_4arch9wavefront6targetE0EEEvT1_.kd
    .uniform_work_group_size: 1
    .uses_dynamic_stack: false
    .vgpr_count:     0
    .vgpr_spill_count: 0
    .wavefront_size: 32
  - .args:
      - .offset:         0
        .size:           136
        .value_kind:     by_value
    .group_segment_fixed_size: 0
    .kernarg_segment_align: 8
    .kernarg_segment_size: 136
    .language:       OpenCL C
    .language_version:
      - 2
      - 0
    .max_flat_workgroup_size: 512
    .name:           _ZN7rocprim17ROCPRIM_400000_NS6detail17trampoline_kernelINS0_14default_configENS1_25partition_config_selectorILNS1_17partition_subalgoE9EllbEEZZNS1_14partition_implILS5_9ELb0ES3_jPlS8_PNS0_10empty_typeENS0_5tupleIJS8_S9_EEENSB_IJS8_SA_EEENS0_18inequality_wrapperIZN2at6native12_GLOBAL__N_124unique_dim_cuda_templateImEESt5tupleIJNSF_6TensorESK_SK_EERKSK_lbbbEUlllE0_EEPmJS9_EEE10hipError_tPvRmT3_T4_T5_T6_T7_T9_mT8_P12ihipStream_tbDpT10_ENKUlT_T0_E_clISt17integral_constantIbLb1EES1A_EEDaS15_S16_EUlS15_E_NS1_11comp_targetILNS1_3genE5ELNS1_11target_archE942ELNS1_3gpuE9ELNS1_3repE0EEENS1_30default_config_static_selectorELNS0_4arch9wavefront6targetE0EEEvT1_
    .private_segment_fixed_size: 0
    .sgpr_count:     0
    .sgpr_spill_count: 0
    .symbol:         _ZN7rocprim17ROCPRIM_400000_NS6detail17trampoline_kernelINS0_14default_configENS1_25partition_config_selectorILNS1_17partition_subalgoE9EllbEEZZNS1_14partition_implILS5_9ELb0ES3_jPlS8_PNS0_10empty_typeENS0_5tupleIJS8_S9_EEENSB_IJS8_SA_EEENS0_18inequality_wrapperIZN2at6native12_GLOBAL__N_124unique_dim_cuda_templateImEESt5tupleIJNSF_6TensorESK_SK_EERKSK_lbbbEUlllE0_EEPmJS9_EEE10hipError_tPvRmT3_T4_T5_T6_T7_T9_mT8_P12ihipStream_tbDpT10_ENKUlT_T0_E_clISt17integral_constantIbLb1EES1A_EEDaS15_S16_EUlS15_E_NS1_11comp_targetILNS1_3genE5ELNS1_11target_archE942ELNS1_3gpuE9ELNS1_3repE0EEENS1_30default_config_static_selectorELNS0_4arch9wavefront6targetE0EEEvT1_.kd
    .uniform_work_group_size: 1
    .uses_dynamic_stack: false
    .vgpr_count:     0
    .vgpr_spill_count: 0
    .wavefront_size: 32
  - .args:
      - .offset:         0
        .size:           136
        .value_kind:     by_value
    .group_segment_fixed_size: 0
    .kernarg_segment_align: 8
    .kernarg_segment_size: 136
    .language:       OpenCL C
    .language_version:
      - 2
      - 0
    .max_flat_workgroup_size: 128
    .name:           _ZN7rocprim17ROCPRIM_400000_NS6detail17trampoline_kernelINS0_14default_configENS1_25partition_config_selectorILNS1_17partition_subalgoE9EllbEEZZNS1_14partition_implILS5_9ELb0ES3_jPlS8_PNS0_10empty_typeENS0_5tupleIJS8_S9_EEENSB_IJS8_SA_EEENS0_18inequality_wrapperIZN2at6native12_GLOBAL__N_124unique_dim_cuda_templateImEESt5tupleIJNSF_6TensorESK_SK_EERKSK_lbbbEUlllE0_EEPmJS9_EEE10hipError_tPvRmT3_T4_T5_T6_T7_T9_mT8_P12ihipStream_tbDpT10_ENKUlT_T0_E_clISt17integral_constantIbLb1EES1A_EEDaS15_S16_EUlS15_E_NS1_11comp_targetILNS1_3genE4ELNS1_11target_archE910ELNS1_3gpuE8ELNS1_3repE0EEENS1_30default_config_static_selectorELNS0_4arch9wavefront6targetE0EEEvT1_
    .private_segment_fixed_size: 0
    .sgpr_count:     0
    .sgpr_spill_count: 0
    .symbol:         _ZN7rocprim17ROCPRIM_400000_NS6detail17trampoline_kernelINS0_14default_configENS1_25partition_config_selectorILNS1_17partition_subalgoE9EllbEEZZNS1_14partition_implILS5_9ELb0ES3_jPlS8_PNS0_10empty_typeENS0_5tupleIJS8_S9_EEENSB_IJS8_SA_EEENS0_18inequality_wrapperIZN2at6native12_GLOBAL__N_124unique_dim_cuda_templateImEESt5tupleIJNSF_6TensorESK_SK_EERKSK_lbbbEUlllE0_EEPmJS9_EEE10hipError_tPvRmT3_T4_T5_T6_T7_T9_mT8_P12ihipStream_tbDpT10_ENKUlT_T0_E_clISt17integral_constantIbLb1EES1A_EEDaS15_S16_EUlS15_E_NS1_11comp_targetILNS1_3genE4ELNS1_11target_archE910ELNS1_3gpuE8ELNS1_3repE0EEENS1_30default_config_static_selectorELNS0_4arch9wavefront6targetE0EEEvT1_.kd
    .uniform_work_group_size: 1
    .uses_dynamic_stack: false
    .vgpr_count:     0
    .vgpr_spill_count: 0
    .wavefront_size: 32
  - .args:
      - .offset:         0
        .size:           136
        .value_kind:     by_value
    .group_segment_fixed_size: 0
    .kernarg_segment_align: 8
    .kernarg_segment_size: 136
    .language:       OpenCL C
    .language_version:
      - 2
      - 0
    .max_flat_workgroup_size: 128
    .name:           _ZN7rocprim17ROCPRIM_400000_NS6detail17trampoline_kernelINS0_14default_configENS1_25partition_config_selectorILNS1_17partition_subalgoE9EllbEEZZNS1_14partition_implILS5_9ELb0ES3_jPlS8_PNS0_10empty_typeENS0_5tupleIJS8_S9_EEENSB_IJS8_SA_EEENS0_18inequality_wrapperIZN2at6native12_GLOBAL__N_124unique_dim_cuda_templateImEESt5tupleIJNSF_6TensorESK_SK_EERKSK_lbbbEUlllE0_EEPmJS9_EEE10hipError_tPvRmT3_T4_T5_T6_T7_T9_mT8_P12ihipStream_tbDpT10_ENKUlT_T0_E_clISt17integral_constantIbLb1EES1A_EEDaS15_S16_EUlS15_E_NS1_11comp_targetILNS1_3genE3ELNS1_11target_archE908ELNS1_3gpuE7ELNS1_3repE0EEENS1_30default_config_static_selectorELNS0_4arch9wavefront6targetE0EEEvT1_
    .private_segment_fixed_size: 0
    .sgpr_count:     0
    .sgpr_spill_count: 0
    .symbol:         _ZN7rocprim17ROCPRIM_400000_NS6detail17trampoline_kernelINS0_14default_configENS1_25partition_config_selectorILNS1_17partition_subalgoE9EllbEEZZNS1_14partition_implILS5_9ELb0ES3_jPlS8_PNS0_10empty_typeENS0_5tupleIJS8_S9_EEENSB_IJS8_SA_EEENS0_18inequality_wrapperIZN2at6native12_GLOBAL__N_124unique_dim_cuda_templateImEESt5tupleIJNSF_6TensorESK_SK_EERKSK_lbbbEUlllE0_EEPmJS9_EEE10hipError_tPvRmT3_T4_T5_T6_T7_T9_mT8_P12ihipStream_tbDpT10_ENKUlT_T0_E_clISt17integral_constantIbLb1EES1A_EEDaS15_S16_EUlS15_E_NS1_11comp_targetILNS1_3genE3ELNS1_11target_archE908ELNS1_3gpuE7ELNS1_3repE0EEENS1_30default_config_static_selectorELNS0_4arch9wavefront6targetE0EEEvT1_.kd
    .uniform_work_group_size: 1
    .uses_dynamic_stack: false
    .vgpr_count:     0
    .vgpr_spill_count: 0
    .wavefront_size: 32
  - .args:
      - .offset:         0
        .size:           136
        .value_kind:     by_value
    .group_segment_fixed_size: 0
    .kernarg_segment_align: 8
    .kernarg_segment_size: 136
    .language:       OpenCL C
    .language_version:
      - 2
      - 0
    .max_flat_workgroup_size: 192
    .name:           _ZN7rocprim17ROCPRIM_400000_NS6detail17trampoline_kernelINS0_14default_configENS1_25partition_config_selectorILNS1_17partition_subalgoE9EllbEEZZNS1_14partition_implILS5_9ELb0ES3_jPlS8_PNS0_10empty_typeENS0_5tupleIJS8_S9_EEENSB_IJS8_SA_EEENS0_18inequality_wrapperIZN2at6native12_GLOBAL__N_124unique_dim_cuda_templateImEESt5tupleIJNSF_6TensorESK_SK_EERKSK_lbbbEUlllE0_EEPmJS9_EEE10hipError_tPvRmT3_T4_T5_T6_T7_T9_mT8_P12ihipStream_tbDpT10_ENKUlT_T0_E_clISt17integral_constantIbLb1EES1A_EEDaS15_S16_EUlS15_E_NS1_11comp_targetILNS1_3genE2ELNS1_11target_archE906ELNS1_3gpuE6ELNS1_3repE0EEENS1_30default_config_static_selectorELNS0_4arch9wavefront6targetE0EEEvT1_
    .private_segment_fixed_size: 0
    .sgpr_count:     0
    .sgpr_spill_count: 0
    .symbol:         _ZN7rocprim17ROCPRIM_400000_NS6detail17trampoline_kernelINS0_14default_configENS1_25partition_config_selectorILNS1_17partition_subalgoE9EllbEEZZNS1_14partition_implILS5_9ELb0ES3_jPlS8_PNS0_10empty_typeENS0_5tupleIJS8_S9_EEENSB_IJS8_SA_EEENS0_18inequality_wrapperIZN2at6native12_GLOBAL__N_124unique_dim_cuda_templateImEESt5tupleIJNSF_6TensorESK_SK_EERKSK_lbbbEUlllE0_EEPmJS9_EEE10hipError_tPvRmT3_T4_T5_T6_T7_T9_mT8_P12ihipStream_tbDpT10_ENKUlT_T0_E_clISt17integral_constantIbLb1EES1A_EEDaS15_S16_EUlS15_E_NS1_11comp_targetILNS1_3genE2ELNS1_11target_archE906ELNS1_3gpuE6ELNS1_3repE0EEENS1_30default_config_static_selectorELNS0_4arch9wavefront6targetE0EEEvT1_.kd
    .uniform_work_group_size: 1
    .uses_dynamic_stack: false
    .vgpr_count:     0
    .vgpr_spill_count: 0
    .wavefront_size: 32
  - .args:
      - .offset:         0
        .size:           136
        .value_kind:     by_value
    .group_segment_fixed_size: 0
    .kernarg_segment_align: 8
    .kernarg_segment_size: 136
    .language:       OpenCL C
    .language_version:
      - 2
      - 0
    .max_flat_workgroup_size: 384
    .name:           _ZN7rocprim17ROCPRIM_400000_NS6detail17trampoline_kernelINS0_14default_configENS1_25partition_config_selectorILNS1_17partition_subalgoE9EllbEEZZNS1_14partition_implILS5_9ELb0ES3_jPlS8_PNS0_10empty_typeENS0_5tupleIJS8_S9_EEENSB_IJS8_SA_EEENS0_18inequality_wrapperIZN2at6native12_GLOBAL__N_124unique_dim_cuda_templateImEESt5tupleIJNSF_6TensorESK_SK_EERKSK_lbbbEUlllE0_EEPmJS9_EEE10hipError_tPvRmT3_T4_T5_T6_T7_T9_mT8_P12ihipStream_tbDpT10_ENKUlT_T0_E_clISt17integral_constantIbLb1EES1A_EEDaS15_S16_EUlS15_E_NS1_11comp_targetILNS1_3genE10ELNS1_11target_archE1200ELNS1_3gpuE4ELNS1_3repE0EEENS1_30default_config_static_selectorELNS0_4arch9wavefront6targetE0EEEvT1_
    .private_segment_fixed_size: 0
    .sgpr_count:     0
    .sgpr_spill_count: 0
    .symbol:         _ZN7rocprim17ROCPRIM_400000_NS6detail17trampoline_kernelINS0_14default_configENS1_25partition_config_selectorILNS1_17partition_subalgoE9EllbEEZZNS1_14partition_implILS5_9ELb0ES3_jPlS8_PNS0_10empty_typeENS0_5tupleIJS8_S9_EEENSB_IJS8_SA_EEENS0_18inequality_wrapperIZN2at6native12_GLOBAL__N_124unique_dim_cuda_templateImEESt5tupleIJNSF_6TensorESK_SK_EERKSK_lbbbEUlllE0_EEPmJS9_EEE10hipError_tPvRmT3_T4_T5_T6_T7_T9_mT8_P12ihipStream_tbDpT10_ENKUlT_T0_E_clISt17integral_constantIbLb1EES1A_EEDaS15_S16_EUlS15_E_NS1_11comp_targetILNS1_3genE10ELNS1_11target_archE1200ELNS1_3gpuE4ELNS1_3repE0EEENS1_30default_config_static_selectorELNS0_4arch9wavefront6targetE0EEEvT1_.kd
    .uniform_work_group_size: 1
    .uses_dynamic_stack: false
    .vgpr_count:     0
    .vgpr_spill_count: 0
    .wavefront_size: 32
  - .args:
      - .offset:         0
        .size:           136
        .value_kind:     by_value
    .group_segment_fixed_size: 0
    .kernarg_segment_align: 8
    .kernarg_segment_size: 136
    .language:       OpenCL C
    .language_version:
      - 2
      - 0
    .max_flat_workgroup_size: 512
    .name:           _ZN7rocprim17ROCPRIM_400000_NS6detail17trampoline_kernelINS0_14default_configENS1_25partition_config_selectorILNS1_17partition_subalgoE9EllbEEZZNS1_14partition_implILS5_9ELb0ES3_jPlS8_PNS0_10empty_typeENS0_5tupleIJS8_S9_EEENSB_IJS8_SA_EEENS0_18inequality_wrapperIZN2at6native12_GLOBAL__N_124unique_dim_cuda_templateImEESt5tupleIJNSF_6TensorESK_SK_EERKSK_lbbbEUlllE0_EEPmJS9_EEE10hipError_tPvRmT3_T4_T5_T6_T7_T9_mT8_P12ihipStream_tbDpT10_ENKUlT_T0_E_clISt17integral_constantIbLb1EES1A_EEDaS15_S16_EUlS15_E_NS1_11comp_targetILNS1_3genE9ELNS1_11target_archE1100ELNS1_3gpuE3ELNS1_3repE0EEENS1_30default_config_static_selectorELNS0_4arch9wavefront6targetE0EEEvT1_
    .private_segment_fixed_size: 0
    .sgpr_count:     0
    .sgpr_spill_count: 0
    .symbol:         _ZN7rocprim17ROCPRIM_400000_NS6detail17trampoline_kernelINS0_14default_configENS1_25partition_config_selectorILNS1_17partition_subalgoE9EllbEEZZNS1_14partition_implILS5_9ELb0ES3_jPlS8_PNS0_10empty_typeENS0_5tupleIJS8_S9_EEENSB_IJS8_SA_EEENS0_18inequality_wrapperIZN2at6native12_GLOBAL__N_124unique_dim_cuda_templateImEESt5tupleIJNSF_6TensorESK_SK_EERKSK_lbbbEUlllE0_EEPmJS9_EEE10hipError_tPvRmT3_T4_T5_T6_T7_T9_mT8_P12ihipStream_tbDpT10_ENKUlT_T0_E_clISt17integral_constantIbLb1EES1A_EEDaS15_S16_EUlS15_E_NS1_11comp_targetILNS1_3genE9ELNS1_11target_archE1100ELNS1_3gpuE3ELNS1_3repE0EEENS1_30default_config_static_selectorELNS0_4arch9wavefront6targetE0EEEvT1_.kd
    .uniform_work_group_size: 1
    .uses_dynamic_stack: false
    .vgpr_count:     0
    .vgpr_spill_count: 0
    .wavefront_size: 32
  - .args:
      - .offset:         0
        .size:           136
        .value_kind:     by_value
    .group_segment_fixed_size: 0
    .kernarg_segment_align: 8
    .kernarg_segment_size: 136
    .language:       OpenCL C
    .language_version:
      - 2
      - 0
    .max_flat_workgroup_size: 512
    .name:           _ZN7rocprim17ROCPRIM_400000_NS6detail17trampoline_kernelINS0_14default_configENS1_25partition_config_selectorILNS1_17partition_subalgoE9EllbEEZZNS1_14partition_implILS5_9ELb0ES3_jPlS8_PNS0_10empty_typeENS0_5tupleIJS8_S9_EEENSB_IJS8_SA_EEENS0_18inequality_wrapperIZN2at6native12_GLOBAL__N_124unique_dim_cuda_templateImEESt5tupleIJNSF_6TensorESK_SK_EERKSK_lbbbEUlllE0_EEPmJS9_EEE10hipError_tPvRmT3_T4_T5_T6_T7_T9_mT8_P12ihipStream_tbDpT10_ENKUlT_T0_E_clISt17integral_constantIbLb1EES1A_EEDaS15_S16_EUlS15_E_NS1_11comp_targetILNS1_3genE8ELNS1_11target_archE1030ELNS1_3gpuE2ELNS1_3repE0EEENS1_30default_config_static_selectorELNS0_4arch9wavefront6targetE0EEEvT1_
    .private_segment_fixed_size: 0
    .sgpr_count:     0
    .sgpr_spill_count: 0
    .symbol:         _ZN7rocprim17ROCPRIM_400000_NS6detail17trampoline_kernelINS0_14default_configENS1_25partition_config_selectorILNS1_17partition_subalgoE9EllbEEZZNS1_14partition_implILS5_9ELb0ES3_jPlS8_PNS0_10empty_typeENS0_5tupleIJS8_S9_EEENSB_IJS8_SA_EEENS0_18inequality_wrapperIZN2at6native12_GLOBAL__N_124unique_dim_cuda_templateImEESt5tupleIJNSF_6TensorESK_SK_EERKSK_lbbbEUlllE0_EEPmJS9_EEE10hipError_tPvRmT3_T4_T5_T6_T7_T9_mT8_P12ihipStream_tbDpT10_ENKUlT_T0_E_clISt17integral_constantIbLb1EES1A_EEDaS15_S16_EUlS15_E_NS1_11comp_targetILNS1_3genE8ELNS1_11target_archE1030ELNS1_3gpuE2ELNS1_3repE0EEENS1_30default_config_static_selectorELNS0_4arch9wavefront6targetE0EEEvT1_.kd
    .uniform_work_group_size: 1
    .uses_dynamic_stack: false
    .vgpr_count:     0
    .vgpr_spill_count: 0
    .wavefront_size: 32
  - .args:
      - .offset:         0
        .size:           120
        .value_kind:     by_value
    .group_segment_fixed_size: 0
    .kernarg_segment_align: 8
    .kernarg_segment_size: 120
    .language:       OpenCL C
    .language_version:
      - 2
      - 0
    .max_flat_workgroup_size: 128
    .name:           _ZN7rocprim17ROCPRIM_400000_NS6detail17trampoline_kernelINS0_14default_configENS1_25partition_config_selectorILNS1_17partition_subalgoE9EllbEEZZNS1_14partition_implILS5_9ELb0ES3_jPlS8_PNS0_10empty_typeENS0_5tupleIJS8_S9_EEENSB_IJS8_SA_EEENS0_18inequality_wrapperIZN2at6native12_GLOBAL__N_124unique_dim_cuda_templateImEESt5tupleIJNSF_6TensorESK_SK_EERKSK_lbbbEUlllE0_EEPmJS9_EEE10hipError_tPvRmT3_T4_T5_T6_T7_T9_mT8_P12ihipStream_tbDpT10_ENKUlT_T0_E_clISt17integral_constantIbLb1EES19_IbLb0EEEEDaS15_S16_EUlS15_E_NS1_11comp_targetILNS1_3genE0ELNS1_11target_archE4294967295ELNS1_3gpuE0ELNS1_3repE0EEENS1_30default_config_static_selectorELNS0_4arch9wavefront6targetE0EEEvT1_
    .private_segment_fixed_size: 0
    .sgpr_count:     0
    .sgpr_spill_count: 0
    .symbol:         _ZN7rocprim17ROCPRIM_400000_NS6detail17trampoline_kernelINS0_14default_configENS1_25partition_config_selectorILNS1_17partition_subalgoE9EllbEEZZNS1_14partition_implILS5_9ELb0ES3_jPlS8_PNS0_10empty_typeENS0_5tupleIJS8_S9_EEENSB_IJS8_SA_EEENS0_18inequality_wrapperIZN2at6native12_GLOBAL__N_124unique_dim_cuda_templateImEESt5tupleIJNSF_6TensorESK_SK_EERKSK_lbbbEUlllE0_EEPmJS9_EEE10hipError_tPvRmT3_T4_T5_T6_T7_T9_mT8_P12ihipStream_tbDpT10_ENKUlT_T0_E_clISt17integral_constantIbLb1EES19_IbLb0EEEEDaS15_S16_EUlS15_E_NS1_11comp_targetILNS1_3genE0ELNS1_11target_archE4294967295ELNS1_3gpuE0ELNS1_3repE0EEENS1_30default_config_static_selectorELNS0_4arch9wavefront6targetE0EEEvT1_.kd
    .uniform_work_group_size: 1
    .uses_dynamic_stack: false
    .vgpr_count:     0
    .vgpr_spill_count: 0
    .wavefront_size: 32
  - .args:
      - .offset:         0
        .size:           120
        .value_kind:     by_value
    .group_segment_fixed_size: 0
    .kernarg_segment_align: 8
    .kernarg_segment_size: 120
    .language:       OpenCL C
    .language_version:
      - 2
      - 0
    .max_flat_workgroup_size: 512
    .name:           _ZN7rocprim17ROCPRIM_400000_NS6detail17trampoline_kernelINS0_14default_configENS1_25partition_config_selectorILNS1_17partition_subalgoE9EllbEEZZNS1_14partition_implILS5_9ELb0ES3_jPlS8_PNS0_10empty_typeENS0_5tupleIJS8_S9_EEENSB_IJS8_SA_EEENS0_18inequality_wrapperIZN2at6native12_GLOBAL__N_124unique_dim_cuda_templateImEESt5tupleIJNSF_6TensorESK_SK_EERKSK_lbbbEUlllE0_EEPmJS9_EEE10hipError_tPvRmT3_T4_T5_T6_T7_T9_mT8_P12ihipStream_tbDpT10_ENKUlT_T0_E_clISt17integral_constantIbLb1EES19_IbLb0EEEEDaS15_S16_EUlS15_E_NS1_11comp_targetILNS1_3genE5ELNS1_11target_archE942ELNS1_3gpuE9ELNS1_3repE0EEENS1_30default_config_static_selectorELNS0_4arch9wavefront6targetE0EEEvT1_
    .private_segment_fixed_size: 0
    .sgpr_count:     0
    .sgpr_spill_count: 0
    .symbol:         _ZN7rocprim17ROCPRIM_400000_NS6detail17trampoline_kernelINS0_14default_configENS1_25partition_config_selectorILNS1_17partition_subalgoE9EllbEEZZNS1_14partition_implILS5_9ELb0ES3_jPlS8_PNS0_10empty_typeENS0_5tupleIJS8_S9_EEENSB_IJS8_SA_EEENS0_18inequality_wrapperIZN2at6native12_GLOBAL__N_124unique_dim_cuda_templateImEESt5tupleIJNSF_6TensorESK_SK_EERKSK_lbbbEUlllE0_EEPmJS9_EEE10hipError_tPvRmT3_T4_T5_T6_T7_T9_mT8_P12ihipStream_tbDpT10_ENKUlT_T0_E_clISt17integral_constantIbLb1EES19_IbLb0EEEEDaS15_S16_EUlS15_E_NS1_11comp_targetILNS1_3genE5ELNS1_11target_archE942ELNS1_3gpuE9ELNS1_3repE0EEENS1_30default_config_static_selectorELNS0_4arch9wavefront6targetE0EEEvT1_.kd
    .uniform_work_group_size: 1
    .uses_dynamic_stack: false
    .vgpr_count:     0
    .vgpr_spill_count: 0
    .wavefront_size: 32
  - .args:
      - .offset:         0
        .size:           120
        .value_kind:     by_value
    .group_segment_fixed_size: 0
    .kernarg_segment_align: 8
    .kernarg_segment_size: 120
    .language:       OpenCL C
    .language_version:
      - 2
      - 0
    .max_flat_workgroup_size: 128
    .name:           _ZN7rocprim17ROCPRIM_400000_NS6detail17trampoline_kernelINS0_14default_configENS1_25partition_config_selectorILNS1_17partition_subalgoE9EllbEEZZNS1_14partition_implILS5_9ELb0ES3_jPlS8_PNS0_10empty_typeENS0_5tupleIJS8_S9_EEENSB_IJS8_SA_EEENS0_18inequality_wrapperIZN2at6native12_GLOBAL__N_124unique_dim_cuda_templateImEESt5tupleIJNSF_6TensorESK_SK_EERKSK_lbbbEUlllE0_EEPmJS9_EEE10hipError_tPvRmT3_T4_T5_T6_T7_T9_mT8_P12ihipStream_tbDpT10_ENKUlT_T0_E_clISt17integral_constantIbLb1EES19_IbLb0EEEEDaS15_S16_EUlS15_E_NS1_11comp_targetILNS1_3genE4ELNS1_11target_archE910ELNS1_3gpuE8ELNS1_3repE0EEENS1_30default_config_static_selectorELNS0_4arch9wavefront6targetE0EEEvT1_
    .private_segment_fixed_size: 0
    .sgpr_count:     0
    .sgpr_spill_count: 0
    .symbol:         _ZN7rocprim17ROCPRIM_400000_NS6detail17trampoline_kernelINS0_14default_configENS1_25partition_config_selectorILNS1_17partition_subalgoE9EllbEEZZNS1_14partition_implILS5_9ELb0ES3_jPlS8_PNS0_10empty_typeENS0_5tupleIJS8_S9_EEENSB_IJS8_SA_EEENS0_18inequality_wrapperIZN2at6native12_GLOBAL__N_124unique_dim_cuda_templateImEESt5tupleIJNSF_6TensorESK_SK_EERKSK_lbbbEUlllE0_EEPmJS9_EEE10hipError_tPvRmT3_T4_T5_T6_T7_T9_mT8_P12ihipStream_tbDpT10_ENKUlT_T0_E_clISt17integral_constantIbLb1EES19_IbLb0EEEEDaS15_S16_EUlS15_E_NS1_11comp_targetILNS1_3genE4ELNS1_11target_archE910ELNS1_3gpuE8ELNS1_3repE0EEENS1_30default_config_static_selectorELNS0_4arch9wavefront6targetE0EEEvT1_.kd
    .uniform_work_group_size: 1
    .uses_dynamic_stack: false
    .vgpr_count:     0
    .vgpr_spill_count: 0
    .wavefront_size: 32
  - .args:
      - .offset:         0
        .size:           120
        .value_kind:     by_value
    .group_segment_fixed_size: 0
    .kernarg_segment_align: 8
    .kernarg_segment_size: 120
    .language:       OpenCL C
    .language_version:
      - 2
      - 0
    .max_flat_workgroup_size: 128
    .name:           _ZN7rocprim17ROCPRIM_400000_NS6detail17trampoline_kernelINS0_14default_configENS1_25partition_config_selectorILNS1_17partition_subalgoE9EllbEEZZNS1_14partition_implILS5_9ELb0ES3_jPlS8_PNS0_10empty_typeENS0_5tupleIJS8_S9_EEENSB_IJS8_SA_EEENS0_18inequality_wrapperIZN2at6native12_GLOBAL__N_124unique_dim_cuda_templateImEESt5tupleIJNSF_6TensorESK_SK_EERKSK_lbbbEUlllE0_EEPmJS9_EEE10hipError_tPvRmT3_T4_T5_T6_T7_T9_mT8_P12ihipStream_tbDpT10_ENKUlT_T0_E_clISt17integral_constantIbLb1EES19_IbLb0EEEEDaS15_S16_EUlS15_E_NS1_11comp_targetILNS1_3genE3ELNS1_11target_archE908ELNS1_3gpuE7ELNS1_3repE0EEENS1_30default_config_static_selectorELNS0_4arch9wavefront6targetE0EEEvT1_
    .private_segment_fixed_size: 0
    .sgpr_count:     0
    .sgpr_spill_count: 0
    .symbol:         _ZN7rocprim17ROCPRIM_400000_NS6detail17trampoline_kernelINS0_14default_configENS1_25partition_config_selectorILNS1_17partition_subalgoE9EllbEEZZNS1_14partition_implILS5_9ELb0ES3_jPlS8_PNS0_10empty_typeENS0_5tupleIJS8_S9_EEENSB_IJS8_SA_EEENS0_18inequality_wrapperIZN2at6native12_GLOBAL__N_124unique_dim_cuda_templateImEESt5tupleIJNSF_6TensorESK_SK_EERKSK_lbbbEUlllE0_EEPmJS9_EEE10hipError_tPvRmT3_T4_T5_T6_T7_T9_mT8_P12ihipStream_tbDpT10_ENKUlT_T0_E_clISt17integral_constantIbLb1EES19_IbLb0EEEEDaS15_S16_EUlS15_E_NS1_11comp_targetILNS1_3genE3ELNS1_11target_archE908ELNS1_3gpuE7ELNS1_3repE0EEENS1_30default_config_static_selectorELNS0_4arch9wavefront6targetE0EEEvT1_.kd
    .uniform_work_group_size: 1
    .uses_dynamic_stack: false
    .vgpr_count:     0
    .vgpr_spill_count: 0
    .wavefront_size: 32
  - .args:
      - .offset:         0
        .size:           120
        .value_kind:     by_value
    .group_segment_fixed_size: 0
    .kernarg_segment_align: 8
    .kernarg_segment_size: 120
    .language:       OpenCL C
    .language_version:
      - 2
      - 0
    .max_flat_workgroup_size: 192
    .name:           _ZN7rocprim17ROCPRIM_400000_NS6detail17trampoline_kernelINS0_14default_configENS1_25partition_config_selectorILNS1_17partition_subalgoE9EllbEEZZNS1_14partition_implILS5_9ELb0ES3_jPlS8_PNS0_10empty_typeENS0_5tupleIJS8_S9_EEENSB_IJS8_SA_EEENS0_18inequality_wrapperIZN2at6native12_GLOBAL__N_124unique_dim_cuda_templateImEESt5tupleIJNSF_6TensorESK_SK_EERKSK_lbbbEUlllE0_EEPmJS9_EEE10hipError_tPvRmT3_T4_T5_T6_T7_T9_mT8_P12ihipStream_tbDpT10_ENKUlT_T0_E_clISt17integral_constantIbLb1EES19_IbLb0EEEEDaS15_S16_EUlS15_E_NS1_11comp_targetILNS1_3genE2ELNS1_11target_archE906ELNS1_3gpuE6ELNS1_3repE0EEENS1_30default_config_static_selectorELNS0_4arch9wavefront6targetE0EEEvT1_
    .private_segment_fixed_size: 0
    .sgpr_count:     0
    .sgpr_spill_count: 0
    .symbol:         _ZN7rocprim17ROCPRIM_400000_NS6detail17trampoline_kernelINS0_14default_configENS1_25partition_config_selectorILNS1_17partition_subalgoE9EllbEEZZNS1_14partition_implILS5_9ELb0ES3_jPlS8_PNS0_10empty_typeENS0_5tupleIJS8_S9_EEENSB_IJS8_SA_EEENS0_18inequality_wrapperIZN2at6native12_GLOBAL__N_124unique_dim_cuda_templateImEESt5tupleIJNSF_6TensorESK_SK_EERKSK_lbbbEUlllE0_EEPmJS9_EEE10hipError_tPvRmT3_T4_T5_T6_T7_T9_mT8_P12ihipStream_tbDpT10_ENKUlT_T0_E_clISt17integral_constantIbLb1EES19_IbLb0EEEEDaS15_S16_EUlS15_E_NS1_11comp_targetILNS1_3genE2ELNS1_11target_archE906ELNS1_3gpuE6ELNS1_3repE0EEENS1_30default_config_static_selectorELNS0_4arch9wavefront6targetE0EEEvT1_.kd
    .uniform_work_group_size: 1
    .uses_dynamic_stack: false
    .vgpr_count:     0
    .vgpr_spill_count: 0
    .wavefront_size: 32
  - .args:
      - .offset:         0
        .size:           120
        .value_kind:     by_value
    .group_segment_fixed_size: 0
    .kernarg_segment_align: 8
    .kernarg_segment_size: 120
    .language:       OpenCL C
    .language_version:
      - 2
      - 0
    .max_flat_workgroup_size: 384
    .name:           _ZN7rocprim17ROCPRIM_400000_NS6detail17trampoline_kernelINS0_14default_configENS1_25partition_config_selectorILNS1_17partition_subalgoE9EllbEEZZNS1_14partition_implILS5_9ELb0ES3_jPlS8_PNS0_10empty_typeENS0_5tupleIJS8_S9_EEENSB_IJS8_SA_EEENS0_18inequality_wrapperIZN2at6native12_GLOBAL__N_124unique_dim_cuda_templateImEESt5tupleIJNSF_6TensorESK_SK_EERKSK_lbbbEUlllE0_EEPmJS9_EEE10hipError_tPvRmT3_T4_T5_T6_T7_T9_mT8_P12ihipStream_tbDpT10_ENKUlT_T0_E_clISt17integral_constantIbLb1EES19_IbLb0EEEEDaS15_S16_EUlS15_E_NS1_11comp_targetILNS1_3genE10ELNS1_11target_archE1200ELNS1_3gpuE4ELNS1_3repE0EEENS1_30default_config_static_selectorELNS0_4arch9wavefront6targetE0EEEvT1_
    .private_segment_fixed_size: 0
    .sgpr_count:     0
    .sgpr_spill_count: 0
    .symbol:         _ZN7rocprim17ROCPRIM_400000_NS6detail17trampoline_kernelINS0_14default_configENS1_25partition_config_selectorILNS1_17partition_subalgoE9EllbEEZZNS1_14partition_implILS5_9ELb0ES3_jPlS8_PNS0_10empty_typeENS0_5tupleIJS8_S9_EEENSB_IJS8_SA_EEENS0_18inequality_wrapperIZN2at6native12_GLOBAL__N_124unique_dim_cuda_templateImEESt5tupleIJNSF_6TensorESK_SK_EERKSK_lbbbEUlllE0_EEPmJS9_EEE10hipError_tPvRmT3_T4_T5_T6_T7_T9_mT8_P12ihipStream_tbDpT10_ENKUlT_T0_E_clISt17integral_constantIbLb1EES19_IbLb0EEEEDaS15_S16_EUlS15_E_NS1_11comp_targetILNS1_3genE10ELNS1_11target_archE1200ELNS1_3gpuE4ELNS1_3repE0EEENS1_30default_config_static_selectorELNS0_4arch9wavefront6targetE0EEEvT1_.kd
    .uniform_work_group_size: 1
    .uses_dynamic_stack: false
    .vgpr_count:     0
    .vgpr_spill_count: 0
    .wavefront_size: 32
  - .args:
      - .offset:         0
        .size:           120
        .value_kind:     by_value
    .group_segment_fixed_size: 0
    .kernarg_segment_align: 8
    .kernarg_segment_size: 120
    .language:       OpenCL C
    .language_version:
      - 2
      - 0
    .max_flat_workgroup_size: 512
    .name:           _ZN7rocprim17ROCPRIM_400000_NS6detail17trampoline_kernelINS0_14default_configENS1_25partition_config_selectorILNS1_17partition_subalgoE9EllbEEZZNS1_14partition_implILS5_9ELb0ES3_jPlS8_PNS0_10empty_typeENS0_5tupleIJS8_S9_EEENSB_IJS8_SA_EEENS0_18inequality_wrapperIZN2at6native12_GLOBAL__N_124unique_dim_cuda_templateImEESt5tupleIJNSF_6TensorESK_SK_EERKSK_lbbbEUlllE0_EEPmJS9_EEE10hipError_tPvRmT3_T4_T5_T6_T7_T9_mT8_P12ihipStream_tbDpT10_ENKUlT_T0_E_clISt17integral_constantIbLb1EES19_IbLb0EEEEDaS15_S16_EUlS15_E_NS1_11comp_targetILNS1_3genE9ELNS1_11target_archE1100ELNS1_3gpuE3ELNS1_3repE0EEENS1_30default_config_static_selectorELNS0_4arch9wavefront6targetE0EEEvT1_
    .private_segment_fixed_size: 0
    .sgpr_count:     0
    .sgpr_spill_count: 0
    .symbol:         _ZN7rocprim17ROCPRIM_400000_NS6detail17trampoline_kernelINS0_14default_configENS1_25partition_config_selectorILNS1_17partition_subalgoE9EllbEEZZNS1_14partition_implILS5_9ELb0ES3_jPlS8_PNS0_10empty_typeENS0_5tupleIJS8_S9_EEENSB_IJS8_SA_EEENS0_18inequality_wrapperIZN2at6native12_GLOBAL__N_124unique_dim_cuda_templateImEESt5tupleIJNSF_6TensorESK_SK_EERKSK_lbbbEUlllE0_EEPmJS9_EEE10hipError_tPvRmT3_T4_T5_T6_T7_T9_mT8_P12ihipStream_tbDpT10_ENKUlT_T0_E_clISt17integral_constantIbLb1EES19_IbLb0EEEEDaS15_S16_EUlS15_E_NS1_11comp_targetILNS1_3genE9ELNS1_11target_archE1100ELNS1_3gpuE3ELNS1_3repE0EEENS1_30default_config_static_selectorELNS0_4arch9wavefront6targetE0EEEvT1_.kd
    .uniform_work_group_size: 1
    .uses_dynamic_stack: false
    .vgpr_count:     0
    .vgpr_spill_count: 0
    .wavefront_size: 32
  - .args:
      - .offset:         0
        .size:           120
        .value_kind:     by_value
    .group_segment_fixed_size: 0
    .kernarg_segment_align: 8
    .kernarg_segment_size: 120
    .language:       OpenCL C
    .language_version:
      - 2
      - 0
    .max_flat_workgroup_size: 512
    .name:           _ZN7rocprim17ROCPRIM_400000_NS6detail17trampoline_kernelINS0_14default_configENS1_25partition_config_selectorILNS1_17partition_subalgoE9EllbEEZZNS1_14partition_implILS5_9ELb0ES3_jPlS8_PNS0_10empty_typeENS0_5tupleIJS8_S9_EEENSB_IJS8_SA_EEENS0_18inequality_wrapperIZN2at6native12_GLOBAL__N_124unique_dim_cuda_templateImEESt5tupleIJNSF_6TensorESK_SK_EERKSK_lbbbEUlllE0_EEPmJS9_EEE10hipError_tPvRmT3_T4_T5_T6_T7_T9_mT8_P12ihipStream_tbDpT10_ENKUlT_T0_E_clISt17integral_constantIbLb1EES19_IbLb0EEEEDaS15_S16_EUlS15_E_NS1_11comp_targetILNS1_3genE8ELNS1_11target_archE1030ELNS1_3gpuE2ELNS1_3repE0EEENS1_30default_config_static_selectorELNS0_4arch9wavefront6targetE0EEEvT1_
    .private_segment_fixed_size: 0
    .sgpr_count:     0
    .sgpr_spill_count: 0
    .symbol:         _ZN7rocprim17ROCPRIM_400000_NS6detail17trampoline_kernelINS0_14default_configENS1_25partition_config_selectorILNS1_17partition_subalgoE9EllbEEZZNS1_14partition_implILS5_9ELb0ES3_jPlS8_PNS0_10empty_typeENS0_5tupleIJS8_S9_EEENSB_IJS8_SA_EEENS0_18inequality_wrapperIZN2at6native12_GLOBAL__N_124unique_dim_cuda_templateImEESt5tupleIJNSF_6TensorESK_SK_EERKSK_lbbbEUlllE0_EEPmJS9_EEE10hipError_tPvRmT3_T4_T5_T6_T7_T9_mT8_P12ihipStream_tbDpT10_ENKUlT_T0_E_clISt17integral_constantIbLb1EES19_IbLb0EEEEDaS15_S16_EUlS15_E_NS1_11comp_targetILNS1_3genE8ELNS1_11target_archE1030ELNS1_3gpuE2ELNS1_3repE0EEENS1_30default_config_static_selectorELNS0_4arch9wavefront6targetE0EEEvT1_.kd
    .uniform_work_group_size: 1
    .uses_dynamic_stack: false
    .vgpr_count:     0
    .vgpr_spill_count: 0
    .wavefront_size: 32
  - .args:
      - .offset:         0
        .size:           136
        .value_kind:     by_value
    .group_segment_fixed_size: 5128
    .kernarg_segment_align: 8
    .kernarg_segment_size: 136
    .language:       OpenCL C
    .language_version:
      - 2
      - 0
    .max_flat_workgroup_size: 128
    .name:           _ZN7rocprim17ROCPRIM_400000_NS6detail17trampoline_kernelINS0_14default_configENS1_25partition_config_selectorILNS1_17partition_subalgoE9EllbEEZZNS1_14partition_implILS5_9ELb0ES3_jPlS8_PNS0_10empty_typeENS0_5tupleIJS8_S9_EEENSB_IJS8_SA_EEENS0_18inequality_wrapperIZN2at6native12_GLOBAL__N_124unique_dim_cuda_templateImEESt5tupleIJNSF_6TensorESK_SK_EERKSK_lbbbEUlllE0_EEPmJS9_EEE10hipError_tPvRmT3_T4_T5_T6_T7_T9_mT8_P12ihipStream_tbDpT10_ENKUlT_T0_E_clISt17integral_constantIbLb0EES19_IbLb1EEEEDaS15_S16_EUlS15_E_NS1_11comp_targetILNS1_3genE0ELNS1_11target_archE4294967295ELNS1_3gpuE0ELNS1_3repE0EEENS1_30default_config_static_selectorELNS0_4arch9wavefront6targetE0EEEvT1_
    .private_segment_fixed_size: 0
    .sgpr_count:     38
    .sgpr_spill_count: 0
    .symbol:         _ZN7rocprim17ROCPRIM_400000_NS6detail17trampoline_kernelINS0_14default_configENS1_25partition_config_selectorILNS1_17partition_subalgoE9EllbEEZZNS1_14partition_implILS5_9ELb0ES3_jPlS8_PNS0_10empty_typeENS0_5tupleIJS8_S9_EEENSB_IJS8_SA_EEENS0_18inequality_wrapperIZN2at6native12_GLOBAL__N_124unique_dim_cuda_templateImEESt5tupleIJNSF_6TensorESK_SK_EERKSK_lbbbEUlllE0_EEPmJS9_EEE10hipError_tPvRmT3_T4_T5_T6_T7_T9_mT8_P12ihipStream_tbDpT10_ENKUlT_T0_E_clISt17integral_constantIbLb0EES19_IbLb1EEEEDaS15_S16_EUlS15_E_NS1_11comp_targetILNS1_3genE0ELNS1_11target_archE4294967295ELNS1_3gpuE0ELNS1_3repE0EEENS1_30default_config_static_selectorELNS0_4arch9wavefront6targetE0EEEvT1_.kd
    .uniform_work_group_size: 1
    .uses_dynamic_stack: false
    .vgpr_count:     55
    .vgpr_spill_count: 0
    .wavefront_size: 32
  - .args:
      - .offset:         0
        .size:           136
        .value_kind:     by_value
    .group_segment_fixed_size: 0
    .kernarg_segment_align: 8
    .kernarg_segment_size: 136
    .language:       OpenCL C
    .language_version:
      - 2
      - 0
    .max_flat_workgroup_size: 512
    .name:           _ZN7rocprim17ROCPRIM_400000_NS6detail17trampoline_kernelINS0_14default_configENS1_25partition_config_selectorILNS1_17partition_subalgoE9EllbEEZZNS1_14partition_implILS5_9ELb0ES3_jPlS8_PNS0_10empty_typeENS0_5tupleIJS8_S9_EEENSB_IJS8_SA_EEENS0_18inequality_wrapperIZN2at6native12_GLOBAL__N_124unique_dim_cuda_templateImEESt5tupleIJNSF_6TensorESK_SK_EERKSK_lbbbEUlllE0_EEPmJS9_EEE10hipError_tPvRmT3_T4_T5_T6_T7_T9_mT8_P12ihipStream_tbDpT10_ENKUlT_T0_E_clISt17integral_constantIbLb0EES19_IbLb1EEEEDaS15_S16_EUlS15_E_NS1_11comp_targetILNS1_3genE5ELNS1_11target_archE942ELNS1_3gpuE9ELNS1_3repE0EEENS1_30default_config_static_selectorELNS0_4arch9wavefront6targetE0EEEvT1_
    .private_segment_fixed_size: 0
    .sgpr_count:     0
    .sgpr_spill_count: 0
    .symbol:         _ZN7rocprim17ROCPRIM_400000_NS6detail17trampoline_kernelINS0_14default_configENS1_25partition_config_selectorILNS1_17partition_subalgoE9EllbEEZZNS1_14partition_implILS5_9ELb0ES3_jPlS8_PNS0_10empty_typeENS0_5tupleIJS8_S9_EEENSB_IJS8_SA_EEENS0_18inequality_wrapperIZN2at6native12_GLOBAL__N_124unique_dim_cuda_templateImEESt5tupleIJNSF_6TensorESK_SK_EERKSK_lbbbEUlllE0_EEPmJS9_EEE10hipError_tPvRmT3_T4_T5_T6_T7_T9_mT8_P12ihipStream_tbDpT10_ENKUlT_T0_E_clISt17integral_constantIbLb0EES19_IbLb1EEEEDaS15_S16_EUlS15_E_NS1_11comp_targetILNS1_3genE5ELNS1_11target_archE942ELNS1_3gpuE9ELNS1_3repE0EEENS1_30default_config_static_selectorELNS0_4arch9wavefront6targetE0EEEvT1_.kd
    .uniform_work_group_size: 1
    .uses_dynamic_stack: false
    .vgpr_count:     0
    .vgpr_spill_count: 0
    .wavefront_size: 32
  - .args:
      - .offset:         0
        .size:           136
        .value_kind:     by_value
    .group_segment_fixed_size: 0
    .kernarg_segment_align: 8
    .kernarg_segment_size: 136
    .language:       OpenCL C
    .language_version:
      - 2
      - 0
    .max_flat_workgroup_size: 128
    .name:           _ZN7rocprim17ROCPRIM_400000_NS6detail17trampoline_kernelINS0_14default_configENS1_25partition_config_selectorILNS1_17partition_subalgoE9EllbEEZZNS1_14partition_implILS5_9ELb0ES3_jPlS8_PNS0_10empty_typeENS0_5tupleIJS8_S9_EEENSB_IJS8_SA_EEENS0_18inequality_wrapperIZN2at6native12_GLOBAL__N_124unique_dim_cuda_templateImEESt5tupleIJNSF_6TensorESK_SK_EERKSK_lbbbEUlllE0_EEPmJS9_EEE10hipError_tPvRmT3_T4_T5_T6_T7_T9_mT8_P12ihipStream_tbDpT10_ENKUlT_T0_E_clISt17integral_constantIbLb0EES19_IbLb1EEEEDaS15_S16_EUlS15_E_NS1_11comp_targetILNS1_3genE4ELNS1_11target_archE910ELNS1_3gpuE8ELNS1_3repE0EEENS1_30default_config_static_selectorELNS0_4arch9wavefront6targetE0EEEvT1_
    .private_segment_fixed_size: 0
    .sgpr_count:     0
    .sgpr_spill_count: 0
    .symbol:         _ZN7rocprim17ROCPRIM_400000_NS6detail17trampoline_kernelINS0_14default_configENS1_25partition_config_selectorILNS1_17partition_subalgoE9EllbEEZZNS1_14partition_implILS5_9ELb0ES3_jPlS8_PNS0_10empty_typeENS0_5tupleIJS8_S9_EEENSB_IJS8_SA_EEENS0_18inequality_wrapperIZN2at6native12_GLOBAL__N_124unique_dim_cuda_templateImEESt5tupleIJNSF_6TensorESK_SK_EERKSK_lbbbEUlllE0_EEPmJS9_EEE10hipError_tPvRmT3_T4_T5_T6_T7_T9_mT8_P12ihipStream_tbDpT10_ENKUlT_T0_E_clISt17integral_constantIbLb0EES19_IbLb1EEEEDaS15_S16_EUlS15_E_NS1_11comp_targetILNS1_3genE4ELNS1_11target_archE910ELNS1_3gpuE8ELNS1_3repE0EEENS1_30default_config_static_selectorELNS0_4arch9wavefront6targetE0EEEvT1_.kd
    .uniform_work_group_size: 1
    .uses_dynamic_stack: false
    .vgpr_count:     0
    .vgpr_spill_count: 0
    .wavefront_size: 32
  - .args:
      - .offset:         0
        .size:           136
        .value_kind:     by_value
    .group_segment_fixed_size: 0
    .kernarg_segment_align: 8
    .kernarg_segment_size: 136
    .language:       OpenCL C
    .language_version:
      - 2
      - 0
    .max_flat_workgroup_size: 128
    .name:           _ZN7rocprim17ROCPRIM_400000_NS6detail17trampoline_kernelINS0_14default_configENS1_25partition_config_selectorILNS1_17partition_subalgoE9EllbEEZZNS1_14partition_implILS5_9ELb0ES3_jPlS8_PNS0_10empty_typeENS0_5tupleIJS8_S9_EEENSB_IJS8_SA_EEENS0_18inequality_wrapperIZN2at6native12_GLOBAL__N_124unique_dim_cuda_templateImEESt5tupleIJNSF_6TensorESK_SK_EERKSK_lbbbEUlllE0_EEPmJS9_EEE10hipError_tPvRmT3_T4_T5_T6_T7_T9_mT8_P12ihipStream_tbDpT10_ENKUlT_T0_E_clISt17integral_constantIbLb0EES19_IbLb1EEEEDaS15_S16_EUlS15_E_NS1_11comp_targetILNS1_3genE3ELNS1_11target_archE908ELNS1_3gpuE7ELNS1_3repE0EEENS1_30default_config_static_selectorELNS0_4arch9wavefront6targetE0EEEvT1_
    .private_segment_fixed_size: 0
    .sgpr_count:     0
    .sgpr_spill_count: 0
    .symbol:         _ZN7rocprim17ROCPRIM_400000_NS6detail17trampoline_kernelINS0_14default_configENS1_25partition_config_selectorILNS1_17partition_subalgoE9EllbEEZZNS1_14partition_implILS5_9ELb0ES3_jPlS8_PNS0_10empty_typeENS0_5tupleIJS8_S9_EEENSB_IJS8_SA_EEENS0_18inequality_wrapperIZN2at6native12_GLOBAL__N_124unique_dim_cuda_templateImEESt5tupleIJNSF_6TensorESK_SK_EERKSK_lbbbEUlllE0_EEPmJS9_EEE10hipError_tPvRmT3_T4_T5_T6_T7_T9_mT8_P12ihipStream_tbDpT10_ENKUlT_T0_E_clISt17integral_constantIbLb0EES19_IbLb1EEEEDaS15_S16_EUlS15_E_NS1_11comp_targetILNS1_3genE3ELNS1_11target_archE908ELNS1_3gpuE7ELNS1_3repE0EEENS1_30default_config_static_selectorELNS0_4arch9wavefront6targetE0EEEvT1_.kd
    .uniform_work_group_size: 1
    .uses_dynamic_stack: false
    .vgpr_count:     0
    .vgpr_spill_count: 0
    .wavefront_size: 32
  - .args:
      - .offset:         0
        .size:           136
        .value_kind:     by_value
    .group_segment_fixed_size: 0
    .kernarg_segment_align: 8
    .kernarg_segment_size: 136
    .language:       OpenCL C
    .language_version:
      - 2
      - 0
    .max_flat_workgroup_size: 192
    .name:           _ZN7rocprim17ROCPRIM_400000_NS6detail17trampoline_kernelINS0_14default_configENS1_25partition_config_selectorILNS1_17partition_subalgoE9EllbEEZZNS1_14partition_implILS5_9ELb0ES3_jPlS8_PNS0_10empty_typeENS0_5tupleIJS8_S9_EEENSB_IJS8_SA_EEENS0_18inequality_wrapperIZN2at6native12_GLOBAL__N_124unique_dim_cuda_templateImEESt5tupleIJNSF_6TensorESK_SK_EERKSK_lbbbEUlllE0_EEPmJS9_EEE10hipError_tPvRmT3_T4_T5_T6_T7_T9_mT8_P12ihipStream_tbDpT10_ENKUlT_T0_E_clISt17integral_constantIbLb0EES19_IbLb1EEEEDaS15_S16_EUlS15_E_NS1_11comp_targetILNS1_3genE2ELNS1_11target_archE906ELNS1_3gpuE6ELNS1_3repE0EEENS1_30default_config_static_selectorELNS0_4arch9wavefront6targetE0EEEvT1_
    .private_segment_fixed_size: 0
    .sgpr_count:     0
    .sgpr_spill_count: 0
    .symbol:         _ZN7rocprim17ROCPRIM_400000_NS6detail17trampoline_kernelINS0_14default_configENS1_25partition_config_selectorILNS1_17partition_subalgoE9EllbEEZZNS1_14partition_implILS5_9ELb0ES3_jPlS8_PNS0_10empty_typeENS0_5tupleIJS8_S9_EEENSB_IJS8_SA_EEENS0_18inequality_wrapperIZN2at6native12_GLOBAL__N_124unique_dim_cuda_templateImEESt5tupleIJNSF_6TensorESK_SK_EERKSK_lbbbEUlllE0_EEPmJS9_EEE10hipError_tPvRmT3_T4_T5_T6_T7_T9_mT8_P12ihipStream_tbDpT10_ENKUlT_T0_E_clISt17integral_constantIbLb0EES19_IbLb1EEEEDaS15_S16_EUlS15_E_NS1_11comp_targetILNS1_3genE2ELNS1_11target_archE906ELNS1_3gpuE6ELNS1_3repE0EEENS1_30default_config_static_selectorELNS0_4arch9wavefront6targetE0EEEvT1_.kd
    .uniform_work_group_size: 1
    .uses_dynamic_stack: false
    .vgpr_count:     0
    .vgpr_spill_count: 0
    .wavefront_size: 32
  - .args:
      - .offset:         0
        .size:           136
        .value_kind:     by_value
    .group_segment_fixed_size: 0
    .kernarg_segment_align: 8
    .kernarg_segment_size: 136
    .language:       OpenCL C
    .language_version:
      - 2
      - 0
    .max_flat_workgroup_size: 384
    .name:           _ZN7rocprim17ROCPRIM_400000_NS6detail17trampoline_kernelINS0_14default_configENS1_25partition_config_selectorILNS1_17partition_subalgoE9EllbEEZZNS1_14partition_implILS5_9ELb0ES3_jPlS8_PNS0_10empty_typeENS0_5tupleIJS8_S9_EEENSB_IJS8_SA_EEENS0_18inequality_wrapperIZN2at6native12_GLOBAL__N_124unique_dim_cuda_templateImEESt5tupleIJNSF_6TensorESK_SK_EERKSK_lbbbEUlllE0_EEPmJS9_EEE10hipError_tPvRmT3_T4_T5_T6_T7_T9_mT8_P12ihipStream_tbDpT10_ENKUlT_T0_E_clISt17integral_constantIbLb0EES19_IbLb1EEEEDaS15_S16_EUlS15_E_NS1_11comp_targetILNS1_3genE10ELNS1_11target_archE1200ELNS1_3gpuE4ELNS1_3repE0EEENS1_30default_config_static_selectorELNS0_4arch9wavefront6targetE0EEEvT1_
    .private_segment_fixed_size: 0
    .sgpr_count:     0
    .sgpr_spill_count: 0
    .symbol:         _ZN7rocprim17ROCPRIM_400000_NS6detail17trampoline_kernelINS0_14default_configENS1_25partition_config_selectorILNS1_17partition_subalgoE9EllbEEZZNS1_14partition_implILS5_9ELb0ES3_jPlS8_PNS0_10empty_typeENS0_5tupleIJS8_S9_EEENSB_IJS8_SA_EEENS0_18inequality_wrapperIZN2at6native12_GLOBAL__N_124unique_dim_cuda_templateImEESt5tupleIJNSF_6TensorESK_SK_EERKSK_lbbbEUlllE0_EEPmJS9_EEE10hipError_tPvRmT3_T4_T5_T6_T7_T9_mT8_P12ihipStream_tbDpT10_ENKUlT_T0_E_clISt17integral_constantIbLb0EES19_IbLb1EEEEDaS15_S16_EUlS15_E_NS1_11comp_targetILNS1_3genE10ELNS1_11target_archE1200ELNS1_3gpuE4ELNS1_3repE0EEENS1_30default_config_static_selectorELNS0_4arch9wavefront6targetE0EEEvT1_.kd
    .uniform_work_group_size: 1
    .uses_dynamic_stack: false
    .vgpr_count:     0
    .vgpr_spill_count: 0
    .wavefront_size: 32
  - .args:
      - .offset:         0
        .size:           136
        .value_kind:     by_value
    .group_segment_fixed_size: 0
    .kernarg_segment_align: 8
    .kernarg_segment_size: 136
    .language:       OpenCL C
    .language_version:
      - 2
      - 0
    .max_flat_workgroup_size: 512
    .name:           _ZN7rocprim17ROCPRIM_400000_NS6detail17trampoline_kernelINS0_14default_configENS1_25partition_config_selectorILNS1_17partition_subalgoE9EllbEEZZNS1_14partition_implILS5_9ELb0ES3_jPlS8_PNS0_10empty_typeENS0_5tupleIJS8_S9_EEENSB_IJS8_SA_EEENS0_18inequality_wrapperIZN2at6native12_GLOBAL__N_124unique_dim_cuda_templateImEESt5tupleIJNSF_6TensorESK_SK_EERKSK_lbbbEUlllE0_EEPmJS9_EEE10hipError_tPvRmT3_T4_T5_T6_T7_T9_mT8_P12ihipStream_tbDpT10_ENKUlT_T0_E_clISt17integral_constantIbLb0EES19_IbLb1EEEEDaS15_S16_EUlS15_E_NS1_11comp_targetILNS1_3genE9ELNS1_11target_archE1100ELNS1_3gpuE3ELNS1_3repE0EEENS1_30default_config_static_selectorELNS0_4arch9wavefront6targetE0EEEvT1_
    .private_segment_fixed_size: 0
    .sgpr_count:     0
    .sgpr_spill_count: 0
    .symbol:         _ZN7rocprim17ROCPRIM_400000_NS6detail17trampoline_kernelINS0_14default_configENS1_25partition_config_selectorILNS1_17partition_subalgoE9EllbEEZZNS1_14partition_implILS5_9ELb0ES3_jPlS8_PNS0_10empty_typeENS0_5tupleIJS8_S9_EEENSB_IJS8_SA_EEENS0_18inequality_wrapperIZN2at6native12_GLOBAL__N_124unique_dim_cuda_templateImEESt5tupleIJNSF_6TensorESK_SK_EERKSK_lbbbEUlllE0_EEPmJS9_EEE10hipError_tPvRmT3_T4_T5_T6_T7_T9_mT8_P12ihipStream_tbDpT10_ENKUlT_T0_E_clISt17integral_constantIbLb0EES19_IbLb1EEEEDaS15_S16_EUlS15_E_NS1_11comp_targetILNS1_3genE9ELNS1_11target_archE1100ELNS1_3gpuE3ELNS1_3repE0EEENS1_30default_config_static_selectorELNS0_4arch9wavefront6targetE0EEEvT1_.kd
    .uniform_work_group_size: 1
    .uses_dynamic_stack: false
    .vgpr_count:     0
    .vgpr_spill_count: 0
    .wavefront_size: 32
  - .args:
      - .offset:         0
        .size:           136
        .value_kind:     by_value
    .group_segment_fixed_size: 0
    .kernarg_segment_align: 8
    .kernarg_segment_size: 136
    .language:       OpenCL C
    .language_version:
      - 2
      - 0
    .max_flat_workgroup_size: 512
    .name:           _ZN7rocprim17ROCPRIM_400000_NS6detail17trampoline_kernelINS0_14default_configENS1_25partition_config_selectorILNS1_17partition_subalgoE9EllbEEZZNS1_14partition_implILS5_9ELb0ES3_jPlS8_PNS0_10empty_typeENS0_5tupleIJS8_S9_EEENSB_IJS8_SA_EEENS0_18inequality_wrapperIZN2at6native12_GLOBAL__N_124unique_dim_cuda_templateImEESt5tupleIJNSF_6TensorESK_SK_EERKSK_lbbbEUlllE0_EEPmJS9_EEE10hipError_tPvRmT3_T4_T5_T6_T7_T9_mT8_P12ihipStream_tbDpT10_ENKUlT_T0_E_clISt17integral_constantIbLb0EES19_IbLb1EEEEDaS15_S16_EUlS15_E_NS1_11comp_targetILNS1_3genE8ELNS1_11target_archE1030ELNS1_3gpuE2ELNS1_3repE0EEENS1_30default_config_static_selectorELNS0_4arch9wavefront6targetE0EEEvT1_
    .private_segment_fixed_size: 0
    .sgpr_count:     0
    .sgpr_spill_count: 0
    .symbol:         _ZN7rocprim17ROCPRIM_400000_NS6detail17trampoline_kernelINS0_14default_configENS1_25partition_config_selectorILNS1_17partition_subalgoE9EllbEEZZNS1_14partition_implILS5_9ELb0ES3_jPlS8_PNS0_10empty_typeENS0_5tupleIJS8_S9_EEENSB_IJS8_SA_EEENS0_18inequality_wrapperIZN2at6native12_GLOBAL__N_124unique_dim_cuda_templateImEESt5tupleIJNSF_6TensorESK_SK_EERKSK_lbbbEUlllE0_EEPmJS9_EEE10hipError_tPvRmT3_T4_T5_T6_T7_T9_mT8_P12ihipStream_tbDpT10_ENKUlT_T0_E_clISt17integral_constantIbLb0EES19_IbLb1EEEEDaS15_S16_EUlS15_E_NS1_11comp_targetILNS1_3genE8ELNS1_11target_archE1030ELNS1_3gpuE2ELNS1_3repE0EEENS1_30default_config_static_selectorELNS0_4arch9wavefront6targetE0EEEvT1_.kd
    .uniform_work_group_size: 1
    .uses_dynamic_stack: false
    .vgpr_count:     0
    .vgpr_spill_count: 0
    .wavefront_size: 32
amdhsa.target:   amdgcn-amd-amdhsa--gfx1250
amdhsa.version:
  - 1
  - 2
...

	.end_amdgpu_metadata
